;; amdgpu-corpus repo=vllm-project/vllm kind=compiled arch=gfx942 opt=O3
	.text
	.amdgcn_target "amdgcn-amd-amdhsa--gfx942"
	.amdhsa_code_object_version 6
	.section	.text._ZN4vllm25paged_attention_v1_kernelIffLi32ELi8ELi128ELNS_18Fp8KVCacheDataTypeE0ELb1EEEvPT_PKS2_PKT0_S8_ifPKiSA_iPKfiiiSC_SC_iiiii,"axG",@progbits,_ZN4vllm25paged_attention_v1_kernelIffLi32ELi8ELi128ELNS_18Fp8KVCacheDataTypeE0ELb1EEEvPT_PKS2_PKT0_S8_ifPKiSA_iPKfiiiSC_SC_iiiii,comdat
	.protected	_ZN4vllm25paged_attention_v1_kernelIffLi32ELi8ELi128ELNS_18Fp8KVCacheDataTypeE0ELb1EEEvPT_PKS2_PKT0_S8_ifPKiSA_iPKfiiiSC_SC_iiiii ; -- Begin function _ZN4vllm25paged_attention_v1_kernelIffLi32ELi8ELi128ELNS_18Fp8KVCacheDataTypeE0ELb1EEEvPT_PKS2_PKT0_S8_ifPKiSA_iPKfiiiSC_SC_iiiii
	.globl	_ZN4vllm25paged_attention_v1_kernelIffLi32ELi8ELi128ELNS_18Fp8KVCacheDataTypeE0ELb1EEEvPT_PKS2_PKT0_S8_ifPKiSA_iPKfiiiSC_SC_iiiii
	.p2align	8
	.type	_ZN4vllm25paged_attention_v1_kernelIffLi32ELi8ELi128ELNS_18Fp8KVCacheDataTypeE0ELb1EEEvPT_PKS2_PKT0_S8_ifPKiSA_iPKfiiiSC_SC_iiiii,@function
_ZN4vllm25paged_attention_v1_kernelIffLi32ELi8ELi128ELNS_18Fp8KVCacheDataTypeE0ELb1EEEvPT_PKS2_PKT0_S8_ifPKiSA_iPKfiiiSC_SC_iiiii: ; @_ZN4vllm25paged_attention_v1_kernelIffLi32ELi8ELi128ELNS_18Fp8KVCacheDataTypeE0ELb1EEEvPT_PKS2_PKT0_S8_ifPKiSA_iPKfiiiSC_SC_iiiii
; %bb.0:
	s_load_dword s5, s[0:1], 0x80
	s_load_dwordx2 s[6:7], s[0:1], 0x30
	s_load_dwordx2 s[30:31], s[0:1], 0x20
	s_mov_b32 s10, s3
	s_ashr_i32 s11, s3, 31
	s_lshl_b64 s[8:9], s[10:11], 2
	s_waitcnt lgkmcnt(0)
	s_add_u32 s6, s6, s8
	s_addc_u32 s7, s7, s9
	s_abs_i32 s3, s30
	v_cvt_f32_u32_e32 v1, s3
	s_sub_i32 s11, 0, s3
	s_abs_i32 s9, s5
	s_xor_b32 s8, s5, s30
	v_rcp_iflag_f32_e32 v1, v1
	s_ashr_i32 s8, s8, 31
	s_mov_b32 s42, 0
	v_mul_f32_e32 v1, 0x4f7ffffe, v1
	v_cvt_u32_f32_e32 v1, v1
	s_nop 0
	v_readfirstlane_b32 s12, v1
	s_mul_i32 s11, s11, s12
	s_mul_hi_u32 s11, s12, s11
	s_add_i32 s12, s12, s11
	s_mul_hi_u32 s11, s9, s12
	s_mul_i32 s12, s11, s3
	s_sub_i32 s9, s9, s12
	s_add_i32 s12, s11, 1
	s_sub_i32 s13, s9, s3
	s_cmp_ge_u32 s9, s3
	s_cselect_b32 s11, s12, s11
	s_cselect_b32 s9, s13, s9
	s_add_i32 s12, s11, 1
	s_cmp_ge_u32 s9, s3
	s_cselect_b32 s3, s12, s11
	s_xor_b32 s3, s3, s8
	s_sub_i32 s12, s3, s8
	s_abs_i32 s22, s12
	v_cvt_f32_u32_e32 v1, s22
	s_load_dwordx2 s[8:9], s[0:1], 0x40
	s_sub_i32 s3, 0, s22
	s_abs_i32 s23, s2
	v_rcp_iflag_f32_e32 v1, v1
	s_nop 0
	v_mul_f32_e32 v1, 0x4f7ffffe, v1
	v_cvt_u32_f32_e32 v1, v1
	s_nop 0
	v_readfirstlane_b32 s11, v1
	s_mul_i32 s3, s3, s11
	s_mul_hi_u32 s3, s11, s3
	s_add_i32 s11, s11, s3
	s_waitcnt lgkmcnt(0)
	s_cmp_eq_u64 s[8:9], 0
	s_mul_hi_u32 s24, s23, s11
	s_cbranch_scc1 .LBB0_2
; %bb.1:
	s_ashr_i32 s3, s2, 31
	s_lshl_b64 s[14:15], s[2:3], 2
	s_add_u32 s8, s8, s14
	s_addc_u32 s9, s9, s15
	s_load_dword s42, s[8:9], 0x0
.LBB0_2:
	s_load_dword s11, s[6:7], 0x0
	s_ashr_i32 s9, s12, 31
	s_load_dwordx4 s[12:15], s[0:1], 0x48
	s_ashr_i32 s8, s2, 31
	v_and_b32_e32 v2, 7, v0
	s_lshl_b32 s20, s2, 5
	v_cmp_gt_u32_e32 vcc, 32, v0
	v_lshlrev_b32_e32 v6, 2, v0
	s_and_saveexec_b64 s[6:7], vcc
	s_cbranch_execz .LBB0_4
; %bb.3:
	s_load_dwordx2 s[16:17], s[0:1], 0x8
	s_waitcnt lgkmcnt(0)
	s_mul_i32 s18, s10, s12
	s_ashr_i32 s19, s18, 31
	s_lshl_b64 s[18:19], s[18:19], 2
	v_lshrrev_b32_e32 v3, 1, v0
	s_add_u32 s3, s16, s18
	s_addc_u32 s12, s17, s19
	s_ashr_i32 s21, s20, 31
	s_lshl_b64 s[16:17], s[20:21], 2
	s_add_u32 s16, s3, s16
	s_addc_u32 s17, s12, s17
	global_load_dword v1, v6, s[16:17]
	v_and_b32_e32 v3, 0x1fc, v3
	v_lshl_add_u32 v3, v2, 4, v3
	s_waitcnt vmcnt(0)
	ds_write_b32 v3, v1
.LBB0_4:
	s_or_b64 exec, exec, s[6:7]
	s_mul_i32 s7, s24, s22
	s_sub_i32 s7, s23, s7
	s_xor_b32 s6, s8, s9
	s_add_i32 s8, s24, 1
	s_sub_i32 s9, s7, s22
	s_load_dwordx4 s[16:19], s[0:1], 0x68
	s_load_dword s3, s[0:1], 0x78
	s_cmp_ge_u32 s7, s22
	s_cselect_b32 s8, s8, s24
	s_cselect_b32 s7, s9, s7
	s_add_i32 s9, s8, 1
	s_cmp_ge_u32 s7, s22
	s_cselect_b32 s7, s9, s8
	s_waitcnt lgkmcnt(0)
	s_abs_i32 s21, s19
	v_cvt_f32_u32_e32 v1, s21
	s_xor_b32 s7, s7, s6
	s_sub_i32 s8, s7, s6
	s_sub_i32 s6, 0, s21
	v_rcp_iflag_f32_e32 v1, v1
	s_add_i32 s12, s11, -1
	s_abs_i32 s9, s12
	v_mul_f32_e32 v1, 0x4f7ffffe, v1
	v_cvt_u32_f32_e32 v1, v1
	s_barrier
	v_readfirstlane_b32 s33, v1
	s_mul_i32 s6, s6, s33
	s_mul_hi_u32 s6, s33, s6
	s_add_i32 s33, s33, s6
	s_cmp_lt_i32 s3, 0
	s_mul_hi_u32 s15, s9, s33
	s_cbranch_scc0 .LBB0_6
; %bb.5:
	s_mul_i32 s6, s16, s30
	s_add_i32 s6, s8, s6
	s_mul_i32 s6, s6, s3
	s_sub_i32 s40, 1, s6
	s_mov_b64 s[6:7], 0
	s_branch .LBB0_7
.LBB0_6:
	s_mov_b64 s[6:7], -1
                                        ; implicit-def: $sgpr40
.LBB0_7:
	s_load_dwordx2 s[24:25], s[0:1], 0x28
	s_ashr_i32 s26, s12, 31
	s_andn2_b64 vcc, exec, s[6:7]
	s_ashr_i32 s19, s19, 31
	s_cbranch_vccnz .LBB0_9
; %bb.8:
	s_mul_i32 s6, s5, s16
	s_add_i32 s2, s6, s2
	s_mul_i32 s2, s2, s3
	s_add_i32 s40, s2, 1
.LBB0_9:
	s_load_dword s2, s[0:1], 0x38
	s_load_dwordx2 s[22:23], s[0:1], 0x0
	s_load_dwordx2 s[28:29], s[0:1], 0x18
	s_load_dword s12, s[0:1], 0x88
	s_xor_b32 s3, s26, s19
	s_waitcnt lgkmcnt(0)
	s_mul_i32 s26, s10, s2
	s_mul_i32 s2, s15, s21
	s_sub_i32 s2, s9, s2
	s_ashr_i32 s27, s26, 31
	s_add_i32 s6, s15, 1
	s_sub_i32 s7, s2, s21
	s_cmp_ge_u32 s2, s21
	s_cselect_b32 s6, s6, s15
	s_cselect_b32 s2, s7, s2
	s_add_i32 s7, s6, 1
	s_cmp_ge_u32 s2, s21
	s_cselect_b32 s2, s7, s6
	s_xor_b32 s2, s2, s3
	s_sub_i32 s41, s2, s3
	s_add_i32 s2, s11, 7
	s_ashr_i32 s3, s2, 31
	s_lshr_b32 s3, s3, 29
	s_add_i32 s2, s2, s3
	s_ashr_i32 s16, s2, 3
	v_lshrrev_b32_e32 v1, 6, v0
	v_cmp_gt_i32_e64 s[2:3], s16, v1
	v_mov_b32_e32 v12, 0xff7fffff
	s_mul_i32 s14, s8, s14
	v_lshrrev_b32_e32 v7, 4, v0
	v_lshlrev_b32_e32 v16, 3, v1
	v_mbcnt_lo_u32_b32 v8, -1, 0
	s_and_saveexec_b64 s[34:35], s[2:3]
	s_cbranch_execz .LBB0_19
; %bb.10:
	s_load_dwordx2 s[0:1], s[0:1], 0x10
	s_ashr_i32 s15, s14, 31
	s_sub_i32 s30, s41, s17
	s_lshl_b64 s[6:7], s[14:15], 2
	v_bfe_u32 v9, v0, 3, 3
	s_waitcnt lgkmcnt(0)
	s_add_u32 s0, s0, s6
	s_addc_u32 s1, s1, s7
	s_abs_i32 s15, s18
	v_cvt_f32_u32_e32 v3, s15
	v_lshlrev_b32_e32 v4, 4, v9
	v_mov_b32_e32 v5, 0
	v_lshl_add_u64 v[10:11], s[0:1], 0, v[4:5]
	v_rcp_iflag_f32_e32 v3, v3
	v_and_b32_e32 v4, 3, v0
	v_lshlrev_b32_e32 v4, 2, v4
	s_sub_i32 s6, 0, s15
	v_mul_f32_e32 v3, 0x4f7ffffe, v3
	v_cvt_u32_f32_e32 v3, v3
	v_cmp_eq_u32_e32 vcc, 0, v2
	v_lshl_add_u64 v[12:13], v[10:11], 0, v[4:5]
	v_lshlrev_b32_e32 v10, 4, v2
	v_mul_lo_u32 v2, s6, v3
	v_mul_hi_u32 v2, v3, v2
	v_add_u32_e32 v11, v3, v2
	v_lshlrev_b32_e32 v2, 5, v0
	v_lshlrev_b32_e32 v14, 2, v9
	v_and_b32_e32 v4, 0x80, v2
	v_lshl_add_u64 v[2:3], v[12:13], 0, v[4:5]
	s_lshl_b64 s[6:7], s[26:27], 2
	v_lshl_or_b32 v12, v1, 5, v14
	s_add_u32 s6, s24, s6
	v_add_u32_e32 v14, 0x90, v12
	v_subrev_u32_e32 v12, s11, v9
	v_mbcnt_hi_u32_b32 v18, -1, v8
	v_and_b32_e32 v4, 60, v7
	s_addc_u32 s7, s25, s7
	v_add_u32_e32 v15, 1, v12
	v_and_b32_e32 v12, 64, v18
	s_mov_b32 s43, s13
	v_cmp_neq_f32_e64 s[0:1], s42, 0
	v_lshl_add_u64 v[4:5], s[6:7], 0, v[4:5]
	v_lshlrev_b32_e32 v13, 3, v1
	s_mov_b64 s[36:37], 0
	v_mov_b32_e32 v17, 0xff7fffff
	v_add_u32_e32 v19, 64, v12
	v_xor_b32_e32 v20, 4, v18
	v_xor_b32_e32 v21, 2, v18
	;; [unrolled: 1-line block ×3, first 2 shown]
	v_mov_b32_e32 v12, 0xff7fffff
	v_mov_b32_e32 v23, v1
	s_branch .LBB0_13
.LBB0_11:                               ;   in Loop: Header=BB0_13 Depth=1
	s_or_b64 exec, exec, s[38:39]
.LBB0_12:                               ;   in Loop: Header=BB0_13 Depth=1
	s_or_b64 exec, exec, s[8:9]
	v_add_u32_e32 v23, 2, v23
	v_cmp_le_i32_e64 s[6:7], s16, v23
	v_lshl_add_u64 v[4:5], v[4:5], 0, 8
	v_add_u32_e32 v13, 16, v13
	s_or_b64 s[36:37], s[6:7], s[36:37]
	v_add_u32_e32 v14, 64, v14
	s_andn2_b64 exec, exec, s[36:37]
	s_cbranch_execz .LBB0_18
.LBB0_13:                               ; =>This Inner Loop Header: Depth=1
	v_mul_hi_u32 v24, v13, s33
	s_waitcnt lgkmcnt(0)
	v_mul_lo_u32 v25, v24, s21
	v_sub_u32_e32 v25, v13, v25
	v_add_u32_e32 v26, 1, v24
	v_cmp_le_u32_e64 s[6:7], s21, v25
	s_nop 1
	v_cndmask_b32_e64 v24, v24, v26, s[6:7]
	v_subrev_u32_e32 v26, s21, v25
	v_cndmask_b32_e64 v25, v25, v26, s[6:7]
	v_add_u32_e32 v26, 1, v24
	v_cmp_le_u32_e64 s[6:7], s21, v25
	s_nop 1
	v_cndmask_b32_e64 v24, v24, v26, s[6:7]
	v_xor_b32_e32 v24, s19, v24
	v_subrev_u32_e32 v24, s19, v24
	v_add_u32_e32 v25, s40, v24
	v_sub_u32_e32 v27, 0, v25
	v_ashrrev_i32_e32 v26, 31, v25
	v_max_i32_e32 v25, v25, v27
	v_mul_hi_u32 v27, v25, v11
	v_mul_lo_u32 v27, v27, s15
	v_sub_u32_e32 v25, v25, v27
	v_subrev_u32_e32 v27, s15, v25
	v_cmp_le_u32_e64 s[6:7], s15, v25
	v_cmp_ge_i32_e64 s[8:9], s30, v24
	s_nop 0
	v_cndmask_b32_e64 v25, v25, v27, s[6:7]
	v_subrev_u32_e32 v27, s15, v25
	v_cmp_le_u32_e64 s[6:7], s15, v25
	s_nop 1
	v_cndmask_b32_e64 v25, v25, v27, s[6:7]
	v_xor_b32_e32 v25, v25, v26
	v_sub_u32_e32 v25, v25, v26
	v_cmp_ne_u32_e64 s[6:7], 0, v25
	s_and_b64 s[6:7], s[6:7], s[8:9]
	s_and_b64 s[38:39], vcc, s[6:7]
	s_and_saveexec_b64 s[8:9], s[38:39]
	s_cbranch_execz .LBB0_15
; %bb.14:                               ;   in Loop: Header=BB0_13 Depth=1
	ds_write_b32 v14, v17
.LBB0_15:                               ;   in Loop: Header=BB0_13 Depth=1
	s_or_b64 exec, exec, s[8:9]
	s_xor_b64 s[6:7], s[6:7], -1
	s_and_saveexec_b64 s[8:9], s[6:7]
	s_cbranch_execz .LBB0_12
; %bb.16:                               ;   in Loop: Header=BB0_13 Depth=1
	global_load_dword v24, v[4:5], off
	s_waitcnt vmcnt(0)
	v_mad_i64_i32 v[24:25], s[6:7], v24, s43, 0
	v_lshl_add_u64 v[24:25], v[24:25], 2, v[2:3]
	global_load_dword v28, v[24:25], off offset:256
	global_load_dword v29, v[24:25], off
	global_load_dword v30, v[24:25], off offset:512
	global_load_dword v31, v[24:25], off offset:768
	ds_read_b128 v[24:27], v10
	v_cmp_lt_i32_e64 s[6:7], v20, v19
	s_waitcnt vmcnt(3) lgkmcnt(0)
	v_mul_f32_e32 v25, v25, v28
	s_waitcnt vmcnt(2)
	v_fmac_f32_e32 v25, v24, v29
	v_cndmask_b32_e64 v32, v18, v20, s[6:7]
	s_waitcnt vmcnt(1)
	v_fmac_f32_e32 v25, v26, v30
	v_lshlrev_b32_e32 v32, 2, v32
	s_waitcnt vmcnt(0)
	v_fmac_f32_e32 v25, v27, v31
	ds_bpermute_b32 v24, v32, v25
	v_cmp_lt_i32_e64 s[6:7], v21, v19
	s_waitcnt lgkmcnt(0)
	v_add_f32_e32 v24, v25, v24
	v_cndmask_b32_e64 v26, v18, v21, s[6:7]
	v_lshlrev_b32_e32 v26, 2, v26
	ds_bpermute_b32 v25, v26, v24
	v_cmp_lt_i32_e64 s[6:7], v22, v19
	s_waitcnt lgkmcnt(0)
	v_add_f32_e32 v24, v24, v25
	v_cndmask_b32_e64 v26, v18, v22, s[6:7]
	v_lshlrev_b32_e32 v26, 2, v26
	ds_bpermute_b32 v25, v26, v24
	s_and_saveexec_b64 s[38:39], vcc
	s_cbranch_execz .LBB0_11
; %bb.17:                               ;   in Loop: Header=BB0_13 Depth=1
	v_add_u32_e32 v26, v15, v13
	v_cvt_f32_i32_e32 v26, v26
	s_waitcnt lgkmcnt(0)
	v_add_f32_e32 v24, v24, v25
	v_add_u32_e32 v27, v9, v13
	v_cmp_gt_i32_e64 s[6:7], s11, v27
	v_mul_f32_e32 v25, s42, v26
	v_cndmask_b32_e64 v25, 0, v25, s[0:1]
	v_fmac_f32_e32 v25, s31, v24
	v_cndmask_b32_e64 v24, 0, v25, s[6:7]
	ds_write_b32 v14, v24
	v_max_f32_e32 v24, v12, v12
	v_max_f32_e32 v24, v24, v25
	v_cndmask_b32_e64 v12, v12, v24, s[6:7]
	s_branch .LBB0_11
.LBB0_18:
	s_or_b64 exec, exec, s[36:37]
.LBB0_19:
	s_or_b64 exec, exec, s[34:35]
	v_mbcnt_hi_u32_b32 v2, -1, v8
	v_and_b32_e32 v3, 64, v2
	v_add_u32_e32 v3, 64, v3
	v_xor_b32_e32 v4, 32, v2
	v_cmp_lt_i32_e32 vcc, v4, v3
	v_xor_b32_e32 v9, 16, v2
	v_max_f32_e32 v8, v12, v12
	v_cndmask_b32_e32 v4, v2, v4, vcc
	v_lshlrev_b32_e32 v5, 2, v4
	ds_bpermute_b32 v4, v5, v12
	v_cmp_lt_i32_e32 vcc, v9, v3
	v_xor_b32_e32 v10, 8, v2
	v_and_b32_e32 v17, 63, v0
	s_waitcnt lgkmcnt(0)
	v_max_f32_e32 v4, v4, v4
	v_max_f32_e32 v4, v8, v4
	v_cndmask_b32_e32 v8, v2, v9, vcc
	v_lshlrev_b32_e32 v9, 2, v8
	ds_bpermute_b32 v8, v9, v4
	v_cmp_lt_i32_e32 vcc, v10, v3
	s_waitcnt lgkmcnt(0)
	v_max_f32_e32 v8, v8, v8
	v_max_f32_e32 v8, v4, v8
	v_cndmask_b32_e32 v4, v2, v10, vcc
	v_lshlrev_b32_e32 v10, 2, v4
	ds_bpermute_b32 v11, v10, v8
	v_cmp_eq_u32_e32 vcc, 0, v17
	v_lshlrev_b32_e32 v4, 2, v1
	s_and_saveexec_b64 s[0:1], vcc
	s_cbranch_execz .LBB0_21
; %bb.20:
	s_waitcnt lgkmcnt(0)
	v_max_f32_e32 v11, v11, v11
	v_max_f32_e32 v8, v8, v8
	;; [unrolled: 1-line block ×3, first 2 shown]
	ds_write_b32 v4, v8 offset:128
.LBB0_21:
	s_or_b64 exec, exec, s[0:1]
	v_cmp_gt_u32_e64 s[0:1], 2, v17
	s_waitcnt lgkmcnt(0)
	v_mov_b32_e32 v11, 0xff7fffff
	v_lshlrev_b32_e32 v8, 2, v17
	s_barrier
	s_and_saveexec_b64 s[6:7], s[0:1]
	s_cbranch_execz .LBB0_23
; %bb.22:
	ds_read_b32 v11, v8 offset:128
.LBB0_23:
	s_or_b64 exec, exec, s[6:7]
	v_xor_b32_e32 v12, 1, v2
	v_cmp_lt_i32_e64 s[6:7], v12, v3
	v_lshlrev_b32_e32 v13, 2, v2
	s_nop 0
	v_cndmask_b32_e64 v12, v2, v12, s[6:7]
	v_lshlrev_b32_e32 v18, 2, v12
	s_waitcnt lgkmcnt(0)
	ds_bpermute_b32 v12, v18, v11
	v_max_f32_e32 v11, v11, v11
	s_lshl_b32 s6, s16, 3
	s_min_i32 s15, s6, s11
	v_cmp_gt_i32_e64 s[6:7], s15, v0
	s_waitcnt lgkmcnt(0)
	v_max_f32_e32 v12, v12, v12
	v_max_f32_e32 v12, v11, v12
	v_and_b32_e32 v11, 0x100, v13
	ds_bpermute_b32 v13, v11, v12
	v_mov_b32_e32 v12, 0
	s_and_saveexec_b64 s[30:31], s[6:7]
	s_cbranch_execz .LBB0_27
; %bb.24:
	v_mov_b32_e32 v12, 0x90
	v_lshl_add_u32 v14, v0, 2, v12
	s_mov_b64 s[34:35], 0
	v_mov_b32_e32 v12, 0
	v_mov_b32_e32 v15, v0
.LBB0_25:                               ; =>This Inner Loop Header: Depth=1
	ds_read_b32 v19, v14
	v_add_u32_e32 v15, 0x80, v15
	v_cmp_le_i32_e64 s[8:9], s15, v15
	s_or_b64 s[34:35], s[8:9], s[34:35]
	s_waitcnt lgkmcnt(0)
	v_sub_f32_e32 v19, v19, v13
	v_mul_f32_e32 v19, 0x3fb8aa3b, v19
	v_exp_f32_e32 v19, v19
	ds_write_b32 v14, v19
	v_add_f32_e32 v12, v12, v19
	v_add_u32_e32 v14, 0x200, v14
	s_andn2_b64 exec, exec, s[34:35]
	s_cbranch_execnz .LBB0_25
; %bb.26:
	s_or_b64 exec, exec, s[34:35]
.LBB0_27:
	s_or_b64 exec, exec, s[30:31]
	ds_bpermute_b32 v5, v5, v12
	s_waitcnt lgkmcnt(0)
	v_add_f32_e32 v5, v12, v5
	ds_bpermute_b32 v9, v9, v5
	s_waitcnt lgkmcnt(0)
	v_add_f32_e32 v5, v5, v9
	ds_bpermute_b32 v9, v10, v5
	v_xor_b32_e32 v10, 4, v2
	v_cmp_lt_i32_e64 s[8:9], v10, v3
	s_waitcnt lgkmcnt(0)
	v_add_f32_e32 v5, v5, v9
	v_cndmask_b32_e64 v10, v2, v10, s[8:9]
	v_lshlrev_b32_e32 v10, 2, v10
	ds_bpermute_b32 v9, v10, v5
	v_xor_b32_e32 v10, 2, v2
	v_cmp_lt_i32_e64 s[8:9], v10, v3
	s_waitcnt lgkmcnt(0)
	v_add_f32_e32 v3, v5, v9
	v_cndmask_b32_e64 v2, v2, v10, s[8:9]
	v_lshlrev_b32_e32 v2, 2, v2
	ds_bpermute_b32 v2, v2, v3
	s_waitcnt lgkmcnt(0)
	v_add_f32_e32 v2, v3, v2
	ds_bpermute_b32 v3, v18, v2
	s_waitcnt lgkmcnt(0)
	v_add_f32_e32 v2, v2, v3
	s_and_saveexec_b64 s[8:9], vcc
	s_cbranch_execz .LBB0_29
; %bb.28:
	ds_write_b32 v4, v2 offset:136
.LBB0_29:
	s_or_b64 exec, exec, s[8:9]
	s_waitcnt lgkmcnt(0)
	s_barrier
	s_and_saveexec_b64 s[8:9], s[0:1]
	s_cbranch_execz .LBB0_31
; %bb.30:
	ds_read_b32 v2, v8 offset:136
.LBB0_31:
	s_or_b64 exec, exec, s[8:9]
	s_waitcnt lgkmcnt(0)
	ds_bpermute_b32 v3, v18, v2
	s_waitcnt lgkmcnt(0)
	v_add_f32_e32 v2, v2, v3
	ds_bpermute_b32 v2, v11, v2
	s_and_saveexec_b64 s[0:1], s[6:7]
	s_cbranch_execz .LBB0_44
; %bb.32:
	s_waitcnt lgkmcnt(0)
	v_add_f32_e32 v2, 0x358637bd, v2
	v_div_scale_f32 v3, s[6:7], v2, v2, 1.0
	v_rcp_f32_e32 v4, v3
	v_div_scale_f32 v5, vcc, 1.0, v2, 1.0
	s_movk_i32 s6, 0x7f
	v_fma_f32 v8, -v3, v4, 1.0
	v_fmac_f32_e32 v4, v8, v4
	v_mul_f32_e32 v8, v5, v4
	v_fma_f32 v9, -v3, v8, v5
	v_fmac_f32_e32 v8, v9, v4
	v_fma_f32 v3, -v3, v8, v5
	v_div_fmas_f32 v3, v3, v4, v8
	v_xad_u32 v4, v0, -1, s15
	v_div_fixup_f32 v2, v3, v2, 1.0
	v_cmp_lt_u32_e32 vcc, s6, v4
	s_mov_b64 s[8:9], -1
	v_mov_b32_e32 v3, v0
	s_and_saveexec_b64 s[6:7], vcc
	s_cbranch_execz .LBB0_41
; %bb.33:
	v_lshrrev_b32_e32 v4, 7, v4
	v_add_u32_e32 v8, -1, v4
	v_lshrrev_b32_e32 v5, 1, v8
	v_mov_b32_e32 v3, v2
	v_add_u32_e32 v5, 1, v5
	v_cmp_lt_u32_e32 vcc, 13, v8
	v_mov_b32_e32 v10, 0
	s_and_saveexec_b64 s[8:9], vcc
	s_cbranch_execz .LBB0_37
; %bb.34:
	v_mov_b32_e32 v9, 0x90
	v_and_b32_e32 v8, -8, v5
	v_lshl_add_u32 v9, v0, 2, v9
	s_mov_b32 s34, 0
	s_mov_b64 s[30:31], 0
.LBB0_35:                               ; =>This Inner Loop Header: Depth=1
	ds_read2st64_b32 v[10:11], v9 offset1:2
	ds_read2st64_b32 v[12:13], v9 offset0:4 offset1:6
	ds_read2st64_b32 v[14:15], v9 offset0:8 offset1:10
	;; [unrolled: 1-line block ×3, first 2 shown]
	v_add_u32_e32 v8, -8, v8
	s_waitcnt lgkmcnt(3)
	v_pk_mul_f32 v[10:11], v[2:3], v[10:11]
	s_waitcnt lgkmcnt(2)
	v_pk_mul_f32 v[12:13], v[2:3], v[12:13]
	ds_write2st64_b32 v9, v10, v11 offset1:2
	ds_write2st64_b32 v9, v12, v13 offset0:4 offset1:6
	ds_read2st64_b32 v[12:13], v9 offset0:16 offset1:18
	s_waitcnt lgkmcnt(4)
	v_pk_mul_f32 v[10:11], v[2:3], v[14:15]
	ds_write2st64_b32 v9, v10, v11 offset0:8 offset1:10
	s_waitcnt lgkmcnt(4)
	v_pk_mul_f32 v[10:11], v[2:3], v[20:21]
	ds_write2st64_b32 v9, v10, v11 offset0:12 offset1:14
	ds_read2st64_b32 v[10:11], v9 offset0:20 offset1:22
	s_waitcnt lgkmcnt(3)
	v_pk_mul_f32 v[12:13], v[2:3], v[12:13]
	ds_read2st64_b32 v[14:15], v9 offset0:24 offset1:26
	ds_write2st64_b32 v9, v12, v13 offset0:16 offset1:18
	ds_read2st64_b32 v[12:13], v9 offset0:28 offset1:30
	s_waitcnt lgkmcnt(3)
	v_pk_mul_f32 v[10:11], v[2:3], v[10:11]
	ds_write2st64_b32 v9, v10, v11 offset0:20 offset1:22
	s_waitcnt lgkmcnt(3)
	v_pk_mul_f32 v[10:11], v[2:3], v[14:15]
	ds_write2st64_b32 v9, v10, v11 offset0:24 offset1:26
	s_waitcnt lgkmcnt(2)
	v_pk_mul_f32 v[10:11], v[2:3], v[12:13]
	s_add_i32 s34, s34, 16
	v_cmp_eq_u32_e32 vcc, 0, v8
	ds_write2st64_b32 v9, v10, v11 offset0:28 offset1:30
	v_add_u32_e32 v9, 0x2000, v9
	s_or_b64 s[30:31], vcc, s[30:31]
	v_mov_b32_e32 v10, s34
	s_andn2_b64 exec, exec, s[30:31]
	s_cbranch_execnz .LBB0_35
; %bb.36:
	s_or_b64 exec, exec, s[30:31]
.LBB0_37:
	s_or_b64 exec, exec, s[8:9]
	v_and_b32_e32 v5, 7, v5
	v_cmp_ne_u32_e32 vcc, 0, v5
	s_and_saveexec_b64 s[8:9], vcc
	s_cbranch_execz .LBB0_40
; %bb.38:
	v_lshlrev_b32_e32 v8, 9, v10
	s_movk_i32 s30, 0x90
	v_add3_u32 v8, v8, v6, s30
	s_mov_b64 s[30:31], 0
.LBB0_39:                               ; =>This Inner Loop Header: Depth=1
	ds_read2st64_b32 v[10:11], v8 offset1:2
	v_add_u32_e32 v5, -1, v5
	v_cmp_eq_u32_e32 vcc, 0, v5
	s_or_b64 s[30:31], vcc, s[30:31]
	s_waitcnt lgkmcnt(0)
	v_pk_mul_f32 v[10:11], v[2:3], v[10:11]
	ds_write2st64_b32 v8, v10, v11 offset1:2
	v_add_u32_e32 v8, 0x400, v8
	s_andn2_b64 exec, exec, s[30:31]
	s_cbranch_execnz .LBB0_39
.LBB0_40:
	s_or_b64 exec, exec, s[8:9]
	v_add_u32_e32 v4, 1, v4
	v_and_b32_e32 v5, 0x3fffffe, v4
	v_cmp_ne_u32_e32 vcc, v4, v5
	v_lshl_add_u32 v3, v5, 7, v0
	s_orn2_b64 s[8:9], vcc, exec
.LBB0_41:
	s_or_b64 exec, exec, s[6:7]
	s_and_b64 exec, exec, s[8:9]
	s_cbranch_execz .LBB0_44
; %bb.42:
	v_mov_b32_e32 v4, 0x90
	v_lshl_add_u32 v4, v3, 2, v4
	s_mov_b64 s[6:7], 0
.LBB0_43:                               ; =>This Inner Loop Header: Depth=1
	ds_read_b32 v5, v4
	v_add_u32_e32 v3, 0x80, v3
	v_cmp_le_i32_e32 vcc, s15, v3
	s_or_b64 s[6:7], vcc, s[6:7]
	s_waitcnt lgkmcnt(0)
	v_mul_f32_e32 v5, v2, v5
	ds_write_b32 v4, v5
	v_add_u32_e32 v4, 0x200, v4
	s_andn2_b64 exec, exec, s[6:7]
	s_cbranch_execnz .LBB0_43
.LBB0_44:
	s_or_b64 exec, exec, s[0:1]
	v_mov_b32_e32 v11, 0
	s_waitcnt lgkmcnt(0)
	s_barrier
	s_and_saveexec_b64 s[6:7], s[2:3]
	s_cbranch_execz .LBB0_52
; %bb.45:
	s_ashr_i32 s15, s14, 31
	s_sub_i32 s17, s41, s17
	s_lshl_b64 s[0:1], s[14:15], 2
	s_add_u32 s0, s28, s0
	s_addc_u32 s1, s29, s1
	s_abs_i32 s14, s18
	v_cvt_f32_u32_e32 v2, s14
	v_lshlrev_b32_e32 v3, 4, v0
	v_and_b32_e32 v10, 0x3f0, v3
	v_mov_b32_e32 v11, 0
	v_rcp_iflag_f32_e32 v2, v2
	v_lshl_add_u64 v[12:13], s[0:1], 0, v[10:11]
	s_sub_i32 s0, 0, s14
	s_add_i32 s15, s16, -1
	v_mul_f32_e32 v2, 0x4f7ffffe, v2
	v_cvt_u32_f32_e32 v2, v2
	v_and_b32_e32 v10, 60, v7
	v_and_b32_e32 v19, 4, v6
	s_mov_b64 s[2:3], 0
	v_mul_lo_u32 v3, s0, v2
	v_mul_hi_u32 v3, v2, v3
	v_add_u32_e32 v20, v2, v3
	s_lshl_b64 s[0:1], s[26:27], 2
	v_and_b32_e32 v2, 1, v0
	s_add_u32 s0, s24, s0
	v_lshlrev_b32_e32 v2, 4, v2
	s_addc_u32 s1, s25, s1
	v_lshl_or_b32 v2, v1, 5, v2
	v_lshl_add_u64 v[14:15], s[0:1], 0, v[10:11]
	v_add_u32_e32 v10, 0x90, v2
	s_branch .LBB0_48
.LBB0_46:                               ;   in Loop: Header=BB0_48 Depth=1
	s_or_b64 exec, exec, s[8:9]
	s_waitcnt vmcnt(0) lgkmcnt(0)
	v_mul_f32_e32 v3, v7, v3
	v_fmac_f32_e32 v3, v6, v2
	v_fmac_f32_e32 v3, v8, v4
	;; [unrolled: 1-line block ×3, first 2 shown]
	v_add_f32_e32 v11, v11, v3
.LBB0_47:                               ;   in Loop: Header=BB0_48 Depth=1
	s_or_b64 exec, exec, s[0:1]
	v_add_u32_e32 v1, 2, v1
	v_cmp_le_i32_e32 vcc, s16, v1
	v_lshl_add_u64 v[14:15], v[14:15], 0, 8
	v_add_u32_e32 v16, 16, v16
	s_or_b64 s[2:3], vcc, s[2:3]
	v_add_u32_e32 v10, 64, v10
	s_andn2_b64 exec, exec, s[2:3]
	s_cbranch_execz .LBB0_51
.LBB0_48:                               ; =>This Inner Loop Header: Depth=1
	v_mul_hi_u32 v2, v16, s33
	v_mul_lo_u32 v3, v2, s21
	v_sub_u32_e32 v3, v16, v3
	v_add_u32_e32 v4, 1, v2
	v_cmp_le_u32_e32 vcc, s21, v3
	s_nop 1
	v_cndmask_b32_e32 v2, v2, v4, vcc
	v_subrev_u32_e32 v4, s21, v3
	v_cndmask_b32_e32 v3, v3, v4, vcc
	v_add_u32_e32 v4, 1, v2
	v_cmp_le_u32_e32 vcc, s21, v3
	s_nop 1
	v_cndmask_b32_e32 v2, v2, v4, vcc
	v_xor_b32_e32 v2, s19, v2
	v_subrev_u32_e32 v2, s19, v2
	v_add_u32_e32 v3, s40, v2
	v_sub_u32_e32 v5, 0, v3
	v_ashrrev_i32_e32 v4, 31, v3
	v_max_i32_e32 v3, v3, v5
	v_mul_hi_u32 v5, v3, v20
	v_mul_lo_u32 v5, v5, s14
	v_sub_u32_e32 v3, v3, v5
	v_subrev_u32_e32 v5, s14, v3
	v_cmp_le_u32_e32 vcc, s14, v3
	v_cmp_lt_i32_e64 s[0:1], s17, v2
	s_nop 0
	v_cndmask_b32_e32 v3, v3, v5, vcc
	v_subrev_u32_e32 v5, s14, v3
	v_cmp_le_u32_e32 vcc, s14, v3
	s_nop 1
	v_cndmask_b32_e32 v3, v3, v5, vcc
	v_xor_b32_e32 v3, v3, v4
	v_sub_u32_e32 v3, v3, v4
	v_cmp_eq_u32_e32 vcc, 0, v3
	s_or_b64 s[8:9], vcc, s[0:1]
	s_and_saveexec_b64 s[0:1], s[8:9]
	s_cbranch_execz .LBB0_47
; %bb.49:                               ;   in Loop: Header=BB0_48 Depth=1
	global_load_dword v2, v[14:15], off
	ds_read_b128 v[6:9], v10
	v_cmp_eq_u32_e32 vcc, s15, v1
	s_waitcnt vmcnt(0)
	v_mad_i64_i32 v[2:3], s[8:9], v2, s13, 0
	v_lshl_add_u64 v[2:3], v[2:3], 2, v[12:13]
	global_load_dwordx4 v[2:5], v[2:3], off
	s_and_saveexec_b64 s[8:9], vcc
	s_cbranch_execz .LBB0_46
; %bb.50:                               ;   in Loop: Header=BB0_48 Depth=1
	v_add_u32_e32 v21, v19, v16
	v_cmp_gt_i32_e32 vcc, s11, v21
	v_add_u32_e32 v22, 1, v21
	s_waitcnt vmcnt(0)
	v_cndmask_b32_e32 v2, 0, v2, vcc
	v_cmp_gt_i32_e32 vcc, s11, v22
	v_add_u32_e32 v22, 2, v21
	v_add_u32_e32 v21, 3, v21
	v_cndmask_b32_e32 v3, 0, v3, vcc
	v_cmp_gt_i32_e32 vcc, s11, v22
	s_nop 1
	v_cndmask_b32_e32 v4, 0, v4, vcc
	v_cmp_gt_i32_e32 vcc, s11, v21
	s_nop 1
	v_cndmask_b32_e32 v5, 0, v5, vcc
	s_branch .LBB0_46
.LBB0_51:
	s_or_b64 exec, exec, s[2:3]
.LBB0_52:
	s_or_b64 exec, exec, s[6:7]
	ds_bpermute_b32 v1, v18, v11
	v_and_b32_e32 v2, 0x3c1, v0
	v_cmp_eq_u32_e32 vcc, 64, v2
	s_waitcnt lgkmcnt(0)
	s_barrier
	v_add_f32_e32 v1, v11, v1
	s_and_saveexec_b64 s[0:1], vcc
	s_cbranch_execz .LBB0_54
; %bb.53:
	v_mov_b32_e32 v3, 0x90
	v_lshl_add_u32 v3, v17, 1, v3
	ds_write_b32 v3, v1
.LBB0_54:
	s_or_b64 exec, exec, s[0:1]
	v_cmp_eq_u32_e32 vcc, 0, v2
	s_waitcnt lgkmcnt(0)
	s_barrier
	s_and_saveexec_b64 s[0:1], vcc
	s_cbranch_execz .LBB0_56
; %bb.55:
	v_mov_b32_e32 v2, 0x90
	v_lshl_add_u32 v2, v0, 1, v2
	ds_read_b32 v2, v2
	s_waitcnt lgkmcnt(0)
	v_add_f32_e32 v1, v1, v2
.LBB0_56:
	s_or_b64 exec, exec, s[0:1]
	s_barrier
	s_and_saveexec_b64 s[0:1], vcc
	s_cbranch_execz .LBB0_58
; %bb.57:
	s_mul_i32 s0, s10, s12
	s_mul_i32 s0, s0, s5
	s_lshl_b32 s0, s0, 5
	s_ashr_i32 s1, s0, 31
	s_lshl_b64 s[0:1], s[0:1], 2
	s_add_u32 s2, s22, s0
	s_mul_i32 s0, s12, s20
	s_addc_u32 s3, s23, s1
	s_ashr_i32 s1, s0, 31
	s_lshl_b64 s[0:1], s[0:1], 2
	s_add_u32 s2, s2, s0
	s_addc_u32 s3, s3, s1
	s_lshl_b32 s0, s4, 5
	s_ashr_i32 s1, s0, 31
	s_lshl_b64 s[0:1], s[0:1], 2
	s_add_u32 s0, s2, s0
	s_addc_u32 s1, s3, s1
	v_lshlrev_b32_e32 v0, 1, v0
	global_store_dword v0, v1, s[0:1]
.LBB0_58:
	s_endpgm
	.section	.rodata,"a",@progbits
	.p2align	6, 0x0
	.amdhsa_kernel _ZN4vllm25paged_attention_v1_kernelIffLi32ELi8ELi128ELNS_18Fp8KVCacheDataTypeE0ELb1EEEvPT_PKS2_PKT0_S8_ifPKiSA_iPKfiiiSC_SC_iiiii
		.amdhsa_group_segment_fixed_size 144
		.amdhsa_private_segment_fixed_size 0
		.amdhsa_kernarg_size 384
		.amdhsa_user_sgpr_count 2
		.amdhsa_user_sgpr_dispatch_ptr 0
		.amdhsa_user_sgpr_queue_ptr 0
		.amdhsa_user_sgpr_kernarg_segment_ptr 1
		.amdhsa_user_sgpr_dispatch_id 0
		.amdhsa_user_sgpr_kernarg_preload_length 0
		.amdhsa_user_sgpr_kernarg_preload_offset 0
		.amdhsa_user_sgpr_private_segment_size 0
		.amdhsa_uses_dynamic_stack 0
		.amdhsa_enable_private_segment 0
		.amdhsa_system_sgpr_workgroup_id_x 1
		.amdhsa_system_sgpr_workgroup_id_y 1
		.amdhsa_system_sgpr_workgroup_id_z 1
		.amdhsa_system_sgpr_workgroup_info 0
		.amdhsa_system_vgpr_workitem_id 0
		.amdhsa_next_free_vgpr 33
		.amdhsa_next_free_sgpr 44
		.amdhsa_accum_offset 36
		.amdhsa_reserve_vcc 1
		.amdhsa_float_round_mode_32 0
		.amdhsa_float_round_mode_16_64 0
		.amdhsa_float_denorm_mode_32 3
		.amdhsa_float_denorm_mode_16_64 3
		.amdhsa_dx10_clamp 1
		.amdhsa_ieee_mode 1
		.amdhsa_fp16_overflow 0
		.amdhsa_tg_split 0
		.amdhsa_exception_fp_ieee_invalid_op 0
		.amdhsa_exception_fp_denorm_src 0
		.amdhsa_exception_fp_ieee_div_zero 0
		.amdhsa_exception_fp_ieee_overflow 0
		.amdhsa_exception_fp_ieee_underflow 0
		.amdhsa_exception_fp_ieee_inexact 0
		.amdhsa_exception_int_div_zero 0
	.end_amdhsa_kernel
	.section	.text._ZN4vllm25paged_attention_v1_kernelIffLi32ELi8ELi128ELNS_18Fp8KVCacheDataTypeE0ELb1EEEvPT_PKS2_PKT0_S8_ifPKiSA_iPKfiiiSC_SC_iiiii,"axG",@progbits,_ZN4vllm25paged_attention_v1_kernelIffLi32ELi8ELi128ELNS_18Fp8KVCacheDataTypeE0ELb1EEEvPT_PKS2_PKT0_S8_ifPKiSA_iPKfiiiSC_SC_iiiii,comdat
.Lfunc_end0:
	.size	_ZN4vllm25paged_attention_v1_kernelIffLi32ELi8ELi128ELNS_18Fp8KVCacheDataTypeE0ELb1EEEvPT_PKS2_PKT0_S8_ifPKiSA_iPKfiiiSC_SC_iiiii, .Lfunc_end0-_ZN4vllm25paged_attention_v1_kernelIffLi32ELi8ELi128ELNS_18Fp8KVCacheDataTypeE0ELb1EEEvPT_PKS2_PKT0_S8_ifPKiSA_iPKfiiiSC_SC_iiiii
                                        ; -- End function
	.section	.AMDGPU.csdata,"",@progbits
; Kernel info:
; codeLenInByte = 3716
; NumSgprs: 50
; NumVgprs: 33
; NumAgprs: 0
; TotalNumVgprs: 33
; ScratchSize: 0
; MemoryBound: 0
; FloatMode: 240
; IeeeMode: 1
; LDSByteSize: 144 bytes/workgroup (compile time only)
; SGPRBlocks: 6
; VGPRBlocks: 4
; NumSGPRsForWavesPerEU: 50
; NumVGPRsForWavesPerEU: 33
; AccumOffset: 36
; Occupancy: 8
; WaveLimiterHint : 1
; COMPUTE_PGM_RSRC2:SCRATCH_EN: 0
; COMPUTE_PGM_RSRC2:USER_SGPR: 2
; COMPUTE_PGM_RSRC2:TRAP_HANDLER: 0
; COMPUTE_PGM_RSRC2:TGID_X_EN: 1
; COMPUTE_PGM_RSRC2:TGID_Y_EN: 1
; COMPUTE_PGM_RSRC2:TGID_Z_EN: 1
; COMPUTE_PGM_RSRC2:TIDIG_COMP_CNT: 0
; COMPUTE_PGM_RSRC3_GFX90A:ACCUM_OFFSET: 8
; COMPUTE_PGM_RSRC3_GFX90A:TG_SPLIT: 0
	.section	.text._ZN4vllm25paged_attention_v1_kernelIffLi64ELi8ELi128ELNS_18Fp8KVCacheDataTypeE0ELb1EEEvPT_PKS2_PKT0_S8_ifPKiSA_iPKfiiiSC_SC_iiiii,"axG",@progbits,_ZN4vllm25paged_attention_v1_kernelIffLi64ELi8ELi128ELNS_18Fp8KVCacheDataTypeE0ELb1EEEvPT_PKS2_PKT0_S8_ifPKiSA_iPKfiiiSC_SC_iiiii,comdat
	.protected	_ZN4vllm25paged_attention_v1_kernelIffLi64ELi8ELi128ELNS_18Fp8KVCacheDataTypeE0ELb1EEEvPT_PKS2_PKT0_S8_ifPKiSA_iPKfiiiSC_SC_iiiii ; -- Begin function _ZN4vllm25paged_attention_v1_kernelIffLi64ELi8ELi128ELNS_18Fp8KVCacheDataTypeE0ELb1EEEvPT_PKS2_PKT0_S8_ifPKiSA_iPKfiiiSC_SC_iiiii
	.globl	_ZN4vllm25paged_attention_v1_kernelIffLi64ELi8ELi128ELNS_18Fp8KVCacheDataTypeE0ELb1EEEvPT_PKS2_PKT0_S8_ifPKiSA_iPKfiiiSC_SC_iiiii
	.p2align	8
	.type	_ZN4vllm25paged_attention_v1_kernelIffLi64ELi8ELi128ELNS_18Fp8KVCacheDataTypeE0ELb1EEEvPT_PKS2_PKT0_S8_ifPKiSA_iPKfiiiSC_SC_iiiii,@function
_ZN4vllm25paged_attention_v1_kernelIffLi64ELi8ELi128ELNS_18Fp8KVCacheDataTypeE0ELb1EEEvPT_PKS2_PKT0_S8_ifPKiSA_iPKfiiiSC_SC_iiiii: ; @_ZN4vllm25paged_attention_v1_kernelIffLi64ELi8ELi128ELNS_18Fp8KVCacheDataTypeE0ELb1EEEvPT_PKS2_PKT0_S8_ifPKiSA_iPKfiiiSC_SC_iiiii
; %bb.0:
	s_load_dword s5, s[0:1], 0x80
	s_load_dwordx2 s[6:7], s[0:1], 0x30
	s_load_dwordx2 s[34:35], s[0:1], 0x20
	s_mov_b32 s20, s3
	s_ashr_i32 s21, s3, 31
	s_lshl_b64 s[8:9], s[20:21], 2
	s_waitcnt lgkmcnt(0)
	s_add_u32 s6, s6, s8
	s_addc_u32 s7, s7, s9
	s_abs_i32 s3, s34
	v_cvt_f32_u32_e32 v1, s3
	s_sub_i32 s10, 0, s3
	s_abs_i32 s9, s5
	s_xor_b32 s8, s5, s34
	v_rcp_iflag_f32_e32 v1, v1
	s_ashr_i32 s8, s8, 31
	s_mov_b32 s44, 0
	v_mul_f32_e32 v1, 0x4f7ffffe, v1
	v_cvt_u32_f32_e32 v1, v1
	s_nop 0
	v_readfirstlane_b32 s11, v1
	s_mul_i32 s10, s10, s11
	s_mul_hi_u32 s10, s11, s10
	s_add_i32 s11, s11, s10
	s_mul_hi_u32 s10, s9, s11
	s_mul_i32 s11, s10, s3
	s_sub_i32 s9, s9, s11
	s_add_i32 s11, s10, 1
	s_sub_i32 s12, s9, s3
	s_cmp_ge_u32 s9, s3
	s_cselect_b32 s10, s11, s10
	s_cselect_b32 s9, s12, s9
	s_add_i32 s11, s10, 1
	s_cmp_ge_u32 s9, s3
	s_cselect_b32 s3, s11, s10
	s_xor_b32 s3, s3, s8
	s_sub_i32 s12, s3, s8
	s_abs_i32 s10, s12
	v_cvt_f32_u32_e32 v1, s10
	s_load_dwordx2 s[8:9], s[0:1], 0x40
	s_sub_i32 s3, 0, s10
	s_abs_i32 s11, s2
	v_rcp_iflag_f32_e32 v1, v1
	s_nop 0
	v_mul_f32_e32 v1, 0x4f7ffffe, v1
	v_cvt_u32_f32_e32 v1, v1
	s_nop 0
	v_readfirstlane_b32 s13, v1
	s_mul_i32 s3, s3, s13
	s_mul_hi_u32 s3, s13, s3
	s_add_i32 s13, s13, s3
	s_waitcnt lgkmcnt(0)
	s_cmp_eq_u64 s[8:9], 0
	s_mul_hi_u32 s24, s11, s13
	s_cbranch_scc1 .LBB1_2
; %bb.1:
	s_ashr_i32 s3, s2, 31
	s_lshl_b64 s[14:15], s[2:3], 2
	s_add_u32 s8, s8, s14
	s_addc_u32 s9, s9, s15
	s_load_dword s44, s[8:9], 0x0
.LBB1_2:
	s_load_dword s21, s[6:7], 0x0
	s_ashr_i32 s26, s12, 31
	s_load_dwordx4 s[12:15], s[0:1], 0x48
	s_ashr_i32 s25, s2, 31
	v_and_b32_e32 v2, 7, v0
	s_lshl_b32 s22, s2, 6
	v_cmp_gt_u32_e64 s[8:9], 64, v0
	v_lshlrev_b32_e32 v6, 2, v0
	v_lshrrev_b32_e32 v1, 1, v0
	s_and_saveexec_b64 s[6:7], s[8:9]
	s_cbranch_execz .LBB1_4
; %bb.3:
	s_load_dwordx2 s[16:17], s[0:1], 0x8
	s_waitcnt lgkmcnt(0)
	s_mul_i32 s18, s20, s12
	s_ashr_i32 s19, s18, 31
	s_lshl_b64 s[18:19], s[18:19], 2
	v_and_b32_e32 v4, 0x1fc, v1
	s_add_u32 s3, s16, s18
	s_addc_u32 s12, s17, s19
	s_ashr_i32 s23, s22, 31
	s_lshl_b64 s[16:17], s[22:23], 2
	s_add_u32 s16, s3, s16
	s_addc_u32 s17, s12, s17
	global_load_dword v3, v6, s[16:17]
	v_lshl_add_u32 v4, v2, 5, v4
	s_waitcnt vmcnt(0)
	ds_write_b32 v4, v3
.LBB1_4:
	s_or_b64 exec, exec, s[6:7]
	s_mul_i32 s7, s24, s10
	s_sub_i32 s7, s11, s7
	s_xor_b32 s6, s25, s26
	s_add_i32 s11, s24, 1
	s_waitcnt lgkmcnt(0)
	s_sub_i32 s12, s7, s10
	s_load_dwordx4 s[16:19], s[0:1], 0x68
	s_load_dword s3, s[0:1], 0x78
	s_cmp_ge_u32 s7, s10
	s_cselect_b32 s11, s11, s24
	s_cselect_b32 s7, s12, s7
	s_add_i32 s12, s11, 1
	s_cmp_ge_u32 s7, s10
	s_cselect_b32 s7, s12, s11
	s_waitcnt lgkmcnt(0)
	s_abs_i32 s23, s19
	v_cvt_f32_u32_e32 v3, s23
	s_xor_b32 s7, s7, s6
	s_sub_i32 s10, s7, s6
	s_sub_i32 s6, 0, s23
	v_rcp_iflag_f32_e32 v3, v3
	s_add_i32 s15, s21, -1
	s_abs_i32 s11, s15
	v_mul_f32_e32 v3, 0x4f7ffffe, v3
	v_cvt_u32_f32_e32 v3, v3
	s_barrier
	v_readfirstlane_b32 s33, v3
	s_mul_i32 s6, s6, s33
	s_mul_hi_u32 s6, s33, s6
	s_add_i32 s33, s33, s6
	s_cmp_lt_i32 s3, 0
	s_mul_hi_u32 s12, s11, s33
	s_cbranch_scc0 .LBB1_6
; %bb.5:
	s_mul_i32 s6, s16, s34
	s_add_i32 s6, s10, s6
	s_mul_i32 s6, s6, s3
	s_sub_i32 s42, 1, s6
	s_mov_b64 s[6:7], 0
	s_branch .LBB1_7
.LBB1_6:
	s_mov_b64 s[6:7], -1
                                        ; implicit-def: $sgpr42
.LBB1_7:
	s_load_dwordx2 s[26:27], s[0:1], 0x28
	s_ashr_i32 s15, s15, 31
	s_andn2_b64 vcc, exec, s[6:7]
	s_ashr_i32 s19, s19, 31
	s_cbranch_vccnz .LBB1_9
; %bb.8:
	s_mul_i32 s6, s5, s16
	s_add_i32 s2, s6, s2
	s_mul_i32 s2, s2, s3
	s_add_i32 s42, s2, 1
.LBB1_9:
	s_load_dword s2, s[0:1], 0x38
	s_load_dwordx2 s[24:25], s[0:1], 0x0
	s_load_dwordx2 s[30:31], s[0:1], 0x18
	s_load_dword s16, s[0:1], 0x88
	s_xor_b32 s3, s15, s19
	s_waitcnt lgkmcnt(0)
	s_mul_i32 s28, s20, s2
	s_mul_i32 s2, s12, s23
	s_sub_i32 s2, s11, s2
	s_ashr_i32 s29, s28, 31
	s_add_i32 s6, s12, 1
	s_sub_i32 s7, s2, s23
	s_cmp_ge_u32 s2, s23
	s_cselect_b32 s6, s6, s12
	s_cselect_b32 s2, s7, s2
	s_add_i32 s7, s6, 1
	s_cmp_ge_u32 s2, s23
	s_cselect_b32 s2, s7, s6
	s_xor_b32 s2, s2, s3
	s_sub_i32 s12, s2, s3
	s_add_i32 s2, s21, 7
	s_ashr_i32 s3, s2, 31
	s_lshr_b32 s3, s3, 29
	s_add_i32 s2, s2, s3
	s_ashr_i32 s43, s2, 3
	v_lshrrev_b32_e32 v20, 6, v0
	v_cmp_gt_i32_e64 s[2:3], s43, v20
	v_mov_b32_e32 v12, 0xff7fffff
	s_mul_i32 s14, s10, s14
	v_lshrrev_b32_e32 v7, 4, v0
	v_lshlrev_b32_e32 v21, 3, v20
	v_mbcnt_lo_u32_b32 v8, -1, 0
	s_and_saveexec_b64 s[36:37], s[2:3]
	s_cbranch_execz .LBB1_19
; %bb.10:
	s_load_dwordx2 s[0:1], s[0:1], 0x10
	s_ashr_i32 s15, s14, 31
	s_sub_i32 s34, s12, s17
	s_lshl_b64 s[6:7], s[14:15], 2
	v_bfe_u32 v9, v0, 3, 3
	s_waitcnt lgkmcnt(0)
	s_add_u32 s0, s0, s6
	s_addc_u32 s1, s1, s7
	s_abs_i32 s15, s18
	v_cvt_f32_u32_e32 v3, s15
	v_lshlrev_b32_e32 v4, 4, v9
	v_mov_b32_e32 v5, 0
	v_lshl_add_u64 v[10:11], s[0:1], 0, v[4:5]
	v_rcp_iflag_f32_e32 v3, v3
	v_and_b32_e32 v4, 3, v0
	v_lshlrev_b32_e32 v4, 2, v4
	s_sub_i32 s6, 0, s15
	v_mul_f32_e32 v3, 0x4f7ffffe, v3
	v_cvt_u32_f32_e32 v3, v3
	v_cmp_eq_u32_e32 vcc, 0, v2
	v_lshl_add_u64 v[12:13], v[10:11], 0, v[4:5]
	v_lshlrev_b32_e32 v10, 5, v2
	v_mul_lo_u32 v2, s6, v3
	v_mul_hi_u32 v2, v3, v2
	v_add_u32_e32 v11, v3, v2
	v_lshlrev_b32_e32 v2, 5, v0
	v_lshlrev_b32_e32 v14, 2, v9
	v_and_b32_e32 v4, 0x80, v2
	v_lshl_add_u64 v[2:3], v[12:13], 0, v[4:5]
	s_lshl_b64 s[6:7], s[28:29], 2
	v_lshl_or_b32 v12, v20, 5, v14
	s_add_u32 s6, s26, s6
	v_add_u32_e32 v14, 0x110, v12
	v_subrev_u32_e32 v12, s21, v9
	v_mbcnt_hi_u32_b32 v17, -1, v8
	v_and_b32_e32 v4, 60, v7
	s_addc_u32 s7, s27, s7
	v_add_u32_e32 v15, 1, v12
	v_and_b32_e32 v12, 64, v17
	s_mov_b32 s45, s13
	v_cmp_neq_f32_e64 s[0:1], s44, 0
	v_lshl_add_u64 v[4:5], s[6:7], 0, v[4:5]
	v_lshlrev_b32_e32 v13, 3, v20
	s_mov_b64 s[38:39], 0
	v_mov_b32_e32 v16, 0xff7fffff
	v_add_u32_e32 v18, 64, v12
	v_xor_b32_e32 v19, 4, v17
	v_xor_b32_e32 v22, 2, v17
	;; [unrolled: 1-line block ×3, first 2 shown]
	v_mov_b32_e32 v12, 0xff7fffff
	v_mov_b32_e32 v24, v20
	s_branch .LBB1_13
.LBB1_11:                               ;   in Loop: Header=BB1_13 Depth=1
	s_or_b64 exec, exec, s[40:41]
.LBB1_12:                               ;   in Loop: Header=BB1_13 Depth=1
	s_or_b64 exec, exec, s[10:11]
	v_add_u32_e32 v24, 2, v24
	v_cmp_le_i32_e64 s[6:7], s43, v24
	v_lshl_add_u64 v[4:5], v[4:5], 0, 8
	v_add_u32_e32 v13, 16, v13
	s_or_b64 s[38:39], s[6:7], s[38:39]
	v_add_u32_e32 v14, 64, v14
	s_andn2_b64 exec, exec, s[38:39]
	s_cbranch_execz .LBB1_18
.LBB1_13:                               ; =>This Inner Loop Header: Depth=1
	v_mul_hi_u32 v25, v13, s33
	s_waitcnt lgkmcnt(0)
	v_mul_lo_u32 v26, v25, s23
	v_sub_u32_e32 v26, v13, v26
	v_add_u32_e32 v27, 1, v25
	v_cmp_le_u32_e64 s[6:7], s23, v26
	s_nop 1
	v_cndmask_b32_e64 v25, v25, v27, s[6:7]
	v_subrev_u32_e32 v27, s23, v26
	v_cndmask_b32_e64 v26, v26, v27, s[6:7]
	v_add_u32_e32 v27, 1, v25
	v_cmp_le_u32_e64 s[6:7], s23, v26
	s_nop 1
	v_cndmask_b32_e64 v25, v25, v27, s[6:7]
	v_xor_b32_e32 v25, s19, v25
	v_subrev_u32_e32 v25, s19, v25
	v_add_u32_e32 v26, s42, v25
	v_sub_u32_e32 v28, 0, v26
	v_ashrrev_i32_e32 v27, 31, v26
	v_max_i32_e32 v26, v26, v28
	v_mul_hi_u32 v28, v26, v11
	v_mul_lo_u32 v28, v28, s15
	v_sub_u32_e32 v26, v26, v28
	v_subrev_u32_e32 v28, s15, v26
	v_cmp_le_u32_e64 s[6:7], s15, v26
	v_cmp_ge_i32_e64 s[10:11], s34, v25
	s_nop 0
	v_cndmask_b32_e64 v26, v26, v28, s[6:7]
	v_subrev_u32_e32 v28, s15, v26
	v_cmp_le_u32_e64 s[6:7], s15, v26
	s_nop 1
	v_cndmask_b32_e64 v26, v26, v28, s[6:7]
	v_xor_b32_e32 v26, v26, v27
	v_sub_u32_e32 v26, v26, v27
	v_cmp_ne_u32_e64 s[6:7], 0, v26
	s_and_b64 s[6:7], s[6:7], s[10:11]
	s_and_b64 s[40:41], vcc, s[6:7]
	s_and_saveexec_b64 s[10:11], s[40:41]
	s_cbranch_execz .LBB1_15
; %bb.14:                               ;   in Loop: Header=BB1_13 Depth=1
	ds_write_b32 v14, v16
.LBB1_15:                               ;   in Loop: Header=BB1_13 Depth=1
	s_or_b64 exec, exec, s[10:11]
	s_xor_b64 s[6:7], s[6:7], -1
	s_and_saveexec_b64 s[10:11], s[6:7]
	s_cbranch_execz .LBB1_12
; %bb.16:                               ;   in Loop: Header=BB1_13 Depth=1
	global_load_dword v25, v[4:5], off
	s_waitcnt vmcnt(0)
	v_mad_i64_i32 v[26:27], s[6:7], v25, s45, 0
	v_lshl_add_u64 v[26:27], v[26:27], 2, v[2:3]
	global_load_dword v25, v[26:27], off offset:256
	global_load_dword v34, v[26:27], off
	global_load_dword v35, v[26:27], off offset:512
	global_load_dword v36, v[26:27], off offset:768
	;; [unrolled: 1-line block ×6, first 2 shown]
	ds_read_b128 v[26:29], v10
	ds_read_b128 v[30:33], v10 offset:16
	v_cmp_lt_i32_e64 s[6:7], v19, v18
	s_waitcnt vmcnt(7) lgkmcnt(1)
	v_mul_f32_e32 v25, v27, v25
	s_waitcnt vmcnt(6)
	v_fmac_f32_e32 v25, v26, v34
	s_waitcnt vmcnt(5)
	v_fmac_f32_e32 v25, v28, v35
	;; [unrolled: 2-line block ×3, first 2 shown]
	s_waitcnt vmcnt(3) lgkmcnt(0)
	v_fmac_f32_e32 v25, v30, v37
	s_waitcnt vmcnt(2)
	v_fmac_f32_e32 v25, v31, v38
	v_cndmask_b32_e64 v41, v17, v19, s[6:7]
	s_waitcnt vmcnt(1)
	v_fmac_f32_e32 v25, v32, v39
	v_lshlrev_b32_e32 v41, 2, v41
	s_waitcnt vmcnt(0)
	v_fmac_f32_e32 v25, v33, v40
	ds_bpermute_b32 v26, v41, v25
	v_cmp_lt_i32_e64 s[6:7], v22, v18
	s_waitcnt lgkmcnt(0)
	v_add_f32_e32 v25, v25, v26
	v_cndmask_b32_e64 v27, v17, v22, s[6:7]
	v_lshlrev_b32_e32 v27, 2, v27
	ds_bpermute_b32 v26, v27, v25
	v_cmp_lt_i32_e64 s[6:7], v23, v18
	s_waitcnt lgkmcnt(0)
	v_add_f32_e32 v25, v25, v26
	v_cndmask_b32_e64 v27, v17, v23, s[6:7]
	v_lshlrev_b32_e32 v27, 2, v27
	ds_bpermute_b32 v26, v27, v25
	s_and_saveexec_b64 s[40:41], vcc
	s_cbranch_execz .LBB1_11
; %bb.17:                               ;   in Loop: Header=BB1_13 Depth=1
	v_add_u32_e32 v27, v15, v13
	v_cvt_f32_i32_e32 v27, v27
	s_waitcnt lgkmcnt(0)
	v_add_f32_e32 v25, v25, v26
	v_add_u32_e32 v28, v9, v13
	v_cmp_gt_i32_e64 s[6:7], s21, v28
	v_mul_f32_e32 v26, s44, v27
	v_cndmask_b32_e64 v26, 0, v26, s[0:1]
	v_fmac_f32_e32 v26, s35, v25
	v_cndmask_b32_e64 v25, 0, v26, s[6:7]
	ds_write_b32 v14, v25
	v_max_f32_e32 v25, v12, v12
	v_max_f32_e32 v25, v25, v26
	v_cndmask_b32_e64 v12, v12, v25, s[6:7]
	s_branch .LBB1_11
.LBB1_18:
	s_or_b64 exec, exec, s[38:39]
.LBB1_19:
	s_or_b64 exec, exec, s[36:37]
	v_mbcnt_hi_u32_b32 v2, -1, v8
	v_and_b32_e32 v3, 64, v2
	v_add_u32_e32 v3, 64, v3
	v_xor_b32_e32 v4, 32, v2
	v_cmp_lt_i32_e32 vcc, v4, v3
	v_xor_b32_e32 v9, 16, v2
	v_max_f32_e32 v8, v12, v12
	v_cndmask_b32_e32 v4, v2, v4, vcc
	v_lshlrev_b32_e32 v5, 2, v4
	ds_bpermute_b32 v4, v5, v12
	v_cmp_lt_i32_e32 vcc, v9, v3
	v_xor_b32_e32 v10, 8, v2
	v_and_b32_e32 v22, 63, v0
	s_waitcnt lgkmcnt(0)
	v_max_f32_e32 v4, v4, v4
	v_max_f32_e32 v4, v8, v4
	v_cndmask_b32_e32 v8, v2, v9, vcc
	v_lshlrev_b32_e32 v9, 2, v8
	ds_bpermute_b32 v8, v9, v4
	v_cmp_lt_i32_e32 vcc, v10, v3
	s_waitcnt lgkmcnt(0)
	v_max_f32_e32 v8, v8, v8
	v_max_f32_e32 v8, v4, v8
	v_cndmask_b32_e32 v4, v2, v10, vcc
	v_lshlrev_b32_e32 v10, 2, v4
	ds_bpermute_b32 v11, v10, v8
	v_cmp_eq_u32_e32 vcc, 0, v22
	v_lshlrev_b32_e32 v4, 2, v20
	s_and_saveexec_b64 s[0:1], vcc
	s_cbranch_execz .LBB1_21
; %bb.20:
	s_waitcnt lgkmcnt(0)
	v_max_f32_e32 v11, v11, v11
	v_max_f32_e32 v8, v8, v8
	;; [unrolled: 1-line block ×3, first 2 shown]
	ds_write_b32 v4, v8 offset:256
.LBB1_21:
	s_or_b64 exec, exec, s[0:1]
	v_cmp_gt_u32_e64 s[0:1], 2, v22
	s_waitcnt lgkmcnt(0)
	v_mov_b32_e32 v11, 0xff7fffff
	v_lshlrev_b32_e32 v8, 2, v22
	s_barrier
	s_and_saveexec_b64 s[6:7], s[0:1]
	s_cbranch_execz .LBB1_23
; %bb.22:
	ds_read_b32 v11, v8 offset:256
.LBB1_23:
	s_or_b64 exec, exec, s[6:7]
	v_xor_b32_e32 v12, 1, v2
	v_cmp_lt_i32_e64 s[6:7], v12, v3
	v_lshlrev_b32_e32 v13, 2, v2
	s_nop 0
	v_cndmask_b32_e64 v12, v2, v12, s[6:7]
	v_lshlrev_b32_e32 v23, 2, v12
	s_waitcnt lgkmcnt(0)
	ds_bpermute_b32 v12, v23, v11
	v_max_f32_e32 v11, v11, v11
	s_lshl_b32 s6, s43, 3
	s_min_i32 s15, s6, s21
	v_cmp_gt_i32_e64 s[6:7], s15, v0
	s_waitcnt lgkmcnt(0)
	v_max_f32_e32 v12, v12, v12
	v_max_f32_e32 v12, v11, v12
	v_and_b32_e32 v11, 0x100, v13
	ds_bpermute_b32 v13, v11, v12
	v_mov_b32_e32 v12, 0
	s_and_saveexec_b64 s[34:35], s[6:7]
	s_cbranch_execz .LBB1_27
; %bb.24:
	v_mov_b32_e32 v12, 0x110
	v_lshl_add_u32 v14, v0, 2, v12
	s_mov_b64 s[36:37], 0
	v_mov_b32_e32 v12, 0
	v_mov_b32_e32 v15, v0
.LBB1_25:                               ; =>This Inner Loop Header: Depth=1
	ds_read_b32 v16, v14
	v_add_u32_e32 v15, 0x80, v15
	v_cmp_le_i32_e64 s[10:11], s15, v15
	s_or_b64 s[36:37], s[10:11], s[36:37]
	s_waitcnt lgkmcnt(0)
	v_sub_f32_e32 v16, v16, v13
	v_mul_f32_e32 v16, 0x3fb8aa3b, v16
	v_exp_f32_e32 v16, v16
	ds_write_b32 v14, v16
	v_add_f32_e32 v12, v12, v16
	v_add_u32_e32 v14, 0x200, v14
	s_andn2_b64 exec, exec, s[36:37]
	s_cbranch_execnz .LBB1_25
; %bb.26:
	s_or_b64 exec, exec, s[36:37]
.LBB1_27:
	s_or_b64 exec, exec, s[34:35]
	ds_bpermute_b32 v5, v5, v12
	s_waitcnt lgkmcnt(0)
	v_add_f32_e32 v5, v12, v5
	ds_bpermute_b32 v9, v9, v5
	s_waitcnt lgkmcnt(0)
	v_add_f32_e32 v5, v5, v9
	ds_bpermute_b32 v9, v10, v5
	v_xor_b32_e32 v10, 4, v2
	v_cmp_lt_i32_e64 s[10:11], v10, v3
	s_waitcnt lgkmcnt(0)
	v_add_f32_e32 v5, v5, v9
	v_cndmask_b32_e64 v10, v2, v10, s[10:11]
	v_lshlrev_b32_e32 v10, 2, v10
	ds_bpermute_b32 v9, v10, v5
	v_xor_b32_e32 v10, 2, v2
	v_cmp_lt_i32_e64 s[10:11], v10, v3
	s_waitcnt lgkmcnt(0)
	v_add_f32_e32 v3, v5, v9
	v_cndmask_b32_e64 v2, v2, v10, s[10:11]
	v_lshlrev_b32_e32 v2, 2, v2
	ds_bpermute_b32 v2, v2, v3
	s_waitcnt lgkmcnt(0)
	v_add_f32_e32 v2, v3, v2
	ds_bpermute_b32 v3, v23, v2
	s_waitcnt lgkmcnt(0)
	v_add_f32_e32 v2, v2, v3
	s_and_saveexec_b64 s[10:11], vcc
	s_cbranch_execz .LBB1_29
; %bb.28:
	ds_write_b32 v4, v2 offset:264
.LBB1_29:
	s_or_b64 exec, exec, s[10:11]
	s_waitcnt lgkmcnt(0)
	s_barrier
	s_and_saveexec_b64 s[10:11], s[0:1]
	s_cbranch_execz .LBB1_31
; %bb.30:
	ds_read_b32 v2, v8 offset:264
.LBB1_31:
	s_or_b64 exec, exec, s[10:11]
	s_waitcnt lgkmcnt(0)
	ds_bpermute_b32 v3, v23, v2
	s_waitcnt lgkmcnt(0)
	v_add_f32_e32 v2, v2, v3
	ds_bpermute_b32 v2, v11, v2
	s_and_saveexec_b64 s[0:1], s[6:7]
	s_cbranch_execz .LBB1_44
; %bb.32:
	s_waitcnt lgkmcnt(0)
	v_add_f32_e32 v2, 0x358637bd, v2
	v_div_scale_f32 v3, s[6:7], v2, v2, 1.0
	v_rcp_f32_e32 v4, v3
	v_div_scale_f32 v5, vcc, 1.0, v2, 1.0
	s_movk_i32 s6, 0x7f
	v_fma_f32 v8, -v3, v4, 1.0
	v_fmac_f32_e32 v4, v8, v4
	v_mul_f32_e32 v8, v5, v4
	v_fma_f32 v9, -v3, v8, v5
	v_fmac_f32_e32 v8, v9, v4
	v_fma_f32 v3, -v3, v8, v5
	v_div_fmas_f32 v3, v3, v4, v8
	v_xad_u32 v4, v0, -1, s15
	v_div_fixup_f32 v2, v3, v2, 1.0
	v_cmp_lt_u32_e32 vcc, s6, v4
	s_mov_b64 s[10:11], -1
	v_mov_b32_e32 v3, v0
	s_and_saveexec_b64 s[6:7], vcc
	s_cbranch_execz .LBB1_41
; %bb.33:
	v_lshrrev_b32_e32 v4, 7, v4
	v_add_u32_e32 v8, -1, v4
	v_lshrrev_b32_e32 v5, 1, v8
	v_mov_b32_e32 v3, v2
	v_add_u32_e32 v5, 1, v5
	v_cmp_lt_u32_e32 vcc, 13, v8
	v_mov_b32_e32 v10, 0
	s_and_saveexec_b64 s[10:11], vcc
	s_cbranch_execz .LBB1_37
; %bb.34:
	v_mov_b32_e32 v9, 0x110
	v_and_b32_e32 v8, -8, v5
	v_lshl_add_u32 v9, v0, 2, v9
	s_mov_b32 s36, 0
	s_mov_b64 s[34:35], 0
.LBB1_35:                               ; =>This Inner Loop Header: Depth=1
	ds_read2st64_b32 v[10:11], v9 offset1:2
	ds_read2st64_b32 v[12:13], v9 offset0:4 offset1:6
	ds_read2st64_b32 v[14:15], v9 offset0:8 offset1:10
	;; [unrolled: 1-line block ×3, first 2 shown]
	v_add_u32_e32 v8, -8, v8
	s_waitcnt lgkmcnt(3)
	v_pk_mul_f32 v[10:11], v[2:3], v[10:11]
	s_waitcnt lgkmcnt(2)
	v_pk_mul_f32 v[12:13], v[2:3], v[12:13]
	ds_write2st64_b32 v9, v10, v11 offset1:2
	ds_write2st64_b32 v9, v12, v13 offset0:4 offset1:6
	ds_read2st64_b32 v[12:13], v9 offset0:16 offset1:18
	s_waitcnt lgkmcnt(4)
	v_pk_mul_f32 v[10:11], v[2:3], v[14:15]
	ds_write2st64_b32 v9, v10, v11 offset0:8 offset1:10
	s_waitcnt lgkmcnt(4)
	v_pk_mul_f32 v[10:11], v[2:3], v[16:17]
	ds_write2st64_b32 v9, v10, v11 offset0:12 offset1:14
	ds_read2st64_b32 v[10:11], v9 offset0:20 offset1:22
	s_waitcnt lgkmcnt(3)
	v_pk_mul_f32 v[12:13], v[2:3], v[12:13]
	ds_read2st64_b32 v[14:15], v9 offset0:24 offset1:26
	ds_write2st64_b32 v9, v12, v13 offset0:16 offset1:18
	ds_read2st64_b32 v[12:13], v9 offset0:28 offset1:30
	s_waitcnt lgkmcnt(3)
	v_pk_mul_f32 v[10:11], v[2:3], v[10:11]
	ds_write2st64_b32 v9, v10, v11 offset0:20 offset1:22
	s_waitcnt lgkmcnt(3)
	v_pk_mul_f32 v[10:11], v[2:3], v[14:15]
	ds_write2st64_b32 v9, v10, v11 offset0:24 offset1:26
	s_waitcnt lgkmcnt(2)
	v_pk_mul_f32 v[10:11], v[2:3], v[12:13]
	s_add_i32 s36, s36, 16
	v_cmp_eq_u32_e32 vcc, 0, v8
	ds_write2st64_b32 v9, v10, v11 offset0:28 offset1:30
	v_add_u32_e32 v9, 0x2000, v9
	s_or_b64 s[34:35], vcc, s[34:35]
	v_mov_b32_e32 v10, s36
	s_andn2_b64 exec, exec, s[34:35]
	s_cbranch_execnz .LBB1_35
; %bb.36:
	s_or_b64 exec, exec, s[34:35]
.LBB1_37:
	s_or_b64 exec, exec, s[10:11]
	v_and_b32_e32 v5, 7, v5
	v_cmp_ne_u32_e32 vcc, 0, v5
	s_and_saveexec_b64 s[10:11], vcc
	s_cbranch_execz .LBB1_40
; %bb.38:
	v_lshlrev_b32_e32 v8, 9, v10
	s_movk_i32 s34, 0x110
	v_add3_u32 v8, v8, v6, s34
	s_mov_b64 s[34:35], 0
.LBB1_39:                               ; =>This Inner Loop Header: Depth=1
	ds_read2st64_b32 v[10:11], v8 offset1:2
	v_add_u32_e32 v5, -1, v5
	v_cmp_eq_u32_e32 vcc, 0, v5
	s_or_b64 s[34:35], vcc, s[34:35]
	s_waitcnt lgkmcnt(0)
	v_pk_mul_f32 v[10:11], v[2:3], v[10:11]
	ds_write2st64_b32 v8, v10, v11 offset1:2
	v_add_u32_e32 v8, 0x400, v8
	s_andn2_b64 exec, exec, s[34:35]
	s_cbranch_execnz .LBB1_39
.LBB1_40:
	s_or_b64 exec, exec, s[10:11]
	v_add_u32_e32 v4, 1, v4
	v_and_b32_e32 v5, 0x3fffffe, v4
	v_cmp_ne_u32_e32 vcc, v4, v5
	v_lshl_add_u32 v3, v5, 7, v0
	s_orn2_b64 s[10:11], vcc, exec
.LBB1_41:
	s_or_b64 exec, exec, s[6:7]
	s_and_b64 exec, exec, s[10:11]
	s_cbranch_execz .LBB1_44
; %bb.42:
	v_mov_b32_e32 v4, 0x110
	v_lshl_add_u32 v4, v3, 2, v4
	s_mov_b64 s[6:7], 0
.LBB1_43:                               ; =>This Inner Loop Header: Depth=1
	ds_read_b32 v5, v4
	v_add_u32_e32 v3, 0x80, v3
	v_cmp_le_i32_e32 vcc, s15, v3
	s_or_b64 s[6:7], vcc, s[6:7]
	s_waitcnt lgkmcnt(0)
	v_mul_f32_e32 v5, v2, v5
	ds_write_b32 v4, v5
	v_add_u32_e32 v4, 0x200, v4
	s_andn2_b64 exec, exec, s[6:7]
	s_cbranch_execnz .LBB1_43
.LBB1_44:
	s_or_b64 exec, exec, s[0:1]
	v_mov_b32_e32 v15, 0
	v_and_b32_e32 v24, 1, v0
	v_mov_b32_e32 v14, 0
	s_waitcnt lgkmcnt(0)
	s_barrier
	s_and_saveexec_b64 s[6:7], s[2:3]
	s_cbranch_execz .LBB1_54
; %bb.45:
	s_ashr_i32 s15, s14, 31
	s_sub_i32 s17, s12, s17
	s_lshl_b64 s[0:1], s[14:15], 2
	s_add_u32 s0, s30, s0
	s_addc_u32 s1, s31, s1
	s_abs_i32 s14, s18
	v_cvt_f32_u32_e32 v2, s14
	v_lshlrev_b32_e32 v3, 4, v0
	s_sub_i32 s2, 0, s14
	v_mov_b32_e32 v15, 0
	v_rcp_iflag_f32_e32 v2, v2
	v_and_b32_e32 v14, 0x3f0, v3
	s_add_i32 s18, s43, -1
	v_lshl_add_u64 v[16:17], s[0:1], 0, v[14:15]
	v_mul_f32_e32 v2, 0x4f7ffffe, v2
	v_cvt_u32_f32_e32 v2, v2
	s_lshl_b64 s[0:1], s[28:29], 2
	s_add_u32 s0, s26, s0
	v_and_b32_e32 v14, 60, v7
	v_mul_lo_u32 v3, s2, v2
	v_mul_hi_u32 v3, v2, v3
	v_add_u32_e32 v26, v2, v3
	v_lshlrev_b32_e32 v2, 4, v24
	s_addc_u32 s1, s27, s1
	v_lshl_or_b32 v2, v20, 5, v2
	v_and_b32_e32 v25, 4, v6
	s_mov_b32 s15, s13
	v_lshl_add_u64 v[18:19], s[0:1], 0, v[14:15]
	v_add_u32_e32 v27, 0x110, v2
	s_mov_b64 s[2:3], 0
	v_mov_b32_e32 v14, v15
	s_branch .LBB1_48
.LBB1_46:                               ;   in Loop: Header=BB1_48 Depth=1
	s_or_b64 exec, exec, s[0:1]
	s_waitcnt vmcnt(1) lgkmcnt(0)
	v_mul_f32_e32 v7, v3, v7
	s_waitcnt vmcnt(0)
	v_mul_f32_e32 v3, v3, v11
	v_fmac_f32_e32 v7, v2, v6
	v_fmac_f32_e32 v3, v2, v10
	;; [unrolled: 1-line block ×6, first 2 shown]
	v_add_f32_e32 v14, v14, v7
	v_add_f32_e32 v15, v15, v3
.LBB1_47:                               ;   in Loop: Header=BB1_48 Depth=1
	s_or_b64 exec, exec, s[10:11]
	v_add_u32_e32 v20, 2, v20
	v_cmp_le_i32_e32 vcc, s43, v20
	v_lshl_add_u64 v[18:19], v[18:19], 0, 8
	v_add_u32_e32 v21, 16, v21
	s_or_b64 s[2:3], vcc, s[2:3]
	v_add_u32_e32 v27, 64, v27
	s_andn2_b64 exec, exec, s[2:3]
	s_cbranch_execz .LBB1_53
.LBB1_48:                               ; =>This Inner Loop Header: Depth=1
	v_mul_hi_u32 v2, v21, s33
	v_mul_lo_u32 v3, v2, s23
	v_sub_u32_e32 v3, v21, v3
	v_add_u32_e32 v4, 1, v2
	v_cmp_le_u32_e32 vcc, s23, v3
	s_nop 1
	v_cndmask_b32_e32 v2, v2, v4, vcc
	v_subrev_u32_e32 v4, s23, v3
	v_cndmask_b32_e32 v3, v3, v4, vcc
	v_add_u32_e32 v4, 1, v2
	v_cmp_le_u32_e32 vcc, s23, v3
	s_nop 1
	v_cndmask_b32_e32 v2, v2, v4, vcc
	v_xor_b32_e32 v2, s19, v2
	v_subrev_u32_e32 v2, s19, v2
	v_add_u32_e32 v3, s42, v2
	v_sub_u32_e32 v5, 0, v3
	v_ashrrev_i32_e32 v4, 31, v3
	v_max_i32_e32 v3, v3, v5
	v_mul_hi_u32 v5, v3, v26
	v_mul_lo_u32 v5, v5, s14
	v_sub_u32_e32 v3, v3, v5
	v_subrev_u32_e32 v5, s14, v3
	v_cmp_le_u32_e32 vcc, s14, v3
	v_cmp_lt_i32_e64 s[0:1], s17, v2
	s_nop 0
	v_cndmask_b32_e32 v3, v3, v5, vcc
	v_subrev_u32_e32 v5, s14, v3
	v_cmp_le_u32_e32 vcc, s14, v3
	s_nop 1
	v_cndmask_b32_e32 v3, v3, v5, vcc
	v_xor_b32_e32 v3, v3, v4
	v_sub_u32_e32 v3, v3, v4
	v_cmp_eq_u32_e32 vcc, 0, v3
	s_or_b64 s[0:1], vcc, s[0:1]
	s_and_saveexec_b64 s[10:11], s[0:1]
	s_cbranch_execz .LBB1_47
; %bb.49:                               ;   in Loop: Header=BB1_48 Depth=1
	global_load_dword v2, v[18:19], off
	v_add_u32_e32 v28, v25, v21
	v_cmp_eq_u32_e32 vcc, s18, v20
	v_add_u32_e32 v31, 1, v28
	v_add_u32_e32 v30, 2, v28
	;; [unrolled: 1-line block ×3, first 2 shown]
	s_waitcnt vmcnt(0)
	v_mad_i64_i32 v[2:3], s[0:1], v2, s15, 0
	v_lshl_add_u64 v[10:11], v[2:3], 2, v[16:17]
	global_load_dwordx4 v[6:9], v[10:11], off
	ds_read_b128 v[2:5], v27
	s_and_saveexec_b64 s[12:13], vcc
	s_cbranch_execz .LBB1_51
; %bb.50:                               ;   in Loop: Header=BB1_48 Depth=1
	v_cmp_gt_i32_e64 s[0:1], s21, v28
	s_waitcnt vmcnt(0)
	s_nop 0
	v_cndmask_b32_e64 v6, 0, v6, s[0:1]
	v_cmp_gt_i32_e64 s[0:1], s21, v31
	s_nop 1
	v_cndmask_b32_e64 v7, 0, v7, s[0:1]
	v_cmp_gt_i32_e64 s[0:1], s21, v30
	s_nop 1
	v_cndmask_b32_e64 v8, 0, v8, s[0:1]
	v_cmp_gt_i32_e64 s[0:1], s21, v29
	s_nop 1
	v_cndmask_b32_e64 v9, 0, v9, s[0:1]
.LBB1_51:                               ;   in Loop: Header=BB1_48 Depth=1
	s_or_b64 exec, exec, s[12:13]
	global_load_dwordx4 v[10:13], v[10:11], off offset:1024
	s_and_saveexec_b64 s[0:1], vcc
	s_cbranch_execz .LBB1_46
; %bb.52:                               ;   in Loop: Header=BB1_48 Depth=1
	v_cmp_gt_i32_e32 vcc, s21, v28
	s_waitcnt vmcnt(0)
	s_nop 0
	v_cndmask_b32_e32 v10, 0, v10, vcc
	v_cmp_gt_i32_e32 vcc, s21, v31
	s_nop 1
	v_cndmask_b32_e32 v11, 0, v11, vcc
	v_cmp_gt_i32_e32 vcc, s21, v30
	;; [unrolled: 3-line block ×3, first 2 shown]
	s_nop 1
	v_cndmask_b32_e32 v13, 0, v13, vcc
	s_branch .LBB1_46
.LBB1_53:
	s_or_b64 exec, exec, s[2:3]
.LBB1_54:
	s_or_b64 exec, exec, s[6:7]
	ds_bpermute_b32 v2, v23, v14
	ds_bpermute_b32 v3, v23, v15
	v_and_b32_e32 v4, 0x3c1, v0
	v_cmp_eq_u32_e32 vcc, 64, v4
	s_waitcnt lgkmcnt(0)
	s_barrier
	v_pk_add_f32 v[2:3], v[14:15], v[2:3]
	s_and_saveexec_b64 s[0:1], vcc
	s_cbranch_execz .LBB1_56
; %bb.55:
	v_mov_b32_e32 v5, 0x110
	v_lshl_add_u32 v5, v22, 1, v5
	ds_write2_b32 v5, v2, v3 offset1:32
.LBB1_56:
	s_or_b64 exec, exec, s[0:1]
	s_waitcnt lgkmcnt(0)
	s_barrier
	s_and_saveexec_b64 s[0:1], s[8:9]
	s_cbranch_execz .LBB1_62
; %bb.57:
	v_cmp_eq_u32_e32 vcc, 0, v24
	s_and_saveexec_b64 s[2:3], vcc
	s_cbranch_execz .LBB1_59
; %bb.58:
	v_mov_b32_e32 v5, 0x110
	v_lshl_add_u32 v5, v1, 2, v5
	ds_read_b32 v5, v5
	s_waitcnt lgkmcnt(0)
	v_add_f32_e32 v2, v2, v5
.LBB1_59:
	s_or_b64 exec, exec, s[2:3]
	s_and_saveexec_b64 s[2:3], vcc
	s_cbranch_execz .LBB1_61
; %bb.60:
	v_mov_b32_e32 v5, 0x110
	v_lshl_add_u32 v1, v1, 2, v5
	ds_read_b32 v1, v1 offset:128
	s_waitcnt lgkmcnt(0)
	v_add_f32_e32 v3, v3, v1
.LBB1_61:
	s_or_b64 exec, exec, s[2:3]
.LBB1_62:
	s_or_b64 exec, exec, s[0:1]
	v_cmp_eq_u32_e32 vcc, 0, v4
	s_barrier
	s_and_saveexec_b64 s[0:1], vcc
	s_cbranch_execz .LBB1_64
; %bb.63:
	s_mul_i32 s0, s20, s16
	s_mul_i32 s0, s0, s5
	s_lshl_b32 s0, s0, 6
	s_ashr_i32 s1, s0, 31
	s_lshl_b64 s[0:1], s[0:1], 2
	s_add_u32 s2, s24, s0
	s_mul_i32 s0, s16, s22
	s_addc_u32 s3, s25, s1
	s_ashr_i32 s1, s0, 31
	s_lshl_b64 s[0:1], s[0:1], 2
	s_add_u32 s2, s2, s0
	s_addc_u32 s3, s3, s1
	s_lshl_b32 s0, s4, 6
	s_ashr_i32 s1, s0, 31
	s_lshl_b64 s[0:1], s[0:1], 2
	s_add_u32 s0, s2, s0
	s_addc_u32 s1, s3, s1
	v_lshlrev_b32_e32 v0, 1, v0
	global_store_dword v0, v2, s[0:1]
	global_store_dword v0, v3, s[0:1] offset:128
.LBB1_64:
	s_endpgm
	.section	.rodata,"a",@progbits
	.p2align	6, 0x0
	.amdhsa_kernel _ZN4vllm25paged_attention_v1_kernelIffLi64ELi8ELi128ELNS_18Fp8KVCacheDataTypeE0ELb1EEEvPT_PKS2_PKT0_S8_ifPKiSA_iPKfiiiSC_SC_iiiii
		.amdhsa_group_segment_fixed_size 272
		.amdhsa_private_segment_fixed_size 0
		.amdhsa_kernarg_size 384
		.amdhsa_user_sgpr_count 2
		.amdhsa_user_sgpr_dispatch_ptr 0
		.amdhsa_user_sgpr_queue_ptr 0
		.amdhsa_user_sgpr_kernarg_segment_ptr 1
		.amdhsa_user_sgpr_dispatch_id 0
		.amdhsa_user_sgpr_kernarg_preload_length 0
		.amdhsa_user_sgpr_kernarg_preload_offset 0
		.amdhsa_user_sgpr_private_segment_size 0
		.amdhsa_uses_dynamic_stack 0
		.amdhsa_enable_private_segment 0
		.amdhsa_system_sgpr_workgroup_id_x 1
		.amdhsa_system_sgpr_workgroup_id_y 1
		.amdhsa_system_sgpr_workgroup_id_z 1
		.amdhsa_system_sgpr_workgroup_info 0
		.amdhsa_system_vgpr_workitem_id 0
		.amdhsa_next_free_vgpr 42
		.amdhsa_next_free_sgpr 46
		.amdhsa_accum_offset 44
		.amdhsa_reserve_vcc 1
		.amdhsa_float_round_mode_32 0
		.amdhsa_float_round_mode_16_64 0
		.amdhsa_float_denorm_mode_32 3
		.amdhsa_float_denorm_mode_16_64 3
		.amdhsa_dx10_clamp 1
		.amdhsa_ieee_mode 1
		.amdhsa_fp16_overflow 0
		.amdhsa_tg_split 0
		.amdhsa_exception_fp_ieee_invalid_op 0
		.amdhsa_exception_fp_denorm_src 0
		.amdhsa_exception_fp_ieee_div_zero 0
		.amdhsa_exception_fp_ieee_overflow 0
		.amdhsa_exception_fp_ieee_underflow 0
		.amdhsa_exception_fp_ieee_inexact 0
		.amdhsa_exception_int_div_zero 0
	.end_amdhsa_kernel
	.section	.text._ZN4vllm25paged_attention_v1_kernelIffLi64ELi8ELi128ELNS_18Fp8KVCacheDataTypeE0ELb1EEEvPT_PKS2_PKT0_S8_ifPKiSA_iPKfiiiSC_SC_iiiii,"axG",@progbits,_ZN4vllm25paged_attention_v1_kernelIffLi64ELi8ELi128ELNS_18Fp8KVCacheDataTypeE0ELb1EEEvPT_PKS2_PKT0_S8_ifPKiSA_iPKfiiiSC_SC_iiiii,comdat
.Lfunc_end1:
	.size	_ZN4vllm25paged_attention_v1_kernelIffLi64ELi8ELi128ELNS_18Fp8KVCacheDataTypeE0ELb1EEEvPT_PKS2_PKT0_S8_ifPKiSA_iPKfiiiSC_SC_iiiii, .Lfunc_end1-_ZN4vllm25paged_attention_v1_kernelIffLi64ELi8ELi128ELNS_18Fp8KVCacheDataTypeE0ELb1EEEvPT_PKS2_PKT0_S8_ifPKiSA_iPKfiiiSC_SC_iiiii
                                        ; -- End function
	.section	.AMDGPU.csdata,"",@progbits
; Kernel info:
; codeLenInByte = 4024
; NumSgprs: 52
; NumVgprs: 42
; NumAgprs: 0
; TotalNumVgprs: 42
; ScratchSize: 0
; MemoryBound: 0
; FloatMode: 240
; IeeeMode: 1
; LDSByteSize: 272 bytes/workgroup (compile time only)
; SGPRBlocks: 6
; VGPRBlocks: 5
; NumSGPRsForWavesPerEU: 52
; NumVGPRsForWavesPerEU: 42
; AccumOffset: 44
; Occupancy: 8
; WaveLimiterHint : 1
; COMPUTE_PGM_RSRC2:SCRATCH_EN: 0
; COMPUTE_PGM_RSRC2:USER_SGPR: 2
; COMPUTE_PGM_RSRC2:TRAP_HANDLER: 0
; COMPUTE_PGM_RSRC2:TGID_X_EN: 1
; COMPUTE_PGM_RSRC2:TGID_Y_EN: 1
; COMPUTE_PGM_RSRC2:TGID_Z_EN: 1
; COMPUTE_PGM_RSRC2:TIDIG_COMP_CNT: 0
; COMPUTE_PGM_RSRC3_GFX90A:ACCUM_OFFSET: 10
; COMPUTE_PGM_RSRC3_GFX90A:TG_SPLIT: 0
	.section	.text._ZN4vllm25paged_attention_v1_kernelIffLi80ELi8ELi128ELNS_18Fp8KVCacheDataTypeE0ELb1EEEvPT_PKS2_PKT0_S8_ifPKiSA_iPKfiiiSC_SC_iiiii,"axG",@progbits,_ZN4vllm25paged_attention_v1_kernelIffLi80ELi8ELi128ELNS_18Fp8KVCacheDataTypeE0ELb1EEEvPT_PKS2_PKT0_S8_ifPKiSA_iPKfiiiSC_SC_iiiii,comdat
	.protected	_ZN4vllm25paged_attention_v1_kernelIffLi80ELi8ELi128ELNS_18Fp8KVCacheDataTypeE0ELb1EEEvPT_PKS2_PKT0_S8_ifPKiSA_iPKfiiiSC_SC_iiiii ; -- Begin function _ZN4vllm25paged_attention_v1_kernelIffLi80ELi8ELi128ELNS_18Fp8KVCacheDataTypeE0ELb1EEEvPT_PKS2_PKT0_S8_ifPKiSA_iPKfiiiSC_SC_iiiii
	.globl	_ZN4vllm25paged_attention_v1_kernelIffLi80ELi8ELi128ELNS_18Fp8KVCacheDataTypeE0ELb1EEEvPT_PKS2_PKT0_S8_ifPKiSA_iPKfiiiSC_SC_iiiii
	.p2align	8
	.type	_ZN4vllm25paged_attention_v1_kernelIffLi80ELi8ELi128ELNS_18Fp8KVCacheDataTypeE0ELb1EEEvPT_PKS2_PKT0_S8_ifPKiSA_iPKfiiiSC_SC_iiiii,@function
_ZN4vllm25paged_attention_v1_kernelIffLi80ELi8ELi128ELNS_18Fp8KVCacheDataTypeE0ELb1EEEvPT_PKS2_PKT0_S8_ifPKiSA_iPKfiiiSC_SC_iiiii: ; @_ZN4vllm25paged_attention_v1_kernelIffLi80ELi8ELi128ELNS_18Fp8KVCacheDataTypeE0ELb1EEEvPT_PKS2_PKT0_S8_ifPKiSA_iPKfiiiSC_SC_iiiii
; %bb.0:
	s_load_dword s5, s[0:1], 0x80
	s_load_dwordx2 s[6:7], s[0:1], 0x30
	s_load_dwordx2 s[30:31], s[0:1], 0x20
	s_mov_b32 s10, s3
	s_ashr_i32 s11, s3, 31
	s_lshl_b64 s[8:9], s[10:11], 2
	s_waitcnt lgkmcnt(0)
	s_add_u32 s6, s6, s8
	s_addc_u32 s7, s7, s9
	s_abs_i32 s3, s30
	v_cvt_f32_u32_e32 v1, s3
	s_sub_i32 s11, 0, s3
	s_abs_i32 s9, s5
	s_xor_b32 s8, s5, s30
	v_rcp_iflag_f32_e32 v1, v1
	s_ashr_i32 s8, s8, 31
	s_mov_b32 s43, 0
	v_mul_f32_e32 v1, 0x4f7ffffe, v1
	v_cvt_u32_f32_e32 v1, v1
	s_nop 0
	v_readfirstlane_b32 s12, v1
	s_mul_i32 s11, s11, s12
	s_mul_hi_u32 s11, s12, s11
	s_add_i32 s12, s12, s11
	s_mul_hi_u32 s11, s9, s12
	s_mul_i32 s12, s11, s3
	s_sub_i32 s9, s9, s12
	s_add_i32 s12, s11, 1
	s_sub_i32 s13, s9, s3
	s_cmp_ge_u32 s9, s3
	s_cselect_b32 s11, s12, s11
	s_cselect_b32 s9, s13, s9
	s_add_i32 s12, s11, 1
	s_cmp_ge_u32 s9, s3
	s_cselect_b32 s3, s12, s11
	s_xor_b32 s3, s3, s8
	s_sub_i32 s12, s3, s8
	s_abs_i32 s11, s12
	v_cvt_f32_u32_e32 v1, s11
	s_load_dwordx2 s[8:9], s[0:1], 0x40
	s_sub_i32 s3, 0, s11
	s_abs_i32 s22, s2
	v_rcp_iflag_f32_e32 v1, v1
	s_nop 0
	v_mul_f32_e32 v1, 0x4f7ffffe, v1
	v_cvt_u32_f32_e32 v1, v1
	s_nop 0
	v_readfirstlane_b32 s13, v1
	s_mul_i32 s3, s3, s13
	s_mul_hi_u32 s3, s13, s3
	s_add_i32 s13, s13, s3
	s_waitcnt lgkmcnt(0)
	s_cmp_eq_u64 s[8:9], 0
	s_mul_hi_u32 s23, s22, s13
	s_cbranch_scc1 .LBB2_2
; %bb.1:
	s_ashr_i32 s3, s2, 31
	s_lshl_b64 s[14:15], s[2:3], 2
	s_add_u32 s8, s8, s14
	s_addc_u32 s9, s9, s15
	s_load_dword s43, s[8:9], 0x0
.LBB2_2:
	s_load_dword s33, s[6:7], 0x0
	s_ashr_i32 s9, s12, 31
	s_load_dwordx4 s[12:15], s[0:1], 0x48
	s_movk_i32 s3, 0x50
	s_ashr_i32 s8, s2, 31
	v_and_b32_e32 v2, 7, v0
	s_mul_i32 s20, s2, 0x50
	v_cmp_gt_u32_e32 vcc, s3, v0
	v_lshlrev_b32_e32 v6, 2, v0
	v_lshrrev_b32_e32 v1, 1, v0
	s_and_saveexec_b64 s[6:7], vcc
	s_cbranch_execz .LBB2_4
; %bb.3:
	s_load_dwordx2 s[16:17], s[0:1], 0x8
	s_waitcnt lgkmcnt(0)
	s_mul_i32 s18, s10, s12
	s_ashr_i32 s19, s18, 31
	s_lshl_b64 s[18:19], s[18:19], 2
	v_and_b32_e32 v4, 0x1fc, v1
	s_add_u32 s3, s16, s18
	s_addc_u32 s12, s17, s19
	s_ashr_i32 s21, s20, 31
	s_lshl_b64 s[16:17], s[20:21], 2
	s_add_u32 s16, s3, s16
	s_addc_u32 s17, s12, s17
	global_load_dword v3, v6, s[16:17]
	v_mad_u32_u24 v4, v2, 40, v4
	s_waitcnt vmcnt(0)
	ds_write_b32 v4, v3
.LBB2_4:
	s_or_b64 exec, exec, s[6:7]
	s_mul_i32 s7, s23, s11
	s_sub_i32 s7, s22, s7
	s_xor_b32 s6, s8, s9
	s_add_i32 s8, s23, 1
	s_sub_i32 s9, s7, s11
	s_load_dwordx4 s[16:19], s[0:1], 0x68
	s_load_dword s3, s[0:1], 0x78
	s_cmp_ge_u32 s7, s11
	s_cselect_b32 s8, s8, s23
	s_cselect_b32 s7, s9, s7
	s_add_i32 s9, s8, 1
	s_cmp_ge_u32 s7, s11
	s_cselect_b32 s7, s9, s8
	s_waitcnt lgkmcnt(0)
	s_abs_i32 s21, s19
	v_cvt_f32_u32_e32 v3, s21
	s_xor_b32 s7, s7, s6
	s_sub_i32 s8, s7, s6
	s_sub_i32 s6, 0, s21
	v_rcp_iflag_f32_e32 v3, v3
	s_add_i32 s11, s33, -1
	s_abs_i32 s9, s11
	v_mul_f32_e32 v3, 0x4f7ffffe, v3
	v_cvt_u32_f32_e32 v3, v3
	s_barrier
	v_readfirstlane_b32 s40, v3
	s_mul_i32 s6, s6, s40
	s_mul_hi_u32 s6, s40, s6
	s_add_i32 s40, s40, s6
	s_cmp_lt_i32 s3, 0
	s_mul_hi_u32 s12, s9, s40
	s_cbranch_scc0 .LBB2_6
; %bb.5:
	s_mul_i32 s6, s16, s30
	s_add_i32 s6, s8, s6
	s_mul_i32 s6, s6, s3
	s_sub_i32 s41, 1, s6
	s_mov_b64 s[6:7], 0
	s_branch .LBB2_7
.LBB2_6:
	s_mov_b64 s[6:7], -1
                                        ; implicit-def: $sgpr41
.LBB2_7:
	s_load_dwordx2 s[24:25], s[0:1], 0x28
	s_ashr_i32 s15, s11, 31
	s_andn2_b64 vcc, exec, s[6:7]
	s_ashr_i32 s19, s19, 31
	s_cbranch_vccnz .LBB2_9
; %bb.8:
	s_mul_i32 s6, s5, s16
	s_add_i32 s2, s6, s2
	s_mul_i32 s2, s2, s3
	s_add_i32 s41, s2, 1
.LBB2_9:
	s_load_dword s2, s[0:1], 0x38
	s_load_dwordx2 s[22:23], s[0:1], 0x0
	s_load_dwordx2 s[28:29], s[0:1], 0x18
	s_load_dword s11, s[0:1], 0x88
	s_xor_b32 s3, s15, s19
	s_waitcnt lgkmcnt(0)
	s_mul_i32 s26, s10, s2
	s_mul_i32 s2, s12, s21
	s_sub_i32 s2, s9, s2
	s_ashr_i32 s27, s26, 31
	s_add_i32 s6, s12, 1
	s_sub_i32 s7, s2, s21
	s_cmp_ge_u32 s2, s21
	s_cselect_b32 s6, s6, s12
	s_cselect_b32 s2, s7, s2
	s_add_i32 s7, s6, 1
	s_cmp_ge_u32 s2, s21
	s_cselect_b32 s2, s7, s6
	s_xor_b32 s2, s2, s3
	s_sub_i32 s12, s2, s3
	s_add_i32 s2, s33, 7
	s_ashr_i32 s3, s2, 31
	s_lshr_b32 s3, s3, 29
	s_add_i32 s2, s2, s3
	s_ashr_i32 s42, s2, 3
	v_lshrrev_b32_e32 v17, 6, v0
	v_cmp_gt_i32_e64 s[2:3], s42, v17
	v_mov_b32_e32 v12, 0xff7fffff
	s_mul_i32 s14, s8, s14
	v_lshrrev_b32_e32 v7, 4, v0
	v_lshlrev_b32_e32 v26, 3, v17
	v_mbcnt_lo_u32_b32 v8, -1, 0
	s_and_saveexec_b64 s[34:35], s[2:3]
	s_cbranch_execz .LBB2_19
; %bb.10:
	s_load_dwordx2 s[0:1], s[0:1], 0x10
	s_ashr_i32 s15, s14, 31
	s_sub_i32 s16, s12, s17
	s_lshl_b64 s[6:7], s[14:15], 2
	v_bfe_u32 v9, v0, 3, 3
	s_waitcnt lgkmcnt(0)
	s_add_u32 s0, s0, s6
	s_addc_u32 s1, s1, s7
	s_abs_i32 s15, s18
	v_cvt_f32_u32_e32 v3, s15
	v_lshlrev_b32_e32 v4, 4, v9
	v_mov_b32_e32 v5, 0
	v_lshl_add_u64 v[10:11], s[0:1], 0, v[4:5]
	v_rcp_iflag_f32_e32 v3, v3
	v_and_b32_e32 v4, 3, v0
	v_lshlrev_b32_e32 v4, 2, v4
	s_sub_i32 s6, 0, s15
	v_mul_f32_e32 v3, 0x4f7ffffe, v3
	v_cvt_u32_f32_e32 v3, v3
	v_cmp_eq_u32_e32 vcc, 0, v2
	v_lshl_add_u64 v[12:13], v[10:11], 0, v[4:5]
	v_mul_u32_u24_e32 v10, 40, v2
	v_mul_lo_u32 v2, s6, v3
	v_mul_hi_u32 v2, v3, v2
	v_add_u32_e32 v11, v3, v2
	v_lshlrev_b32_e32 v2, 5, v0
	v_lshlrev_b32_e32 v14, 2, v9
	v_and_b32_e32 v4, 0x80, v2
	v_lshl_add_u64 v[2:3], v[12:13], 0, v[4:5]
	s_lshl_b64 s[6:7], s[26:27], 2
	v_lshl_or_b32 v12, v17, 5, v14
	s_add_u32 s6, s24, s6
	v_add_u32_e32 v14, 0x150, v12
	v_subrev_u32_e32 v12, s33, v9
	v_mbcnt_hi_u32_b32 v18, -1, v8
	v_and_b32_e32 v4, 60, v7
	s_addc_u32 s7, s25, s7
	v_add_u32_e32 v15, 1, v12
	v_and_b32_e32 v12, 64, v18
	s_mov_b32 s30, s13
	v_cmp_neq_f32_e64 s[0:1], s43, 0
	v_lshl_add_u64 v[4:5], s[6:7], 0, v[4:5]
	v_lshlrev_b32_e32 v13, 3, v17
	s_mov_b64 s[36:37], 0
	v_mov_b32_e32 v16, 0xff7fffff
	v_add_u32_e32 v19, 64, v12
	v_xor_b32_e32 v20, 4, v18
	v_xor_b32_e32 v21, 2, v18
	v_xor_b32_e32 v22, 1, v18
	v_mov_b32_e32 v12, 0xff7fffff
	v_mov_b32_e32 v23, v17
	s_branch .LBB2_13
.LBB2_11:                               ;   in Loop: Header=BB2_13 Depth=1
	s_or_b64 exec, exec, s[38:39]
.LBB2_12:                               ;   in Loop: Header=BB2_13 Depth=1
	s_or_b64 exec, exec, s[8:9]
	v_add_u32_e32 v23, 2, v23
	v_cmp_le_i32_e64 s[6:7], s42, v23
	v_lshl_add_u64 v[4:5], v[4:5], 0, 8
	v_add_u32_e32 v13, 16, v13
	s_or_b64 s[36:37], s[6:7], s[36:37]
	v_add_u32_e32 v14, 64, v14
	s_andn2_b64 exec, exec, s[36:37]
	s_cbranch_execz .LBB2_18
.LBB2_13:                               ; =>This Inner Loop Header: Depth=1
	v_mul_hi_u32 v24, v13, s40
	s_waitcnt lgkmcnt(0)
	v_mul_lo_u32 v25, v24, s21
	v_sub_u32_e32 v25, v13, v25
	v_add_u32_e32 v27, 1, v24
	v_cmp_le_u32_e64 s[6:7], s21, v25
	s_nop 1
	v_cndmask_b32_e64 v24, v24, v27, s[6:7]
	v_subrev_u32_e32 v27, s21, v25
	v_cndmask_b32_e64 v25, v25, v27, s[6:7]
	v_add_u32_e32 v27, 1, v24
	v_cmp_le_u32_e64 s[6:7], s21, v25
	s_nop 1
	v_cndmask_b32_e64 v24, v24, v27, s[6:7]
	v_xor_b32_e32 v24, s19, v24
	v_subrev_u32_e32 v24, s19, v24
	v_add_u32_e32 v25, s41, v24
	v_sub_u32_e32 v28, 0, v25
	v_ashrrev_i32_e32 v27, 31, v25
	v_max_i32_e32 v25, v25, v28
	v_mul_hi_u32 v28, v25, v11
	v_mul_lo_u32 v28, v28, s15
	v_sub_u32_e32 v25, v25, v28
	v_subrev_u32_e32 v28, s15, v25
	v_cmp_le_u32_e64 s[6:7], s15, v25
	v_cmp_ge_i32_e64 s[8:9], s16, v24
	s_nop 0
	v_cndmask_b32_e64 v25, v25, v28, s[6:7]
	v_subrev_u32_e32 v28, s15, v25
	v_cmp_le_u32_e64 s[6:7], s15, v25
	s_nop 1
	v_cndmask_b32_e64 v25, v25, v28, s[6:7]
	v_xor_b32_e32 v25, v25, v27
	v_sub_u32_e32 v25, v25, v27
	v_cmp_ne_u32_e64 s[6:7], 0, v25
	s_and_b64 s[6:7], s[6:7], s[8:9]
	s_and_b64 s[38:39], vcc, s[6:7]
	s_and_saveexec_b64 s[8:9], s[38:39]
	s_cbranch_execz .LBB2_15
; %bb.14:                               ;   in Loop: Header=BB2_13 Depth=1
	ds_write_b32 v14, v16
.LBB2_15:                               ;   in Loop: Header=BB2_13 Depth=1
	s_or_b64 exec, exec, s[8:9]
	s_xor_b64 s[6:7], s[6:7], -1
	s_and_saveexec_b64 s[8:9], s[6:7]
	s_cbranch_execz .LBB2_12
; %bb.16:                               ;   in Loop: Header=BB2_13 Depth=1
	global_load_dword v24, v[4:5], off
	s_waitcnt vmcnt(0)
	v_mad_i64_i32 v[24:25], s[6:7], v24, s30, 0
	v_lshl_add_u64 v[24:25], v[24:25], 2, v[2:3]
	global_load_dword v27, v[24:25], off offset:256
	global_load_dword v36, v[24:25], off
	global_load_dword v37, v[24:25], off offset:512
	global_load_dword v38, v[24:25], off offset:768
	;; [unrolled: 1-line block ×8, first 2 shown]
	ds_read2_b64 v[28:31], v10 offset1:1
	ds_read2_b64 v[32:35], v10 offset0:2 offset1:3
	ds_read_b64 v[24:25], v10 offset:32
	v_cmp_lt_i32_e64 s[6:7], v20, v19
	s_waitcnt vmcnt(9) lgkmcnt(2)
	v_mul_f32_e32 v27, v29, v27
	s_waitcnt vmcnt(8)
	v_fmac_f32_e32 v27, v28, v36
	s_waitcnt vmcnt(7)
	v_fmac_f32_e32 v27, v30, v37
	;; [unrolled: 2-line block ×3, first 2 shown]
	s_waitcnt vmcnt(5) lgkmcnt(1)
	v_fmac_f32_e32 v27, v32, v39
	s_waitcnt vmcnt(4)
	v_fmac_f32_e32 v27, v33, v40
	s_waitcnt vmcnt(3)
	;; [unrolled: 2-line block ×3, first 2 shown]
	v_fmac_f32_e32 v27, v35, v42
	v_cndmask_b32_e64 v45, v18, v20, s[6:7]
	s_waitcnt vmcnt(1) lgkmcnt(0)
	v_fmac_f32_e32 v27, v24, v43
	v_lshlrev_b32_e32 v45, 2, v45
	s_waitcnt vmcnt(0)
	v_fmac_f32_e32 v27, v25, v44
	ds_bpermute_b32 v24, v45, v27
	v_cmp_lt_i32_e64 s[6:7], v21, v19
	s_waitcnt lgkmcnt(0)
	v_add_f32_e32 v24, v27, v24
	v_cndmask_b32_e64 v25, v18, v21, s[6:7]
	v_lshlrev_b32_e32 v25, 2, v25
	ds_bpermute_b32 v25, v25, v24
	v_cmp_lt_i32_e64 s[6:7], v22, v19
	s_waitcnt lgkmcnt(0)
	v_add_f32_e32 v24, v24, v25
	v_cndmask_b32_e64 v27, v18, v22, s[6:7]
	v_lshlrev_b32_e32 v27, 2, v27
	ds_bpermute_b32 v25, v27, v24
	s_and_saveexec_b64 s[38:39], vcc
	s_cbranch_execz .LBB2_11
; %bb.17:                               ;   in Loop: Header=BB2_13 Depth=1
	v_add_u32_e32 v27, v15, v13
	v_cvt_f32_i32_e32 v27, v27
	s_waitcnt lgkmcnt(0)
	v_add_f32_e32 v24, v24, v25
	v_add_u32_e32 v28, v9, v13
	v_cmp_gt_i32_e64 s[6:7], s33, v28
	v_mul_f32_e32 v25, s43, v27
	v_cndmask_b32_e64 v25, 0, v25, s[0:1]
	v_fmac_f32_e32 v25, s31, v24
	v_cndmask_b32_e64 v24, 0, v25, s[6:7]
	ds_write_b32 v14, v24
	v_max_f32_e32 v24, v12, v12
	v_max_f32_e32 v24, v24, v25
	v_cndmask_b32_e64 v12, v12, v24, s[6:7]
	s_branch .LBB2_11
.LBB2_18:
	s_or_b64 exec, exec, s[36:37]
.LBB2_19:
	s_or_b64 exec, exec, s[34:35]
	v_mbcnt_hi_u32_b32 v2, -1, v8
	v_and_b32_e32 v3, 64, v2
	v_add_u32_e32 v3, 64, v3
	v_xor_b32_e32 v4, 32, v2
	v_cmp_lt_i32_e32 vcc, v4, v3
	v_xor_b32_e32 v9, 16, v2
	v_max_f32_e32 v5, v12, v12
	v_cndmask_b32_e32 v4, v2, v4, vcc
	v_lshlrev_b32_e32 v8, 2, v4
	ds_bpermute_b32 v4, v8, v12
	v_cmp_lt_i32_e32 vcc, v9, v3
	v_xor_b32_e32 v11, 8, v2
	s_waitcnt lgkmcnt(0)
	v_max_f32_e32 v4, v4, v4
	v_max_f32_e32 v4, v5, v4
	v_cndmask_b32_e32 v5, v2, v9, vcc
	v_lshlrev_b32_e32 v10, 2, v5
	ds_bpermute_b32 v5, v10, v4
	v_cmp_lt_i32_e32 vcc, v11, v3
	s_waitcnt lgkmcnt(0)
	v_max_f32_e32 v5, v5, v5
	v_max_f32_e32 v9, v4, v5
	v_cndmask_b32_e32 v4, v2, v11, vcc
	v_lshlrev_b32_e32 v11, 2, v4
	ds_bpermute_b32 v12, v11, v9
	v_and_b32_e32 v4, 63, v0
	v_cmp_eq_u32_e32 vcc, 0, v4
	v_lshlrev_b32_e32 v5, 2, v17
	s_and_saveexec_b64 s[0:1], vcc
	s_cbranch_execz .LBB2_21
; %bb.20:
	s_waitcnt lgkmcnt(0)
	v_max_f32_e32 v12, v12, v12
	v_max_f32_e32 v9, v9, v9
	;; [unrolled: 1-line block ×3, first 2 shown]
	ds_write_b32 v5, v9 offset:320
.LBB2_21:
	s_or_b64 exec, exec, s[0:1]
	v_cmp_gt_u32_e64 s[0:1], 2, v4
	s_waitcnt lgkmcnt(0)
	v_mov_b32_e32 v12, 0xff7fffff
	v_lshlrev_b32_e32 v9, 2, v4
	s_barrier
	s_and_saveexec_b64 s[6:7], s[0:1]
	s_cbranch_execz .LBB2_23
; %bb.22:
	ds_read_b32 v12, v9 offset:320
.LBB2_23:
	s_or_b64 exec, exec, s[6:7]
	v_xor_b32_e32 v13, 1, v2
	v_cmp_lt_i32_e64 s[6:7], v13, v3
	v_lshlrev_b32_e32 v14, 2, v2
	s_nop 0
	v_cndmask_b32_e64 v13, v2, v13, s[6:7]
	v_lshlrev_b32_e32 v27, 2, v13
	s_waitcnt lgkmcnt(0)
	ds_bpermute_b32 v13, v27, v12
	v_max_f32_e32 v12, v12, v12
	s_lshl_b32 s6, s42, 3
	s_min_i32 s15, s6, s33
	v_cmp_gt_i32_e64 s[6:7], s15, v0
	s_waitcnt lgkmcnt(0)
	v_max_f32_e32 v13, v13, v13
	v_max_f32_e32 v13, v12, v13
	v_and_b32_e32 v12, 0x100, v14
	ds_bpermute_b32 v14, v12, v13
	v_mov_b32_e32 v13, 0
	s_and_saveexec_b64 s[30:31], s[6:7]
	s_cbranch_execz .LBB2_27
; %bb.24:
	v_mov_b32_e32 v13, 0x150
	v_lshl_add_u32 v15, v0, 2, v13
	s_mov_b64 s[34:35], 0
	v_mov_b32_e32 v13, 0
	v_mov_b32_e32 v16, v0
.LBB2_25:                               ; =>This Inner Loop Header: Depth=1
	ds_read_b32 v18, v15
	v_add_u32_e32 v16, 0x80, v16
	v_cmp_le_i32_e64 s[8:9], s15, v16
	s_or_b64 s[34:35], s[8:9], s[34:35]
	s_waitcnt lgkmcnt(0)
	v_sub_f32_e32 v18, v18, v14
	v_mul_f32_e32 v18, 0x3fb8aa3b, v18
	v_exp_f32_e32 v18, v18
	ds_write_b32 v15, v18
	v_add_f32_e32 v13, v13, v18
	v_add_u32_e32 v15, 0x200, v15
	s_andn2_b64 exec, exec, s[34:35]
	s_cbranch_execnz .LBB2_25
; %bb.26:
	s_or_b64 exec, exec, s[34:35]
.LBB2_27:
	s_or_b64 exec, exec, s[30:31]
	ds_bpermute_b32 v8, v8, v13
	s_waitcnt lgkmcnt(0)
	v_add_f32_e32 v8, v13, v8
	ds_bpermute_b32 v10, v10, v8
	s_waitcnt lgkmcnt(0)
	v_add_f32_e32 v8, v8, v10
	ds_bpermute_b32 v10, v11, v8
	v_xor_b32_e32 v11, 4, v2
	v_cmp_lt_i32_e64 s[8:9], v11, v3
	s_waitcnt lgkmcnt(0)
	v_add_f32_e32 v8, v8, v10
	v_cndmask_b32_e64 v11, v2, v11, s[8:9]
	v_lshlrev_b32_e32 v11, 2, v11
	ds_bpermute_b32 v10, v11, v8
	v_xor_b32_e32 v11, 2, v2
	v_cmp_lt_i32_e64 s[8:9], v11, v3
	s_waitcnt lgkmcnt(0)
	v_add_f32_e32 v3, v8, v10
	v_cndmask_b32_e64 v2, v2, v11, s[8:9]
	v_lshlrev_b32_e32 v2, 2, v2
	ds_bpermute_b32 v2, v2, v3
	s_waitcnt lgkmcnt(0)
	v_add_f32_e32 v2, v3, v2
	ds_bpermute_b32 v3, v27, v2
	s_waitcnt lgkmcnt(0)
	v_add_f32_e32 v2, v2, v3
	s_and_saveexec_b64 s[8:9], vcc
	s_cbranch_execz .LBB2_29
; %bb.28:
	ds_write_b32 v5, v2 offset:328
.LBB2_29:
	s_or_b64 exec, exec, s[8:9]
	s_waitcnt lgkmcnt(0)
	s_barrier
	s_and_saveexec_b64 s[8:9], s[0:1]
	s_cbranch_execz .LBB2_31
; %bb.30:
	ds_read_b32 v2, v9 offset:328
.LBB2_31:
	s_or_b64 exec, exec, s[8:9]
	s_waitcnt lgkmcnt(0)
	ds_bpermute_b32 v3, v27, v2
	s_waitcnt lgkmcnt(0)
	v_add_f32_e32 v2, v2, v3
	ds_bpermute_b32 v2, v12, v2
	s_and_saveexec_b64 s[0:1], s[6:7]
	s_cbranch_execz .LBB2_44
; %bb.32:
	s_waitcnt lgkmcnt(0)
	v_add_f32_e32 v2, 0x358637bd, v2
	v_div_scale_f32 v3, s[6:7], v2, v2, 1.0
	v_rcp_f32_e32 v5, v3
	v_div_scale_f32 v8, vcc, 1.0, v2, 1.0
	s_movk_i32 s6, 0x7f
	v_fma_f32 v9, -v3, v5, 1.0
	v_fmac_f32_e32 v5, v9, v5
	v_mul_f32_e32 v9, v8, v5
	v_fma_f32 v10, -v3, v9, v8
	v_fmac_f32_e32 v9, v10, v5
	v_fma_f32 v3, -v3, v9, v8
	v_div_fmas_f32 v3, v3, v5, v9
	v_xad_u32 v5, v0, -1, s15
	v_div_fixup_f32 v2, v3, v2, 1.0
	v_cmp_lt_u32_e32 vcc, s6, v5
	s_mov_b64 s[8:9], -1
	v_mov_b32_e32 v3, v0
	s_and_saveexec_b64 s[6:7], vcc
	s_cbranch_execz .LBB2_41
; %bb.33:
	v_lshrrev_b32_e32 v5, 7, v5
	v_add_u32_e32 v9, -1, v5
	v_lshrrev_b32_e32 v8, 1, v9
	v_mov_b32_e32 v3, v2
	v_add_u32_e32 v8, 1, v8
	v_cmp_lt_u32_e32 vcc, 13, v9
	v_mov_b32_e32 v11, 0
	s_and_saveexec_b64 s[8:9], vcc
	s_cbranch_execz .LBB2_37
; %bb.34:
	v_mov_b32_e32 v10, 0x150
	v_and_b32_e32 v9, -8, v8
	v_lshl_add_u32 v10, v0, 2, v10
	s_mov_b32 s16, 0
	s_mov_b64 s[30:31], 0
.LBB2_35:                               ; =>This Inner Loop Header: Depth=1
	ds_read2st64_b32 v[12:13], v10 offset1:2
	ds_read2st64_b32 v[14:15], v10 offset0:4 offset1:6
	ds_read2st64_b32 v[18:19], v10 offset0:8 offset1:10
	;; [unrolled: 1-line block ×3, first 2 shown]
	v_add_u32_e32 v9, -8, v9
	s_waitcnt lgkmcnt(3)
	v_pk_mul_f32 v[12:13], v[2:3], v[12:13]
	s_waitcnt lgkmcnt(2)
	v_pk_mul_f32 v[14:15], v[2:3], v[14:15]
	ds_write2st64_b32 v10, v12, v13 offset1:2
	ds_write2st64_b32 v10, v14, v15 offset0:4 offset1:6
	ds_read2st64_b32 v[14:15], v10 offset0:16 offset1:18
	s_waitcnt lgkmcnt(4)
	v_pk_mul_f32 v[12:13], v[2:3], v[18:19]
	ds_write2st64_b32 v10, v12, v13 offset0:8 offset1:10
	s_waitcnt lgkmcnt(4)
	v_pk_mul_f32 v[12:13], v[2:3], v[20:21]
	ds_write2st64_b32 v10, v12, v13 offset0:12 offset1:14
	ds_read2st64_b32 v[12:13], v10 offset0:20 offset1:22
	s_waitcnt lgkmcnt(3)
	v_pk_mul_f32 v[14:15], v[2:3], v[14:15]
	ds_read2st64_b32 v[18:19], v10 offset0:24 offset1:26
	ds_write2st64_b32 v10, v14, v15 offset0:16 offset1:18
	ds_read2st64_b32 v[14:15], v10 offset0:28 offset1:30
	s_waitcnt lgkmcnt(3)
	v_pk_mul_f32 v[12:13], v[2:3], v[12:13]
	ds_write2st64_b32 v10, v12, v13 offset0:20 offset1:22
	s_waitcnt lgkmcnt(3)
	v_pk_mul_f32 v[12:13], v[2:3], v[18:19]
	ds_write2st64_b32 v10, v12, v13 offset0:24 offset1:26
	s_waitcnt lgkmcnt(2)
	v_pk_mul_f32 v[12:13], v[2:3], v[14:15]
	s_add_i32 s16, s16, 16
	v_cmp_eq_u32_e32 vcc, 0, v9
	ds_write2st64_b32 v10, v12, v13 offset0:28 offset1:30
	v_add_u32_e32 v10, 0x2000, v10
	s_or_b64 s[30:31], vcc, s[30:31]
	v_mov_b32_e32 v11, s16
	s_andn2_b64 exec, exec, s[30:31]
	s_cbranch_execnz .LBB2_35
; %bb.36:
	s_or_b64 exec, exec, s[30:31]
.LBB2_37:
	s_or_b64 exec, exec, s[8:9]
	v_and_b32_e32 v8, 7, v8
	v_cmp_ne_u32_e32 vcc, 0, v8
	s_and_saveexec_b64 s[8:9], vcc
	s_cbranch_execz .LBB2_40
; %bb.38:
	v_lshlrev_b32_e32 v9, 9, v11
	s_movk_i32 s16, 0x150
	v_add3_u32 v9, v9, v6, s16
	s_mov_b64 s[30:31], 0
.LBB2_39:                               ; =>This Inner Loop Header: Depth=1
	ds_read2st64_b32 v[10:11], v9 offset1:2
	v_add_u32_e32 v8, -1, v8
	v_cmp_eq_u32_e32 vcc, 0, v8
	s_or_b64 s[30:31], vcc, s[30:31]
	s_waitcnt lgkmcnt(0)
	v_pk_mul_f32 v[10:11], v[2:3], v[10:11]
	ds_write2st64_b32 v9, v10, v11 offset1:2
	v_add_u32_e32 v9, 0x400, v9
	s_andn2_b64 exec, exec, s[30:31]
	s_cbranch_execnz .LBB2_39
.LBB2_40:
	s_or_b64 exec, exec, s[8:9]
	v_add_u32_e32 v5, 1, v5
	v_and_b32_e32 v8, 0x3fffffe, v5
	v_cmp_ne_u32_e32 vcc, v5, v8
	v_lshl_add_u32 v3, v8, 7, v0
	s_orn2_b64 s[8:9], vcc, exec
.LBB2_41:
	s_or_b64 exec, exec, s[6:7]
	s_and_b64 exec, exec, s[8:9]
	s_cbranch_execz .LBB2_44
; %bb.42:
	v_mov_b32_e32 v5, 0x150
	v_lshl_add_u32 v5, v3, 2, v5
	s_mov_b64 s[6:7], 0
.LBB2_43:                               ; =>This Inner Loop Header: Depth=1
	ds_read_b32 v8, v5
	v_add_u32_e32 v3, 0x80, v3
	v_cmp_le_i32_e32 vcc, s15, v3
	s_or_b64 s[6:7], vcc, s[6:7]
	s_waitcnt lgkmcnt(0)
	v_mul_f32_e32 v8, v2, v8
	ds_write_b32 v5, v8
	v_add_u32_e32 v5, 0x200, v5
	s_andn2_b64 exec, exec, s[6:7]
	s_cbranch_execnz .LBB2_43
.LBB2_44:
	s_or_b64 exec, exec, s[0:1]
	s_mov_b32 s0, 0
	v_mov_b32_e32 v16, 0
	v_lshrrev_b32_e32 v29, 1, v4
	v_and_b32_e32 v28, 1, v0
	v_mov_b32_e32 v15, 0
	v_mov_b32_e32 v14, 0
	s_waitcnt lgkmcnt(0)
	s_barrier
	s_and_saveexec_b64 s[6:7], s[2:3]
	s_cbranch_execz .LBB2_58
; %bb.45:
	s_ashr_i32 s15, s14, 31
	s_sub_i32 s30, s12, s17
	s_lshl_b64 s[2:3], s[14:15], 2
	s_add_u32 s8, s28, s2
	s_addc_u32 s9, s29, s3
	s_abs_i32 s18, s18
	v_cvt_f32_u32_e32 v3, s18
	v_or_b32_e32 v4, 64, v29
	s_movk_i32 s1, 0x50
	s_add_i32 s29, s42, -1
	v_rcp_iflag_f32_e32 v3, v3
	v_cmp_gt_u32_e32 vcc, s1, v4
	s_sub_i32 s1, 0, s18
	s_lshl_b64 s[2:3], s[26:27], 2
	v_mul_f32_e32 v3, 0x4f7ffffe, v3
	v_cvt_u32_f32_e32 v3, v3
	s_add_u32 s2, s24, s2
	v_mov_b32_e32 v19, 0
	v_and_b32_e32 v18, 60, v7
	v_mul_lo_u32 v5, s1, v3
	v_mul_hi_u32 v5, v3, v5
	s_addc_u32 s3, s25, s3
	v_and_b32_e32 v30, 4, v6
	v_add_u32_e32 v31, v3, v5
	v_lshl_add_u64 v[20:21], s[2:3], 0, v[18:19]
	v_lshlrev_b32_e32 v3, 4, v28
	s_mov_b32 s2, s0
	v_lshl_or_b32 v2, v29, 3, v30
	v_lshl_or_b32 v4, v4, 3, v30
	;; [unrolled: 1-line block ×3, first 2 shown]
	s_mov_b32 s1, s0
	v_mov_b32_e32 v16, s2
	s_mov_b32 s28, s13
	v_add_u32_e32 v32, 0x150, v3
	s_mov_b64 s[12:13], 0
	v_mov_b32_e32 v15, s1
	v_mov_b32_e32 v14, s0
	v_lshlrev_b32_e32 v18, 2, v2
	v_lshlrev_b32_e32 v22, 2, v4
	s_branch .LBB2_49
.LBB2_46:                               ;   in Loop: Header=BB2_49 Depth=1
	s_or_b64 exec, exec, s[16:17]
	s_waitcnt vmcnt(0)
	v_mul_f32_e32 v3, v3, v7
	v_fmac_f32_e32 v3, v2, v6
	v_fmac_f32_e32 v3, v4, v8
	;; [unrolled: 1-line block ×3, first 2 shown]
	v_add_f32_e32 v16, v16, v3
.LBB2_47:                               ;   in Loop: Header=BB2_49 Depth=1
	s_or_b64 exec, exec, s[2:3]
.LBB2_48:                               ;   in Loop: Header=BB2_49 Depth=1
	s_or_b64 exec, exec, s[14:15]
	v_add_u32_e32 v17, 2, v17
	v_cmp_le_i32_e64 s[0:1], s42, v17
	v_lshl_add_u64 v[20:21], v[20:21], 0, 8
	v_add_u32_e32 v26, 16, v26
	s_or_b64 s[12:13], s[0:1], s[12:13]
	v_add_u32_e32 v32, 64, v32
	s_andn2_b64 exec, exec, s[12:13]
	s_cbranch_execz .LBB2_57
.LBB2_49:                               ; =>This Inner Loop Header: Depth=1
	v_mul_hi_u32 v2, v26, s40
	v_mul_lo_u32 v3, v2, s21
	v_sub_u32_e32 v3, v26, v3
	v_add_u32_e32 v4, 1, v2
	v_cmp_le_u32_e64 s[0:1], s21, v3
	s_nop 1
	v_cndmask_b32_e64 v2, v2, v4, s[0:1]
	v_subrev_u32_e32 v4, s21, v3
	v_cndmask_b32_e64 v3, v3, v4, s[0:1]
	v_add_u32_e32 v4, 1, v2
	v_cmp_le_u32_e64 s[0:1], s21, v3
	s_nop 1
	v_cndmask_b32_e64 v2, v2, v4, s[0:1]
	v_xor_b32_e32 v2, s19, v2
	v_subrev_u32_e32 v2, s19, v2
	v_add_u32_e32 v3, s41, v2
	v_sub_u32_e32 v5, 0, v3
	v_ashrrev_i32_e32 v4, 31, v3
	v_max_i32_e32 v3, v3, v5
	v_mul_hi_u32 v5, v3, v31
	v_mul_lo_u32 v5, v5, s18
	v_sub_u32_e32 v3, v3, v5
	v_subrev_u32_e32 v5, s18, v3
	v_cmp_le_u32_e64 s[0:1], s18, v3
	v_cmp_lt_i32_e64 s[2:3], s30, v2
	s_nop 0
	v_cndmask_b32_e64 v3, v3, v5, s[0:1]
	v_subrev_u32_e32 v5, s18, v3
	v_cmp_le_u32_e64 s[0:1], s18, v3
	s_nop 1
	v_cndmask_b32_e64 v3, v3, v5, s[0:1]
	v_xor_b32_e32 v3, v3, v4
	v_sub_u32_e32 v3, v3, v4
	v_cmp_eq_u32_e64 s[0:1], 0, v3
	s_or_b64 s[0:1], s[0:1], s[2:3]
	s_and_saveexec_b64 s[14:15], s[0:1]
	s_cbranch_execz .LBB2_48
; %bb.50:                               ;   in Loop: Header=BB2_49 Depth=1
	global_load_dword v2, v[20:21], off
	v_add_u32_e32 v33, v30, v26
	s_waitcnt vmcnt(0)
	v_mad_i64_i32 v[2:3], s[0:1], v2, s28, 0
	v_lshl_add_u64 v[24:25], v[2:3], 2, s[8:9]
	v_lshl_add_u64 v[10:11], v[24:25], 0, v[18:19]
	global_load_dwordx4 v[6:9], v[10:11], off
	ds_read_b128 v[2:5], v32
	v_cmp_eq_u32_e64 s[0:1], s29, v17
	s_and_saveexec_b64 s[16:17], s[0:1]
	s_cbranch_execz .LBB2_52
; %bb.51:                               ;   in Loop: Header=BB2_49 Depth=1
	v_cmp_gt_i32_e64 s[2:3], s33, v33
	v_add_u32_e32 v12, 1, v33
	s_waitcnt vmcnt(0)
	v_cndmask_b32_e64 v6, 0, v6, s[2:3]
	v_cmp_gt_i32_e64 s[2:3], s33, v12
	v_add_u32_e32 v12, 2, v33
	s_nop 0
	v_cndmask_b32_e64 v7, 0, v7, s[2:3]
	v_cmp_gt_i32_e64 s[2:3], s33, v12
	v_add_u32_e32 v12, 3, v33
	s_nop 0
	v_cndmask_b32_e64 v8, 0, v8, s[2:3]
	v_cmp_gt_i32_e64 s[2:3], s33, v12
	s_nop 1
	v_cndmask_b32_e64 v9, 0, v9, s[2:3]
.LBB2_52:                               ;   in Loop: Header=BB2_49 Depth=1
	s_or_b64 exec, exec, s[16:17]
	global_load_dwordx4 v[10:13], v[10:11], off offset:1024
	s_and_saveexec_b64 s[16:17], s[0:1]
	s_cbranch_execz .LBB2_54
; %bb.53:                               ;   in Loop: Header=BB2_49 Depth=1
	v_cmp_gt_i32_e64 s[2:3], s33, v33
	v_add_u32_e32 v23, 1, v33
	s_waitcnt vmcnt(0)
	v_cndmask_b32_e64 v10, 0, v10, s[2:3]
	v_cmp_gt_i32_e64 s[2:3], s33, v23
	v_add_u32_e32 v23, 2, v33
	s_nop 0
	v_cndmask_b32_e64 v11, 0, v11, s[2:3]
	v_cmp_gt_i32_e64 s[2:3], s33, v23
	v_add_u32_e32 v23, 3, v33
	s_nop 0
	v_cndmask_b32_e64 v12, 0, v12, s[2:3]
	v_cmp_gt_i32_e64 s[2:3], s33, v23
	s_nop 1
	v_cndmask_b32_e64 v13, 0, v13, s[2:3]
.LBB2_54:                               ;   in Loop: Header=BB2_49 Depth=1
	s_or_b64 exec, exec, s[16:17]
	s_waitcnt vmcnt(1) lgkmcnt(0)
	v_mul_f32_e32 v7, v3, v7
	v_fmac_f32_e32 v7, v2, v6
	s_waitcnt vmcnt(0)
	v_mul_f32_e32 v6, v3, v11
	v_fmac_f32_e32 v6, v2, v10
	v_fmac_f32_e32 v7, v4, v8
	v_fmac_f32_e32 v6, v4, v12
	v_fmac_f32_e32 v7, v5, v9
	v_fmac_f32_e32 v6, v5, v13
	v_add_f32_e32 v14, v14, v7
	v_add_f32_e32 v15, v15, v6
	s_and_saveexec_b64 s[2:3], vcc
	s_cbranch_execz .LBB2_47
; %bb.55:                               ;   in Loop: Header=BB2_49 Depth=1
	v_mov_b32_e32 v23, v19
	v_lshl_add_u64 v[6:7], v[24:25], 0, v[22:23]
	global_load_dwordx4 v[6:9], v[6:7], off
	s_and_saveexec_b64 s[16:17], s[0:1]
	s_cbranch_execz .LBB2_46
; %bb.56:                               ;   in Loop: Header=BB2_49 Depth=1
	v_cmp_gt_i32_e64 s[0:1], s33, v33
	v_add_u32_e32 v10, 1, v33
	s_waitcnt vmcnt(0)
	v_cndmask_b32_e64 v6, 0, v6, s[0:1]
	v_cmp_gt_i32_e64 s[0:1], s33, v10
	v_add_u32_e32 v10, 2, v33
	s_nop 0
	v_cndmask_b32_e64 v7, 0, v7, s[0:1]
	v_cmp_gt_i32_e64 s[0:1], s33, v10
	v_add_u32_e32 v10, 3, v33
	s_nop 0
	v_cndmask_b32_e64 v8, 0, v8, s[0:1]
	v_cmp_gt_i32_e64 s[0:1], s33, v10
	s_nop 1
	v_cndmask_b32_e64 v9, 0, v9, s[0:1]
	s_branch .LBB2_46
.LBB2_57:
	s_or_b64 exec, exec, s[12:13]
.LBB2_58:
	s_or_b64 exec, exec, s[6:7]
	ds_bpermute_b32 v2, v27, v14
	ds_bpermute_b32 v3, v27, v15
	;; [unrolled: 1-line block ×3, first 2 shown]
	v_and_b32_e32 v5, 0x3c0, v0
	v_cmp_eq_u32_e32 vcc, 64, v5
	s_waitcnt lgkmcnt(0)
	v_pk_add_f32 v[2:3], v[14:15], v[2:3]
	v_add_f32_e32 v4, v16, v4
	s_barrier
	s_and_saveexec_b64 s[2:3], vcc
	s_cbranch_execz .LBB2_63
; %bb.59:
	v_cmp_eq_u32_e32 vcc, 0, v28
	s_and_saveexec_b64 s[0:1], vcc
	s_cbranch_execz .LBB2_61
; %bb.60:
	v_mov_b32_e32 v5, 0x150
	v_lshl_add_u32 v5, v29, 2, v5
	ds_write2_b32 v5, v2, v3 offset1:32
.LBB2_61:
	s_or_b64 exec, exec, s[0:1]
	v_or_b32_e32 v5, 64, v29
	s_movk_i32 s0, 0x50
	v_cmp_gt_u32_e64 s[0:1], s0, v5
	s_and_b64 s[0:1], vcc, s[0:1]
	s_and_b64 exec, exec, s[0:1]
	s_cbranch_execz .LBB2_63
; %bb.62:
	v_mov_b32_e32 v5, 0x150
	v_lshl_add_u32 v5, v29, 2, v5
	ds_write_b32 v5, v4 offset:256
.LBB2_63:
	s_or_b64 exec, exec, s[2:3]
	v_cmp_gt_u32_e32 vcc, 64, v0
	s_waitcnt lgkmcnt(0)
	s_barrier
	s_and_saveexec_b64 s[6:7], vcc
	s_cbranch_execz .LBB2_71
; %bb.64:
	v_cmp_eq_u32_e64 s[0:1], 0, v28
	s_and_saveexec_b64 s[2:3], s[0:1]
	s_cbranch_execz .LBB2_66
; %bb.65:
	v_mov_b32_e32 v0, 0x150
	v_lshl_add_u32 v0, v1, 2, v0
	ds_read_b32 v0, v0
	s_waitcnt lgkmcnt(0)
	v_add_f32_e32 v2, v2, v0
.LBB2_66:
	s_or_b64 exec, exec, s[2:3]
	s_and_saveexec_b64 s[2:3], s[0:1]
	s_cbranch_execz .LBB2_68
; %bb.67:
	v_mov_b32_e32 v0, 0x150
	v_lshl_add_u32 v0, v1, 2, v0
	ds_read_b32 v0, v0 offset:128
	s_waitcnt lgkmcnt(0)
	v_add_f32_e32 v3, v3, v0
.LBB2_68:
	s_or_b64 exec, exec, s[2:3]
	v_or_b32_e32 v0, 64, v1
	s_movk_i32 s2, 0x50
	v_cmp_gt_u32_e64 s[2:3], s2, v0
	s_and_b64 s[2:3], s[0:1], s[2:3]
	s_and_saveexec_b64 s[0:1], s[2:3]
	s_cbranch_execz .LBB2_70
; %bb.69:
	v_mov_b32_e32 v0, 0x150
	v_lshl_add_u32 v0, v1, 2, v0
	ds_read_b32 v0, v0 offset:256
	s_waitcnt lgkmcnt(0)
	v_add_f32_e32 v4, v4, v0
.LBB2_70:
	s_or_b64 exec, exec, s[0:1]
.LBB2_71:
	s_or_b64 exec, exec, s[6:7]
	s_barrier
	s_and_saveexec_b64 s[0:1], vcc
	s_cbranch_execz .LBB2_76
; %bb.72:
	s_mul_i32 s0, s10, s11
	s_mul_i32 s0, s0, s5
	s_mulk_i32 s0, 0x50
	s_ashr_i32 s1, s0, 31
	s_lshl_b64 s[0:1], s[0:1], 2
	s_add_u32 s2, s22, s0
	s_mul_i32 s0, s11, s20
	s_addc_u32 s3, s23, s1
	s_ashr_i32 s1, s0, 31
	s_lshl_b64 s[0:1], s[0:1], 2
	s_add_u32 s2, s2, s0
	s_mul_i32 s0, s4, 0x50
	s_addc_u32 s3, s3, s1
	s_ashr_i32 s1, s0, 31
	s_lshl_b64 s[0:1], s[0:1], 2
	s_add_u32 s2, s2, s0
	s_movk_i32 s5, 0x50
	s_addc_u32 s3, s3, s1
	v_cmp_eq_u32_e32 vcc, 0, v28
	v_lshlrev_b32_e32 v0, 2, v1
	s_and_saveexec_b64 s[0:1], vcc
	s_cbranch_execz .LBB2_74
; %bb.73:
	global_store_dword v0, v2, s[2:3]
	global_store_dword v0, v3, s[2:3] offset:128
.LBB2_74:
	s_or_b64 exec, exec, s[0:1]
	v_or_b32_e32 v1, 64, v1
	v_cmp_gt_u32_e64 s[0:1], s5, v1
	s_and_b64 s[0:1], vcc, s[0:1]
	s_and_b64 exec, exec, s[0:1]
	s_cbranch_execz .LBB2_76
; %bb.75:
	global_store_dword v0, v4, s[2:3] offset:256
.LBB2_76:
	s_endpgm
	.section	.rodata,"a",@progbits
	.p2align	6, 0x0
	.amdhsa_kernel _ZN4vllm25paged_attention_v1_kernelIffLi80ELi8ELi128ELNS_18Fp8KVCacheDataTypeE0ELb1EEEvPT_PKS2_PKT0_S8_ifPKiSA_iPKfiiiSC_SC_iiiii
		.amdhsa_group_segment_fixed_size 336
		.amdhsa_private_segment_fixed_size 0
		.amdhsa_kernarg_size 384
		.amdhsa_user_sgpr_count 2
		.amdhsa_user_sgpr_dispatch_ptr 0
		.amdhsa_user_sgpr_queue_ptr 0
		.amdhsa_user_sgpr_kernarg_segment_ptr 1
		.amdhsa_user_sgpr_dispatch_id 0
		.amdhsa_user_sgpr_kernarg_preload_length 0
		.amdhsa_user_sgpr_kernarg_preload_offset 0
		.amdhsa_user_sgpr_private_segment_size 0
		.amdhsa_uses_dynamic_stack 0
		.amdhsa_enable_private_segment 0
		.amdhsa_system_sgpr_workgroup_id_x 1
		.amdhsa_system_sgpr_workgroup_id_y 1
		.amdhsa_system_sgpr_workgroup_id_z 1
		.amdhsa_system_sgpr_workgroup_info 0
		.amdhsa_system_vgpr_workitem_id 0
		.amdhsa_next_free_vgpr 46
		.amdhsa_next_free_sgpr 44
		.amdhsa_accum_offset 48
		.amdhsa_reserve_vcc 1
		.amdhsa_float_round_mode_32 0
		.amdhsa_float_round_mode_16_64 0
		.amdhsa_float_denorm_mode_32 3
		.amdhsa_float_denorm_mode_16_64 3
		.amdhsa_dx10_clamp 1
		.amdhsa_ieee_mode 1
		.amdhsa_fp16_overflow 0
		.amdhsa_tg_split 0
		.amdhsa_exception_fp_ieee_invalid_op 0
		.amdhsa_exception_fp_denorm_src 0
		.amdhsa_exception_fp_ieee_div_zero 0
		.amdhsa_exception_fp_ieee_overflow 0
		.amdhsa_exception_fp_ieee_underflow 0
		.amdhsa_exception_fp_ieee_inexact 0
		.amdhsa_exception_int_div_zero 0
	.end_amdhsa_kernel
	.section	.text._ZN4vllm25paged_attention_v1_kernelIffLi80ELi8ELi128ELNS_18Fp8KVCacheDataTypeE0ELb1EEEvPT_PKS2_PKT0_S8_ifPKiSA_iPKfiiiSC_SC_iiiii,"axG",@progbits,_ZN4vllm25paged_attention_v1_kernelIffLi80ELi8ELi128ELNS_18Fp8KVCacheDataTypeE0ELb1EEEvPT_PKS2_PKT0_S8_ifPKiSA_iPKfiiiSC_SC_iiiii,comdat
.Lfunc_end2:
	.size	_ZN4vllm25paged_attention_v1_kernelIffLi80ELi8ELi128ELNS_18Fp8KVCacheDataTypeE0ELb1EEEvPT_PKS2_PKT0_S8_ifPKiSA_iPKfiiiSC_SC_iiiii, .Lfunc_end2-_ZN4vllm25paged_attention_v1_kernelIffLi80ELi8ELi128ELNS_18Fp8KVCacheDataTypeE0ELb1EEEvPT_PKS2_PKT0_S8_ifPKiSA_iPKfiiiSC_SC_iiiii
                                        ; -- End function
	.section	.AMDGPU.csdata,"",@progbits
; Kernel info:
; codeLenInByte = 4564
; NumSgprs: 50
; NumVgprs: 46
; NumAgprs: 0
; TotalNumVgprs: 46
; ScratchSize: 0
; MemoryBound: 0
; FloatMode: 240
; IeeeMode: 1
; LDSByteSize: 336 bytes/workgroup (compile time only)
; SGPRBlocks: 6
; VGPRBlocks: 5
; NumSGPRsForWavesPerEU: 50
; NumVGPRsForWavesPerEU: 46
; AccumOffset: 48
; Occupancy: 8
; WaveLimiterHint : 1
; COMPUTE_PGM_RSRC2:SCRATCH_EN: 0
; COMPUTE_PGM_RSRC2:USER_SGPR: 2
; COMPUTE_PGM_RSRC2:TRAP_HANDLER: 0
; COMPUTE_PGM_RSRC2:TGID_X_EN: 1
; COMPUTE_PGM_RSRC2:TGID_Y_EN: 1
; COMPUTE_PGM_RSRC2:TGID_Z_EN: 1
; COMPUTE_PGM_RSRC2:TIDIG_COMP_CNT: 0
; COMPUTE_PGM_RSRC3_GFX90A:ACCUM_OFFSET: 11
; COMPUTE_PGM_RSRC3_GFX90A:TG_SPLIT: 0
	.section	.text._ZN4vllm25paged_attention_v1_kernelIffLi96ELi8ELi128ELNS_18Fp8KVCacheDataTypeE0ELb1EEEvPT_PKS2_PKT0_S8_ifPKiSA_iPKfiiiSC_SC_iiiii,"axG",@progbits,_ZN4vllm25paged_attention_v1_kernelIffLi96ELi8ELi128ELNS_18Fp8KVCacheDataTypeE0ELb1EEEvPT_PKS2_PKT0_S8_ifPKiSA_iPKfiiiSC_SC_iiiii,comdat
	.protected	_ZN4vllm25paged_attention_v1_kernelIffLi96ELi8ELi128ELNS_18Fp8KVCacheDataTypeE0ELb1EEEvPT_PKS2_PKT0_S8_ifPKiSA_iPKfiiiSC_SC_iiiii ; -- Begin function _ZN4vllm25paged_attention_v1_kernelIffLi96ELi8ELi128ELNS_18Fp8KVCacheDataTypeE0ELb1EEEvPT_PKS2_PKT0_S8_ifPKiSA_iPKfiiiSC_SC_iiiii
	.globl	_ZN4vllm25paged_attention_v1_kernelIffLi96ELi8ELi128ELNS_18Fp8KVCacheDataTypeE0ELb1EEEvPT_PKS2_PKT0_S8_ifPKiSA_iPKfiiiSC_SC_iiiii
	.p2align	8
	.type	_ZN4vllm25paged_attention_v1_kernelIffLi96ELi8ELi128ELNS_18Fp8KVCacheDataTypeE0ELb1EEEvPT_PKS2_PKT0_S8_ifPKiSA_iPKfiiiSC_SC_iiiii,@function
_ZN4vllm25paged_attention_v1_kernelIffLi96ELi8ELi128ELNS_18Fp8KVCacheDataTypeE0ELb1EEEvPT_PKS2_PKT0_S8_ifPKiSA_iPKfiiiSC_SC_iiiii: ; @_ZN4vllm25paged_attention_v1_kernelIffLi96ELi8ELi128ELNS_18Fp8KVCacheDataTypeE0ELb1EEEvPT_PKS2_PKT0_S8_ifPKiSA_iPKfiiiSC_SC_iiiii
; %bb.0:
	s_load_dword s5, s[0:1], 0x80
	s_load_dwordx2 s[6:7], s[0:1], 0x30
	s_load_dwordx2 s[30:31], s[0:1], 0x20
	s_mov_b32 s10, s3
	s_ashr_i32 s11, s3, 31
	s_lshl_b64 s[8:9], s[10:11], 2
	s_waitcnt lgkmcnt(0)
	s_add_u32 s6, s6, s8
	s_addc_u32 s7, s7, s9
	s_abs_i32 s3, s30
	v_cvt_f32_u32_e32 v1, s3
	s_sub_i32 s11, 0, s3
	s_abs_i32 s9, s5
	s_xor_b32 s8, s5, s30
	v_rcp_iflag_f32_e32 v1, v1
	s_ashr_i32 s8, s8, 31
	s_mov_b32 s42, 0
	v_mul_f32_e32 v1, 0x4f7ffffe, v1
	v_cvt_u32_f32_e32 v1, v1
	s_nop 0
	v_readfirstlane_b32 s12, v1
	s_mul_i32 s11, s11, s12
	s_mul_hi_u32 s11, s12, s11
	s_add_i32 s12, s12, s11
	s_mul_hi_u32 s11, s9, s12
	s_mul_i32 s12, s11, s3
	s_sub_i32 s9, s9, s12
	s_add_i32 s12, s11, 1
	s_sub_i32 s13, s9, s3
	s_cmp_ge_u32 s9, s3
	s_cselect_b32 s11, s12, s11
	s_cselect_b32 s9, s13, s9
	s_add_i32 s12, s11, 1
	s_cmp_ge_u32 s9, s3
	s_cselect_b32 s3, s12, s11
	s_xor_b32 s3, s3, s8
	s_sub_i32 s12, s3, s8
	s_abs_i32 s11, s12
	v_cvt_f32_u32_e32 v1, s11
	s_load_dwordx2 s[8:9], s[0:1], 0x40
	s_sub_i32 s3, 0, s11
	s_abs_i32 s22, s2
	v_rcp_iflag_f32_e32 v1, v1
	s_nop 0
	v_mul_f32_e32 v1, 0x4f7ffffe, v1
	v_cvt_u32_f32_e32 v1, v1
	s_nop 0
	v_readfirstlane_b32 s13, v1
	s_mul_i32 s3, s3, s13
	s_mul_hi_u32 s3, s13, s3
	s_add_i32 s13, s13, s3
	s_waitcnt lgkmcnt(0)
	s_cmp_eq_u64 s[8:9], 0
	s_mul_hi_u32 s23, s22, s13
	s_cbranch_scc1 .LBB3_2
; %bb.1:
	s_ashr_i32 s3, s2, 31
	s_lshl_b64 s[14:15], s[2:3], 2
	s_add_u32 s8, s8, s14
	s_addc_u32 s9, s9, s15
	s_load_dword s42, s[8:9], 0x0
.LBB3_2:
	s_load_dword s33, s[6:7], 0x0
	s_ashr_i32 s9, s12, 31
	s_load_dwordx4 s[12:15], s[0:1], 0x48
	s_movk_i32 s3, 0x60
	s_ashr_i32 s8, s2, 31
	v_and_b32_e32 v2, 7, v0
	s_mul_i32 s20, s2, 0x60
	v_cmp_gt_u32_e32 vcc, s3, v0
	v_lshlrev_b32_e32 v6, 2, v0
	v_lshrrev_b32_e32 v1, 1, v0
	s_and_saveexec_b64 s[6:7], vcc
	s_cbranch_execz .LBB3_4
; %bb.3:
	s_load_dwordx2 s[16:17], s[0:1], 0x8
	s_waitcnt lgkmcnt(0)
	s_mul_i32 s18, s10, s12
	s_ashr_i32 s19, s18, 31
	s_lshl_b64 s[18:19], s[18:19], 2
	v_and_b32_e32 v4, 0x1fc, v1
	s_add_u32 s3, s16, s18
	s_addc_u32 s12, s17, s19
	s_ashr_i32 s21, s20, 31
	s_lshl_b64 s[16:17], s[20:21], 2
	s_add_u32 s16, s3, s16
	s_addc_u32 s17, s12, s17
	global_load_dword v3, v6, s[16:17]
	v_mad_u32_u24 v4, v2, 48, v4
	s_waitcnt vmcnt(0)
	ds_write_b32 v4, v3
.LBB3_4:
	s_or_b64 exec, exec, s[6:7]
	s_mul_i32 s7, s23, s11
	s_sub_i32 s7, s22, s7
	s_xor_b32 s6, s8, s9
	s_add_i32 s8, s23, 1
	s_sub_i32 s9, s7, s11
	s_load_dwordx4 s[16:19], s[0:1], 0x68
	s_load_dword s3, s[0:1], 0x78
	s_cmp_ge_u32 s7, s11
	s_cselect_b32 s8, s8, s23
	s_cselect_b32 s7, s9, s7
	s_add_i32 s9, s8, 1
	s_cmp_ge_u32 s7, s11
	s_cselect_b32 s7, s9, s8
	s_waitcnt lgkmcnt(0)
	s_abs_i32 s21, s19
	v_cvt_f32_u32_e32 v3, s21
	s_xor_b32 s7, s7, s6
	s_sub_i32 s8, s7, s6
	s_sub_i32 s6, 0, s21
	v_rcp_iflag_f32_e32 v3, v3
	s_add_i32 s11, s33, -1
	s_abs_i32 s9, s11
	v_mul_f32_e32 v3, 0x4f7ffffe, v3
	v_cvt_u32_f32_e32 v3, v3
	s_barrier
	v_readfirstlane_b32 s40, v3
	s_mul_i32 s6, s6, s40
	s_mul_hi_u32 s6, s40, s6
	s_add_i32 s40, s40, s6
	s_cmp_lt_i32 s3, 0
	s_mul_hi_u32 s12, s9, s40
	s_cbranch_scc0 .LBB3_6
; %bb.5:
	s_mul_i32 s6, s16, s30
	s_add_i32 s6, s8, s6
	s_mul_i32 s6, s6, s3
	s_sub_i32 s41, 1, s6
	s_mov_b64 s[6:7], 0
	s_branch .LBB3_7
.LBB3_6:
	s_mov_b64 s[6:7], -1
                                        ; implicit-def: $sgpr41
.LBB3_7:
	s_load_dwordx2 s[24:25], s[0:1], 0x28
	s_ashr_i32 s15, s11, 31
	s_andn2_b64 vcc, exec, s[6:7]
	s_ashr_i32 s19, s19, 31
	s_cbranch_vccnz .LBB3_9
; %bb.8:
	s_mul_i32 s6, s5, s16
	s_add_i32 s2, s6, s2
	s_mul_i32 s2, s2, s3
	s_add_i32 s41, s2, 1
.LBB3_9:
	s_load_dword s2, s[0:1], 0x38
	s_load_dwordx2 s[22:23], s[0:1], 0x0
	s_load_dwordx2 s[28:29], s[0:1], 0x18
	s_load_dword s11, s[0:1], 0x88
	s_xor_b32 s3, s15, s19
	s_waitcnt lgkmcnt(0)
	s_mul_i32 s26, s10, s2
	s_mul_i32 s2, s12, s21
	s_sub_i32 s2, s9, s2
	s_ashr_i32 s27, s26, 31
	s_add_i32 s6, s12, 1
	s_sub_i32 s7, s2, s21
	s_cmp_ge_u32 s2, s21
	s_cselect_b32 s6, s6, s12
	s_cselect_b32 s2, s7, s2
	s_add_i32 s7, s6, 1
	s_cmp_ge_u32 s2, s21
	s_cselect_b32 s2, s7, s6
	s_xor_b32 s2, s2, s3
	s_sub_i32 s12, s2, s3
	s_add_i32 s2, s33, 7
	s_ashr_i32 s3, s2, 31
	s_lshr_b32 s3, s3, 29
	s_add_i32 s2, s2, s3
	s_ashr_i32 s16, s2, 3
	v_lshrrev_b32_e32 v21, 6, v0
	v_cmp_gt_i32_e64 s[2:3], s16, v21
	v_mov_b32_e32 v12, 0xff7fffff
	s_mul_i32 s14, s8, s14
	v_lshrrev_b32_e32 v7, 4, v0
	v_lshlrev_b32_e32 v26, 3, v21
	v_mbcnt_lo_u32_b32 v8, -1, 0
	s_and_saveexec_b64 s[34:35], s[2:3]
	s_cbranch_execz .LBB3_19
; %bb.10:
	s_load_dwordx2 s[0:1], s[0:1], 0x10
	s_ashr_i32 s15, s14, 31
	s_sub_i32 s30, s12, s17
	s_lshl_b64 s[6:7], s[14:15], 2
	v_bfe_u32 v9, v0, 3, 3
	s_waitcnt lgkmcnt(0)
	s_add_u32 s0, s0, s6
	s_addc_u32 s1, s1, s7
	s_abs_i32 s15, s18
	v_cvt_f32_u32_e32 v3, s15
	v_lshlrev_b32_e32 v4, 4, v9
	v_mov_b32_e32 v5, 0
	v_lshl_add_u64 v[10:11], s[0:1], 0, v[4:5]
	v_rcp_iflag_f32_e32 v3, v3
	v_and_b32_e32 v4, 3, v0
	v_lshlrev_b32_e32 v4, 2, v4
	s_sub_i32 s6, 0, s15
	v_mul_f32_e32 v3, 0x4f7ffffe, v3
	v_cvt_u32_f32_e32 v3, v3
	v_cmp_eq_u32_e32 vcc, 0, v2
	v_lshl_add_u64 v[12:13], v[10:11], 0, v[4:5]
	v_mul_u32_u24_e32 v10, 48, v2
	v_mul_lo_u32 v2, s6, v3
	v_mul_hi_u32 v2, v3, v2
	v_add_u32_e32 v11, v3, v2
	v_lshlrev_b32_e32 v2, 5, v0
	v_lshlrev_b32_e32 v14, 2, v9
	v_and_b32_e32 v4, 0x80, v2
	v_lshl_add_u64 v[2:3], v[12:13], 0, v[4:5]
	s_lshl_b64 s[6:7], s[26:27], 2
	v_lshl_or_b32 v12, v21, 5, v14
	s_add_u32 s6, s24, s6
	v_add_u32_e32 v14, 0x190, v12
	v_subrev_u32_e32 v12, s33, v9
	v_mbcnt_hi_u32_b32 v17, -1, v8
	v_and_b32_e32 v4, 60, v7
	s_addc_u32 s7, s25, s7
	v_add_u32_e32 v15, 1, v12
	v_and_b32_e32 v12, 64, v17
	s_mov_b32 s43, s13
	v_cmp_neq_f32_e64 s[0:1], s42, 0
	v_lshl_add_u64 v[4:5], s[6:7], 0, v[4:5]
	v_lshlrev_b32_e32 v13, 3, v21
	s_mov_b64 s[36:37], 0
	v_mov_b32_e32 v16, 0xff7fffff
	v_add_u32_e32 v18, 64, v12
	v_xor_b32_e32 v19, 4, v17
	v_xor_b32_e32 v20, 2, v17
	;; [unrolled: 1-line block ×3, first 2 shown]
	v_mov_b32_e32 v12, 0xff7fffff
	v_mov_b32_e32 v23, v21
	s_branch .LBB3_13
.LBB3_11:                               ;   in Loop: Header=BB3_13 Depth=1
	s_or_b64 exec, exec, s[38:39]
.LBB3_12:                               ;   in Loop: Header=BB3_13 Depth=1
	s_or_b64 exec, exec, s[8:9]
	v_add_u32_e32 v23, 2, v23
	v_cmp_le_i32_e64 s[6:7], s16, v23
	v_lshl_add_u64 v[4:5], v[4:5], 0, 8
	v_add_u32_e32 v13, 16, v13
	s_or_b64 s[36:37], s[6:7], s[36:37]
	v_add_u32_e32 v14, 64, v14
	s_andn2_b64 exec, exec, s[36:37]
	s_cbranch_execz .LBB3_18
.LBB3_13:                               ; =>This Inner Loop Header: Depth=1
	v_mul_hi_u32 v24, v13, s40
	s_waitcnt lgkmcnt(0)
	v_mul_lo_u32 v25, v24, s21
	v_sub_u32_e32 v25, v13, v25
	v_add_u32_e32 v27, 1, v24
	v_cmp_le_u32_e64 s[6:7], s21, v25
	s_nop 1
	v_cndmask_b32_e64 v24, v24, v27, s[6:7]
	v_subrev_u32_e32 v27, s21, v25
	v_cndmask_b32_e64 v25, v25, v27, s[6:7]
	v_add_u32_e32 v27, 1, v24
	v_cmp_le_u32_e64 s[6:7], s21, v25
	s_nop 1
	v_cndmask_b32_e64 v24, v24, v27, s[6:7]
	v_xor_b32_e32 v24, s19, v24
	v_subrev_u32_e32 v24, s19, v24
	v_add_u32_e32 v25, s41, v24
	v_sub_u32_e32 v28, 0, v25
	v_ashrrev_i32_e32 v27, 31, v25
	v_max_i32_e32 v25, v25, v28
	v_mul_hi_u32 v28, v25, v11
	v_mul_lo_u32 v28, v28, s15
	v_sub_u32_e32 v25, v25, v28
	v_subrev_u32_e32 v28, s15, v25
	v_cmp_le_u32_e64 s[6:7], s15, v25
	v_cmp_ge_i32_e64 s[8:9], s30, v24
	s_nop 0
	v_cndmask_b32_e64 v25, v25, v28, s[6:7]
	v_subrev_u32_e32 v28, s15, v25
	v_cmp_le_u32_e64 s[6:7], s15, v25
	s_nop 1
	v_cndmask_b32_e64 v25, v25, v28, s[6:7]
	v_xor_b32_e32 v25, v25, v27
	v_sub_u32_e32 v25, v25, v27
	v_cmp_ne_u32_e64 s[6:7], 0, v25
	s_and_b64 s[6:7], s[6:7], s[8:9]
	s_and_b64 s[38:39], vcc, s[6:7]
	s_and_saveexec_b64 s[8:9], s[38:39]
	s_cbranch_execz .LBB3_15
; %bb.14:                               ;   in Loop: Header=BB3_13 Depth=1
	ds_write_b32 v14, v16
.LBB3_15:                               ;   in Loop: Header=BB3_13 Depth=1
	s_or_b64 exec, exec, s[8:9]
	s_xor_b64 s[6:7], s[6:7], -1
	s_and_saveexec_b64 s[8:9], s[6:7]
	s_cbranch_execz .LBB3_12
; %bb.16:                               ;   in Loop: Header=BB3_13 Depth=1
	global_load_dword v24, v[4:5], off
	s_waitcnt vmcnt(0)
	v_mad_i64_i32 v[24:25], s[6:7], v24, s43, 0
	v_lshl_add_u64 v[24:25], v[24:25], 2, v[2:3]
	global_load_dword v27, v[24:25], off offset:256
	global_load_dword v40, v[24:25], off
	global_load_dword v41, v[24:25], off offset:512
	global_load_dword v42, v[24:25], off offset:768
	;; [unrolled: 1-line block ×10, first 2 shown]
	ds_read_b128 v[28:31], v10
	ds_read_b128 v[32:35], v10 offset:16
	ds_read_b128 v[36:39], v10 offset:32
	v_cmp_lt_i32_e64 s[6:7], v19, v18
	s_waitcnt vmcnt(11) lgkmcnt(2)
	v_mul_f32_e32 v25, v29, v27
	s_waitcnt vmcnt(10)
	v_fmac_f32_e32 v25, v28, v40
	s_waitcnt vmcnt(9)
	v_fmac_f32_e32 v25, v30, v41
	;; [unrolled: 2-line block ×3, first 2 shown]
	s_waitcnt vmcnt(7) lgkmcnt(1)
	v_fmac_f32_e32 v25, v32, v43
	s_waitcnt vmcnt(6)
	v_fmac_f32_e32 v25, v33, v44
	s_waitcnt vmcnt(5)
	;; [unrolled: 2-line block ×3, first 2 shown]
	v_fmac_f32_e32 v25, v35, v46
	s_waitcnt vmcnt(3) lgkmcnt(0)
	v_fmac_f32_e32 v25, v36, v47
	s_waitcnt vmcnt(2)
	v_fmac_f32_e32 v25, v37, v48
	v_cndmask_b32_e64 v24, v17, v19, s[6:7]
	s_waitcnt vmcnt(1)
	v_fmac_f32_e32 v25, v38, v49
	v_lshlrev_b32_e32 v24, 2, v24
	s_waitcnt vmcnt(0)
	v_fmac_f32_e32 v25, v39, v50
	ds_bpermute_b32 v24, v24, v25
	v_cmp_lt_i32_e64 s[6:7], v20, v18
	s_waitcnt lgkmcnt(0)
	v_add_f32_e32 v24, v25, v24
	v_cndmask_b32_e64 v27, v17, v20, s[6:7]
	v_lshlrev_b32_e32 v27, 2, v27
	ds_bpermute_b32 v25, v27, v24
	v_cmp_lt_i32_e64 s[6:7], v22, v18
	s_waitcnt lgkmcnt(0)
	v_add_f32_e32 v24, v24, v25
	v_cndmask_b32_e64 v27, v17, v22, s[6:7]
	v_lshlrev_b32_e32 v27, 2, v27
	ds_bpermute_b32 v25, v27, v24
	s_and_saveexec_b64 s[38:39], vcc
	s_cbranch_execz .LBB3_11
; %bb.17:                               ;   in Loop: Header=BB3_13 Depth=1
	v_add_u32_e32 v27, v15, v13
	v_cvt_f32_i32_e32 v27, v27
	s_waitcnt lgkmcnt(0)
	v_add_f32_e32 v24, v24, v25
	v_add_u32_e32 v28, v9, v13
	v_cmp_gt_i32_e64 s[6:7], s33, v28
	v_mul_f32_e32 v25, s42, v27
	v_cndmask_b32_e64 v25, 0, v25, s[0:1]
	v_fmac_f32_e32 v25, s31, v24
	v_cndmask_b32_e64 v24, 0, v25, s[6:7]
	ds_write_b32 v14, v24
	v_max_f32_e32 v24, v12, v12
	v_max_f32_e32 v24, v24, v25
	v_cndmask_b32_e64 v12, v12, v24, s[6:7]
	s_branch .LBB3_11
.LBB3_18:
	s_or_b64 exec, exec, s[36:37]
.LBB3_19:
	s_or_b64 exec, exec, s[34:35]
	v_mbcnt_hi_u32_b32 v2, -1, v8
	v_and_b32_e32 v3, 64, v2
	v_add_u32_e32 v3, 64, v3
	v_xor_b32_e32 v4, 32, v2
	v_cmp_lt_i32_e32 vcc, v4, v3
	v_xor_b32_e32 v9, 16, v2
	v_max_f32_e32 v8, v12, v12
	v_cndmask_b32_e32 v4, v2, v4, vcc
	v_lshlrev_b32_e32 v5, 2, v4
	ds_bpermute_b32 v4, v5, v12
	v_cmp_lt_i32_e32 vcc, v9, v3
	v_xor_b32_e32 v10, 8, v2
	v_and_b32_e32 v27, 63, v0
	s_waitcnt lgkmcnt(0)
	v_max_f32_e32 v4, v4, v4
	v_max_f32_e32 v4, v8, v4
	v_cndmask_b32_e32 v8, v2, v9, vcc
	v_lshlrev_b32_e32 v9, 2, v8
	ds_bpermute_b32 v8, v9, v4
	v_cmp_lt_i32_e32 vcc, v10, v3
	s_waitcnt lgkmcnt(0)
	v_max_f32_e32 v8, v8, v8
	v_max_f32_e32 v8, v4, v8
	v_cndmask_b32_e32 v4, v2, v10, vcc
	v_lshlrev_b32_e32 v10, 2, v4
	ds_bpermute_b32 v11, v10, v8
	v_cmp_eq_u32_e32 vcc, 0, v27
	v_lshlrev_b32_e32 v4, 2, v21
	s_and_saveexec_b64 s[0:1], vcc
	s_cbranch_execz .LBB3_21
; %bb.20:
	s_waitcnt lgkmcnt(0)
	v_max_f32_e32 v11, v11, v11
	v_max_f32_e32 v8, v8, v8
	;; [unrolled: 1-line block ×3, first 2 shown]
	ds_write_b32 v4, v8 offset:384
.LBB3_21:
	s_or_b64 exec, exec, s[0:1]
	v_cmp_gt_u32_e64 s[0:1], 2, v27
	s_waitcnt lgkmcnt(0)
	v_mov_b32_e32 v11, 0xff7fffff
	v_lshlrev_b32_e32 v8, 2, v27
	s_barrier
	s_and_saveexec_b64 s[6:7], s[0:1]
	s_cbranch_execz .LBB3_23
; %bb.22:
	ds_read_b32 v11, v8 offset:384
.LBB3_23:
	s_or_b64 exec, exec, s[6:7]
	v_xor_b32_e32 v12, 1, v2
	v_cmp_lt_i32_e64 s[6:7], v12, v3
	v_lshlrev_b32_e32 v13, 2, v2
	s_nop 0
	v_cndmask_b32_e64 v12, v2, v12, s[6:7]
	v_lshlrev_b32_e32 v28, 2, v12
	s_waitcnt lgkmcnt(0)
	ds_bpermute_b32 v12, v28, v11
	v_max_f32_e32 v11, v11, v11
	s_lshl_b32 s6, s16, 3
	s_min_i32 s15, s6, s33
	v_cmp_gt_i32_e64 s[6:7], s15, v0
	s_waitcnt lgkmcnt(0)
	v_max_f32_e32 v12, v12, v12
	v_max_f32_e32 v12, v11, v12
	v_and_b32_e32 v11, 0x100, v13
	ds_bpermute_b32 v13, v11, v12
	v_mov_b32_e32 v12, 0
	s_and_saveexec_b64 s[30:31], s[6:7]
	s_cbranch_execz .LBB3_27
; %bb.24:
	v_mov_b32_e32 v12, 0x190
	v_lshl_add_u32 v14, v0, 2, v12
	s_mov_b64 s[34:35], 0
	v_mov_b32_e32 v12, 0
	v_mov_b32_e32 v15, v0
.LBB3_25:                               ; =>This Inner Loop Header: Depth=1
	ds_read_b32 v16, v14
	v_add_u32_e32 v15, 0x80, v15
	v_cmp_le_i32_e64 s[8:9], s15, v15
	s_or_b64 s[34:35], s[8:9], s[34:35]
	s_waitcnt lgkmcnt(0)
	v_sub_f32_e32 v16, v16, v13
	v_mul_f32_e32 v16, 0x3fb8aa3b, v16
	v_exp_f32_e32 v16, v16
	ds_write_b32 v14, v16
	v_add_f32_e32 v12, v12, v16
	v_add_u32_e32 v14, 0x200, v14
	s_andn2_b64 exec, exec, s[34:35]
	s_cbranch_execnz .LBB3_25
; %bb.26:
	s_or_b64 exec, exec, s[34:35]
.LBB3_27:
	s_or_b64 exec, exec, s[30:31]
	ds_bpermute_b32 v5, v5, v12
	s_waitcnt lgkmcnt(0)
	v_add_f32_e32 v5, v12, v5
	ds_bpermute_b32 v9, v9, v5
	s_waitcnt lgkmcnt(0)
	v_add_f32_e32 v5, v5, v9
	ds_bpermute_b32 v9, v10, v5
	v_xor_b32_e32 v10, 4, v2
	v_cmp_lt_i32_e64 s[8:9], v10, v3
	s_waitcnt lgkmcnt(0)
	v_add_f32_e32 v5, v5, v9
	v_cndmask_b32_e64 v10, v2, v10, s[8:9]
	v_lshlrev_b32_e32 v10, 2, v10
	ds_bpermute_b32 v9, v10, v5
	v_xor_b32_e32 v10, 2, v2
	v_cmp_lt_i32_e64 s[8:9], v10, v3
	s_waitcnt lgkmcnt(0)
	v_add_f32_e32 v3, v5, v9
	v_cndmask_b32_e64 v2, v2, v10, s[8:9]
	v_lshlrev_b32_e32 v2, 2, v2
	ds_bpermute_b32 v2, v2, v3
	s_waitcnt lgkmcnt(0)
	v_add_f32_e32 v2, v3, v2
	ds_bpermute_b32 v3, v28, v2
	s_waitcnt lgkmcnt(0)
	v_add_f32_e32 v2, v2, v3
	s_and_saveexec_b64 s[8:9], vcc
	s_cbranch_execz .LBB3_29
; %bb.28:
	ds_write_b32 v4, v2 offset:392
.LBB3_29:
	s_or_b64 exec, exec, s[8:9]
	s_waitcnt lgkmcnt(0)
	s_barrier
	s_and_saveexec_b64 s[8:9], s[0:1]
	s_cbranch_execz .LBB3_31
; %bb.30:
	ds_read_b32 v2, v8 offset:392
.LBB3_31:
	s_or_b64 exec, exec, s[8:9]
	s_waitcnt lgkmcnt(0)
	ds_bpermute_b32 v3, v28, v2
	s_waitcnt lgkmcnt(0)
	v_add_f32_e32 v2, v2, v3
	ds_bpermute_b32 v2, v11, v2
	s_and_saveexec_b64 s[0:1], s[6:7]
	s_cbranch_execz .LBB3_44
; %bb.32:
	s_waitcnt lgkmcnt(0)
	v_add_f32_e32 v2, 0x358637bd, v2
	v_div_scale_f32 v3, s[6:7], v2, v2, 1.0
	v_rcp_f32_e32 v4, v3
	v_div_scale_f32 v5, vcc, 1.0, v2, 1.0
	s_movk_i32 s6, 0x7f
	v_fma_f32 v8, -v3, v4, 1.0
	v_fmac_f32_e32 v4, v8, v4
	v_mul_f32_e32 v8, v5, v4
	v_fma_f32 v9, -v3, v8, v5
	v_fmac_f32_e32 v8, v9, v4
	v_fma_f32 v3, -v3, v8, v5
	v_div_fmas_f32 v3, v3, v4, v8
	v_xad_u32 v4, v0, -1, s15
	v_div_fixup_f32 v2, v3, v2, 1.0
	v_cmp_lt_u32_e32 vcc, s6, v4
	s_mov_b64 s[8:9], -1
	v_mov_b32_e32 v3, v0
	s_and_saveexec_b64 s[6:7], vcc
	s_cbranch_execz .LBB3_41
; %bb.33:
	v_lshrrev_b32_e32 v4, 7, v4
	v_add_u32_e32 v8, -1, v4
	v_lshrrev_b32_e32 v5, 1, v8
	v_mov_b32_e32 v3, v2
	v_add_u32_e32 v5, 1, v5
	v_cmp_lt_u32_e32 vcc, 13, v8
	v_mov_b32_e32 v10, 0
	s_and_saveexec_b64 s[8:9], vcc
	s_cbranch_execz .LBB3_37
; %bb.34:
	v_mov_b32_e32 v9, 0x190
	v_and_b32_e32 v8, -8, v5
	v_lshl_add_u32 v9, v0, 2, v9
	s_mov_b32 s34, 0
	s_mov_b64 s[30:31], 0
.LBB3_35:                               ; =>This Inner Loop Header: Depth=1
	ds_read2st64_b32 v[10:11], v9 offset1:2
	ds_read2st64_b32 v[12:13], v9 offset0:4 offset1:6
	ds_read2st64_b32 v[14:15], v9 offset0:8 offset1:10
	;; [unrolled: 1-line block ×3, first 2 shown]
	v_add_u32_e32 v8, -8, v8
	s_waitcnt lgkmcnt(3)
	v_pk_mul_f32 v[10:11], v[2:3], v[10:11]
	s_waitcnt lgkmcnt(2)
	v_pk_mul_f32 v[12:13], v[2:3], v[12:13]
	ds_write2st64_b32 v9, v10, v11 offset1:2
	ds_write2st64_b32 v9, v12, v13 offset0:4 offset1:6
	ds_read2st64_b32 v[12:13], v9 offset0:16 offset1:18
	s_waitcnt lgkmcnt(4)
	v_pk_mul_f32 v[10:11], v[2:3], v[14:15]
	ds_write2st64_b32 v9, v10, v11 offset0:8 offset1:10
	s_waitcnt lgkmcnt(4)
	v_pk_mul_f32 v[10:11], v[2:3], v[16:17]
	ds_write2st64_b32 v9, v10, v11 offset0:12 offset1:14
	ds_read2st64_b32 v[10:11], v9 offset0:20 offset1:22
	s_waitcnt lgkmcnt(3)
	v_pk_mul_f32 v[12:13], v[2:3], v[12:13]
	ds_read2st64_b32 v[14:15], v9 offset0:24 offset1:26
	ds_write2st64_b32 v9, v12, v13 offset0:16 offset1:18
	ds_read2st64_b32 v[12:13], v9 offset0:28 offset1:30
	s_waitcnt lgkmcnt(3)
	v_pk_mul_f32 v[10:11], v[2:3], v[10:11]
	ds_write2st64_b32 v9, v10, v11 offset0:20 offset1:22
	s_waitcnt lgkmcnt(3)
	v_pk_mul_f32 v[10:11], v[2:3], v[14:15]
	ds_write2st64_b32 v9, v10, v11 offset0:24 offset1:26
	s_waitcnt lgkmcnt(2)
	v_pk_mul_f32 v[10:11], v[2:3], v[12:13]
	s_add_i32 s34, s34, 16
	v_cmp_eq_u32_e32 vcc, 0, v8
	ds_write2st64_b32 v9, v10, v11 offset0:28 offset1:30
	v_add_u32_e32 v9, 0x2000, v9
	s_or_b64 s[30:31], vcc, s[30:31]
	v_mov_b32_e32 v10, s34
	s_andn2_b64 exec, exec, s[30:31]
	s_cbranch_execnz .LBB3_35
; %bb.36:
	s_or_b64 exec, exec, s[30:31]
.LBB3_37:
	s_or_b64 exec, exec, s[8:9]
	v_and_b32_e32 v5, 7, v5
	v_cmp_ne_u32_e32 vcc, 0, v5
	s_and_saveexec_b64 s[8:9], vcc
	s_cbranch_execz .LBB3_40
; %bb.38:
	v_lshlrev_b32_e32 v8, 9, v10
	s_movk_i32 s30, 0x190
	v_add3_u32 v8, v8, v6, s30
	s_mov_b64 s[30:31], 0
.LBB3_39:                               ; =>This Inner Loop Header: Depth=1
	ds_read2st64_b32 v[10:11], v8 offset1:2
	v_add_u32_e32 v5, -1, v5
	v_cmp_eq_u32_e32 vcc, 0, v5
	s_or_b64 s[30:31], vcc, s[30:31]
	s_waitcnt lgkmcnt(0)
	v_pk_mul_f32 v[10:11], v[2:3], v[10:11]
	ds_write2st64_b32 v8, v10, v11 offset1:2
	v_add_u32_e32 v8, 0x400, v8
	s_andn2_b64 exec, exec, s[30:31]
	s_cbranch_execnz .LBB3_39
.LBB3_40:
	s_or_b64 exec, exec, s[8:9]
	v_add_u32_e32 v4, 1, v4
	v_and_b32_e32 v5, 0x3fffffe, v4
	v_cmp_ne_u32_e32 vcc, v4, v5
	v_lshl_add_u32 v3, v5, 7, v0
	s_orn2_b64 s[8:9], vcc, exec
.LBB3_41:
	s_or_b64 exec, exec, s[6:7]
	s_and_b64 exec, exec, s[8:9]
	s_cbranch_execz .LBB3_44
; %bb.42:
	v_mov_b32_e32 v4, 0x190
	v_lshl_add_u32 v4, v3, 2, v4
	s_mov_b64 s[6:7], 0
.LBB3_43:                               ; =>This Inner Loop Header: Depth=1
	ds_read_b32 v5, v4
	v_add_u32_e32 v3, 0x80, v3
	v_cmp_le_i32_e32 vcc, s15, v3
	s_or_b64 s[6:7], vcc, s[6:7]
	s_waitcnt lgkmcnt(0)
	v_mul_f32_e32 v5, v2, v5
	ds_write_b32 v4, v5
	v_add_u32_e32 v4, 0x200, v4
	s_andn2_b64 exec, exec, s[6:7]
	s_cbranch_execnz .LBB3_43
.LBB3_44:
	s_or_b64 exec, exec, s[0:1]
	v_mov_b32_e32 v20, 0
	v_and_b32_e32 v29, 1, v0
	v_mov_b32_e32 v19, 0
	v_mov_b32_e32 v18, 0
	s_waitcnt lgkmcnt(0)
	s_barrier
	s_and_saveexec_b64 s[6:7], s[2:3]
	s_cbranch_execz .LBB3_56
; %bb.45:
	s_ashr_i32 s15, s14, 31
	s_sub_i32 s17, s12, s17
	s_lshl_b64 s[0:1], s[14:15], 2
	s_add_u32 s0, s28, s0
	s_addc_u32 s1, s29, s1
	s_abs_i32 s14, s18
	v_cvt_f32_u32_e32 v2, s14
	s_sub_i32 s2, 0, s14
	v_lshlrev_b32_e32 v4, 4, v0
	v_mov_b32_e32 v3, 0
	v_rcp_iflag_f32_e32 v2, v2
	s_add_i32 s18, s16, -1
	s_mov_b32 s28, 0
	s_mov_b32 s29, s28
	v_mul_f32_e32 v2, 0x4f7ffffe, v2
	v_cvt_u32_f32_e32 v2, v2
	s_mov_b32 s30, s28
	v_mov_b32_e32 v18, s28
	v_and_b32_e32 v30, 4, v6
	v_mul_lo_u32 v5, s2, v2
	v_mul_hi_u32 v5, v2, v5
	v_add_u32_e32 v31, v2, v5
	v_and_b32_e32 v2, 0x3f0, v4
	v_lshl_add_u64 v[22:23], s[0:1], 0, v[2:3]
	s_lshl_b64 s[0:1], s[26:27], 2
	s_add_u32 s0, s24, s0
	v_and_b32_e32 v2, 60, v7
	s_addc_u32 s1, s25, s1
	v_lshl_add_u64 v[24:25], s[0:1], 0, v[2:3]
	v_lshlrev_b32_e32 v2, 4, v29
	v_lshl_or_b32 v2, v21, 5, v2
	s_mov_b32 s15, s13
	v_add_u32_e32 v32, 0x190, v2
	s_mov_b64 s[2:3], 0
	v_mov_b32_e32 v19, s29
	v_mov_b32_e32 v20, s30
	s_branch .LBB3_48
.LBB3_46:                               ;   in Loop: Header=BB3_48 Depth=1
	s_or_b64 exec, exec, s[0:1]
	s_waitcnt vmcnt(2) lgkmcnt(0)
	v_mul_f32_e32 v7, v3, v7
	v_fmac_f32_e32 v7, v2, v6
	s_waitcnt vmcnt(1)
	v_mul_f32_e32 v6, v3, v11
	s_waitcnt vmcnt(0)
	v_mul_f32_e32 v3, v3, v15
	v_fmac_f32_e32 v6, v2, v10
	v_fmac_f32_e32 v3, v2, v14
	v_fmac_f32_e32 v7, v4, v8
	v_fmac_f32_e32 v6, v4, v12
	v_fmac_f32_e32 v3, v4, v16
	v_fmac_f32_e32 v7, v5, v9
	v_fmac_f32_e32 v6, v5, v13
	v_fmac_f32_e32 v3, v5, v17
	v_add_f32_e32 v18, v18, v7
	v_add_f32_e32 v19, v19, v6
	;; [unrolled: 1-line block ×3, first 2 shown]
.LBB3_47:                               ;   in Loop: Header=BB3_48 Depth=1
	s_or_b64 exec, exec, s[8:9]
	v_add_u32_e32 v21, 2, v21
	v_cmp_le_i32_e32 vcc, s16, v21
	v_lshl_add_u64 v[24:25], v[24:25], 0, 8
	v_add_u32_e32 v26, 16, v26
	s_or_b64 s[2:3], vcc, s[2:3]
	v_add_u32_e32 v32, 64, v32
	s_andn2_b64 exec, exec, s[2:3]
	s_cbranch_execz .LBB3_55
.LBB3_48:                               ; =>This Inner Loop Header: Depth=1
	v_mul_hi_u32 v2, v26, s40
	v_mul_lo_u32 v3, v2, s21
	v_sub_u32_e32 v3, v26, v3
	v_add_u32_e32 v4, 1, v2
	v_cmp_le_u32_e32 vcc, s21, v3
	s_nop 1
	v_cndmask_b32_e32 v2, v2, v4, vcc
	v_subrev_u32_e32 v4, s21, v3
	v_cndmask_b32_e32 v3, v3, v4, vcc
	v_add_u32_e32 v4, 1, v2
	v_cmp_le_u32_e32 vcc, s21, v3
	s_nop 1
	v_cndmask_b32_e32 v2, v2, v4, vcc
	v_xor_b32_e32 v2, s19, v2
	v_subrev_u32_e32 v2, s19, v2
	v_add_u32_e32 v3, s41, v2
	v_sub_u32_e32 v5, 0, v3
	v_ashrrev_i32_e32 v4, 31, v3
	v_max_i32_e32 v3, v3, v5
	v_mul_hi_u32 v5, v3, v31
	v_mul_lo_u32 v5, v5, s14
	v_sub_u32_e32 v3, v3, v5
	v_subrev_u32_e32 v5, s14, v3
	v_cmp_le_u32_e32 vcc, s14, v3
	v_cmp_lt_i32_e64 s[0:1], s17, v2
	s_nop 0
	v_cndmask_b32_e32 v3, v3, v5, vcc
	v_subrev_u32_e32 v5, s14, v3
	v_cmp_le_u32_e32 vcc, s14, v3
	s_nop 1
	v_cndmask_b32_e32 v3, v3, v5, vcc
	v_xor_b32_e32 v3, v3, v4
	v_sub_u32_e32 v3, v3, v4
	v_cmp_eq_u32_e32 vcc, 0, v3
	s_or_b64 s[0:1], vcc, s[0:1]
	s_and_saveexec_b64 s[8:9], s[0:1]
	s_cbranch_execz .LBB3_47
; %bb.49:                               ;   in Loop: Header=BB3_48 Depth=1
	global_load_dword v2, v[24:25], off
	v_add_u32_e32 v33, v30, v26
	v_cmp_eq_u32_e32 vcc, s18, v21
	v_add_u32_e32 v36, 1, v33
	v_add_u32_e32 v35, 2, v33
	;; [unrolled: 1-line block ×3, first 2 shown]
	s_waitcnt vmcnt(0)
	v_mad_i64_i32 v[2:3], s[0:1], v2, s15, 0
	v_lshl_add_u64 v[14:15], v[2:3], 2, v[22:23]
	global_load_dwordx4 v[6:9], v[14:15], off
	ds_read_b128 v[2:5], v32
	s_and_saveexec_b64 s[12:13], vcc
	s_cbranch_execnz .LBB3_52
; %bb.50:                               ;   in Loop: Header=BB3_48 Depth=1
	s_or_b64 exec, exec, s[12:13]
	global_load_dwordx4 v[10:13], v[14:15], off offset:1024
	s_and_saveexec_b64 s[12:13], vcc
	s_cbranch_execnz .LBB3_53
.LBB3_51:                               ;   in Loop: Header=BB3_48 Depth=1
	s_or_b64 exec, exec, s[12:13]
	global_load_dwordx4 v[14:17], v[14:15], off offset:2048
	s_and_saveexec_b64 s[0:1], vcc
	s_cbranch_execz .LBB3_46
	s_branch .LBB3_54
.LBB3_52:                               ;   in Loop: Header=BB3_48 Depth=1
	v_cmp_gt_i32_e64 s[0:1], s33, v33
	s_waitcnt vmcnt(0)
	s_nop 0
	v_cndmask_b32_e64 v6, 0, v6, s[0:1]
	v_cmp_gt_i32_e64 s[0:1], s33, v36
	s_nop 1
	v_cndmask_b32_e64 v7, 0, v7, s[0:1]
	v_cmp_gt_i32_e64 s[0:1], s33, v35
	;; [unrolled: 3-line block ×3, first 2 shown]
	s_nop 1
	v_cndmask_b32_e64 v9, 0, v9, s[0:1]
	s_or_b64 exec, exec, s[12:13]
	global_load_dwordx4 v[10:13], v[14:15], off offset:1024
	s_and_saveexec_b64 s[12:13], vcc
	s_cbranch_execz .LBB3_51
.LBB3_53:                               ;   in Loop: Header=BB3_48 Depth=1
	v_cmp_gt_i32_e64 s[0:1], s33, v33
	s_waitcnt vmcnt(0)
	s_nop 0
	v_cndmask_b32_e64 v10, 0, v10, s[0:1]
	v_cmp_gt_i32_e64 s[0:1], s33, v36
	s_nop 1
	v_cndmask_b32_e64 v11, 0, v11, s[0:1]
	v_cmp_gt_i32_e64 s[0:1], s33, v35
	;; [unrolled: 3-line block ×3, first 2 shown]
	s_nop 1
	v_cndmask_b32_e64 v13, 0, v13, s[0:1]
	s_or_b64 exec, exec, s[12:13]
	global_load_dwordx4 v[14:17], v[14:15], off offset:2048
	s_and_saveexec_b64 s[0:1], vcc
	s_cbranch_execz .LBB3_46
.LBB3_54:                               ;   in Loop: Header=BB3_48 Depth=1
	v_cmp_gt_i32_e32 vcc, s33, v33
	s_waitcnt vmcnt(0)
	s_nop 0
	v_cndmask_b32_e32 v14, 0, v14, vcc
	v_cmp_gt_i32_e32 vcc, s33, v36
	s_nop 1
	v_cndmask_b32_e32 v15, 0, v15, vcc
	v_cmp_gt_i32_e32 vcc, s33, v35
	s_nop 1
	v_cndmask_b32_e32 v16, 0, v16, vcc
	v_cmp_gt_i32_e32 vcc, s33, v34
	s_nop 1
	v_cndmask_b32_e32 v17, 0, v17, vcc
	s_branch .LBB3_46
.LBB3_55:
	s_or_b64 exec, exec, s[2:3]
.LBB3_56:
	s_or_b64 exec, exec, s[6:7]
	ds_bpermute_b32 v2, v28, v18
	ds_bpermute_b32 v3, v28, v19
	ds_bpermute_b32 v4, v28, v20
	v_and_b32_e32 v5, 0x3c1, v0
	v_cmp_eq_u32_e32 vcc, 64, v5
	s_waitcnt lgkmcnt(0)
	v_pk_add_f32 v[2:3], v[18:19], v[2:3]
	v_add_f32_e32 v4, v20, v4
	s_barrier
	s_and_saveexec_b64 s[0:1], vcc
	s_cbranch_execz .LBB3_58
; %bb.57:
	v_mov_b32_e32 v6, 0x190
	v_lshl_add_u32 v6, v27, 1, v6
	ds_write2_b32 v6, v2, v3 offset1:32
	ds_write_b32 v6, v4 offset:256
.LBB3_58:
	s_or_b64 exec, exec, s[0:1]
	v_cmp_gt_u32_e32 vcc, 64, v0
	s_waitcnt lgkmcnt(0)
	s_barrier
	s_and_saveexec_b64 s[0:1], vcc
	s_cbranch_execz .LBB3_64
; %bb.59:
	v_cmp_eq_u32_e32 vcc, 0, v29
	s_and_saveexec_b64 s[2:3], vcc
	s_cbranch_execnz .LBB3_67
; %bb.60:
	s_or_b64 exec, exec, s[2:3]
	s_and_saveexec_b64 s[2:3], vcc
	s_cbranch_execnz .LBB3_68
.LBB3_61:
	s_or_b64 exec, exec, s[2:3]
	s_and_saveexec_b64 s[2:3], vcc
	s_cbranch_execz .LBB3_63
.LBB3_62:
	v_mov_b32_e32 v6, 0x190
	v_lshl_add_u32 v1, v1, 2, v6
	ds_read_b32 v1, v1 offset:256
	s_waitcnt lgkmcnt(0)
	v_add_f32_e32 v4, v4, v1
.LBB3_63:
	s_or_b64 exec, exec, s[2:3]
.LBB3_64:
	s_or_b64 exec, exec, s[0:1]
	v_cmp_eq_u32_e32 vcc, 0, v5
	s_barrier
	s_and_saveexec_b64 s[0:1], vcc
	s_cbranch_execz .LBB3_66
; %bb.65:
	s_mul_i32 s0, s10, s11
	s_mul_i32 s0, s0, s5
	s_mulk_i32 s0, 0x60
	s_ashr_i32 s1, s0, 31
	s_lshl_b64 s[0:1], s[0:1], 2
	s_add_u32 s2, s22, s0
	s_mul_i32 s0, s11, s20
	s_addc_u32 s3, s23, s1
	s_ashr_i32 s1, s0, 31
	s_lshl_b64 s[0:1], s[0:1], 2
	s_add_u32 s2, s2, s0
	s_mul_i32 s0, s4, 0x60
	s_addc_u32 s3, s3, s1
	s_ashr_i32 s1, s0, 31
	s_lshl_b64 s[0:1], s[0:1], 2
	s_add_u32 s0, s2, s0
	s_addc_u32 s1, s3, s1
	v_lshlrev_b32_e32 v0, 1, v0
	global_store_dword v0, v2, s[0:1]
	global_store_dword v0, v3, s[0:1] offset:128
	global_store_dword v0, v4, s[0:1] offset:256
.LBB3_66:
	s_endpgm
.LBB3_67:
	v_mov_b32_e32 v6, 0x190
	v_lshl_add_u32 v6, v1, 2, v6
	ds_read_b32 v6, v6
	s_waitcnt lgkmcnt(0)
	v_add_f32_e32 v2, v2, v6
	s_or_b64 exec, exec, s[2:3]
	s_and_saveexec_b64 s[2:3], vcc
	s_cbranch_execz .LBB3_61
.LBB3_68:
	v_mov_b32_e32 v6, 0x190
	v_lshl_add_u32 v6, v1, 2, v6
	ds_read_b32 v6, v6 offset:128
	s_waitcnt lgkmcnt(0)
	v_add_f32_e32 v3, v3, v6
	s_or_b64 exec, exec, s[2:3]
	s_and_saveexec_b64 s[2:3], vcc
	s_cbranch_execnz .LBB3_62
	s_branch .LBB3_63
	.section	.rodata,"a",@progbits
	.p2align	6, 0x0
	.amdhsa_kernel _ZN4vllm25paged_attention_v1_kernelIffLi96ELi8ELi128ELNS_18Fp8KVCacheDataTypeE0ELb1EEEvPT_PKS2_PKT0_S8_ifPKiSA_iPKfiiiSC_SC_iiiii
		.amdhsa_group_segment_fixed_size 400
		.amdhsa_private_segment_fixed_size 0
		.amdhsa_kernarg_size 384
		.amdhsa_user_sgpr_count 2
		.amdhsa_user_sgpr_dispatch_ptr 0
		.amdhsa_user_sgpr_queue_ptr 0
		.amdhsa_user_sgpr_kernarg_segment_ptr 1
		.amdhsa_user_sgpr_dispatch_id 0
		.amdhsa_user_sgpr_kernarg_preload_length 0
		.amdhsa_user_sgpr_kernarg_preload_offset 0
		.amdhsa_user_sgpr_private_segment_size 0
		.amdhsa_uses_dynamic_stack 0
		.amdhsa_enable_private_segment 0
		.amdhsa_system_sgpr_workgroup_id_x 1
		.amdhsa_system_sgpr_workgroup_id_y 1
		.amdhsa_system_sgpr_workgroup_id_z 1
		.amdhsa_system_sgpr_workgroup_info 0
		.amdhsa_system_vgpr_workitem_id 0
		.amdhsa_next_free_vgpr 51
		.amdhsa_next_free_sgpr 44
		.amdhsa_accum_offset 52
		.amdhsa_reserve_vcc 1
		.amdhsa_float_round_mode_32 0
		.amdhsa_float_round_mode_16_64 0
		.amdhsa_float_denorm_mode_32 3
		.amdhsa_float_denorm_mode_16_64 3
		.amdhsa_dx10_clamp 1
		.amdhsa_ieee_mode 1
		.amdhsa_fp16_overflow 0
		.amdhsa_tg_split 0
		.amdhsa_exception_fp_ieee_invalid_op 0
		.amdhsa_exception_fp_denorm_src 0
		.amdhsa_exception_fp_ieee_div_zero 0
		.amdhsa_exception_fp_ieee_overflow 0
		.amdhsa_exception_fp_ieee_underflow 0
		.amdhsa_exception_fp_ieee_inexact 0
		.amdhsa_exception_int_div_zero 0
	.end_amdhsa_kernel
	.section	.text._ZN4vllm25paged_attention_v1_kernelIffLi96ELi8ELi128ELNS_18Fp8KVCacheDataTypeE0ELb1EEEvPT_PKS2_PKT0_S8_ifPKiSA_iPKfiiiSC_SC_iiiii,"axG",@progbits,_ZN4vllm25paged_attention_v1_kernelIffLi96ELi8ELi128ELNS_18Fp8KVCacheDataTypeE0ELb1EEEvPT_PKS2_PKT0_S8_ifPKiSA_iPKfiiiSC_SC_iiiii,comdat
.Lfunc_end3:
	.size	_ZN4vllm25paged_attention_v1_kernelIffLi96ELi8ELi128ELNS_18Fp8KVCacheDataTypeE0ELb1EEEvPT_PKS2_PKT0_S8_ifPKiSA_iPKfiiiSC_SC_iiiii, .Lfunc_end3-_ZN4vllm25paged_attention_v1_kernelIffLi96ELi8ELi128ELNS_18Fp8KVCacheDataTypeE0ELb1EEEvPT_PKS2_PKT0_S8_ifPKiSA_iPKfiiiSC_SC_iiiii
                                        ; -- End function
	.section	.AMDGPU.csdata,"",@progbits
; Kernel info:
; codeLenInByte = 4400
; NumSgprs: 50
; NumVgprs: 51
; NumAgprs: 0
; TotalNumVgprs: 51
; ScratchSize: 0
; MemoryBound: 0
; FloatMode: 240
; IeeeMode: 1
; LDSByteSize: 400 bytes/workgroup (compile time only)
; SGPRBlocks: 6
; VGPRBlocks: 6
; NumSGPRsForWavesPerEU: 50
; NumVGPRsForWavesPerEU: 51
; AccumOffset: 52
; Occupancy: 8
; WaveLimiterHint : 1
; COMPUTE_PGM_RSRC2:SCRATCH_EN: 0
; COMPUTE_PGM_RSRC2:USER_SGPR: 2
; COMPUTE_PGM_RSRC2:TRAP_HANDLER: 0
; COMPUTE_PGM_RSRC2:TGID_X_EN: 1
; COMPUTE_PGM_RSRC2:TGID_Y_EN: 1
; COMPUTE_PGM_RSRC2:TGID_Z_EN: 1
; COMPUTE_PGM_RSRC2:TIDIG_COMP_CNT: 0
; COMPUTE_PGM_RSRC3_GFX90A:ACCUM_OFFSET: 12
; COMPUTE_PGM_RSRC3_GFX90A:TG_SPLIT: 0
	.section	.text._ZN4vllm25paged_attention_v1_kernelIffLi112ELi8ELi128ELNS_18Fp8KVCacheDataTypeE0ELb1EEEvPT_PKS2_PKT0_S8_ifPKiSA_iPKfiiiSC_SC_iiiii,"axG",@progbits,_ZN4vllm25paged_attention_v1_kernelIffLi112ELi8ELi128ELNS_18Fp8KVCacheDataTypeE0ELb1EEEvPT_PKS2_PKT0_S8_ifPKiSA_iPKfiiiSC_SC_iiiii,comdat
	.protected	_ZN4vllm25paged_attention_v1_kernelIffLi112ELi8ELi128ELNS_18Fp8KVCacheDataTypeE0ELb1EEEvPT_PKS2_PKT0_S8_ifPKiSA_iPKfiiiSC_SC_iiiii ; -- Begin function _ZN4vllm25paged_attention_v1_kernelIffLi112ELi8ELi128ELNS_18Fp8KVCacheDataTypeE0ELb1EEEvPT_PKS2_PKT0_S8_ifPKiSA_iPKfiiiSC_SC_iiiii
	.globl	_ZN4vllm25paged_attention_v1_kernelIffLi112ELi8ELi128ELNS_18Fp8KVCacheDataTypeE0ELb1EEEvPT_PKS2_PKT0_S8_ifPKiSA_iPKfiiiSC_SC_iiiii
	.p2align	8
	.type	_ZN4vllm25paged_attention_v1_kernelIffLi112ELi8ELi128ELNS_18Fp8KVCacheDataTypeE0ELb1EEEvPT_PKS2_PKT0_S8_ifPKiSA_iPKfiiiSC_SC_iiiii,@function
_ZN4vllm25paged_attention_v1_kernelIffLi112ELi8ELi128ELNS_18Fp8KVCacheDataTypeE0ELb1EEEvPT_PKS2_PKT0_S8_ifPKiSA_iPKfiiiSC_SC_iiiii: ; @_ZN4vllm25paged_attention_v1_kernelIffLi112ELi8ELi128ELNS_18Fp8KVCacheDataTypeE0ELb1EEEvPT_PKS2_PKT0_S8_ifPKiSA_iPKfiiiSC_SC_iiiii
; %bb.0:
	s_load_dword s5, s[0:1], 0x80
	s_load_dwordx2 s[6:7], s[0:1], 0x30
	s_load_dwordx2 s[30:31], s[0:1], 0x20
	s_mov_b32 s10, s3
	s_ashr_i32 s11, s3, 31
	s_lshl_b64 s[8:9], s[10:11], 2
	s_waitcnt lgkmcnt(0)
	s_add_u32 s6, s6, s8
	s_addc_u32 s7, s7, s9
	s_abs_i32 s3, s30
	v_cvt_f32_u32_e32 v1, s3
	s_sub_i32 s11, 0, s3
	s_abs_i32 s9, s5
	s_xor_b32 s8, s5, s30
	v_rcp_iflag_f32_e32 v1, v1
	s_ashr_i32 s8, s8, 31
	s_mov_b32 s43, 0
	v_mul_f32_e32 v1, 0x4f7ffffe, v1
	v_cvt_u32_f32_e32 v1, v1
	s_nop 0
	v_readfirstlane_b32 s12, v1
	s_mul_i32 s11, s11, s12
	s_mul_hi_u32 s11, s12, s11
	s_add_i32 s12, s12, s11
	s_mul_hi_u32 s11, s9, s12
	s_mul_i32 s12, s11, s3
	s_sub_i32 s9, s9, s12
	s_add_i32 s12, s11, 1
	s_sub_i32 s13, s9, s3
	s_cmp_ge_u32 s9, s3
	s_cselect_b32 s11, s12, s11
	s_cselect_b32 s9, s13, s9
	s_add_i32 s12, s11, 1
	s_cmp_ge_u32 s9, s3
	s_cselect_b32 s3, s12, s11
	s_xor_b32 s3, s3, s8
	s_sub_i32 s12, s3, s8
	s_abs_i32 s11, s12
	v_cvt_f32_u32_e32 v1, s11
	s_load_dwordx2 s[8:9], s[0:1], 0x40
	s_sub_i32 s3, 0, s11
	s_abs_i32 s22, s2
	v_rcp_iflag_f32_e32 v1, v1
	s_nop 0
	v_mul_f32_e32 v1, 0x4f7ffffe, v1
	v_cvt_u32_f32_e32 v1, v1
	s_nop 0
	v_readfirstlane_b32 s13, v1
	s_mul_i32 s3, s3, s13
	s_mul_hi_u32 s3, s13, s3
	s_add_i32 s13, s13, s3
	s_waitcnt lgkmcnt(0)
	s_cmp_eq_u64 s[8:9], 0
	s_mul_hi_u32 s23, s22, s13
	s_cbranch_scc1 .LBB4_2
; %bb.1:
	s_ashr_i32 s3, s2, 31
	s_lshl_b64 s[14:15], s[2:3], 2
	s_add_u32 s8, s8, s14
	s_addc_u32 s9, s9, s15
	s_load_dword s43, s[8:9], 0x0
.LBB4_2:
	s_load_dword s33, s[6:7], 0x0
	s_ashr_i32 s9, s12, 31
	s_load_dwordx4 s[12:15], s[0:1], 0x48
	s_movk_i32 s3, 0x70
	s_ashr_i32 s8, s2, 31
	v_and_b32_e32 v2, 7, v0
	s_mul_i32 s20, s2, 0x70
	v_cmp_gt_u32_e32 vcc, s3, v0
	v_lshlrev_b32_e32 v6, 2, v0
	v_lshrrev_b32_e32 v1, 1, v0
	s_and_saveexec_b64 s[6:7], vcc
	s_cbranch_execz .LBB4_4
; %bb.3:
	s_load_dwordx2 s[16:17], s[0:1], 0x8
	s_waitcnt lgkmcnt(0)
	s_mul_i32 s18, s10, s12
	s_ashr_i32 s19, s18, 31
	s_lshl_b64 s[18:19], s[18:19], 2
	v_and_b32_e32 v4, 0x1fc, v1
	s_add_u32 s3, s16, s18
	s_addc_u32 s12, s17, s19
	s_ashr_i32 s21, s20, 31
	s_lshl_b64 s[16:17], s[20:21], 2
	s_add_u32 s16, s3, s16
	s_addc_u32 s17, s12, s17
	global_load_dword v3, v6, s[16:17]
	v_mad_u32_u24 v4, v2, 56, v4
	s_waitcnt vmcnt(0)
	ds_write_b32 v4, v3
.LBB4_4:
	s_or_b64 exec, exec, s[6:7]
	s_mul_i32 s7, s23, s11
	s_sub_i32 s7, s22, s7
	s_xor_b32 s6, s8, s9
	s_add_i32 s8, s23, 1
	s_sub_i32 s9, s7, s11
	s_load_dwordx4 s[16:19], s[0:1], 0x68
	s_load_dword s3, s[0:1], 0x78
	s_cmp_ge_u32 s7, s11
	s_cselect_b32 s8, s8, s23
	s_cselect_b32 s7, s9, s7
	s_add_i32 s9, s8, 1
	s_cmp_ge_u32 s7, s11
	s_cselect_b32 s7, s9, s8
	s_waitcnt lgkmcnt(0)
	s_abs_i32 s21, s19
	v_cvt_f32_u32_e32 v3, s21
	s_xor_b32 s7, s7, s6
	s_sub_i32 s8, s7, s6
	s_sub_i32 s6, 0, s21
	v_rcp_iflag_f32_e32 v3, v3
	s_add_i32 s11, s33, -1
	s_abs_i32 s9, s11
	v_mul_f32_e32 v3, 0x4f7ffffe, v3
	v_cvt_u32_f32_e32 v3, v3
	s_barrier
	v_readfirstlane_b32 s40, v3
	s_mul_i32 s6, s6, s40
	s_mul_hi_u32 s6, s40, s6
	s_add_i32 s40, s40, s6
	s_cmp_lt_i32 s3, 0
	s_mul_hi_u32 s12, s9, s40
	s_cbranch_scc0 .LBB4_6
; %bb.5:
	s_mul_i32 s6, s16, s30
	s_add_i32 s6, s8, s6
	s_mul_i32 s6, s6, s3
	s_sub_i32 s41, 1, s6
	s_mov_b64 s[6:7], 0
	s_branch .LBB4_7
.LBB4_6:
	s_mov_b64 s[6:7], -1
                                        ; implicit-def: $sgpr41
.LBB4_7:
	s_load_dwordx2 s[24:25], s[0:1], 0x28
	s_ashr_i32 s15, s11, 31
	s_andn2_b64 vcc, exec, s[6:7]
	s_ashr_i32 s19, s19, 31
	s_cbranch_vccnz .LBB4_9
; %bb.8:
	s_mul_i32 s6, s5, s16
	s_add_i32 s2, s6, s2
	s_mul_i32 s2, s2, s3
	s_add_i32 s41, s2, 1
.LBB4_9:
	s_load_dword s2, s[0:1], 0x38
	s_load_dwordx2 s[22:23], s[0:1], 0x0
	s_load_dwordx2 s[28:29], s[0:1], 0x18
	s_load_dword s11, s[0:1], 0x88
	s_xor_b32 s3, s15, s19
	s_waitcnt lgkmcnt(0)
	s_mul_i32 s26, s10, s2
	s_mul_i32 s2, s12, s21
	s_sub_i32 s2, s9, s2
	s_ashr_i32 s27, s26, 31
	s_add_i32 s6, s12, 1
	s_sub_i32 s7, s2, s21
	s_cmp_ge_u32 s2, s21
	s_cselect_b32 s6, s6, s12
	s_cselect_b32 s2, s7, s2
	s_add_i32 s7, s6, 1
	s_cmp_ge_u32 s2, s21
	s_cselect_b32 s2, s7, s6
	s_xor_b32 s2, s2, s3
	s_sub_i32 s12, s2, s3
	s_add_i32 s2, s33, 7
	s_ashr_i32 s3, s2, 31
	s_lshr_b32 s3, s3, 29
	s_add_i32 s2, s2, s3
	s_ashr_i32 s42, s2, 3
	v_lshrrev_b32_e32 v30, 6, v0
	v_cmp_gt_i32_e64 s[2:3], s42, v30
	v_mov_b32_e32 v12, 0xff7fffff
	s_mul_i32 s14, s8, s14
	v_lshrrev_b32_e32 v7, 4, v0
	v_lshlrev_b32_e32 v31, 3, v30
	v_mbcnt_lo_u32_b32 v8, -1, 0
	s_and_saveexec_b64 s[34:35], s[2:3]
	s_cbranch_execz .LBB4_19
; %bb.10:
	s_load_dwordx2 s[0:1], s[0:1], 0x10
	s_ashr_i32 s15, s14, 31
	s_sub_i32 s16, s12, s17
	s_lshl_b64 s[6:7], s[14:15], 2
	v_bfe_u32 v9, v0, 3, 3
	s_waitcnt lgkmcnt(0)
	s_add_u32 s0, s0, s6
	s_addc_u32 s1, s1, s7
	s_abs_i32 s15, s18
	v_cvt_f32_u32_e32 v3, s15
	v_lshlrev_b32_e32 v4, 4, v9
	v_mov_b32_e32 v5, 0
	v_lshl_add_u64 v[10:11], s[0:1], 0, v[4:5]
	v_rcp_iflag_f32_e32 v3, v3
	v_and_b32_e32 v4, 3, v0
	v_lshlrev_b32_e32 v4, 2, v4
	s_sub_i32 s6, 0, s15
	v_mul_f32_e32 v3, 0x4f7ffffe, v3
	v_cvt_u32_f32_e32 v3, v3
	v_cmp_eq_u32_e32 vcc, 0, v2
	v_lshl_add_u64 v[12:13], v[10:11], 0, v[4:5]
	v_mul_u32_u24_e32 v10, 56, v2
	v_mul_lo_u32 v2, s6, v3
	v_mul_hi_u32 v2, v3, v2
	v_add_u32_e32 v11, v3, v2
	v_lshlrev_b32_e32 v2, 5, v0
	v_lshlrev_b32_e32 v14, 2, v9
	v_and_b32_e32 v4, 0x80, v2
	v_lshl_add_u64 v[2:3], v[12:13], 0, v[4:5]
	s_lshl_b64 s[6:7], s[26:27], 2
	v_lshl_or_b32 v12, v30, 5, v14
	s_add_u32 s6, s24, s6
	v_add_u32_e32 v14, 0x1d0, v12
	v_subrev_u32_e32 v12, s33, v9
	v_mbcnt_hi_u32_b32 v17, -1, v8
	v_and_b32_e32 v4, 60, v7
	s_addc_u32 s7, s25, s7
	v_add_u32_e32 v15, 1, v12
	v_and_b32_e32 v12, 64, v17
	s_mov_b32 s30, s13
	v_cmp_neq_f32_e64 s[0:1], s43, 0
	v_lshl_add_u64 v[4:5], s[6:7], 0, v[4:5]
	v_lshlrev_b32_e32 v13, 3, v30
	s_mov_b64 s[36:37], 0
	v_mov_b32_e32 v16, 0xff7fffff
	v_add_u32_e32 v18, 64, v12
	v_xor_b32_e32 v19, 4, v17
	v_xor_b32_e32 v20, 2, v17
	v_xor_b32_e32 v21, 1, v17
	v_mov_b32_e32 v12, 0xff7fffff
	v_mov_b32_e32 v22, v30
	s_branch .LBB4_13
.LBB4_11:                               ;   in Loop: Header=BB4_13 Depth=1
	s_or_b64 exec, exec, s[38:39]
.LBB4_12:                               ;   in Loop: Header=BB4_13 Depth=1
	s_or_b64 exec, exec, s[8:9]
	v_add_u32_e32 v22, 2, v22
	v_cmp_le_i32_e64 s[6:7], s42, v22
	v_lshl_add_u64 v[4:5], v[4:5], 0, 8
	v_add_u32_e32 v13, 16, v13
	s_or_b64 s[36:37], s[6:7], s[36:37]
	v_add_u32_e32 v14, 64, v14
	s_andn2_b64 exec, exec, s[36:37]
	s_cbranch_execz .LBB4_18
.LBB4_13:                               ; =>This Inner Loop Header: Depth=1
	v_mul_hi_u32 v23, v13, s40
	s_waitcnt lgkmcnt(0)
	v_mul_lo_u32 v24, v23, s21
	v_sub_u32_e32 v24, v13, v24
	v_add_u32_e32 v25, 1, v23
	v_cmp_le_u32_e64 s[6:7], s21, v24
	s_nop 1
	v_cndmask_b32_e64 v23, v23, v25, s[6:7]
	v_subrev_u32_e32 v25, s21, v24
	v_cndmask_b32_e64 v24, v24, v25, s[6:7]
	v_add_u32_e32 v25, 1, v23
	v_cmp_le_u32_e64 s[6:7], s21, v24
	s_nop 1
	v_cndmask_b32_e64 v23, v23, v25, s[6:7]
	v_xor_b32_e32 v23, s19, v23
	v_subrev_u32_e32 v23, s19, v23
	v_add_u32_e32 v24, s41, v23
	v_sub_u32_e32 v26, 0, v24
	v_ashrrev_i32_e32 v25, 31, v24
	v_max_i32_e32 v24, v24, v26
	v_mul_hi_u32 v26, v24, v11
	v_mul_lo_u32 v26, v26, s15
	v_sub_u32_e32 v24, v24, v26
	v_subrev_u32_e32 v26, s15, v24
	v_cmp_le_u32_e64 s[6:7], s15, v24
	v_cmp_ge_i32_e64 s[8:9], s16, v23
	s_nop 0
	v_cndmask_b32_e64 v24, v24, v26, s[6:7]
	v_subrev_u32_e32 v26, s15, v24
	v_cmp_le_u32_e64 s[6:7], s15, v24
	s_nop 1
	v_cndmask_b32_e64 v24, v24, v26, s[6:7]
	v_xor_b32_e32 v24, v24, v25
	v_sub_u32_e32 v24, v24, v25
	v_cmp_ne_u32_e64 s[6:7], 0, v24
	s_and_b64 s[6:7], s[6:7], s[8:9]
	s_and_b64 s[38:39], vcc, s[6:7]
	s_and_saveexec_b64 s[8:9], s[38:39]
	s_cbranch_execz .LBB4_15
; %bb.14:                               ;   in Loop: Header=BB4_13 Depth=1
	ds_write_b32 v14, v16
.LBB4_15:                               ;   in Loop: Header=BB4_13 Depth=1
	s_or_b64 exec, exec, s[8:9]
	s_xor_b64 s[6:7], s[6:7], -1
	s_and_saveexec_b64 s[8:9], s[6:7]
	s_cbranch_execz .LBB4_12
; %bb.16:                               ;   in Loop: Header=BB4_13 Depth=1
	global_load_dword v23, v[4:5], off
	s_waitcnt vmcnt(0)
	v_mad_i64_i32 v[24:25], s[6:7], v23, s30, 0
	v_lshl_add_u64 v[24:25], v[24:25], 2, v[2:3]
	global_load_dword v23, v[24:25], off offset:256
	global_load_dword v40, v[24:25], off
	global_load_dword v41, v[24:25], off offset:512
	global_load_dword v42, v[24:25], off offset:768
	;; [unrolled: 1-line block ×12, first 2 shown]
	ds_read2_b64 v[24:27], v10 offset1:1
	ds_read2_b64 v[32:35], v10 offset0:2 offset1:3
	ds_read2_b64 v[36:39], v10 offset0:4 offset1:5
	ds_read_b64 v[28:29], v10 offset:48
	v_cmp_lt_i32_e64 s[6:7], v19, v18
	s_waitcnt vmcnt(13) lgkmcnt(3)
	v_mul_f32_e32 v23, v25, v23
	s_waitcnt vmcnt(12)
	v_fmac_f32_e32 v23, v24, v40
	s_waitcnt vmcnt(11)
	v_fmac_f32_e32 v23, v26, v41
	;; [unrolled: 2-line block ×3, first 2 shown]
	s_waitcnt vmcnt(9) lgkmcnt(2)
	v_fmac_f32_e32 v23, v32, v43
	s_waitcnt vmcnt(8)
	v_fmac_f32_e32 v23, v33, v44
	s_waitcnt vmcnt(7)
	;; [unrolled: 2-line block ×3, first 2 shown]
	v_fmac_f32_e32 v23, v35, v46
	s_waitcnt vmcnt(5) lgkmcnt(1)
	v_fmac_f32_e32 v23, v36, v47
	s_waitcnt vmcnt(4)
	v_fmac_f32_e32 v23, v37, v48
	s_waitcnt vmcnt(3)
	;; [unrolled: 2-line block ×3, first 2 shown]
	v_fmac_f32_e32 v23, v39, v50
	v_cndmask_b32_e64 v53, v17, v19, s[6:7]
	s_waitcnt vmcnt(1) lgkmcnt(0)
	v_fmac_f32_e32 v23, v28, v51
	v_lshlrev_b32_e32 v53, 2, v53
	s_waitcnt vmcnt(0)
	v_fmac_f32_e32 v23, v29, v52
	ds_bpermute_b32 v24, v53, v23
	v_cmp_lt_i32_e64 s[6:7], v20, v18
	s_waitcnt lgkmcnt(0)
	v_add_f32_e32 v23, v23, v24
	v_cndmask_b32_e64 v25, v17, v20, s[6:7]
	v_lshlrev_b32_e32 v25, 2, v25
	ds_bpermute_b32 v24, v25, v23
	v_cmp_lt_i32_e64 s[6:7], v21, v18
	s_waitcnt lgkmcnt(0)
	v_add_f32_e32 v23, v23, v24
	v_cndmask_b32_e64 v25, v17, v21, s[6:7]
	v_lshlrev_b32_e32 v25, 2, v25
	ds_bpermute_b32 v24, v25, v23
	s_and_saveexec_b64 s[38:39], vcc
	s_cbranch_execz .LBB4_11
; %bb.17:                               ;   in Loop: Header=BB4_13 Depth=1
	v_add_u32_e32 v25, v15, v13
	v_cvt_f32_i32_e32 v25, v25
	s_waitcnt lgkmcnt(0)
	v_add_f32_e32 v23, v23, v24
	v_add_u32_e32 v26, v9, v13
	v_cmp_gt_i32_e64 s[6:7], s33, v26
	v_mul_f32_e32 v24, s43, v25
	v_cndmask_b32_e64 v24, 0, v24, s[0:1]
	v_fmac_f32_e32 v24, s31, v23
	v_cndmask_b32_e64 v23, 0, v24, s[6:7]
	ds_write_b32 v14, v23
	v_max_f32_e32 v23, v12, v12
	v_max_f32_e32 v23, v23, v24
	v_cndmask_b32_e64 v12, v12, v23, s[6:7]
	s_branch .LBB4_11
.LBB4_18:
	s_or_b64 exec, exec, s[36:37]
.LBB4_19:
	s_or_b64 exec, exec, s[34:35]
	v_mbcnt_hi_u32_b32 v2, -1, v8
	v_and_b32_e32 v3, 64, v2
	v_add_u32_e32 v3, 64, v3
	v_xor_b32_e32 v4, 32, v2
	v_cmp_lt_i32_e32 vcc, v4, v3
	v_xor_b32_e32 v9, 16, v2
	v_max_f32_e32 v5, v12, v12
	v_cndmask_b32_e32 v4, v2, v4, vcc
	v_lshlrev_b32_e32 v8, 2, v4
	ds_bpermute_b32 v4, v8, v12
	v_cmp_lt_i32_e32 vcc, v9, v3
	v_xor_b32_e32 v11, 8, v2
	s_waitcnt lgkmcnt(0)
	v_max_f32_e32 v4, v4, v4
	v_max_f32_e32 v4, v5, v4
	v_cndmask_b32_e32 v5, v2, v9, vcc
	v_lshlrev_b32_e32 v10, 2, v5
	ds_bpermute_b32 v5, v10, v4
	v_cmp_lt_i32_e32 vcc, v11, v3
	s_waitcnt lgkmcnt(0)
	v_max_f32_e32 v5, v5, v5
	v_max_f32_e32 v9, v4, v5
	v_cndmask_b32_e32 v4, v2, v11, vcc
	v_lshlrev_b32_e32 v11, 2, v4
	ds_bpermute_b32 v12, v11, v9
	v_and_b32_e32 v4, 63, v0
	v_cmp_eq_u32_e32 vcc, 0, v4
	v_lshlrev_b32_e32 v5, 2, v30
	s_and_saveexec_b64 s[0:1], vcc
	s_cbranch_execz .LBB4_21
; %bb.20:
	s_waitcnt lgkmcnt(0)
	v_max_f32_e32 v12, v12, v12
	v_max_f32_e32 v9, v9, v9
	;; [unrolled: 1-line block ×3, first 2 shown]
	ds_write_b32 v5, v9 offset:448
.LBB4_21:
	s_or_b64 exec, exec, s[0:1]
	v_cmp_gt_u32_e64 s[0:1], 2, v4
	s_waitcnt lgkmcnt(0)
	v_mov_b32_e32 v12, 0xff7fffff
	v_lshlrev_b32_e32 v9, 2, v4
	s_barrier
	s_and_saveexec_b64 s[6:7], s[0:1]
	s_cbranch_execz .LBB4_23
; %bb.22:
	ds_read_b32 v12, v9 offset:448
.LBB4_23:
	s_or_b64 exec, exec, s[6:7]
	v_xor_b32_e32 v13, 1, v2
	v_cmp_lt_i32_e64 s[6:7], v13, v3
	v_lshlrev_b32_e32 v14, 2, v2
	s_nop 0
	v_cndmask_b32_e64 v13, v2, v13, s[6:7]
	v_lshlrev_b32_e32 v32, 2, v13
	s_waitcnt lgkmcnt(0)
	ds_bpermute_b32 v13, v32, v12
	v_max_f32_e32 v12, v12, v12
	s_lshl_b32 s6, s42, 3
	s_min_i32 s15, s6, s33
	v_cmp_gt_i32_e64 s[6:7], s15, v0
	s_waitcnt lgkmcnt(0)
	v_max_f32_e32 v13, v13, v13
	v_max_f32_e32 v13, v12, v13
	v_and_b32_e32 v12, 0x100, v14
	ds_bpermute_b32 v14, v12, v13
	v_mov_b32_e32 v13, 0
	s_and_saveexec_b64 s[30:31], s[6:7]
	s_cbranch_execz .LBB4_27
; %bb.24:
	v_mov_b32_e32 v13, 0x1d0
	v_lshl_add_u32 v15, v0, 2, v13
	s_mov_b64 s[34:35], 0
	v_mov_b32_e32 v13, 0
	v_mov_b32_e32 v16, v0
.LBB4_25:                               ; =>This Inner Loop Header: Depth=1
	ds_read_b32 v17, v15
	v_add_u32_e32 v16, 0x80, v16
	v_cmp_le_i32_e64 s[8:9], s15, v16
	s_or_b64 s[34:35], s[8:9], s[34:35]
	s_waitcnt lgkmcnt(0)
	v_sub_f32_e32 v17, v17, v14
	v_mul_f32_e32 v17, 0x3fb8aa3b, v17
	v_exp_f32_e32 v17, v17
	ds_write_b32 v15, v17
	v_add_f32_e32 v13, v13, v17
	v_add_u32_e32 v15, 0x200, v15
	s_andn2_b64 exec, exec, s[34:35]
	s_cbranch_execnz .LBB4_25
; %bb.26:
	s_or_b64 exec, exec, s[34:35]
.LBB4_27:
	s_or_b64 exec, exec, s[30:31]
	ds_bpermute_b32 v8, v8, v13
	s_waitcnt lgkmcnt(0)
	v_add_f32_e32 v8, v13, v8
	ds_bpermute_b32 v10, v10, v8
	s_waitcnt lgkmcnt(0)
	v_add_f32_e32 v8, v8, v10
	ds_bpermute_b32 v10, v11, v8
	v_xor_b32_e32 v11, 4, v2
	v_cmp_lt_i32_e64 s[8:9], v11, v3
	s_waitcnt lgkmcnt(0)
	v_add_f32_e32 v8, v8, v10
	v_cndmask_b32_e64 v11, v2, v11, s[8:9]
	v_lshlrev_b32_e32 v11, 2, v11
	ds_bpermute_b32 v10, v11, v8
	v_xor_b32_e32 v11, 2, v2
	v_cmp_lt_i32_e64 s[8:9], v11, v3
	s_waitcnt lgkmcnt(0)
	v_add_f32_e32 v3, v8, v10
	v_cndmask_b32_e64 v2, v2, v11, s[8:9]
	v_lshlrev_b32_e32 v2, 2, v2
	ds_bpermute_b32 v2, v2, v3
	s_waitcnt lgkmcnt(0)
	v_add_f32_e32 v2, v3, v2
	ds_bpermute_b32 v3, v32, v2
	s_waitcnt lgkmcnt(0)
	v_add_f32_e32 v2, v2, v3
	s_and_saveexec_b64 s[8:9], vcc
	s_cbranch_execz .LBB4_29
; %bb.28:
	ds_write_b32 v5, v2 offset:456
.LBB4_29:
	s_or_b64 exec, exec, s[8:9]
	s_waitcnt lgkmcnt(0)
	s_barrier
	s_and_saveexec_b64 s[8:9], s[0:1]
	s_cbranch_execz .LBB4_31
; %bb.30:
	ds_read_b32 v2, v9 offset:456
.LBB4_31:
	s_or_b64 exec, exec, s[8:9]
	s_waitcnt lgkmcnt(0)
	ds_bpermute_b32 v3, v32, v2
	s_waitcnt lgkmcnt(0)
	v_add_f32_e32 v2, v2, v3
	ds_bpermute_b32 v2, v12, v2
	s_and_saveexec_b64 s[0:1], s[6:7]
	s_cbranch_execz .LBB4_44
; %bb.32:
	s_waitcnt lgkmcnt(0)
	v_add_f32_e32 v2, 0x358637bd, v2
	v_div_scale_f32 v3, s[6:7], v2, v2, 1.0
	v_rcp_f32_e32 v5, v3
	v_div_scale_f32 v8, vcc, 1.0, v2, 1.0
	s_movk_i32 s6, 0x7f
	v_fma_f32 v9, -v3, v5, 1.0
	v_fmac_f32_e32 v5, v9, v5
	v_mul_f32_e32 v9, v8, v5
	v_fma_f32 v10, -v3, v9, v8
	v_fmac_f32_e32 v9, v10, v5
	v_fma_f32 v3, -v3, v9, v8
	v_div_fmas_f32 v3, v3, v5, v9
	v_xad_u32 v5, v0, -1, s15
	v_div_fixup_f32 v2, v3, v2, 1.0
	v_cmp_lt_u32_e32 vcc, s6, v5
	s_mov_b64 s[8:9], -1
	v_mov_b32_e32 v3, v0
	s_and_saveexec_b64 s[6:7], vcc
	s_cbranch_execz .LBB4_41
; %bb.33:
	v_lshrrev_b32_e32 v5, 7, v5
	v_add_u32_e32 v9, -1, v5
	v_lshrrev_b32_e32 v8, 1, v9
	v_mov_b32_e32 v3, v2
	v_add_u32_e32 v8, 1, v8
	v_cmp_lt_u32_e32 vcc, 13, v9
	v_mov_b32_e32 v11, 0
	s_and_saveexec_b64 s[8:9], vcc
	s_cbranch_execz .LBB4_37
; %bb.34:
	v_mov_b32_e32 v10, 0x1d0
	v_and_b32_e32 v9, -8, v8
	v_lshl_add_u32 v10, v0, 2, v10
	s_mov_b32 s16, 0
	s_mov_b64 s[30:31], 0
.LBB4_35:                               ; =>This Inner Loop Header: Depth=1
	ds_read2st64_b32 v[12:13], v10 offset1:2
	ds_read2st64_b32 v[14:15], v10 offset0:4 offset1:6
	ds_read2st64_b32 v[16:17], v10 offset0:8 offset1:10
	ds_read2st64_b32 v[18:19], v10 offset0:12 offset1:14
	v_add_u32_e32 v9, -8, v9
	s_waitcnt lgkmcnt(3)
	v_pk_mul_f32 v[12:13], v[2:3], v[12:13]
	s_waitcnt lgkmcnt(2)
	v_pk_mul_f32 v[14:15], v[2:3], v[14:15]
	ds_write2st64_b32 v10, v12, v13 offset1:2
	ds_write2st64_b32 v10, v14, v15 offset0:4 offset1:6
	ds_read2st64_b32 v[14:15], v10 offset0:16 offset1:18
	s_waitcnt lgkmcnt(4)
	v_pk_mul_f32 v[12:13], v[2:3], v[16:17]
	ds_write2st64_b32 v10, v12, v13 offset0:8 offset1:10
	s_waitcnt lgkmcnt(4)
	v_pk_mul_f32 v[12:13], v[2:3], v[18:19]
	ds_write2st64_b32 v10, v12, v13 offset0:12 offset1:14
	ds_read2st64_b32 v[12:13], v10 offset0:20 offset1:22
	s_waitcnt lgkmcnt(3)
	v_pk_mul_f32 v[14:15], v[2:3], v[14:15]
	ds_read2st64_b32 v[16:17], v10 offset0:24 offset1:26
	ds_write2st64_b32 v10, v14, v15 offset0:16 offset1:18
	ds_read2st64_b32 v[14:15], v10 offset0:28 offset1:30
	s_waitcnt lgkmcnt(3)
	v_pk_mul_f32 v[12:13], v[2:3], v[12:13]
	ds_write2st64_b32 v10, v12, v13 offset0:20 offset1:22
	s_waitcnt lgkmcnt(3)
	v_pk_mul_f32 v[12:13], v[2:3], v[16:17]
	ds_write2st64_b32 v10, v12, v13 offset0:24 offset1:26
	s_waitcnt lgkmcnt(2)
	v_pk_mul_f32 v[12:13], v[2:3], v[14:15]
	s_add_i32 s16, s16, 16
	v_cmp_eq_u32_e32 vcc, 0, v9
	ds_write2st64_b32 v10, v12, v13 offset0:28 offset1:30
	v_add_u32_e32 v10, 0x2000, v10
	s_or_b64 s[30:31], vcc, s[30:31]
	v_mov_b32_e32 v11, s16
	s_andn2_b64 exec, exec, s[30:31]
	s_cbranch_execnz .LBB4_35
; %bb.36:
	s_or_b64 exec, exec, s[30:31]
.LBB4_37:
	s_or_b64 exec, exec, s[8:9]
	v_and_b32_e32 v8, 7, v8
	v_cmp_ne_u32_e32 vcc, 0, v8
	s_and_saveexec_b64 s[8:9], vcc
	s_cbranch_execz .LBB4_40
; %bb.38:
	v_lshlrev_b32_e32 v9, 9, v11
	s_movk_i32 s16, 0x1d0
	v_add3_u32 v9, v9, v6, s16
	s_mov_b64 s[30:31], 0
.LBB4_39:                               ; =>This Inner Loop Header: Depth=1
	ds_read2st64_b32 v[10:11], v9 offset1:2
	v_add_u32_e32 v8, -1, v8
	v_cmp_eq_u32_e32 vcc, 0, v8
	s_or_b64 s[30:31], vcc, s[30:31]
	s_waitcnt lgkmcnt(0)
	v_pk_mul_f32 v[10:11], v[2:3], v[10:11]
	ds_write2st64_b32 v9, v10, v11 offset1:2
	v_add_u32_e32 v9, 0x400, v9
	s_andn2_b64 exec, exec, s[30:31]
	s_cbranch_execnz .LBB4_39
.LBB4_40:
	s_or_b64 exec, exec, s[8:9]
	v_add_u32_e32 v5, 1, v5
	v_and_b32_e32 v8, 0x3fffffe, v5
	v_cmp_ne_u32_e32 vcc, v5, v8
	v_lshl_add_u32 v3, v8, 7, v0
	s_orn2_b64 s[8:9], vcc, exec
.LBB4_41:
	s_or_b64 exec, exec, s[6:7]
	s_and_b64 exec, exec, s[8:9]
	s_cbranch_execz .LBB4_44
; %bb.42:
	v_mov_b32_e32 v5, 0x1d0
	v_lshl_add_u32 v5, v3, 2, v5
	s_mov_b64 s[6:7], 0
.LBB4_43:                               ; =>This Inner Loop Header: Depth=1
	ds_read_b32 v8, v5
	v_add_u32_e32 v3, 0x80, v3
	v_cmp_le_i32_e32 vcc, s15, v3
	s_or_b64 s[6:7], vcc, s[6:7]
	s_waitcnt lgkmcnt(0)
	v_mul_f32_e32 v8, v2, v8
	ds_write_b32 v5, v8
	v_add_u32_e32 v5, 0x200, v5
	s_andn2_b64 exec, exec, s[6:7]
	s_cbranch_execnz .LBB4_43
.LBB4_44:
	s_or_b64 exec, exec, s[0:1]
	s_mov_b32 s0, 0
	v_mov_b32_e32 v5, 0
	v_lshrrev_b32_e32 v34, 1, v4
	v_and_b32_e32 v33, 1, v0
	v_mov_b32_e32 v4, 0
	v_mov_b32_e32 v3, 0
	s_waitcnt lgkmcnt(0)
	v_mov_b32_e32 v2, 0
	s_barrier
	s_and_saveexec_b64 s[6:7], s[2:3]
	s_cbranch_execz .LBB4_60
; %bb.45:
	s_ashr_i32 s15, s14, 31
	s_sub_i32 s30, s12, s17
	s_lshl_b64 s[2:3], s[14:15], 2
	s_add_u32 s8, s28, s2
	s_addc_u32 s9, s29, s3
	s_abs_i32 s18, s18
	v_cvt_f32_u32_e32 v2, s18
	v_or_b32_e32 v3, 0x60, v34
	s_movk_i32 s1, 0x70
	v_and_b32_e32 v35, 4, v6
	v_rcp_iflag_f32_e32 v2, v2
	v_cmp_gt_u32_e32 vcc, s1, v3
	s_sub_i32 s1, 0, s18
	s_add_i32 s29, s42, -1
	v_mul_f32_e32 v2, 0x4f7ffffe, v2
	v_cvt_u32_f32_e32 v2, v2
	v_lshl_or_b32 v8, v3, 3, v35
	s_lshl_b64 s[2:3], s[26:27], 2
	s_add_u32 s2, s24, s2
	v_mul_lo_u32 v3, s1, v2
	v_mul_hi_u32 v3, v2, v3
	v_mov_b32_e32 v23, 0
	v_add_u32_e32 v36, v2, v3
	v_and_b32_e32 v22, 60, v7
	s_addc_u32 s3, s25, s3
	v_lshlrev_b32_e32 v2, 4, v33
	v_lshl_add_u64 v[24:25], s[2:3], 0, v[22:23]
	v_lshl_or_b32 v2, v30, 5, v2
	s_mov_b32 s2, s0
	s_mov_b32 s3, s0
	v_lshl_or_b32 v6, v34, 3, v35
	v_add_u32_e32 v37, 0x1d0, v2
	s_mov_b32 s1, s0
	v_mov_b64_e32 v[4:5], s[2:3]
	s_mov_b32 s28, s13
	s_mov_b64 s[12:13], 0
	v_mov_b64_e32 v[2:3], s[0:1]
	v_lshlrev_b32_e32 v22, 2, v6
	v_lshlrev_b32_e32 v26, 2, v8
	s_branch .LBB4_49
.LBB4_46:                               ;   in Loop: Header=BB4_49 Depth=1
	s_or_b64 exec, exec, s[16:17]
	s_waitcnt vmcnt(0)
	v_mul_f32_e32 v7, v7, v11
	v_fmac_f32_e32 v7, v6, v10
	v_fmac_f32_e32 v7, v8, v12
	;; [unrolled: 1-line block ×3, first 2 shown]
	v_add_f32_e32 v5, v5, v7
.LBB4_47:                               ;   in Loop: Header=BB4_49 Depth=1
	s_or_b64 exec, exec, s[2:3]
.LBB4_48:                               ;   in Loop: Header=BB4_49 Depth=1
	s_or_b64 exec, exec, s[14:15]
	v_add_u32_e32 v30, 2, v30
	v_cmp_le_i32_e64 s[0:1], s42, v30
	v_lshl_add_u64 v[24:25], v[24:25], 0, 8
	v_add_u32_e32 v31, 16, v31
	s_or_b64 s[12:13], s[0:1], s[12:13]
	v_add_u32_e32 v37, 64, v37
	s_andn2_b64 exec, exec, s[12:13]
	s_cbranch_execz .LBB4_59
.LBB4_49:                               ; =>This Inner Loop Header: Depth=1
	v_mul_hi_u32 v6, v31, s40
	v_mul_lo_u32 v7, v6, s21
	v_sub_u32_e32 v7, v31, v7
	v_add_u32_e32 v8, 1, v6
	v_cmp_le_u32_e64 s[0:1], s21, v7
	s_nop 1
	v_cndmask_b32_e64 v6, v6, v8, s[0:1]
	v_subrev_u32_e32 v8, s21, v7
	v_cndmask_b32_e64 v7, v7, v8, s[0:1]
	v_add_u32_e32 v8, 1, v6
	v_cmp_le_u32_e64 s[0:1], s21, v7
	s_nop 1
	v_cndmask_b32_e64 v6, v6, v8, s[0:1]
	v_xor_b32_e32 v6, s19, v6
	v_subrev_u32_e32 v6, s19, v6
	v_add_u32_e32 v7, s41, v6
	v_sub_u32_e32 v9, 0, v7
	v_ashrrev_i32_e32 v8, 31, v7
	v_max_i32_e32 v7, v7, v9
	v_mul_hi_u32 v9, v7, v36
	v_mul_lo_u32 v9, v9, s18
	v_sub_u32_e32 v7, v7, v9
	v_subrev_u32_e32 v9, s18, v7
	v_cmp_le_u32_e64 s[0:1], s18, v7
	v_cmp_lt_i32_e64 s[2:3], s30, v6
	s_nop 0
	v_cndmask_b32_e64 v7, v7, v9, s[0:1]
	v_subrev_u32_e32 v9, s18, v7
	v_cmp_le_u32_e64 s[0:1], s18, v7
	s_nop 1
	v_cndmask_b32_e64 v7, v7, v9, s[0:1]
	v_xor_b32_e32 v7, v7, v8
	v_sub_u32_e32 v7, v7, v8
	v_cmp_eq_u32_e64 s[0:1], 0, v7
	s_or_b64 s[0:1], s[0:1], s[2:3]
	s_and_saveexec_b64 s[14:15], s[0:1]
	s_cbranch_execz .LBB4_48
; %bb.50:                               ;   in Loop: Header=BB4_49 Depth=1
	global_load_dword v6, v[24:25], off
	v_add_u32_e32 v38, v35, v31
	s_waitcnt vmcnt(0)
	v_mad_i64_i32 v[6:7], s[0:1], v6, s28, 0
	v_lshl_add_u64 v[28:29], v[6:7], 2, s[8:9]
	v_lshl_add_u64 v[18:19], v[28:29], 0, v[22:23]
	global_load_dwordx4 v[10:13], v[18:19], off
	ds_read_b128 v[6:9], v37
	v_cmp_eq_u32_e64 s[0:1], s29, v30
	s_and_saveexec_b64 s[16:17], s[0:1]
	s_cbranch_execnz .LBB4_57
; %bb.51:                               ;   in Loop: Header=BB4_49 Depth=1
	s_or_b64 exec, exec, s[16:17]
	global_load_dwordx4 v[14:17], v[18:19], off offset:1024
	s_and_saveexec_b64 s[16:17], s[0:1]
	s_cbranch_execnz .LBB4_58
.LBB4_52:                               ;   in Loop: Header=BB4_49 Depth=1
	s_or_b64 exec, exec, s[16:17]
	global_load_dwordx4 v[18:21], v[18:19], off offset:2048
	s_and_saveexec_b64 s[16:17], s[0:1]
	s_cbranch_execz .LBB4_54
.LBB4_53:                               ;   in Loop: Header=BB4_49 Depth=1
	v_cmp_gt_i32_e64 s[2:3], s33, v38
	v_add_u32_e32 v27, 1, v38
	s_waitcnt vmcnt(0)
	v_cndmask_b32_e64 v18, 0, v18, s[2:3]
	v_cmp_gt_i32_e64 s[2:3], s33, v27
	v_add_u32_e32 v27, 2, v38
	s_nop 0
	v_cndmask_b32_e64 v19, 0, v19, s[2:3]
	v_cmp_gt_i32_e64 s[2:3], s33, v27
	v_add_u32_e32 v27, 3, v38
	s_nop 0
	v_cndmask_b32_e64 v20, 0, v20, s[2:3]
	v_cmp_gt_i32_e64 s[2:3], s33, v27
	s_nop 1
	v_cndmask_b32_e64 v21, 0, v21, s[2:3]
.LBB4_54:                               ;   in Loop: Header=BB4_49 Depth=1
	s_or_b64 exec, exec, s[16:17]
	s_waitcnt vmcnt(2) lgkmcnt(0)
	v_mul_f32_e32 v11, v7, v11
	v_fmac_f32_e32 v11, v6, v10
	s_waitcnt vmcnt(1)
	v_mul_f32_e32 v10, v7, v15
	v_fmac_f32_e32 v10, v6, v14
	v_fmac_f32_e32 v10, v8, v16
	;; [unrolled: 1-line block ×3, first 2 shown]
	v_add_f32_e32 v3, v3, v10
	s_waitcnt vmcnt(0)
	v_mul_f32_e32 v10, v7, v19
	v_fmac_f32_e32 v10, v6, v18
	v_fmac_f32_e32 v11, v8, v12
	;; [unrolled: 1-line block ×5, first 2 shown]
	v_add_f32_e32 v2, v2, v11
	v_add_f32_e32 v4, v4, v10
	s_and_saveexec_b64 s[2:3], vcc
	s_cbranch_execz .LBB4_47
; %bb.55:                               ;   in Loop: Header=BB4_49 Depth=1
	v_mov_b32_e32 v27, v23
	v_lshl_add_u64 v[10:11], v[28:29], 0, v[26:27]
	global_load_dwordx4 v[10:13], v[10:11], off
	s_and_saveexec_b64 s[16:17], s[0:1]
	s_cbranch_execz .LBB4_46
; %bb.56:                               ;   in Loop: Header=BB4_49 Depth=1
	v_cmp_gt_i32_e64 s[0:1], s33, v38
	v_add_u32_e32 v14, 1, v38
	s_waitcnt vmcnt(0)
	v_cndmask_b32_e64 v10, 0, v10, s[0:1]
	v_cmp_gt_i32_e64 s[0:1], s33, v14
	v_add_u32_e32 v14, 2, v38
	s_nop 0
	v_cndmask_b32_e64 v11, 0, v11, s[0:1]
	v_cmp_gt_i32_e64 s[0:1], s33, v14
	v_add_u32_e32 v14, 3, v38
	s_nop 0
	v_cndmask_b32_e64 v12, 0, v12, s[0:1]
	v_cmp_gt_i32_e64 s[0:1], s33, v14
	s_nop 1
	v_cndmask_b32_e64 v13, 0, v13, s[0:1]
	s_branch .LBB4_46
.LBB4_57:                               ;   in Loop: Header=BB4_49 Depth=1
	v_cmp_gt_i32_e64 s[2:3], s33, v38
	v_add_u32_e32 v14, 1, v38
	s_waitcnt vmcnt(0)
	v_cndmask_b32_e64 v10, 0, v10, s[2:3]
	v_cmp_gt_i32_e64 s[2:3], s33, v14
	v_add_u32_e32 v14, 2, v38
	s_nop 0
	v_cndmask_b32_e64 v11, 0, v11, s[2:3]
	v_cmp_gt_i32_e64 s[2:3], s33, v14
	v_add_u32_e32 v14, 3, v38
	s_nop 0
	v_cndmask_b32_e64 v12, 0, v12, s[2:3]
	v_cmp_gt_i32_e64 s[2:3], s33, v14
	s_nop 1
	v_cndmask_b32_e64 v13, 0, v13, s[2:3]
	s_or_b64 exec, exec, s[16:17]
	global_load_dwordx4 v[14:17], v[18:19], off offset:1024
	s_and_saveexec_b64 s[16:17], s[0:1]
	s_cbranch_execz .LBB4_52
.LBB4_58:                               ;   in Loop: Header=BB4_49 Depth=1
	v_cmp_gt_i32_e64 s[2:3], s33, v38
	v_add_u32_e32 v20, 1, v38
	s_waitcnt vmcnt(0)
	v_cndmask_b32_e64 v14, 0, v14, s[2:3]
	v_cmp_gt_i32_e64 s[2:3], s33, v20
	v_add_u32_e32 v20, 2, v38
	s_nop 0
	v_cndmask_b32_e64 v15, 0, v15, s[2:3]
	v_cmp_gt_i32_e64 s[2:3], s33, v20
	v_add_u32_e32 v20, 3, v38
	s_nop 0
	v_cndmask_b32_e64 v16, 0, v16, s[2:3]
	v_cmp_gt_i32_e64 s[2:3], s33, v20
	s_nop 1
	v_cndmask_b32_e64 v17, 0, v17, s[2:3]
	s_or_b64 exec, exec, s[16:17]
	global_load_dwordx4 v[18:21], v[18:19], off offset:2048
	s_and_saveexec_b64 s[16:17], s[0:1]
	s_cbranch_execnz .LBB4_53
	s_branch .LBB4_54
.LBB4_59:
	s_or_b64 exec, exec, s[12:13]
.LBB4_60:
	s_or_b64 exec, exec, s[6:7]
	ds_bpermute_b32 v6, v32, v2
	ds_bpermute_b32 v7, v32, v3
	;; [unrolled: 1-line block ×4, first 2 shown]
	s_waitcnt lgkmcnt(0)
	s_barrier
	v_pk_add_f32 v[6:7], v[2:3], v[6:7]
	v_pk_add_f32 v[2:3], v[4:5], v[8:9]
	v_and_b32_e32 v4, 0x3c0, v0
	v_cmp_eq_u32_e32 vcc, 64, v4
	s_and_saveexec_b64 s[2:3], vcc
	s_cbranch_execz .LBB4_65
; %bb.61:
	v_cmp_eq_u32_e32 vcc, 0, v33
	s_and_saveexec_b64 s[0:1], vcc
	s_cbranch_execz .LBB4_63
; %bb.62:
	v_mov_b32_e32 v4, 0x1d0
	v_lshl_add_u32 v4, v34, 2, v4
	ds_write2_b32 v4, v6, v7 offset1:32
	ds_write_b32 v4, v2 offset:256
.LBB4_63:
	s_or_b64 exec, exec, s[0:1]
	v_or_b32_e32 v4, 0x60, v34
	s_movk_i32 s0, 0x70
	v_cmp_gt_u32_e64 s[0:1], s0, v4
	s_and_b64 s[0:1], vcc, s[0:1]
	s_and_b64 exec, exec, s[0:1]
	s_cbranch_execz .LBB4_65
; %bb.64:
	v_mov_b32_e32 v4, 0x1d0
	v_lshl_add_u32 v4, v34, 2, v4
	ds_write_b32 v4, v3 offset:384
.LBB4_65:
	s_or_b64 exec, exec, s[2:3]
	v_cmp_gt_u32_e32 vcc, 64, v0
	s_waitcnt lgkmcnt(0)
	s_barrier
	s_and_saveexec_b64 s[6:7], vcc
	s_cbranch_execz .LBB4_73
; %bb.66:
	v_cmp_eq_u32_e64 s[0:1], 0, v33
	s_and_saveexec_b64 s[2:3], s[0:1]
	s_cbranch_execnz .LBB4_79
; %bb.67:
	s_or_b64 exec, exec, s[2:3]
	s_and_saveexec_b64 s[2:3], s[0:1]
	s_cbranch_execnz .LBB4_80
.LBB4_68:
	s_or_b64 exec, exec, s[2:3]
	s_and_saveexec_b64 s[2:3], s[0:1]
	s_cbranch_execz .LBB4_70
.LBB4_69:
	v_mov_b32_e32 v0, 0x1d0
	v_lshl_add_u32 v0, v1, 2, v0
	ds_read_b32 v0, v0 offset:256
	s_waitcnt lgkmcnt(0)
	v_add_f32_e32 v2, v2, v0
.LBB4_70:
	s_or_b64 exec, exec, s[2:3]
	v_or_b32_e32 v0, 0x60, v1
	s_movk_i32 s2, 0x70
	v_cmp_gt_u32_e64 s[2:3], s2, v0
	s_and_b64 s[2:3], s[0:1], s[2:3]
	s_and_saveexec_b64 s[0:1], s[2:3]
	s_cbranch_execz .LBB4_72
; %bb.71:
	v_mov_b32_e32 v0, 0x1d0
	v_lshl_add_u32 v0, v1, 2, v0
	ds_read_b32 v0, v0 offset:384
	s_waitcnt lgkmcnt(0)
	v_add_f32_e32 v3, v3, v0
.LBB4_72:
	s_or_b64 exec, exec, s[0:1]
.LBB4_73:
	s_or_b64 exec, exec, s[6:7]
	s_barrier
	s_and_saveexec_b64 s[0:1], vcc
	s_cbranch_execz .LBB4_78
; %bb.74:
	s_mul_i32 s0, s10, s11
	s_mul_i32 s0, s0, s5
	s_mulk_i32 s0, 0x70
	s_ashr_i32 s1, s0, 31
	s_lshl_b64 s[0:1], s[0:1], 2
	s_add_u32 s2, s22, s0
	s_mul_i32 s0, s11, s20
	s_addc_u32 s3, s23, s1
	s_ashr_i32 s1, s0, 31
	s_lshl_b64 s[0:1], s[0:1], 2
	s_add_u32 s2, s2, s0
	s_mul_i32 s0, s4, 0x70
	s_addc_u32 s3, s3, s1
	s_ashr_i32 s1, s0, 31
	s_lshl_b64 s[0:1], s[0:1], 2
	s_add_u32 s2, s2, s0
	s_movk_i32 s5, 0x70
	s_addc_u32 s3, s3, s1
	v_cmp_eq_u32_e32 vcc, 0, v33
	v_lshlrev_b32_e32 v0, 2, v1
	s_and_saveexec_b64 s[0:1], vcc
	s_cbranch_execz .LBB4_76
; %bb.75:
	global_store_dword v0, v6, s[2:3]
	global_store_dword v0, v7, s[2:3] offset:128
	global_store_dword v0, v2, s[2:3] offset:256
.LBB4_76:
	s_or_b64 exec, exec, s[0:1]
	v_or_b32_e32 v1, 0x60, v1
	v_cmp_gt_u32_e64 s[0:1], s5, v1
	s_and_b64 s[0:1], vcc, s[0:1]
	s_and_b64 exec, exec, s[0:1]
	s_cbranch_execz .LBB4_78
; %bb.77:
	global_store_dword v0, v3, s[2:3] offset:384
.LBB4_78:
	s_endpgm
.LBB4_79:
	v_mov_b32_e32 v0, 0x1d0
	v_lshl_add_u32 v0, v1, 2, v0
	ds_read_b32 v0, v0
	s_waitcnt lgkmcnt(0)
	v_add_f32_e32 v6, v6, v0
	s_or_b64 exec, exec, s[2:3]
	s_and_saveexec_b64 s[2:3], s[0:1]
	s_cbranch_execz .LBB4_68
.LBB4_80:
	v_mov_b32_e32 v0, 0x1d0
	v_lshl_add_u32 v0, v1, 2, v0
	ds_read_b32 v0, v0 offset:128
	s_waitcnt lgkmcnt(0)
	v_add_f32_e32 v7, v7, v0
	s_or_b64 exec, exec, s[2:3]
	s_and_saveexec_b64 s[2:3], s[0:1]
	s_cbranch_execnz .LBB4_69
	s_branch .LBB4_70
	.section	.rodata,"a",@progbits
	.p2align	6, 0x0
	.amdhsa_kernel _ZN4vllm25paged_attention_v1_kernelIffLi112ELi8ELi128ELNS_18Fp8KVCacheDataTypeE0ELb1EEEvPT_PKS2_PKT0_S8_ifPKiSA_iPKfiiiSC_SC_iiiii
		.amdhsa_group_segment_fixed_size 464
		.amdhsa_private_segment_fixed_size 0
		.amdhsa_kernarg_size 384
		.amdhsa_user_sgpr_count 2
		.amdhsa_user_sgpr_dispatch_ptr 0
		.amdhsa_user_sgpr_queue_ptr 0
		.amdhsa_user_sgpr_kernarg_segment_ptr 1
		.amdhsa_user_sgpr_dispatch_id 0
		.amdhsa_user_sgpr_kernarg_preload_length 0
		.amdhsa_user_sgpr_kernarg_preload_offset 0
		.amdhsa_user_sgpr_private_segment_size 0
		.amdhsa_uses_dynamic_stack 0
		.amdhsa_enable_private_segment 0
		.amdhsa_system_sgpr_workgroup_id_x 1
		.amdhsa_system_sgpr_workgroup_id_y 1
		.amdhsa_system_sgpr_workgroup_id_z 1
		.amdhsa_system_sgpr_workgroup_info 0
		.amdhsa_system_vgpr_workitem_id 0
		.amdhsa_next_free_vgpr 54
		.amdhsa_next_free_sgpr 44
		.amdhsa_accum_offset 56
		.amdhsa_reserve_vcc 1
		.amdhsa_float_round_mode_32 0
		.amdhsa_float_round_mode_16_64 0
		.amdhsa_float_denorm_mode_32 3
		.amdhsa_float_denorm_mode_16_64 3
		.amdhsa_dx10_clamp 1
		.amdhsa_ieee_mode 1
		.amdhsa_fp16_overflow 0
		.amdhsa_tg_split 0
		.amdhsa_exception_fp_ieee_invalid_op 0
		.amdhsa_exception_fp_denorm_src 0
		.amdhsa_exception_fp_ieee_div_zero 0
		.amdhsa_exception_fp_ieee_overflow 0
		.amdhsa_exception_fp_ieee_underflow 0
		.amdhsa_exception_fp_ieee_inexact 0
		.amdhsa_exception_int_div_zero 0
	.end_amdhsa_kernel
	.section	.text._ZN4vllm25paged_attention_v1_kernelIffLi112ELi8ELi128ELNS_18Fp8KVCacheDataTypeE0ELb1EEEvPT_PKS2_PKT0_S8_ifPKiSA_iPKfiiiSC_SC_iiiii,"axG",@progbits,_ZN4vllm25paged_attention_v1_kernelIffLi112ELi8ELi128ELNS_18Fp8KVCacheDataTypeE0ELb1EEEvPT_PKS2_PKT0_S8_ifPKiSA_iPKfiiiSC_SC_iiiii,comdat
.Lfunc_end4:
	.size	_ZN4vllm25paged_attention_v1_kernelIffLi112ELi8ELi128ELNS_18Fp8KVCacheDataTypeE0ELb1EEEvPT_PKS2_PKT0_S8_ifPKiSA_iPKfiiiSC_SC_iiiii, .Lfunc_end4-_ZN4vllm25paged_attention_v1_kernelIffLi112ELi8ELi128ELNS_18Fp8KVCacheDataTypeE0ELb1EEEvPT_PKS2_PKT0_S8_ifPKiSA_iPKfiiiSC_SC_iiiii
                                        ; -- End function
	.section	.AMDGPU.csdata,"",@progbits
; Kernel info:
; codeLenInByte = 4936
; NumSgprs: 50
; NumVgprs: 54
; NumAgprs: 0
; TotalNumVgprs: 54
; ScratchSize: 0
; MemoryBound: 0
; FloatMode: 240
; IeeeMode: 1
; LDSByteSize: 464 bytes/workgroup (compile time only)
; SGPRBlocks: 6
; VGPRBlocks: 6
; NumSGPRsForWavesPerEU: 50
; NumVGPRsForWavesPerEU: 54
; AccumOffset: 56
; Occupancy: 8
; WaveLimiterHint : 1
; COMPUTE_PGM_RSRC2:SCRATCH_EN: 0
; COMPUTE_PGM_RSRC2:USER_SGPR: 2
; COMPUTE_PGM_RSRC2:TRAP_HANDLER: 0
; COMPUTE_PGM_RSRC2:TGID_X_EN: 1
; COMPUTE_PGM_RSRC2:TGID_Y_EN: 1
; COMPUTE_PGM_RSRC2:TGID_Z_EN: 1
; COMPUTE_PGM_RSRC2:TIDIG_COMP_CNT: 0
; COMPUTE_PGM_RSRC3_GFX90A:ACCUM_OFFSET: 13
; COMPUTE_PGM_RSRC3_GFX90A:TG_SPLIT: 0
	.section	.text._ZN4vllm25paged_attention_v1_kernelIffLi120ELi8ELi128ELNS_18Fp8KVCacheDataTypeE0ELb1EEEvPT_PKS2_PKT0_S8_ifPKiSA_iPKfiiiSC_SC_iiiii,"axG",@progbits,_ZN4vllm25paged_attention_v1_kernelIffLi120ELi8ELi128ELNS_18Fp8KVCacheDataTypeE0ELb1EEEvPT_PKS2_PKT0_S8_ifPKiSA_iPKfiiiSC_SC_iiiii,comdat
	.protected	_ZN4vllm25paged_attention_v1_kernelIffLi120ELi8ELi128ELNS_18Fp8KVCacheDataTypeE0ELb1EEEvPT_PKS2_PKT0_S8_ifPKiSA_iPKfiiiSC_SC_iiiii ; -- Begin function _ZN4vllm25paged_attention_v1_kernelIffLi120ELi8ELi128ELNS_18Fp8KVCacheDataTypeE0ELb1EEEvPT_PKS2_PKT0_S8_ifPKiSA_iPKfiiiSC_SC_iiiii
	.globl	_ZN4vllm25paged_attention_v1_kernelIffLi120ELi8ELi128ELNS_18Fp8KVCacheDataTypeE0ELb1EEEvPT_PKS2_PKT0_S8_ifPKiSA_iPKfiiiSC_SC_iiiii
	.p2align	8
	.type	_ZN4vllm25paged_attention_v1_kernelIffLi120ELi8ELi128ELNS_18Fp8KVCacheDataTypeE0ELb1EEEvPT_PKS2_PKT0_S8_ifPKiSA_iPKfiiiSC_SC_iiiii,@function
_ZN4vllm25paged_attention_v1_kernelIffLi120ELi8ELi128ELNS_18Fp8KVCacheDataTypeE0ELb1EEEvPT_PKS2_PKT0_S8_ifPKiSA_iPKfiiiSC_SC_iiiii: ; @_ZN4vllm25paged_attention_v1_kernelIffLi120ELi8ELi128ELNS_18Fp8KVCacheDataTypeE0ELb1EEEvPT_PKS2_PKT0_S8_ifPKiSA_iPKfiiiSC_SC_iiiii
; %bb.0:
	s_load_dword s5, s[0:1], 0x80
	s_load_dwordx2 s[6:7], s[0:1], 0x30
	s_load_dwordx2 s[30:31], s[0:1], 0x20
	s_mov_b32 s10, s3
	s_ashr_i32 s11, s3, 31
	s_lshl_b64 s[8:9], s[10:11], 2
	s_waitcnt lgkmcnt(0)
	s_add_u32 s6, s6, s8
	s_addc_u32 s7, s7, s9
	s_abs_i32 s3, s30
	v_cvt_f32_u32_e32 v1, s3
	s_sub_i32 s11, 0, s3
	s_abs_i32 s9, s5
	s_xor_b32 s8, s5, s30
	v_rcp_iflag_f32_e32 v1, v1
	s_ashr_i32 s8, s8, 31
	s_mov_b32 s43, 0
	v_mul_f32_e32 v1, 0x4f7ffffe, v1
	v_cvt_u32_f32_e32 v1, v1
	s_nop 0
	v_readfirstlane_b32 s12, v1
	s_mul_i32 s11, s11, s12
	s_mul_hi_u32 s11, s12, s11
	s_add_i32 s12, s12, s11
	s_mul_hi_u32 s11, s9, s12
	s_mul_i32 s12, s11, s3
	s_sub_i32 s9, s9, s12
	s_add_i32 s12, s11, 1
	s_sub_i32 s13, s9, s3
	s_cmp_ge_u32 s9, s3
	s_cselect_b32 s11, s12, s11
	s_cselect_b32 s9, s13, s9
	s_add_i32 s12, s11, 1
	s_cmp_ge_u32 s9, s3
	s_cselect_b32 s3, s12, s11
	s_xor_b32 s3, s3, s8
	s_sub_i32 s12, s3, s8
	s_abs_i32 s11, s12
	v_cvt_f32_u32_e32 v1, s11
	s_load_dwordx2 s[8:9], s[0:1], 0x40
	s_sub_i32 s3, 0, s11
	s_abs_i32 s22, s2
	v_rcp_iflag_f32_e32 v1, v1
	s_nop 0
	v_mul_f32_e32 v1, 0x4f7ffffe, v1
	v_cvt_u32_f32_e32 v1, v1
	s_nop 0
	v_readfirstlane_b32 s13, v1
	s_mul_i32 s3, s3, s13
	s_mul_hi_u32 s3, s13, s3
	s_add_i32 s13, s13, s3
	s_waitcnt lgkmcnt(0)
	s_cmp_eq_u64 s[8:9], 0
	s_mul_hi_u32 s23, s22, s13
	s_cbranch_scc1 .LBB5_2
; %bb.1:
	s_ashr_i32 s3, s2, 31
	s_lshl_b64 s[14:15], s[2:3], 2
	s_add_u32 s8, s8, s14
	s_addc_u32 s9, s9, s15
	s_load_dword s43, s[8:9], 0x0
.LBB5_2:
	s_load_dword s33, s[6:7], 0x0
	s_ashr_i32 s9, s12, 31
	s_load_dwordx4 s[12:15], s[0:1], 0x48
	s_movk_i32 s3, 0x78
	s_ashr_i32 s8, s2, 31
	v_and_b32_e32 v2, 7, v0
	s_mul_i32 s20, s2, 0x78
	v_cmp_gt_u32_e32 vcc, s3, v0
	v_lshlrev_b32_e32 v6, 2, v0
	v_lshrrev_b32_e32 v1, 1, v0
	s_and_saveexec_b64 s[6:7], vcc
	s_cbranch_execz .LBB5_4
; %bb.3:
	s_load_dwordx2 s[16:17], s[0:1], 0x8
	s_waitcnt lgkmcnt(0)
	s_mul_i32 s18, s10, s12
	s_ashr_i32 s19, s18, 31
	s_lshl_b64 s[18:19], s[18:19], 2
	v_and_b32_e32 v4, 0x1fc, v1
	s_add_u32 s3, s16, s18
	s_addc_u32 s12, s17, s19
	s_ashr_i32 s21, s20, 31
	s_lshl_b64 s[16:17], s[20:21], 2
	s_add_u32 s16, s3, s16
	s_addc_u32 s17, s12, s17
	global_load_dword v3, v6, s[16:17]
	v_mad_u32_u24 v4, v2, 60, v4
	s_waitcnt vmcnt(0)
	ds_write_b32 v4, v3
.LBB5_4:
	s_or_b64 exec, exec, s[6:7]
	s_mul_i32 s7, s23, s11
	s_sub_i32 s7, s22, s7
	s_xor_b32 s6, s8, s9
	s_add_i32 s8, s23, 1
	s_sub_i32 s9, s7, s11
	s_load_dwordx4 s[16:19], s[0:1], 0x68
	s_load_dword s3, s[0:1], 0x78
	s_cmp_ge_u32 s7, s11
	s_cselect_b32 s8, s8, s23
	s_cselect_b32 s7, s9, s7
	s_add_i32 s9, s8, 1
	s_cmp_ge_u32 s7, s11
	s_cselect_b32 s7, s9, s8
	s_waitcnt lgkmcnt(0)
	s_abs_i32 s21, s19
	v_cvt_f32_u32_e32 v3, s21
	s_xor_b32 s7, s7, s6
	s_sub_i32 s8, s7, s6
	s_sub_i32 s6, 0, s21
	v_rcp_iflag_f32_e32 v3, v3
	s_add_i32 s11, s33, -1
	s_abs_i32 s9, s11
	v_mul_f32_e32 v3, 0x4f7ffffe, v3
	v_cvt_u32_f32_e32 v3, v3
	s_barrier
	v_readfirstlane_b32 s40, v3
	s_mul_i32 s6, s6, s40
	s_mul_hi_u32 s6, s40, s6
	s_add_i32 s40, s40, s6
	s_cmp_lt_i32 s3, 0
	s_mul_hi_u32 s12, s9, s40
	s_cbranch_scc0 .LBB5_6
; %bb.5:
	s_mul_i32 s6, s16, s30
	s_add_i32 s6, s8, s6
	s_mul_i32 s6, s6, s3
	s_sub_i32 s41, 1, s6
	s_mov_b64 s[6:7], 0
	s_branch .LBB5_7
.LBB5_6:
	s_mov_b64 s[6:7], -1
                                        ; implicit-def: $sgpr41
.LBB5_7:
	s_load_dwordx2 s[24:25], s[0:1], 0x28
	s_ashr_i32 s15, s11, 31
	s_andn2_b64 vcc, exec, s[6:7]
	s_ashr_i32 s19, s19, 31
	s_cbranch_vccnz .LBB5_9
; %bb.8:
	s_mul_i32 s6, s5, s16
	s_add_i32 s2, s6, s2
	s_mul_i32 s2, s2, s3
	s_add_i32 s41, s2, 1
.LBB5_9:
	s_load_dword s2, s[0:1], 0x38
	s_load_dwordx2 s[22:23], s[0:1], 0x0
	s_load_dwordx2 s[28:29], s[0:1], 0x18
	s_load_dword s11, s[0:1], 0x88
	s_xor_b32 s3, s15, s19
	s_waitcnt lgkmcnt(0)
	s_mul_i32 s26, s10, s2
	s_mul_i32 s2, s12, s21
	s_sub_i32 s2, s9, s2
	s_ashr_i32 s27, s26, 31
	s_add_i32 s6, s12, 1
	s_sub_i32 s7, s2, s21
	s_cmp_ge_u32 s2, s21
	s_cselect_b32 s6, s6, s12
	s_cselect_b32 s2, s7, s2
	s_add_i32 s7, s6, 1
	s_cmp_ge_u32 s2, s21
	s_cselect_b32 s2, s7, s6
	s_xor_b32 s2, s2, s3
	s_sub_i32 s12, s2, s3
	s_add_i32 s2, s33, 7
	s_ashr_i32 s3, s2, 31
	s_lshr_b32 s3, s3, 29
	s_add_i32 s2, s2, s3
	s_ashr_i32 s42, s2, 3
	v_lshrrev_b32_e32 v30, 6, v0
	v_cmp_gt_i32_e64 s[2:3], s42, v30
	v_mov_b32_e32 v12, 0xff7fffff
	s_mul_i32 s14, s8, s14
	v_lshrrev_b32_e32 v7, 4, v0
	v_lshlrev_b32_e32 v31, 3, v30
	v_mbcnt_lo_u32_b32 v8, -1, 0
	s_and_saveexec_b64 s[34:35], s[2:3]
	s_cbranch_execz .LBB5_19
; %bb.10:
	s_load_dwordx2 s[0:1], s[0:1], 0x10
	s_ashr_i32 s15, s14, 31
	s_sub_i32 s16, s12, s17
	s_lshl_b64 s[6:7], s[14:15], 2
	v_bfe_u32 v9, v0, 3, 3
	s_waitcnt lgkmcnt(0)
	s_add_u32 s0, s0, s6
	s_addc_u32 s1, s1, s7
	s_abs_i32 s15, s18
	v_cvt_f32_u32_e32 v3, s15
	v_lshlrev_b32_e32 v4, 4, v9
	v_mov_b32_e32 v5, 0
	v_lshl_add_u64 v[10:11], s[0:1], 0, v[4:5]
	v_rcp_iflag_f32_e32 v3, v3
	v_and_b32_e32 v4, 3, v0
	v_lshlrev_b32_e32 v4, 2, v4
	s_sub_i32 s6, 0, s15
	v_mul_f32_e32 v3, 0x4f7ffffe, v3
	v_cvt_u32_f32_e32 v3, v3
	v_cmp_eq_u32_e32 vcc, 0, v2
	v_lshl_add_u64 v[12:13], v[10:11], 0, v[4:5]
	v_mul_u32_u24_e32 v10, 60, v2
	v_mul_lo_u32 v2, s6, v3
	v_mul_hi_u32 v2, v3, v2
	v_add_u32_e32 v11, v3, v2
	v_lshlrev_b32_e32 v2, 5, v0
	v_lshlrev_b32_e32 v14, 2, v9
	v_and_b32_e32 v4, 0x80, v2
	v_lshl_add_u64 v[2:3], v[12:13], 0, v[4:5]
	s_lshl_b64 s[6:7], s[26:27], 2
	v_lshl_or_b32 v12, v30, 5, v14
	s_add_u32 s6, s24, s6
	v_add_u32_e32 v14, 0x1f0, v12
	v_subrev_u32_e32 v12, s33, v9
	v_mbcnt_hi_u32_b32 v17, -1, v8
	v_and_b32_e32 v4, 60, v7
	s_addc_u32 s7, s25, s7
	v_add_u32_e32 v15, 1, v12
	v_and_b32_e32 v12, 64, v17
	s_mov_b32 s30, s13
	v_cmp_neq_f32_e64 s[0:1], s43, 0
	v_lshl_add_u64 v[4:5], s[6:7], 0, v[4:5]
	v_lshlrev_b32_e32 v13, 3, v30
	s_mov_b64 s[36:37], 0
	v_mov_b32_e32 v16, 0xff7fffff
	v_add_u32_e32 v18, 64, v12
	v_xor_b32_e32 v19, 4, v17
	v_xor_b32_e32 v20, 2, v17
	;; [unrolled: 1-line block ×3, first 2 shown]
	v_mov_b32_e32 v12, 0xff7fffff
	v_mov_b32_e32 v22, v30
	s_branch .LBB5_13
.LBB5_11:                               ;   in Loop: Header=BB5_13 Depth=1
	s_or_b64 exec, exec, s[38:39]
.LBB5_12:                               ;   in Loop: Header=BB5_13 Depth=1
	s_or_b64 exec, exec, s[8:9]
	v_add_u32_e32 v22, 2, v22
	v_cmp_le_i32_e64 s[6:7], s42, v22
	v_lshl_add_u64 v[4:5], v[4:5], 0, 8
	v_add_u32_e32 v13, 16, v13
	s_or_b64 s[36:37], s[6:7], s[36:37]
	v_add_u32_e32 v14, 64, v14
	s_andn2_b64 exec, exec, s[36:37]
	s_cbranch_execz .LBB5_18
.LBB5_13:                               ; =>This Inner Loop Header: Depth=1
	v_mul_hi_u32 v23, v13, s40
	s_waitcnt lgkmcnt(0)
	v_mul_lo_u32 v24, v23, s21
	v_sub_u32_e32 v24, v13, v24
	v_add_u32_e32 v25, 1, v23
	v_cmp_le_u32_e64 s[6:7], s21, v24
	s_nop 1
	v_cndmask_b32_e64 v23, v23, v25, s[6:7]
	v_subrev_u32_e32 v25, s21, v24
	v_cndmask_b32_e64 v24, v24, v25, s[6:7]
	v_add_u32_e32 v25, 1, v23
	v_cmp_le_u32_e64 s[6:7], s21, v24
	s_nop 1
	v_cndmask_b32_e64 v23, v23, v25, s[6:7]
	v_xor_b32_e32 v23, s19, v23
	v_subrev_u32_e32 v23, s19, v23
	v_add_u32_e32 v24, s41, v23
	v_sub_u32_e32 v26, 0, v24
	v_ashrrev_i32_e32 v25, 31, v24
	v_max_i32_e32 v24, v24, v26
	v_mul_hi_u32 v26, v24, v11
	v_mul_lo_u32 v26, v26, s15
	v_sub_u32_e32 v24, v24, v26
	v_subrev_u32_e32 v26, s15, v24
	v_cmp_le_u32_e64 s[6:7], s15, v24
	v_cmp_ge_i32_e64 s[8:9], s16, v23
	s_nop 0
	v_cndmask_b32_e64 v24, v24, v26, s[6:7]
	v_subrev_u32_e32 v26, s15, v24
	v_cmp_le_u32_e64 s[6:7], s15, v24
	s_nop 1
	v_cndmask_b32_e64 v24, v24, v26, s[6:7]
	v_xor_b32_e32 v24, v24, v25
	v_sub_u32_e32 v24, v24, v25
	v_cmp_ne_u32_e64 s[6:7], 0, v24
	s_and_b64 s[6:7], s[6:7], s[8:9]
	s_and_b64 s[38:39], vcc, s[6:7]
	s_and_saveexec_b64 s[8:9], s[38:39]
	s_cbranch_execz .LBB5_15
; %bb.14:                               ;   in Loop: Header=BB5_13 Depth=1
	ds_write_b32 v14, v16
.LBB5_15:                               ;   in Loop: Header=BB5_13 Depth=1
	s_or_b64 exec, exec, s[8:9]
	s_xor_b64 s[6:7], s[6:7], -1
	s_and_saveexec_b64 s[8:9], s[6:7]
	s_cbranch_execz .LBB5_12
; %bb.16:                               ;   in Loop: Header=BB5_13 Depth=1
	global_load_dword v23, v[4:5], off
	s_waitcnt vmcnt(0)
	v_mad_i64_i32 v[24:25], s[6:7], v23, s30, 0
	v_lshl_add_u64 v[24:25], v[24:25], 2, v[2:3]
	global_load_dword v23, v[24:25], off offset:256
	global_load_dword v40, v[24:25], off
	global_load_dword v41, v[24:25], off offset:512
	global_load_dword v42, v[24:25], off offset:768
	;; [unrolled: 1-line block ×13, first 2 shown]
	ds_read2_b32 v[24:25], v10 offset1:1
	ds_read2_b32 v[26:27], v10 offset0:2 offset1:3
	ds_read2_b32 v[28:29], v10 offset0:4 offset1:5
	;; [unrolled: 1-line block ×6, first 2 shown]
	ds_read_b32 v54, v10 offset:56
	v_cmp_lt_i32_e64 s[6:7], v19, v18
	s_waitcnt vmcnt(14) lgkmcnt(7)
	v_mul_f32_e32 v23, v25, v23
	s_waitcnt vmcnt(13)
	v_fmac_f32_e32 v23, v24, v40
	s_waitcnt vmcnt(12) lgkmcnt(6)
	v_fmac_f32_e32 v23, v26, v41
	s_waitcnt vmcnt(11)
	v_fmac_f32_e32 v23, v27, v42
	s_waitcnt vmcnt(10) lgkmcnt(5)
	v_fmac_f32_e32 v23, v28, v43
	;; [unrolled: 4-line block ×6, first 2 shown]
	v_cndmask_b32_e64 v55, v17, v19, s[6:7]
	s_waitcnt vmcnt(1)
	v_fmac_f32_e32 v23, v39, v52
	v_lshlrev_b32_e32 v55, 2, v55
	s_waitcnt vmcnt(0) lgkmcnt(0)
	v_fmac_f32_e32 v23, v54, v53
	ds_bpermute_b32 v24, v55, v23
	v_cmp_lt_i32_e64 s[6:7], v20, v18
	s_waitcnt lgkmcnt(0)
	v_add_f32_e32 v23, v23, v24
	v_cndmask_b32_e64 v25, v17, v20, s[6:7]
	v_lshlrev_b32_e32 v25, 2, v25
	ds_bpermute_b32 v24, v25, v23
	v_cmp_lt_i32_e64 s[6:7], v21, v18
	s_waitcnt lgkmcnt(0)
	v_add_f32_e32 v23, v23, v24
	v_cndmask_b32_e64 v25, v17, v21, s[6:7]
	v_lshlrev_b32_e32 v25, 2, v25
	ds_bpermute_b32 v24, v25, v23
	s_and_saveexec_b64 s[38:39], vcc
	s_cbranch_execz .LBB5_11
; %bb.17:                               ;   in Loop: Header=BB5_13 Depth=1
	v_add_u32_e32 v25, v15, v13
	v_cvt_f32_i32_e32 v25, v25
	s_waitcnt lgkmcnt(0)
	v_add_f32_e32 v23, v23, v24
	v_add_u32_e32 v26, v9, v13
	v_cmp_gt_i32_e64 s[6:7], s33, v26
	v_mul_f32_e32 v24, s43, v25
	v_cndmask_b32_e64 v24, 0, v24, s[0:1]
	v_fmac_f32_e32 v24, s31, v23
	v_cndmask_b32_e64 v23, 0, v24, s[6:7]
	ds_write_b32 v14, v23
	v_max_f32_e32 v23, v12, v12
	v_max_f32_e32 v23, v23, v24
	v_cndmask_b32_e64 v12, v12, v23, s[6:7]
	s_branch .LBB5_11
.LBB5_18:
	s_or_b64 exec, exec, s[36:37]
.LBB5_19:
	s_or_b64 exec, exec, s[34:35]
	v_mbcnt_hi_u32_b32 v2, -1, v8
	v_and_b32_e32 v3, 64, v2
	v_add_u32_e32 v3, 64, v3
	v_xor_b32_e32 v4, 32, v2
	v_cmp_lt_i32_e32 vcc, v4, v3
	v_xor_b32_e32 v9, 16, v2
	v_max_f32_e32 v5, v12, v12
	v_cndmask_b32_e32 v4, v2, v4, vcc
	v_lshlrev_b32_e32 v8, 2, v4
	ds_bpermute_b32 v4, v8, v12
	v_cmp_lt_i32_e32 vcc, v9, v3
	v_xor_b32_e32 v11, 8, v2
	s_waitcnt lgkmcnt(0)
	v_max_f32_e32 v4, v4, v4
	v_max_f32_e32 v4, v5, v4
	v_cndmask_b32_e32 v5, v2, v9, vcc
	v_lshlrev_b32_e32 v10, 2, v5
	ds_bpermute_b32 v5, v10, v4
	v_cmp_lt_i32_e32 vcc, v11, v3
	s_waitcnt lgkmcnt(0)
	v_max_f32_e32 v5, v5, v5
	v_max_f32_e32 v9, v4, v5
	v_cndmask_b32_e32 v4, v2, v11, vcc
	v_lshlrev_b32_e32 v11, 2, v4
	ds_bpermute_b32 v12, v11, v9
	v_and_b32_e32 v4, 63, v0
	v_cmp_eq_u32_e32 vcc, 0, v4
	v_lshlrev_b32_e32 v5, 2, v30
	s_and_saveexec_b64 s[0:1], vcc
	s_cbranch_execz .LBB5_21
; %bb.20:
	s_waitcnt lgkmcnt(0)
	v_max_f32_e32 v12, v12, v12
	v_max_f32_e32 v9, v9, v9
	;; [unrolled: 1-line block ×3, first 2 shown]
	ds_write_b32 v5, v9 offset:480
.LBB5_21:
	s_or_b64 exec, exec, s[0:1]
	v_cmp_gt_u32_e64 s[0:1], 2, v4
	s_waitcnt lgkmcnt(0)
	v_mov_b32_e32 v12, 0xff7fffff
	v_lshlrev_b32_e32 v9, 2, v4
	s_barrier
	s_and_saveexec_b64 s[6:7], s[0:1]
	s_cbranch_execz .LBB5_23
; %bb.22:
	ds_read_b32 v12, v9 offset:480
.LBB5_23:
	s_or_b64 exec, exec, s[6:7]
	v_xor_b32_e32 v13, 1, v2
	v_cmp_lt_i32_e64 s[6:7], v13, v3
	v_lshlrev_b32_e32 v14, 2, v2
	s_nop 0
	v_cndmask_b32_e64 v13, v2, v13, s[6:7]
	v_lshlrev_b32_e32 v32, 2, v13
	s_waitcnt lgkmcnt(0)
	ds_bpermute_b32 v13, v32, v12
	v_max_f32_e32 v12, v12, v12
	s_lshl_b32 s6, s42, 3
	s_min_i32 s15, s6, s33
	v_cmp_gt_i32_e64 s[6:7], s15, v0
	s_waitcnt lgkmcnt(0)
	v_max_f32_e32 v13, v13, v13
	v_max_f32_e32 v13, v12, v13
	v_and_b32_e32 v12, 0x100, v14
	ds_bpermute_b32 v14, v12, v13
	v_mov_b32_e32 v13, 0
	s_and_saveexec_b64 s[30:31], s[6:7]
	s_cbranch_execz .LBB5_27
; %bb.24:
	v_mov_b32_e32 v13, 0x1f0
	v_lshl_add_u32 v15, v0, 2, v13
	s_mov_b64 s[34:35], 0
	v_mov_b32_e32 v13, 0
	v_mov_b32_e32 v16, v0
.LBB5_25:                               ; =>This Inner Loop Header: Depth=1
	ds_read_b32 v17, v15
	v_add_u32_e32 v16, 0x80, v16
	v_cmp_le_i32_e64 s[8:9], s15, v16
	s_or_b64 s[34:35], s[8:9], s[34:35]
	s_waitcnt lgkmcnt(0)
	v_sub_f32_e32 v17, v17, v14
	v_mul_f32_e32 v17, 0x3fb8aa3b, v17
	v_exp_f32_e32 v17, v17
	ds_write_b32 v15, v17
	v_add_f32_e32 v13, v13, v17
	v_add_u32_e32 v15, 0x200, v15
	s_andn2_b64 exec, exec, s[34:35]
	s_cbranch_execnz .LBB5_25
; %bb.26:
	s_or_b64 exec, exec, s[34:35]
.LBB5_27:
	s_or_b64 exec, exec, s[30:31]
	ds_bpermute_b32 v8, v8, v13
	s_waitcnt lgkmcnt(0)
	v_add_f32_e32 v8, v13, v8
	ds_bpermute_b32 v10, v10, v8
	s_waitcnt lgkmcnt(0)
	v_add_f32_e32 v8, v8, v10
	ds_bpermute_b32 v10, v11, v8
	v_xor_b32_e32 v11, 4, v2
	v_cmp_lt_i32_e64 s[8:9], v11, v3
	s_waitcnt lgkmcnt(0)
	v_add_f32_e32 v8, v8, v10
	v_cndmask_b32_e64 v11, v2, v11, s[8:9]
	v_lshlrev_b32_e32 v11, 2, v11
	ds_bpermute_b32 v10, v11, v8
	v_xor_b32_e32 v11, 2, v2
	v_cmp_lt_i32_e64 s[8:9], v11, v3
	s_waitcnt lgkmcnt(0)
	v_add_f32_e32 v3, v8, v10
	v_cndmask_b32_e64 v2, v2, v11, s[8:9]
	v_lshlrev_b32_e32 v2, 2, v2
	ds_bpermute_b32 v2, v2, v3
	s_waitcnt lgkmcnt(0)
	v_add_f32_e32 v2, v3, v2
	ds_bpermute_b32 v3, v32, v2
	s_waitcnt lgkmcnt(0)
	v_add_f32_e32 v2, v2, v3
	s_and_saveexec_b64 s[8:9], vcc
	s_cbranch_execz .LBB5_29
; %bb.28:
	ds_write_b32 v5, v2 offset:488
.LBB5_29:
	s_or_b64 exec, exec, s[8:9]
	s_waitcnt lgkmcnt(0)
	s_barrier
	s_and_saveexec_b64 s[8:9], s[0:1]
	s_cbranch_execz .LBB5_31
; %bb.30:
	ds_read_b32 v2, v9 offset:488
.LBB5_31:
	s_or_b64 exec, exec, s[8:9]
	s_waitcnt lgkmcnt(0)
	ds_bpermute_b32 v3, v32, v2
	s_waitcnt lgkmcnt(0)
	v_add_f32_e32 v2, v2, v3
	ds_bpermute_b32 v2, v12, v2
	s_and_saveexec_b64 s[0:1], s[6:7]
	s_cbranch_execz .LBB5_44
; %bb.32:
	s_waitcnt lgkmcnt(0)
	v_add_f32_e32 v2, 0x358637bd, v2
	v_div_scale_f32 v3, s[6:7], v2, v2, 1.0
	v_rcp_f32_e32 v5, v3
	v_div_scale_f32 v8, vcc, 1.0, v2, 1.0
	s_movk_i32 s6, 0x7f
	v_fma_f32 v9, -v3, v5, 1.0
	v_fmac_f32_e32 v5, v9, v5
	v_mul_f32_e32 v9, v8, v5
	v_fma_f32 v10, -v3, v9, v8
	v_fmac_f32_e32 v9, v10, v5
	v_fma_f32 v3, -v3, v9, v8
	v_div_fmas_f32 v3, v3, v5, v9
	v_xad_u32 v5, v0, -1, s15
	v_div_fixup_f32 v2, v3, v2, 1.0
	v_cmp_lt_u32_e32 vcc, s6, v5
	s_mov_b64 s[8:9], -1
	v_mov_b32_e32 v3, v0
	s_and_saveexec_b64 s[6:7], vcc
	s_cbranch_execz .LBB5_41
; %bb.33:
	v_lshrrev_b32_e32 v5, 7, v5
	v_add_u32_e32 v9, -1, v5
	v_lshrrev_b32_e32 v8, 1, v9
	v_mov_b32_e32 v3, v2
	v_add_u32_e32 v8, 1, v8
	v_cmp_lt_u32_e32 vcc, 13, v9
	v_mov_b32_e32 v11, 0
	s_and_saveexec_b64 s[8:9], vcc
	s_cbranch_execz .LBB5_37
; %bb.34:
	v_mov_b32_e32 v10, 0x1f0
	v_and_b32_e32 v9, -8, v8
	v_lshl_add_u32 v10, v0, 2, v10
	s_mov_b32 s16, 0
	s_mov_b64 s[30:31], 0
.LBB5_35:                               ; =>This Inner Loop Header: Depth=1
	ds_read2st64_b32 v[12:13], v10 offset1:2
	ds_read2st64_b32 v[14:15], v10 offset0:4 offset1:6
	ds_read2st64_b32 v[16:17], v10 offset0:8 offset1:10
	;; [unrolled: 1-line block ×3, first 2 shown]
	v_add_u32_e32 v9, -8, v9
	s_waitcnt lgkmcnt(3)
	v_pk_mul_f32 v[12:13], v[2:3], v[12:13]
	s_waitcnt lgkmcnt(2)
	v_pk_mul_f32 v[14:15], v[2:3], v[14:15]
	ds_write2st64_b32 v10, v12, v13 offset1:2
	ds_write2st64_b32 v10, v14, v15 offset0:4 offset1:6
	ds_read2st64_b32 v[14:15], v10 offset0:16 offset1:18
	s_waitcnt lgkmcnt(4)
	v_pk_mul_f32 v[12:13], v[2:3], v[16:17]
	ds_write2st64_b32 v10, v12, v13 offset0:8 offset1:10
	s_waitcnt lgkmcnt(4)
	v_pk_mul_f32 v[12:13], v[2:3], v[18:19]
	ds_write2st64_b32 v10, v12, v13 offset0:12 offset1:14
	ds_read2st64_b32 v[12:13], v10 offset0:20 offset1:22
	s_waitcnt lgkmcnt(3)
	v_pk_mul_f32 v[14:15], v[2:3], v[14:15]
	ds_read2st64_b32 v[16:17], v10 offset0:24 offset1:26
	ds_write2st64_b32 v10, v14, v15 offset0:16 offset1:18
	ds_read2st64_b32 v[14:15], v10 offset0:28 offset1:30
	s_waitcnt lgkmcnt(3)
	v_pk_mul_f32 v[12:13], v[2:3], v[12:13]
	ds_write2st64_b32 v10, v12, v13 offset0:20 offset1:22
	s_waitcnt lgkmcnt(3)
	v_pk_mul_f32 v[12:13], v[2:3], v[16:17]
	ds_write2st64_b32 v10, v12, v13 offset0:24 offset1:26
	s_waitcnt lgkmcnt(2)
	v_pk_mul_f32 v[12:13], v[2:3], v[14:15]
	s_add_i32 s16, s16, 16
	v_cmp_eq_u32_e32 vcc, 0, v9
	ds_write2st64_b32 v10, v12, v13 offset0:28 offset1:30
	v_add_u32_e32 v10, 0x2000, v10
	s_or_b64 s[30:31], vcc, s[30:31]
	v_mov_b32_e32 v11, s16
	s_andn2_b64 exec, exec, s[30:31]
	s_cbranch_execnz .LBB5_35
; %bb.36:
	s_or_b64 exec, exec, s[30:31]
.LBB5_37:
	s_or_b64 exec, exec, s[8:9]
	v_and_b32_e32 v8, 7, v8
	v_cmp_ne_u32_e32 vcc, 0, v8
	s_and_saveexec_b64 s[8:9], vcc
	s_cbranch_execz .LBB5_40
; %bb.38:
	v_lshlrev_b32_e32 v9, 9, v11
	s_movk_i32 s16, 0x1f0
	v_add3_u32 v9, v9, v6, s16
	s_mov_b64 s[30:31], 0
.LBB5_39:                               ; =>This Inner Loop Header: Depth=1
	ds_read2st64_b32 v[10:11], v9 offset1:2
	v_add_u32_e32 v8, -1, v8
	v_cmp_eq_u32_e32 vcc, 0, v8
	s_or_b64 s[30:31], vcc, s[30:31]
	s_waitcnt lgkmcnt(0)
	v_pk_mul_f32 v[10:11], v[2:3], v[10:11]
	ds_write2st64_b32 v9, v10, v11 offset1:2
	v_add_u32_e32 v9, 0x400, v9
	s_andn2_b64 exec, exec, s[30:31]
	s_cbranch_execnz .LBB5_39
.LBB5_40:
	s_or_b64 exec, exec, s[8:9]
	v_add_u32_e32 v5, 1, v5
	v_and_b32_e32 v8, 0x3fffffe, v5
	v_cmp_ne_u32_e32 vcc, v5, v8
	v_lshl_add_u32 v3, v8, 7, v0
	s_orn2_b64 s[8:9], vcc, exec
.LBB5_41:
	s_or_b64 exec, exec, s[6:7]
	s_and_b64 exec, exec, s[8:9]
	s_cbranch_execz .LBB5_44
; %bb.42:
	v_mov_b32_e32 v5, 0x1f0
	v_lshl_add_u32 v5, v3, 2, v5
	s_mov_b64 s[6:7], 0
.LBB5_43:                               ; =>This Inner Loop Header: Depth=1
	ds_read_b32 v8, v5
	v_add_u32_e32 v3, 0x80, v3
	v_cmp_le_i32_e32 vcc, s15, v3
	s_or_b64 s[6:7], vcc, s[6:7]
	s_waitcnt lgkmcnt(0)
	v_mul_f32_e32 v8, v2, v8
	ds_write_b32 v5, v8
	v_add_u32_e32 v5, 0x200, v5
	s_andn2_b64 exec, exec, s[6:7]
	s_cbranch_execnz .LBB5_43
.LBB5_44:
	s_or_b64 exec, exec, s[0:1]
	s_mov_b32 s0, 0
	v_mov_b32_e32 v5, 0
	v_lshrrev_b32_e32 v34, 1, v4
	v_and_b32_e32 v33, 1, v0
	v_mov_b32_e32 v4, 0
	v_mov_b32_e32 v3, 0
	s_waitcnt lgkmcnt(0)
	v_mov_b32_e32 v2, 0
	s_barrier
	s_and_saveexec_b64 s[6:7], s[2:3]
	s_cbranch_execz .LBB5_60
; %bb.45:
	s_ashr_i32 s15, s14, 31
	s_sub_i32 s30, s12, s17
	s_lshl_b64 s[2:3], s[14:15], 2
	s_add_u32 s8, s28, s2
	s_addc_u32 s9, s29, s3
	s_abs_i32 s18, s18
	v_cvt_f32_u32_e32 v2, s18
	v_or_b32_e32 v3, 0x60, v34
	s_movk_i32 s1, 0x78
	v_and_b32_e32 v35, 4, v6
	v_rcp_iflag_f32_e32 v2, v2
	v_cmp_gt_u32_e32 vcc, s1, v3
	s_sub_i32 s1, 0, s18
	s_add_i32 s29, s42, -1
	v_mul_f32_e32 v2, 0x4f7ffffe, v2
	v_cvt_u32_f32_e32 v2, v2
	v_lshl_or_b32 v8, v3, 3, v35
	s_lshl_b64 s[2:3], s[26:27], 2
	s_add_u32 s2, s24, s2
	v_mul_lo_u32 v3, s1, v2
	v_mul_hi_u32 v3, v2, v3
	v_mov_b32_e32 v23, 0
	v_add_u32_e32 v36, v2, v3
	v_and_b32_e32 v22, 60, v7
	s_addc_u32 s3, s25, s3
	v_lshlrev_b32_e32 v2, 4, v33
	v_lshl_add_u64 v[24:25], s[2:3], 0, v[22:23]
	v_lshl_or_b32 v2, v30, 5, v2
	s_mov_b32 s2, s0
	s_mov_b32 s3, s0
	v_lshl_or_b32 v6, v34, 3, v35
	v_add_u32_e32 v37, 0x1f0, v2
	s_mov_b32 s1, s0
	v_mov_b64_e32 v[4:5], s[2:3]
	s_mov_b32 s28, s13
	s_mov_b64 s[12:13], 0
	v_mov_b64_e32 v[2:3], s[0:1]
	v_lshlrev_b32_e32 v22, 2, v6
	v_lshlrev_b32_e32 v26, 2, v8
	s_branch .LBB5_49
.LBB5_46:                               ;   in Loop: Header=BB5_49 Depth=1
	s_or_b64 exec, exec, s[16:17]
	s_waitcnt vmcnt(0)
	v_mul_f32_e32 v7, v7, v11
	v_fmac_f32_e32 v7, v6, v10
	v_fmac_f32_e32 v7, v8, v12
	;; [unrolled: 1-line block ×3, first 2 shown]
	v_add_f32_e32 v5, v5, v7
.LBB5_47:                               ;   in Loop: Header=BB5_49 Depth=1
	s_or_b64 exec, exec, s[2:3]
.LBB5_48:                               ;   in Loop: Header=BB5_49 Depth=1
	s_or_b64 exec, exec, s[14:15]
	v_add_u32_e32 v30, 2, v30
	v_cmp_le_i32_e64 s[0:1], s42, v30
	v_lshl_add_u64 v[24:25], v[24:25], 0, 8
	v_add_u32_e32 v31, 16, v31
	s_or_b64 s[12:13], s[0:1], s[12:13]
	v_add_u32_e32 v37, 64, v37
	s_andn2_b64 exec, exec, s[12:13]
	s_cbranch_execz .LBB5_59
.LBB5_49:                               ; =>This Inner Loop Header: Depth=1
	v_mul_hi_u32 v6, v31, s40
	v_mul_lo_u32 v7, v6, s21
	v_sub_u32_e32 v7, v31, v7
	v_add_u32_e32 v8, 1, v6
	v_cmp_le_u32_e64 s[0:1], s21, v7
	s_nop 1
	v_cndmask_b32_e64 v6, v6, v8, s[0:1]
	v_subrev_u32_e32 v8, s21, v7
	v_cndmask_b32_e64 v7, v7, v8, s[0:1]
	v_add_u32_e32 v8, 1, v6
	v_cmp_le_u32_e64 s[0:1], s21, v7
	s_nop 1
	v_cndmask_b32_e64 v6, v6, v8, s[0:1]
	v_xor_b32_e32 v6, s19, v6
	v_subrev_u32_e32 v6, s19, v6
	v_add_u32_e32 v7, s41, v6
	v_sub_u32_e32 v9, 0, v7
	v_ashrrev_i32_e32 v8, 31, v7
	v_max_i32_e32 v7, v7, v9
	v_mul_hi_u32 v9, v7, v36
	v_mul_lo_u32 v9, v9, s18
	v_sub_u32_e32 v7, v7, v9
	v_subrev_u32_e32 v9, s18, v7
	v_cmp_le_u32_e64 s[0:1], s18, v7
	v_cmp_lt_i32_e64 s[2:3], s30, v6
	s_nop 0
	v_cndmask_b32_e64 v7, v7, v9, s[0:1]
	v_subrev_u32_e32 v9, s18, v7
	v_cmp_le_u32_e64 s[0:1], s18, v7
	s_nop 1
	v_cndmask_b32_e64 v7, v7, v9, s[0:1]
	v_xor_b32_e32 v7, v7, v8
	v_sub_u32_e32 v7, v7, v8
	v_cmp_eq_u32_e64 s[0:1], 0, v7
	s_or_b64 s[0:1], s[0:1], s[2:3]
	s_and_saveexec_b64 s[14:15], s[0:1]
	s_cbranch_execz .LBB5_48
; %bb.50:                               ;   in Loop: Header=BB5_49 Depth=1
	global_load_dword v6, v[24:25], off
	v_add_u32_e32 v38, v35, v31
	s_waitcnt vmcnt(0)
	v_mad_i64_i32 v[6:7], s[0:1], v6, s28, 0
	v_lshl_add_u64 v[28:29], v[6:7], 2, s[8:9]
	v_lshl_add_u64 v[18:19], v[28:29], 0, v[22:23]
	global_load_dwordx4 v[10:13], v[18:19], off
	ds_read_b128 v[6:9], v37
	v_cmp_eq_u32_e64 s[0:1], s29, v30
	s_and_saveexec_b64 s[16:17], s[0:1]
	s_cbranch_execnz .LBB5_57
; %bb.51:                               ;   in Loop: Header=BB5_49 Depth=1
	s_or_b64 exec, exec, s[16:17]
	global_load_dwordx4 v[14:17], v[18:19], off offset:1024
	s_and_saveexec_b64 s[16:17], s[0:1]
	s_cbranch_execnz .LBB5_58
.LBB5_52:                               ;   in Loop: Header=BB5_49 Depth=1
	s_or_b64 exec, exec, s[16:17]
	global_load_dwordx4 v[18:21], v[18:19], off offset:2048
	s_and_saveexec_b64 s[16:17], s[0:1]
	s_cbranch_execz .LBB5_54
.LBB5_53:                               ;   in Loop: Header=BB5_49 Depth=1
	v_cmp_gt_i32_e64 s[2:3], s33, v38
	v_add_u32_e32 v27, 1, v38
	s_waitcnt vmcnt(0)
	v_cndmask_b32_e64 v18, 0, v18, s[2:3]
	v_cmp_gt_i32_e64 s[2:3], s33, v27
	v_add_u32_e32 v27, 2, v38
	s_nop 0
	v_cndmask_b32_e64 v19, 0, v19, s[2:3]
	v_cmp_gt_i32_e64 s[2:3], s33, v27
	v_add_u32_e32 v27, 3, v38
	s_nop 0
	v_cndmask_b32_e64 v20, 0, v20, s[2:3]
	v_cmp_gt_i32_e64 s[2:3], s33, v27
	s_nop 1
	v_cndmask_b32_e64 v21, 0, v21, s[2:3]
.LBB5_54:                               ;   in Loop: Header=BB5_49 Depth=1
	s_or_b64 exec, exec, s[16:17]
	s_waitcnt vmcnt(2) lgkmcnt(0)
	v_mul_f32_e32 v11, v7, v11
	v_fmac_f32_e32 v11, v6, v10
	s_waitcnt vmcnt(1)
	v_mul_f32_e32 v10, v7, v15
	v_fmac_f32_e32 v10, v6, v14
	v_fmac_f32_e32 v10, v8, v16
	;; [unrolled: 1-line block ×3, first 2 shown]
	v_add_f32_e32 v3, v3, v10
	s_waitcnt vmcnt(0)
	v_mul_f32_e32 v10, v7, v19
	v_fmac_f32_e32 v10, v6, v18
	v_fmac_f32_e32 v11, v8, v12
	;; [unrolled: 1-line block ×5, first 2 shown]
	v_add_f32_e32 v2, v2, v11
	v_add_f32_e32 v4, v4, v10
	s_and_saveexec_b64 s[2:3], vcc
	s_cbranch_execz .LBB5_47
; %bb.55:                               ;   in Loop: Header=BB5_49 Depth=1
	v_mov_b32_e32 v27, v23
	v_lshl_add_u64 v[10:11], v[28:29], 0, v[26:27]
	global_load_dwordx4 v[10:13], v[10:11], off
	s_and_saveexec_b64 s[16:17], s[0:1]
	s_cbranch_execz .LBB5_46
; %bb.56:                               ;   in Loop: Header=BB5_49 Depth=1
	v_cmp_gt_i32_e64 s[0:1], s33, v38
	v_add_u32_e32 v14, 1, v38
	s_waitcnt vmcnt(0)
	v_cndmask_b32_e64 v10, 0, v10, s[0:1]
	v_cmp_gt_i32_e64 s[0:1], s33, v14
	v_add_u32_e32 v14, 2, v38
	s_nop 0
	v_cndmask_b32_e64 v11, 0, v11, s[0:1]
	v_cmp_gt_i32_e64 s[0:1], s33, v14
	v_add_u32_e32 v14, 3, v38
	s_nop 0
	v_cndmask_b32_e64 v12, 0, v12, s[0:1]
	v_cmp_gt_i32_e64 s[0:1], s33, v14
	s_nop 1
	v_cndmask_b32_e64 v13, 0, v13, s[0:1]
	s_branch .LBB5_46
.LBB5_57:                               ;   in Loop: Header=BB5_49 Depth=1
	v_cmp_gt_i32_e64 s[2:3], s33, v38
	v_add_u32_e32 v14, 1, v38
	s_waitcnt vmcnt(0)
	v_cndmask_b32_e64 v10, 0, v10, s[2:3]
	v_cmp_gt_i32_e64 s[2:3], s33, v14
	v_add_u32_e32 v14, 2, v38
	s_nop 0
	v_cndmask_b32_e64 v11, 0, v11, s[2:3]
	v_cmp_gt_i32_e64 s[2:3], s33, v14
	v_add_u32_e32 v14, 3, v38
	s_nop 0
	v_cndmask_b32_e64 v12, 0, v12, s[2:3]
	v_cmp_gt_i32_e64 s[2:3], s33, v14
	s_nop 1
	v_cndmask_b32_e64 v13, 0, v13, s[2:3]
	s_or_b64 exec, exec, s[16:17]
	global_load_dwordx4 v[14:17], v[18:19], off offset:1024
	s_and_saveexec_b64 s[16:17], s[0:1]
	s_cbranch_execz .LBB5_52
.LBB5_58:                               ;   in Loop: Header=BB5_49 Depth=1
	v_cmp_gt_i32_e64 s[2:3], s33, v38
	v_add_u32_e32 v20, 1, v38
	s_waitcnt vmcnt(0)
	v_cndmask_b32_e64 v14, 0, v14, s[2:3]
	v_cmp_gt_i32_e64 s[2:3], s33, v20
	v_add_u32_e32 v20, 2, v38
	s_nop 0
	v_cndmask_b32_e64 v15, 0, v15, s[2:3]
	v_cmp_gt_i32_e64 s[2:3], s33, v20
	v_add_u32_e32 v20, 3, v38
	s_nop 0
	v_cndmask_b32_e64 v16, 0, v16, s[2:3]
	v_cmp_gt_i32_e64 s[2:3], s33, v20
	s_nop 1
	v_cndmask_b32_e64 v17, 0, v17, s[2:3]
	s_or_b64 exec, exec, s[16:17]
	global_load_dwordx4 v[18:21], v[18:19], off offset:2048
	s_and_saveexec_b64 s[16:17], s[0:1]
	s_cbranch_execnz .LBB5_53
	s_branch .LBB5_54
.LBB5_59:
	s_or_b64 exec, exec, s[12:13]
.LBB5_60:
	s_or_b64 exec, exec, s[6:7]
	ds_bpermute_b32 v6, v32, v2
	ds_bpermute_b32 v7, v32, v3
	;; [unrolled: 1-line block ×4, first 2 shown]
	s_waitcnt lgkmcnt(0)
	s_barrier
	v_pk_add_f32 v[6:7], v[2:3], v[6:7]
	v_pk_add_f32 v[2:3], v[4:5], v[8:9]
	v_and_b32_e32 v4, 0x3c0, v0
	v_cmp_eq_u32_e32 vcc, 64, v4
	s_and_saveexec_b64 s[2:3], vcc
	s_cbranch_execz .LBB5_65
; %bb.61:
	v_cmp_eq_u32_e32 vcc, 0, v33
	s_and_saveexec_b64 s[0:1], vcc
	s_cbranch_execz .LBB5_63
; %bb.62:
	v_mov_b32_e32 v4, 0x1f0
	v_lshl_add_u32 v4, v34, 2, v4
	ds_write2_b32 v4, v6, v7 offset1:32
	ds_write_b32 v4, v2 offset:256
.LBB5_63:
	s_or_b64 exec, exec, s[0:1]
	v_or_b32_e32 v4, 0x60, v34
	s_movk_i32 s0, 0x78
	v_cmp_gt_u32_e64 s[0:1], s0, v4
	s_and_b64 s[0:1], vcc, s[0:1]
	s_and_b64 exec, exec, s[0:1]
	s_cbranch_execz .LBB5_65
; %bb.64:
	v_mov_b32_e32 v4, 0x1f0
	v_lshl_add_u32 v4, v34, 2, v4
	ds_write_b32 v4, v3 offset:384
.LBB5_65:
	s_or_b64 exec, exec, s[2:3]
	v_cmp_gt_u32_e32 vcc, 64, v0
	s_waitcnt lgkmcnt(0)
	s_barrier
	s_and_saveexec_b64 s[6:7], vcc
	s_cbranch_execz .LBB5_73
; %bb.66:
	v_cmp_eq_u32_e64 s[0:1], 0, v33
	s_and_saveexec_b64 s[2:3], s[0:1]
	s_cbranch_execnz .LBB5_79
; %bb.67:
	s_or_b64 exec, exec, s[2:3]
	s_and_saveexec_b64 s[2:3], s[0:1]
	s_cbranch_execnz .LBB5_80
.LBB5_68:
	s_or_b64 exec, exec, s[2:3]
	s_and_saveexec_b64 s[2:3], s[0:1]
	s_cbranch_execz .LBB5_70
.LBB5_69:
	v_mov_b32_e32 v0, 0x1f0
	v_lshl_add_u32 v0, v1, 2, v0
	ds_read_b32 v0, v0 offset:256
	s_waitcnt lgkmcnt(0)
	v_add_f32_e32 v2, v2, v0
.LBB5_70:
	s_or_b64 exec, exec, s[2:3]
	v_or_b32_e32 v0, 0x60, v1
	s_movk_i32 s2, 0x78
	v_cmp_gt_u32_e64 s[2:3], s2, v0
	s_and_b64 s[2:3], s[0:1], s[2:3]
	s_and_saveexec_b64 s[0:1], s[2:3]
	s_cbranch_execz .LBB5_72
; %bb.71:
	v_mov_b32_e32 v0, 0x1f0
	v_lshl_add_u32 v0, v1, 2, v0
	ds_read_b32 v0, v0 offset:384
	s_waitcnt lgkmcnt(0)
	v_add_f32_e32 v3, v3, v0
.LBB5_72:
	s_or_b64 exec, exec, s[0:1]
.LBB5_73:
	s_or_b64 exec, exec, s[6:7]
	s_barrier
	s_and_saveexec_b64 s[0:1], vcc
	s_cbranch_execz .LBB5_78
; %bb.74:
	s_mul_i32 s0, s10, s11
	s_mul_i32 s0, s0, s5
	s_mulk_i32 s0, 0x78
	s_ashr_i32 s1, s0, 31
	s_lshl_b64 s[0:1], s[0:1], 2
	s_add_u32 s2, s22, s0
	s_mul_i32 s0, s11, s20
	s_addc_u32 s3, s23, s1
	s_ashr_i32 s1, s0, 31
	s_lshl_b64 s[0:1], s[0:1], 2
	s_add_u32 s2, s2, s0
	s_mul_i32 s0, s4, 0x78
	s_addc_u32 s3, s3, s1
	s_ashr_i32 s1, s0, 31
	s_lshl_b64 s[0:1], s[0:1], 2
	s_add_u32 s2, s2, s0
	s_movk_i32 s5, 0x78
	s_addc_u32 s3, s3, s1
	v_cmp_eq_u32_e32 vcc, 0, v33
	v_lshlrev_b32_e32 v0, 2, v1
	s_and_saveexec_b64 s[0:1], vcc
	s_cbranch_execz .LBB5_76
; %bb.75:
	global_store_dword v0, v6, s[2:3]
	global_store_dword v0, v7, s[2:3] offset:128
	global_store_dword v0, v2, s[2:3] offset:256
.LBB5_76:
	s_or_b64 exec, exec, s[0:1]
	v_or_b32_e32 v1, 0x60, v1
	v_cmp_gt_u32_e64 s[0:1], s5, v1
	s_and_b64 s[0:1], vcc, s[0:1]
	s_and_b64 exec, exec, s[0:1]
	s_cbranch_execz .LBB5_78
; %bb.77:
	global_store_dword v0, v3, s[2:3] offset:384
.LBB5_78:
	s_endpgm
.LBB5_79:
	v_mov_b32_e32 v0, 0x1f0
	v_lshl_add_u32 v0, v1, 2, v0
	ds_read_b32 v0, v0
	s_waitcnt lgkmcnt(0)
	v_add_f32_e32 v6, v6, v0
	s_or_b64 exec, exec, s[2:3]
	s_and_saveexec_b64 s[2:3], s[0:1]
	s_cbranch_execz .LBB5_68
.LBB5_80:
	v_mov_b32_e32 v0, 0x1f0
	v_lshl_add_u32 v0, v1, 2, v0
	ds_read_b32 v0, v0 offset:128
	s_waitcnt lgkmcnt(0)
	v_add_f32_e32 v7, v7, v0
	s_or_b64 exec, exec, s[2:3]
	s_and_saveexec_b64 s[2:3], s[0:1]
	s_cbranch_execnz .LBB5_69
	s_branch .LBB5_70
	.section	.rodata,"a",@progbits
	.p2align	6, 0x0
	.amdhsa_kernel _ZN4vllm25paged_attention_v1_kernelIffLi120ELi8ELi128ELNS_18Fp8KVCacheDataTypeE0ELb1EEEvPT_PKS2_PKT0_S8_ifPKiSA_iPKfiiiSC_SC_iiiii
		.amdhsa_group_segment_fixed_size 496
		.amdhsa_private_segment_fixed_size 0
		.amdhsa_kernarg_size 384
		.amdhsa_user_sgpr_count 2
		.amdhsa_user_sgpr_dispatch_ptr 0
		.amdhsa_user_sgpr_queue_ptr 0
		.amdhsa_user_sgpr_kernarg_segment_ptr 1
		.amdhsa_user_sgpr_dispatch_id 0
		.amdhsa_user_sgpr_kernarg_preload_length 0
		.amdhsa_user_sgpr_kernarg_preload_offset 0
		.amdhsa_user_sgpr_private_segment_size 0
		.amdhsa_uses_dynamic_stack 0
		.amdhsa_enable_private_segment 0
		.amdhsa_system_sgpr_workgroup_id_x 1
		.amdhsa_system_sgpr_workgroup_id_y 1
		.amdhsa_system_sgpr_workgroup_id_z 1
		.amdhsa_system_sgpr_workgroup_info 0
		.amdhsa_system_vgpr_workitem_id 0
		.amdhsa_next_free_vgpr 56
		.amdhsa_next_free_sgpr 44
		.amdhsa_accum_offset 56
		.amdhsa_reserve_vcc 1
		.amdhsa_float_round_mode_32 0
		.amdhsa_float_round_mode_16_64 0
		.amdhsa_float_denorm_mode_32 3
		.amdhsa_float_denorm_mode_16_64 3
		.amdhsa_dx10_clamp 1
		.amdhsa_ieee_mode 1
		.amdhsa_fp16_overflow 0
		.amdhsa_tg_split 0
		.amdhsa_exception_fp_ieee_invalid_op 0
		.amdhsa_exception_fp_denorm_src 0
		.amdhsa_exception_fp_ieee_div_zero 0
		.amdhsa_exception_fp_ieee_overflow 0
		.amdhsa_exception_fp_ieee_underflow 0
		.amdhsa_exception_fp_ieee_inexact 0
		.amdhsa_exception_int_div_zero 0
	.end_amdhsa_kernel
	.section	.text._ZN4vllm25paged_attention_v1_kernelIffLi120ELi8ELi128ELNS_18Fp8KVCacheDataTypeE0ELb1EEEvPT_PKS2_PKT0_S8_ifPKiSA_iPKfiiiSC_SC_iiiii,"axG",@progbits,_ZN4vllm25paged_attention_v1_kernelIffLi120ELi8ELi128ELNS_18Fp8KVCacheDataTypeE0ELb1EEEvPT_PKS2_PKT0_S8_ifPKiSA_iPKfiiiSC_SC_iiiii,comdat
.Lfunc_end5:
	.size	_ZN4vllm25paged_attention_v1_kernelIffLi120ELi8ELi128ELNS_18Fp8KVCacheDataTypeE0ELb1EEEvPT_PKS2_PKT0_S8_ifPKiSA_iPKfiiiSC_SC_iiiii, .Lfunc_end5-_ZN4vllm25paged_attention_v1_kernelIffLi120ELi8ELi128ELNS_18Fp8KVCacheDataTypeE0ELb1EEEvPT_PKS2_PKT0_S8_ifPKiSA_iPKfiiiSC_SC_iiiii
                                        ; -- End function
	.section	.AMDGPU.csdata,"",@progbits
; Kernel info:
; codeLenInByte = 4984
; NumSgprs: 50
; NumVgprs: 56
; NumAgprs: 0
; TotalNumVgprs: 56
; ScratchSize: 0
; MemoryBound: 0
; FloatMode: 240
; IeeeMode: 1
; LDSByteSize: 496 bytes/workgroup (compile time only)
; SGPRBlocks: 6
; VGPRBlocks: 6
; NumSGPRsForWavesPerEU: 50
; NumVGPRsForWavesPerEU: 56
; AccumOffset: 56
; Occupancy: 8
; WaveLimiterHint : 1
; COMPUTE_PGM_RSRC2:SCRATCH_EN: 0
; COMPUTE_PGM_RSRC2:USER_SGPR: 2
; COMPUTE_PGM_RSRC2:TRAP_HANDLER: 0
; COMPUTE_PGM_RSRC2:TGID_X_EN: 1
; COMPUTE_PGM_RSRC2:TGID_Y_EN: 1
; COMPUTE_PGM_RSRC2:TGID_Z_EN: 1
; COMPUTE_PGM_RSRC2:TIDIG_COMP_CNT: 0
; COMPUTE_PGM_RSRC3_GFX90A:ACCUM_OFFSET: 13
; COMPUTE_PGM_RSRC3_GFX90A:TG_SPLIT: 0
	.section	.text._ZN4vllm25paged_attention_v1_kernelIffLi128ELi8ELi128ELNS_18Fp8KVCacheDataTypeE0ELb1EEEvPT_PKS2_PKT0_S8_ifPKiSA_iPKfiiiSC_SC_iiiii,"axG",@progbits,_ZN4vllm25paged_attention_v1_kernelIffLi128ELi8ELi128ELNS_18Fp8KVCacheDataTypeE0ELb1EEEvPT_PKS2_PKT0_S8_ifPKiSA_iPKfiiiSC_SC_iiiii,comdat
	.protected	_ZN4vllm25paged_attention_v1_kernelIffLi128ELi8ELi128ELNS_18Fp8KVCacheDataTypeE0ELb1EEEvPT_PKS2_PKT0_S8_ifPKiSA_iPKfiiiSC_SC_iiiii ; -- Begin function _ZN4vllm25paged_attention_v1_kernelIffLi128ELi8ELi128ELNS_18Fp8KVCacheDataTypeE0ELb1EEEvPT_PKS2_PKT0_S8_ifPKiSA_iPKfiiiSC_SC_iiiii
	.globl	_ZN4vllm25paged_attention_v1_kernelIffLi128ELi8ELi128ELNS_18Fp8KVCacheDataTypeE0ELb1EEEvPT_PKS2_PKT0_S8_ifPKiSA_iPKfiiiSC_SC_iiiii
	.p2align	8
	.type	_ZN4vllm25paged_attention_v1_kernelIffLi128ELi8ELi128ELNS_18Fp8KVCacheDataTypeE0ELb1EEEvPT_PKS2_PKT0_S8_ifPKiSA_iPKfiiiSC_SC_iiiii,@function
_ZN4vllm25paged_attention_v1_kernelIffLi128ELi8ELi128ELNS_18Fp8KVCacheDataTypeE0ELb1EEEvPT_PKS2_PKT0_S8_ifPKiSA_iPKfiiiSC_SC_iiiii: ; @_ZN4vllm25paged_attention_v1_kernelIffLi128ELi8ELi128ELNS_18Fp8KVCacheDataTypeE0ELb1EEEvPT_PKS2_PKT0_S8_ifPKiSA_iPKfiiiSC_SC_iiiii
; %bb.0:
	s_load_dword s5, s[0:1], 0x80
	s_load_dwordx2 s[6:7], s[0:1], 0x30
	s_load_dwordx2 s[30:31], s[0:1], 0x20
	s_mov_b32 s10, s3
	s_ashr_i32 s11, s3, 31
	s_lshl_b64 s[8:9], s[10:11], 2
	s_waitcnt lgkmcnt(0)
	s_add_u32 s6, s6, s8
	s_addc_u32 s7, s7, s9
	s_abs_i32 s3, s30
	v_cvt_f32_u32_e32 v1, s3
	s_sub_i32 s11, 0, s3
	s_abs_i32 s9, s5
	s_xor_b32 s8, s5, s30
	v_rcp_iflag_f32_e32 v1, v1
	s_ashr_i32 s8, s8, 31
	s_mov_b32 s42, 0
	v_mul_f32_e32 v1, 0x4f7ffffe, v1
	v_cvt_u32_f32_e32 v1, v1
	s_nop 0
	v_readfirstlane_b32 s12, v1
	s_mul_i32 s11, s11, s12
	s_mul_hi_u32 s11, s12, s11
	s_add_i32 s12, s12, s11
	s_mul_hi_u32 s11, s9, s12
	s_mul_i32 s12, s11, s3
	s_sub_i32 s9, s9, s12
	s_add_i32 s12, s11, 1
	s_sub_i32 s13, s9, s3
	s_cmp_ge_u32 s9, s3
	s_cselect_b32 s11, s12, s11
	s_cselect_b32 s9, s13, s9
	s_add_i32 s12, s11, 1
	s_cmp_ge_u32 s9, s3
	s_cselect_b32 s3, s12, s11
	s_xor_b32 s3, s3, s8
	s_sub_i32 s12, s3, s8
	s_abs_i32 s11, s12
	v_cvt_f32_u32_e32 v1, s11
	s_load_dwordx2 s[8:9], s[0:1], 0x40
	s_sub_i32 s3, 0, s11
	s_abs_i32 s22, s2
	v_rcp_iflag_f32_e32 v1, v1
	s_nop 0
	v_mul_f32_e32 v1, 0x4f7ffffe, v1
	v_cvt_u32_f32_e32 v1, v1
	s_nop 0
	v_readfirstlane_b32 s13, v1
	s_mul_i32 s3, s3, s13
	s_mul_hi_u32 s3, s13, s3
	s_add_i32 s13, s13, s3
	s_waitcnt lgkmcnt(0)
	s_cmp_eq_u64 s[8:9], 0
	s_mul_hi_u32 s23, s22, s13
	s_cbranch_scc1 .LBB6_2
; %bb.1:
	s_ashr_i32 s3, s2, 31
	s_lshl_b64 s[14:15], s[2:3], 2
	s_add_u32 s8, s8, s14
	s_addc_u32 s9, s9, s15
	s_load_dword s42, s[8:9], 0x0
.LBB6_2:
	s_load_dword s33, s[6:7], 0x0
	s_ashr_i32 s9, s12, 31
	s_load_dwordx4 s[12:15], s[0:1], 0x48
	s_movk_i32 s3, 0x80
	s_ashr_i32 s8, s2, 31
	v_and_b32_e32 v2, 7, v0
	s_lshl_b32 s20, s2, 7
	v_cmp_gt_u32_e32 vcc, s3, v0
	v_lshlrev_b32_e32 v6, 2, v0
	v_lshrrev_b32_e32 v1, 1, v0
	s_and_saveexec_b64 s[6:7], vcc
	s_cbranch_execz .LBB6_4
; %bb.3:
	s_load_dwordx2 s[16:17], s[0:1], 0x8
	s_waitcnt lgkmcnt(0)
	s_mul_i32 s18, s10, s12
	s_ashr_i32 s19, s18, 31
	s_lshl_b64 s[18:19], s[18:19], 2
	v_and_b32_e32 v4, 0x1fc, v1
	s_add_u32 s3, s16, s18
	s_addc_u32 s12, s17, s19
	s_ashr_i32 s21, s20, 31
	s_lshl_b64 s[16:17], s[20:21], 2
	s_add_u32 s16, s3, s16
	s_addc_u32 s17, s12, s17
	global_load_dword v3, v6, s[16:17]
	v_lshl_add_u32 v4, v2, 6, v4
	s_waitcnt vmcnt(0)
	ds_write_b32 v4, v3
.LBB6_4:
	s_or_b64 exec, exec, s[6:7]
	s_mul_i32 s7, s23, s11
	s_sub_i32 s7, s22, s7
	s_xor_b32 s6, s8, s9
	s_add_i32 s8, s23, 1
	s_sub_i32 s9, s7, s11
	s_load_dwordx4 s[16:19], s[0:1], 0x68
	s_load_dword s3, s[0:1], 0x78
	s_cmp_ge_u32 s7, s11
	s_cselect_b32 s8, s8, s23
	s_cselect_b32 s7, s9, s7
	s_add_i32 s9, s8, 1
	s_cmp_ge_u32 s7, s11
	s_cselect_b32 s7, s9, s8
	s_waitcnt lgkmcnt(0)
	s_abs_i32 s21, s19
	v_cvt_f32_u32_e32 v3, s21
	s_xor_b32 s7, s7, s6
	s_sub_i32 s8, s7, s6
	s_sub_i32 s6, 0, s21
	v_rcp_iflag_f32_e32 v3, v3
	s_add_i32 s11, s33, -1
	s_abs_i32 s9, s11
	v_mul_f32_e32 v3, 0x4f7ffffe, v3
	v_cvt_u32_f32_e32 v3, v3
	s_barrier
	v_readfirstlane_b32 s40, v3
	s_mul_i32 s6, s6, s40
	s_mul_hi_u32 s6, s40, s6
	s_add_i32 s40, s40, s6
	s_cmp_lt_i32 s3, 0
	s_mul_hi_u32 s12, s9, s40
	s_cbranch_scc0 .LBB6_6
; %bb.5:
	s_mul_i32 s6, s16, s30
	s_add_i32 s6, s8, s6
	s_mul_i32 s6, s6, s3
	s_sub_i32 s41, 1, s6
	s_mov_b64 s[6:7], 0
	s_branch .LBB6_7
.LBB6_6:
	s_mov_b64 s[6:7], -1
                                        ; implicit-def: $sgpr41
.LBB6_7:
	s_load_dwordx2 s[24:25], s[0:1], 0x28
	s_ashr_i32 s15, s11, 31
	s_andn2_b64 vcc, exec, s[6:7]
	s_ashr_i32 s19, s19, 31
	s_cbranch_vccnz .LBB6_9
; %bb.8:
	s_mul_i32 s6, s5, s16
	s_add_i32 s2, s6, s2
	s_mul_i32 s2, s2, s3
	s_add_i32 s41, s2, 1
.LBB6_9:
	s_load_dword s2, s[0:1], 0x38
	s_load_dwordx2 s[22:23], s[0:1], 0x0
	s_load_dwordx2 s[28:29], s[0:1], 0x18
	s_load_dword s11, s[0:1], 0x88
	s_xor_b32 s3, s15, s19
	s_waitcnt lgkmcnt(0)
	s_mul_i32 s26, s10, s2
	s_mul_i32 s2, s12, s21
	s_sub_i32 s2, s9, s2
	s_ashr_i32 s27, s26, 31
	s_add_i32 s6, s12, 1
	s_sub_i32 s7, s2, s21
	s_cmp_ge_u32 s2, s21
	s_cselect_b32 s6, s6, s12
	s_cselect_b32 s2, s7, s2
	s_add_i32 s7, s6, 1
	s_cmp_ge_u32 s2, s21
	s_cselect_b32 s2, s7, s6
	s_xor_b32 s2, s2, s3
	s_sub_i32 s12, s2, s3
	s_add_i32 s2, s33, 7
	s_ashr_i32 s3, s2, 31
	s_lshr_b32 s3, s3, 29
	s_add_i32 s2, s2, s3
	s_ashr_i32 s16, s2, 3
	v_lshrrev_b32_e32 v30, 6, v0
	v_cmp_gt_i32_e64 s[2:3], s16, v30
	v_mov_b32_e32 v12, 0xff7fffff
	s_mul_i32 s14, s8, s14
	v_lshrrev_b32_e32 v7, 4, v0
	v_lshlrev_b32_e32 v31, 3, v30
	v_mbcnt_lo_u32_b32 v8, -1, 0
	s_and_saveexec_b64 s[34:35], s[2:3]
	s_cbranch_execz .LBB6_19
; %bb.10:
	s_load_dwordx2 s[0:1], s[0:1], 0x10
	s_ashr_i32 s15, s14, 31
	s_sub_i32 s30, s12, s17
	s_lshl_b64 s[6:7], s[14:15], 2
	v_bfe_u32 v9, v0, 3, 3
	s_waitcnt lgkmcnt(0)
	s_add_u32 s0, s0, s6
	s_addc_u32 s1, s1, s7
	s_abs_i32 s15, s18
	v_cvt_f32_u32_e32 v3, s15
	v_lshlrev_b32_e32 v4, 4, v9
	v_mov_b32_e32 v5, 0
	v_lshl_add_u64 v[10:11], s[0:1], 0, v[4:5]
	v_rcp_iflag_f32_e32 v3, v3
	v_and_b32_e32 v4, 3, v0
	v_lshlrev_b32_e32 v4, 2, v4
	s_sub_i32 s6, 0, s15
	v_mul_f32_e32 v3, 0x4f7ffffe, v3
	v_cvt_u32_f32_e32 v3, v3
	v_cmp_eq_u32_e32 vcc, 0, v2
	v_lshl_add_u64 v[12:13], v[10:11], 0, v[4:5]
	v_lshlrev_b32_e32 v10, 6, v2
	v_mul_lo_u32 v2, s6, v3
	v_mul_hi_u32 v2, v3, v2
	v_add_u32_e32 v11, v3, v2
	v_lshlrev_b32_e32 v2, 5, v0
	v_lshlrev_b32_e32 v14, 2, v9
	v_and_b32_e32 v4, 0x80, v2
	v_lshl_add_u64 v[2:3], v[12:13], 0, v[4:5]
	s_lshl_b64 s[6:7], s[26:27], 2
	v_lshl_or_b32 v12, v30, 5, v14
	s_add_u32 s6, s24, s6
	v_add_u32_e32 v14, 0x210, v12
	v_subrev_u32_e32 v12, s33, v9
	v_mbcnt_hi_u32_b32 v17, -1, v8
	v_and_b32_e32 v4, 60, v7
	s_addc_u32 s7, s25, s7
	v_add_u32_e32 v15, 1, v12
	v_and_b32_e32 v12, 64, v17
	s_mov_b32 s43, s13
	v_cmp_neq_f32_e64 s[0:1], s42, 0
	v_lshl_add_u64 v[4:5], s[6:7], 0, v[4:5]
	v_lshlrev_b32_e32 v13, 3, v30
	s_mov_b64 s[36:37], 0
	v_mov_b32_e32 v16, 0xff7fffff
	v_add_u32_e32 v18, 64, v12
	v_xor_b32_e32 v19, 4, v17
	v_xor_b32_e32 v20, 2, v17
	;; [unrolled: 1-line block ×3, first 2 shown]
	v_mov_b32_e32 v12, 0xff7fffff
	v_mov_b32_e32 v22, v30
	s_branch .LBB6_13
.LBB6_11:                               ;   in Loop: Header=BB6_13 Depth=1
	s_or_b64 exec, exec, s[38:39]
.LBB6_12:                               ;   in Loop: Header=BB6_13 Depth=1
	s_or_b64 exec, exec, s[8:9]
	v_add_u32_e32 v22, 2, v22
	v_cmp_le_i32_e64 s[6:7], s16, v22
	v_lshl_add_u64 v[4:5], v[4:5], 0, 8
	v_add_u32_e32 v13, 16, v13
	s_or_b64 s[36:37], s[6:7], s[36:37]
	v_add_u32_e32 v14, 64, v14
	s_andn2_b64 exec, exec, s[36:37]
	s_cbranch_execz .LBB6_18
.LBB6_13:                               ; =>This Inner Loop Header: Depth=1
	v_mul_hi_u32 v23, v13, s40
	s_waitcnt lgkmcnt(0)
	v_mul_lo_u32 v24, v23, s21
	v_sub_u32_e32 v24, v13, v24
	v_add_u32_e32 v25, 1, v23
	v_cmp_le_u32_e64 s[6:7], s21, v24
	s_nop 1
	v_cndmask_b32_e64 v23, v23, v25, s[6:7]
	v_subrev_u32_e32 v25, s21, v24
	v_cndmask_b32_e64 v24, v24, v25, s[6:7]
	v_add_u32_e32 v25, 1, v23
	v_cmp_le_u32_e64 s[6:7], s21, v24
	s_nop 1
	v_cndmask_b32_e64 v23, v23, v25, s[6:7]
	v_xor_b32_e32 v23, s19, v23
	v_subrev_u32_e32 v23, s19, v23
	v_add_u32_e32 v24, s41, v23
	v_sub_u32_e32 v26, 0, v24
	v_ashrrev_i32_e32 v25, 31, v24
	v_max_i32_e32 v24, v24, v26
	v_mul_hi_u32 v26, v24, v11
	v_mul_lo_u32 v26, v26, s15
	v_sub_u32_e32 v24, v24, v26
	v_subrev_u32_e32 v26, s15, v24
	v_cmp_le_u32_e64 s[6:7], s15, v24
	v_cmp_ge_i32_e64 s[8:9], s30, v23
	s_nop 0
	v_cndmask_b32_e64 v24, v24, v26, s[6:7]
	v_subrev_u32_e32 v26, s15, v24
	v_cmp_le_u32_e64 s[6:7], s15, v24
	s_nop 1
	v_cndmask_b32_e64 v24, v24, v26, s[6:7]
	v_xor_b32_e32 v24, v24, v25
	v_sub_u32_e32 v24, v24, v25
	v_cmp_ne_u32_e64 s[6:7], 0, v24
	s_and_b64 s[6:7], s[6:7], s[8:9]
	s_and_b64 s[38:39], vcc, s[6:7]
	s_and_saveexec_b64 s[8:9], s[38:39]
	s_cbranch_execz .LBB6_15
; %bb.14:                               ;   in Loop: Header=BB6_13 Depth=1
	ds_write_b32 v14, v16
.LBB6_15:                               ;   in Loop: Header=BB6_13 Depth=1
	s_or_b64 exec, exec, s[8:9]
	s_xor_b64 s[6:7], s[6:7], -1
	s_and_saveexec_b64 s[8:9], s[6:7]
	s_cbranch_execz .LBB6_12
; %bb.16:                               ;   in Loop: Header=BB6_13 Depth=1
	global_load_dword v23, v[4:5], off
	s_waitcnt vmcnt(0)
	v_mad_i64_i32 v[24:25], s[6:7], v23, s43, 0
	v_lshl_add_u64 v[24:25], v[24:25], 2, v[2:3]
	global_load_dword v23, v[24:25], off offset:256
	global_load_dword v28, v[24:25], off
	global_load_dword v29, v[24:25], off offset:512
	global_load_dword v44, v[24:25], off offset:768
	;; [unrolled: 1-line block ×14, first 2 shown]
	ds_read_b128 v[24:27], v10
	ds_read_b128 v[32:35], v10 offset:16
	ds_read_b128 v[36:39], v10 offset:32
	;; [unrolled: 1-line block ×3, first 2 shown]
	v_cmp_lt_i32_e64 s[6:7], v19, v18
	s_waitcnt vmcnt(15) lgkmcnt(3)
	v_mul_f32_e32 v23, v25, v23
	s_waitcnt vmcnt(14)
	v_fmac_f32_e32 v23, v24, v28
	s_waitcnt vmcnt(13)
	v_fmac_f32_e32 v23, v26, v29
	s_waitcnt vmcnt(12)
	v_fmac_f32_e32 v23, v27, v44
	s_waitcnt vmcnt(11) lgkmcnt(2)
	v_fmac_f32_e32 v23, v32, v45
	s_waitcnt vmcnt(10)
	v_fmac_f32_e32 v23, v33, v46
	s_waitcnt vmcnt(9)
	v_fmac_f32_e32 v23, v34, v47
	s_waitcnt vmcnt(8)
	v_fmac_f32_e32 v23, v35, v48
	s_waitcnt vmcnt(7) lgkmcnt(1)
	v_fmac_f32_e32 v23, v36, v49
	;; [unrolled: 8-line block ×3, first 2 shown]
	s_waitcnt vmcnt(2)
	v_fmac_f32_e32 v23, v41, v54
	v_cndmask_b32_e64 v57, v17, v19, s[6:7]
	s_waitcnt vmcnt(1)
	v_fmac_f32_e32 v23, v42, v55
	v_lshlrev_b32_e32 v57, 2, v57
	s_waitcnt vmcnt(0)
	v_fmac_f32_e32 v23, v43, v56
	ds_bpermute_b32 v24, v57, v23
	v_cmp_lt_i32_e64 s[6:7], v20, v18
	s_waitcnt lgkmcnt(0)
	v_add_f32_e32 v23, v23, v24
	v_cndmask_b32_e64 v25, v17, v20, s[6:7]
	v_lshlrev_b32_e32 v25, 2, v25
	ds_bpermute_b32 v24, v25, v23
	v_cmp_lt_i32_e64 s[6:7], v21, v18
	s_waitcnt lgkmcnt(0)
	v_add_f32_e32 v23, v23, v24
	v_cndmask_b32_e64 v25, v17, v21, s[6:7]
	v_lshlrev_b32_e32 v25, 2, v25
	ds_bpermute_b32 v24, v25, v23
	s_and_saveexec_b64 s[38:39], vcc
	s_cbranch_execz .LBB6_11
; %bb.17:                               ;   in Loop: Header=BB6_13 Depth=1
	v_add_u32_e32 v25, v15, v13
	v_cvt_f32_i32_e32 v25, v25
	s_waitcnt lgkmcnt(0)
	v_add_f32_e32 v23, v23, v24
	v_add_u32_e32 v26, v9, v13
	v_cmp_gt_i32_e64 s[6:7], s33, v26
	v_mul_f32_e32 v24, s42, v25
	v_cndmask_b32_e64 v24, 0, v24, s[0:1]
	v_fmac_f32_e32 v24, s31, v23
	v_cndmask_b32_e64 v23, 0, v24, s[6:7]
	ds_write_b32 v14, v23
	v_max_f32_e32 v23, v12, v12
	v_max_f32_e32 v23, v23, v24
	v_cndmask_b32_e64 v12, v12, v23, s[6:7]
	s_branch .LBB6_11
.LBB6_18:
	s_or_b64 exec, exec, s[36:37]
.LBB6_19:
	s_or_b64 exec, exec, s[34:35]
	v_mbcnt_hi_u32_b32 v2, -1, v8
	v_and_b32_e32 v3, 64, v2
	v_add_u32_e32 v3, 64, v3
	v_xor_b32_e32 v4, 32, v2
	v_cmp_lt_i32_e32 vcc, v4, v3
	v_xor_b32_e32 v9, 16, v2
	v_max_f32_e32 v8, v12, v12
	v_cndmask_b32_e32 v4, v2, v4, vcc
	v_lshlrev_b32_e32 v5, 2, v4
	ds_bpermute_b32 v4, v5, v12
	v_cmp_lt_i32_e32 vcc, v9, v3
	v_xor_b32_e32 v10, 8, v2
	v_and_b32_e32 v32, 63, v0
	s_waitcnt lgkmcnt(0)
	v_max_f32_e32 v4, v4, v4
	v_max_f32_e32 v4, v8, v4
	v_cndmask_b32_e32 v8, v2, v9, vcc
	v_lshlrev_b32_e32 v9, 2, v8
	ds_bpermute_b32 v8, v9, v4
	v_cmp_lt_i32_e32 vcc, v10, v3
	s_waitcnt lgkmcnt(0)
	v_max_f32_e32 v8, v8, v8
	v_max_f32_e32 v8, v4, v8
	v_cndmask_b32_e32 v4, v2, v10, vcc
	v_lshlrev_b32_e32 v10, 2, v4
	ds_bpermute_b32 v11, v10, v8
	v_cmp_eq_u32_e32 vcc, 0, v32
	v_lshlrev_b32_e32 v4, 2, v30
	s_and_saveexec_b64 s[0:1], vcc
	s_cbranch_execz .LBB6_21
; %bb.20:
	s_waitcnt lgkmcnt(0)
	v_max_f32_e32 v11, v11, v11
	v_max_f32_e32 v8, v8, v8
	;; [unrolled: 1-line block ×3, first 2 shown]
	ds_write_b32 v4, v8 offset:512
.LBB6_21:
	s_or_b64 exec, exec, s[0:1]
	v_cmp_gt_u32_e64 s[0:1], 2, v32
	s_waitcnt lgkmcnt(0)
	v_mov_b32_e32 v11, 0xff7fffff
	v_lshlrev_b32_e32 v8, 2, v32
	s_barrier
	s_and_saveexec_b64 s[6:7], s[0:1]
	s_cbranch_execz .LBB6_23
; %bb.22:
	ds_read_b32 v11, v8 offset:512
.LBB6_23:
	s_or_b64 exec, exec, s[6:7]
	v_xor_b32_e32 v12, 1, v2
	v_cmp_lt_i32_e64 s[6:7], v12, v3
	v_lshlrev_b32_e32 v13, 2, v2
	s_nop 0
	v_cndmask_b32_e64 v12, v2, v12, s[6:7]
	v_lshlrev_b32_e32 v33, 2, v12
	s_waitcnt lgkmcnt(0)
	ds_bpermute_b32 v12, v33, v11
	v_max_f32_e32 v11, v11, v11
	s_lshl_b32 s6, s16, 3
	s_min_i32 s15, s6, s33
	v_cmp_gt_i32_e64 s[6:7], s15, v0
	s_waitcnt lgkmcnt(0)
	v_max_f32_e32 v12, v12, v12
	v_max_f32_e32 v12, v11, v12
	v_and_b32_e32 v11, 0x100, v13
	ds_bpermute_b32 v13, v11, v12
	v_mov_b32_e32 v12, 0
	s_and_saveexec_b64 s[30:31], s[6:7]
	s_cbranch_execz .LBB6_27
; %bb.24:
	v_mov_b32_e32 v12, 0x210
	v_lshl_add_u32 v14, v0, 2, v12
	s_mov_b64 s[34:35], 0
	v_mov_b32_e32 v12, 0
	v_mov_b32_e32 v15, v0
.LBB6_25:                               ; =>This Inner Loop Header: Depth=1
	ds_read_b32 v16, v14
	v_add_u32_e32 v15, 0x80, v15
	v_cmp_le_i32_e64 s[8:9], s15, v15
	s_or_b64 s[34:35], s[8:9], s[34:35]
	s_waitcnt lgkmcnt(0)
	v_sub_f32_e32 v16, v16, v13
	v_mul_f32_e32 v16, 0x3fb8aa3b, v16
	v_exp_f32_e32 v16, v16
	ds_write_b32 v14, v16
	v_add_f32_e32 v12, v12, v16
	v_add_u32_e32 v14, 0x200, v14
	s_andn2_b64 exec, exec, s[34:35]
	s_cbranch_execnz .LBB6_25
; %bb.26:
	s_or_b64 exec, exec, s[34:35]
.LBB6_27:
	s_or_b64 exec, exec, s[30:31]
	ds_bpermute_b32 v5, v5, v12
	s_waitcnt lgkmcnt(0)
	v_add_f32_e32 v5, v12, v5
	ds_bpermute_b32 v9, v9, v5
	s_waitcnt lgkmcnt(0)
	v_add_f32_e32 v5, v5, v9
	ds_bpermute_b32 v9, v10, v5
	v_xor_b32_e32 v10, 4, v2
	v_cmp_lt_i32_e64 s[8:9], v10, v3
	s_waitcnt lgkmcnt(0)
	v_add_f32_e32 v5, v5, v9
	v_cndmask_b32_e64 v10, v2, v10, s[8:9]
	v_lshlrev_b32_e32 v10, 2, v10
	ds_bpermute_b32 v9, v10, v5
	v_xor_b32_e32 v10, 2, v2
	v_cmp_lt_i32_e64 s[8:9], v10, v3
	s_waitcnt lgkmcnt(0)
	v_add_f32_e32 v3, v5, v9
	v_cndmask_b32_e64 v2, v2, v10, s[8:9]
	v_lshlrev_b32_e32 v2, 2, v2
	ds_bpermute_b32 v2, v2, v3
	s_waitcnt lgkmcnt(0)
	v_add_f32_e32 v2, v3, v2
	ds_bpermute_b32 v3, v33, v2
	s_waitcnt lgkmcnt(0)
	v_add_f32_e32 v2, v2, v3
	s_and_saveexec_b64 s[8:9], vcc
	s_cbranch_execz .LBB6_29
; %bb.28:
	ds_write_b32 v4, v2 offset:520
.LBB6_29:
	s_or_b64 exec, exec, s[8:9]
	s_waitcnt lgkmcnt(0)
	s_barrier
	s_and_saveexec_b64 s[8:9], s[0:1]
	s_cbranch_execz .LBB6_31
; %bb.30:
	ds_read_b32 v2, v8 offset:520
.LBB6_31:
	s_or_b64 exec, exec, s[8:9]
	s_waitcnt lgkmcnt(0)
	ds_bpermute_b32 v3, v33, v2
	s_waitcnt lgkmcnt(0)
	v_add_f32_e32 v2, v2, v3
	ds_bpermute_b32 v2, v11, v2
	s_and_saveexec_b64 s[0:1], s[6:7]
	s_cbranch_execz .LBB6_44
; %bb.32:
	s_waitcnt lgkmcnt(0)
	v_add_f32_e32 v2, 0x358637bd, v2
	v_div_scale_f32 v3, s[6:7], v2, v2, 1.0
	v_rcp_f32_e32 v4, v3
	v_div_scale_f32 v5, vcc, 1.0, v2, 1.0
	s_movk_i32 s6, 0x7f
	v_fma_f32 v8, -v3, v4, 1.0
	v_fmac_f32_e32 v4, v8, v4
	v_mul_f32_e32 v8, v5, v4
	v_fma_f32 v9, -v3, v8, v5
	v_fmac_f32_e32 v8, v9, v4
	v_fma_f32 v3, -v3, v8, v5
	v_div_fmas_f32 v3, v3, v4, v8
	v_xad_u32 v4, v0, -1, s15
	v_div_fixup_f32 v2, v3, v2, 1.0
	v_cmp_lt_u32_e32 vcc, s6, v4
	s_mov_b64 s[8:9], -1
	v_mov_b32_e32 v3, v0
	s_and_saveexec_b64 s[6:7], vcc
	s_cbranch_execz .LBB6_41
; %bb.33:
	v_lshrrev_b32_e32 v4, 7, v4
	v_add_u32_e32 v8, -1, v4
	v_lshrrev_b32_e32 v5, 1, v8
	v_mov_b32_e32 v3, v2
	v_add_u32_e32 v5, 1, v5
	v_cmp_lt_u32_e32 vcc, 13, v8
	v_mov_b32_e32 v10, 0
	s_and_saveexec_b64 s[8:9], vcc
	s_cbranch_execz .LBB6_37
; %bb.34:
	v_mov_b32_e32 v9, 0x210
	v_and_b32_e32 v8, -8, v5
	v_lshl_add_u32 v9, v0, 2, v9
	s_mov_b32 s34, 0
	s_mov_b64 s[30:31], 0
.LBB6_35:                               ; =>This Inner Loop Header: Depth=1
	ds_read2st64_b32 v[10:11], v9 offset1:2
	ds_read2st64_b32 v[12:13], v9 offset0:4 offset1:6
	ds_read2st64_b32 v[14:15], v9 offset0:8 offset1:10
	;; [unrolled: 1-line block ×3, first 2 shown]
	v_add_u32_e32 v8, -8, v8
	s_waitcnt lgkmcnt(3)
	v_pk_mul_f32 v[10:11], v[2:3], v[10:11]
	s_waitcnt lgkmcnt(2)
	v_pk_mul_f32 v[12:13], v[2:3], v[12:13]
	ds_write2st64_b32 v9, v10, v11 offset1:2
	ds_write2st64_b32 v9, v12, v13 offset0:4 offset1:6
	ds_read2st64_b32 v[12:13], v9 offset0:16 offset1:18
	s_waitcnt lgkmcnt(4)
	v_pk_mul_f32 v[10:11], v[2:3], v[14:15]
	ds_write2st64_b32 v9, v10, v11 offset0:8 offset1:10
	s_waitcnt lgkmcnt(4)
	v_pk_mul_f32 v[10:11], v[2:3], v[16:17]
	ds_write2st64_b32 v9, v10, v11 offset0:12 offset1:14
	ds_read2st64_b32 v[10:11], v9 offset0:20 offset1:22
	s_waitcnt lgkmcnt(3)
	v_pk_mul_f32 v[12:13], v[2:3], v[12:13]
	ds_read2st64_b32 v[14:15], v9 offset0:24 offset1:26
	ds_write2st64_b32 v9, v12, v13 offset0:16 offset1:18
	ds_read2st64_b32 v[12:13], v9 offset0:28 offset1:30
	s_waitcnt lgkmcnt(3)
	v_pk_mul_f32 v[10:11], v[2:3], v[10:11]
	ds_write2st64_b32 v9, v10, v11 offset0:20 offset1:22
	s_waitcnt lgkmcnt(3)
	v_pk_mul_f32 v[10:11], v[2:3], v[14:15]
	ds_write2st64_b32 v9, v10, v11 offset0:24 offset1:26
	s_waitcnt lgkmcnt(2)
	v_pk_mul_f32 v[10:11], v[2:3], v[12:13]
	s_add_i32 s34, s34, 16
	v_cmp_eq_u32_e32 vcc, 0, v8
	ds_write2st64_b32 v9, v10, v11 offset0:28 offset1:30
	v_add_u32_e32 v9, 0x2000, v9
	s_or_b64 s[30:31], vcc, s[30:31]
	v_mov_b32_e32 v10, s34
	s_andn2_b64 exec, exec, s[30:31]
	s_cbranch_execnz .LBB6_35
; %bb.36:
	s_or_b64 exec, exec, s[30:31]
.LBB6_37:
	s_or_b64 exec, exec, s[8:9]
	v_and_b32_e32 v5, 7, v5
	v_cmp_ne_u32_e32 vcc, 0, v5
	s_and_saveexec_b64 s[8:9], vcc
	s_cbranch_execz .LBB6_40
; %bb.38:
	v_lshlrev_b32_e32 v8, 9, v10
	s_movk_i32 s30, 0x210
	v_add3_u32 v8, v8, v6, s30
	s_mov_b64 s[30:31], 0
.LBB6_39:                               ; =>This Inner Loop Header: Depth=1
	ds_read2st64_b32 v[10:11], v8 offset1:2
	v_add_u32_e32 v5, -1, v5
	v_cmp_eq_u32_e32 vcc, 0, v5
	s_or_b64 s[30:31], vcc, s[30:31]
	s_waitcnt lgkmcnt(0)
	v_pk_mul_f32 v[10:11], v[2:3], v[10:11]
	ds_write2st64_b32 v8, v10, v11 offset1:2
	v_add_u32_e32 v8, 0x400, v8
	s_andn2_b64 exec, exec, s[30:31]
	s_cbranch_execnz .LBB6_39
.LBB6_40:
	s_or_b64 exec, exec, s[8:9]
	v_add_u32_e32 v4, 1, v4
	v_and_b32_e32 v5, 0x3fffffe, v4
	v_cmp_ne_u32_e32 vcc, v4, v5
	v_lshl_add_u32 v3, v5, 7, v0
	s_orn2_b64 s[8:9], vcc, exec
.LBB6_41:
	s_or_b64 exec, exec, s[6:7]
	s_and_b64 exec, exec, s[8:9]
	s_cbranch_execz .LBB6_44
; %bb.42:
	v_mov_b32_e32 v4, 0x210
	v_lshl_add_u32 v4, v3, 2, v4
	s_mov_b64 s[6:7], 0
.LBB6_43:                               ; =>This Inner Loop Header: Depth=1
	ds_read_b32 v5, v4
	v_add_u32_e32 v3, 0x80, v3
	v_cmp_le_i32_e32 vcc, s15, v3
	s_or_b64 s[6:7], vcc, s[6:7]
	s_waitcnt lgkmcnt(0)
	v_mul_f32_e32 v5, v2, v5
	ds_write_b32 v4, v5
	v_add_u32_e32 v4, 0x200, v4
	s_andn2_b64 exec, exec, s[6:7]
	s_cbranch_execnz .LBB6_43
.LBB6_44:
	s_or_b64 exec, exec, s[0:1]
	v_mov_b32_e32 v5, 0
	v_and_b32_e32 v34, 1, v0
	v_mov_b32_e32 v4, 0
	v_mov_b32_e32 v3, 0
	s_waitcnt lgkmcnt(0)
	v_mov_b32_e32 v2, 0
	s_barrier
	s_and_saveexec_b64 s[6:7], s[2:3]
	s_cbranch_execz .LBB6_58
; %bb.45:
	s_ashr_i32 s15, s14, 31
	s_sub_i32 s17, s12, s17
	s_lshl_b64 s[0:1], s[14:15], 2
	s_add_u32 s0, s28, s0
	s_addc_u32 s1, s29, s1
	s_abs_i32 s14, s18
	v_cvt_f32_u32_e32 v2, s14
	s_sub_i32 s2, 0, s14
	v_lshlrev_b32_e32 v4, 4, v0
	v_mov_b32_e32 v3, 0
	v_rcp_iflag_f32_e32 v2, v2
	s_add_i32 s18, s16, -1
	s_mov_b32 s28, 0
	s_mov_b32 s29, s28
	v_mul_f32_e32 v2, 0x4f7ffffe, v2
	v_cvt_u32_f32_e32 v2, v2
	s_mov_b32 s30, s28
	s_mov_b32 s31, s28
	v_and_b32_e32 v35, 4, v6
	v_mul_lo_u32 v5, s2, v2
	v_mul_hi_u32 v5, v2, v5
	v_add_u32_e32 v36, v2, v5
	v_and_b32_e32 v2, 0x3f0, v4
	v_lshl_add_u64 v[26:27], s[0:1], 0, v[2:3]
	s_lshl_b64 s[0:1], s[26:27], 2
	s_add_u32 s0, s24, s0
	v_and_b32_e32 v2, 60, v7
	s_addc_u32 s1, s25, s1
	v_lshl_add_u64 v[28:29], s[0:1], 0, v[2:3]
	v_lshlrev_b32_e32 v2, 4, v34
	v_lshl_or_b32 v2, v30, 5, v2
	v_add_u32_e32 v37, 0x210, v2
	v_mov_b64_e32 v[2:3], s[28:29]
	s_mov_b32 s15, s13
	s_mov_b64 s[2:3], 0
	v_mov_b64_e32 v[4:5], s[30:31]
	s_branch .LBB6_48
.LBB6_46:                               ;   in Loop: Header=BB6_48 Depth=1
	s_or_b64 exec, exec, s[0:1]
	s_waitcnt vmcnt(3) lgkmcnt(0)
	v_mul_f32_e32 v11, v7, v11
	v_fmac_f32_e32 v11, v6, v10
	s_waitcnt vmcnt(2)
	v_mul_f32_e32 v10, v7, v15
	v_fmac_f32_e32 v10, v6, v14
	v_fmac_f32_e32 v10, v8, v16
	;; [unrolled: 1-line block ×3, first 2 shown]
	v_add_f32_e32 v3, v3, v10
	s_waitcnt vmcnt(1)
	v_mul_f32_e32 v10, v7, v19
	s_waitcnt vmcnt(0)
	v_mul_f32_e32 v7, v7, v23
	v_fmac_f32_e32 v10, v6, v18
	v_fmac_f32_e32 v7, v6, v22
	;; [unrolled: 1-line block ×8, first 2 shown]
	v_add_f32_e32 v2, v2, v11
	v_add_f32_e32 v4, v4, v10
	;; [unrolled: 1-line block ×3, first 2 shown]
.LBB6_47:                               ;   in Loop: Header=BB6_48 Depth=1
	s_or_b64 exec, exec, s[8:9]
	v_add_u32_e32 v30, 2, v30
	v_cmp_le_i32_e32 vcc, s16, v30
	v_lshl_add_u64 v[28:29], v[28:29], 0, 8
	v_add_u32_e32 v31, 16, v31
	s_or_b64 s[2:3], vcc, s[2:3]
	v_add_u32_e32 v37, 64, v37
	s_andn2_b64 exec, exec, s[2:3]
	s_cbranch_execz .LBB6_57
.LBB6_48:                               ; =>This Inner Loop Header: Depth=1
	v_mul_hi_u32 v6, v31, s40
	v_mul_lo_u32 v7, v6, s21
	v_sub_u32_e32 v7, v31, v7
	v_add_u32_e32 v8, 1, v6
	v_cmp_le_u32_e32 vcc, s21, v7
	s_nop 1
	v_cndmask_b32_e32 v6, v6, v8, vcc
	v_subrev_u32_e32 v8, s21, v7
	v_cndmask_b32_e32 v7, v7, v8, vcc
	v_add_u32_e32 v8, 1, v6
	v_cmp_le_u32_e32 vcc, s21, v7
	s_nop 1
	v_cndmask_b32_e32 v6, v6, v8, vcc
	v_xor_b32_e32 v6, s19, v6
	v_subrev_u32_e32 v6, s19, v6
	v_add_u32_e32 v7, s41, v6
	v_sub_u32_e32 v9, 0, v7
	v_ashrrev_i32_e32 v8, 31, v7
	v_max_i32_e32 v7, v7, v9
	v_mul_hi_u32 v9, v7, v36
	v_mul_lo_u32 v9, v9, s14
	v_sub_u32_e32 v7, v7, v9
	v_subrev_u32_e32 v9, s14, v7
	v_cmp_le_u32_e32 vcc, s14, v7
	v_cmp_lt_i32_e64 s[0:1], s17, v6
	s_nop 0
	v_cndmask_b32_e32 v7, v7, v9, vcc
	v_subrev_u32_e32 v9, s14, v7
	v_cmp_le_u32_e32 vcc, s14, v7
	s_nop 1
	v_cndmask_b32_e32 v7, v7, v9, vcc
	v_xor_b32_e32 v7, v7, v8
	v_sub_u32_e32 v7, v7, v8
	v_cmp_eq_u32_e32 vcc, 0, v7
	s_or_b64 s[0:1], vcc, s[0:1]
	s_and_saveexec_b64 s[8:9], s[0:1]
	s_cbranch_execz .LBB6_47
; %bb.49:                               ;   in Loop: Header=BB6_48 Depth=1
	global_load_dword v6, v[28:29], off
	v_add_u32_e32 v38, v35, v31
	v_cmp_eq_u32_e32 vcc, s18, v30
	v_add_u32_e32 v41, 1, v38
	v_add_u32_e32 v40, 2, v38
	;; [unrolled: 1-line block ×3, first 2 shown]
	s_waitcnt vmcnt(0)
	v_mad_i64_i32 v[6:7], s[0:1], v6, s15, 0
	v_lshl_add_u64 v[22:23], v[6:7], 2, v[26:27]
	global_load_dwordx4 v[10:13], v[22:23], off
	ds_read_b128 v[6:9], v37
	s_and_saveexec_b64 s[12:13], vcc
	s_cbranch_execnz .LBB6_53
; %bb.50:                               ;   in Loop: Header=BB6_48 Depth=1
	s_or_b64 exec, exec, s[12:13]
	global_load_dwordx4 v[14:17], v[22:23], off offset:1024
	s_and_saveexec_b64 s[12:13], vcc
	s_cbranch_execnz .LBB6_54
.LBB6_51:                               ;   in Loop: Header=BB6_48 Depth=1
	s_or_b64 exec, exec, s[12:13]
	global_load_dwordx4 v[18:21], v[22:23], off offset:2048
	s_and_saveexec_b64 s[12:13], vcc
	s_cbranch_execnz .LBB6_55
.LBB6_52:                               ;   in Loop: Header=BB6_48 Depth=1
	s_or_b64 exec, exec, s[12:13]
	global_load_dwordx4 v[22:25], v[22:23], off offset:3072
	s_and_saveexec_b64 s[0:1], vcc
	s_cbranch_execz .LBB6_46
	s_branch .LBB6_56
.LBB6_53:                               ;   in Loop: Header=BB6_48 Depth=1
	v_cmp_gt_i32_e64 s[0:1], s33, v38
	s_waitcnt vmcnt(0)
	s_nop 0
	v_cndmask_b32_e64 v10, 0, v10, s[0:1]
	v_cmp_gt_i32_e64 s[0:1], s33, v41
	s_nop 1
	v_cndmask_b32_e64 v11, 0, v11, s[0:1]
	v_cmp_gt_i32_e64 s[0:1], s33, v40
	;; [unrolled: 3-line block ×3, first 2 shown]
	s_nop 1
	v_cndmask_b32_e64 v13, 0, v13, s[0:1]
	s_or_b64 exec, exec, s[12:13]
	global_load_dwordx4 v[14:17], v[22:23], off offset:1024
	s_and_saveexec_b64 s[12:13], vcc
	s_cbranch_execz .LBB6_51
.LBB6_54:                               ;   in Loop: Header=BB6_48 Depth=1
	v_cmp_gt_i32_e64 s[0:1], s33, v38
	s_waitcnt vmcnt(0)
	s_nop 0
	v_cndmask_b32_e64 v14, 0, v14, s[0:1]
	v_cmp_gt_i32_e64 s[0:1], s33, v41
	s_nop 1
	v_cndmask_b32_e64 v15, 0, v15, s[0:1]
	v_cmp_gt_i32_e64 s[0:1], s33, v40
	;; [unrolled: 3-line block ×3, first 2 shown]
	s_nop 1
	v_cndmask_b32_e64 v17, 0, v17, s[0:1]
	s_or_b64 exec, exec, s[12:13]
	global_load_dwordx4 v[18:21], v[22:23], off offset:2048
	s_and_saveexec_b64 s[12:13], vcc
	s_cbranch_execz .LBB6_52
.LBB6_55:                               ;   in Loop: Header=BB6_48 Depth=1
	v_cmp_gt_i32_e64 s[0:1], s33, v38
	s_waitcnt vmcnt(0)
	s_nop 0
	v_cndmask_b32_e64 v18, 0, v18, s[0:1]
	v_cmp_gt_i32_e64 s[0:1], s33, v41
	s_nop 1
	v_cndmask_b32_e64 v19, 0, v19, s[0:1]
	v_cmp_gt_i32_e64 s[0:1], s33, v40
	;; [unrolled: 3-line block ×3, first 2 shown]
	s_nop 1
	v_cndmask_b32_e64 v21, 0, v21, s[0:1]
	s_or_b64 exec, exec, s[12:13]
	global_load_dwordx4 v[22:25], v[22:23], off offset:3072
	s_and_saveexec_b64 s[0:1], vcc
	s_cbranch_execz .LBB6_46
.LBB6_56:                               ;   in Loop: Header=BB6_48 Depth=1
	v_cmp_gt_i32_e32 vcc, s33, v38
	s_waitcnt vmcnt(0)
	s_nop 0
	v_cndmask_b32_e32 v22, 0, v22, vcc
	v_cmp_gt_i32_e32 vcc, s33, v41
	s_nop 1
	v_cndmask_b32_e32 v23, 0, v23, vcc
	v_cmp_gt_i32_e32 vcc, s33, v40
	;; [unrolled: 3-line block ×3, first 2 shown]
	s_nop 1
	v_cndmask_b32_e32 v25, 0, v25, vcc
	s_branch .LBB6_46
.LBB6_57:
	s_or_b64 exec, exec, s[2:3]
.LBB6_58:
	s_or_b64 exec, exec, s[6:7]
	ds_bpermute_b32 v6, v33, v2
	ds_bpermute_b32 v7, v33, v3
	;; [unrolled: 1-line block ×4, first 2 shown]
	s_waitcnt lgkmcnt(0)
	s_barrier
	v_pk_add_f32 v[2:3], v[2:3], v[6:7]
	v_and_b32_e32 v6, 0x3c1, v0
	v_pk_add_f32 v[4:5], v[4:5], v[8:9]
	v_cmp_eq_u32_e32 vcc, 64, v6
	s_and_saveexec_b64 s[0:1], vcc
	s_cbranch_execz .LBB6_60
; %bb.59:
	v_mov_b32_e32 v7, 0x210
	v_lshl_add_u32 v7, v32, 1, v7
	ds_write2_b32 v7, v2, v3 offset1:32
	ds_write2_b32 v7, v4, v5 offset0:64 offset1:96
.LBB6_60:
	s_or_b64 exec, exec, s[0:1]
	v_cmp_gt_u32_e32 vcc, 64, v0
	s_waitcnt lgkmcnt(0)
	s_barrier
	s_and_saveexec_b64 s[0:1], vcc
	s_cbranch_execz .LBB6_67
; %bb.61:
	v_cmp_eq_u32_e32 vcc, 0, v34
	s_and_saveexec_b64 s[2:3], vcc
	s_cbranch_execnz .LBB6_70
; %bb.62:
	s_or_b64 exec, exec, s[2:3]
	s_and_saveexec_b64 s[2:3], vcc
	s_cbranch_execnz .LBB6_71
.LBB6_63:
	s_or_b64 exec, exec, s[2:3]
	s_and_saveexec_b64 s[2:3], vcc
	s_cbranch_execnz .LBB6_72
.LBB6_64:
	s_or_b64 exec, exec, s[2:3]
	s_and_saveexec_b64 s[2:3], vcc
	s_cbranch_execz .LBB6_66
.LBB6_65:
	v_mov_b32_e32 v7, 0x210
	v_lshl_add_u32 v1, v1, 2, v7
	ds_read_b32 v1, v1 offset:384
	s_waitcnt lgkmcnt(0)
	v_add_f32_e32 v5, v5, v1
.LBB6_66:
	s_or_b64 exec, exec, s[2:3]
.LBB6_67:
	s_or_b64 exec, exec, s[0:1]
	v_cmp_eq_u32_e32 vcc, 0, v6
	s_barrier
	s_and_saveexec_b64 s[0:1], vcc
	s_cbranch_execz .LBB6_69
; %bb.68:
	s_mul_i32 s0, s10, s11
	s_mul_i32 s0, s0, s5
	s_lshl_b32 s0, s0, 7
	s_ashr_i32 s1, s0, 31
	s_lshl_b64 s[0:1], s[0:1], 2
	s_add_u32 s2, s22, s0
	s_mul_i32 s0, s11, s20
	s_addc_u32 s3, s23, s1
	s_ashr_i32 s1, s0, 31
	s_lshl_b64 s[0:1], s[0:1], 2
	s_add_u32 s2, s2, s0
	s_addc_u32 s3, s3, s1
	s_lshl_b32 s0, s4, 7
	s_ashr_i32 s1, s0, 31
	s_lshl_b64 s[0:1], s[0:1], 2
	s_add_u32 s0, s2, s0
	s_addc_u32 s1, s3, s1
	v_lshlrev_b32_e32 v0, 1, v0
	global_store_dword v0, v2, s[0:1]
	global_store_dword v0, v3, s[0:1] offset:128
	global_store_dword v0, v4, s[0:1] offset:256
	global_store_dword v0, v5, s[0:1] offset:384
.LBB6_69:
	s_endpgm
.LBB6_70:
	v_mov_b32_e32 v7, 0x210
	v_lshl_add_u32 v7, v1, 2, v7
	ds_read_b32 v7, v7
	s_waitcnt lgkmcnt(0)
	v_add_f32_e32 v2, v2, v7
	s_or_b64 exec, exec, s[2:3]
	s_and_saveexec_b64 s[2:3], vcc
	s_cbranch_execz .LBB6_63
.LBB6_71:
	v_mov_b32_e32 v7, 0x210
	v_lshl_add_u32 v7, v1, 2, v7
	ds_read_b32 v7, v7 offset:128
	s_waitcnt lgkmcnt(0)
	v_add_f32_e32 v3, v3, v7
	s_or_b64 exec, exec, s[2:3]
	s_and_saveexec_b64 s[2:3], vcc
	s_cbranch_execz .LBB6_64
.LBB6_72:
	v_mov_b32_e32 v7, 0x210
	v_lshl_add_u32 v7, v1, 2, v7
	ds_read_b32 v7, v7 offset:256
	s_waitcnt lgkmcnt(0)
	v_add_f32_e32 v4, v4, v7
	s_or_b64 exec, exec, s[2:3]
	s_and_saveexec_b64 s[2:3], vcc
	s_cbranch_execnz .LBB6_65
	s_branch .LBB6_66
	.section	.rodata,"a",@progbits
	.p2align	6, 0x0
	.amdhsa_kernel _ZN4vllm25paged_attention_v1_kernelIffLi128ELi8ELi128ELNS_18Fp8KVCacheDataTypeE0ELb1EEEvPT_PKS2_PKT0_S8_ifPKiSA_iPKfiiiSC_SC_iiiii
		.amdhsa_group_segment_fixed_size 528
		.amdhsa_private_segment_fixed_size 0
		.amdhsa_kernarg_size 384
		.amdhsa_user_sgpr_count 2
		.amdhsa_user_sgpr_dispatch_ptr 0
		.amdhsa_user_sgpr_queue_ptr 0
		.amdhsa_user_sgpr_kernarg_segment_ptr 1
		.amdhsa_user_sgpr_dispatch_id 0
		.amdhsa_user_sgpr_kernarg_preload_length 0
		.amdhsa_user_sgpr_kernarg_preload_offset 0
		.amdhsa_user_sgpr_private_segment_size 0
		.amdhsa_uses_dynamic_stack 0
		.amdhsa_enable_private_segment 0
		.amdhsa_system_sgpr_workgroup_id_x 1
		.amdhsa_system_sgpr_workgroup_id_y 1
		.amdhsa_system_sgpr_workgroup_id_z 1
		.amdhsa_system_sgpr_workgroup_info 0
		.amdhsa_system_vgpr_workitem_id 0
		.amdhsa_next_free_vgpr 58
		.amdhsa_next_free_sgpr 44
		.amdhsa_accum_offset 60
		.amdhsa_reserve_vcc 1
		.amdhsa_float_round_mode_32 0
		.amdhsa_float_round_mode_16_64 0
		.amdhsa_float_denorm_mode_32 3
		.amdhsa_float_denorm_mode_16_64 3
		.amdhsa_dx10_clamp 1
		.amdhsa_ieee_mode 1
		.amdhsa_fp16_overflow 0
		.amdhsa_tg_split 0
		.amdhsa_exception_fp_ieee_invalid_op 0
		.amdhsa_exception_fp_denorm_src 0
		.amdhsa_exception_fp_ieee_div_zero 0
		.amdhsa_exception_fp_ieee_overflow 0
		.amdhsa_exception_fp_ieee_underflow 0
		.amdhsa_exception_fp_ieee_inexact 0
		.amdhsa_exception_int_div_zero 0
	.end_amdhsa_kernel
	.section	.text._ZN4vllm25paged_attention_v1_kernelIffLi128ELi8ELi128ELNS_18Fp8KVCacheDataTypeE0ELb1EEEvPT_PKS2_PKT0_S8_ifPKiSA_iPKfiiiSC_SC_iiiii,"axG",@progbits,_ZN4vllm25paged_attention_v1_kernelIffLi128ELi8ELi128ELNS_18Fp8KVCacheDataTypeE0ELb1EEEvPT_PKS2_PKT0_S8_ifPKiSA_iPKfiiiSC_SC_iiiii,comdat
.Lfunc_end6:
	.size	_ZN4vllm25paged_attention_v1_kernelIffLi128ELi8ELi128ELNS_18Fp8KVCacheDataTypeE0ELb1EEEvPT_PKS2_PKT0_S8_ifPKiSA_iPKfiiiSC_SC_iiiii, .Lfunc_end6-_ZN4vllm25paged_attention_v1_kernelIffLi128ELi8ELi128ELNS_18Fp8KVCacheDataTypeE0ELb1EEEvPT_PKS2_PKT0_S8_ifPKiSA_iPKfiiiSC_SC_iiiii
                                        ; -- End function
	.section	.AMDGPU.csdata,"",@progbits
; Kernel info:
; codeLenInByte = 4692
; NumSgprs: 50
; NumVgprs: 58
; NumAgprs: 0
; TotalNumVgprs: 58
; ScratchSize: 0
; MemoryBound: 0
; FloatMode: 240
; IeeeMode: 1
; LDSByteSize: 528 bytes/workgroup (compile time only)
; SGPRBlocks: 6
; VGPRBlocks: 7
; NumSGPRsForWavesPerEU: 50
; NumVGPRsForWavesPerEU: 58
; AccumOffset: 60
; Occupancy: 8
; WaveLimiterHint : 1
; COMPUTE_PGM_RSRC2:SCRATCH_EN: 0
; COMPUTE_PGM_RSRC2:USER_SGPR: 2
; COMPUTE_PGM_RSRC2:TRAP_HANDLER: 0
; COMPUTE_PGM_RSRC2:TGID_X_EN: 1
; COMPUTE_PGM_RSRC2:TGID_Y_EN: 1
; COMPUTE_PGM_RSRC2:TGID_Z_EN: 1
; COMPUTE_PGM_RSRC2:TIDIG_COMP_CNT: 0
; COMPUTE_PGM_RSRC3_GFX90A:ACCUM_OFFSET: 14
; COMPUTE_PGM_RSRC3_GFX90A:TG_SPLIT: 0
	.section	.text._ZN4vllm25paged_attention_v1_kernelIffLi192ELi8ELi128ELNS_18Fp8KVCacheDataTypeE0ELb1EEEvPT_PKS2_PKT0_S8_ifPKiSA_iPKfiiiSC_SC_iiiii,"axG",@progbits,_ZN4vllm25paged_attention_v1_kernelIffLi192ELi8ELi128ELNS_18Fp8KVCacheDataTypeE0ELb1EEEvPT_PKS2_PKT0_S8_ifPKiSA_iPKfiiiSC_SC_iiiii,comdat
	.protected	_ZN4vllm25paged_attention_v1_kernelIffLi192ELi8ELi128ELNS_18Fp8KVCacheDataTypeE0ELb1EEEvPT_PKS2_PKT0_S8_ifPKiSA_iPKfiiiSC_SC_iiiii ; -- Begin function _ZN4vllm25paged_attention_v1_kernelIffLi192ELi8ELi128ELNS_18Fp8KVCacheDataTypeE0ELb1EEEvPT_PKS2_PKT0_S8_ifPKiSA_iPKfiiiSC_SC_iiiii
	.globl	_ZN4vllm25paged_attention_v1_kernelIffLi192ELi8ELi128ELNS_18Fp8KVCacheDataTypeE0ELb1EEEvPT_PKS2_PKT0_S8_ifPKiSA_iPKfiiiSC_SC_iiiii
	.p2align	8
	.type	_ZN4vllm25paged_attention_v1_kernelIffLi192ELi8ELi128ELNS_18Fp8KVCacheDataTypeE0ELb1EEEvPT_PKS2_PKT0_S8_ifPKiSA_iPKfiiiSC_SC_iiiii,@function
_ZN4vllm25paged_attention_v1_kernelIffLi192ELi8ELi128ELNS_18Fp8KVCacheDataTypeE0ELb1EEEvPT_PKS2_PKT0_S8_ifPKiSA_iPKfiiiSC_SC_iiiii: ; @_ZN4vllm25paged_attention_v1_kernelIffLi192ELi8ELi128ELNS_18Fp8KVCacheDataTypeE0ELb1EEEvPT_PKS2_PKT0_S8_ifPKiSA_iPKfiiiSC_SC_iiiii
; %bb.0:
	s_load_dword s5, s[0:1], 0x80
	s_load_dwordx2 s[6:7], s[0:1], 0x30
	s_load_dwordx2 s[30:31], s[0:1], 0x20
	s_mov_b32 s20, s3
	s_ashr_i32 s21, s3, 31
	s_lshl_b64 s[8:9], s[20:21], 2
	s_waitcnt lgkmcnt(0)
	s_add_u32 s6, s6, s8
	s_addc_u32 s7, s7, s9
	s_abs_i32 s3, s30
	v_cvt_f32_u32_e32 v1, s3
	s_sub_i32 s10, 0, s3
	s_abs_i32 s9, s5
	s_xor_b32 s8, s5, s30
	v_rcp_iflag_f32_e32 v1, v1
	s_ashr_i32 s8, s8, 31
	s_mov_b32 s42, 0
	v_mul_f32_e32 v1, 0x4f7ffffe, v1
	v_cvt_u32_f32_e32 v1, v1
	s_nop 0
	v_readfirstlane_b32 s11, v1
	s_mul_i32 s10, s10, s11
	s_mul_hi_u32 s10, s11, s10
	s_add_i32 s11, s11, s10
	s_mul_hi_u32 s10, s9, s11
	s_mul_i32 s11, s10, s3
	s_sub_i32 s9, s9, s11
	s_add_i32 s11, s10, 1
	s_sub_i32 s12, s9, s3
	s_cmp_ge_u32 s9, s3
	s_cselect_b32 s10, s11, s10
	s_cselect_b32 s9, s12, s9
	s_add_i32 s11, s10, 1
	s_cmp_ge_u32 s9, s3
	s_cselect_b32 s3, s11, s10
	s_xor_b32 s3, s3, s8
	s_sub_i32 s34, s3, s8
	s_abs_i32 s28, s34
	v_cvt_f32_u32_e32 v1, s28
	s_load_dwordx2 s[8:9], s[0:1], 0x40
	s_sub_i32 s3, 0, s28
	s_abs_i32 s29, s2
	v_rcp_iflag_f32_e32 v1, v1
	s_nop 0
	v_mul_f32_e32 v1, 0x4f7ffffe, v1
	v_cvt_u32_f32_e32 v1, v1
	s_nop 0
	v_readfirstlane_b32 s12, v1
	s_mul_i32 s3, s3, s12
	s_mul_hi_u32 s3, s12, s3
	s_add_i32 s12, s12, s3
	s_waitcnt lgkmcnt(0)
	s_cmp_eq_u64 s[8:9], 0
	s_cbranch_scc1 .LBB7_2
; %bb.1:
	s_ashr_i32 s3, s2, 31
	s_lshl_b64 s[10:11], s[2:3], 2
	s_add_u32 s8, s8, s10
	s_addc_u32 s9, s9, s11
	s_load_dword s42, s[8:9], 0x0
.LBB7_2:
	s_load_dwordx2 s[22:23], s[0:1], 0x0
	s_nop 0
	s_load_dwordx4 s[8:11], s[0:1], 0x10
	s_mul_hi_u32 s3, s29, s12
	s_load_dword s21, s[0:1], 0x88
	s_load_dword s33, s[6:7], 0x0
	s_load_dwordx2 s[26:27], s[0:1], 0x28
	s_load_dwordx4 s[12:15], s[0:1], 0x48
	s_movk_i32 s6, 0xc0
	s_mul_i32 s24, s2, 0xc0
	v_and_b32_e32 v6, 7, v0
	s_ashr_i32 s25, s24, 31
	v_cmp_gt_u32_e32 vcc, s6, v0
	s_and_saveexec_b64 s[6:7], vcc
	s_cbranch_execz .LBB7_5
; %bb.3:
	s_load_dwordx2 s[16:17], s[0:1], 0x8
	s_waitcnt lgkmcnt(0)
	s_mul_i32 s18, s20, s12
	v_lshrrev_b32_e32 v2, 3, v0
	s_ashr_i32 s19, s18, 31
	v_lshlrev_b32_e32 v3, 2, v2
	s_movk_i32 s12, 0x60
	s_lshl_b64 s[18:19], s[18:19], 2
	s_lshl_b64 s[36:37], s[24:25], 2
	v_mad_u32_u24 v4, v6, s12, v3
	s_add_u32 s12, s18, s36
	s_addc_u32 s15, s19, s37
	v_lshlrev_b32_e32 v3, 2, v6
	s_add_u32 s16, s16, s12
	v_add_u32_e32 v1, -16, v2
	v_lshl_or_b32 v2, v2, 5, v3
	v_mov_b32_e32 v3, 0
	s_addc_u32 s17, s17, s15
	v_lshl_add_u64 v[2:3], s[16:17], 0, v[2:3]
	s_mov_b64 s[16:17], 0
	s_mov_b64 s[18:19], 0x200
.LBB7_4:                                ; =>This Inner Loop Header: Depth=1
	global_load_dword v5, v[2:3], off
	v_add_u32_e32 v1, 16, v1
	v_cmp_lt_u32_e32 vcc, 7, v1
	v_lshl_add_u64 v[2:3], v[2:3], 0, s[18:19]
	s_or_b64 s[16:17], vcc, s[16:17]
	s_waitcnt vmcnt(0)
	ds_write_b32 v4, v5
	v_add_u32_e32 v4, 64, v4
	s_andn2_b64 exec, exec, s[16:17]
	s_cbranch_execnz .LBB7_4
.LBB7_5:
	s_or_b64 exec, exec, s[6:7]
	s_ashr_i32 s6, s2, 31
	s_ashr_i32 s7, s34, 31
	s_xor_b32 s6, s6, s7
	s_mul_i32 s7, s3, s28
	s_sub_i32 s7, s29, s7
	s_waitcnt lgkmcnt(0)
	s_add_i32 s15, s3, 1
	s_sub_i32 s25, s7, s28
	s_load_dwordx4 s[16:19], s[0:1], 0x68
	s_load_dword s12, s[0:1], 0x78
	s_cmp_ge_u32 s7, s28
	s_cselect_b32 s3, s15, s3
	s_cselect_b32 s7, s25, s7
	s_add_i32 s15, s3, 1
	s_cmp_ge_u32 s7, s28
	s_cselect_b32 s3, s15, s3
	s_waitcnt lgkmcnt(0)
	s_abs_i32 s25, s19
	v_cvt_f32_u32_e32 v1, s25
	s_xor_b32 s3, s3, s6
	s_sub_i32 s3, s3, s6
	s_sub_i32 s6, 0, s25
	v_rcp_iflag_f32_e32 v1, v1
	s_add_i32 s28, s33, -1
	s_abs_i32 s15, s28
	v_mul_f32_e32 v1, 0x4f7ffffe, v1
	v_cvt_u32_f32_e32 v1, v1
	s_barrier
	v_readfirstlane_b32 s40, v1
	s_mul_i32 s6, s6, s40
	s_mul_hi_u32 s6, s40, s6
	s_add_i32 s40, s40, s6
	s_cmp_lt_i32 s12, 0
	s_mul_hi_u32 s34, s15, s40
	s_cbranch_scc0 .LBB7_7
; %bb.6:
	s_mul_i32 s6, s16, s30
	s_add_i32 s6, s3, s6
	s_mul_i32 s6, s6, s12
	s_sub_i32 s41, 1, s6
	s_ashr_i32 s28, s28, 31
	s_ashr_i32 s19, s19, 31
	s_cbranch_execz .LBB7_8
	s_branch .LBB7_9
.LBB7_7:
                                        ; implicit-def: $sgpr41
	s_ashr_i32 s28, s28, 31
	s_ashr_i32 s19, s19, 31
.LBB7_8:
	s_mul_i32 s6, s5, s16
	s_add_i32 s2, s6, s2
	s_mul_i32 s2, s2, s12
	s_add_i32 s41, s2, 1
.LBB7_9:
	s_load_dword s0, s[0:1], 0x38
	s_mul_i32 s2, s34, s25
	s_xor_b32 s1, s28, s19
	s_sub_i32 s2, s15, s2
	s_add_i32 s6, s34, 1
	s_waitcnt lgkmcnt(0)
	s_mul_i32 s28, s20, s0
	s_ashr_i32 s29, s28, 31
	s_sub_i32 s0, s2, s25
	s_cmp_ge_u32 s2, s25
	s_cselect_b32 s6, s6, s34
	s_cselect_b32 s0, s0, s2
	s_add_i32 s2, s6, 1
	s_cmp_ge_u32 s0, s25
	s_cselect_b32 s0, s2, s6
	s_xor_b32 s0, s0, s1
	s_sub_i32 s12, s0, s1
	s_add_i32 s0, s33, 7
	s_ashr_i32 s1, s0, 31
	s_lshr_b32 s1, s1, 29
	s_add_i32 s0, s0, s1
	s_ashr_i32 s16, s0, 3
	v_lshrrev_b32_e32 v1, 6, v0
	v_cmp_gt_i32_e64 s[0:1], s16, v1
	v_mov_b32_e32 v29, 0xff7fffff
	s_mul_i32 s14, s3, s14
	v_lshrrev_b32_e32 v24, 4, v0
	v_lshlrev_b32_e32 v44, 3, v1
	v_mbcnt_lo_u32_b32 v25, -1, 0
	s_and_saveexec_b64 s[34:35], s[0:1]
	s_cbranch_execz .LBB7_19
; %bb.10:
	s_ashr_i32 s15, s14, 31
	s_sub_i32 s30, s12, s17
	s_lshl_b64 s[2:3], s[14:15], 2
	v_bfe_u32 v26, v0, 3, 3
	s_add_u32 s2, s8, s2
	s_addc_u32 s3, s9, s3
	v_lshlrev_b32_e32 v2, 4, v26
	v_mov_b32_e32 v3, 0
	v_lshl_add_u64 v[4:5], s[2:3], 0, v[2:3]
	v_and_b32_e32 v2, 3, v0
	v_lshlrev_b32_e32 v2, 2, v2
	s_abs_i32 s15, s18
	v_lshl_add_u64 v[4:5], v[4:5], 0, v[2:3]
	v_cvt_f32_u32_e32 v2, s15
	s_sub_i32 s6, 0, s15
	v_cmp_eq_u32_e32 vcc, 0, v6
	v_mul_u32_u24_e32 v27, 0x60, v6
	v_rcp_iflag_f32_e32 v2, v2
	v_lshlrev_b32_e32 v9, 2, v26
	v_lshlrev_b32_e32 v7, 3, v0
	v_and_b32_e32 v8, 32, v7
	v_mul_f32_e32 v2, 0x4f7ffffe, v2
	v_cvt_u32_f32_e32 v2, v2
	v_or_b32_e32 v10, 0x400, v8
	v_or_b32_e32 v12, 0x440, v8
	;; [unrolled: 1-line block ×3, first 2 shown]
	v_mul_lo_u32 v6, s6, v2
	s_lshl_b64 s[6:7], s[28:29], 2
	v_mul_hi_u32 v6, v2, v6
	s_add_u32 s6, s26, s6
	v_add_u32_e32 v28, v2, v6
	v_and_b32_e32 v2, 60, v24
	s_addc_u32 s7, s27, s7
	v_lshl_add_u64 v[6:7], s[6:7], 0, v[2:3]
	v_lshl_or_b32 v2, v1, 5, v9
	v_or_b32_e32 v16, 0x4c0, v8
	v_or_b32_e32 v18, 0x500, v8
	;; [unrolled: 1-line block ×5, first 2 shown]
	v_add_u32_e32 v31, 0x310, v2
	v_subrev_u32_e32 v2, s33, v26
	v_add_u32_e32 v32, 1, v2
	v_lshlrev_b32_e32 v2, 2, v8
	v_lshlrev_b32_e32 v8, 2, v10
	;; [unrolled: 1-line block ×9, first 2 shown]
	v_mbcnt_hi_u32_b32 v34, -1, v25
	v_and_b32_e32 v9, 64, v34
	s_mov_b32 s43, s13
	v_cmp_neq_f32_e64 s[2:3], s42, 0
	v_lshlrev_b32_e32 v30, 3, v1
	s_mov_b64 s[36:37], 0
	v_mov_b32_e32 v33, 0xff7fffff
	v_add_u32_e32 v35, 64, v9
	v_xor_b32_e32 v36, 4, v34
	v_xor_b32_e32 v37, 2, v34
	;; [unrolled: 1-line block ×3, first 2 shown]
	v_mov_b32_e32 v29, 0xff7fffff
	v_mov_b32_e32 v39, v1
	s_branch .LBB7_13
.LBB7_11:                               ;   in Loop: Header=BB7_13 Depth=1
	s_or_b64 exec, exec, s[38:39]
.LBB7_12:                               ;   in Loop: Header=BB7_13 Depth=1
	s_or_b64 exec, exec, s[8:9]
	v_add_u32_e32 v39, 2, v39
	v_cmp_le_i32_e64 s[6:7], s16, v39
	v_lshl_add_u64 v[6:7], v[6:7], 0, 8
	v_add_u32_e32 v30, 16, v30
	s_or_b64 s[36:37], s[6:7], s[36:37]
	v_add_u32_e32 v31, 64, v31
	s_andn2_b64 exec, exec, s[36:37]
	s_cbranch_execz .LBB7_18
.LBB7_13:                               ; =>This Inner Loop Header: Depth=1
	v_mul_hi_u32 v9, v30, s40
	s_waitcnt lgkmcnt(0)
	v_mul_lo_u32 v11, v9, s25
	v_sub_u32_e32 v11, v30, v11
	v_add_u32_e32 v13, 1, v9
	v_cmp_le_u32_e64 s[6:7], s25, v11
	s_nop 1
	v_cndmask_b32_e64 v9, v9, v13, s[6:7]
	v_subrev_u32_e32 v13, s25, v11
	v_cndmask_b32_e64 v11, v11, v13, s[6:7]
	v_add_u32_e32 v13, 1, v9
	v_cmp_le_u32_e64 s[6:7], s25, v11
	s_nop 1
	v_cndmask_b32_e64 v9, v9, v13, s[6:7]
	v_xor_b32_e32 v9, s19, v9
	v_subrev_u32_e32 v9, s19, v9
	v_add_u32_e32 v11, s41, v9
	v_sub_u32_e32 v15, 0, v11
	v_ashrrev_i32_e32 v13, 31, v11
	v_max_i32_e32 v11, v11, v15
	v_mul_hi_u32 v15, v11, v28
	v_mul_lo_u32 v15, v15, s15
	v_sub_u32_e32 v11, v11, v15
	v_subrev_u32_e32 v15, s15, v11
	v_cmp_le_u32_e64 s[6:7], s15, v11
	v_cmp_ge_i32_e64 s[8:9], s30, v9
	s_nop 0
	v_cndmask_b32_e64 v11, v11, v15, s[6:7]
	v_subrev_u32_e32 v15, s15, v11
	v_cmp_le_u32_e64 s[6:7], s15, v11
	s_nop 1
	v_cndmask_b32_e64 v11, v11, v15, s[6:7]
	v_xor_b32_e32 v11, v11, v13
	v_sub_u32_e32 v11, v11, v13
	v_cmp_ne_u32_e64 s[6:7], 0, v11
	s_and_b64 s[6:7], s[6:7], s[8:9]
	s_and_b64 s[38:39], vcc, s[6:7]
	s_and_saveexec_b64 s[8:9], s[38:39]
	s_cbranch_execz .LBB7_15
; %bb.14:                               ;   in Loop: Header=BB7_13 Depth=1
	ds_write_b32 v31, v33
.LBB7_15:                               ;   in Loop: Header=BB7_13 Depth=1
	s_or_b64 exec, exec, s[8:9]
	s_xor_b64 s[6:7], s[6:7], -1
	s_and_saveexec_b64 s[8:9], s[6:7]
	s_cbranch_execz .LBB7_12
; %bb.16:                               ;   in Loop: Header=BB7_13 Depth=1
	global_load_dword v9, v[6:7], off
	v_mov_b32_e32 v11, v3
	v_mov_b32_e32 v13, v3
	;; [unrolled: 1-line block ×7, first 2 shown]
	s_waitcnt vmcnt(0)
	v_mad_i64_i32 v[40:41], s[6:7], v9, s43, 0
	v_lshl_add_u64 v[46:47], v[40:41], 2, v[4:5]
	v_lshl_add_u64 v[48:49], v[46:47], 0, v[2:3]
	global_load_dword v45, v[48:49], off offset:256
	global_load_dword v56, v[48:49], off
	global_load_dword v57, v[48:49], off offset:512
	global_load_dword v58, v[48:49], off offset:768
	v_mov_b32_e32 v9, v3
	ds_read_b128 v[40:43], v27
	v_lshl_add_u64 v[50:51], v[46:47], 0, v[8:9]
	v_lshl_add_u64 v[52:53], v[46:47], 0, v[10:11]
	global_load_dword v9, v[48:49], off offset:1024
	global_load_dword v11, v[48:49], off offset:1280
	;; [unrolled: 1-line block ×4, first 2 shown]
	v_lshl_add_u64 v[54:55], v[46:47], 0, v[12:13]
	global_load_dword v13, v[48:49], off offset:2048
	global_load_dword v61, v[48:49], off offset:2304
	;; [unrolled: 1-line block ×3, first 2 shown]
	v_cmp_lt_i32_e64 s[6:7], v36, v35
	s_waitcnt vmcnt(10) lgkmcnt(0)
	v_mul_f32_e32 v45, v41, v45
	s_waitcnt vmcnt(9)
	v_fmac_f32_e32 v45, v40, v56
	global_load_dword v56, v[48:49], off offset:2816
	s_waitcnt vmcnt(9)
	v_fmac_f32_e32 v45, v42, v57
	s_waitcnt vmcnt(8)
	v_fmac_f32_e32 v45, v43, v58
	v_lshl_add_u64 v[40:41], v[46:47], 0, v[14:15]
	global_load_dword v15, v[48:49], off offset:3072
	global_load_dword v57, v[48:49], off offset:3328
	global_load_dword v58, v[48:49], off offset:3584
	global_load_dword v63, v[48:49], off offset:3840
	v_lshl_add_u64 v[42:43], v[46:47], 0, v[16:17]
	global_load_dword v17, v[50:51], off
	global_load_dword v64, v[52:53], off
	v_lshl_add_u64 v[48:49], v[46:47], 0, v[18:19]
	global_load_dword v19, v[54:55], off
	global_load_dword v65, v[40:41], off
	v_lshl_add_u64 v[40:41], v[46:47], 0, v[20:21]
	v_lshl_add_u64 v[46:47], v[46:47], 0, v[22:23]
	global_load_dword v21, v[42:43], off
	global_load_dword v23, v[48:49], off
	;; [unrolled: 1-line block ×4, first 2 shown]
	ds_read_b128 v[40:43], v27 offset:16
	s_waitcnt vmcnt(19) lgkmcnt(0)
	v_fmac_f32_e32 v45, v40, v9
	s_waitcnt vmcnt(18)
	v_fmac_f32_e32 v45, v41, v11
	s_waitcnt vmcnt(17)
	;; [unrolled: 2-line block ×3, first 2 shown]
	v_fmac_f32_e32 v45, v43, v60
	ds_read_b128 v[40:43], v27 offset:32
	ds_read_b128 v[46:49], v27 offset:48
	v_cndmask_b32_e64 v9, v34, v36, s[6:7]
	v_lshlrev_b32_e32 v9, 2, v9
	v_cmp_lt_i32_e64 s[6:7], v37, v35
	s_waitcnt vmcnt(15) lgkmcnt(1)
	v_fmac_f32_e32 v45, v40, v13
	s_waitcnt vmcnt(14)
	v_fmac_f32_e32 v45, v41, v61
	s_waitcnt vmcnt(13)
	v_fmac_f32_e32 v45, v42, v62
	v_cndmask_b32_e64 v11, v34, v37, s[6:7]
	v_lshlrev_b32_e32 v11, 2, v11
	v_cmp_lt_i32_e64 s[6:7], v38, v35
	s_waitcnt vmcnt(12)
	v_fmac_f32_e32 v45, v43, v56
	ds_read_b128 v[40:43], v27 offset:64
	ds_read_b128 v[50:53], v27 offset:80
	s_waitcnt vmcnt(11) lgkmcnt(2)
	v_fmac_f32_e32 v45, v46, v15
	s_waitcnt vmcnt(10)
	v_fmac_f32_e32 v45, v47, v57
	s_waitcnt vmcnt(9)
	v_fmac_f32_e32 v45, v48, v58
	s_waitcnt vmcnt(8)
	v_fmac_f32_e32 v45, v49, v63
	s_waitcnt vmcnt(7) lgkmcnt(1)
	v_fmac_f32_e32 v45, v40, v17
	s_waitcnt vmcnt(6)
	v_fmac_f32_e32 v45, v41, v64
	s_waitcnt vmcnt(5)
	v_fmac_f32_e32 v45, v42, v19
	s_waitcnt vmcnt(4)
	v_fmac_f32_e32 v45, v43, v65
	s_waitcnt vmcnt(3) lgkmcnt(0)
	v_fmac_f32_e32 v45, v50, v21
	s_waitcnt vmcnt(2)
	v_fmac_f32_e32 v45, v51, v23
	s_waitcnt vmcnt(1)
	v_fmac_f32_e32 v45, v52, v54
	s_waitcnt vmcnt(0)
	v_fmac_f32_e32 v45, v53, v55
	ds_bpermute_b32 v9, v9, v45
	v_cndmask_b32_e64 v13, v34, v38, s[6:7]
	v_lshlrev_b32_e32 v13, 2, v13
	s_waitcnt lgkmcnt(0)
	v_add_f32_e32 v9, v45, v9
	ds_bpermute_b32 v11, v11, v9
	s_waitcnt lgkmcnt(0)
	v_add_f32_e32 v9, v9, v11
	ds_bpermute_b32 v11, v13, v9
	s_and_saveexec_b64 s[38:39], vcc
	s_cbranch_execz .LBB7_11
; %bb.17:                               ;   in Loop: Header=BB7_13 Depth=1
	v_add_u32_e32 v13, v32, v30
	v_cvt_f32_i32_e32 v13, v13
	s_waitcnt lgkmcnt(0)
	v_add_f32_e32 v9, v9, v11
	v_add_u32_e32 v15, v26, v30
	v_cmp_gt_i32_e64 s[6:7], s33, v15
	v_mul_f32_e32 v11, s42, v13
	v_cndmask_b32_e64 v11, 0, v11, s[2:3]
	v_fmac_f32_e32 v11, s31, v9
	v_cndmask_b32_e64 v9, 0, v11, s[6:7]
	ds_write_b32 v31, v9
	v_max_f32_e32 v9, v29, v29
	v_max_f32_e32 v9, v9, v11
	v_cndmask_b32_e64 v29, v29, v9, s[6:7]
	s_branch .LBB7_11
.LBB7_18:
	s_or_b64 exec, exec, s[36:37]
.LBB7_19:
	s_or_b64 exec, exec, s[34:35]
	v_mbcnt_hi_u32_b32 v2, -1, v25
	v_and_b32_e32 v3, 64, v2
	v_add_u32_e32 v3, 64, v3
	v_xor_b32_e32 v4, 32, v2
	v_cmp_lt_i32_e32 vcc, v4, v3
	v_xor_b32_e32 v7, 16, v2
	v_max_f32_e32 v6, v29, v29
	v_cndmask_b32_e32 v4, v2, v4, vcc
	v_lshlrev_b32_e32 v5, 2, v4
	ds_bpermute_b32 v4, v5, v29
	v_cmp_lt_i32_e32 vcc, v7, v3
	v_xor_b32_e32 v8, 8, v2
	v_and_b32_e32 v45, 63, v0
	s_waitcnt lgkmcnt(0)
	v_max_f32_e32 v4, v4, v4
	v_max_f32_e32 v4, v6, v4
	v_cndmask_b32_e32 v6, v2, v7, vcc
	v_lshlrev_b32_e32 v7, 2, v6
	ds_bpermute_b32 v6, v7, v4
	v_cmp_lt_i32_e32 vcc, v8, v3
	s_waitcnt lgkmcnt(0)
	v_max_f32_e32 v6, v6, v6
	v_max_f32_e32 v6, v4, v6
	v_cndmask_b32_e32 v4, v2, v8, vcc
	v_lshlrev_b32_e32 v8, 2, v4
	ds_bpermute_b32 v9, v8, v6
	v_cmp_eq_u32_e32 vcc, 0, v45
	v_lshlrev_b32_e32 v4, 2, v1
	s_and_saveexec_b64 s[2:3], vcc
	s_cbranch_execz .LBB7_21
; %bb.20:
	s_waitcnt lgkmcnt(0)
	v_max_f32_e32 v9, v9, v9
	v_max_f32_e32 v6, v6, v6
	;; [unrolled: 1-line block ×3, first 2 shown]
	ds_write_b32 v4, v6 offset:768
.LBB7_21:
	s_or_b64 exec, exec, s[2:3]
	v_cmp_gt_u32_e64 s[2:3], 2, v45
	s_waitcnt lgkmcnt(0)
	v_mov_b32_e32 v9, 0xff7fffff
	v_lshlrev_b32_e32 v6, 2, v45
	s_barrier
	s_and_saveexec_b64 s[6:7], s[2:3]
	s_cbranch_execz .LBB7_23
; %bb.22:
	ds_read_b32 v9, v6 offset:768
.LBB7_23:
	s_or_b64 exec, exec, s[6:7]
	v_xor_b32_e32 v10, 1, v2
	v_cmp_lt_i32_e64 s[6:7], v10, v3
	v_lshlrev_b32_e32 v11, 2, v2
	s_nop 0
	v_cndmask_b32_e64 v10, v2, v10, s[6:7]
	v_lshlrev_b32_e32 v46, 2, v10
	s_waitcnt lgkmcnt(0)
	ds_bpermute_b32 v10, v46, v9
	v_max_f32_e32 v9, v9, v9
	s_lshl_b32 s6, s16, 3
	s_min_i32 s15, s6, s33
	v_cmp_gt_i32_e64 s[6:7], s15, v0
	s_waitcnt lgkmcnt(0)
	v_max_f32_e32 v10, v10, v10
	v_max_f32_e32 v10, v9, v10
	v_and_b32_e32 v9, 0x100, v11
	ds_bpermute_b32 v11, v9, v10
	v_mov_b32_e32 v10, 0
	s_and_saveexec_b64 s[30:31], s[6:7]
	s_cbranch_execz .LBB7_27
; %bb.24:
	v_mov_b32_e32 v10, 0x310
	v_lshl_add_u32 v12, v0, 2, v10
	s_mov_b64 s[34:35], 0
	v_mov_b32_e32 v10, 0
	v_mov_b32_e32 v13, v0
.LBB7_25:                               ; =>This Inner Loop Header: Depth=1
	ds_read_b32 v14, v12
	v_add_u32_e32 v13, 0x80, v13
	v_cmp_le_i32_e64 s[8:9], s15, v13
	s_or_b64 s[34:35], s[8:9], s[34:35]
	s_waitcnt lgkmcnt(0)
	v_sub_f32_e32 v14, v14, v11
	v_mul_f32_e32 v14, 0x3fb8aa3b, v14
	v_exp_f32_e32 v14, v14
	ds_write_b32 v12, v14
	v_add_f32_e32 v10, v10, v14
	v_add_u32_e32 v12, 0x200, v12
	s_andn2_b64 exec, exec, s[34:35]
	s_cbranch_execnz .LBB7_25
; %bb.26:
	s_or_b64 exec, exec, s[34:35]
.LBB7_27:
	s_or_b64 exec, exec, s[30:31]
	ds_bpermute_b32 v5, v5, v10
	s_waitcnt lgkmcnt(0)
	v_add_f32_e32 v5, v10, v5
	ds_bpermute_b32 v7, v7, v5
	s_waitcnt lgkmcnt(0)
	v_add_f32_e32 v5, v5, v7
	ds_bpermute_b32 v7, v8, v5
	v_xor_b32_e32 v8, 4, v2
	v_cmp_lt_i32_e64 s[8:9], v8, v3
	s_waitcnt lgkmcnt(0)
	v_add_f32_e32 v5, v5, v7
	v_cndmask_b32_e64 v8, v2, v8, s[8:9]
	v_lshlrev_b32_e32 v8, 2, v8
	ds_bpermute_b32 v7, v8, v5
	v_xor_b32_e32 v8, 2, v2
	v_cmp_lt_i32_e64 s[8:9], v8, v3
	s_waitcnt lgkmcnt(0)
	v_add_f32_e32 v3, v5, v7
	v_cndmask_b32_e64 v2, v2, v8, s[8:9]
	v_lshlrev_b32_e32 v2, 2, v2
	ds_bpermute_b32 v2, v2, v3
	s_waitcnt lgkmcnt(0)
	v_add_f32_e32 v2, v3, v2
	ds_bpermute_b32 v3, v46, v2
	s_waitcnt lgkmcnt(0)
	v_add_f32_e32 v2, v2, v3
	s_and_saveexec_b64 s[8:9], vcc
	s_cbranch_execz .LBB7_29
; %bb.28:
	ds_write_b32 v4, v2 offset:776
.LBB7_29:
	s_or_b64 exec, exec, s[8:9]
	s_waitcnt lgkmcnt(0)
	s_barrier
	s_and_saveexec_b64 s[8:9], s[2:3]
	s_cbranch_execz .LBB7_31
; %bb.30:
	ds_read_b32 v2, v6 offset:776
.LBB7_31:
	s_or_b64 exec, exec, s[8:9]
	s_waitcnt lgkmcnt(0)
	ds_bpermute_b32 v3, v46, v2
	s_waitcnt lgkmcnt(0)
	v_add_f32_e32 v2, v2, v3
	ds_bpermute_b32 v2, v9, v2
	s_and_saveexec_b64 s[2:3], s[6:7]
	s_cbranch_execz .LBB7_44
; %bb.32:
	s_waitcnt lgkmcnt(0)
	v_add_f32_e32 v2, 0x358637bd, v2
	v_div_scale_f32 v3, s[6:7], v2, v2, 1.0
	v_rcp_f32_e32 v4, v3
	v_div_scale_f32 v5, vcc, 1.0, v2, 1.0
	s_movk_i32 s6, 0x7f
	v_fma_f32 v6, -v3, v4, 1.0
	v_fmac_f32_e32 v4, v6, v4
	v_mul_f32_e32 v6, v5, v4
	v_fma_f32 v7, -v3, v6, v5
	v_fmac_f32_e32 v6, v7, v4
	v_fma_f32 v3, -v3, v6, v5
	v_div_fmas_f32 v3, v3, v4, v6
	v_xad_u32 v4, v0, -1, s15
	v_div_fixup_f32 v2, v3, v2, 1.0
	v_cmp_lt_u32_e32 vcc, s6, v4
	s_mov_b64 s[8:9], -1
	v_mov_b32_e32 v3, v0
	s_and_saveexec_b64 s[6:7], vcc
	s_cbranch_execz .LBB7_41
; %bb.33:
	v_lshrrev_b32_e32 v4, 7, v4
	v_add_u32_e32 v6, -1, v4
	v_lshrrev_b32_e32 v5, 1, v6
	v_mov_b32_e32 v3, v2
	v_add_u32_e32 v5, 1, v5
	v_cmp_lt_u32_e32 vcc, 13, v6
	v_mov_b32_e32 v8, 0
	s_and_saveexec_b64 s[8:9], vcc
	s_cbranch_execz .LBB7_37
; %bb.34:
	v_mov_b32_e32 v7, 0x310
	v_and_b32_e32 v6, -8, v5
	v_lshl_add_u32 v7, v0, 2, v7
	s_mov_b32 s34, 0
	s_mov_b64 s[30:31], 0
.LBB7_35:                               ; =>This Inner Loop Header: Depth=1
	ds_read2st64_b32 v[8:9], v7 offset1:2
	ds_read2st64_b32 v[10:11], v7 offset0:4 offset1:6
	ds_read2st64_b32 v[12:13], v7 offset0:8 offset1:10
	;; [unrolled: 1-line block ×3, first 2 shown]
	v_add_u32_e32 v6, -8, v6
	s_waitcnt lgkmcnt(3)
	v_pk_mul_f32 v[8:9], v[2:3], v[8:9]
	s_waitcnt lgkmcnt(2)
	v_pk_mul_f32 v[10:11], v[2:3], v[10:11]
	ds_write2st64_b32 v7, v8, v9 offset1:2
	ds_write2st64_b32 v7, v10, v11 offset0:4 offset1:6
	ds_read2st64_b32 v[10:11], v7 offset0:16 offset1:18
	s_waitcnt lgkmcnt(4)
	v_pk_mul_f32 v[8:9], v[2:3], v[12:13]
	ds_write2st64_b32 v7, v8, v9 offset0:8 offset1:10
	s_waitcnt lgkmcnt(4)
	v_pk_mul_f32 v[8:9], v[2:3], v[14:15]
	ds_write2st64_b32 v7, v8, v9 offset0:12 offset1:14
	ds_read2st64_b32 v[8:9], v7 offset0:20 offset1:22
	s_waitcnt lgkmcnt(3)
	v_pk_mul_f32 v[10:11], v[2:3], v[10:11]
	ds_read2st64_b32 v[12:13], v7 offset0:24 offset1:26
	ds_write2st64_b32 v7, v10, v11 offset0:16 offset1:18
	ds_read2st64_b32 v[10:11], v7 offset0:28 offset1:30
	s_waitcnt lgkmcnt(3)
	v_pk_mul_f32 v[8:9], v[2:3], v[8:9]
	ds_write2st64_b32 v7, v8, v9 offset0:20 offset1:22
	s_waitcnt lgkmcnt(3)
	v_pk_mul_f32 v[8:9], v[2:3], v[12:13]
	ds_write2st64_b32 v7, v8, v9 offset0:24 offset1:26
	s_waitcnt lgkmcnt(2)
	v_pk_mul_f32 v[8:9], v[2:3], v[10:11]
	s_add_i32 s34, s34, 16
	v_cmp_eq_u32_e32 vcc, 0, v6
	ds_write2st64_b32 v7, v8, v9 offset0:28 offset1:30
	v_add_u32_e32 v7, 0x2000, v7
	s_or_b64 s[30:31], vcc, s[30:31]
	v_mov_b32_e32 v8, s34
	s_andn2_b64 exec, exec, s[30:31]
	s_cbranch_execnz .LBB7_35
; %bb.36:
	s_or_b64 exec, exec, s[30:31]
.LBB7_37:
	s_or_b64 exec, exec, s[8:9]
	v_and_b32_e32 v5, 7, v5
	v_cmp_ne_u32_e32 vcc, 0, v5
	s_and_saveexec_b64 s[8:9], vcc
	s_cbranch_execz .LBB7_40
; %bb.38:
	v_lshlrev_b32_e32 v6, 9, v8
	v_lshlrev_b32_e32 v7, 2, v0
	s_movk_i32 s30, 0x310
	v_add3_u32 v6, v6, v7, s30
	s_mov_b64 s[30:31], 0
.LBB7_39:                               ; =>This Inner Loop Header: Depth=1
	ds_read2st64_b32 v[8:9], v6 offset1:2
	v_add_u32_e32 v5, -1, v5
	v_cmp_eq_u32_e32 vcc, 0, v5
	s_or_b64 s[30:31], vcc, s[30:31]
	s_waitcnt lgkmcnt(0)
	v_pk_mul_f32 v[8:9], v[2:3], v[8:9]
	ds_write2st64_b32 v6, v8, v9 offset1:2
	v_add_u32_e32 v6, 0x400, v6
	s_andn2_b64 exec, exec, s[30:31]
	s_cbranch_execnz .LBB7_39
.LBB7_40:
	s_or_b64 exec, exec, s[8:9]
	v_add_u32_e32 v4, 1, v4
	v_and_b32_e32 v5, 0x3fffffe, v4
	v_cmp_ne_u32_e32 vcc, v4, v5
	v_lshl_add_u32 v3, v5, 7, v0
	s_orn2_b64 s[8:9], vcc, exec
.LBB7_41:
	s_or_b64 exec, exec, s[6:7]
	s_and_b64 exec, exec, s[8:9]
	s_cbranch_execz .LBB7_44
; %bb.42:
	v_mov_b32_e32 v4, 0x310
	v_lshl_add_u32 v4, v3, 2, v4
	s_mov_b64 s[6:7], 0
.LBB7_43:                               ; =>This Inner Loop Header: Depth=1
	ds_read_b32 v5, v4
	v_add_u32_e32 v3, 0x80, v3
	v_cmp_le_i32_e32 vcc, s15, v3
	s_or_b64 s[6:7], vcc, s[6:7]
	s_waitcnt lgkmcnt(0)
	v_mul_f32_e32 v5, v2, v5
	ds_write_b32 v4, v5
	v_add_u32_e32 v4, 0x200, v4
	s_andn2_b64 exec, exec, s[6:7]
	s_cbranch_execnz .LBB7_43
.LBB7_44:
	s_or_b64 exec, exec, s[2:3]
	s_mov_b32 s8, 0
	v_mov_b32_e32 v7, 0
	v_and_b32_e32 v47, 1, v0
	v_mov_b32_e32 v6, 0
	v_mov_b32_e32 v5, 0
	;; [unrolled: 1-line block ×4, first 2 shown]
	s_waitcnt lgkmcnt(0)
	v_mov_b32_e32 v2, 0
	s_barrier
	s_and_saveexec_b64 s[2:3], s[0:1]
	s_cbranch_execz .LBB7_62
; %bb.45:
	s_ashr_i32 s15, s14, 31
	s_sub_i32 s17, s12, s17
	s_lshl_b64 s[0:1], s[14:15], 2
	s_add_u32 s6, s10, s0
	s_addc_u32 s7, s11, s1
	s_abs_i32 s18, s18
	v_cvt_f32_u32_e32 v2, s18
	v_lshlrev_b32_e32 v3, 2, v0
	s_sub_i32 s0, 0, s18
	v_and_b32_e32 v48, 4, v3
	v_rcp_iflag_f32_e32 v2, v2
	v_and_b32_e32 v8, 0xfc, v3
	s_add_i32 s31, s16, -1
	s_mov_b32 s9, s8
	v_mul_f32_e32 v2, 0x4f7ffffe, v2
	v_cvt_u32_f32_e32 v2, v2
	s_mov_b32 s30, s13
	v_mov_b32_e32 v37, 0
	v_or_b32_e32 v10, 0x400, v8
	v_mul_lo_u32 v3, s0, v2
	v_mul_hi_u32 v3, v2, v3
	v_add_u32_e32 v49, v2, v3
	s_lshl_b64 s[0:1], s[28:29], 2
	v_lshlrev_b32_e32 v2, 4, v47
	s_add_u32 s0, s26, s0
	v_lshl_or_b32 v2, v1, 5, v2
	v_or_b32_e32 v12, 0x500, v8
	v_and_b32_e32 v36, 60, v24
	s_addc_u32 s1, s27, s1
	v_add_u32_e32 v50, 0x310, v2
	s_mov_b32 s10, s8
	s_mov_b32 s11, s8
	;; [unrolled: 1-line block ×4, first 2 shown]
	v_mov_b64_e32 v[2:3], s[8:9]
	v_lshl_add_u64 v[38:39], s[0:1], 0, v[36:37]
	s_mov_b64 s[14:15], 0
	v_mov_b64_e32 v[4:5], s[10:11]
	v_mov_b64_e32 v[6:7], s[12:13]
	v_lshlrev_b32_e32 v40, 2, v8
	v_lshlrev_b32_e32 v36, 2, v10
	;; [unrolled: 1-line block ×3, first 2 shown]
	s_branch .LBB7_48
.LBB7_46:                               ;   in Loop: Header=BB7_48 Depth=1
	s_or_b64 exec, exec, s[0:1]
	s_waitcnt vmcnt(5) lgkmcnt(0)
	v_mul_f32_e32 v13, v9, v13
	v_fmac_f32_e32 v13, v8, v12
	s_waitcnt vmcnt(4)
	v_mul_f32_e32 v12, v9, v17
	v_fmac_f32_e32 v12, v8, v16
	v_fmac_f32_e32 v12, v10, v18
	v_fmac_f32_e32 v12, v11, v19
	v_add_f32_e32 v3, v3, v12
	s_waitcnt vmcnt(3)
	v_mul_f32_e32 v12, v9, v21
	v_fmac_f32_e32 v12, v8, v20
	v_fmac_f32_e32 v12, v10, v22
	v_fmac_f32_e32 v12, v11, v23
	v_add_f32_e32 v4, v4, v12
	;; [unrolled: 6-line block ×3, first 2 shown]
	s_waitcnt vmcnt(1)
	v_mul_f32_e32 v12, v9, v29
	s_waitcnt vmcnt(0)
	v_mul_f32_e32 v9, v9, v33
	v_fmac_f32_e32 v12, v8, v28
	v_fmac_f32_e32 v9, v8, v32
	;; [unrolled: 1-line block ×8, first 2 shown]
	v_add_f32_e32 v2, v2, v13
	v_add_f32_e32 v6, v6, v12
	;; [unrolled: 1-line block ×3, first 2 shown]
.LBB7_47:                               ;   in Loop: Header=BB7_48 Depth=1
	s_or_b64 exec, exec, s[8:9]
	v_add_u32_e32 v1, 2, v1
	v_cmp_le_i32_e32 vcc, s16, v1
	v_lshl_add_u64 v[38:39], v[38:39], 0, 8
	v_add_u32_e32 v44, 16, v44
	s_or_b64 s[14:15], vcc, s[14:15]
	v_add_u32_e32 v50, 64, v50
	s_andn2_b64 exec, exec, s[14:15]
	s_cbranch_execz .LBB7_61
.LBB7_48:                               ; =>This Inner Loop Header: Depth=1
	v_mul_hi_u32 v8, v44, s40
	v_mul_lo_u32 v9, v8, s25
	v_sub_u32_e32 v9, v44, v9
	v_add_u32_e32 v10, 1, v8
	v_cmp_le_u32_e32 vcc, s25, v9
	s_nop 1
	v_cndmask_b32_e32 v8, v8, v10, vcc
	v_subrev_u32_e32 v10, s25, v9
	v_cndmask_b32_e32 v9, v9, v10, vcc
	v_add_u32_e32 v10, 1, v8
	v_cmp_le_u32_e32 vcc, s25, v9
	s_nop 1
	v_cndmask_b32_e32 v8, v8, v10, vcc
	v_xor_b32_e32 v8, s19, v8
	v_subrev_u32_e32 v8, s19, v8
	v_add_u32_e32 v9, s41, v8
	v_sub_u32_e32 v11, 0, v9
	v_ashrrev_i32_e32 v10, 31, v9
	v_max_i32_e32 v9, v9, v11
	v_mul_hi_u32 v11, v9, v49
	v_mul_lo_u32 v11, v11, s18
	v_sub_u32_e32 v9, v9, v11
	v_subrev_u32_e32 v11, s18, v9
	v_cmp_le_u32_e32 vcc, s18, v9
	v_cmp_lt_i32_e64 s[0:1], s17, v8
	s_nop 0
	v_cndmask_b32_e32 v9, v9, v11, vcc
	v_subrev_u32_e32 v11, s18, v9
	v_cmp_le_u32_e32 vcc, s18, v9
	s_nop 1
	v_cndmask_b32_e32 v9, v9, v11, vcc
	v_xor_b32_e32 v9, v9, v10
	v_sub_u32_e32 v9, v9, v10
	v_cmp_eq_u32_e32 vcc, 0, v9
	s_or_b64 s[0:1], vcc, s[0:1]
	s_and_saveexec_b64 s[8:9], s[0:1]
	s_cbranch_execz .LBB7_47
; %bb.49:                               ;   in Loop: Header=BB7_48 Depth=1
	global_load_dword v8, v[38:39], off
	v_mov_b32_e32 v41, v37
	v_cmp_eq_u32_e32 vcc, s31, v1
	s_waitcnt vmcnt(0)
	v_mad_i64_i32 v[8:9], s[0:1], v8, s30, 0
	v_lshl_add_u64 v[32:33], v[8:9], 2, s[6:7]
	v_lshl_add_u64 v[24:25], v[32:33], 0, v[40:41]
	global_load_dwordx4 v[12:15], v[24:25], off
	ds_read_b128 v[8:11], v50
	v_add_u32_e32 v41, v48, v44
	v_add_u32_e32 v53, 1, v41
	;; [unrolled: 1-line block ×4, first 2 shown]
	s_and_saveexec_b64 s[10:11], vcc
	s_cbranch_execnz .LBB7_58
; %bb.50:                               ;   in Loop: Header=BB7_48 Depth=1
	s_or_b64 exec, exec, s[10:11]
	global_load_dwordx4 v[16:19], v[24:25], off offset:1024
	s_and_saveexec_b64 s[10:11], vcc
	s_cbranch_execnz .LBB7_59
.LBB7_51:                               ;   in Loop: Header=BB7_48 Depth=1
	s_or_b64 exec, exec, s[10:11]
	global_load_dwordx4 v[20:23], v[24:25], off offset:2048
	s_and_saveexec_b64 s[10:11], vcc
	s_cbranch_execnz .LBB7_60
.LBB7_52:                               ;   in Loop: Header=BB7_48 Depth=1
	s_or_b64 exec, exec, s[10:11]
	global_load_dwordx4 v[24:27], v[24:25], off offset:3072
	s_and_saveexec_b64 s[10:11], vcc
	s_cbranch_execz .LBB7_54
.LBB7_53:                               ;   in Loop: Header=BB7_48 Depth=1
	v_cmp_gt_i32_e64 s[0:1], s33, v41
	s_waitcnt vmcnt(0)
	s_nop 0
	v_cndmask_b32_e64 v24, 0, v24, s[0:1]
	v_cmp_gt_i32_e64 s[0:1], s33, v53
	s_nop 1
	v_cndmask_b32_e64 v25, 0, v25, s[0:1]
	v_cmp_gt_i32_e64 s[0:1], s33, v52
	s_nop 1
	v_cndmask_b32_e64 v26, 0, v26, s[0:1]
	v_cmp_gt_i32_e64 s[0:1], s33, v51
	s_nop 1
	v_cndmask_b32_e64 v27, 0, v27, s[0:1]
.LBB7_54:                               ;   in Loop: Header=BB7_48 Depth=1
	s_or_b64 exec, exec, s[10:11]
	v_lshl_add_u64 v[28:29], v[32:33], 0, v[36:37]
	global_load_dwordx4 v[28:31], v[28:29], off
	s_and_saveexec_b64 s[10:11], vcc
	s_cbranch_execz .LBB7_56
; %bb.55:                               ;   in Loop: Header=BB7_48 Depth=1
	v_cmp_gt_i32_e64 s[0:1], s33, v41
	s_waitcnt vmcnt(0)
	s_nop 0
	v_cndmask_b32_e64 v28, 0, v28, s[0:1]
	v_cmp_gt_i32_e64 s[0:1], s33, v53
	s_nop 1
	v_cndmask_b32_e64 v29, 0, v29, s[0:1]
	v_cmp_gt_i32_e64 s[0:1], s33, v52
	;; [unrolled: 3-line block ×3, first 2 shown]
	s_nop 1
	v_cndmask_b32_e64 v31, 0, v31, s[0:1]
.LBB7_56:                               ;   in Loop: Header=BB7_48 Depth=1
	s_or_b64 exec, exec, s[10:11]
	v_mov_b32_e32 v43, v37
	v_lshl_add_u64 v[32:33], v[32:33], 0, v[42:43]
	global_load_dwordx4 v[32:35], v[32:33], off
	s_and_saveexec_b64 s[0:1], vcc
	s_cbranch_execz .LBB7_46
; %bb.57:                               ;   in Loop: Header=BB7_48 Depth=1
	v_cmp_gt_i32_e32 vcc, s33, v41
	s_waitcnt vmcnt(0)
	s_nop 0
	v_cndmask_b32_e32 v32, 0, v32, vcc
	v_cmp_gt_i32_e32 vcc, s33, v53
	s_nop 1
	v_cndmask_b32_e32 v33, 0, v33, vcc
	v_cmp_gt_i32_e32 vcc, s33, v52
	;; [unrolled: 3-line block ×3, first 2 shown]
	s_nop 1
	v_cndmask_b32_e32 v35, 0, v35, vcc
	s_branch .LBB7_46
.LBB7_58:                               ;   in Loop: Header=BB7_48 Depth=1
	v_cmp_gt_i32_e64 s[0:1], s33, v41
	s_waitcnt vmcnt(0)
	s_nop 0
	v_cndmask_b32_e64 v12, 0, v12, s[0:1]
	v_cmp_gt_i32_e64 s[0:1], s33, v53
	s_nop 1
	v_cndmask_b32_e64 v13, 0, v13, s[0:1]
	v_cmp_gt_i32_e64 s[0:1], s33, v52
	;; [unrolled: 3-line block ×3, first 2 shown]
	s_nop 1
	v_cndmask_b32_e64 v15, 0, v15, s[0:1]
	s_or_b64 exec, exec, s[10:11]
	global_load_dwordx4 v[16:19], v[24:25], off offset:1024
	s_and_saveexec_b64 s[10:11], vcc
	s_cbranch_execz .LBB7_51
.LBB7_59:                               ;   in Loop: Header=BB7_48 Depth=1
	v_cmp_gt_i32_e64 s[0:1], s33, v41
	s_waitcnt vmcnt(0)
	s_nop 0
	v_cndmask_b32_e64 v16, 0, v16, s[0:1]
	v_cmp_gt_i32_e64 s[0:1], s33, v53
	s_nop 1
	v_cndmask_b32_e64 v17, 0, v17, s[0:1]
	v_cmp_gt_i32_e64 s[0:1], s33, v52
	;; [unrolled: 3-line block ×3, first 2 shown]
	s_nop 1
	v_cndmask_b32_e64 v19, 0, v19, s[0:1]
	s_or_b64 exec, exec, s[10:11]
	global_load_dwordx4 v[20:23], v[24:25], off offset:2048
	s_and_saveexec_b64 s[10:11], vcc
	s_cbranch_execz .LBB7_52
.LBB7_60:                               ;   in Loop: Header=BB7_48 Depth=1
	v_cmp_gt_i32_e64 s[0:1], s33, v41
	s_waitcnt vmcnt(0)
	s_nop 0
	v_cndmask_b32_e64 v20, 0, v20, s[0:1]
	v_cmp_gt_i32_e64 s[0:1], s33, v53
	s_nop 1
	v_cndmask_b32_e64 v21, 0, v21, s[0:1]
	v_cmp_gt_i32_e64 s[0:1], s33, v52
	;; [unrolled: 3-line block ×3, first 2 shown]
	s_nop 1
	v_cndmask_b32_e64 v23, 0, v23, s[0:1]
	s_or_b64 exec, exec, s[10:11]
	global_load_dwordx4 v[24:27], v[24:25], off offset:3072
	s_and_saveexec_b64 s[10:11], vcc
	s_cbranch_execnz .LBB7_53
	s_branch .LBB7_54
.LBB7_61:
	s_or_b64 exec, exec, s[14:15]
.LBB7_62:
	s_or_b64 exec, exec, s[2:3]
	ds_bpermute_b32 v8, v46, v2
	ds_bpermute_b32 v9, v46, v3
	;; [unrolled: 1-line block ×6, first 2 shown]
	v_and_b32_e32 v1, 0x3c1, v0
	s_waitcnt lgkmcnt(4)
	v_pk_add_f32 v[8:9], v[2:3], v[8:9]
	s_waitcnt lgkmcnt(2)
	v_pk_add_f32 v[2:3], v[4:5], v[10:11]
	v_cmp_eq_u32_e32 vcc, 64, v1
	s_waitcnt lgkmcnt(0)
	v_pk_add_f32 v[4:5], v[6:7], v[12:13]
	s_barrier
	s_and_saveexec_b64 s[0:1], vcc
	s_cbranch_execz .LBB7_64
; %bb.63:
	v_mov_b32_e32 v6, 0x310
	v_lshl_add_u32 v6, v45, 1, v6
	ds_write2_b32 v6, v8, v9 offset1:32
	ds_write2_b32 v6, v2, v3 offset0:64 offset1:96
	ds_write2_b32 v6, v4, v5 offset0:128 offset1:160
.LBB7_64:
	s_or_b64 exec, exec, s[0:1]
	v_cmp_gt_u32_e32 vcc, 64, v0
	s_waitcnt lgkmcnt(0)
	s_barrier
	s_and_saveexec_b64 s[0:1], vcc
	s_cbranch_execz .LBB7_73
; %bb.65:
	v_cmp_eq_u32_e32 vcc, 0, v47
	v_lshrrev_b32_e32 v6, 1, v0
	s_and_saveexec_b64 s[2:3], vcc
	s_cbranch_execnz .LBB7_76
; %bb.66:
	s_or_b64 exec, exec, s[2:3]
	s_and_saveexec_b64 s[2:3], vcc
	s_cbranch_execnz .LBB7_77
.LBB7_67:
	s_or_b64 exec, exec, s[2:3]
	s_and_saveexec_b64 s[2:3], vcc
	s_cbranch_execnz .LBB7_78
.LBB7_68:
	s_or_b64 exec, exec, s[2:3]
	s_and_saveexec_b64 s[2:3], vcc
	s_cbranch_execnz .LBB7_79
.LBB7_69:
	s_or_b64 exec, exec, s[2:3]
	s_and_saveexec_b64 s[2:3], vcc
	s_cbranch_execnz .LBB7_80
.LBB7_70:
	s_or_b64 exec, exec, s[2:3]
	s_and_saveexec_b64 s[2:3], vcc
	s_cbranch_execz .LBB7_72
.LBB7_71:
	v_mov_b32_e32 v7, 0x310
	v_lshl_add_u32 v6, v6, 2, v7
	ds_read_b32 v6, v6 offset:640
	s_waitcnt lgkmcnt(0)
	v_add_f32_e32 v5, v5, v6
.LBB7_72:
	s_or_b64 exec, exec, s[2:3]
.LBB7_73:
	s_or_b64 exec, exec, s[0:1]
	v_cmp_eq_u32_e32 vcc, 0, v1
	s_barrier
	s_and_saveexec_b64 s[0:1], vcc
	s_cbranch_execz .LBB7_75
; %bb.74:
	s_mul_i32 s0, s20, s21
	s_mul_i32 s0, s0, s5
	s_mulk_i32 s0, 0xc0
	s_ashr_i32 s1, s0, 31
	s_lshl_b64 s[0:1], s[0:1], 2
	s_add_u32 s2, s22, s0
	s_mul_i32 s0, s21, s24
	s_addc_u32 s3, s23, s1
	s_ashr_i32 s1, s0, 31
	s_lshl_b64 s[0:1], s[0:1], 2
	s_add_u32 s2, s2, s0
	s_mul_i32 s0, s4, 0xc0
	s_addc_u32 s3, s3, s1
	s_ashr_i32 s1, s0, 31
	s_lshl_b64 s[0:1], s[0:1], 2
	s_add_u32 s0, s2, s0
	s_addc_u32 s1, s3, s1
	v_lshlrev_b32_e32 v0, 1, v0
	global_store_dword v0, v8, s[0:1]
	global_store_dword v0, v9, s[0:1] offset:128
	global_store_dword v0, v2, s[0:1] offset:256
	;; [unrolled: 1-line block ×5, first 2 shown]
.LBB7_75:
	s_endpgm
.LBB7_76:
	v_mov_b32_e32 v7, 0x310
	v_lshl_add_u32 v7, v6, 2, v7
	ds_read_b32 v7, v7
	s_waitcnt lgkmcnt(0)
	v_add_f32_e32 v8, v8, v7
	s_or_b64 exec, exec, s[2:3]
	s_and_saveexec_b64 s[2:3], vcc
	s_cbranch_execz .LBB7_67
.LBB7_77:
	v_mov_b32_e32 v7, 0x310
	v_lshl_add_u32 v7, v6, 2, v7
	ds_read_b32 v7, v7 offset:128
	s_waitcnt lgkmcnt(0)
	v_add_f32_e32 v9, v9, v7
	s_or_b64 exec, exec, s[2:3]
	s_and_saveexec_b64 s[2:3], vcc
	s_cbranch_execz .LBB7_68
.LBB7_78:
	v_mov_b32_e32 v7, 0x310
	v_lshl_add_u32 v7, v6, 2, v7
	ds_read_b32 v7, v7 offset:256
	s_waitcnt lgkmcnt(0)
	v_add_f32_e32 v2, v2, v7
	s_or_b64 exec, exec, s[2:3]
	s_and_saveexec_b64 s[2:3], vcc
	s_cbranch_execz .LBB7_69
.LBB7_79:
	v_mov_b32_e32 v7, 0x310
	v_lshl_add_u32 v7, v6, 2, v7
	ds_read_b32 v7, v7 offset:384
	s_waitcnt lgkmcnt(0)
	v_add_f32_e32 v3, v3, v7
	s_or_b64 exec, exec, s[2:3]
	s_and_saveexec_b64 s[2:3], vcc
	s_cbranch_execz .LBB7_70
.LBB7_80:
	v_mov_b32_e32 v7, 0x310
	v_lshl_add_u32 v7, v6, 2, v7
	ds_read_b32 v7, v7 offset:512
	s_waitcnt lgkmcnt(0)
	v_add_f32_e32 v4, v4, v7
	s_or_b64 exec, exec, s[2:3]
	s_and_saveexec_b64 s[2:3], vcc
	s_cbranch_execnz .LBB7_71
	s_branch .LBB7_72
	.section	.rodata,"a",@progbits
	.p2align	6, 0x0
	.amdhsa_kernel _ZN4vllm25paged_attention_v1_kernelIffLi192ELi8ELi128ELNS_18Fp8KVCacheDataTypeE0ELb1EEEvPT_PKS2_PKT0_S8_ifPKiSA_iPKfiiiSC_SC_iiiii
		.amdhsa_group_segment_fixed_size 784
		.amdhsa_private_segment_fixed_size 0
		.amdhsa_kernarg_size 384
		.amdhsa_user_sgpr_count 2
		.amdhsa_user_sgpr_dispatch_ptr 0
		.amdhsa_user_sgpr_queue_ptr 0
		.amdhsa_user_sgpr_kernarg_segment_ptr 1
		.amdhsa_user_sgpr_dispatch_id 0
		.amdhsa_user_sgpr_kernarg_preload_length 0
		.amdhsa_user_sgpr_kernarg_preload_offset 0
		.amdhsa_user_sgpr_private_segment_size 0
		.amdhsa_uses_dynamic_stack 0
		.amdhsa_enable_private_segment 0
		.amdhsa_system_sgpr_workgroup_id_x 1
		.amdhsa_system_sgpr_workgroup_id_y 1
		.amdhsa_system_sgpr_workgroup_id_z 1
		.amdhsa_system_sgpr_workgroup_info 0
		.amdhsa_system_vgpr_workitem_id 0
		.amdhsa_next_free_vgpr 66
		.amdhsa_next_free_sgpr 44
		.amdhsa_accum_offset 68
		.amdhsa_reserve_vcc 1
		.amdhsa_float_round_mode_32 0
		.amdhsa_float_round_mode_16_64 0
		.amdhsa_float_denorm_mode_32 3
		.amdhsa_float_denorm_mode_16_64 3
		.amdhsa_dx10_clamp 1
		.amdhsa_ieee_mode 1
		.amdhsa_fp16_overflow 0
		.amdhsa_tg_split 0
		.amdhsa_exception_fp_ieee_invalid_op 0
		.amdhsa_exception_fp_denorm_src 0
		.amdhsa_exception_fp_ieee_div_zero 0
		.amdhsa_exception_fp_ieee_overflow 0
		.amdhsa_exception_fp_ieee_underflow 0
		.amdhsa_exception_fp_ieee_inexact 0
		.amdhsa_exception_int_div_zero 0
	.end_amdhsa_kernel
	.section	.text._ZN4vllm25paged_attention_v1_kernelIffLi192ELi8ELi128ELNS_18Fp8KVCacheDataTypeE0ELb1EEEvPT_PKS2_PKT0_S8_ifPKiSA_iPKfiiiSC_SC_iiiii,"axG",@progbits,_ZN4vllm25paged_attention_v1_kernelIffLi192ELi8ELi128ELNS_18Fp8KVCacheDataTypeE0ELb1EEEvPT_PKS2_PKT0_S8_ifPKiSA_iPKfiiiSC_SC_iiiii,comdat
.Lfunc_end7:
	.size	_ZN4vllm25paged_attention_v1_kernelIffLi192ELi8ELi128ELNS_18Fp8KVCacheDataTypeE0ELb1EEEvPT_PKS2_PKT0_S8_ifPKiSA_iPKfiiiSC_SC_iiiii, .Lfunc_end7-_ZN4vllm25paged_attention_v1_kernelIffLi192ELi8ELi128ELNS_18Fp8KVCacheDataTypeE0ELb1EEEvPT_PKS2_PKT0_S8_ifPKiSA_iPKfiiiSC_SC_iiiii
                                        ; -- End function
	.section	.AMDGPU.csdata,"",@progbits
; Kernel info:
; codeLenInByte = 5604
; NumSgprs: 50
; NumVgprs: 66
; NumAgprs: 0
; TotalNumVgprs: 66
; ScratchSize: 0
; MemoryBound: 0
; FloatMode: 240
; IeeeMode: 1
; LDSByteSize: 784 bytes/workgroup (compile time only)
; SGPRBlocks: 6
; VGPRBlocks: 8
; NumSGPRsForWavesPerEU: 50
; NumVGPRsForWavesPerEU: 66
; AccumOffset: 68
; Occupancy: 7
; WaveLimiterHint : 1
; COMPUTE_PGM_RSRC2:SCRATCH_EN: 0
; COMPUTE_PGM_RSRC2:USER_SGPR: 2
; COMPUTE_PGM_RSRC2:TRAP_HANDLER: 0
; COMPUTE_PGM_RSRC2:TGID_X_EN: 1
; COMPUTE_PGM_RSRC2:TGID_Y_EN: 1
; COMPUTE_PGM_RSRC2:TGID_Z_EN: 1
; COMPUTE_PGM_RSRC2:TIDIG_COMP_CNT: 0
; COMPUTE_PGM_RSRC3_GFX90A:ACCUM_OFFSET: 16
; COMPUTE_PGM_RSRC3_GFX90A:TG_SPLIT: 0
	.section	.text._ZN4vllm25paged_attention_v1_kernelIffLi256ELi8ELi128ELNS_18Fp8KVCacheDataTypeE0ELb1EEEvPT_PKS2_PKT0_S8_ifPKiSA_iPKfiiiSC_SC_iiiii,"axG",@progbits,_ZN4vllm25paged_attention_v1_kernelIffLi256ELi8ELi128ELNS_18Fp8KVCacheDataTypeE0ELb1EEEvPT_PKS2_PKT0_S8_ifPKiSA_iPKfiiiSC_SC_iiiii,comdat
	.protected	_ZN4vllm25paged_attention_v1_kernelIffLi256ELi8ELi128ELNS_18Fp8KVCacheDataTypeE0ELb1EEEvPT_PKS2_PKT0_S8_ifPKiSA_iPKfiiiSC_SC_iiiii ; -- Begin function _ZN4vllm25paged_attention_v1_kernelIffLi256ELi8ELi128ELNS_18Fp8KVCacheDataTypeE0ELb1EEEvPT_PKS2_PKT0_S8_ifPKiSA_iPKfiiiSC_SC_iiiii
	.globl	_ZN4vllm25paged_attention_v1_kernelIffLi256ELi8ELi128ELNS_18Fp8KVCacheDataTypeE0ELb1EEEvPT_PKS2_PKT0_S8_ifPKiSA_iPKfiiiSC_SC_iiiii
	.p2align	8
	.type	_ZN4vllm25paged_attention_v1_kernelIffLi256ELi8ELi128ELNS_18Fp8KVCacheDataTypeE0ELb1EEEvPT_PKS2_PKT0_S8_ifPKiSA_iPKfiiiSC_SC_iiiii,@function
_ZN4vllm25paged_attention_v1_kernelIffLi256ELi8ELi128ELNS_18Fp8KVCacheDataTypeE0ELb1EEEvPT_PKS2_PKT0_S8_ifPKiSA_iPKfiiiSC_SC_iiiii: ; @_ZN4vllm25paged_attention_v1_kernelIffLi256ELi8ELi128ELNS_18Fp8KVCacheDataTypeE0ELb1EEEvPT_PKS2_PKT0_S8_ifPKiSA_iPKfiiiSC_SC_iiiii
; %bb.0:
	s_load_dword s5, s[0:1], 0x80
	s_load_dwordx2 s[6:7], s[0:1], 0x30
	s_load_dwordx2 s[30:31], s[0:1], 0x20
	s_mov_b32 s20, s3
	s_ashr_i32 s21, s3, 31
	s_lshl_b64 s[8:9], s[20:21], 2
	s_waitcnt lgkmcnt(0)
	s_add_u32 s6, s6, s8
	s_addc_u32 s7, s7, s9
	s_abs_i32 s3, s30
	v_cvt_f32_u32_e32 v1, s3
	s_sub_i32 s10, 0, s3
	s_abs_i32 s9, s5
	s_xor_b32 s8, s5, s30
	v_rcp_iflag_f32_e32 v1, v1
	s_ashr_i32 s8, s8, 31
	s_mov_b32 s43, 0
	v_mul_f32_e32 v1, 0x4f7ffffe, v1
	v_cvt_u32_f32_e32 v1, v1
	s_nop 0
	v_readfirstlane_b32 s11, v1
	s_mul_i32 s10, s10, s11
	s_mul_hi_u32 s10, s11, s10
	s_add_i32 s11, s11, s10
	s_mul_hi_u32 s10, s9, s11
	s_mul_i32 s11, s10, s3
	s_sub_i32 s9, s9, s11
	s_add_i32 s11, s10, 1
	s_sub_i32 s12, s9, s3
	s_cmp_ge_u32 s9, s3
	s_cselect_b32 s10, s11, s10
	s_cselect_b32 s9, s12, s9
	s_add_i32 s11, s10, 1
	s_cmp_ge_u32 s9, s3
	s_cselect_b32 s3, s11, s10
	s_xor_b32 s3, s3, s8
	s_sub_i32 s34, s3, s8
	s_abs_i32 s28, s34
	v_cvt_f32_u32_e32 v1, s28
	s_load_dwordx2 s[8:9], s[0:1], 0x40
	s_sub_i32 s3, 0, s28
	s_abs_i32 s29, s2
	v_rcp_iflag_f32_e32 v1, v1
	s_nop 0
	v_mul_f32_e32 v1, 0x4f7ffffe, v1
	v_cvt_u32_f32_e32 v1, v1
	s_nop 0
	v_readfirstlane_b32 s12, v1
	s_mul_i32 s3, s3, s12
	s_mul_hi_u32 s3, s12, s3
	s_add_i32 s12, s12, s3
	s_waitcnt lgkmcnt(0)
	s_cmp_eq_u64 s[8:9], 0
	s_cbranch_scc1 .LBB8_2
; %bb.1:
	s_ashr_i32 s3, s2, 31
	s_lshl_b64 s[10:11], s[2:3], 2
	s_add_u32 s8, s8, s10
	s_addc_u32 s9, s9, s11
	s_load_dword s43, s[8:9], 0x0
.LBB8_2:
	s_load_dwordx2 s[22:23], s[0:1], 0x0
	s_nop 0
	s_load_dwordx4 s[8:11], s[0:1], 0x10
	s_mul_hi_u32 s3, s29, s12
	s_load_dword s21, s[0:1], 0x88
	s_load_dword s33, s[6:7], 0x0
	s_load_dwordx2 s[26:27], s[0:1], 0x28
	s_load_dwordx4 s[12:15], s[0:1], 0x48
	s_lshl_b32 s24, s2, 8
	s_movk_i32 s6, 0x100
	v_and_b32_e32 v6, 7, v0
	s_ashr_i32 s25, s24, 31
	v_cmp_gt_u32_e32 vcc, s6, v0
	s_and_saveexec_b64 s[6:7], vcc
	s_cbranch_execz .LBB8_5
; %bb.3:
	s_load_dwordx2 s[16:17], s[0:1], 0x8
	s_waitcnt lgkmcnt(0)
	s_mul_i32 s18, s20, s12
	s_ashr_i32 s19, s18, 31
	s_lshl_b64 s[18:19], s[18:19], 2
	s_lshl_b64 s[36:37], s[24:25], 2
	v_lshrrev_b32_e32 v2, 3, v0
	s_add_u32 s12, s18, s36
	v_lshlrev_b32_e32 v3, 2, v2
	s_addc_u32 s15, s19, s37
	v_lshl_add_u32 v4, v6, 7, v3
	v_lshlrev_b32_e32 v3, 2, v6
	s_add_u32 s16, s16, s12
	v_add_u32_e32 v1, -16, v2
	v_lshl_or_b32 v2, v2, 5, v3
	v_mov_b32_e32 v3, 0
	s_addc_u32 s17, s17, s15
	v_lshl_add_u64 v[2:3], s[16:17], 0, v[2:3]
	s_mov_b64 s[16:17], 0
	s_mov_b64 s[18:19], 0x200
.LBB8_4:                                ; =>This Inner Loop Header: Depth=1
	global_load_dword v5, v[2:3], off
	v_add_co_u32_e32 v1, vcc, 16, v1
	s_xor_b64 s[36:37], vcc, -1
	s_and_b64 s[36:37], exec, s[36:37]
	v_lshl_add_u64 v[2:3], v[2:3], 0, s[18:19]
	s_or_b64 s[16:17], s[36:37], s[16:17]
	s_waitcnt vmcnt(0)
	ds_write_b32 v4, v5
	v_add_u32_e32 v4, 64, v4
	s_andn2_b64 exec, exec, s[16:17]
	s_cbranch_execnz .LBB8_4
.LBB8_5:
	s_or_b64 exec, exec, s[6:7]
	s_ashr_i32 s6, s2, 31
	s_ashr_i32 s7, s34, 31
	s_xor_b32 s6, s6, s7
	s_mul_i32 s7, s3, s28
	s_sub_i32 s7, s29, s7
	s_waitcnt lgkmcnt(0)
	s_add_i32 s15, s3, 1
	s_sub_i32 s25, s7, s28
	s_load_dwordx4 s[16:19], s[0:1], 0x68
	s_load_dword s12, s[0:1], 0x78
	s_cmp_ge_u32 s7, s28
	s_cselect_b32 s3, s15, s3
	s_cselect_b32 s7, s25, s7
	s_add_i32 s15, s3, 1
	s_cmp_ge_u32 s7, s28
	s_cselect_b32 s3, s15, s3
	s_waitcnt lgkmcnt(0)
	s_abs_i32 s25, s19
	v_cvt_f32_u32_e32 v1, s25
	s_xor_b32 s3, s3, s6
	s_sub_i32 s3, s3, s6
	s_sub_i32 s6, 0, s25
	v_rcp_iflag_f32_e32 v1, v1
	s_add_i32 s28, s33, -1
	s_abs_i32 s15, s28
	v_mul_f32_e32 v1, 0x4f7ffffe, v1
	v_cvt_u32_f32_e32 v1, v1
	s_barrier
	v_readfirstlane_b32 s40, v1
	s_mul_i32 s6, s6, s40
	s_mul_hi_u32 s6, s40, s6
	s_add_i32 s40, s40, s6
	s_cmp_lt_i32 s12, 0
	s_mul_hi_u32 s34, s15, s40
	s_cbranch_scc0 .LBB8_7
; %bb.6:
	s_mul_i32 s6, s16, s30
	s_add_i32 s6, s3, s6
	s_mul_i32 s6, s6, s12
	s_sub_i32 s41, 1, s6
	s_ashr_i32 s28, s28, 31
	s_ashr_i32 s19, s19, 31
	s_cbranch_execz .LBB8_8
	s_branch .LBB8_9
.LBB8_7:
                                        ; implicit-def: $sgpr41
	s_ashr_i32 s28, s28, 31
	s_ashr_i32 s19, s19, 31
.LBB8_8:
	s_mul_i32 s6, s5, s16
	s_add_i32 s2, s6, s2
	s_mul_i32 s2, s2, s12
	s_add_i32 s41, s2, 1
.LBB8_9:
	s_load_dword s0, s[0:1], 0x38
	s_mul_i32 s2, s34, s25
	s_xor_b32 s1, s28, s19
	s_sub_i32 s2, s15, s2
	s_add_i32 s6, s34, 1
	s_waitcnt lgkmcnt(0)
	s_mul_i32 s28, s20, s0
	s_ashr_i32 s29, s28, 31
	s_sub_i32 s0, s2, s25
	s_cmp_ge_u32 s2, s25
	s_cselect_b32 s6, s6, s34
	s_cselect_b32 s0, s0, s2
	s_add_i32 s2, s6, 1
	s_cmp_ge_u32 s0, s25
	s_cselect_b32 s0, s2, s6
	s_xor_b32 s0, s0, s1
	s_sub_i32 s12, s0, s1
	s_add_i32 s0, s33, 7
	s_ashr_i32 s1, s0, 31
	s_lshr_b32 s1, s1, 29
	s_add_i32 s0, s0, s1
	s_ashr_i32 s42, s0, 3
	v_lshrrev_b32_e32 v1, 6, v0
	v_cmp_gt_i32_e64 s[0:1], s42, v1
	v_mov_b32_e32 v52, 0xff7fffff
	s_mul_i32 s14, s3, s14
	v_lshrrev_b32_e32 v44, 4, v0
	v_lshlrev_b32_e32 v58, 3, v1
	v_mbcnt_lo_u32_b32 v45, -1, 0
	s_and_saveexec_b64 s[34:35], s[0:1]
	s_cbranch_execz .LBB8_19
; %bb.10:
	s_ashr_i32 s15, s14, 31
	s_sub_i32 s16, s12, s17
	s_lshl_b64 s[2:3], s[14:15], 2
	v_bfe_u32 v46, v0, 3, 3
	s_add_u32 s2, s8, s2
	s_addc_u32 s3, s9, s3
	v_lshlrev_b32_e32 v2, 4, v46
	v_mov_b32_e32 v3, 0
	v_lshl_add_u64 v[4:5], s[2:3], 0, v[2:3]
	v_and_b32_e32 v2, 3, v0
	v_lshlrev_b32_e32 v2, 2, v2
	s_abs_i32 s15, s18
	v_lshl_add_u64 v[4:5], v[4:5], 0, v[2:3]
	v_cvt_f32_u32_e32 v2, s15
	s_sub_i32 s6, 0, s15
	v_cmp_eq_u32_e32 vcc, 0, v6
	v_lshlrev_b32_e32 v47, 7, v6
	v_rcp_iflag_f32_e32 v2, v2
	v_lshlrev_b32_e32 v9, 2, v46
	v_lshlrev_b32_e32 v7, 3, v0
	v_and_b32_e32 v8, 32, v7
	v_mul_f32_e32 v2, 0x4f7ffffe, v2
	v_cvt_u32_f32_e32 v2, v2
	v_mbcnt_hi_u32_b32 v54, -1, v45
	v_or_b32_e32 v10, 0x400, v8
	v_or_b32_e32 v12, 0x440, v8
	v_mul_lo_u32 v6, s6, v2
	s_lshl_b64 s[6:7], s[28:29], 2
	v_mul_hi_u32 v6, v2, v6
	s_add_u32 s6, s26, s6
	v_add_u32_e32 v48, v2, v6
	v_and_b32_e32 v2, 60, v44
	s_addc_u32 s7, s27, s7
	v_lshl_add_u64 v[6:7], s[6:7], 0, v[2:3]
	v_lshl_or_b32 v2, v1, 5, v9
	v_or_b32_e32 v14, 0x480, v8
	v_or_b32_e32 v16, 0x4c0, v8
	;; [unrolled: 1-line block ×14, first 2 shown]
	v_add_u32_e32 v50, 0x410, v2
	v_subrev_u32_e32 v2, s33, v46
	v_and_b32_e32 v9, 64, v54
	s_mov_b32 s30, s13
	v_cmp_neq_f32_e64 s[2:3], s43, 0
	v_lshlrev_b32_e32 v49, 3, v1
	v_add_u32_e32 v51, 1, v2
	s_mov_b64 s[36:37], 0
	v_mov_b32_e32 v53, 0xff7fffff
	v_lshlrev_b32_e32 v2, 2, v8
	v_lshlrev_b32_e32 v8, 2, v10
	;; [unrolled: 1-line block ×17, first 2 shown]
	v_add_u32_e32 v55, 64, v9
	v_xor_b32_e32 v56, 4, v54
	v_xor_b32_e32 v57, 2, v54
	;; [unrolled: 1-line block ×3, first 2 shown]
	v_mov_b32_e32 v52, 0xff7fffff
	v_mov_b32_e32 v60, v1
	s_branch .LBB8_13
.LBB8_11:                               ;   in Loop: Header=BB8_13 Depth=1
	s_or_b64 exec, exec, s[38:39]
.LBB8_12:                               ;   in Loop: Header=BB8_13 Depth=1
	s_or_b64 exec, exec, s[8:9]
	v_add_u32_e32 v60, 2, v60
	v_cmp_le_i32_e64 s[6:7], s42, v60
	v_lshl_add_u64 v[6:7], v[6:7], 0, 8
	v_add_u32_e32 v49, 16, v49
	s_or_b64 s[36:37], s[6:7], s[36:37]
	v_add_u32_e32 v50, 64, v50
	s_andn2_b64 exec, exec, s[36:37]
	s_cbranch_execz .LBB8_18
.LBB8_13:                               ; =>This Inner Loop Header: Depth=1
	v_mul_hi_u32 v9, v49, s40
	s_waitcnt lgkmcnt(0)
	v_mul_lo_u32 v11, v9, s25
	v_sub_u32_e32 v11, v49, v11
	v_add_u32_e32 v13, 1, v9
	v_cmp_le_u32_e64 s[6:7], s25, v11
	s_nop 1
	v_cndmask_b32_e64 v9, v9, v13, s[6:7]
	v_subrev_u32_e32 v13, s25, v11
	v_cndmask_b32_e64 v11, v11, v13, s[6:7]
	v_add_u32_e32 v13, 1, v9
	v_cmp_le_u32_e64 s[6:7], s25, v11
	s_nop 1
	v_cndmask_b32_e64 v9, v9, v13, s[6:7]
	v_xor_b32_e32 v9, s19, v9
	v_subrev_u32_e32 v9, s19, v9
	v_add_u32_e32 v11, s41, v9
	v_sub_u32_e32 v15, 0, v11
	v_ashrrev_i32_e32 v13, 31, v11
	v_max_i32_e32 v11, v11, v15
	v_mul_hi_u32 v15, v11, v48
	v_mul_lo_u32 v15, v15, s15
	v_sub_u32_e32 v11, v11, v15
	v_subrev_u32_e32 v15, s15, v11
	v_cmp_le_u32_e64 s[6:7], s15, v11
	v_cmp_ge_i32_e64 s[8:9], s16, v9
	s_nop 0
	v_cndmask_b32_e64 v11, v11, v15, s[6:7]
	v_subrev_u32_e32 v15, s15, v11
	v_cmp_le_u32_e64 s[6:7], s15, v11
	s_nop 1
	v_cndmask_b32_e64 v11, v11, v15, s[6:7]
	v_xor_b32_e32 v11, v11, v13
	v_sub_u32_e32 v11, v11, v13
	v_cmp_ne_u32_e64 s[6:7], 0, v11
	s_and_b64 s[6:7], s[6:7], s[8:9]
	s_and_b64 s[38:39], vcc, s[6:7]
	s_and_saveexec_b64 s[8:9], s[38:39]
	s_cbranch_execz .LBB8_15
; %bb.14:                               ;   in Loop: Header=BB8_13 Depth=1
	ds_write_b32 v50, v53
.LBB8_15:                               ;   in Loop: Header=BB8_13 Depth=1
	s_or_b64 exec, exec, s[8:9]
	s_xor_b64 s[6:7], s[6:7], -1
	s_and_saveexec_b64 s[8:9], s[6:7]
	s_cbranch_execz .LBB8_12
; %bb.16:                               ;   in Loop: Header=BB8_13 Depth=1
	global_load_dword v9, v[6:7], off
	v_mov_b32_e32 v19, v3
	v_mov_b32_e32 v21, v3
	;; [unrolled: 1-line block ×8, first 2 shown]
	s_waitcnt vmcnt(0)
	v_mad_i64_i32 v[40:41], s[6:7], v9, s30, 0
	v_lshl_add_u64 v[40:41], v[40:41], 2, v[4:5]
	v_lshl_add_u64 v[42:43], v[40:41], 0, v[2:3]
	global_load_dword v9, v[42:43], off offset:512
	global_load_dword v11, v[42:43], off offset:768
	;; [unrolled: 1-line block ×7, first 2 shown]
	global_load_dword v17, v[42:43], off
	global_load_dword v61, v[42:43], off offset:2048
	global_load_dword v74, v[42:43], off offset:2304
	global_load_dword v75, v[42:43], off offset:2560
	global_load_dword v76, v[42:43], off offset:2816
	ds_read_b128 v[62:65], v47
	ds_read_b128 v[66:69], v47 offset:16
	v_cmp_lt_i32_e64 s[6:7], v56, v55
	s_waitcnt vmcnt(5) lgkmcnt(1)
	v_mul_f32_e32 v77, v63, v15
	s_waitcnt vmcnt(4)
	v_fmac_f32_e32 v77, v62, v17
	v_fmac_f32_e32 v77, v64, v9
	;; [unrolled: 1-line block ×3, first 2 shown]
	s_waitcnt lgkmcnt(0)
	v_fmac_f32_e32 v77, v66, v13
	ds_read_b128 v[62:65], v47 offset:32
	ds_read_b128 v[70:73], v47 offset:48
	v_fmac_f32_e32 v77, v67, v35
	v_fmac_f32_e32 v77, v68, v37
	v_mov_b32_e32 v9, v3
	v_mov_b32_e32 v11, v3
	v_fmac_f32_e32 v77, v69, v39
	v_mov_b32_e32 v13, v3
	v_lshl_add_u64 v[66:67], v[40:41], 0, v[8:9]
	v_lshl_add_u64 v[68:69], v[40:41], 0, v[10:11]
	global_load_dword v9, v[42:43], off offset:3072
	global_load_dword v11, v[42:43], off offset:3328
	;; [unrolled: 1-line block ×4, first 2 shown]
	s_waitcnt vmcnt(7) lgkmcnt(1)
	v_fmac_f32_e32 v77, v62, v61
	v_lshl_add_u64 v[42:43], v[40:41], 0, v[12:13]
	s_waitcnt vmcnt(6)
	v_fmac_f32_e32 v77, v63, v74
	global_load_dword v13, v[66:67], off
	v_mov_b32_e32 v15, v3
	v_mov_b32_e32 v17, v3
	s_waitcnt vmcnt(6)
	v_fmac_f32_e32 v77, v64, v75
	v_lshl_add_u64 v[62:63], v[40:41], 0, v[14:15]
	s_waitcnt vmcnt(5)
	v_fmac_f32_e32 v77, v65, v76
	v_lshl_add_u64 v[64:65], v[40:41], 0, v[16:17]
	global_load_dword v15, v[68:69], off
	global_load_dword v17, v[42:43], off
	v_lshl_add_u64 v[74:75], v[40:41], 0, v[18:19]
	v_lshl_add_u64 v[66:67], v[40:41], 0, v[20:21]
	global_load_dword v19, v[62:63], off
	global_load_dword v21, v[64:65], off
	v_lshl_add_u64 v[42:43], v[40:41], 0, v[22:23]
	;; [unrolled: 4-line block ×3, first 2 shown]
	global_load_dword v27, v[42:43], off
	global_load_dword v61, v[62:63], off
	v_lshl_add_u64 v[42:43], v[40:41], 0, v[28:29]
	global_load_dword v29, v[64:65], off
	global_load_dword v74, v[42:43], off
	v_lshl_add_u64 v[42:43], v[40:41], 0, v[30:31]
	global_load_dword v31, v[42:43], off
	v_lshl_add_u64 v[42:43], v[40:41], 0, v[32:33]
	v_mov_b32_e32 v35, v3
	global_load_dword v33, v[42:43], off
	v_lshl_add_u64 v[42:43], v[40:41], 0, v[34:35]
	v_mov_b32_e32 v37, v3
	;; [unrolled: 3-line block ×3, first 2 shown]
	global_load_dword v37, v[42:43], off
	v_lshl_add_u64 v[40:41], v[40:41], 0, v[38:39]
	global_load_dword v39, v[40:41], off
	ds_read_b128 v[40:43], v47 offset:64
	ds_read_b128 v[62:65], v47 offset:80
	s_waitcnt vmcnt(19) lgkmcnt(2)
	v_fmac_f32_e32 v77, v70, v9
	s_waitcnt vmcnt(18)
	v_fmac_f32_e32 v77, v71, v11
	s_waitcnt vmcnt(17)
	;; [unrolled: 2-line block ×3, first 2 shown]
	v_fmac_f32_e32 v77, v73, v79
	v_cndmask_b32_e64 v9, v54, v56, s[6:7]
	v_lshlrev_b32_e32 v9, 2, v9
	v_cmp_lt_i32_e64 s[6:7], v57, v55
	s_waitcnt vmcnt(15) lgkmcnt(1)
	v_fmac_f32_e32 v77, v40, v13
	s_waitcnt vmcnt(14)
	v_fmac_f32_e32 v77, v41, v15
	s_waitcnt vmcnt(13)
	v_fmac_f32_e32 v77, v42, v17
	v_cndmask_b32_e64 v11, v54, v57, s[6:7]
	s_waitcnt vmcnt(12)
	v_fmac_f32_e32 v77, v43, v19
	s_waitcnt vmcnt(11) lgkmcnt(0)
	v_fmac_f32_e32 v77, v62, v21
	ds_read_b128 v[40:43], v47 offset:96
	ds_read_b128 v[66:69], v47 offset:112
	s_waitcnt vmcnt(10)
	v_fmac_f32_e32 v77, v63, v23
	s_waitcnt vmcnt(9)
	v_fmac_f32_e32 v77, v64, v25
	;; [unrolled: 2-line block ×3, first 2 shown]
	s_waitcnt vmcnt(7) lgkmcnt(1)
	v_fmac_f32_e32 v77, v40, v61
	s_waitcnt vmcnt(6)
	v_fmac_f32_e32 v77, v41, v29
	s_waitcnt vmcnt(5)
	v_fmac_f32_e32 v77, v42, v74
	v_lshlrev_b32_e32 v11, 2, v11
	s_waitcnt vmcnt(4)
	v_fmac_f32_e32 v77, v43, v31
	v_cmp_lt_i32_e64 s[6:7], v59, v55
	s_waitcnt vmcnt(3) lgkmcnt(0)
	v_fmac_f32_e32 v77, v66, v33
	v_cndmask_b32_e64 v13, v54, v59, s[6:7]
	v_lshlrev_b32_e32 v13, 2, v13
	s_waitcnt vmcnt(2)
	v_fmac_f32_e32 v77, v67, v35
	s_waitcnt vmcnt(1)
	v_fmac_f32_e32 v77, v68, v37
	s_waitcnt vmcnt(0)
	v_fmac_f32_e32 v77, v69, v39
	ds_bpermute_b32 v9, v9, v77
	s_waitcnt lgkmcnt(0)
	v_add_f32_e32 v9, v77, v9
	ds_bpermute_b32 v11, v11, v9
	s_waitcnt lgkmcnt(0)
	v_add_f32_e32 v9, v9, v11
	ds_bpermute_b32 v11, v13, v9
	s_and_saveexec_b64 s[38:39], vcc
	s_cbranch_execz .LBB8_11
; %bb.17:                               ;   in Loop: Header=BB8_13 Depth=1
	v_add_u32_e32 v13, v51, v49
	v_cvt_f32_i32_e32 v13, v13
	s_waitcnt lgkmcnt(0)
	v_add_f32_e32 v9, v9, v11
	v_add_u32_e32 v15, v46, v49
	v_cmp_gt_i32_e64 s[6:7], s33, v15
	v_mul_f32_e32 v11, s43, v13
	v_cndmask_b32_e64 v11, 0, v11, s[2:3]
	v_fmac_f32_e32 v11, s31, v9
	v_cndmask_b32_e64 v9, 0, v11, s[6:7]
	ds_write_b32 v50, v9
	v_max_f32_e32 v9, v52, v52
	v_max_f32_e32 v9, v9, v11
	v_cndmask_b32_e64 v52, v52, v9, s[6:7]
	s_branch .LBB8_11
.LBB8_18:
	s_or_b64 exec, exec, s[36:37]
.LBB8_19:
	s_or_b64 exec, exec, s[34:35]
	v_mbcnt_hi_u32_b32 v2, -1, v45
	v_and_b32_e32 v3, 64, v2
	v_add_u32_e32 v3, 64, v3
	v_xor_b32_e32 v4, 32, v2
	v_cmp_lt_i32_e32 vcc, v4, v3
	v_xor_b32_e32 v7, 16, v2
	v_max_f32_e32 v6, v52, v52
	v_cndmask_b32_e32 v4, v2, v4, vcc
	v_lshlrev_b32_e32 v5, 2, v4
	ds_bpermute_b32 v4, v5, v52
	v_cmp_lt_i32_e32 vcc, v7, v3
	v_xor_b32_e32 v8, 8, v2
	v_and_b32_e32 v59, 63, v0
	s_waitcnt lgkmcnt(0)
	v_max_f32_e32 v4, v4, v4
	v_max_f32_e32 v4, v6, v4
	v_cndmask_b32_e32 v6, v2, v7, vcc
	v_lshlrev_b32_e32 v7, 2, v6
	ds_bpermute_b32 v6, v7, v4
	v_cmp_lt_i32_e32 vcc, v8, v3
	s_waitcnt lgkmcnt(0)
	v_max_f32_e32 v6, v6, v6
	v_max_f32_e32 v6, v4, v6
	v_cndmask_b32_e32 v4, v2, v8, vcc
	v_lshlrev_b32_e32 v8, 2, v4
	ds_bpermute_b32 v9, v8, v6
	v_cmp_eq_u32_e32 vcc, 0, v59
	v_lshlrev_b32_e32 v4, 2, v1
	s_and_saveexec_b64 s[2:3], vcc
	s_cbranch_execz .LBB8_21
; %bb.20:
	s_waitcnt lgkmcnt(0)
	v_max_f32_e32 v9, v9, v9
	v_max_f32_e32 v6, v6, v6
	;; [unrolled: 1-line block ×3, first 2 shown]
	ds_write_b32 v4, v6 offset:1024
.LBB8_21:
	s_or_b64 exec, exec, s[2:3]
	v_cmp_gt_u32_e64 s[2:3], 2, v59
	s_waitcnt lgkmcnt(0)
	v_mov_b32_e32 v9, 0xff7fffff
	v_lshlrev_b32_e32 v6, 2, v59
	s_barrier
	s_and_saveexec_b64 s[6:7], s[2:3]
	s_cbranch_execz .LBB8_23
; %bb.22:
	ds_read_b32 v9, v6 offset:1024
.LBB8_23:
	s_or_b64 exec, exec, s[6:7]
	v_xor_b32_e32 v10, 1, v2
	v_cmp_lt_i32_e64 s[6:7], v10, v3
	v_lshlrev_b32_e32 v11, 2, v2
	s_nop 0
	v_cndmask_b32_e64 v10, v2, v10, s[6:7]
	v_lshlrev_b32_e32 v60, 2, v10
	s_waitcnt lgkmcnt(0)
	ds_bpermute_b32 v10, v60, v9
	v_max_f32_e32 v9, v9, v9
	s_lshl_b32 s6, s42, 3
	s_min_i32 s15, s6, s33
	v_cmp_gt_i32_e64 s[6:7], s15, v0
	s_waitcnt lgkmcnt(0)
	v_max_f32_e32 v10, v10, v10
	v_max_f32_e32 v10, v9, v10
	v_and_b32_e32 v9, 0x100, v11
	ds_bpermute_b32 v11, v9, v10
	v_mov_b32_e32 v10, 0
	s_and_saveexec_b64 s[30:31], s[6:7]
	s_cbranch_execz .LBB8_27
; %bb.24:
	v_mov_b32_e32 v10, 0x410
	v_lshl_add_u32 v12, v0, 2, v10
	s_mov_b64 s[34:35], 0
	v_mov_b32_e32 v10, 0
	v_mov_b32_e32 v13, v0
.LBB8_25:                               ; =>This Inner Loop Header: Depth=1
	ds_read_b32 v14, v12
	v_add_u32_e32 v13, 0x80, v13
	v_cmp_le_i32_e64 s[8:9], s15, v13
	s_or_b64 s[34:35], s[8:9], s[34:35]
	s_waitcnt lgkmcnt(0)
	v_sub_f32_e32 v14, v14, v11
	v_mul_f32_e32 v14, 0x3fb8aa3b, v14
	v_exp_f32_e32 v14, v14
	ds_write_b32 v12, v14
	v_add_f32_e32 v10, v10, v14
	v_add_u32_e32 v12, 0x200, v12
	s_andn2_b64 exec, exec, s[34:35]
	s_cbranch_execnz .LBB8_25
; %bb.26:
	s_or_b64 exec, exec, s[34:35]
.LBB8_27:
	s_or_b64 exec, exec, s[30:31]
	ds_bpermute_b32 v5, v5, v10
	s_waitcnt lgkmcnt(0)
	v_add_f32_e32 v5, v10, v5
	ds_bpermute_b32 v7, v7, v5
	s_waitcnt lgkmcnt(0)
	v_add_f32_e32 v5, v5, v7
	ds_bpermute_b32 v7, v8, v5
	v_xor_b32_e32 v8, 4, v2
	v_cmp_lt_i32_e64 s[8:9], v8, v3
	s_waitcnt lgkmcnt(0)
	v_add_f32_e32 v5, v5, v7
	v_cndmask_b32_e64 v8, v2, v8, s[8:9]
	v_lshlrev_b32_e32 v8, 2, v8
	ds_bpermute_b32 v7, v8, v5
	v_xor_b32_e32 v8, 2, v2
	v_cmp_lt_i32_e64 s[8:9], v8, v3
	s_waitcnt lgkmcnt(0)
	v_add_f32_e32 v3, v5, v7
	v_cndmask_b32_e64 v2, v2, v8, s[8:9]
	v_lshlrev_b32_e32 v2, 2, v2
	ds_bpermute_b32 v2, v2, v3
	s_waitcnt lgkmcnt(0)
	v_add_f32_e32 v2, v3, v2
	ds_bpermute_b32 v3, v60, v2
	s_waitcnt lgkmcnt(0)
	v_add_f32_e32 v2, v2, v3
	s_and_saveexec_b64 s[8:9], vcc
	s_cbranch_execz .LBB8_29
; %bb.28:
	ds_write_b32 v4, v2 offset:1032
.LBB8_29:
	s_or_b64 exec, exec, s[8:9]
	s_waitcnt lgkmcnt(0)
	s_barrier
	s_and_saveexec_b64 s[8:9], s[2:3]
	s_cbranch_execz .LBB8_31
; %bb.30:
	ds_read_b32 v2, v6 offset:1032
.LBB8_31:
	s_or_b64 exec, exec, s[8:9]
	s_waitcnt lgkmcnt(0)
	ds_bpermute_b32 v3, v60, v2
	s_waitcnt lgkmcnt(0)
	v_add_f32_e32 v2, v2, v3
	ds_bpermute_b32 v2, v9, v2
	s_and_saveexec_b64 s[2:3], s[6:7]
	s_cbranch_execz .LBB8_44
; %bb.32:
	s_waitcnt lgkmcnt(0)
	v_add_f32_e32 v2, 0x358637bd, v2
	v_div_scale_f32 v3, s[6:7], v2, v2, 1.0
	v_rcp_f32_e32 v4, v3
	v_div_scale_f32 v5, vcc, 1.0, v2, 1.0
	s_movk_i32 s6, 0x7f
	v_fma_f32 v6, -v3, v4, 1.0
	v_fmac_f32_e32 v4, v6, v4
	v_mul_f32_e32 v6, v5, v4
	v_fma_f32 v7, -v3, v6, v5
	v_fmac_f32_e32 v6, v7, v4
	v_fma_f32 v3, -v3, v6, v5
	v_div_fmas_f32 v3, v3, v4, v6
	v_xad_u32 v4, v0, -1, s15
	v_div_fixup_f32 v2, v3, v2, 1.0
	v_cmp_lt_u32_e32 vcc, s6, v4
	s_mov_b64 s[8:9], -1
	v_mov_b32_e32 v3, v0
	s_and_saveexec_b64 s[6:7], vcc
	s_cbranch_execz .LBB8_41
; %bb.33:
	v_lshrrev_b32_e32 v4, 7, v4
	v_add_u32_e32 v6, -1, v4
	v_lshrrev_b32_e32 v5, 1, v6
	v_mov_b32_e32 v3, v2
	v_add_u32_e32 v5, 1, v5
	v_cmp_lt_u32_e32 vcc, 13, v6
	v_mov_b32_e32 v8, 0
	s_and_saveexec_b64 s[8:9], vcc
	s_cbranch_execz .LBB8_37
; %bb.34:
	v_mov_b32_e32 v7, 0x410
	v_and_b32_e32 v6, -8, v5
	v_lshl_add_u32 v7, v0, 2, v7
	s_mov_b32 s16, 0
	s_mov_b64 s[30:31], 0
.LBB8_35:                               ; =>This Inner Loop Header: Depth=1
	ds_read2st64_b32 v[8:9], v7 offset1:2
	ds_read2st64_b32 v[10:11], v7 offset0:4 offset1:6
	ds_read2st64_b32 v[12:13], v7 offset0:8 offset1:10
	;; [unrolled: 1-line block ×3, first 2 shown]
	v_add_u32_e32 v6, -8, v6
	s_waitcnt lgkmcnt(3)
	v_pk_mul_f32 v[8:9], v[2:3], v[8:9]
	s_waitcnt lgkmcnt(2)
	v_pk_mul_f32 v[10:11], v[2:3], v[10:11]
	ds_write2st64_b32 v7, v8, v9 offset1:2
	ds_write2st64_b32 v7, v10, v11 offset0:4 offset1:6
	ds_read2st64_b32 v[10:11], v7 offset0:16 offset1:18
	s_waitcnt lgkmcnt(4)
	v_pk_mul_f32 v[8:9], v[2:3], v[12:13]
	ds_write2st64_b32 v7, v8, v9 offset0:8 offset1:10
	s_waitcnt lgkmcnt(4)
	v_pk_mul_f32 v[8:9], v[2:3], v[14:15]
	ds_write2st64_b32 v7, v8, v9 offset0:12 offset1:14
	ds_read2st64_b32 v[8:9], v7 offset0:20 offset1:22
	s_waitcnt lgkmcnt(3)
	v_pk_mul_f32 v[10:11], v[2:3], v[10:11]
	ds_read2st64_b32 v[12:13], v7 offset0:24 offset1:26
	ds_write2st64_b32 v7, v10, v11 offset0:16 offset1:18
	ds_read2st64_b32 v[10:11], v7 offset0:28 offset1:30
	s_waitcnt lgkmcnt(3)
	v_pk_mul_f32 v[8:9], v[2:3], v[8:9]
	ds_write2st64_b32 v7, v8, v9 offset0:20 offset1:22
	s_waitcnt lgkmcnt(3)
	v_pk_mul_f32 v[8:9], v[2:3], v[12:13]
	ds_write2st64_b32 v7, v8, v9 offset0:24 offset1:26
	s_waitcnt lgkmcnt(2)
	v_pk_mul_f32 v[8:9], v[2:3], v[10:11]
	s_add_i32 s16, s16, 16
	v_cmp_eq_u32_e32 vcc, 0, v6
	ds_write2st64_b32 v7, v8, v9 offset0:28 offset1:30
	v_add_u32_e32 v7, 0x2000, v7
	s_or_b64 s[30:31], vcc, s[30:31]
	v_mov_b32_e32 v8, s16
	s_andn2_b64 exec, exec, s[30:31]
	s_cbranch_execnz .LBB8_35
; %bb.36:
	s_or_b64 exec, exec, s[30:31]
.LBB8_37:
	s_or_b64 exec, exec, s[8:9]
	v_and_b32_e32 v5, 7, v5
	v_cmp_ne_u32_e32 vcc, 0, v5
	s_and_saveexec_b64 s[8:9], vcc
	s_cbranch_execz .LBB8_40
; %bb.38:
	v_lshlrev_b32_e32 v6, 9, v8
	v_lshlrev_b32_e32 v7, 2, v0
	s_movk_i32 s16, 0x410
	v_add3_u32 v6, v6, v7, s16
	s_mov_b64 s[30:31], 0
.LBB8_39:                               ; =>This Inner Loop Header: Depth=1
	ds_read2st64_b32 v[8:9], v6 offset1:2
	v_add_u32_e32 v5, -1, v5
	v_cmp_eq_u32_e32 vcc, 0, v5
	s_or_b64 s[30:31], vcc, s[30:31]
	s_waitcnt lgkmcnt(0)
	v_pk_mul_f32 v[8:9], v[2:3], v[8:9]
	ds_write2st64_b32 v6, v8, v9 offset1:2
	v_add_u32_e32 v6, 0x400, v6
	s_andn2_b64 exec, exec, s[30:31]
	s_cbranch_execnz .LBB8_39
.LBB8_40:
	s_or_b64 exec, exec, s[8:9]
	v_add_u32_e32 v4, 1, v4
	v_and_b32_e32 v5, 0x3fffffe, v4
	v_cmp_ne_u32_e32 vcc, v4, v5
	v_lshl_add_u32 v3, v5, 7, v0
	s_orn2_b64 s[8:9], vcc, exec
.LBB8_41:
	s_or_b64 exec, exec, s[6:7]
	s_and_b64 exec, exec, s[8:9]
	s_cbranch_execz .LBB8_44
; %bb.42:
	v_mov_b32_e32 v4, 0x410
	v_lshl_add_u32 v4, v3, 2, v4
	s_mov_b64 s[6:7], 0
.LBB8_43:                               ; =>This Inner Loop Header: Depth=1
	ds_read_b32 v5, v4
	v_add_u32_e32 v3, 0x80, v3
	v_cmp_le_i32_e32 vcc, s15, v3
	s_or_b64 s[6:7], vcc, s[6:7]
	s_waitcnt lgkmcnt(0)
	v_mul_f32_e32 v5, v2, v5
	ds_write_b32 v4, v5
	v_add_u32_e32 v4, 0x200, v4
	s_andn2_b64 exec, exec, s[6:7]
	s_cbranch_execnz .LBB8_43
.LBB8_44:
	s_or_b64 exec, exec, s[2:3]
	s_mov_b32 s8, 0
	v_mov_b32_e32 v9, 0
	v_and_b32_e32 v61, 1, v0
	v_mov_b32_e32 v8, 0
	v_mov_b32_e32 v7, 0
	;; [unrolled: 1-line block ×6, first 2 shown]
	s_waitcnt lgkmcnt(0)
	v_mov_b32_e32 v2, 0
	s_barrier
	s_and_saveexec_b64 s[2:3], s[0:1]
	s_cbranch_execz .LBB8_66
; %bb.45:
	s_ashr_i32 s15, s14, 31
	s_sub_i32 s30, s12, s17
	s_lshl_b64 s[0:1], s[14:15], 2
	s_add_u32 s6, s10, s0
	s_addc_u32 s7, s11, s1
	s_abs_i32 s18, s18
	v_cvt_f32_u32_e32 v3, s18
	v_lshlrev_b32_e32 v2, 2, v0
	v_and_b32_e32 v62, 4, v2
	v_and_b32_e32 v10, 0xfc, v2
	v_rcp_iflag_f32_e32 v2, v3
	s_sub_i32 s0, 0, s18
	s_add_i32 s34, s42, -1
	s_mov_b32 s9, s8
	v_mul_f32_e32 v2, 0x4f7ffffe, v2
	v_cvt_u32_f32_e32 v2, v2
	s_mov_b32 s31, s13
	v_mov_b32_e32 v47, 0
	v_or_b32_e32 v12, 0x400, v10
	v_mul_lo_u32 v3, s0, v2
	v_mul_hi_u32 v3, v2, v3
	v_add_u32_e32 v63, v2, v3
	s_lshl_b64 s[0:1], s[28:29], 2
	v_lshlrev_b32_e32 v2, 4, v61
	s_add_u32 s0, s26, s0
	v_lshl_or_b32 v2, v1, 5, v2
	v_or_b32_e32 v14, 0x500, v10
	v_or_b32_e32 v16, 0x600, v10
	v_or_b32_e32 v18, 0x700, v10
	v_and_b32_e32 v46, 60, v44
	s_addc_u32 s1, s27, s1
	v_add_u32_e32 v64, 0x410, v2
	s_mov_b32 s10, s8
	s_mov_b32 s11, s8
	s_mov_b32 s12, s8
	s_mov_b32 s13, s8
	s_mov_b32 s14, s8
	s_mov_b32 s15, s8
	v_mov_b64_e32 v[2:3], s[8:9]
	v_lshl_add_u64 v[48:49], s[0:1], 0, v[46:47]
	s_mov_b64 s[16:17], 0
	v_mov_b64_e32 v[4:5], s[10:11]
	v_mov_b64_e32 v[6:7], s[12:13]
	;; [unrolled: 1-line block ×3, first 2 shown]
	v_lshlrev_b32_e32 v50, 2, v10
	v_lshlrev_b32_e32 v46, 2, v12
	;; [unrolled: 1-line block ×5, first 2 shown]
	s_branch .LBB8_48
.LBB8_46:                               ;   in Loop: Header=BB8_48 Depth=1
	s_or_b64 exec, exec, s[0:1]
	s_waitcnt vmcnt(7) lgkmcnt(0)
	v_mul_f32_e32 v15, v11, v15
	v_fmac_f32_e32 v15, v10, v14
	s_waitcnt vmcnt(6)
	v_mul_f32_e32 v14, v11, v19
	v_fmac_f32_e32 v14, v10, v18
	v_fmac_f32_e32 v14, v12, v20
	v_fmac_f32_e32 v14, v13, v21
	v_add_f32_e32 v3, v3, v14
	s_waitcnt vmcnt(5)
	v_mul_f32_e32 v14, v11, v23
	v_fmac_f32_e32 v14, v10, v22
	v_fmac_f32_e32 v14, v12, v24
	v_fmac_f32_e32 v14, v13, v25
	v_add_f32_e32 v4, v4, v14
	;; [unrolled: 6-line block ×5, first 2 shown]
	s_waitcnt vmcnt(1)
	v_mul_f32_e32 v14, v11, v39
	s_waitcnt vmcnt(0)
	v_mul_f32_e32 v11, v11, v43
	v_fmac_f32_e32 v14, v10, v38
	v_fmac_f32_e32 v11, v10, v42
	;; [unrolled: 1-line block ×8, first 2 shown]
	v_add_f32_e32 v2, v2, v15
	v_add_f32_e32 v8, v8, v14
	;; [unrolled: 1-line block ×3, first 2 shown]
.LBB8_47:                               ;   in Loop: Header=BB8_48 Depth=1
	s_or_b64 exec, exec, s[8:9]
	v_add_u32_e32 v1, 2, v1
	v_cmp_le_i32_e32 vcc, s42, v1
	v_lshl_add_u64 v[48:49], v[48:49], 0, 8
	v_add_u32_e32 v58, 16, v58
	s_or_b64 s[16:17], vcc, s[16:17]
	v_add_u32_e32 v64, 64, v64
	s_andn2_b64 exec, exec, s[16:17]
	s_cbranch_execz .LBB8_65
.LBB8_48:                               ; =>This Inner Loop Header: Depth=1
	v_mul_hi_u32 v10, v58, s40
	v_mul_lo_u32 v11, v10, s25
	v_sub_u32_e32 v11, v58, v11
	v_add_u32_e32 v12, 1, v10
	v_cmp_le_u32_e32 vcc, s25, v11
	s_nop 1
	v_cndmask_b32_e32 v10, v10, v12, vcc
	v_subrev_u32_e32 v12, s25, v11
	v_cndmask_b32_e32 v11, v11, v12, vcc
	v_add_u32_e32 v12, 1, v10
	v_cmp_le_u32_e32 vcc, s25, v11
	s_nop 1
	v_cndmask_b32_e32 v10, v10, v12, vcc
	v_xor_b32_e32 v10, s19, v10
	v_subrev_u32_e32 v10, s19, v10
	v_add_u32_e32 v11, s41, v10
	v_sub_u32_e32 v13, 0, v11
	v_ashrrev_i32_e32 v12, 31, v11
	v_max_i32_e32 v11, v11, v13
	v_mul_hi_u32 v13, v11, v63
	v_mul_lo_u32 v13, v13, s18
	v_sub_u32_e32 v11, v11, v13
	v_subrev_u32_e32 v13, s18, v11
	v_cmp_le_u32_e32 vcc, s18, v11
	v_cmp_lt_i32_e64 s[0:1], s30, v10
	s_nop 0
	v_cndmask_b32_e32 v11, v11, v13, vcc
	v_subrev_u32_e32 v13, s18, v11
	v_cmp_le_u32_e32 vcc, s18, v11
	s_nop 1
	v_cndmask_b32_e32 v11, v11, v13, vcc
	v_xor_b32_e32 v11, v11, v12
	v_sub_u32_e32 v11, v11, v12
	v_cmp_eq_u32_e32 vcc, 0, v11
	s_or_b64 s[0:1], vcc, s[0:1]
	s_and_saveexec_b64 s[8:9], s[0:1]
	s_cbranch_execz .LBB8_47
; %bb.49:                               ;   in Loop: Header=BB8_48 Depth=1
	global_load_dword v10, v[48:49], off
	v_mov_b32_e32 v51, v47
	v_cmp_eq_u32_e32 vcc, s34, v1
	s_waitcnt vmcnt(0)
	v_mad_i64_i32 v[10:11], s[0:1], v10, s31, 0
	v_lshl_add_u64 v[42:43], v[10:11], 2, s[6:7]
	v_lshl_add_u64 v[26:27], v[42:43], 0, v[50:51]
	global_load_dwordx4 v[14:17], v[26:27], off
	ds_read_b128 v[10:13], v64
	v_add_u32_e32 v51, v62, v58
	v_add_u32_e32 v67, 1, v51
	;; [unrolled: 1-line block ×4, first 2 shown]
	s_and_saveexec_b64 s[10:11], vcc
	s_cbranch_execnz .LBB8_62
; %bb.50:                               ;   in Loop: Header=BB8_48 Depth=1
	s_or_b64 exec, exec, s[10:11]
	global_load_dwordx4 v[18:21], v[26:27], off offset:1024
	s_and_saveexec_b64 s[10:11], vcc
	s_cbranch_execnz .LBB8_63
.LBB8_51:                               ;   in Loop: Header=BB8_48 Depth=1
	s_or_b64 exec, exec, s[10:11]
	global_load_dwordx4 v[22:25], v[26:27], off offset:2048
	s_and_saveexec_b64 s[10:11], vcc
	s_cbranch_execnz .LBB8_64
.LBB8_52:                               ;   in Loop: Header=BB8_48 Depth=1
	s_or_b64 exec, exec, s[10:11]
	global_load_dwordx4 v[26:29], v[26:27], off offset:3072
	s_and_saveexec_b64 s[10:11], vcc
	s_cbranch_execz .LBB8_54
.LBB8_53:                               ;   in Loop: Header=BB8_48 Depth=1
	v_cmp_gt_i32_e64 s[0:1], s33, v51
	s_waitcnt vmcnt(0)
	s_nop 0
	v_cndmask_b32_e64 v26, 0, v26, s[0:1]
	v_cmp_gt_i32_e64 s[0:1], s33, v67
	s_nop 1
	v_cndmask_b32_e64 v27, 0, v27, s[0:1]
	v_cmp_gt_i32_e64 s[0:1], s33, v66
	;; [unrolled: 3-line block ×3, first 2 shown]
	s_nop 1
	v_cndmask_b32_e64 v29, 0, v29, s[0:1]
.LBB8_54:                               ;   in Loop: Header=BB8_48 Depth=1
	s_or_b64 exec, exec, s[10:11]
	v_lshl_add_u64 v[30:31], v[42:43], 0, v[46:47]
	global_load_dwordx4 v[30:33], v[30:31], off
	s_and_saveexec_b64 s[10:11], vcc
	s_cbranch_execz .LBB8_56
; %bb.55:                               ;   in Loop: Header=BB8_48 Depth=1
	v_cmp_gt_i32_e64 s[0:1], s33, v51
	s_waitcnt vmcnt(0)
	s_nop 0
	v_cndmask_b32_e64 v30, 0, v30, s[0:1]
	v_cmp_gt_i32_e64 s[0:1], s33, v67
	s_nop 1
	v_cndmask_b32_e64 v31, 0, v31, s[0:1]
	v_cmp_gt_i32_e64 s[0:1], s33, v66
	s_nop 1
	v_cndmask_b32_e64 v32, 0, v32, s[0:1]
	v_cmp_gt_i32_e64 s[0:1], s33, v65
	s_nop 1
	v_cndmask_b32_e64 v33, 0, v33, s[0:1]
.LBB8_56:                               ;   in Loop: Header=BB8_48 Depth=1
	s_or_b64 exec, exec, s[10:11]
	v_mov_b32_e32 v53, v47
	v_lshl_add_u64 v[34:35], v[42:43], 0, v[52:53]
	global_load_dwordx4 v[34:37], v[34:35], off
	s_and_saveexec_b64 s[10:11], vcc
	s_cbranch_execz .LBB8_58
; %bb.57:                               ;   in Loop: Header=BB8_48 Depth=1
	v_cmp_gt_i32_e64 s[0:1], s33, v51
	s_waitcnt vmcnt(0)
	s_nop 0
	v_cndmask_b32_e64 v34, 0, v34, s[0:1]
	v_cmp_gt_i32_e64 s[0:1], s33, v67
	s_nop 1
	v_cndmask_b32_e64 v35, 0, v35, s[0:1]
	v_cmp_gt_i32_e64 s[0:1], s33, v66
	s_nop 1
	v_cndmask_b32_e64 v36, 0, v36, s[0:1]
	v_cmp_gt_i32_e64 s[0:1], s33, v65
	s_nop 1
	v_cndmask_b32_e64 v37, 0, v37, s[0:1]
.LBB8_58:                               ;   in Loop: Header=BB8_48 Depth=1
	s_or_b64 exec, exec, s[10:11]
	v_mov_b32_e32 v55, v47
	;; [unrolled: 21-line block ×3, first 2 shown]
	v_lshl_add_u64 v[42:43], v[42:43], 0, v[56:57]
	global_load_dwordx4 v[42:45], v[42:43], off
	s_and_saveexec_b64 s[0:1], vcc
	s_cbranch_execz .LBB8_46
; %bb.61:                               ;   in Loop: Header=BB8_48 Depth=1
	v_cmp_gt_i32_e32 vcc, s33, v51
	s_waitcnt vmcnt(0)
	s_nop 0
	v_cndmask_b32_e32 v42, 0, v42, vcc
	v_cmp_gt_i32_e32 vcc, s33, v67
	s_nop 1
	v_cndmask_b32_e32 v43, 0, v43, vcc
	v_cmp_gt_i32_e32 vcc, s33, v66
	;; [unrolled: 3-line block ×3, first 2 shown]
	s_nop 1
	v_cndmask_b32_e32 v45, 0, v45, vcc
	s_branch .LBB8_46
.LBB8_62:                               ;   in Loop: Header=BB8_48 Depth=1
	v_cmp_gt_i32_e64 s[0:1], s33, v51
	s_waitcnt vmcnt(0)
	s_nop 0
	v_cndmask_b32_e64 v14, 0, v14, s[0:1]
	v_cmp_gt_i32_e64 s[0:1], s33, v67
	s_nop 1
	v_cndmask_b32_e64 v15, 0, v15, s[0:1]
	v_cmp_gt_i32_e64 s[0:1], s33, v66
	;; [unrolled: 3-line block ×3, first 2 shown]
	s_nop 1
	v_cndmask_b32_e64 v17, 0, v17, s[0:1]
	s_or_b64 exec, exec, s[10:11]
	global_load_dwordx4 v[18:21], v[26:27], off offset:1024
	s_and_saveexec_b64 s[10:11], vcc
	s_cbranch_execz .LBB8_51
.LBB8_63:                               ;   in Loop: Header=BB8_48 Depth=1
	v_cmp_gt_i32_e64 s[0:1], s33, v51
	s_waitcnt vmcnt(0)
	s_nop 0
	v_cndmask_b32_e64 v18, 0, v18, s[0:1]
	v_cmp_gt_i32_e64 s[0:1], s33, v67
	s_nop 1
	v_cndmask_b32_e64 v19, 0, v19, s[0:1]
	v_cmp_gt_i32_e64 s[0:1], s33, v66
	;; [unrolled: 3-line block ×3, first 2 shown]
	s_nop 1
	v_cndmask_b32_e64 v21, 0, v21, s[0:1]
	s_or_b64 exec, exec, s[10:11]
	global_load_dwordx4 v[22:25], v[26:27], off offset:2048
	s_and_saveexec_b64 s[10:11], vcc
	s_cbranch_execz .LBB8_52
.LBB8_64:                               ;   in Loop: Header=BB8_48 Depth=1
	v_cmp_gt_i32_e64 s[0:1], s33, v51
	s_waitcnt vmcnt(0)
	s_nop 0
	v_cndmask_b32_e64 v22, 0, v22, s[0:1]
	v_cmp_gt_i32_e64 s[0:1], s33, v67
	s_nop 1
	v_cndmask_b32_e64 v23, 0, v23, s[0:1]
	v_cmp_gt_i32_e64 s[0:1], s33, v66
	;; [unrolled: 3-line block ×3, first 2 shown]
	s_nop 1
	v_cndmask_b32_e64 v25, 0, v25, s[0:1]
	s_or_b64 exec, exec, s[10:11]
	global_load_dwordx4 v[26:29], v[26:27], off offset:3072
	s_and_saveexec_b64 s[10:11], vcc
	s_cbranch_execnz .LBB8_53
	s_branch .LBB8_54
.LBB8_65:
	s_or_b64 exec, exec, s[16:17]
.LBB8_66:
	s_or_b64 exec, exec, s[2:3]
	ds_bpermute_b32 v10, v60, v2
	ds_bpermute_b32 v11, v60, v3
	;; [unrolled: 1-line block ×8, first 2 shown]
	v_and_b32_e32 v1, 0x3c1, v0
	s_waitcnt lgkmcnt(6)
	v_pk_add_f32 v[10:11], v[2:3], v[10:11]
	s_waitcnt lgkmcnt(4)
	v_pk_add_f32 v[4:5], v[4:5], v[12:13]
	;; [unrolled: 2-line block ×4, first 2 shown]
	v_cmp_eq_u32_e32 vcc, 64, v1
	s_barrier
	s_and_saveexec_b64 s[0:1], vcc
	s_cbranch_execz .LBB8_68
; %bb.67:
	v_mov_b32_e32 v8, 0x410
	v_lshl_add_u32 v8, v59, 1, v8
	ds_write2_b32 v8, v10, v11 offset1:32
	ds_write2_b32 v8, v4, v5 offset0:64 offset1:96
	ds_write2_b32 v8, v2, v3 offset0:128 offset1:160
	;; [unrolled: 1-line block ×3, first 2 shown]
.LBB8_68:
	s_or_b64 exec, exec, s[0:1]
	v_cmp_gt_u32_e32 vcc, 64, v0
	s_waitcnt lgkmcnt(0)
	s_barrier
	s_and_saveexec_b64 s[0:1], vcc
	s_cbranch_execz .LBB8_79
; %bb.69:
	v_cmp_eq_u32_e32 vcc, 0, v61
	v_lshrrev_b32_e32 v8, 1, v0
	s_and_saveexec_b64 s[2:3], vcc
	s_cbranch_execnz .LBB8_82
; %bb.70:
	s_or_b64 exec, exec, s[2:3]
	s_and_saveexec_b64 s[2:3], vcc
	s_cbranch_execnz .LBB8_83
.LBB8_71:
	s_or_b64 exec, exec, s[2:3]
	s_and_saveexec_b64 s[2:3], vcc
	s_cbranch_execnz .LBB8_84
.LBB8_72:
	s_or_b64 exec, exec, s[2:3]
	s_and_saveexec_b64 s[2:3], vcc
	s_cbranch_execnz .LBB8_85
.LBB8_73:
	s_or_b64 exec, exec, s[2:3]
	s_and_saveexec_b64 s[2:3], vcc
	s_cbranch_execnz .LBB8_86
.LBB8_74:
	s_or_b64 exec, exec, s[2:3]
	s_and_saveexec_b64 s[2:3], vcc
	s_cbranch_execnz .LBB8_87
.LBB8_75:
	s_or_b64 exec, exec, s[2:3]
	s_and_saveexec_b64 s[2:3], vcc
	s_cbranch_execnz .LBB8_88
.LBB8_76:
	s_or_b64 exec, exec, s[2:3]
	s_and_saveexec_b64 s[2:3], vcc
	s_cbranch_execz .LBB8_78
.LBB8_77:
	v_mov_b32_e32 v9, 0x410
	v_lshl_add_u32 v8, v8, 2, v9
	ds_read_b32 v8, v8 offset:896
	s_waitcnt lgkmcnt(0)
	v_add_f32_e32 v7, v7, v8
.LBB8_78:
	s_or_b64 exec, exec, s[2:3]
.LBB8_79:
	s_or_b64 exec, exec, s[0:1]
	v_cmp_eq_u32_e32 vcc, 0, v1
	s_barrier
	s_and_saveexec_b64 s[0:1], vcc
	s_cbranch_execz .LBB8_81
; %bb.80:
	s_mul_i32 s0, s20, s21
	s_mul_i32 s0, s0, s5
	s_lshl_b32 s0, s0, 8
	s_ashr_i32 s1, s0, 31
	s_lshl_b64 s[0:1], s[0:1], 2
	s_add_u32 s2, s22, s0
	s_mul_i32 s0, s21, s24
	s_addc_u32 s3, s23, s1
	s_ashr_i32 s1, s0, 31
	s_lshl_b64 s[0:1], s[0:1], 2
	s_add_u32 s2, s2, s0
	s_addc_u32 s3, s3, s1
	s_lshl_b32 s0, s4, 8
	s_ashr_i32 s1, s0, 31
	s_lshl_b64 s[0:1], s[0:1], 2
	s_add_u32 s0, s2, s0
	s_addc_u32 s1, s3, s1
	v_lshlrev_b32_e32 v0, 1, v0
	global_store_dword v0, v10, s[0:1]
	global_store_dword v0, v11, s[0:1] offset:128
	global_store_dword v0, v4, s[0:1] offset:256
	global_store_dword v0, v5, s[0:1] offset:384
	global_store_dword v0, v2, s[0:1] offset:512
	global_store_dword v0, v3, s[0:1] offset:640
	global_store_dword v0, v6, s[0:1] offset:768
	global_store_dword v0, v7, s[0:1] offset:896
.LBB8_81:
	s_endpgm
.LBB8_82:
	v_mov_b32_e32 v9, 0x410
	v_lshl_add_u32 v9, v8, 2, v9
	ds_read_b32 v9, v9
	s_waitcnt lgkmcnt(0)
	v_add_f32_e32 v10, v10, v9
	s_or_b64 exec, exec, s[2:3]
	s_and_saveexec_b64 s[2:3], vcc
	s_cbranch_execz .LBB8_71
.LBB8_83:
	v_mov_b32_e32 v9, 0x410
	v_lshl_add_u32 v9, v8, 2, v9
	ds_read_b32 v9, v9 offset:128
	s_waitcnt lgkmcnt(0)
	v_add_f32_e32 v11, v11, v9
	s_or_b64 exec, exec, s[2:3]
	s_and_saveexec_b64 s[2:3], vcc
	s_cbranch_execz .LBB8_72
.LBB8_84:
	v_mov_b32_e32 v9, 0x410
	v_lshl_add_u32 v9, v8, 2, v9
	ds_read_b32 v9, v9 offset:256
	s_waitcnt lgkmcnt(0)
	v_add_f32_e32 v4, v4, v9
	s_or_b64 exec, exec, s[2:3]
	s_and_saveexec_b64 s[2:3], vcc
	s_cbranch_execz .LBB8_73
.LBB8_85:
	v_mov_b32_e32 v9, 0x410
	v_lshl_add_u32 v9, v8, 2, v9
	ds_read_b32 v9, v9 offset:384
	s_waitcnt lgkmcnt(0)
	v_add_f32_e32 v5, v5, v9
	s_or_b64 exec, exec, s[2:3]
	s_and_saveexec_b64 s[2:3], vcc
	s_cbranch_execz .LBB8_74
.LBB8_86:
	v_mov_b32_e32 v9, 0x410
	v_lshl_add_u32 v9, v8, 2, v9
	ds_read_b32 v9, v9 offset:512
	s_waitcnt lgkmcnt(0)
	v_add_f32_e32 v2, v2, v9
	s_or_b64 exec, exec, s[2:3]
	s_and_saveexec_b64 s[2:3], vcc
	s_cbranch_execz .LBB8_75
.LBB8_87:
	v_mov_b32_e32 v9, 0x410
	v_lshl_add_u32 v9, v8, 2, v9
	ds_read_b32 v9, v9 offset:640
	s_waitcnt lgkmcnt(0)
	v_add_f32_e32 v3, v3, v9
	s_or_b64 exec, exec, s[2:3]
	s_and_saveexec_b64 s[2:3], vcc
	s_cbranch_execz .LBB8_76
.LBB8_88:
	v_mov_b32_e32 v9, 0x410
	v_lshl_add_u32 v9, v8, 2, v9
	ds_read_b32 v9, v9 offset:768
	s_waitcnt lgkmcnt(0)
	v_add_f32_e32 v6, v6, v9
	s_or_b64 exec, exec, s[2:3]
	s_and_saveexec_b64 s[2:3], vcc
	s_cbranch_execnz .LBB8_77
	s_branch .LBB8_78
	.section	.rodata,"a",@progbits
	.p2align	6, 0x0
	.amdhsa_kernel _ZN4vllm25paged_attention_v1_kernelIffLi256ELi8ELi128ELNS_18Fp8KVCacheDataTypeE0ELb1EEEvPT_PKS2_PKT0_S8_ifPKiSA_iPKfiiiSC_SC_iiiii
		.amdhsa_group_segment_fixed_size 1040
		.amdhsa_private_segment_fixed_size 0
		.amdhsa_kernarg_size 384
		.amdhsa_user_sgpr_count 2
		.amdhsa_user_sgpr_dispatch_ptr 0
		.amdhsa_user_sgpr_queue_ptr 0
		.amdhsa_user_sgpr_kernarg_segment_ptr 1
		.amdhsa_user_sgpr_dispatch_id 0
		.amdhsa_user_sgpr_kernarg_preload_length 0
		.amdhsa_user_sgpr_kernarg_preload_offset 0
		.amdhsa_user_sgpr_private_segment_size 0
		.amdhsa_uses_dynamic_stack 0
		.amdhsa_enable_private_segment 0
		.amdhsa_system_sgpr_workgroup_id_x 1
		.amdhsa_system_sgpr_workgroup_id_y 1
		.amdhsa_system_sgpr_workgroup_id_z 1
		.amdhsa_system_sgpr_workgroup_info 0
		.amdhsa_system_vgpr_workitem_id 0
		.amdhsa_next_free_vgpr 80
		.amdhsa_next_free_sgpr 44
		.amdhsa_accum_offset 80
		.amdhsa_reserve_vcc 1
		.amdhsa_float_round_mode_32 0
		.amdhsa_float_round_mode_16_64 0
		.amdhsa_float_denorm_mode_32 3
		.amdhsa_float_denorm_mode_16_64 3
		.amdhsa_dx10_clamp 1
		.amdhsa_ieee_mode 1
		.amdhsa_fp16_overflow 0
		.amdhsa_tg_split 0
		.amdhsa_exception_fp_ieee_invalid_op 0
		.amdhsa_exception_fp_denorm_src 0
		.amdhsa_exception_fp_ieee_div_zero 0
		.amdhsa_exception_fp_ieee_overflow 0
		.amdhsa_exception_fp_ieee_underflow 0
		.amdhsa_exception_fp_ieee_inexact 0
		.amdhsa_exception_int_div_zero 0
	.end_amdhsa_kernel
	.section	.text._ZN4vllm25paged_attention_v1_kernelIffLi256ELi8ELi128ELNS_18Fp8KVCacheDataTypeE0ELb1EEEvPT_PKS2_PKT0_S8_ifPKiSA_iPKfiiiSC_SC_iiiii,"axG",@progbits,_ZN4vllm25paged_attention_v1_kernelIffLi256ELi8ELi128ELNS_18Fp8KVCacheDataTypeE0ELb1EEEvPT_PKS2_PKT0_S8_ifPKiSA_iPKfiiiSC_SC_iiiii,comdat
.Lfunc_end8:
	.size	_ZN4vllm25paged_attention_v1_kernelIffLi256ELi8ELi128ELNS_18Fp8KVCacheDataTypeE0ELb1EEEvPT_PKS2_PKT0_S8_ifPKiSA_iPKfiiiSC_SC_iiiii, .Lfunc_end8-_ZN4vllm25paged_attention_v1_kernelIffLi256ELi8ELi128ELNS_18Fp8KVCacheDataTypeE0ELb1EEEvPT_PKS2_PKT0_S8_ifPKiSA_iPKfiiiSC_SC_iiiii
                                        ; -- End function
	.section	.AMDGPU.csdata,"",@progbits
; Kernel info:
; codeLenInByte = 6396
; NumSgprs: 50
; NumVgprs: 80
; NumAgprs: 0
; TotalNumVgprs: 80
; ScratchSize: 0
; MemoryBound: 0
; FloatMode: 240
; IeeeMode: 1
; LDSByteSize: 1040 bytes/workgroup (compile time only)
; SGPRBlocks: 6
; VGPRBlocks: 9
; NumSGPRsForWavesPerEU: 50
; NumVGPRsForWavesPerEU: 80
; AccumOffset: 80
; Occupancy: 6
; WaveLimiterHint : 1
; COMPUTE_PGM_RSRC2:SCRATCH_EN: 0
; COMPUTE_PGM_RSRC2:USER_SGPR: 2
; COMPUTE_PGM_RSRC2:TRAP_HANDLER: 0
; COMPUTE_PGM_RSRC2:TGID_X_EN: 1
; COMPUTE_PGM_RSRC2:TGID_Y_EN: 1
; COMPUTE_PGM_RSRC2:TGID_Z_EN: 1
; COMPUTE_PGM_RSRC2:TIDIG_COMP_CNT: 0
; COMPUTE_PGM_RSRC3_GFX90A:ACCUM_OFFSET: 19
; COMPUTE_PGM_RSRC3_GFX90A:TG_SPLIT: 0
	.section	.text._ZN4vllm25paged_attention_v1_kernelIffLi32ELi8ELi128ELNS_18Fp8KVCacheDataTypeE0ELb0EEEvPT_PKS2_PKT0_S8_ifPKiSA_iPKfiiiSC_SC_iiiii,"axG",@progbits,_ZN4vllm25paged_attention_v1_kernelIffLi32ELi8ELi128ELNS_18Fp8KVCacheDataTypeE0ELb0EEEvPT_PKS2_PKT0_S8_ifPKiSA_iPKfiiiSC_SC_iiiii,comdat
	.protected	_ZN4vllm25paged_attention_v1_kernelIffLi32ELi8ELi128ELNS_18Fp8KVCacheDataTypeE0ELb0EEEvPT_PKS2_PKT0_S8_ifPKiSA_iPKfiiiSC_SC_iiiii ; -- Begin function _ZN4vllm25paged_attention_v1_kernelIffLi32ELi8ELi128ELNS_18Fp8KVCacheDataTypeE0ELb0EEEvPT_PKS2_PKT0_S8_ifPKiSA_iPKfiiiSC_SC_iiiii
	.globl	_ZN4vllm25paged_attention_v1_kernelIffLi32ELi8ELi128ELNS_18Fp8KVCacheDataTypeE0ELb0EEEvPT_PKS2_PKT0_S8_ifPKiSA_iPKfiiiSC_SC_iiiii
	.p2align	8
	.type	_ZN4vllm25paged_attention_v1_kernelIffLi32ELi8ELi128ELNS_18Fp8KVCacheDataTypeE0ELb0EEEvPT_PKS2_PKT0_S8_ifPKiSA_iPKfiiiSC_SC_iiiii,@function
_ZN4vllm25paged_attention_v1_kernelIffLi32ELi8ELi128ELNS_18Fp8KVCacheDataTypeE0ELb0EEEvPT_PKS2_PKT0_S8_ifPKiSA_iPKfiiiSC_SC_iiiii: ; @_ZN4vllm25paged_attention_v1_kernelIffLi32ELi8ELi128ELNS_18Fp8KVCacheDataTypeE0ELb0EEEvPT_PKS2_PKT0_S8_ifPKiSA_iPKfiiiSC_SC_iiiii
; %bb.0:
	s_load_dword s5, s[0:1], 0x80
	s_load_dwordx2 s[6:7], s[0:1], 0x30
	s_load_dwordx2 s[8:9], s[0:1], 0x20
	s_mov_b32 s10, s3
	s_ashr_i32 s11, s3, 31
	s_lshl_b64 s[12:13], s[10:11], 2
	s_waitcnt lgkmcnt(0)
	s_add_u32 s6, s6, s12
	s_addc_u32 s7, s7, s13
	s_abs_i32 s3, s8
	v_cvt_f32_u32_e32 v1, s3
	s_sub_i32 s12, 0, s3
	s_abs_i32 s11, s5
	s_xor_b32 s8, s5, s8
	v_rcp_iflag_f32_e32 v1, v1
	s_ashr_i32 s8, s8, 31
	v_mul_f32_e32 v1, 0x4f7ffffe, v1
	v_cvt_u32_f32_e32 v1, v1
	s_nop 0
	v_readfirstlane_b32 s13, v1
	s_mul_i32 s12, s12, s13
	s_mul_hi_u32 s12, s13, s12
	s_add_i32 s13, s13, s12
	s_mul_hi_u32 s12, s11, s13
	s_mul_i32 s13, s12, s3
	s_sub_i32 s11, s11, s13
	s_add_i32 s13, s12, 1
	s_sub_i32 s14, s11, s3
	s_cmp_ge_u32 s11, s3
	s_cselect_b32 s12, s13, s12
	s_cselect_b32 s11, s14, s11
	s_add_i32 s13, s12, 1
	s_cmp_ge_u32 s11, s3
	s_cselect_b32 s3, s13, s12
	s_xor_b32 s3, s3, s8
	s_sub_i32 s14, s3, s8
	s_abs_i32 s18, s14
	v_cvt_f32_u32_e32 v1, s18
	s_load_dwordx2 s[12:13], s[0:1], 0x40
	s_sub_i32 s3, 0, s18
	s_abs_i32 s19, s2
	v_rcp_iflag_f32_e32 v1, v1
	s_mov_b32 s8, 0
	v_mul_f32_e32 v1, 0x4f7ffffe, v1
	v_cvt_u32_f32_e32 v1, v1
	s_nop 0
	v_readfirstlane_b32 s11, v1
	s_mul_i32 s3, s3, s11
	s_mul_hi_u32 s3, s11, s3
	s_add_i32 s11, s11, s3
	s_waitcnt lgkmcnt(0)
	s_cmp_eq_u64 s[12:13], 0
	s_mul_hi_u32 s22, s19, s11
	s_cbranch_scc1 .LBB9_2
; %bb.1:
	s_ashr_i32 s3, s2, 31
	s_lshl_b64 s[16:17], s[2:3], 2
	s_add_u32 s12, s12, s16
	s_addc_u32 s13, s13, s17
	s_load_dword s8, s[12:13], 0x0
.LBB9_2:
	s_load_dword s11, s[6:7], 0x0
	s_ashr_i32 s7, s14, 31
	s_load_dwordx4 s[12:15], s[0:1], 0x48
	s_ashr_i32 s6, s2, 31
	v_and_b32_e32 v6, 7, v0
	s_lshl_b32 s16, s2, 5
	v_cmp_gt_u32_e32 vcc, 32, v0
	v_lshlrev_b32_e32 v10, 2, v0
	s_and_saveexec_b64 s[2:3], vcc
	s_cbranch_execz .LBB9_4
; %bb.3:
	s_load_dwordx2 s[20:21], s[0:1], 0x8
	s_waitcnt lgkmcnt(0)
	s_mul_i32 s24, s10, s12
	s_ashr_i32 s25, s24, 31
	s_lshl_b64 s[24:25], s[24:25], 2
	v_lshrrev_b32_e32 v2, 1, v0
	s_add_u32 s12, s20, s24
	s_addc_u32 s15, s21, s25
	s_ashr_i32 s17, s16, 31
	s_lshl_b64 s[20:21], s[16:17], 2
	s_add_u32 s20, s12, s20
	s_addc_u32 s21, s15, s21
	global_load_dword v1, v10, s[20:21]
	v_and_b32_e32 v2, 0x1fc, v2
	v_lshl_add_u32 v2, v6, 4, v2
	s_waitcnt vmcnt(0)
	ds_write_b32 v2, v1
.LBB9_4:
	s_or_b64 exec, exec, s[2:3]
	s_waitcnt lgkmcnt(0)
	s_add_i32 s3, s11, 7
	s_ashr_i32 s12, s3, 31
	s_lshr_b32 s12, s12, 29
	s_add_i32 s3, s3, s12
	s_ashr_i32 s17, s3, 3
	s_xor_b32 s3, s6, s7
	s_mul_i32 s6, s22, s18
	s_sub_i32 s6, s19, s6
	s_add_i32 s7, s22, 1
	s_sub_i32 s12, s6, s18
	s_load_dwordx2 s[20:21], s[0:1], 0x28
	s_load_dword s2, s[0:1], 0x38
	s_cmp_ge_u32 s6, s18
	s_cselect_b32 s7, s7, s22
	s_cselect_b32 s6, s12, s6
	s_add_i32 s12, s7, 1
	s_cmp_ge_u32 s6, s18
	s_cselect_b32 s6, s12, s7
	v_lshrrev_b32_e32 v1, 6, v0
	s_xor_b32 s6, s6, s3
	s_waitcnt lgkmcnt(0)
	s_mul_i32 s22, s10, s2
	s_sub_i32 s15, s6, s3
	s_ashr_i32 s23, s22, 31
	v_cmp_gt_i32_e64 s[2:3], s17, v1
	v_cmp_le_i32_e32 vcc, s17, v1
	v_mbcnt_lo_u32_b32 v7, -1, 0
	s_barrier
	s_waitcnt lgkmcnt(0)
                                        ; implicit-def: $sgpr28
                                        ; implicit-def: $vgpr11
                                        ; implicit-def: $vgpr12
	s_and_saveexec_b64 s[6:7], vcc
	s_xor_b64 s[6:7], exec, s[6:7]
; %bb.5:
	v_mbcnt_hi_u32_b32 v11, -1, v7
	v_and_b32_e32 v2, 64, v11
	v_add_u32_e32 v12, 64, v2
	s_mov_b32 s28, 0xff7fffff
                                        ; implicit-def: $vgpr6
                                        ; implicit-def: $vgpr7
; %bb.6:
	s_or_saveexec_b64 s[26:27], s[6:7]
	s_load_dwordx2 s[18:19], s[0:1], 0x0
	s_load_dwordx2 s[24:25], s[0:1], 0x18
	s_load_dword s12, s[0:1], 0x88
	v_mov_b32_e32 v13, s28
	s_mul_i32 s14, s15, s14
	v_lshrrev_b32_e32 v14, 4, v0
	s_xor_b64 exec, exec, s[26:27]
	s_cbranch_execz .LBB9_12
; %bb.7:
	v_mbcnt_hi_u32_b32 v11, -1, v7
	s_load_dwordx2 s[0:1], s[0:1], 0x10
	v_and_b32_e32 v7, 64, v11
	v_add_u32_e32 v12, 64, v7
	v_xor_b32_e32 v7, 4, v11
	v_cmp_lt_i32_e32 vcc, v7, v12
	s_ashr_i32 s15, s14, 31
	s_lshl_b64 s[6:7], s[14:15], 2
	v_cndmask_b32_e32 v7, v11, v7, vcc
	v_lshlrev_b32_e32 v15, 2, v7
	v_xor_b32_e32 v7, 2, v11
	v_bfe_u32 v13, v0, 3, 3
	s_waitcnt lgkmcnt(0)
	s_add_u32 s0, s0, s6
	v_cmp_lt_i32_e32 vcc, v7, v12
	s_addc_u32 s1, s1, s7
	v_lshlrev_b32_e32 v8, 4, v13
	v_mov_b32_e32 v9, 0
	v_and_b32_e32 v4, 3, v0
	v_cndmask_b32_e32 v7, v11, v7, vcc
	v_lshl_add_u64 v[2:3], s[0:1], 0, v[8:9]
	v_lshlrev_b32_e32 v8, 2, v4
	v_lshlrev_b32_e32 v16, 2, v7
	v_xor_b32_e32 v7, 1, v11
	v_lshl_add_u64 v[18:19], v[2:3], 0, v[8:9]
	v_lshlrev_b32_e32 v2, 4, v6
	v_cmp_lt_i32_e32 vcc, v7, v12
	ds_read_b128 v[2:5], v2
	v_lshlrev_b32_e32 v20, 2, v13
	v_cndmask_b32_e32 v7, v11, v7, vcc
	v_cmp_eq_u32_e32 vcc, 0, v6
	v_lshlrev_b32_e32 v6, 5, v0
	v_and_b32_e32 v8, 0x80, v6
	s_sub_i32 s15, 1, s11
	s_lshl_b64 s[6:7], s[22:23], 2
	v_lshlrev_b32_e32 v17, 2, v7
	v_lshl_add_u64 v[6:7], v[18:19], 0, v[8:9]
	v_lshl_or_b32 v8, v1, 5, v20
	s_add_u32 s6, s20, s6
	v_add_u32_e32 v19, 0x90, v8
	v_and_b32_e32 v8, 60, v14
	s_addc_u32 s7, s21, s7
	s_mov_b32 s33, s13
	v_cmp_neq_f32_e64 s[0:1], s8, 0
	v_lshl_or_b32 v18, v1, 3, v13
	v_lshl_add_u64 v[8:9], s[6:7], 0, v[8:9]
	s_mov_b64 s[28:29], 0
	v_mov_b32_e32 v13, 0xff7fffff
	v_mov_b32_e32 v20, v1
	s_branch .LBB9_9
.LBB9_8:                                ;   in Loop: Header=BB9_9 Depth=1
	s_or_b64 exec, exec, s[30:31]
	v_add_u32_e32 v20, 2, v20
	v_cmp_le_i32_e64 s[6:7], s17, v20
	v_add_u32_e32 v18, 16, v18
	v_add_u32_e32 v19, 64, v19
	s_or_b64 s[28:29], s[6:7], s[28:29]
	v_lshl_add_u64 v[8:9], v[8:9], 0, 8
	s_andn2_b64 exec, exec, s[28:29]
	s_cbranch_execz .LBB9_11
.LBB9_9:                                ; =>This Inner Loop Header: Depth=1
	global_load_dword v21, v[8:9], off
	s_waitcnt vmcnt(0) lgkmcnt(0)
	v_mad_i64_i32 v[22:23], s[6:7], v21, s33, 0
	v_lshl_add_u64 v[22:23], v[22:23], 2, v[6:7]
	global_load_dword v21, v[22:23], off offset:256
	global_load_dword v24, v[22:23], off
	global_load_dword v25, v[22:23], off offset:512
	global_load_dword v26, v[22:23], off offset:768
	s_waitcnt vmcnt(3) lgkmcnt(0)
	v_mul_f32_e32 v21, v3, v21
	s_waitcnt vmcnt(2)
	v_fmac_f32_e32 v21, v2, v24
	s_waitcnt vmcnt(1)
	v_fmac_f32_e32 v21, v4, v25
	;; [unrolled: 2-line block ×3, first 2 shown]
	ds_bpermute_b32 v22, v15, v21
	s_waitcnt lgkmcnt(0)
	v_add_f32_e32 v21, v21, v22
	ds_bpermute_b32 v22, v16, v21
	s_waitcnt lgkmcnt(0)
	v_add_f32_e32 v21, v21, v22
	ds_bpermute_b32 v22, v17, v21
	s_and_saveexec_b64 s[30:31], vcc
	s_cbranch_execz .LBB9_8
; %bb.10:                               ;   in Loop: Header=BB9_9 Depth=1
	v_add_u32_e32 v23, s15, v18
	v_cvt_f32_i32_e32 v23, v23
	s_waitcnt lgkmcnt(0)
	v_add_f32_e32 v21, v21, v22
	v_cmp_gt_i32_e64 s[6:7], s11, v18
	v_max_f32_e32 v22, v13, v13
	v_mul_f32_e32 v23, s8, v23
	v_cndmask_b32_e64 v23, 0, v23, s[0:1]
	v_fmac_f32_e32 v23, s9, v21
	v_cndmask_b32_e64 v21, 0, v23, s[6:7]
	ds_write_b32 v19, v21
	v_max_f32_e32 v21, v22, v23
	v_cndmask_b32_e64 v13, v13, v21, s[6:7]
	s_branch .LBB9_8
.LBB9_11:
	s_or_b64 exec, exec, s[28:29]
.LBB9_12:
	s_or_b64 exec, exec, s[26:27]
	v_xor_b32_e32 v2, 32, v11
	v_cmp_lt_i32_e32 vcc, v2, v12
	v_xor_b32_e32 v5, 16, v11
	v_max_f32_e32 v4, v13, v13
	v_cndmask_b32_e32 v2, v11, v2, vcc
	v_lshlrev_b32_e32 v3, 2, v2
	ds_bpermute_b32 v2, v3, v13
	v_cmp_lt_i32_e32 vcc, v5, v12
	v_xor_b32_e32 v6, 8, v11
	v_and_b32_e32 v16, 63, v0
	s_waitcnt lgkmcnt(0)
	v_max_f32_e32 v2, v2, v2
	v_max_f32_e32 v2, v4, v2
	v_cndmask_b32_e32 v4, v11, v5, vcc
	v_lshlrev_b32_e32 v5, 2, v4
	ds_bpermute_b32 v4, v5, v2
	v_cmp_lt_i32_e32 vcc, v6, v12
	s_waitcnt lgkmcnt(0)
	v_max_f32_e32 v4, v4, v4
	v_max_f32_e32 v4, v2, v4
	v_cndmask_b32_e32 v2, v11, v6, vcc
	v_lshlrev_b32_e32 v6, 2, v2
	ds_bpermute_b32 v7, v6, v4
	v_cmp_eq_u32_e32 vcc, 0, v16
	v_lshlrev_b32_e32 v2, 2, v1
	s_and_saveexec_b64 s[0:1], vcc
	s_cbranch_execz .LBB9_14
; %bb.13:
	s_waitcnt lgkmcnt(0)
	v_max_f32_e32 v7, v7, v7
	v_max_f32_e32 v4, v4, v4
	;; [unrolled: 1-line block ×3, first 2 shown]
	ds_write_b32 v2, v4 offset:128
.LBB9_14:
	s_or_b64 exec, exec, s[0:1]
	v_cmp_gt_u32_e64 s[0:1], 2, v16
	s_waitcnt lgkmcnt(0)
	v_mov_b32_e32 v7, 0xff7fffff
	v_lshlrev_b32_e32 v4, 2, v16
	s_barrier
	s_and_saveexec_b64 s[6:7], s[0:1]
	s_cbranch_execz .LBB9_16
; %bb.15:
	ds_read_b32 v7, v4 offset:128
.LBB9_16:
	s_or_b64 exec, exec, s[6:7]
	v_xor_b32_e32 v8, 1, v11
	v_cmp_lt_i32_e64 s[6:7], v8, v12
	v_lshlrev_b32_e32 v9, 2, v11
	s_nop 0
	v_cndmask_b32_e64 v8, v11, v8, s[6:7]
	v_lshlrev_b32_e32 v17, 2, v8
	s_waitcnt lgkmcnt(0)
	ds_bpermute_b32 v8, v17, v7
	v_max_f32_e32 v7, v7, v7
	s_lshl_b32 s6, s17, 3
	s_min_i32 s15, s6, s11
	v_cmp_gt_i32_e64 s[6:7], s15, v0
	s_waitcnt lgkmcnt(0)
	v_max_f32_e32 v8, v8, v8
	v_max_f32_e32 v8, v7, v8
	v_and_b32_e32 v7, 0xffffff00, v9
	ds_bpermute_b32 v9, v7, v8
	v_mov_b32_e32 v8, 0
	s_and_saveexec_b64 s[26:27], s[6:7]
	s_cbranch_execz .LBB9_20
; %bb.17:
	v_mov_b32_e32 v8, 0x90
	v_lshl_add_u32 v13, v0, 2, v8
	s_mov_b64 s[28:29], 0
	v_mov_b32_e32 v8, 0
	v_mov_b32_e32 v15, v0
.LBB9_18:                               ; =>This Inner Loop Header: Depth=1
	ds_read_b32 v18, v13
	v_add_u32_e32 v15, 0x80, v15
	v_cmp_le_i32_e64 s[8:9], s15, v15
	s_or_b64 s[28:29], s[8:9], s[28:29]
	s_waitcnt lgkmcnt(0)
	v_sub_f32_e32 v18, v18, v9
	v_mul_f32_e32 v18, 0x3fb8aa3b, v18
	v_exp_f32_e32 v18, v18
	ds_write_b32 v13, v18
	v_add_f32_e32 v8, v8, v18
	v_add_u32_e32 v13, 0x200, v13
	s_andn2_b64 exec, exec, s[28:29]
	s_cbranch_execnz .LBB9_18
; %bb.19:
	s_or_b64 exec, exec, s[28:29]
.LBB9_20:
	s_or_b64 exec, exec, s[26:27]
	ds_bpermute_b32 v3, v3, v8
	s_waitcnt lgkmcnt(0)
	v_add_f32_e32 v3, v8, v3
	ds_bpermute_b32 v5, v5, v3
	s_waitcnt lgkmcnt(0)
	v_add_f32_e32 v3, v3, v5
	ds_bpermute_b32 v5, v6, v3
	v_xor_b32_e32 v6, 4, v11
	v_cmp_lt_i32_e64 s[8:9], v6, v12
	s_waitcnt lgkmcnt(0)
	v_add_f32_e32 v3, v3, v5
	v_cndmask_b32_e64 v6, v11, v6, s[8:9]
	v_lshlrev_b32_e32 v6, 2, v6
	ds_bpermute_b32 v5, v6, v3
	v_xor_b32_e32 v6, 2, v11
	v_cmp_lt_i32_e64 s[8:9], v6, v12
	s_waitcnt lgkmcnt(0)
	v_add_f32_e32 v3, v3, v5
	v_cndmask_b32_e64 v6, v11, v6, s[8:9]
	v_lshlrev_b32_e32 v5, 2, v6
	ds_bpermute_b32 v5, v5, v3
	s_waitcnt lgkmcnt(0)
	v_add_f32_e32 v3, v3, v5
	ds_bpermute_b32 v5, v17, v3
	s_waitcnt lgkmcnt(0)
	v_add_f32_e32 v3, v3, v5
	s_and_saveexec_b64 s[8:9], vcc
	s_cbranch_execz .LBB9_22
; %bb.21:
	ds_write_b32 v2, v3 offset:136
.LBB9_22:
	s_or_b64 exec, exec, s[8:9]
	s_waitcnt lgkmcnt(0)
	s_barrier
	s_and_saveexec_b64 s[8:9], s[0:1]
	s_cbranch_execz .LBB9_24
; %bb.23:
	ds_read_b32 v3, v4 offset:136
.LBB9_24:
	s_or_b64 exec, exec, s[8:9]
	s_waitcnt lgkmcnt(0)
	ds_bpermute_b32 v2, v17, v3
	s_waitcnt lgkmcnt(0)
	v_add_f32_e32 v2, v3, v2
	ds_bpermute_b32 v2, v7, v2
	s_and_saveexec_b64 s[0:1], s[6:7]
	s_cbranch_execz .LBB9_37
; %bb.25:
	s_waitcnt lgkmcnt(0)
	v_add_f32_e32 v2, 0x358637bd, v2
	v_div_scale_f32 v3, s[6:7], v2, v2, 1.0
	v_rcp_f32_e32 v4, v3
	v_div_scale_f32 v5, vcc, 1.0, v2, 1.0
	s_movk_i32 s6, 0x7f
	v_fma_f32 v6, -v3, v4, 1.0
	v_fmac_f32_e32 v4, v6, v4
	v_mul_f32_e32 v6, v5, v4
	v_fma_f32 v7, -v3, v6, v5
	v_fmac_f32_e32 v6, v7, v4
	v_fma_f32 v3, -v3, v6, v5
	v_div_fmas_f32 v3, v3, v4, v6
	v_xad_u32 v4, v0, -1, s15
	v_div_fixup_f32 v2, v3, v2, 1.0
	v_cmp_lt_u32_e32 vcc, s6, v4
	s_mov_b64 s[8:9], -1
	v_mov_b32_e32 v3, v0
	s_and_saveexec_b64 s[6:7], vcc
	s_cbranch_execz .LBB9_34
; %bb.26:
	v_lshrrev_b32_e32 v4, 7, v4
	v_add_u32_e32 v6, -1, v4
	v_lshrrev_b32_e32 v5, 1, v6
	v_mov_b32_e32 v3, v2
	v_add_u32_e32 v5, 1, v5
	v_cmp_lt_u32_e32 vcc, 13, v6
	v_mov_b32_e32 v8, 0
	s_and_saveexec_b64 s[8:9], vcc
	s_cbranch_execz .LBB9_30
; %bb.27:
	v_mov_b32_e32 v7, 0x90
	v_and_b32_e32 v6, -8, v5
	v_lshl_add_u32 v7, v0, 2, v7
	s_mov_b32 s28, 0
	s_mov_b64 s[26:27], 0
.LBB9_28:                               ; =>This Inner Loop Header: Depth=1
	ds_read2st64_b32 v[8:9], v7 offset1:2
	ds_read2st64_b32 v[12:13], v7 offset0:4 offset1:6
	ds_read2st64_b32 v[18:19], v7 offset0:8 offset1:10
	;; [unrolled: 1-line block ×3, first 2 shown]
	v_add_u32_e32 v6, -8, v6
	s_waitcnt lgkmcnt(3)
	v_pk_mul_f32 v[8:9], v[2:3], v[8:9]
	s_waitcnt lgkmcnt(2)
	v_pk_mul_f32 v[12:13], v[2:3], v[12:13]
	ds_write2st64_b32 v7, v8, v9 offset1:2
	ds_write2st64_b32 v7, v12, v13 offset0:4 offset1:6
	ds_read2st64_b32 v[12:13], v7 offset0:16 offset1:18
	s_waitcnt lgkmcnt(4)
	v_pk_mul_f32 v[8:9], v[2:3], v[18:19]
	ds_write2st64_b32 v7, v8, v9 offset0:8 offset1:10
	s_waitcnt lgkmcnt(4)
	v_pk_mul_f32 v[8:9], v[2:3], v[20:21]
	ds_write2st64_b32 v7, v8, v9 offset0:12 offset1:14
	ds_read2st64_b32 v[8:9], v7 offset0:20 offset1:22
	s_waitcnt lgkmcnt(3)
	v_pk_mul_f32 v[12:13], v[2:3], v[12:13]
	ds_read2st64_b32 v[18:19], v7 offset0:24 offset1:26
	ds_write2st64_b32 v7, v12, v13 offset0:16 offset1:18
	ds_read2st64_b32 v[12:13], v7 offset0:28 offset1:30
	s_waitcnt lgkmcnt(3)
	v_pk_mul_f32 v[8:9], v[2:3], v[8:9]
	ds_write2st64_b32 v7, v8, v9 offset0:20 offset1:22
	s_waitcnt lgkmcnt(3)
	v_pk_mul_f32 v[8:9], v[2:3], v[18:19]
	ds_write2st64_b32 v7, v8, v9 offset0:24 offset1:26
	s_waitcnt lgkmcnt(2)
	v_pk_mul_f32 v[8:9], v[2:3], v[12:13]
	s_add_i32 s28, s28, 16
	v_cmp_eq_u32_e32 vcc, 0, v6
	ds_write2st64_b32 v7, v8, v9 offset0:28 offset1:30
	v_add_u32_e32 v7, 0x2000, v7
	s_or_b64 s[26:27], vcc, s[26:27]
	v_mov_b32_e32 v8, s28
	s_andn2_b64 exec, exec, s[26:27]
	s_cbranch_execnz .LBB9_28
; %bb.29:
	s_or_b64 exec, exec, s[26:27]
.LBB9_30:
	s_or_b64 exec, exec, s[8:9]
	v_and_b32_e32 v5, 7, v5
	v_cmp_ne_u32_e32 vcc, 0, v5
	s_and_saveexec_b64 s[8:9], vcc
	s_cbranch_execz .LBB9_33
; %bb.31:
	v_lshlrev_b32_e32 v6, 9, v8
	s_movk_i32 s26, 0x90
	v_add3_u32 v6, v6, v10, s26
	s_mov_b64 s[26:27], 0
.LBB9_32:                               ; =>This Inner Loop Header: Depth=1
	ds_read2st64_b32 v[8:9], v6 offset1:2
	v_add_u32_e32 v5, -1, v5
	v_cmp_eq_u32_e32 vcc, 0, v5
	s_or_b64 s[26:27], vcc, s[26:27]
	s_waitcnt lgkmcnt(0)
	v_pk_mul_f32 v[8:9], v[2:3], v[8:9]
	ds_write2st64_b32 v6, v8, v9 offset1:2
	v_add_u32_e32 v6, 0x400, v6
	s_andn2_b64 exec, exec, s[26:27]
	s_cbranch_execnz .LBB9_32
.LBB9_33:
	s_or_b64 exec, exec, s[8:9]
	v_add_u32_e32 v4, 1, v4
	v_and_b32_e32 v5, 0x3fffffe, v4
	v_cmp_ne_u32_e32 vcc, v4, v5
	v_lshl_add_u32 v3, v5, 7, v0
	s_orn2_b64 s[8:9], vcc, exec
.LBB9_34:
	s_or_b64 exec, exec, s[6:7]
	s_and_b64 exec, exec, s[8:9]
	s_cbranch_execz .LBB9_37
; %bb.35:
	v_mov_b32_e32 v4, 0x90
	v_lshl_add_u32 v4, v3, 2, v4
	s_mov_b64 s[6:7], 0
.LBB9_36:                               ; =>This Inner Loop Header: Depth=1
	ds_read_b32 v5, v4
	v_add_u32_e32 v3, 0x80, v3
	v_cmp_le_i32_e32 vcc, s15, v3
	s_or_b64 s[6:7], vcc, s[6:7]
	s_waitcnt lgkmcnt(0)
	v_mul_f32_e32 v5, v2, v5
	ds_write_b32 v4, v5
	v_add_u32_e32 v4, 0x200, v4
	s_andn2_b64 exec, exec, s[6:7]
	s_cbranch_execnz .LBB9_36
.LBB9_37:
	s_or_b64 exec, exec, s[0:1]
	v_mov_b32_e32 v11, 0
	s_waitcnt lgkmcnt(0)
	s_barrier
	s_and_saveexec_b64 s[0:1], s[2:3]
	s_cbranch_execz .LBB9_43
; %bb.38:
	s_ashr_i32 s15, s14, 31
	s_lshl_b64 s[2:3], s[14:15], 2
	s_add_u32 s2, s24, s2
	v_lshlrev_b32_e32 v3, 4, v0
	v_and_b32_e32 v2, 4, v10
	s_addc_u32 s3, s25, s3
	v_and_b32_e32 v10, 0x3f0, v3
	v_mov_b32_e32 v11, 0
	v_lshlrev_b32_e32 v3, 3, v1
	v_lshl_add_u64 v[12:13], s[2:3], 0, v[10:11]
	s_add_i32 s9, s17, -1
	v_or3_b32 v18, v3, v2, 3
	v_and_b32_e32 v2, 1, v0
	s_lshl_b64 s[2:3], s[22:23], 2
	v_lshlrev_b32_e32 v2, 4, v2
	s_add_u32 s2, s20, s2
	v_lshl_or_b32 v2, v1, 5, v2
	v_and_b32_e32 v10, 60, v14
	s_addc_u32 s3, s21, s3
	s_mov_b32 s8, s13
	v_add_u32_e32 v19, 0x90, v2
	v_lshl_add_u64 v[14:15], s[2:3], 0, v[10:11]
	s_mov_b64 s[2:3], 0
	s_branch .LBB9_40
.LBB9_39:                               ;   in Loop: Header=BB9_40 Depth=1
	s_or_b64 exec, exec, s[6:7]
	s_waitcnt vmcnt(0) lgkmcnt(0)
	v_mul_f32_e32 v3, v7, v3
	v_fmac_f32_e32 v3, v6, v2
	v_fmac_f32_e32 v3, v8, v4
	v_add_u32_e32 v1, 2, v1
	v_fmac_f32_e32 v3, v9, v5
	v_cmp_le_i32_e32 vcc, s17, v1
	v_add_f32_e32 v11, v11, v3
	v_add_u32_e32 v18, 16, v18
	v_add_u32_e32 v19, 64, v19
	s_or_b64 s[2:3], vcc, s[2:3]
	v_lshl_add_u64 v[14:15], v[14:15], 0, 8
	s_andn2_b64 exec, exec, s[2:3]
	s_cbranch_execz .LBB9_42
.LBB9_40:                               ; =>This Inner Loop Header: Depth=1
	global_load_dword v2, v[14:15], off
	ds_read_b128 v[6:9], v19
	v_cmp_eq_u32_e32 vcc, s9, v1
	s_waitcnt vmcnt(0)
	v_mad_i64_i32 v[2:3], s[6:7], v2, s8, 0
	v_lshl_add_u64 v[2:3], v[2:3], 2, v[12:13]
	global_load_dwordx4 v[2:5], v[2:3], off
	s_and_saveexec_b64 s[6:7], vcc
	s_cbranch_execz .LBB9_39
; %bb.41:                               ;   in Loop: Header=BB9_40 Depth=1
	v_add_u32_e32 v10, -3, v18
	v_cmp_gt_i32_e32 vcc, s11, v10
	v_add_u32_e32 v10, -2, v18
	s_waitcnt vmcnt(0)
	v_cndmask_b32_e32 v2, 0, v2, vcc
	v_cmp_gt_i32_e32 vcc, s11, v10
	v_add_u32_e32 v10, -1, v18
	s_nop 0
	v_cndmask_b32_e32 v3, 0, v3, vcc
	v_cmp_gt_i32_e32 vcc, s11, v10
	s_nop 1
	v_cndmask_b32_e32 v4, 0, v4, vcc
	v_cmp_gt_i32_e32 vcc, s11, v18
	s_nop 1
	v_cndmask_b32_e32 v5, 0, v5, vcc
	s_branch .LBB9_39
.LBB9_42:
	s_or_b64 exec, exec, s[2:3]
.LBB9_43:
	s_or_b64 exec, exec, s[0:1]
	ds_bpermute_b32 v1, v17, v11
	v_and_b32_e32 v2, 0x3c1, v0
	v_cmp_eq_u32_e32 vcc, 64, v2
	s_waitcnt lgkmcnt(0)
	s_barrier
	v_add_f32_e32 v1, v11, v1
	s_and_saveexec_b64 s[0:1], vcc
	s_cbranch_execz .LBB9_45
; %bb.44:
	v_mov_b32_e32 v3, 0x90
	v_lshl_add_u32 v3, v16, 1, v3
	ds_write_b32 v3, v1
.LBB9_45:
	s_or_b64 exec, exec, s[0:1]
	v_cmp_eq_u32_e32 vcc, 0, v2
	s_waitcnt lgkmcnt(0)
	s_barrier
	s_and_saveexec_b64 s[0:1], vcc
	s_cbranch_execz .LBB9_47
; %bb.46:
	v_mov_b32_e32 v2, 0x90
	v_lshl_add_u32 v2, v0, 1, v2
	ds_read_b32 v2, v2
	s_waitcnt lgkmcnt(0)
	v_add_f32_e32 v1, v1, v2
.LBB9_47:
	s_or_b64 exec, exec, s[0:1]
	s_barrier
	s_and_saveexec_b64 s[0:1], vcc
	s_cbranch_execz .LBB9_49
; %bb.48:
	s_mul_i32 s0, s10, s12
	s_mul_i32 s0, s0, s5
	s_lshl_b32 s0, s0, 5
	s_ashr_i32 s1, s0, 31
	s_lshl_b64 s[0:1], s[0:1], 2
	s_add_u32 s2, s18, s0
	s_mul_i32 s0, s12, s16
	s_addc_u32 s3, s19, s1
	s_ashr_i32 s1, s0, 31
	s_lshl_b64 s[0:1], s[0:1], 2
	s_add_u32 s2, s2, s0
	s_addc_u32 s3, s3, s1
	s_lshl_b32 s0, s4, 5
	s_ashr_i32 s1, s0, 31
	s_lshl_b64 s[0:1], s[0:1], 2
	s_add_u32 s0, s2, s0
	s_addc_u32 s1, s3, s1
	v_lshlrev_b32_e32 v0, 1, v0
	global_store_dword v0, v1, s[0:1]
.LBB9_49:
	s_endpgm
	.section	.rodata,"a",@progbits
	.p2align	6, 0x0
	.amdhsa_kernel _ZN4vllm25paged_attention_v1_kernelIffLi32ELi8ELi128ELNS_18Fp8KVCacheDataTypeE0ELb0EEEvPT_PKS2_PKT0_S8_ifPKiSA_iPKfiiiSC_SC_iiiii
		.amdhsa_group_segment_fixed_size 144
		.amdhsa_private_segment_fixed_size 0
		.amdhsa_kernarg_size 384
		.amdhsa_user_sgpr_count 2
		.amdhsa_user_sgpr_dispatch_ptr 0
		.amdhsa_user_sgpr_queue_ptr 0
		.amdhsa_user_sgpr_kernarg_segment_ptr 1
		.amdhsa_user_sgpr_dispatch_id 0
		.amdhsa_user_sgpr_kernarg_preload_length 0
		.amdhsa_user_sgpr_kernarg_preload_offset 0
		.amdhsa_user_sgpr_private_segment_size 0
		.amdhsa_uses_dynamic_stack 0
		.amdhsa_enable_private_segment 0
		.amdhsa_system_sgpr_workgroup_id_x 1
		.amdhsa_system_sgpr_workgroup_id_y 1
		.amdhsa_system_sgpr_workgroup_id_z 1
		.amdhsa_system_sgpr_workgroup_info 0
		.amdhsa_system_vgpr_workitem_id 0
		.amdhsa_next_free_vgpr 27
		.amdhsa_next_free_sgpr 34
		.amdhsa_accum_offset 28
		.amdhsa_reserve_vcc 1
		.amdhsa_float_round_mode_32 0
		.amdhsa_float_round_mode_16_64 0
		.amdhsa_float_denorm_mode_32 3
		.amdhsa_float_denorm_mode_16_64 3
		.amdhsa_dx10_clamp 1
		.amdhsa_ieee_mode 1
		.amdhsa_fp16_overflow 0
		.amdhsa_tg_split 0
		.amdhsa_exception_fp_ieee_invalid_op 0
		.amdhsa_exception_fp_denorm_src 0
		.amdhsa_exception_fp_ieee_div_zero 0
		.amdhsa_exception_fp_ieee_overflow 0
		.amdhsa_exception_fp_ieee_underflow 0
		.amdhsa_exception_fp_ieee_inexact 0
		.amdhsa_exception_int_div_zero 0
	.end_amdhsa_kernel
	.section	.text._ZN4vllm25paged_attention_v1_kernelIffLi32ELi8ELi128ELNS_18Fp8KVCacheDataTypeE0ELb0EEEvPT_PKS2_PKT0_S8_ifPKiSA_iPKfiiiSC_SC_iiiii,"axG",@progbits,_ZN4vllm25paged_attention_v1_kernelIffLi32ELi8ELi128ELNS_18Fp8KVCacheDataTypeE0ELb0EEEvPT_PKS2_PKT0_S8_ifPKiSA_iPKfiiiSC_SC_iiiii,comdat
.Lfunc_end9:
	.size	_ZN4vllm25paged_attention_v1_kernelIffLi32ELi8ELi128ELNS_18Fp8KVCacheDataTypeE0ELb0EEEvPT_PKS2_PKT0_S8_ifPKiSA_iPKfiiiSC_SC_iiiii, .Lfunc_end9-_ZN4vllm25paged_attention_v1_kernelIffLi32ELi8ELi128ELNS_18Fp8KVCacheDataTypeE0ELb0EEEvPT_PKS2_PKT0_S8_ifPKiSA_iPKfiiiSC_SC_iiiii
                                        ; -- End function
	.section	.AMDGPU.csdata,"",@progbits
; Kernel info:
; codeLenInByte = 3000
; NumSgprs: 40
; NumVgprs: 27
; NumAgprs: 0
; TotalNumVgprs: 27
; ScratchSize: 0
; MemoryBound: 0
; FloatMode: 240
; IeeeMode: 1
; LDSByteSize: 144 bytes/workgroup (compile time only)
; SGPRBlocks: 4
; VGPRBlocks: 3
; NumSGPRsForWavesPerEU: 40
; NumVGPRsForWavesPerEU: 27
; AccumOffset: 28
; Occupancy: 8
; WaveLimiterHint : 1
; COMPUTE_PGM_RSRC2:SCRATCH_EN: 0
; COMPUTE_PGM_RSRC2:USER_SGPR: 2
; COMPUTE_PGM_RSRC2:TRAP_HANDLER: 0
; COMPUTE_PGM_RSRC2:TGID_X_EN: 1
; COMPUTE_PGM_RSRC2:TGID_Y_EN: 1
; COMPUTE_PGM_RSRC2:TGID_Z_EN: 1
; COMPUTE_PGM_RSRC2:TIDIG_COMP_CNT: 0
; COMPUTE_PGM_RSRC3_GFX90A:ACCUM_OFFSET: 6
; COMPUTE_PGM_RSRC3_GFX90A:TG_SPLIT: 0
	.section	.text._ZN4vllm25paged_attention_v1_kernelIffLi64ELi8ELi128ELNS_18Fp8KVCacheDataTypeE0ELb0EEEvPT_PKS2_PKT0_S8_ifPKiSA_iPKfiiiSC_SC_iiiii,"axG",@progbits,_ZN4vllm25paged_attention_v1_kernelIffLi64ELi8ELi128ELNS_18Fp8KVCacheDataTypeE0ELb0EEEvPT_PKS2_PKT0_S8_ifPKiSA_iPKfiiiSC_SC_iiiii,comdat
	.protected	_ZN4vllm25paged_attention_v1_kernelIffLi64ELi8ELi128ELNS_18Fp8KVCacheDataTypeE0ELb0EEEvPT_PKS2_PKT0_S8_ifPKiSA_iPKfiiiSC_SC_iiiii ; -- Begin function _ZN4vllm25paged_attention_v1_kernelIffLi64ELi8ELi128ELNS_18Fp8KVCacheDataTypeE0ELb0EEEvPT_PKS2_PKT0_S8_ifPKiSA_iPKfiiiSC_SC_iiiii
	.globl	_ZN4vllm25paged_attention_v1_kernelIffLi64ELi8ELi128ELNS_18Fp8KVCacheDataTypeE0ELb0EEEvPT_PKS2_PKT0_S8_ifPKiSA_iPKfiiiSC_SC_iiiii
	.p2align	8
	.type	_ZN4vllm25paged_attention_v1_kernelIffLi64ELi8ELi128ELNS_18Fp8KVCacheDataTypeE0ELb0EEEvPT_PKS2_PKT0_S8_ifPKiSA_iPKfiiiSC_SC_iiiii,@function
_ZN4vllm25paged_attention_v1_kernelIffLi64ELi8ELi128ELNS_18Fp8KVCacheDataTypeE0ELb0EEEvPT_PKS2_PKT0_S8_ifPKiSA_iPKfiiiSC_SC_iiiii: ; @_ZN4vllm25paged_attention_v1_kernelIffLi64ELi8ELi128ELNS_18Fp8KVCacheDataTypeE0ELb0EEEvPT_PKS2_PKT0_S8_ifPKiSA_iPKfiiiSC_SC_iiiii
; %bb.0:
	s_load_dword s5, s[0:1], 0x80
	s_load_dwordx2 s[6:7], s[0:1], 0x30
	s_load_dwordx2 s[10:11], s[0:1], 0x20
	s_mov_b32 s16, s3
	s_ashr_i32 s17, s3, 31
	s_lshl_b64 s[8:9], s[16:17], 2
	s_waitcnt lgkmcnt(0)
	s_add_u32 s6, s6, s8
	s_addc_u32 s7, s7, s9
	s_abs_i32 s3, s10
	v_cvt_f32_u32_e32 v1, s3
	s_xor_b32 s8, s5, s10
	s_sub_i32 s10, 0, s3
	s_abs_i32 s9, s5
	v_rcp_iflag_f32_e32 v1, v1
	s_ashr_i32 s8, s8, 31
	v_mul_f32_e32 v1, 0x4f7ffffe, v1
	v_cvt_u32_f32_e32 v1, v1
	s_nop 0
	v_readfirstlane_b32 s12, v1
	s_mul_i32 s10, s10, s12
	s_mul_hi_u32 s10, s12, s10
	s_add_i32 s12, s12, s10
	s_mul_hi_u32 s10, s9, s12
	s_mul_i32 s12, s10, s3
	s_sub_i32 s9, s9, s12
	s_add_i32 s12, s10, 1
	s_sub_i32 s13, s9, s3
	s_cmp_ge_u32 s9, s3
	s_cselect_b32 s10, s12, s10
	s_cselect_b32 s9, s13, s9
	s_add_i32 s12, s10, 1
	s_cmp_ge_u32 s9, s3
	s_cselect_b32 s3, s12, s10
	s_xor_b32 s3, s3, s8
	s_sub_i32 s12, s3, s8
	s_abs_i32 s20, s12
	v_cvt_f32_u32_e32 v1, s20
	s_load_dwordx2 s[8:9], s[0:1], 0x40
	s_sub_i32 s3, 0, s20
	s_abs_i32 s21, s2
	v_rcp_iflag_f32_e32 v1, v1
	s_mov_b32 s10, 0
	v_mul_f32_e32 v1, 0x4f7ffffe, v1
	v_cvt_u32_f32_e32 v1, v1
	s_nop 0
	v_readfirstlane_b32 s13, v1
	s_mul_i32 s3, s3, s13
	s_mul_hi_u32 s3, s13, s3
	s_add_i32 s13, s13, s3
	s_waitcnt lgkmcnt(0)
	s_cmp_eq_u64 s[8:9], 0
	s_mul_hi_u32 s24, s21, s13
	s_cbranch_scc1 .LBB10_2
; %bb.1:
	s_ashr_i32 s3, s2, 31
	s_lshl_b64 s[14:15], s[2:3], 2
	s_add_u32 s8, s8, s14
	s_addc_u32 s9, s9, s15
	s_load_dword s10, s[8:9], 0x0
.LBB10_2:
	s_load_dword s17, s[6:7], 0x0
	s_ashr_i32 s7, s12, 31
	s_load_dwordx4 s[12:15], s[0:1], 0x48
	s_ashr_i32 s6, s2, 31
	v_and_b32_e32 v10, 7, v0
	s_lshl_b32 s18, s2, 6
	v_cmp_gt_u32_e64 s[8:9], 64, v0
	v_lshlrev_b32_e32 v16, 2, v0
	v_lshrrev_b32_e32 v1, 1, v0
	s_and_saveexec_b64 s[2:3], s[8:9]
	s_cbranch_execz .LBB10_4
; %bb.3:
	s_load_dwordx2 s[22:23], s[0:1], 0x8
	s_waitcnt lgkmcnt(0)
	s_mul_i32 s26, s16, s12
	s_ashr_i32 s27, s26, 31
	s_lshl_b64 s[26:27], s[26:27], 2
	v_and_b32_e32 v3, 0x1fc, v1
	s_add_u32 s12, s22, s26
	s_addc_u32 s15, s23, s27
	s_ashr_i32 s19, s18, 31
	s_lshl_b64 s[22:23], s[18:19], 2
	s_add_u32 s22, s12, s22
	s_addc_u32 s23, s15, s23
	global_load_dword v2, v16, s[22:23]
	v_lshl_add_u32 v3, v10, 5, v3
	s_waitcnt vmcnt(0)
	ds_write_b32 v3, v2
.LBB10_4:
	s_or_b64 exec, exec, s[2:3]
	s_waitcnt lgkmcnt(0)
	s_add_i32 s3, s17, 7
	s_ashr_i32 s12, s3, 31
	s_lshr_b32 s12, s12, 29
	s_add_i32 s3, s3, s12
	s_ashr_i32 s19, s3, 3
	s_xor_b32 s3, s6, s7
	s_mul_i32 s6, s24, s20
	s_sub_i32 s6, s21, s6
	s_add_i32 s7, s24, 1
	s_sub_i32 s12, s6, s20
	s_load_dwordx2 s[22:23], s[0:1], 0x28
	s_load_dword s2, s[0:1], 0x38
	s_cmp_ge_u32 s6, s20
	s_cselect_b32 s7, s7, s24
	s_cselect_b32 s6, s12, s6
	s_add_i32 s12, s7, 1
	s_cmp_ge_u32 s6, s20
	s_cselect_b32 s6, s12, s7
	v_lshrrev_b32_e32 v20, 6, v0
	s_xor_b32 s6, s6, s3
	s_waitcnt lgkmcnt(0)
	s_mul_i32 s24, s16, s2
	s_sub_i32 s15, s6, s3
	s_ashr_i32 s25, s24, 31
	v_cmp_gt_i32_e64 s[2:3], s19, v20
	v_cmp_le_i32_e32 vcc, s19, v20
	v_mbcnt_lo_u32_b32 v11, -1, 0
	s_barrier
	s_waitcnt lgkmcnt(0)
                                        ; implicit-def: $sgpr30
                                        ; implicit-def: $vgpr14
                                        ; implicit-def: $vgpr15
	s_and_saveexec_b64 s[6:7], vcc
	s_xor_b64 s[6:7], exec, s[6:7]
; %bb.5:
	v_mbcnt_hi_u32_b32 v14, -1, v11
	v_and_b32_e32 v2, 64, v14
	v_add_u32_e32 v15, 64, v2
	s_mov_b32 s30, 0xff7fffff
                                        ; implicit-def: $vgpr10
                                        ; implicit-def: $vgpr11
; %bb.6:
	s_or_saveexec_b64 s[28:29], s[6:7]
	s_load_dwordx2 s[20:21], s[0:1], 0x0
	s_load_dwordx2 s[26:27], s[0:1], 0x18
	s_load_dword s12, s[0:1], 0x88
	v_mov_b32_e32 v17, s30
	s_mul_i32 s14, s15, s14
	v_lshrrev_b32_e32 v18, 4, v0
	s_xor_b64 exec, exec, s[28:29]
	s_cbranch_execz .LBB10_12
; %bb.7:
	v_mbcnt_hi_u32_b32 v14, -1, v11
	v_and_b32_e32 v11, 64, v14
	s_load_dwordx2 s[0:1], s[0:1], 0x10
	v_add_u32_e32 v15, 64, v11
	v_xor_b32_e32 v11, 4, v14
	v_cmp_lt_i32_e32 vcc, v11, v15
	s_ashr_i32 s15, s14, 31
	s_lshl_b64 s[6:7], s[14:15], 2
	v_cndmask_b32_e32 v11, v14, v11, vcc
	v_lshlrev_b32_e32 v19, 2, v11
	v_xor_b32_e32 v11, 2, v14
	v_cmp_lt_i32_e32 vcc, v11, v15
	v_bfe_u32 v17, v0, 3, 3
	s_waitcnt lgkmcnt(0)
	s_add_u32 s0, s0, s6
	v_cndmask_b32_e32 v11, v14, v11, vcc
	s_addc_u32 s1, s1, s7
	v_lshlrev_b32_e32 v12, 4, v17
	v_mov_b32_e32 v13, 0
	v_and_b32_e32 v4, 3, v0
	v_lshlrev_b32_e32 v21, 2, v11
	v_xor_b32_e32 v11, 1, v14
	v_lshl_add_u64 v[2:3], s[0:1], 0, v[12:13]
	v_lshlrev_b32_e32 v12, 2, v4
	v_lshlrev_b32_e32 v6, 5, v10
	v_cmp_lt_i32_e32 vcc, v11, v15
	v_lshl_add_u64 v[24:25], v[2:3], 0, v[12:13]
	ds_read_b128 v[2:5], v6
	ds_read_b128 v[6:9], v6 offset:16
	v_cndmask_b32_e32 v11, v14, v11, vcc
	v_cmp_eq_u32_e32 vcc, 0, v10
	v_lshlrev_b32_e32 v10, 5, v0
	v_lshlrev_b32_e32 v26, 2, v17
	v_and_b32_e32 v12, 0x80, v10
	s_sub_i32 s15, 1, s17
	s_lshl_b64 s[6:7], s[24:25], 2
	v_lshlrev_b32_e32 v22, 2, v11
	v_lshl_add_u64 v[10:11], v[24:25], 0, v[12:13]
	v_lshl_or_b32 v12, v20, 5, v26
	s_add_u32 s6, s22, s6
	v_add_u32_e32 v24, 0x110, v12
	v_and_b32_e32 v12, 60, v18
	s_addc_u32 s7, s23, s7
	s_mov_b32 s33, s13
	v_cmp_neq_f32_e64 s[0:1], s10, 0
	v_lshl_or_b32 v23, v20, 3, v17
	v_lshl_add_u64 v[12:13], s[6:7], 0, v[12:13]
	s_mov_b64 s[30:31], 0
	v_mov_b32_e32 v17, 0xff7fffff
	v_mov_b32_e32 v25, v20
	s_branch .LBB10_9
.LBB10_8:                               ;   in Loop: Header=BB10_9 Depth=1
	s_or_b64 exec, exec, s[34:35]
	v_add_u32_e32 v25, 2, v25
	v_cmp_le_i32_e64 s[6:7], s19, v25
	v_add_u32_e32 v23, 16, v23
	v_add_u32_e32 v24, 64, v24
	s_or_b64 s[30:31], s[6:7], s[30:31]
	v_lshl_add_u64 v[12:13], v[12:13], 0, 8
	s_andn2_b64 exec, exec, s[30:31]
	s_cbranch_execz .LBB10_11
.LBB10_9:                               ; =>This Inner Loop Header: Depth=1
	global_load_dword v26, v[12:13], off
	s_waitcnt vmcnt(0) lgkmcnt(0)
	v_mad_i64_i32 v[26:27], s[6:7], v26, s33, 0
	v_lshl_add_u64 v[26:27], v[26:27], 2, v[10:11]
	global_load_dword v28, v[26:27], off offset:256
	global_load_dword v29, v[26:27], off
	global_load_dword v30, v[26:27], off offset:512
	global_load_dword v31, v[26:27], off offset:768
	;; [unrolled: 1-line block ×6, first 2 shown]
	s_waitcnt vmcnt(7) lgkmcnt(1)
	v_mul_f32_e32 v26, v3, v28
	s_waitcnt vmcnt(6)
	v_fmac_f32_e32 v26, v2, v29
	s_waitcnt vmcnt(5)
	v_fmac_f32_e32 v26, v4, v30
	;; [unrolled: 2-line block ×3, first 2 shown]
	s_waitcnt vmcnt(3) lgkmcnt(0)
	v_fmac_f32_e32 v26, v6, v32
	s_waitcnt vmcnt(2)
	v_fmac_f32_e32 v26, v7, v33
	s_waitcnt vmcnt(1)
	;; [unrolled: 2-line block ×3, first 2 shown]
	v_fmac_f32_e32 v26, v9, v35
	ds_bpermute_b32 v27, v19, v26
	s_waitcnt lgkmcnt(0)
	v_add_f32_e32 v26, v26, v27
	ds_bpermute_b32 v27, v21, v26
	s_waitcnt lgkmcnt(0)
	v_add_f32_e32 v26, v26, v27
	ds_bpermute_b32 v27, v22, v26
	s_and_saveexec_b64 s[34:35], vcc
	s_cbranch_execz .LBB10_8
; %bb.10:                               ;   in Loop: Header=BB10_9 Depth=1
	v_add_u32_e32 v28, s15, v23
	v_cvt_f32_i32_e32 v28, v28
	s_waitcnt lgkmcnt(0)
	v_add_f32_e32 v26, v26, v27
	v_cmp_gt_i32_e64 s[6:7], s17, v23
	v_max_f32_e32 v27, v17, v17
	v_mul_f32_e32 v28, s10, v28
	v_cndmask_b32_e64 v28, 0, v28, s[0:1]
	v_fmac_f32_e32 v28, s11, v26
	v_cndmask_b32_e64 v26, 0, v28, s[6:7]
	ds_write_b32 v24, v26
	v_max_f32_e32 v26, v27, v28
	v_cndmask_b32_e64 v17, v17, v26, s[6:7]
	s_branch .LBB10_8
.LBB10_11:
	s_or_b64 exec, exec, s[30:31]
.LBB10_12:
	s_or_b64 exec, exec, s[28:29]
	v_xor_b32_e32 v2, 32, v14
	v_cmp_lt_i32_e32 vcc, v2, v15
	v_xor_b32_e32 v5, 16, v14
	v_max_f32_e32 v4, v17, v17
	v_cndmask_b32_e32 v2, v14, v2, vcc
	v_lshlrev_b32_e32 v3, 2, v2
	ds_bpermute_b32 v2, v3, v17
	v_cmp_lt_i32_e32 vcc, v5, v15
	v_xor_b32_e32 v6, 8, v14
	v_and_b32_e32 v21, 63, v0
	s_waitcnt lgkmcnt(0)
	v_max_f32_e32 v2, v2, v2
	v_max_f32_e32 v2, v4, v2
	v_cndmask_b32_e32 v4, v14, v5, vcc
	v_lshlrev_b32_e32 v5, 2, v4
	ds_bpermute_b32 v4, v5, v2
	v_cmp_lt_i32_e32 vcc, v6, v15
	s_waitcnt lgkmcnt(0)
	v_max_f32_e32 v4, v4, v4
	v_max_f32_e32 v4, v2, v4
	v_cndmask_b32_e32 v2, v14, v6, vcc
	v_lshlrev_b32_e32 v6, 2, v2
	ds_bpermute_b32 v7, v6, v4
	v_cmp_eq_u32_e32 vcc, 0, v21
	v_lshlrev_b32_e32 v2, 2, v20
	s_and_saveexec_b64 s[0:1], vcc
	s_cbranch_execz .LBB10_14
; %bb.13:
	s_waitcnt lgkmcnt(0)
	v_max_f32_e32 v7, v7, v7
	v_max_f32_e32 v4, v4, v4
	;; [unrolled: 1-line block ×3, first 2 shown]
	ds_write_b32 v2, v4 offset:256
.LBB10_14:
	s_or_b64 exec, exec, s[0:1]
	v_cmp_gt_u32_e64 s[0:1], 2, v21
	s_waitcnt lgkmcnt(0)
	v_mov_b32_e32 v7, 0xff7fffff
	v_lshlrev_b32_e32 v4, 2, v21
	s_barrier
	s_and_saveexec_b64 s[6:7], s[0:1]
	s_cbranch_execz .LBB10_16
; %bb.15:
	ds_read_b32 v7, v4 offset:256
.LBB10_16:
	s_or_b64 exec, exec, s[6:7]
	v_xor_b32_e32 v8, 1, v14
	v_cmp_lt_i32_e64 s[6:7], v8, v15
	v_lshlrev_b32_e32 v9, 2, v14
	s_nop 0
	v_cndmask_b32_e64 v8, v14, v8, s[6:7]
	v_lshlrev_b32_e32 v22, 2, v8
	s_waitcnt lgkmcnt(0)
	ds_bpermute_b32 v8, v22, v7
	v_max_f32_e32 v7, v7, v7
	s_lshl_b32 s6, s19, 3
	s_min_i32 s15, s6, s17
	v_cmp_gt_i32_e64 s[6:7], s15, v0
	s_waitcnt lgkmcnt(0)
	v_max_f32_e32 v8, v8, v8
	v_max_f32_e32 v8, v7, v8
	v_and_b32_e32 v7, 0xffffff00, v9
	ds_bpermute_b32 v9, v7, v8
	v_mov_b32_e32 v8, 0
	s_and_saveexec_b64 s[28:29], s[6:7]
	s_cbranch_execz .LBB10_20
; %bb.17:
	v_mov_b32_e32 v8, 0x110
	v_lshl_add_u32 v10, v0, 2, v8
	s_mov_b64 s[30:31], 0
	v_mov_b32_e32 v8, 0
	v_mov_b32_e32 v11, v0
.LBB10_18:                              ; =>This Inner Loop Header: Depth=1
	ds_read_b32 v12, v10
	v_add_u32_e32 v11, 0x80, v11
	v_cmp_le_i32_e64 s[10:11], s15, v11
	s_or_b64 s[30:31], s[10:11], s[30:31]
	s_waitcnt lgkmcnt(0)
	v_sub_f32_e32 v12, v12, v9
	v_mul_f32_e32 v12, 0x3fb8aa3b, v12
	v_exp_f32_e32 v12, v12
	ds_write_b32 v10, v12
	v_add_f32_e32 v8, v8, v12
	v_add_u32_e32 v10, 0x200, v10
	s_andn2_b64 exec, exec, s[30:31]
	s_cbranch_execnz .LBB10_18
; %bb.19:
	s_or_b64 exec, exec, s[30:31]
.LBB10_20:
	s_or_b64 exec, exec, s[28:29]
	ds_bpermute_b32 v3, v3, v8
	s_waitcnt lgkmcnt(0)
	v_add_f32_e32 v3, v8, v3
	ds_bpermute_b32 v5, v5, v3
	s_waitcnt lgkmcnt(0)
	v_add_f32_e32 v3, v3, v5
	ds_bpermute_b32 v5, v6, v3
	v_xor_b32_e32 v6, 4, v14
	v_cmp_lt_i32_e64 s[10:11], v6, v15
	s_waitcnt lgkmcnt(0)
	v_add_f32_e32 v3, v3, v5
	v_cndmask_b32_e64 v6, v14, v6, s[10:11]
	v_lshlrev_b32_e32 v6, 2, v6
	ds_bpermute_b32 v5, v6, v3
	v_xor_b32_e32 v6, 2, v14
	v_cmp_lt_i32_e64 s[10:11], v6, v15
	s_waitcnt lgkmcnt(0)
	v_add_f32_e32 v3, v3, v5
	v_cndmask_b32_e64 v6, v14, v6, s[10:11]
	v_lshlrev_b32_e32 v5, 2, v6
	ds_bpermute_b32 v5, v5, v3
	s_waitcnt lgkmcnt(0)
	v_add_f32_e32 v3, v3, v5
	ds_bpermute_b32 v5, v22, v3
	s_waitcnt lgkmcnt(0)
	v_add_f32_e32 v3, v3, v5
	s_and_saveexec_b64 s[10:11], vcc
	s_cbranch_execz .LBB10_22
; %bb.21:
	ds_write_b32 v2, v3 offset:264
.LBB10_22:
	s_or_b64 exec, exec, s[10:11]
	s_waitcnt lgkmcnt(0)
	s_barrier
	s_and_saveexec_b64 s[10:11], s[0:1]
	s_cbranch_execz .LBB10_24
; %bb.23:
	ds_read_b32 v3, v4 offset:264
.LBB10_24:
	s_or_b64 exec, exec, s[10:11]
	s_waitcnt lgkmcnt(0)
	ds_bpermute_b32 v2, v22, v3
	s_waitcnt lgkmcnt(0)
	v_add_f32_e32 v2, v3, v2
	ds_bpermute_b32 v2, v7, v2
	s_and_saveexec_b64 s[0:1], s[6:7]
	s_cbranch_execz .LBB10_37
; %bb.25:
	s_waitcnt lgkmcnt(0)
	v_add_f32_e32 v2, 0x358637bd, v2
	v_div_scale_f32 v3, s[6:7], v2, v2, 1.0
	v_rcp_f32_e32 v4, v3
	v_div_scale_f32 v5, vcc, 1.0, v2, 1.0
	s_movk_i32 s6, 0x7f
	v_fma_f32 v6, -v3, v4, 1.0
	v_fmac_f32_e32 v4, v6, v4
	v_mul_f32_e32 v6, v5, v4
	v_fma_f32 v7, -v3, v6, v5
	v_fmac_f32_e32 v6, v7, v4
	v_fma_f32 v3, -v3, v6, v5
	v_div_fmas_f32 v3, v3, v4, v6
	v_xad_u32 v4, v0, -1, s15
	v_div_fixup_f32 v2, v3, v2, 1.0
	v_cmp_lt_u32_e32 vcc, s6, v4
	s_mov_b64 s[10:11], -1
	v_mov_b32_e32 v3, v0
	s_and_saveexec_b64 s[6:7], vcc
	s_cbranch_execz .LBB10_34
; %bb.26:
	v_lshrrev_b32_e32 v4, 7, v4
	v_add_u32_e32 v6, -1, v4
	v_lshrrev_b32_e32 v5, 1, v6
	v_mov_b32_e32 v3, v2
	v_add_u32_e32 v5, 1, v5
	v_cmp_lt_u32_e32 vcc, 13, v6
	v_mov_b32_e32 v8, 0
	s_and_saveexec_b64 s[10:11], vcc
	s_cbranch_execz .LBB10_30
; %bb.27:
	v_mov_b32_e32 v7, 0x110
	v_and_b32_e32 v6, -8, v5
	v_lshl_add_u32 v7, v0, 2, v7
	s_mov_b32 s30, 0
	s_mov_b64 s[28:29], 0
.LBB10_28:                              ; =>This Inner Loop Header: Depth=1
	ds_read2st64_b32 v[8:9], v7 offset1:2
	ds_read2st64_b32 v[10:11], v7 offset0:4 offset1:6
	ds_read2st64_b32 v[12:13], v7 offset0:8 offset1:10
	;; [unrolled: 1-line block ×3, first 2 shown]
	v_add_u32_e32 v6, -8, v6
	s_waitcnt lgkmcnt(3)
	v_pk_mul_f32 v[8:9], v[2:3], v[8:9]
	s_waitcnt lgkmcnt(2)
	v_pk_mul_f32 v[10:11], v[2:3], v[10:11]
	ds_write2st64_b32 v7, v8, v9 offset1:2
	ds_write2st64_b32 v7, v10, v11 offset0:4 offset1:6
	ds_read2st64_b32 v[10:11], v7 offset0:16 offset1:18
	s_waitcnt lgkmcnt(4)
	v_pk_mul_f32 v[8:9], v[2:3], v[12:13]
	ds_write2st64_b32 v7, v8, v9 offset0:8 offset1:10
	s_waitcnt lgkmcnt(4)
	v_pk_mul_f32 v[8:9], v[2:3], v[14:15]
	ds_write2st64_b32 v7, v8, v9 offset0:12 offset1:14
	ds_read2st64_b32 v[8:9], v7 offset0:20 offset1:22
	s_waitcnt lgkmcnt(3)
	v_pk_mul_f32 v[10:11], v[2:3], v[10:11]
	ds_read2st64_b32 v[12:13], v7 offset0:24 offset1:26
	ds_write2st64_b32 v7, v10, v11 offset0:16 offset1:18
	ds_read2st64_b32 v[10:11], v7 offset0:28 offset1:30
	s_waitcnt lgkmcnt(3)
	v_pk_mul_f32 v[8:9], v[2:3], v[8:9]
	ds_write2st64_b32 v7, v8, v9 offset0:20 offset1:22
	s_waitcnt lgkmcnt(3)
	v_pk_mul_f32 v[8:9], v[2:3], v[12:13]
	ds_write2st64_b32 v7, v8, v9 offset0:24 offset1:26
	s_waitcnt lgkmcnt(2)
	v_pk_mul_f32 v[8:9], v[2:3], v[10:11]
	s_add_i32 s30, s30, 16
	v_cmp_eq_u32_e32 vcc, 0, v6
	ds_write2st64_b32 v7, v8, v9 offset0:28 offset1:30
	v_add_u32_e32 v7, 0x2000, v7
	s_or_b64 s[28:29], vcc, s[28:29]
	v_mov_b32_e32 v8, s30
	s_andn2_b64 exec, exec, s[28:29]
	s_cbranch_execnz .LBB10_28
; %bb.29:
	s_or_b64 exec, exec, s[28:29]
.LBB10_30:
	s_or_b64 exec, exec, s[10:11]
	v_and_b32_e32 v5, 7, v5
	v_cmp_ne_u32_e32 vcc, 0, v5
	s_and_saveexec_b64 s[10:11], vcc
	s_cbranch_execz .LBB10_33
; %bb.31:
	v_lshlrev_b32_e32 v6, 9, v8
	s_movk_i32 s28, 0x110
	v_add3_u32 v6, v6, v16, s28
	s_mov_b64 s[28:29], 0
.LBB10_32:                              ; =>This Inner Loop Header: Depth=1
	ds_read2st64_b32 v[8:9], v6 offset1:2
	v_add_u32_e32 v5, -1, v5
	v_cmp_eq_u32_e32 vcc, 0, v5
	s_or_b64 s[28:29], vcc, s[28:29]
	s_waitcnt lgkmcnt(0)
	v_pk_mul_f32 v[8:9], v[2:3], v[8:9]
	ds_write2st64_b32 v6, v8, v9 offset1:2
	v_add_u32_e32 v6, 0x400, v6
	s_andn2_b64 exec, exec, s[28:29]
	s_cbranch_execnz .LBB10_32
.LBB10_33:
	s_or_b64 exec, exec, s[10:11]
	v_add_u32_e32 v4, 1, v4
	v_and_b32_e32 v5, 0x3fffffe, v4
	v_cmp_ne_u32_e32 vcc, v4, v5
	v_lshl_add_u32 v3, v5, 7, v0
	s_orn2_b64 s[10:11], vcc, exec
.LBB10_34:
	s_or_b64 exec, exec, s[6:7]
	s_and_b64 exec, exec, s[10:11]
	s_cbranch_execz .LBB10_37
; %bb.35:
	v_mov_b32_e32 v4, 0x110
	v_lshl_add_u32 v4, v3, 2, v4
	s_mov_b64 s[6:7], 0
.LBB10_36:                              ; =>This Inner Loop Header: Depth=1
	ds_read_b32 v5, v4
	v_add_u32_e32 v3, 0x80, v3
	v_cmp_le_i32_e32 vcc, s15, v3
	s_or_b64 s[6:7], vcc, s[6:7]
	s_waitcnt lgkmcnt(0)
	v_mul_f32_e32 v5, v2, v5
	ds_write_b32 v4, v5
	v_add_u32_e32 v4, 0x200, v4
	s_andn2_b64 exec, exec, s[6:7]
	s_cbranch_execnz .LBB10_36
.LBB10_37:
	s_or_b64 exec, exec, s[0:1]
	v_mov_b32_e32 v15, 0
	v_and_b32_e32 v23, 1, v0
	v_mov_b32_e32 v14, 0
	s_waitcnt lgkmcnt(0)
	s_barrier
	s_and_saveexec_b64 s[6:7], s[2:3]
	s_cbranch_execz .LBB10_45
; %bb.38:
	s_ashr_i32 s15, s14, 31
	s_lshl_b64 s[0:1], s[14:15], 2
	s_add_u32 s0, s26, s0
	v_lshlrev_b32_e32 v3, 4, v0
	s_addc_u32 s1, s27, s1
	v_and_b32_e32 v14, 0x3f0, v3
	v_mov_b32_e32 v15, 0
	v_and_b32_e32 v2, 4, v16
	s_add_i32 s14, s19, -1
	v_lshl_add_u64 v[16:17], s[0:1], 0, v[14:15]
	v_lshlrev_b32_e32 v3, 3, v20
	s_lshl_b64 s[0:1], s[24:25], 2
	v_or3_b32 v24, v3, v2, 3
	v_lshlrev_b32_e32 v2, 4, v23
	s_add_u32 s0, s22, s0
	v_lshl_or_b32 v2, v20, 5, v2
	v_and_b32_e32 v14, 60, v18
	s_addc_u32 s1, s23, s1
	v_add_u32_e32 v25, 0x110, v2
	v_lshl_add_u64 v[18:19], s[0:1], 0, v[14:15]
	s_mov_b64 s[2:3], 0
	v_mov_b32_e32 v14, v15
	s_branch .LBB10_40
.LBB10_39:                              ;   in Loop: Header=BB10_40 Depth=1
	s_or_b64 exec, exec, s[0:1]
	s_waitcnt vmcnt(1) lgkmcnt(0)
	v_mul_f32_e32 v7, v3, v7
	s_waitcnt vmcnt(0)
	v_mul_f32_e32 v3, v3, v11
	v_fmac_f32_e32 v7, v2, v6
	v_fmac_f32_e32 v3, v2, v10
	;; [unrolled: 1-line block ×4, first 2 shown]
	v_add_u32_e32 v20, 2, v20
	v_fmac_f32_e32 v7, v5, v9
	v_fmac_f32_e32 v3, v5, v13
	v_cmp_le_i32_e32 vcc, s19, v20
	v_add_f32_e32 v14, v14, v7
	v_add_f32_e32 v15, v15, v3
	v_add_u32_e32 v24, 16, v24
	v_add_u32_e32 v25, 64, v25
	s_or_b64 s[2:3], vcc, s[2:3]
	v_lshl_add_u64 v[18:19], v[18:19], 0, 8
	s_andn2_b64 exec, exec, s[2:3]
	s_cbranch_execz .LBB10_44
.LBB10_40:                              ; =>This Inner Loop Header: Depth=1
	global_load_dword v2, v[18:19], off
	v_add_u32_e32 v26, -3, v24
	v_cmp_eq_u32_e32 vcc, s14, v20
	v_add_u32_e32 v28, -2, v24
	v_add_u32_e32 v27, -1, v24
	s_waitcnt vmcnt(0)
	v_mad_i64_i32 v[2:3], s[0:1], v2, s13, 0
	v_lshl_add_u64 v[10:11], v[2:3], 2, v[16:17]
	global_load_dwordx4 v[6:9], v[10:11], off
	ds_read_b128 v[2:5], v25
	s_and_saveexec_b64 s[10:11], vcc
	s_cbranch_execz .LBB10_42
; %bb.41:                               ;   in Loop: Header=BB10_40 Depth=1
	v_cmp_gt_i32_e64 s[0:1], s17, v26
	s_waitcnt vmcnt(0)
	s_nop 0
	v_cndmask_b32_e64 v6, 0, v6, s[0:1]
	v_cmp_gt_i32_e64 s[0:1], s17, v28
	s_nop 1
	v_cndmask_b32_e64 v7, 0, v7, s[0:1]
	v_cmp_gt_i32_e64 s[0:1], s17, v27
	;; [unrolled: 3-line block ×3, first 2 shown]
	s_nop 1
	v_cndmask_b32_e64 v9, 0, v9, s[0:1]
.LBB10_42:                              ;   in Loop: Header=BB10_40 Depth=1
	s_or_b64 exec, exec, s[10:11]
	global_load_dwordx4 v[10:13], v[10:11], off offset:1024
	s_and_saveexec_b64 s[0:1], vcc
	s_cbranch_execz .LBB10_39
; %bb.43:                               ;   in Loop: Header=BB10_40 Depth=1
	v_cmp_gt_i32_e32 vcc, s17, v26
	s_waitcnt vmcnt(0)
	s_nop 0
	v_cndmask_b32_e32 v10, 0, v10, vcc
	v_cmp_gt_i32_e32 vcc, s17, v28
	s_nop 1
	v_cndmask_b32_e32 v11, 0, v11, vcc
	v_cmp_gt_i32_e32 vcc, s17, v27
	;; [unrolled: 3-line block ×3, first 2 shown]
	s_nop 1
	v_cndmask_b32_e32 v13, 0, v13, vcc
	s_branch .LBB10_39
.LBB10_44:
	s_or_b64 exec, exec, s[2:3]
.LBB10_45:
	s_or_b64 exec, exec, s[6:7]
	ds_bpermute_b32 v2, v22, v14
	ds_bpermute_b32 v3, v22, v15
	v_and_b32_e32 v4, 0x3c1, v0
	v_cmp_eq_u32_e32 vcc, 64, v4
	s_waitcnt lgkmcnt(0)
	s_barrier
	v_pk_add_f32 v[2:3], v[14:15], v[2:3]
	s_and_saveexec_b64 s[0:1], vcc
	s_cbranch_execz .LBB10_47
; %bb.46:
	v_mov_b32_e32 v5, 0x110
	v_lshl_add_u32 v5, v21, 1, v5
	ds_write2_b32 v5, v2, v3 offset1:32
.LBB10_47:
	s_or_b64 exec, exec, s[0:1]
	s_waitcnt lgkmcnt(0)
	s_barrier
	s_and_saveexec_b64 s[0:1], s[8:9]
	s_cbranch_execz .LBB10_53
; %bb.48:
	v_cmp_eq_u32_e32 vcc, 0, v23
	s_and_saveexec_b64 s[2:3], vcc
	s_cbranch_execz .LBB10_50
; %bb.49:
	v_mov_b32_e32 v5, 0x110
	v_lshl_add_u32 v5, v1, 2, v5
	ds_read_b32 v5, v5
	s_waitcnt lgkmcnt(0)
	v_add_f32_e32 v2, v2, v5
.LBB10_50:
	s_or_b64 exec, exec, s[2:3]
	s_and_saveexec_b64 s[2:3], vcc
	s_cbranch_execz .LBB10_52
; %bb.51:
	v_mov_b32_e32 v5, 0x110
	v_lshl_add_u32 v1, v1, 2, v5
	ds_read_b32 v1, v1 offset:128
	s_waitcnt lgkmcnt(0)
	v_add_f32_e32 v3, v3, v1
.LBB10_52:
	s_or_b64 exec, exec, s[2:3]
.LBB10_53:
	s_or_b64 exec, exec, s[0:1]
	v_cmp_eq_u32_e32 vcc, 0, v4
	s_barrier
	s_and_saveexec_b64 s[0:1], vcc
	s_cbranch_execz .LBB10_55
; %bb.54:
	s_mul_i32 s0, s16, s12
	s_mul_i32 s0, s0, s5
	s_lshl_b32 s0, s0, 6
	s_ashr_i32 s1, s0, 31
	s_lshl_b64 s[0:1], s[0:1], 2
	s_add_u32 s2, s20, s0
	s_mul_i32 s0, s12, s18
	s_addc_u32 s3, s21, s1
	s_ashr_i32 s1, s0, 31
	s_lshl_b64 s[0:1], s[0:1], 2
	s_add_u32 s2, s2, s0
	s_addc_u32 s3, s3, s1
	s_lshl_b32 s0, s4, 6
	s_ashr_i32 s1, s0, 31
	s_lshl_b64 s[0:1], s[0:1], 2
	s_add_u32 s0, s2, s0
	s_addc_u32 s1, s3, s1
	v_lshlrev_b32_e32 v0, 1, v0
	global_store_dword v0, v2, s[0:1]
	global_store_dword v0, v3, s[0:1] offset:128
.LBB10_55:
	s_endpgm
	.section	.rodata,"a",@progbits
	.p2align	6, 0x0
	.amdhsa_kernel _ZN4vllm25paged_attention_v1_kernelIffLi64ELi8ELi128ELNS_18Fp8KVCacheDataTypeE0ELb0EEEvPT_PKS2_PKT0_S8_ifPKiSA_iPKfiiiSC_SC_iiiii
		.amdhsa_group_segment_fixed_size 272
		.amdhsa_private_segment_fixed_size 0
		.amdhsa_kernarg_size 384
		.amdhsa_user_sgpr_count 2
		.amdhsa_user_sgpr_dispatch_ptr 0
		.amdhsa_user_sgpr_queue_ptr 0
		.amdhsa_user_sgpr_kernarg_segment_ptr 1
		.amdhsa_user_sgpr_dispatch_id 0
		.amdhsa_user_sgpr_kernarg_preload_length 0
		.amdhsa_user_sgpr_kernarg_preload_offset 0
		.amdhsa_user_sgpr_private_segment_size 0
		.amdhsa_uses_dynamic_stack 0
		.amdhsa_enable_private_segment 0
		.amdhsa_system_sgpr_workgroup_id_x 1
		.amdhsa_system_sgpr_workgroup_id_y 1
		.amdhsa_system_sgpr_workgroup_id_z 1
		.amdhsa_system_sgpr_workgroup_info 0
		.amdhsa_system_vgpr_workitem_id 0
		.amdhsa_next_free_vgpr 36
		.amdhsa_next_free_sgpr 36
		.amdhsa_accum_offset 36
		.amdhsa_reserve_vcc 1
		.amdhsa_float_round_mode_32 0
		.amdhsa_float_round_mode_16_64 0
		.amdhsa_float_denorm_mode_32 3
		.amdhsa_float_denorm_mode_16_64 3
		.amdhsa_dx10_clamp 1
		.amdhsa_ieee_mode 1
		.amdhsa_fp16_overflow 0
		.amdhsa_tg_split 0
		.amdhsa_exception_fp_ieee_invalid_op 0
		.amdhsa_exception_fp_denorm_src 0
		.amdhsa_exception_fp_ieee_div_zero 0
		.amdhsa_exception_fp_ieee_overflow 0
		.amdhsa_exception_fp_ieee_underflow 0
		.amdhsa_exception_fp_ieee_inexact 0
		.amdhsa_exception_int_div_zero 0
	.end_amdhsa_kernel
	.section	.text._ZN4vllm25paged_attention_v1_kernelIffLi64ELi8ELi128ELNS_18Fp8KVCacheDataTypeE0ELb0EEEvPT_PKS2_PKT0_S8_ifPKiSA_iPKfiiiSC_SC_iiiii,"axG",@progbits,_ZN4vllm25paged_attention_v1_kernelIffLi64ELi8ELi128ELNS_18Fp8KVCacheDataTypeE0ELb0EEEvPT_PKS2_PKT0_S8_ifPKiSA_iPKfiiiSC_SC_iiiii,comdat
.Lfunc_end10:
	.size	_ZN4vllm25paged_attention_v1_kernelIffLi64ELi8ELi128ELNS_18Fp8KVCacheDataTypeE0ELb0EEEvPT_PKS2_PKT0_S8_ifPKiSA_iPKfiiiSC_SC_iiiii, .Lfunc_end10-_ZN4vllm25paged_attention_v1_kernelIffLi64ELi8ELi128ELNS_18Fp8KVCacheDataTypeE0ELb0EEEvPT_PKS2_PKT0_S8_ifPKiSA_iPKfiiiSC_SC_iiiii
                                        ; -- End function
	.section	.AMDGPU.csdata,"",@progbits
; Kernel info:
; codeLenInByte = 3292
; NumSgprs: 42
; NumVgprs: 36
; NumAgprs: 0
; TotalNumVgprs: 36
; ScratchSize: 0
; MemoryBound: 0
; FloatMode: 240
; IeeeMode: 1
; LDSByteSize: 272 bytes/workgroup (compile time only)
; SGPRBlocks: 5
; VGPRBlocks: 4
; NumSGPRsForWavesPerEU: 42
; NumVGPRsForWavesPerEU: 36
; AccumOffset: 36
; Occupancy: 8
; WaveLimiterHint : 1
; COMPUTE_PGM_RSRC2:SCRATCH_EN: 0
; COMPUTE_PGM_RSRC2:USER_SGPR: 2
; COMPUTE_PGM_RSRC2:TRAP_HANDLER: 0
; COMPUTE_PGM_RSRC2:TGID_X_EN: 1
; COMPUTE_PGM_RSRC2:TGID_Y_EN: 1
; COMPUTE_PGM_RSRC2:TGID_Z_EN: 1
; COMPUTE_PGM_RSRC2:TIDIG_COMP_CNT: 0
; COMPUTE_PGM_RSRC3_GFX90A:ACCUM_OFFSET: 8
; COMPUTE_PGM_RSRC3_GFX90A:TG_SPLIT: 0
	.section	.text._ZN4vllm25paged_attention_v1_kernelIffLi80ELi8ELi128ELNS_18Fp8KVCacheDataTypeE0ELb0EEEvPT_PKS2_PKT0_S8_ifPKiSA_iPKfiiiSC_SC_iiiii,"axG",@progbits,_ZN4vllm25paged_attention_v1_kernelIffLi80ELi8ELi128ELNS_18Fp8KVCacheDataTypeE0ELb0EEEvPT_PKS2_PKT0_S8_ifPKiSA_iPKfiiiSC_SC_iiiii,comdat
	.protected	_ZN4vllm25paged_attention_v1_kernelIffLi80ELi8ELi128ELNS_18Fp8KVCacheDataTypeE0ELb0EEEvPT_PKS2_PKT0_S8_ifPKiSA_iPKfiiiSC_SC_iiiii ; -- Begin function _ZN4vllm25paged_attention_v1_kernelIffLi80ELi8ELi128ELNS_18Fp8KVCacheDataTypeE0ELb0EEEvPT_PKS2_PKT0_S8_ifPKiSA_iPKfiiiSC_SC_iiiii
	.globl	_ZN4vllm25paged_attention_v1_kernelIffLi80ELi8ELi128ELNS_18Fp8KVCacheDataTypeE0ELb0EEEvPT_PKS2_PKT0_S8_ifPKiSA_iPKfiiiSC_SC_iiiii
	.p2align	8
	.type	_ZN4vllm25paged_attention_v1_kernelIffLi80ELi8ELi128ELNS_18Fp8KVCacheDataTypeE0ELb0EEEvPT_PKS2_PKT0_S8_ifPKiSA_iPKfiiiSC_SC_iiiii,@function
_ZN4vllm25paged_attention_v1_kernelIffLi80ELi8ELi128ELNS_18Fp8KVCacheDataTypeE0ELb0EEEvPT_PKS2_PKT0_S8_ifPKiSA_iPKfiiiSC_SC_iiiii: ; @_ZN4vllm25paged_attention_v1_kernelIffLi80ELi8ELi128ELNS_18Fp8KVCacheDataTypeE0ELb0EEEvPT_PKS2_PKT0_S8_ifPKiSA_iPKfiiiSC_SC_iiiii
; %bb.0:
	s_load_dword s5, s[0:1], 0x80
	s_load_dwordx2 s[6:7], s[0:1], 0x30
	s_load_dwordx2 s[8:9], s[0:1], 0x20
	s_mov_b32 s10, s3
	s_ashr_i32 s11, s3, 31
	s_lshl_b64 s[12:13], s[10:11], 2
	s_waitcnt lgkmcnt(0)
	s_add_u32 s6, s6, s12
	s_addc_u32 s7, s7, s13
	s_abs_i32 s3, s8
	v_cvt_f32_u32_e32 v1, s3
	s_sub_i32 s12, 0, s3
	s_abs_i32 s11, s5
	s_xor_b32 s8, s5, s8
	v_rcp_iflag_f32_e32 v1, v1
	s_ashr_i32 s8, s8, 31
	v_mul_f32_e32 v1, 0x4f7ffffe, v1
	v_cvt_u32_f32_e32 v1, v1
	s_nop 0
	v_readfirstlane_b32 s13, v1
	s_mul_i32 s12, s12, s13
	s_mul_hi_u32 s12, s13, s12
	s_add_i32 s13, s13, s12
	s_mul_hi_u32 s12, s11, s13
	s_mul_i32 s13, s12, s3
	s_sub_i32 s11, s11, s13
	s_add_i32 s13, s12, 1
	s_sub_i32 s14, s11, s3
	s_cmp_ge_u32 s11, s3
	s_cselect_b32 s12, s13, s12
	s_cselect_b32 s11, s14, s11
	s_add_i32 s13, s12, 1
	s_cmp_ge_u32 s11, s3
	s_cselect_b32 s3, s13, s12
	s_xor_b32 s3, s3, s8
	s_sub_i32 s14, s3, s8
	s_abs_i32 s11, s14
	v_cvt_f32_u32_e32 v1, s11
	s_load_dwordx2 s[12:13], s[0:1], 0x40
	s_sub_i32 s3, 0, s11
	s_abs_i32 s18, s2
	v_rcp_iflag_f32_e32 v1, v1
	s_mov_b32 s8, 0
	v_mul_f32_e32 v1, 0x4f7ffffe, v1
	v_cvt_u32_f32_e32 v1, v1
	s_nop 0
	v_readfirstlane_b32 s15, v1
	s_mul_i32 s3, s3, s15
	s_mul_hi_u32 s3, s15, s3
	s_add_i32 s15, s15, s3
	s_waitcnt lgkmcnt(0)
	s_cmp_eq_u64 s[12:13], 0
	s_mul_hi_u32 s19, s18, s15
	s_cbranch_scc1 .LBB11_2
; %bb.1:
	s_ashr_i32 s3, s2, 31
	s_lshl_b64 s[16:17], s[2:3], 2
	s_add_u32 s12, s12, s16
	s_addc_u32 s13, s13, s17
	s_load_dword s8, s[12:13], 0x0
.LBB11_2:
	s_load_dword s33, s[6:7], 0x0
	s_ashr_i32 s7, s14, 31
	s_load_dwordx4 s[12:15], s[0:1], 0x48
	s_movk_i32 s3, 0x50
	s_ashr_i32 s6, s2, 31
	v_and_b32_e32 v12, 7, v0
	s_mul_i32 s16, s2, 0x50
	v_cmp_gt_u32_e32 vcc, s3, v0
	v_lshlrev_b32_e32 v16, 2, v0
	v_lshrrev_b32_e32 v1, 1, v0
	s_and_saveexec_b64 s[2:3], vcc
	s_cbranch_execz .LBB11_4
; %bb.3:
	s_load_dwordx2 s[20:21], s[0:1], 0x8
	s_waitcnt lgkmcnt(0)
	s_mul_i32 s22, s10, s12
	s_ashr_i32 s23, s22, 31
	s_lshl_b64 s[22:23], s[22:23], 2
	v_and_b32_e32 v3, 0x1fc, v1
	s_add_u32 s12, s20, s22
	s_addc_u32 s15, s21, s23
	s_ashr_i32 s17, s16, 31
	s_lshl_b64 s[20:21], s[16:17], 2
	s_add_u32 s20, s12, s20
	s_addc_u32 s21, s15, s21
	global_load_dword v2, v16, s[20:21]
	v_mad_u32_u24 v3, v12, 40, v3
	s_waitcnt vmcnt(0)
	ds_write_b32 v3, v2
.LBB11_4:
	s_or_b64 exec, exec, s[2:3]
	s_waitcnt lgkmcnt(0)
	s_add_i32 s3, s33, 7
	s_ashr_i32 s12, s3, 31
	s_lshr_b32 s12, s12, 29
	s_add_i32 s3, s3, s12
	s_ashr_i32 s17, s3, 3
	s_xor_b32 s3, s6, s7
	s_mul_i32 s6, s19, s11
	s_sub_i32 s6, s18, s6
	s_add_i32 s7, s19, 1
	s_sub_i32 s12, s6, s11
	s_load_dwordx2 s[20:21], s[0:1], 0x28
	s_load_dword s2, s[0:1], 0x38
	s_cmp_ge_u32 s6, s11
	s_cselect_b32 s7, s7, s19
	s_cselect_b32 s6, s12, s6
	s_add_i32 s12, s7, 1
	s_cmp_ge_u32 s6, s11
	s_cselect_b32 s6, s12, s7
	v_lshrrev_b32_e32 v26, 6, v0
	s_xor_b32 s6, s6, s3
	s_waitcnt lgkmcnt(0)
	s_mul_i32 s22, s10, s2
	s_sub_i32 s12, s6, s3
	s_ashr_i32 s23, s22, 31
	v_cmp_gt_i32_e64 s[2:3], s17, v26
	v_cmp_le_i32_e32 vcc, s17, v26
	v_mbcnt_lo_u32_b32 v13, -1, 0
	s_barrier
	s_waitcnt lgkmcnt(0)
                                        ; implicit-def: $sgpr15
                                        ; implicit-def: $vgpr17
                                        ; implicit-def: $vgpr18
	s_and_saveexec_b64 s[6:7], vcc
	s_xor_b64 s[6:7], exec, s[6:7]
; %bb.5:
	v_mbcnt_hi_u32_b32 v17, -1, v13
	v_and_b32_e32 v2, 64, v17
	v_add_u32_e32 v18, 64, v2
	s_mov_b32 s15, 0xff7fffff
                                        ; implicit-def: $vgpr12
                                        ; implicit-def: $vgpr13
; %bb.6:
	s_or_saveexec_b64 s[26:27], s[6:7]
	s_load_dwordx2 s[18:19], s[0:1], 0x0
	s_load_dwordx2 s[24:25], s[0:1], 0x18
	s_load_dword s11, s[0:1], 0x88
	v_mov_b32_e32 v19, s15
	s_mul_i32 s14, s12, s14
	v_lshrrev_b32_e32 v20, 4, v0
	s_xor_b64 exec, exec, s[26:27]
	s_cbranch_execz .LBB11_12
; %bb.7:
	v_mbcnt_hi_u32_b32 v17, -1, v13
	s_load_dwordx2 s[0:1], s[0:1], 0x10
	v_and_b32_e32 v13, 64, v17
	v_add_u32_e32 v18, 64, v13
	v_xor_b32_e32 v13, 4, v17
	v_cmp_lt_i32_e32 vcc, v13, v18
	s_ashr_i32 s15, s14, 31
	s_lshl_b64 s[6:7], s[14:15], 2
	v_cndmask_b32_e32 v13, v17, v13, vcc
	v_lshlrev_b32_e32 v21, 2, v13
	v_xor_b32_e32 v13, 2, v17
	v_bfe_u32 v19, v0, 3, 3
	s_waitcnt lgkmcnt(0)
	s_add_u32 s0, s0, s6
	v_cmp_lt_i32_e32 vcc, v13, v18
	s_addc_u32 s1, s1, s7
	v_lshlrev_b32_e32 v14, 4, v19
	v_mov_b32_e32 v15, 0
	v_and_b32_e32 v4, 3, v0
	v_cndmask_b32_e32 v13, v17, v13, vcc
	v_lshl_add_u64 v[2:3], s[0:1], 0, v[14:15]
	v_lshlrev_b32_e32 v14, 2, v4
	v_mul_u32_u24_e32 v10, 40, v12
	v_lshlrev_b32_e32 v22, 2, v13
	v_xor_b32_e32 v13, 1, v17
	v_lshl_add_u64 v[24:25], v[2:3], 0, v[14:15]
	ds_read2_b64 v[2:5], v10 offset1:1
	ds_read2_b64 v[6:9], v10 offset0:2 offset1:3
	ds_read_b64 v[10:11], v10 offset:32
	v_cmp_lt_i32_e32 vcc, v13, v18
	v_lshlrev_b32_e32 v27, 2, v19
	s_sub_i32 s15, 1, s33
	v_cndmask_b32_e32 v13, v17, v13, vcc
	v_cmp_eq_u32_e32 vcc, 0, v12
	v_lshlrev_b32_e32 v12, 5, v0
	v_and_b32_e32 v14, 0x80, v12
	s_lshl_b64 s[6:7], s[22:23], 2
	v_lshlrev_b32_e32 v23, 2, v13
	v_lshl_add_u64 v[12:13], v[24:25], 0, v[14:15]
	v_lshl_or_b32 v14, v26, 5, v27
	s_add_u32 s6, s20, s6
	v_add_u32_e32 v25, 0x150, v14
	v_and_b32_e32 v14, 60, v20
	s_addc_u32 s7, s21, s7
	s_mov_b32 s12, s13
	v_cmp_neq_f32_e64 s[0:1], s8, 0
	v_lshl_or_b32 v24, v26, 3, v19
	v_lshl_add_u64 v[14:15], s[6:7], 0, v[14:15]
	s_mov_b64 s[28:29], 0
	v_mov_b32_e32 v19, 0xff7fffff
	v_mov_b32_e32 v27, v26
	s_branch .LBB11_9
.LBB11_8:                               ;   in Loop: Header=BB11_9 Depth=1
	s_or_b64 exec, exec, s[30:31]
	v_add_u32_e32 v27, 2, v27
	v_cmp_le_i32_e64 s[6:7], s17, v27
	v_add_u32_e32 v24, 16, v24
	v_add_u32_e32 v25, 64, v25
	s_or_b64 s[28:29], s[6:7], s[28:29]
	v_lshl_add_u64 v[14:15], v[14:15], 0, 8
	s_andn2_b64 exec, exec, s[28:29]
	s_cbranch_execz .LBB11_11
.LBB11_9:                               ; =>This Inner Loop Header: Depth=1
	global_load_dword v28, v[14:15], off
	s_waitcnt vmcnt(0) lgkmcnt(0)
	v_mad_i64_i32 v[28:29], s[6:7], v28, s12, 0
	v_lshl_add_u64 v[28:29], v[28:29], 2, v[12:13]
	global_load_dword v30, v[28:29], off offset:256
	global_load_dword v31, v[28:29], off
	global_load_dword v32, v[28:29], off offset:512
	global_load_dword v33, v[28:29], off offset:768
	;; [unrolled: 1-line block ×8, first 2 shown]
	s_waitcnt vmcnt(9) lgkmcnt(2)
	v_mul_f32_e32 v28, v3, v30
	s_waitcnt vmcnt(8)
	v_fmac_f32_e32 v28, v2, v31
	s_waitcnt vmcnt(7)
	v_fmac_f32_e32 v28, v4, v32
	;; [unrolled: 2-line block ×3, first 2 shown]
	s_waitcnt vmcnt(5) lgkmcnt(1)
	v_fmac_f32_e32 v28, v6, v34
	s_waitcnt vmcnt(4)
	v_fmac_f32_e32 v28, v7, v35
	s_waitcnt vmcnt(3)
	;; [unrolled: 2-line block ×3, first 2 shown]
	v_fmac_f32_e32 v28, v9, v37
	s_waitcnt vmcnt(1) lgkmcnt(0)
	v_fmac_f32_e32 v28, v10, v38
	s_waitcnt vmcnt(0)
	v_fmac_f32_e32 v28, v11, v39
	ds_bpermute_b32 v29, v21, v28
	s_waitcnt lgkmcnt(0)
	v_add_f32_e32 v28, v28, v29
	ds_bpermute_b32 v29, v22, v28
	s_waitcnt lgkmcnt(0)
	v_add_f32_e32 v28, v28, v29
	ds_bpermute_b32 v29, v23, v28
	s_and_saveexec_b64 s[30:31], vcc
	s_cbranch_execz .LBB11_8
; %bb.10:                               ;   in Loop: Header=BB11_9 Depth=1
	v_add_u32_e32 v30, s15, v24
	v_cvt_f32_i32_e32 v30, v30
	s_waitcnt lgkmcnt(0)
	v_add_f32_e32 v28, v28, v29
	v_cmp_gt_i32_e64 s[6:7], s33, v24
	v_max_f32_e32 v29, v19, v19
	v_mul_f32_e32 v30, s8, v30
	v_cndmask_b32_e64 v30, 0, v30, s[0:1]
	v_fmac_f32_e32 v30, s9, v28
	v_cndmask_b32_e64 v28, 0, v30, s[6:7]
	ds_write_b32 v25, v28
	v_max_f32_e32 v28, v29, v30
	v_cndmask_b32_e64 v19, v19, v28, s[6:7]
	s_branch .LBB11_8
.LBB11_11:
	s_or_b64 exec, exec, s[28:29]
.LBB11_12:
	s_or_b64 exec, exec, s[26:27]
	v_xor_b32_e32 v2, 32, v17
	v_cmp_lt_i32_e32 vcc, v2, v18
	v_xor_b32_e32 v5, 16, v17
	v_max_f32_e32 v4, v19, v19
	v_cndmask_b32_e32 v2, v17, v2, vcc
	v_lshlrev_b32_e32 v3, 2, v2
	ds_bpermute_b32 v2, v3, v19
	v_cmp_lt_i32_e32 vcc, v5, v18
	v_xor_b32_e32 v7, 8, v17
	s_waitcnt lgkmcnt(0)
	v_max_f32_e32 v2, v2, v2
	v_max_f32_e32 v2, v4, v2
	v_cndmask_b32_e32 v4, v17, v5, vcc
	v_lshlrev_b32_e32 v6, 2, v4
	ds_bpermute_b32 v4, v6, v2
	v_cmp_lt_i32_e32 vcc, v7, v18
	s_waitcnt lgkmcnt(0)
	v_max_f32_e32 v4, v4, v4
	v_max_f32_e32 v5, v2, v4
	v_cndmask_b32_e32 v2, v17, v7, vcc
	v_lshlrev_b32_e32 v7, 2, v2
	ds_bpermute_b32 v8, v7, v5
	v_and_b32_e32 v4, 63, v0
	v_cmp_eq_u32_e32 vcc, 0, v4
	v_lshlrev_b32_e32 v2, 2, v26
	s_and_saveexec_b64 s[0:1], vcc
	s_cbranch_execz .LBB11_14
; %bb.13:
	s_waitcnt lgkmcnt(0)
	v_max_f32_e32 v8, v8, v8
	v_max_f32_e32 v5, v5, v5
	;; [unrolled: 1-line block ×3, first 2 shown]
	ds_write_b32 v2, v5 offset:320
.LBB11_14:
	s_or_b64 exec, exec, s[0:1]
	v_cmp_gt_u32_e64 s[0:1], 2, v4
	s_waitcnt lgkmcnt(0)
	v_mov_b32_e32 v8, 0xff7fffff
	v_lshlrev_b32_e32 v5, 2, v4
	s_barrier
	s_and_saveexec_b64 s[6:7], s[0:1]
	s_cbranch_execz .LBB11_16
; %bb.15:
	ds_read_b32 v8, v5 offset:320
.LBB11_16:
	s_or_b64 exec, exec, s[6:7]
	v_xor_b32_e32 v9, 1, v17
	v_cmp_lt_i32_e64 s[6:7], v9, v18
	v_lshlrev_b32_e32 v10, 2, v17
	s_nop 0
	v_cndmask_b32_e64 v9, v17, v9, s[6:7]
	v_lshlrev_b32_e32 v15, 2, v9
	s_waitcnt lgkmcnt(0)
	ds_bpermute_b32 v9, v15, v8
	v_max_f32_e32 v8, v8, v8
	s_lshl_b32 s6, s17, 3
	s_min_i32 s12, s6, s33
	v_cmp_gt_i32_e64 s[6:7], s12, v0
	s_waitcnt lgkmcnt(0)
	v_max_f32_e32 v9, v9, v9
	v_max_f32_e32 v9, v8, v9
	v_and_b32_e32 v8, 0xffffff00, v10
	ds_bpermute_b32 v10, v8, v9
	v_mov_b32_e32 v9, 0
	s_and_saveexec_b64 s[26:27], s[6:7]
	s_cbranch_execz .LBB11_20
; %bb.17:
	v_mov_b32_e32 v9, 0x150
	v_lshl_add_u32 v11, v0, 2, v9
	s_mov_b64 s[28:29], 0
	v_mov_b32_e32 v9, 0
	v_mov_b32_e32 v12, v0
.LBB11_18:                              ; =>This Inner Loop Header: Depth=1
	ds_read_b32 v13, v11
	v_add_u32_e32 v12, 0x80, v12
	v_cmp_le_i32_e64 s[8:9], s12, v12
	s_or_b64 s[28:29], s[8:9], s[28:29]
	s_waitcnt lgkmcnt(0)
	v_sub_f32_e32 v13, v13, v10
	v_mul_f32_e32 v13, 0x3fb8aa3b, v13
	v_exp_f32_e32 v13, v13
	ds_write_b32 v11, v13
	v_add_f32_e32 v9, v9, v13
	v_add_u32_e32 v11, 0x200, v11
	s_andn2_b64 exec, exec, s[28:29]
	s_cbranch_execnz .LBB11_18
; %bb.19:
	s_or_b64 exec, exec, s[28:29]
.LBB11_20:
	s_or_b64 exec, exec, s[26:27]
	ds_bpermute_b32 v3, v3, v9
	s_waitcnt lgkmcnt(0)
	v_add_f32_e32 v3, v9, v3
	ds_bpermute_b32 v6, v6, v3
	s_waitcnt lgkmcnt(0)
	v_add_f32_e32 v3, v3, v6
	ds_bpermute_b32 v6, v7, v3
	v_xor_b32_e32 v7, 4, v17
	v_cmp_lt_i32_e64 s[8:9], v7, v18
	s_waitcnt lgkmcnt(0)
	v_add_f32_e32 v3, v3, v6
	v_cndmask_b32_e64 v7, v17, v7, s[8:9]
	v_lshlrev_b32_e32 v7, 2, v7
	ds_bpermute_b32 v6, v7, v3
	v_xor_b32_e32 v7, 2, v17
	v_cmp_lt_i32_e64 s[8:9], v7, v18
	s_waitcnt lgkmcnt(0)
	v_add_f32_e32 v3, v3, v6
	v_cndmask_b32_e64 v7, v17, v7, s[8:9]
	v_lshlrev_b32_e32 v6, 2, v7
	ds_bpermute_b32 v6, v6, v3
	s_waitcnt lgkmcnt(0)
	v_add_f32_e32 v3, v3, v6
	ds_bpermute_b32 v6, v15, v3
	s_waitcnt lgkmcnt(0)
	v_add_f32_e32 v3, v3, v6
	s_and_saveexec_b64 s[8:9], vcc
	s_cbranch_execz .LBB11_22
; %bb.21:
	ds_write_b32 v2, v3 offset:328
.LBB11_22:
	s_or_b64 exec, exec, s[8:9]
	s_waitcnt lgkmcnt(0)
	s_barrier
	s_and_saveexec_b64 s[8:9], s[0:1]
	s_cbranch_execz .LBB11_24
; %bb.23:
	ds_read_b32 v3, v5 offset:328
.LBB11_24:
	s_or_b64 exec, exec, s[8:9]
	s_waitcnt lgkmcnt(0)
	ds_bpermute_b32 v2, v15, v3
	s_waitcnt lgkmcnt(0)
	v_add_f32_e32 v2, v3, v2
	ds_bpermute_b32 v2, v8, v2
	s_and_saveexec_b64 s[0:1], s[6:7]
	s_cbranch_execz .LBB11_37
; %bb.25:
	s_waitcnt lgkmcnt(0)
	v_add_f32_e32 v2, 0x358637bd, v2
	v_div_scale_f32 v3, s[6:7], v2, v2, 1.0
	v_rcp_f32_e32 v5, v3
	v_div_scale_f32 v6, vcc, 1.0, v2, 1.0
	s_movk_i32 s6, 0x7f
	v_fma_f32 v7, -v3, v5, 1.0
	v_fmac_f32_e32 v5, v7, v5
	v_mul_f32_e32 v7, v6, v5
	v_fma_f32 v8, -v3, v7, v6
	v_fmac_f32_e32 v7, v8, v5
	v_fma_f32 v3, -v3, v7, v6
	v_div_fmas_f32 v3, v3, v5, v7
	v_xad_u32 v5, v0, -1, s12
	v_div_fixup_f32 v2, v3, v2, 1.0
	v_cmp_lt_u32_e32 vcc, s6, v5
	s_mov_b64 s[8:9], -1
	v_mov_b32_e32 v3, v0
	s_and_saveexec_b64 s[6:7], vcc
	s_cbranch_execz .LBB11_34
; %bb.26:
	v_lshrrev_b32_e32 v5, 7, v5
	v_add_u32_e32 v7, -1, v5
	v_lshrrev_b32_e32 v6, 1, v7
	v_mov_b32_e32 v3, v2
	v_add_u32_e32 v6, 1, v6
	v_cmp_lt_u32_e32 vcc, 13, v7
	v_mov_b32_e32 v9, 0
	s_and_saveexec_b64 s[8:9], vcc
	s_cbranch_execz .LBB11_30
; %bb.27:
	v_mov_b32_e32 v8, 0x150
	v_and_b32_e32 v7, -8, v6
	v_lshl_add_u32 v8, v0, 2, v8
	s_mov_b32 s15, 0
	s_mov_b64 s[26:27], 0
.LBB11_28:                              ; =>This Inner Loop Header: Depth=1
	ds_read2st64_b32 v[10:11], v8 offset1:2
	ds_read2st64_b32 v[12:13], v8 offset0:4 offset1:6
	ds_read2st64_b32 v[18:19], v8 offset0:8 offset1:10
	;; [unrolled: 1-line block ×3, first 2 shown]
	v_add_u32_e32 v7, -8, v7
	s_waitcnt lgkmcnt(3)
	v_pk_mul_f32 v[10:11], v[2:3], v[10:11]
	s_waitcnt lgkmcnt(2)
	v_pk_mul_f32 v[12:13], v[2:3], v[12:13]
	ds_write2st64_b32 v8, v10, v11 offset1:2
	ds_write2st64_b32 v8, v12, v13 offset0:4 offset1:6
	ds_read2st64_b32 v[12:13], v8 offset0:16 offset1:18
	s_waitcnt lgkmcnt(4)
	v_pk_mul_f32 v[10:11], v[2:3], v[18:19]
	ds_write2st64_b32 v8, v10, v11 offset0:8 offset1:10
	s_waitcnt lgkmcnt(4)
	v_pk_mul_f32 v[10:11], v[2:3], v[22:23]
	ds_write2st64_b32 v8, v10, v11 offset0:12 offset1:14
	ds_read2st64_b32 v[10:11], v8 offset0:20 offset1:22
	s_waitcnt lgkmcnt(3)
	v_pk_mul_f32 v[12:13], v[2:3], v[12:13]
	ds_read2st64_b32 v[18:19], v8 offset0:24 offset1:26
	ds_write2st64_b32 v8, v12, v13 offset0:16 offset1:18
	ds_read2st64_b32 v[12:13], v8 offset0:28 offset1:30
	s_waitcnt lgkmcnt(3)
	v_pk_mul_f32 v[10:11], v[2:3], v[10:11]
	ds_write2st64_b32 v8, v10, v11 offset0:20 offset1:22
	s_waitcnt lgkmcnt(3)
	v_pk_mul_f32 v[10:11], v[2:3], v[18:19]
	ds_write2st64_b32 v8, v10, v11 offset0:24 offset1:26
	s_waitcnt lgkmcnt(2)
	v_pk_mul_f32 v[10:11], v[2:3], v[12:13]
	s_add_i32 s15, s15, 16
	v_cmp_eq_u32_e32 vcc, 0, v7
	ds_write2st64_b32 v8, v10, v11 offset0:28 offset1:30
	v_add_u32_e32 v8, 0x2000, v8
	s_or_b64 s[26:27], vcc, s[26:27]
	v_mov_b32_e32 v9, s15
	s_andn2_b64 exec, exec, s[26:27]
	s_cbranch_execnz .LBB11_28
; %bb.29:
	s_or_b64 exec, exec, s[26:27]
.LBB11_30:
	s_or_b64 exec, exec, s[8:9]
	v_and_b32_e32 v6, 7, v6
	v_cmp_ne_u32_e32 vcc, 0, v6
	s_and_saveexec_b64 s[8:9], vcc
	s_cbranch_execz .LBB11_33
; %bb.31:
	v_lshlrev_b32_e32 v7, 9, v9
	s_movk_i32 s15, 0x150
	v_add3_u32 v7, v7, v16, s15
	s_mov_b64 s[26:27], 0
.LBB11_32:                              ; =>This Inner Loop Header: Depth=1
	ds_read2st64_b32 v[8:9], v7 offset1:2
	v_add_u32_e32 v6, -1, v6
	v_cmp_eq_u32_e32 vcc, 0, v6
	s_or_b64 s[26:27], vcc, s[26:27]
	s_waitcnt lgkmcnt(0)
	v_pk_mul_f32 v[8:9], v[2:3], v[8:9]
	ds_write2st64_b32 v7, v8, v9 offset1:2
	v_add_u32_e32 v7, 0x400, v7
	s_andn2_b64 exec, exec, s[26:27]
	s_cbranch_execnz .LBB11_32
.LBB11_33:
	s_or_b64 exec, exec, s[8:9]
	v_add_u32_e32 v5, 1, v5
	v_and_b32_e32 v6, 0x3fffffe, v5
	v_cmp_ne_u32_e32 vcc, v5, v6
	v_lshl_add_u32 v3, v6, 7, v0
	s_orn2_b64 s[8:9], vcc, exec
.LBB11_34:
	s_or_b64 exec, exec, s[6:7]
	s_and_b64 exec, exec, s[8:9]
	s_cbranch_execz .LBB11_37
; %bb.35:
	v_mov_b32_e32 v5, 0x150
	v_lshl_add_u32 v5, v3, 2, v5
	s_mov_b64 s[6:7], 0
.LBB11_36:                              ; =>This Inner Loop Header: Depth=1
	ds_read_b32 v6, v5
	v_add_u32_e32 v3, 0x80, v3
	v_cmp_le_i32_e32 vcc, s12, v3
	s_or_b64 s[6:7], vcc, s[6:7]
	s_waitcnt lgkmcnt(0)
	v_mul_f32_e32 v6, v2, v6
	ds_write_b32 v5, v6
	v_add_u32_e32 v5, 0x200, v5
	s_andn2_b64 exec, exec, s[6:7]
	s_cbranch_execnz .LBB11_36
.LBB11_37:
	s_or_b64 exec, exec, s[0:1]
	v_mov_b32_e32 v14, 0
	v_lshrrev_b32_e32 v28, 1, v4
	v_and_b32_e32 v27, 1, v0
	v_mov_b32_e32 v19, v14
	v_mov_b32_e32 v18, v14
	s_waitcnt lgkmcnt(0)
	s_barrier
	s_and_saveexec_b64 s[6:7], s[2:3]
	s_cbranch_execz .LBB11_49
; %bb.38:
	s_ashr_i32 s15, s14, 31
	s_lshl_b64 s[0:1], s[14:15], 2
	s_add_u32 s8, s24, s0
	v_or_b32_e32 v4, 64, v28
	s_movk_i32 s0, 0x50
	v_and_b32_e32 v3, 4, v16
	s_addc_u32 s9, s25, s1
	s_add_i32 s24, s17, -1
	v_cmp_gt_u32_e32 vcc, s0, v4
	v_lshlrev_b32_e32 v5, 3, v26
	s_lshl_b64 s[0:1], s[22:23], 2
	v_lshl_or_b32 v2, v28, 3, v3
	v_lshl_or_b32 v4, v4, 3, v3
	v_or3_b32 v29, v5, v3, 3
	v_lshlrev_b32_e32 v3, 4, v27
	s_add_u32 s0, s20, s0
	v_mov_b32_e32 v17, 0
	v_lshl_or_b32 v3, v26, 5, v3
	v_and_b32_e32 v16, 60, v20
	s_addc_u32 s1, s21, s1
	s_mov_b32 s26, s13
	v_add_u32_e32 v30, 0x150, v3
	v_lshl_add_u64 v[20:21], s[0:1], 0, v[16:17]
	s_mov_b64 s[12:13], 0
	v_lshlrev_b32_e32 v22, 2, v2
	v_mov_b32_e32 v23, v17
	v_lshlrev_b32_e32 v16, 2, v4
	v_mov_b32_e32 v18, v17
	v_mov_b32_e32 v19, v17
	;; [unrolled: 1-line block ×3, first 2 shown]
	s_branch .LBB11_41
.LBB11_39:                              ;   in Loop: Header=BB11_41 Depth=1
	s_or_b64 exec, exec, s[14:15]
	s_waitcnt vmcnt(0)
	v_mul_f32_e32 v3, v3, v7
	v_fmac_f32_e32 v3, v2, v6
	v_fmac_f32_e32 v3, v4, v8
	;; [unrolled: 1-line block ×3, first 2 shown]
	v_add_f32_e32 v14, v14, v3
.LBB11_40:                              ;   in Loop: Header=BB11_41 Depth=1
	s_or_b64 exec, exec, s[2:3]
	v_add_u32_e32 v26, 2, v26
	v_cmp_le_i32_e64 s[0:1], s17, v26
	v_add_u32_e32 v29, 16, v29
	v_add_u32_e32 v30, 64, v30
	s_or_b64 s[12:13], s[0:1], s[12:13]
	v_lshl_add_u64 v[20:21], v[20:21], 0, 8
	s_andn2_b64 exec, exec, s[12:13]
	s_cbranch_execz .LBB11_48
.LBB11_41:                              ; =>This Inner Loop Header: Depth=1
	global_load_dword v2, v[20:21], off
	v_add_u32_e32 v31, -3, v29
	s_waitcnt vmcnt(0)
	v_mad_i64_i32 v[2:3], s[0:1], v2, s26, 0
	v_lshl_add_u64 v[24:25], v[2:3], 2, s[8:9]
	v_lshl_add_u64 v[10:11], v[24:25], 0, v[22:23]
	global_load_dwordx4 v[6:9], v[10:11], off
	ds_read_b128 v[2:5], v30
	v_cmp_eq_u32_e64 s[0:1], s24, v26
	s_and_saveexec_b64 s[14:15], s[0:1]
	s_cbranch_execz .LBB11_43
; %bb.42:                               ;   in Loop: Header=BB11_41 Depth=1
	v_cmp_gt_i32_e64 s[2:3], s33, v31
	v_add_u32_e32 v12, -2, v29
	s_waitcnt vmcnt(0)
	v_cndmask_b32_e64 v6, 0, v6, s[2:3]
	v_cmp_gt_i32_e64 s[2:3], s33, v12
	v_add_u32_e32 v12, -1, v29
	s_nop 0
	v_cndmask_b32_e64 v7, 0, v7, s[2:3]
	v_cmp_gt_i32_e64 s[2:3], s33, v12
	s_nop 1
	v_cndmask_b32_e64 v8, 0, v8, s[2:3]
	v_cmp_gt_i32_e64 s[2:3], s33, v29
	s_nop 1
	v_cndmask_b32_e64 v9, 0, v9, s[2:3]
.LBB11_43:                              ;   in Loop: Header=BB11_41 Depth=1
	s_or_b64 exec, exec, s[14:15]
	global_load_dwordx4 v[10:13], v[10:11], off offset:1024
	s_and_saveexec_b64 s[14:15], s[0:1]
	s_cbranch_execz .LBB11_45
; %bb.44:                               ;   in Loop: Header=BB11_41 Depth=1
	v_cmp_gt_i32_e64 s[2:3], s33, v31
	v_add_u32_e32 v32, -2, v29
	s_waitcnt vmcnt(0)
	v_cndmask_b32_e64 v10, 0, v10, s[2:3]
	v_cmp_gt_i32_e64 s[2:3], s33, v32
	v_add_u32_e32 v32, -1, v29
	s_nop 0
	v_cndmask_b32_e64 v11, 0, v11, s[2:3]
	v_cmp_gt_i32_e64 s[2:3], s33, v32
	s_nop 1
	v_cndmask_b32_e64 v12, 0, v12, s[2:3]
	v_cmp_gt_i32_e64 s[2:3], s33, v29
	s_nop 1
	v_cndmask_b32_e64 v13, 0, v13, s[2:3]
.LBB11_45:                              ;   in Loop: Header=BB11_41 Depth=1
	s_or_b64 exec, exec, s[14:15]
	s_waitcnt vmcnt(1) lgkmcnt(0)
	v_mul_f32_e32 v7, v3, v7
	v_fmac_f32_e32 v7, v2, v6
	s_waitcnt vmcnt(0)
	v_mul_f32_e32 v6, v3, v11
	v_fmac_f32_e32 v6, v2, v10
	v_fmac_f32_e32 v7, v4, v8
	;; [unrolled: 1-line block ×5, first 2 shown]
	v_add_f32_e32 v18, v18, v7
	v_add_f32_e32 v19, v19, v6
	s_and_saveexec_b64 s[2:3], vcc
	s_cbranch_execz .LBB11_40
; %bb.46:                               ;   in Loop: Header=BB11_41 Depth=1
	v_lshl_add_u64 v[6:7], v[24:25], 0, v[16:17]
	global_load_dwordx4 v[6:9], v[6:7], off
	s_and_saveexec_b64 s[14:15], s[0:1]
	s_cbranch_execz .LBB11_39
; %bb.47:                               ;   in Loop: Header=BB11_41 Depth=1
	v_cmp_gt_i32_e64 s[0:1], s33, v31
	v_add_u32_e32 v10, -2, v29
	s_waitcnt vmcnt(0)
	v_cndmask_b32_e64 v6, 0, v6, s[0:1]
	v_cmp_gt_i32_e64 s[0:1], s33, v10
	v_add_u32_e32 v10, -1, v29
	s_nop 0
	v_cndmask_b32_e64 v7, 0, v7, s[0:1]
	v_cmp_gt_i32_e64 s[0:1], s33, v10
	s_nop 1
	v_cndmask_b32_e64 v8, 0, v8, s[0:1]
	v_cmp_gt_i32_e64 s[0:1], s33, v29
	s_nop 1
	v_cndmask_b32_e64 v9, 0, v9, s[0:1]
	s_branch .LBB11_39
.LBB11_48:
	s_or_b64 exec, exec, s[12:13]
.LBB11_49:
	s_or_b64 exec, exec, s[6:7]
	ds_bpermute_b32 v2, v15, v18
	ds_bpermute_b32 v3, v15, v19
	;; [unrolled: 1-line block ×3, first 2 shown]
	v_and_b32_e32 v5, 0x3c0, v0
	v_cmp_eq_u32_e32 vcc, 64, v5
	s_waitcnt lgkmcnt(0)
	v_pk_add_f32 v[2:3], v[18:19], v[2:3]
	v_add_f32_e32 v4, v14, v4
	s_barrier
	s_and_saveexec_b64 s[2:3], vcc
	s_cbranch_execz .LBB11_54
; %bb.50:
	v_cmp_eq_u32_e32 vcc, 0, v27
	s_and_saveexec_b64 s[0:1], vcc
	s_cbranch_execz .LBB11_52
; %bb.51:
	v_mov_b32_e32 v5, 0x150
	v_lshl_add_u32 v5, v28, 2, v5
	ds_write2_b32 v5, v2, v3 offset1:32
.LBB11_52:
	s_or_b64 exec, exec, s[0:1]
	v_or_b32_e32 v5, 64, v28
	s_movk_i32 s0, 0x50
	v_cmp_gt_u32_e64 s[0:1], s0, v5
	s_and_b64 s[0:1], vcc, s[0:1]
	s_and_b64 exec, exec, s[0:1]
	s_cbranch_execz .LBB11_54
; %bb.53:
	v_mov_b32_e32 v5, 0x150
	v_lshl_add_u32 v5, v28, 2, v5
	ds_write_b32 v5, v4 offset:256
.LBB11_54:
	s_or_b64 exec, exec, s[2:3]
	v_cmp_gt_u32_e32 vcc, 64, v0
	s_waitcnt lgkmcnt(0)
	s_barrier
	s_and_saveexec_b64 s[6:7], vcc
	s_cbranch_execz .LBB11_62
; %bb.55:
	v_cmp_eq_u32_e64 s[0:1], 0, v27
	s_and_saveexec_b64 s[2:3], s[0:1]
	s_cbranch_execz .LBB11_57
; %bb.56:
	v_mov_b32_e32 v0, 0x150
	v_lshl_add_u32 v0, v1, 2, v0
	ds_read_b32 v0, v0
	s_waitcnt lgkmcnt(0)
	v_add_f32_e32 v2, v2, v0
.LBB11_57:
	s_or_b64 exec, exec, s[2:3]
	s_and_saveexec_b64 s[2:3], s[0:1]
	s_cbranch_execz .LBB11_59
; %bb.58:
	v_mov_b32_e32 v0, 0x150
	v_lshl_add_u32 v0, v1, 2, v0
	ds_read_b32 v0, v0 offset:128
	s_waitcnt lgkmcnt(0)
	v_add_f32_e32 v3, v3, v0
.LBB11_59:
	s_or_b64 exec, exec, s[2:3]
	v_or_b32_e32 v0, 64, v1
	s_movk_i32 s2, 0x50
	v_cmp_gt_u32_e64 s[2:3], s2, v0
	s_and_b64 s[2:3], s[0:1], s[2:3]
	s_and_saveexec_b64 s[0:1], s[2:3]
	s_cbranch_execz .LBB11_61
; %bb.60:
	v_mov_b32_e32 v0, 0x150
	v_lshl_add_u32 v0, v1, 2, v0
	ds_read_b32 v0, v0 offset:256
	s_waitcnt lgkmcnt(0)
	v_add_f32_e32 v4, v4, v0
.LBB11_61:
	s_or_b64 exec, exec, s[0:1]
.LBB11_62:
	s_or_b64 exec, exec, s[6:7]
	s_barrier
	s_and_saveexec_b64 s[0:1], vcc
	s_cbranch_execz .LBB11_67
; %bb.63:
	s_mul_i32 s0, s10, s11
	s_mul_i32 s0, s0, s5
	s_mulk_i32 s0, 0x50
	s_ashr_i32 s1, s0, 31
	s_lshl_b64 s[0:1], s[0:1], 2
	s_add_u32 s2, s18, s0
	s_mul_i32 s0, s11, s16
	s_addc_u32 s3, s19, s1
	s_ashr_i32 s1, s0, 31
	s_lshl_b64 s[0:1], s[0:1], 2
	s_add_u32 s2, s2, s0
	s_mul_i32 s0, s4, 0x50
	s_addc_u32 s3, s3, s1
	s_ashr_i32 s1, s0, 31
	s_lshl_b64 s[0:1], s[0:1], 2
	s_add_u32 s2, s2, s0
	s_movk_i32 s5, 0x50
	s_addc_u32 s3, s3, s1
	v_cmp_eq_u32_e32 vcc, 0, v27
	v_lshlrev_b32_e32 v0, 2, v1
	s_and_saveexec_b64 s[0:1], vcc
	s_cbranch_execz .LBB11_65
; %bb.64:
	global_store_dword v0, v2, s[2:3]
	global_store_dword v0, v3, s[2:3] offset:128
.LBB11_65:
	s_or_b64 exec, exec, s[0:1]
	v_or_b32_e32 v1, 64, v1
	v_cmp_gt_u32_e64 s[0:1], s5, v1
	s_and_b64 s[0:1], vcc, s[0:1]
	s_and_b64 exec, exec, s[0:1]
	s_cbranch_execz .LBB11_67
; %bb.66:
	global_store_dword v0, v4, s[2:3] offset:256
.LBB11_67:
	s_endpgm
	.section	.rodata,"a",@progbits
	.p2align	6, 0x0
	.amdhsa_kernel _ZN4vllm25paged_attention_v1_kernelIffLi80ELi8ELi128ELNS_18Fp8KVCacheDataTypeE0ELb0EEEvPT_PKS2_PKT0_S8_ifPKiSA_iPKfiiiSC_SC_iiiii
		.amdhsa_group_segment_fixed_size 336
		.amdhsa_private_segment_fixed_size 0
		.amdhsa_kernarg_size 384
		.amdhsa_user_sgpr_count 2
		.amdhsa_user_sgpr_dispatch_ptr 0
		.amdhsa_user_sgpr_queue_ptr 0
		.amdhsa_user_sgpr_kernarg_segment_ptr 1
		.amdhsa_user_sgpr_dispatch_id 0
		.amdhsa_user_sgpr_kernarg_preload_length 0
		.amdhsa_user_sgpr_kernarg_preload_offset 0
		.amdhsa_user_sgpr_private_segment_size 0
		.amdhsa_uses_dynamic_stack 0
		.amdhsa_enable_private_segment 0
		.amdhsa_system_sgpr_workgroup_id_x 1
		.amdhsa_system_sgpr_workgroup_id_y 1
		.amdhsa_system_sgpr_workgroup_id_z 1
		.amdhsa_system_sgpr_workgroup_info 0
		.amdhsa_system_vgpr_workitem_id 0
		.amdhsa_next_free_vgpr 40
		.amdhsa_next_free_sgpr 34
		.amdhsa_accum_offset 40
		.amdhsa_reserve_vcc 1
		.amdhsa_float_round_mode_32 0
		.amdhsa_float_round_mode_16_64 0
		.amdhsa_float_denorm_mode_32 3
		.amdhsa_float_denorm_mode_16_64 3
		.amdhsa_dx10_clamp 1
		.amdhsa_ieee_mode 1
		.amdhsa_fp16_overflow 0
		.amdhsa_tg_split 0
		.amdhsa_exception_fp_ieee_invalid_op 0
		.amdhsa_exception_fp_denorm_src 0
		.amdhsa_exception_fp_ieee_div_zero 0
		.amdhsa_exception_fp_ieee_overflow 0
		.amdhsa_exception_fp_ieee_underflow 0
		.amdhsa_exception_fp_ieee_inexact 0
		.amdhsa_exception_int_div_zero 0
	.end_amdhsa_kernel
	.section	.text._ZN4vllm25paged_attention_v1_kernelIffLi80ELi8ELi128ELNS_18Fp8KVCacheDataTypeE0ELb0EEEvPT_PKS2_PKT0_S8_ifPKiSA_iPKfiiiSC_SC_iiiii,"axG",@progbits,_ZN4vllm25paged_attention_v1_kernelIffLi80ELi8ELi128ELNS_18Fp8KVCacheDataTypeE0ELb0EEEvPT_PKS2_PKT0_S8_ifPKiSA_iPKfiiiSC_SC_iiiii,comdat
.Lfunc_end11:
	.size	_ZN4vllm25paged_attention_v1_kernelIffLi80ELi8ELi128ELNS_18Fp8KVCacheDataTypeE0ELb0EEEvPT_PKS2_PKT0_S8_ifPKiSA_iPKfiiiSC_SC_iiiii, .Lfunc_end11-_ZN4vllm25paged_attention_v1_kernelIffLi80ELi8ELi128ELNS_18Fp8KVCacheDataTypeE0ELb0EEEvPT_PKS2_PKT0_S8_ifPKiSA_iPKfiiiSC_SC_iiiii
                                        ; -- End function
	.section	.AMDGPU.csdata,"",@progbits
; Kernel info:
; codeLenInByte = 3780
; NumSgprs: 40
; NumVgprs: 40
; NumAgprs: 0
; TotalNumVgprs: 40
; ScratchSize: 0
; MemoryBound: 0
; FloatMode: 240
; IeeeMode: 1
; LDSByteSize: 336 bytes/workgroup (compile time only)
; SGPRBlocks: 4
; VGPRBlocks: 4
; NumSGPRsForWavesPerEU: 40
; NumVGPRsForWavesPerEU: 40
; AccumOffset: 40
; Occupancy: 8
; WaveLimiterHint : 1
; COMPUTE_PGM_RSRC2:SCRATCH_EN: 0
; COMPUTE_PGM_RSRC2:USER_SGPR: 2
; COMPUTE_PGM_RSRC2:TRAP_HANDLER: 0
; COMPUTE_PGM_RSRC2:TGID_X_EN: 1
; COMPUTE_PGM_RSRC2:TGID_Y_EN: 1
; COMPUTE_PGM_RSRC2:TGID_Z_EN: 1
; COMPUTE_PGM_RSRC2:TIDIG_COMP_CNT: 0
; COMPUTE_PGM_RSRC3_GFX90A:ACCUM_OFFSET: 9
; COMPUTE_PGM_RSRC3_GFX90A:TG_SPLIT: 0
	.section	.text._ZN4vllm25paged_attention_v1_kernelIffLi96ELi8ELi128ELNS_18Fp8KVCacheDataTypeE0ELb0EEEvPT_PKS2_PKT0_S8_ifPKiSA_iPKfiiiSC_SC_iiiii,"axG",@progbits,_ZN4vllm25paged_attention_v1_kernelIffLi96ELi8ELi128ELNS_18Fp8KVCacheDataTypeE0ELb0EEEvPT_PKS2_PKT0_S8_ifPKiSA_iPKfiiiSC_SC_iiiii,comdat
	.protected	_ZN4vllm25paged_attention_v1_kernelIffLi96ELi8ELi128ELNS_18Fp8KVCacheDataTypeE0ELb0EEEvPT_PKS2_PKT0_S8_ifPKiSA_iPKfiiiSC_SC_iiiii ; -- Begin function _ZN4vllm25paged_attention_v1_kernelIffLi96ELi8ELi128ELNS_18Fp8KVCacheDataTypeE0ELb0EEEvPT_PKS2_PKT0_S8_ifPKiSA_iPKfiiiSC_SC_iiiii
	.globl	_ZN4vllm25paged_attention_v1_kernelIffLi96ELi8ELi128ELNS_18Fp8KVCacheDataTypeE0ELb0EEEvPT_PKS2_PKT0_S8_ifPKiSA_iPKfiiiSC_SC_iiiii
	.p2align	8
	.type	_ZN4vllm25paged_attention_v1_kernelIffLi96ELi8ELi128ELNS_18Fp8KVCacheDataTypeE0ELb0EEEvPT_PKS2_PKT0_S8_ifPKiSA_iPKfiiiSC_SC_iiiii,@function
_ZN4vllm25paged_attention_v1_kernelIffLi96ELi8ELi128ELNS_18Fp8KVCacheDataTypeE0ELb0EEEvPT_PKS2_PKT0_S8_ifPKiSA_iPKfiiiSC_SC_iiiii: ; @_ZN4vllm25paged_attention_v1_kernelIffLi96ELi8ELi128ELNS_18Fp8KVCacheDataTypeE0ELb0EEEvPT_PKS2_PKT0_S8_ifPKiSA_iPKfiiiSC_SC_iiiii
; %bb.0:
	s_load_dword s5, s[0:1], 0x80
	s_load_dwordx2 s[6:7], s[0:1], 0x30
	s_load_dwordx2 s[8:9], s[0:1], 0x20
	s_mov_b32 s10, s3
	s_ashr_i32 s11, s3, 31
	s_lshl_b64 s[12:13], s[10:11], 2
	s_waitcnt lgkmcnt(0)
	s_add_u32 s6, s6, s12
	s_addc_u32 s7, s7, s13
	s_abs_i32 s3, s8
	v_cvt_f32_u32_e32 v1, s3
	s_sub_i32 s12, 0, s3
	s_abs_i32 s11, s5
	s_xor_b32 s8, s5, s8
	v_rcp_iflag_f32_e32 v1, v1
	s_ashr_i32 s8, s8, 31
	v_mul_f32_e32 v1, 0x4f7ffffe, v1
	v_cvt_u32_f32_e32 v1, v1
	s_nop 0
	v_readfirstlane_b32 s13, v1
	s_mul_i32 s12, s12, s13
	s_mul_hi_u32 s12, s13, s12
	s_add_i32 s13, s13, s12
	s_mul_hi_u32 s12, s11, s13
	s_mul_i32 s13, s12, s3
	s_sub_i32 s11, s11, s13
	s_add_i32 s13, s12, 1
	s_sub_i32 s14, s11, s3
	s_cmp_ge_u32 s11, s3
	s_cselect_b32 s12, s13, s12
	s_cselect_b32 s11, s14, s11
	s_add_i32 s13, s12, 1
	s_cmp_ge_u32 s11, s3
	s_cselect_b32 s3, s13, s12
	s_xor_b32 s3, s3, s8
	s_sub_i32 s14, s3, s8
	s_abs_i32 s11, s14
	v_cvt_f32_u32_e32 v1, s11
	s_load_dwordx2 s[12:13], s[0:1], 0x40
	s_sub_i32 s3, 0, s11
	s_abs_i32 s18, s2
	v_rcp_iflag_f32_e32 v1, v1
	s_mov_b32 s8, 0
	v_mul_f32_e32 v1, 0x4f7ffffe, v1
	v_cvt_u32_f32_e32 v1, v1
	s_nop 0
	v_readfirstlane_b32 s15, v1
	s_mul_i32 s3, s3, s15
	s_mul_hi_u32 s3, s15, s3
	s_add_i32 s15, s15, s3
	s_waitcnt lgkmcnt(0)
	s_cmp_eq_u64 s[12:13], 0
	s_mul_hi_u32 s19, s18, s15
	s_cbranch_scc1 .LBB12_2
; %bb.1:
	s_ashr_i32 s3, s2, 31
	s_lshl_b64 s[16:17], s[2:3], 2
	s_add_u32 s12, s12, s16
	s_addc_u32 s13, s13, s17
	s_load_dword s8, s[12:13], 0x0
.LBB12_2:
	s_load_dword s33, s[6:7], 0x0
	s_ashr_i32 s7, s14, 31
	s_load_dwordx4 s[12:15], s[0:1], 0x48
	s_movk_i32 s3, 0x60
	s_ashr_i32 s6, s2, 31
	v_and_b32_e32 v14, 7, v0
	s_mul_i32 s16, s2, 0x60
	v_cmp_gt_u32_e32 vcc, s3, v0
	v_lshlrev_b32_e32 v20, 2, v0
	v_lshrrev_b32_e32 v1, 1, v0
	s_and_saveexec_b64 s[2:3], vcc
	s_cbranch_execz .LBB12_4
; %bb.3:
	s_load_dwordx2 s[20:21], s[0:1], 0x8
	s_waitcnt lgkmcnt(0)
	s_mul_i32 s22, s10, s12
	s_ashr_i32 s23, s22, 31
	s_lshl_b64 s[22:23], s[22:23], 2
	v_and_b32_e32 v3, 0x1fc, v1
	s_add_u32 s12, s20, s22
	s_addc_u32 s15, s21, s23
	s_ashr_i32 s17, s16, 31
	s_lshl_b64 s[20:21], s[16:17], 2
	s_add_u32 s20, s12, s20
	s_addc_u32 s21, s15, s21
	global_load_dword v2, v20, s[20:21]
	v_mad_u32_u24 v3, v14, 48, v3
	s_waitcnt vmcnt(0)
	ds_write_b32 v3, v2
.LBB12_4:
	s_or_b64 exec, exec, s[2:3]
	s_waitcnt lgkmcnt(0)
	s_add_i32 s3, s33, 7
	s_ashr_i32 s12, s3, 31
	s_lshr_b32 s12, s12, 29
	s_add_i32 s3, s3, s12
	s_ashr_i32 s12, s3, 3
	s_xor_b32 s3, s6, s7
	s_mul_i32 s6, s19, s11
	s_sub_i32 s6, s18, s6
	s_add_i32 s7, s19, 1
	s_sub_i32 s15, s6, s11
	s_load_dwordx2 s[20:21], s[0:1], 0x28
	s_load_dword s2, s[0:1], 0x38
	s_cmp_ge_u32 s6, s11
	s_cselect_b32 s7, s7, s19
	s_cselect_b32 s6, s15, s6
	s_add_i32 s15, s7, 1
	s_cmp_ge_u32 s6, s11
	s_cselect_b32 s6, s15, s7
	v_lshrrev_b32_e32 v24, 6, v0
	s_xor_b32 s6, s6, s3
	s_waitcnt lgkmcnt(0)
	s_mul_i32 s22, s10, s2
	s_sub_i32 s15, s6, s3
	s_ashr_i32 s23, s22, 31
	v_cmp_gt_i32_e64 s[2:3], s12, v24
	v_cmp_le_i32_e32 vcc, s12, v24
	v_mbcnt_lo_u32_b32 v15, -1, 0
	s_barrier
	s_waitcnt lgkmcnt(0)
                                        ; implicit-def: $sgpr17
                                        ; implicit-def: $vgpr18
                                        ; implicit-def: $vgpr19
	s_and_saveexec_b64 s[6:7], vcc
	s_xor_b64 s[6:7], exec, s[6:7]
; %bb.5:
	v_mbcnt_hi_u32_b32 v18, -1, v15
	v_and_b32_e32 v2, 64, v18
	v_add_u32_e32 v19, 64, v2
	s_mov_b32 s17, 0xff7fffff
                                        ; implicit-def: $vgpr14
                                        ; implicit-def: $vgpr15
; %bb.6:
	s_or_saveexec_b64 s[26:27], s[6:7]
	s_load_dwordx2 s[18:19], s[0:1], 0x0
	s_load_dwordx2 s[24:25], s[0:1], 0x18
	s_load_dword s11, s[0:1], 0x88
	v_mov_b32_e32 v21, s17
	s_mul_i32 s14, s15, s14
	v_lshrrev_b32_e32 v22, 4, v0
	s_xor_b64 exec, exec, s[26:27]
	s_cbranch_execz .LBB12_12
; %bb.7:
	v_mbcnt_hi_u32_b32 v18, -1, v15
	s_load_dwordx2 s[0:1], s[0:1], 0x10
	v_and_b32_e32 v15, 64, v18
	v_add_u32_e32 v19, 64, v15
	v_xor_b32_e32 v15, 4, v18
	v_cmp_lt_i32_e32 vcc, v15, v19
	s_ashr_i32 s15, s14, 31
	s_lshl_b64 s[6:7], s[14:15], 2
	v_cndmask_b32_e32 v15, v18, v15, vcc
	v_lshlrev_b32_e32 v23, 2, v15
	v_xor_b32_e32 v15, 2, v18
	v_bfe_u32 v21, v0, 3, 3
	s_waitcnt lgkmcnt(0)
	s_add_u32 s0, s0, s6
	v_cmp_lt_i32_e32 vcc, v15, v19
	s_addc_u32 s1, s1, s7
	v_lshlrev_b32_e32 v16, 4, v21
	v_mov_b32_e32 v17, 0
	v_and_b32_e32 v4, 3, v0
	v_cndmask_b32_e32 v15, v18, v15, vcc
	v_lshl_add_u64 v[2:3], s[0:1], 0, v[16:17]
	v_lshlrev_b32_e32 v16, 2, v4
	v_mul_u32_u24_e32 v10, 48, v14
	v_lshlrev_b32_e32 v25, 2, v15
	v_xor_b32_e32 v15, 1, v18
	v_lshl_add_u64 v[28:29], v[2:3], 0, v[16:17]
	ds_read_b128 v[2:5], v10
	ds_read_b128 v[6:9], v10 offset:16
	ds_read_b128 v[10:13], v10 offset:32
	v_cmp_lt_i32_e32 vcc, v15, v19
	v_lshlrev_b32_e32 v30, 2, v21
	s_sub_i32 s15, 1, s33
	v_cndmask_b32_e32 v15, v18, v15, vcc
	v_cmp_eq_u32_e32 vcc, 0, v14
	v_lshlrev_b32_e32 v14, 5, v0
	v_and_b32_e32 v16, 0x80, v14
	s_lshl_b64 s[6:7], s[22:23], 2
	v_lshlrev_b32_e32 v26, 2, v15
	v_lshl_add_u64 v[14:15], v[28:29], 0, v[16:17]
	v_lshl_or_b32 v16, v24, 5, v30
	s_add_u32 s6, s20, s6
	v_add_u32_e32 v28, 0x190, v16
	v_and_b32_e32 v16, 60, v22
	s_addc_u32 s7, s21, s7
	s_mov_b32 s17, s13
	v_cmp_neq_f32_e64 s[0:1], s8, 0
	v_lshl_or_b32 v27, v24, 3, v21
	v_lshl_add_u64 v[16:17], s[6:7], 0, v[16:17]
	s_mov_b64 s[28:29], 0
	v_mov_b32_e32 v21, 0xff7fffff
	v_mov_b32_e32 v29, v24
	s_branch .LBB12_9
.LBB12_8:                               ;   in Loop: Header=BB12_9 Depth=1
	s_or_b64 exec, exec, s[30:31]
	v_add_u32_e32 v29, 2, v29
	v_cmp_le_i32_e64 s[6:7], s12, v29
	v_add_u32_e32 v27, 16, v27
	v_add_u32_e32 v28, 64, v28
	s_or_b64 s[28:29], s[6:7], s[28:29]
	v_lshl_add_u64 v[16:17], v[16:17], 0, 8
	s_andn2_b64 exec, exec, s[28:29]
	s_cbranch_execz .LBB12_11
.LBB12_9:                               ; =>This Inner Loop Header: Depth=1
	global_load_dword v30, v[16:17], off
	s_waitcnt vmcnt(0) lgkmcnt(0)
	v_mad_i64_i32 v[30:31], s[6:7], v30, s17, 0
	v_lshl_add_u64 v[30:31], v[30:31], 2, v[14:15]
	global_load_dword v32, v[30:31], off offset:256
	global_load_dword v33, v[30:31], off
	global_load_dword v34, v[30:31], off offset:512
	global_load_dword v35, v[30:31], off offset:768
	;; [unrolled: 1-line block ×10, first 2 shown]
	s_waitcnt vmcnt(11) lgkmcnt(2)
	v_mul_f32_e32 v30, v3, v32
	s_waitcnt vmcnt(10)
	v_fmac_f32_e32 v30, v2, v33
	s_waitcnt vmcnt(9)
	v_fmac_f32_e32 v30, v4, v34
	;; [unrolled: 2-line block ×3, first 2 shown]
	s_waitcnt vmcnt(7) lgkmcnt(1)
	v_fmac_f32_e32 v30, v6, v36
	s_waitcnt vmcnt(6)
	v_fmac_f32_e32 v30, v7, v37
	s_waitcnt vmcnt(5)
	;; [unrolled: 2-line block ×3, first 2 shown]
	v_fmac_f32_e32 v30, v9, v39
	s_waitcnt vmcnt(3) lgkmcnt(0)
	v_fmac_f32_e32 v30, v10, v40
	s_waitcnt vmcnt(2)
	v_fmac_f32_e32 v30, v11, v41
	s_waitcnt vmcnt(1)
	;; [unrolled: 2-line block ×3, first 2 shown]
	v_fmac_f32_e32 v30, v13, v43
	ds_bpermute_b32 v31, v23, v30
	s_waitcnt lgkmcnt(0)
	v_add_f32_e32 v30, v30, v31
	ds_bpermute_b32 v31, v25, v30
	s_waitcnt lgkmcnt(0)
	v_add_f32_e32 v30, v30, v31
	ds_bpermute_b32 v31, v26, v30
	s_and_saveexec_b64 s[30:31], vcc
	s_cbranch_execz .LBB12_8
; %bb.10:                               ;   in Loop: Header=BB12_9 Depth=1
	v_add_u32_e32 v32, s15, v27
	v_cvt_f32_i32_e32 v32, v32
	s_waitcnt lgkmcnt(0)
	v_add_f32_e32 v30, v30, v31
	v_cmp_gt_i32_e64 s[6:7], s33, v27
	v_max_f32_e32 v31, v21, v21
	v_mul_f32_e32 v32, s8, v32
	v_cndmask_b32_e64 v32, 0, v32, s[0:1]
	v_fmac_f32_e32 v32, s9, v30
	v_cndmask_b32_e64 v30, 0, v32, s[6:7]
	ds_write_b32 v28, v30
	v_max_f32_e32 v30, v31, v32
	v_cndmask_b32_e64 v21, v21, v30, s[6:7]
	s_branch .LBB12_8
.LBB12_11:
	s_or_b64 exec, exec, s[28:29]
.LBB12_12:
	s_or_b64 exec, exec, s[26:27]
	v_xor_b32_e32 v2, 32, v18
	v_cmp_lt_i32_e32 vcc, v2, v19
	v_xor_b32_e32 v5, 16, v18
	v_max_f32_e32 v4, v21, v21
	v_cndmask_b32_e32 v2, v18, v2, vcc
	v_lshlrev_b32_e32 v3, 2, v2
	ds_bpermute_b32 v2, v3, v21
	v_cmp_lt_i32_e32 vcc, v5, v19
	v_xor_b32_e32 v6, 8, v18
	v_and_b32_e32 v25, 63, v0
	s_waitcnt lgkmcnt(0)
	v_max_f32_e32 v2, v2, v2
	v_max_f32_e32 v2, v4, v2
	v_cndmask_b32_e32 v4, v18, v5, vcc
	v_lshlrev_b32_e32 v5, 2, v4
	ds_bpermute_b32 v4, v5, v2
	v_cmp_lt_i32_e32 vcc, v6, v19
	s_waitcnt lgkmcnt(0)
	v_max_f32_e32 v4, v4, v4
	v_max_f32_e32 v4, v2, v4
	v_cndmask_b32_e32 v2, v18, v6, vcc
	v_lshlrev_b32_e32 v6, 2, v2
	ds_bpermute_b32 v7, v6, v4
	v_cmp_eq_u32_e32 vcc, 0, v25
	v_lshlrev_b32_e32 v2, 2, v24
	s_and_saveexec_b64 s[0:1], vcc
	s_cbranch_execz .LBB12_14
; %bb.13:
	s_waitcnt lgkmcnt(0)
	v_max_f32_e32 v7, v7, v7
	v_max_f32_e32 v4, v4, v4
	;; [unrolled: 1-line block ×3, first 2 shown]
	ds_write_b32 v2, v4 offset:384
.LBB12_14:
	s_or_b64 exec, exec, s[0:1]
	v_cmp_gt_u32_e64 s[0:1], 2, v25
	s_waitcnt lgkmcnt(0)
	v_mov_b32_e32 v7, 0xff7fffff
	v_lshlrev_b32_e32 v4, 2, v25
	s_barrier
	s_and_saveexec_b64 s[6:7], s[0:1]
	s_cbranch_execz .LBB12_16
; %bb.15:
	ds_read_b32 v7, v4 offset:384
.LBB12_16:
	s_or_b64 exec, exec, s[6:7]
	v_xor_b32_e32 v8, 1, v18
	v_cmp_lt_i32_e64 s[6:7], v8, v19
	v_lshlrev_b32_e32 v9, 2, v18
	s_nop 0
	v_cndmask_b32_e64 v8, v18, v8, s[6:7]
	v_lshlrev_b32_e32 v26, 2, v8
	s_waitcnt lgkmcnt(0)
	ds_bpermute_b32 v8, v26, v7
	v_max_f32_e32 v7, v7, v7
	s_lshl_b32 s6, s12, 3
	s_min_i32 s15, s6, s33
	v_cmp_gt_i32_e64 s[6:7], s15, v0
	s_waitcnt lgkmcnt(0)
	v_max_f32_e32 v8, v8, v8
	v_max_f32_e32 v8, v7, v8
	v_and_b32_e32 v7, 0xffffff00, v9
	ds_bpermute_b32 v9, v7, v8
	v_mov_b32_e32 v8, 0
	s_and_saveexec_b64 s[26:27], s[6:7]
	s_cbranch_execz .LBB12_20
; %bb.17:
	v_mov_b32_e32 v8, 0x190
	v_lshl_add_u32 v10, v0, 2, v8
	s_mov_b64 s[28:29], 0
	v_mov_b32_e32 v8, 0
	v_mov_b32_e32 v11, v0
.LBB12_18:                              ; =>This Inner Loop Header: Depth=1
	ds_read_b32 v12, v10
	v_add_u32_e32 v11, 0x80, v11
	v_cmp_le_i32_e64 s[8:9], s15, v11
	s_or_b64 s[28:29], s[8:9], s[28:29]
	s_waitcnt lgkmcnt(0)
	v_sub_f32_e32 v12, v12, v9
	v_mul_f32_e32 v12, 0x3fb8aa3b, v12
	v_exp_f32_e32 v12, v12
	ds_write_b32 v10, v12
	v_add_f32_e32 v8, v8, v12
	v_add_u32_e32 v10, 0x200, v10
	s_andn2_b64 exec, exec, s[28:29]
	s_cbranch_execnz .LBB12_18
; %bb.19:
	s_or_b64 exec, exec, s[28:29]
.LBB12_20:
	s_or_b64 exec, exec, s[26:27]
	ds_bpermute_b32 v3, v3, v8
	s_waitcnt lgkmcnt(0)
	v_add_f32_e32 v3, v8, v3
	ds_bpermute_b32 v5, v5, v3
	s_waitcnt lgkmcnt(0)
	v_add_f32_e32 v3, v3, v5
	ds_bpermute_b32 v5, v6, v3
	v_xor_b32_e32 v6, 4, v18
	v_cmp_lt_i32_e64 s[8:9], v6, v19
	s_waitcnt lgkmcnt(0)
	v_add_f32_e32 v3, v3, v5
	v_cndmask_b32_e64 v6, v18, v6, s[8:9]
	v_lshlrev_b32_e32 v6, 2, v6
	ds_bpermute_b32 v5, v6, v3
	v_xor_b32_e32 v6, 2, v18
	v_cmp_lt_i32_e64 s[8:9], v6, v19
	s_waitcnt lgkmcnt(0)
	v_add_f32_e32 v3, v3, v5
	v_cndmask_b32_e64 v6, v18, v6, s[8:9]
	v_lshlrev_b32_e32 v5, 2, v6
	ds_bpermute_b32 v5, v5, v3
	s_waitcnt lgkmcnt(0)
	v_add_f32_e32 v3, v3, v5
	ds_bpermute_b32 v5, v26, v3
	s_waitcnt lgkmcnt(0)
	v_add_f32_e32 v3, v3, v5
	s_and_saveexec_b64 s[8:9], vcc
	s_cbranch_execz .LBB12_22
; %bb.21:
	ds_write_b32 v2, v3 offset:392
.LBB12_22:
	s_or_b64 exec, exec, s[8:9]
	s_waitcnt lgkmcnt(0)
	s_barrier
	s_and_saveexec_b64 s[8:9], s[0:1]
	s_cbranch_execz .LBB12_24
; %bb.23:
	ds_read_b32 v3, v4 offset:392
.LBB12_24:
	s_or_b64 exec, exec, s[8:9]
	s_waitcnt lgkmcnt(0)
	ds_bpermute_b32 v2, v26, v3
	s_waitcnt lgkmcnt(0)
	v_add_f32_e32 v2, v3, v2
	ds_bpermute_b32 v2, v7, v2
	s_and_saveexec_b64 s[0:1], s[6:7]
	s_cbranch_execz .LBB12_37
; %bb.25:
	s_waitcnt lgkmcnt(0)
	v_add_f32_e32 v2, 0x358637bd, v2
	v_div_scale_f32 v3, s[6:7], v2, v2, 1.0
	v_rcp_f32_e32 v4, v3
	v_div_scale_f32 v5, vcc, 1.0, v2, 1.0
	s_movk_i32 s6, 0x7f
	v_fma_f32 v6, -v3, v4, 1.0
	v_fmac_f32_e32 v4, v6, v4
	v_mul_f32_e32 v6, v5, v4
	v_fma_f32 v7, -v3, v6, v5
	v_fmac_f32_e32 v6, v7, v4
	v_fma_f32 v3, -v3, v6, v5
	v_div_fmas_f32 v3, v3, v4, v6
	v_xad_u32 v4, v0, -1, s15
	v_div_fixup_f32 v2, v3, v2, 1.0
	v_cmp_lt_u32_e32 vcc, s6, v4
	s_mov_b64 s[8:9], -1
	v_mov_b32_e32 v3, v0
	s_and_saveexec_b64 s[6:7], vcc
	s_cbranch_execz .LBB12_34
; %bb.26:
	v_lshrrev_b32_e32 v4, 7, v4
	v_add_u32_e32 v6, -1, v4
	v_lshrrev_b32_e32 v5, 1, v6
	v_mov_b32_e32 v3, v2
	v_add_u32_e32 v5, 1, v5
	v_cmp_lt_u32_e32 vcc, 13, v6
	v_mov_b32_e32 v8, 0
	s_and_saveexec_b64 s[8:9], vcc
	s_cbranch_execz .LBB12_30
; %bb.27:
	v_mov_b32_e32 v7, 0x190
	v_and_b32_e32 v6, -8, v5
	v_lshl_add_u32 v7, v0, 2, v7
	s_mov_b32 s17, 0
	s_mov_b64 s[26:27], 0
.LBB12_28:                              ; =>This Inner Loop Header: Depth=1
	ds_read2st64_b32 v[8:9], v7 offset1:2
	ds_read2st64_b32 v[10:11], v7 offset0:4 offset1:6
	ds_read2st64_b32 v[12:13], v7 offset0:8 offset1:10
	;; [unrolled: 1-line block ×3, first 2 shown]
	v_add_u32_e32 v6, -8, v6
	s_waitcnt lgkmcnt(3)
	v_pk_mul_f32 v[8:9], v[2:3], v[8:9]
	s_waitcnt lgkmcnt(2)
	v_pk_mul_f32 v[10:11], v[2:3], v[10:11]
	ds_write2st64_b32 v7, v8, v9 offset1:2
	ds_write2st64_b32 v7, v10, v11 offset0:4 offset1:6
	ds_read2st64_b32 v[10:11], v7 offset0:16 offset1:18
	s_waitcnt lgkmcnt(4)
	v_pk_mul_f32 v[8:9], v[2:3], v[12:13]
	ds_write2st64_b32 v7, v8, v9 offset0:8 offset1:10
	s_waitcnt lgkmcnt(4)
	v_pk_mul_f32 v[8:9], v[2:3], v[14:15]
	ds_write2st64_b32 v7, v8, v9 offset0:12 offset1:14
	ds_read2st64_b32 v[8:9], v7 offset0:20 offset1:22
	s_waitcnt lgkmcnt(3)
	v_pk_mul_f32 v[10:11], v[2:3], v[10:11]
	ds_read2st64_b32 v[12:13], v7 offset0:24 offset1:26
	ds_write2st64_b32 v7, v10, v11 offset0:16 offset1:18
	ds_read2st64_b32 v[10:11], v7 offset0:28 offset1:30
	s_waitcnt lgkmcnt(3)
	v_pk_mul_f32 v[8:9], v[2:3], v[8:9]
	ds_write2st64_b32 v7, v8, v9 offset0:20 offset1:22
	s_waitcnt lgkmcnt(3)
	v_pk_mul_f32 v[8:9], v[2:3], v[12:13]
	ds_write2st64_b32 v7, v8, v9 offset0:24 offset1:26
	s_waitcnt lgkmcnt(2)
	v_pk_mul_f32 v[8:9], v[2:3], v[10:11]
	s_add_i32 s17, s17, 16
	v_cmp_eq_u32_e32 vcc, 0, v6
	ds_write2st64_b32 v7, v8, v9 offset0:28 offset1:30
	v_add_u32_e32 v7, 0x2000, v7
	s_or_b64 s[26:27], vcc, s[26:27]
	v_mov_b32_e32 v8, s17
	s_andn2_b64 exec, exec, s[26:27]
	s_cbranch_execnz .LBB12_28
; %bb.29:
	s_or_b64 exec, exec, s[26:27]
.LBB12_30:
	s_or_b64 exec, exec, s[8:9]
	v_and_b32_e32 v5, 7, v5
	v_cmp_ne_u32_e32 vcc, 0, v5
	s_and_saveexec_b64 s[8:9], vcc
	s_cbranch_execz .LBB12_33
; %bb.31:
	v_lshlrev_b32_e32 v6, 9, v8
	s_movk_i32 s17, 0x190
	v_add3_u32 v6, v6, v20, s17
	s_mov_b64 s[26:27], 0
.LBB12_32:                              ; =>This Inner Loop Header: Depth=1
	ds_read2st64_b32 v[8:9], v6 offset1:2
	v_add_u32_e32 v5, -1, v5
	v_cmp_eq_u32_e32 vcc, 0, v5
	s_or_b64 s[26:27], vcc, s[26:27]
	s_waitcnt lgkmcnt(0)
	v_pk_mul_f32 v[8:9], v[2:3], v[8:9]
	ds_write2st64_b32 v6, v8, v9 offset1:2
	v_add_u32_e32 v6, 0x400, v6
	s_andn2_b64 exec, exec, s[26:27]
	s_cbranch_execnz .LBB12_32
.LBB12_33:
	s_or_b64 exec, exec, s[8:9]
	v_add_u32_e32 v4, 1, v4
	v_and_b32_e32 v5, 0x3fffffe, v4
	v_cmp_ne_u32_e32 vcc, v4, v5
	v_lshl_add_u32 v3, v5, 7, v0
	s_orn2_b64 s[8:9], vcc, exec
.LBB12_34:
	s_or_b64 exec, exec, s[6:7]
	s_and_b64 exec, exec, s[8:9]
	s_cbranch_execz .LBB12_37
; %bb.35:
	v_mov_b32_e32 v4, 0x190
	v_lshl_add_u32 v4, v3, 2, v4
	s_mov_b64 s[6:7], 0
.LBB12_36:                              ; =>This Inner Loop Header: Depth=1
	ds_read_b32 v5, v4
	v_add_u32_e32 v3, 0x80, v3
	v_cmp_le_i32_e32 vcc, s15, v3
	s_or_b64 s[6:7], vcc, s[6:7]
	s_waitcnt lgkmcnt(0)
	v_mul_f32_e32 v5, v2, v5
	ds_write_b32 v4, v5
	v_add_u32_e32 v4, 0x200, v4
	s_andn2_b64 exec, exec, s[6:7]
	s_cbranch_execnz .LBB12_36
.LBB12_37:
	s_or_b64 exec, exec, s[0:1]
	v_mov_b32_e32 v28, 0
	v_and_b32_e32 v27, 1, v0
	v_mov_b32_e32 v19, 0
	v_mov_b32_e32 v18, 0
	s_waitcnt lgkmcnt(0)
	s_barrier
	s_and_saveexec_b64 s[6:7], s[2:3]
	s_cbranch_execz .LBB12_47
; %bb.38:
	s_ashr_i32 s15, s14, 31
	s_lshl_b64 s[0:1], s[14:15], 2
	s_add_u32 s0, s24, s0
	v_lshlrev_b32_e32 v3, 4, v0
	s_addc_u32 s1, s25, s1
	v_and_b32_e32 v18, 0x3f0, v3
	v_mov_b32_e32 v19, 0
	v_and_b32_e32 v2, 4, v20
	s_add_i32 s14, s12, -1
	v_lshl_add_u64 v[20:21], s[0:1], 0, v[18:19]
	v_lshlrev_b32_e32 v3, 3, v24
	s_lshl_b64 s[0:1], s[22:23], 2
	v_or3_b32 v29, v3, v2, 3
	v_lshlrev_b32_e32 v2, 4, v27
	s_add_u32 s0, s20, s0
	v_lshl_or_b32 v2, v24, 5, v2
	v_and_b32_e32 v18, 60, v22
	s_addc_u32 s1, s21, s1
	v_add_u32_e32 v30, 0x190, v2
	v_lshl_add_u64 v[22:23], s[0:1], 0, v[18:19]
	s_mov_b64 s[2:3], 0
	v_mov_b32_e32 v18, v19
	v_mov_b32_e32 v28, v19
	s_branch .LBB12_40
.LBB12_39:                              ;   in Loop: Header=BB12_40 Depth=1
	s_or_b64 exec, exec, s[0:1]
	s_waitcnt vmcnt(2) lgkmcnt(0)
	v_mul_f32_e32 v7, v3, v7
	v_fmac_f32_e32 v7, v2, v6
	s_waitcnt vmcnt(1)
	v_mul_f32_e32 v6, v3, v11
	s_waitcnt vmcnt(0)
	v_mul_f32_e32 v3, v3, v15
	v_fmac_f32_e32 v6, v2, v10
	v_fmac_f32_e32 v3, v2, v14
	v_fmac_f32_e32 v7, v4, v8
	v_fmac_f32_e32 v6, v4, v12
	v_fmac_f32_e32 v3, v4, v16
	v_add_u32_e32 v24, 2, v24
	v_fmac_f32_e32 v7, v5, v9
	v_fmac_f32_e32 v6, v5, v13
	v_fmac_f32_e32 v3, v5, v17
	v_cmp_le_i32_e32 vcc, s12, v24
	v_add_f32_e32 v18, v18, v7
	v_add_f32_e32 v19, v19, v6
	;; [unrolled: 1-line block ×3, first 2 shown]
	v_add_u32_e32 v29, 16, v29
	v_add_u32_e32 v30, 64, v30
	s_or_b64 s[2:3], vcc, s[2:3]
	v_lshl_add_u64 v[22:23], v[22:23], 0, 8
	s_andn2_b64 exec, exec, s[2:3]
	s_cbranch_execz .LBB12_46
.LBB12_40:                              ; =>This Inner Loop Header: Depth=1
	global_load_dword v2, v[22:23], off
	v_add_u32_e32 v31, -3, v29
	v_cmp_eq_u32_e32 vcc, s14, v24
	v_add_u32_e32 v33, -2, v29
	v_add_u32_e32 v32, -1, v29
	s_waitcnt vmcnt(0)
	v_mad_i64_i32 v[2:3], s[0:1], v2, s13, 0
	v_lshl_add_u64 v[14:15], v[2:3], 2, v[20:21]
	global_load_dwordx4 v[6:9], v[14:15], off
	ds_read_b128 v[2:5], v30
	s_and_saveexec_b64 s[8:9], vcc
	s_cbranch_execnz .LBB12_43
; %bb.41:                               ;   in Loop: Header=BB12_40 Depth=1
	s_or_b64 exec, exec, s[8:9]
	global_load_dwordx4 v[10:13], v[14:15], off offset:1024
	s_and_saveexec_b64 s[8:9], vcc
	s_cbranch_execnz .LBB12_44
.LBB12_42:                              ;   in Loop: Header=BB12_40 Depth=1
	s_or_b64 exec, exec, s[8:9]
	global_load_dwordx4 v[14:17], v[14:15], off offset:2048
	s_and_saveexec_b64 s[0:1], vcc
	s_cbranch_execz .LBB12_39
	s_branch .LBB12_45
.LBB12_43:                              ;   in Loop: Header=BB12_40 Depth=1
	v_cmp_gt_i32_e64 s[0:1], s33, v31
	s_waitcnt vmcnt(0)
	s_nop 0
	v_cndmask_b32_e64 v6, 0, v6, s[0:1]
	v_cmp_gt_i32_e64 s[0:1], s33, v33
	s_nop 1
	v_cndmask_b32_e64 v7, 0, v7, s[0:1]
	v_cmp_gt_i32_e64 s[0:1], s33, v32
	;; [unrolled: 3-line block ×3, first 2 shown]
	s_nop 1
	v_cndmask_b32_e64 v9, 0, v9, s[0:1]
	s_or_b64 exec, exec, s[8:9]
	global_load_dwordx4 v[10:13], v[14:15], off offset:1024
	s_and_saveexec_b64 s[8:9], vcc
	s_cbranch_execz .LBB12_42
.LBB12_44:                              ;   in Loop: Header=BB12_40 Depth=1
	v_cmp_gt_i32_e64 s[0:1], s33, v31
	s_waitcnt vmcnt(0)
	s_nop 0
	v_cndmask_b32_e64 v10, 0, v10, s[0:1]
	v_cmp_gt_i32_e64 s[0:1], s33, v33
	s_nop 1
	v_cndmask_b32_e64 v11, 0, v11, s[0:1]
	v_cmp_gt_i32_e64 s[0:1], s33, v32
	;; [unrolled: 3-line block ×3, first 2 shown]
	s_nop 1
	v_cndmask_b32_e64 v13, 0, v13, s[0:1]
	s_or_b64 exec, exec, s[8:9]
	global_load_dwordx4 v[14:17], v[14:15], off offset:2048
	s_and_saveexec_b64 s[0:1], vcc
	s_cbranch_execz .LBB12_39
.LBB12_45:                              ;   in Loop: Header=BB12_40 Depth=1
	v_cmp_gt_i32_e32 vcc, s33, v31
	s_waitcnt vmcnt(0)
	s_nop 0
	v_cndmask_b32_e32 v14, 0, v14, vcc
	v_cmp_gt_i32_e32 vcc, s33, v33
	s_nop 1
	v_cndmask_b32_e32 v15, 0, v15, vcc
	v_cmp_gt_i32_e32 vcc, s33, v32
	s_nop 1
	v_cndmask_b32_e32 v16, 0, v16, vcc
	v_cmp_gt_i32_e32 vcc, s33, v29
	s_nop 1
	v_cndmask_b32_e32 v17, 0, v17, vcc
	s_branch .LBB12_39
.LBB12_46:
	s_or_b64 exec, exec, s[2:3]
.LBB12_47:
	s_or_b64 exec, exec, s[6:7]
	ds_bpermute_b32 v2, v26, v18
	ds_bpermute_b32 v3, v26, v19
	;; [unrolled: 1-line block ×3, first 2 shown]
	v_and_b32_e32 v5, 0x3c1, v0
	v_cmp_eq_u32_e32 vcc, 64, v5
	s_waitcnt lgkmcnt(0)
	v_pk_add_f32 v[2:3], v[18:19], v[2:3]
	v_add_f32_e32 v4, v28, v4
	s_barrier
	s_and_saveexec_b64 s[0:1], vcc
	s_cbranch_execz .LBB12_49
; %bb.48:
	v_mov_b32_e32 v6, 0x190
	v_lshl_add_u32 v6, v25, 1, v6
	ds_write2_b32 v6, v2, v3 offset1:32
	ds_write_b32 v6, v4 offset:256
.LBB12_49:
	s_or_b64 exec, exec, s[0:1]
	v_cmp_gt_u32_e32 vcc, 64, v0
	s_waitcnt lgkmcnt(0)
	s_barrier
	s_and_saveexec_b64 s[0:1], vcc
	s_cbranch_execz .LBB12_55
; %bb.50:
	v_cmp_eq_u32_e32 vcc, 0, v27
	s_and_saveexec_b64 s[2:3], vcc
	s_cbranch_execnz .LBB12_58
; %bb.51:
	s_or_b64 exec, exec, s[2:3]
	s_and_saveexec_b64 s[2:3], vcc
	s_cbranch_execnz .LBB12_59
.LBB12_52:
	s_or_b64 exec, exec, s[2:3]
	s_and_saveexec_b64 s[2:3], vcc
	s_cbranch_execz .LBB12_54
.LBB12_53:
	v_mov_b32_e32 v6, 0x190
	v_lshl_add_u32 v1, v1, 2, v6
	ds_read_b32 v1, v1 offset:256
	s_waitcnt lgkmcnt(0)
	v_add_f32_e32 v4, v4, v1
.LBB12_54:
	s_or_b64 exec, exec, s[2:3]
.LBB12_55:
	s_or_b64 exec, exec, s[0:1]
	v_cmp_eq_u32_e32 vcc, 0, v5
	s_barrier
	s_and_saveexec_b64 s[0:1], vcc
	s_cbranch_execz .LBB12_57
; %bb.56:
	s_mul_i32 s0, s10, s11
	s_mul_i32 s0, s0, s5
	s_mulk_i32 s0, 0x60
	s_ashr_i32 s1, s0, 31
	s_lshl_b64 s[0:1], s[0:1], 2
	s_add_u32 s2, s18, s0
	s_mul_i32 s0, s11, s16
	s_addc_u32 s3, s19, s1
	s_ashr_i32 s1, s0, 31
	s_lshl_b64 s[0:1], s[0:1], 2
	s_add_u32 s2, s2, s0
	s_mul_i32 s0, s4, 0x60
	s_addc_u32 s3, s3, s1
	s_ashr_i32 s1, s0, 31
	s_lshl_b64 s[0:1], s[0:1], 2
	s_add_u32 s0, s2, s0
	s_addc_u32 s1, s3, s1
	v_lshlrev_b32_e32 v0, 1, v0
	global_store_dword v0, v2, s[0:1]
	global_store_dword v0, v3, s[0:1] offset:128
	global_store_dword v0, v4, s[0:1] offset:256
.LBB12_57:
	s_endpgm
.LBB12_58:
	v_mov_b32_e32 v6, 0x190
	v_lshl_add_u32 v6, v1, 2, v6
	ds_read_b32 v6, v6
	s_waitcnt lgkmcnt(0)
	v_add_f32_e32 v2, v2, v6
	s_or_b64 exec, exec, s[2:3]
	s_and_saveexec_b64 s[2:3], vcc
	s_cbranch_execz .LBB12_52
.LBB12_59:
	v_mov_b32_e32 v6, 0x190
	v_lshl_add_u32 v6, v1, 2, v6
	ds_read_b32 v6, v6 offset:128
	s_waitcnt lgkmcnt(0)
	v_add_f32_e32 v3, v3, v6
	s_or_b64 exec, exec, s[2:3]
	s_and_saveexec_b64 s[2:3], vcc
	s_cbranch_execnz .LBB12_53
	s_branch .LBB12_54
	.section	.rodata,"a",@progbits
	.p2align	6, 0x0
	.amdhsa_kernel _ZN4vllm25paged_attention_v1_kernelIffLi96ELi8ELi128ELNS_18Fp8KVCacheDataTypeE0ELb0EEEvPT_PKS2_PKT0_S8_ifPKiSA_iPKfiiiSC_SC_iiiii
		.amdhsa_group_segment_fixed_size 400
		.amdhsa_private_segment_fixed_size 0
		.amdhsa_kernarg_size 384
		.amdhsa_user_sgpr_count 2
		.amdhsa_user_sgpr_dispatch_ptr 0
		.amdhsa_user_sgpr_queue_ptr 0
		.amdhsa_user_sgpr_kernarg_segment_ptr 1
		.amdhsa_user_sgpr_dispatch_id 0
		.amdhsa_user_sgpr_kernarg_preload_length 0
		.amdhsa_user_sgpr_kernarg_preload_offset 0
		.amdhsa_user_sgpr_private_segment_size 0
		.amdhsa_uses_dynamic_stack 0
		.amdhsa_enable_private_segment 0
		.amdhsa_system_sgpr_workgroup_id_x 1
		.amdhsa_system_sgpr_workgroup_id_y 1
		.amdhsa_system_sgpr_workgroup_id_z 1
		.amdhsa_system_sgpr_workgroup_info 0
		.amdhsa_system_vgpr_workitem_id 0
		.amdhsa_next_free_vgpr 44
		.amdhsa_next_free_sgpr 34
		.amdhsa_accum_offset 44
		.amdhsa_reserve_vcc 1
		.amdhsa_float_round_mode_32 0
		.amdhsa_float_round_mode_16_64 0
		.amdhsa_float_denorm_mode_32 3
		.amdhsa_float_denorm_mode_16_64 3
		.amdhsa_dx10_clamp 1
		.amdhsa_ieee_mode 1
		.amdhsa_fp16_overflow 0
		.amdhsa_tg_split 0
		.amdhsa_exception_fp_ieee_invalid_op 0
		.amdhsa_exception_fp_denorm_src 0
		.amdhsa_exception_fp_ieee_div_zero 0
		.amdhsa_exception_fp_ieee_overflow 0
		.amdhsa_exception_fp_ieee_underflow 0
		.amdhsa_exception_fp_ieee_inexact 0
		.amdhsa_exception_int_div_zero 0
	.end_amdhsa_kernel
	.section	.text._ZN4vllm25paged_attention_v1_kernelIffLi96ELi8ELi128ELNS_18Fp8KVCacheDataTypeE0ELb0EEEvPT_PKS2_PKT0_S8_ifPKiSA_iPKfiiiSC_SC_iiiii,"axG",@progbits,_ZN4vllm25paged_attention_v1_kernelIffLi96ELi8ELi128ELNS_18Fp8KVCacheDataTypeE0ELb0EEEvPT_PKS2_PKT0_S8_ifPKiSA_iPKfiiiSC_SC_iiiii,comdat
.Lfunc_end12:
	.size	_ZN4vllm25paged_attention_v1_kernelIffLi96ELi8ELi128ELNS_18Fp8KVCacheDataTypeE0ELb0EEEvPT_PKS2_PKT0_S8_ifPKiSA_iPKfiiiSC_SC_iiiii, .Lfunc_end12-_ZN4vllm25paged_attention_v1_kernelIffLi96ELi8ELi128ELNS_18Fp8KVCacheDataTypeE0ELb0EEEvPT_PKS2_PKT0_S8_ifPKiSA_iPKfiiiSC_SC_iiiii
                                        ; -- End function
	.section	.AMDGPU.csdata,"",@progbits
; Kernel info:
; codeLenInByte = 3656
; NumSgprs: 40
; NumVgprs: 44
; NumAgprs: 0
; TotalNumVgprs: 44
; ScratchSize: 0
; MemoryBound: 0
; FloatMode: 240
; IeeeMode: 1
; LDSByteSize: 400 bytes/workgroup (compile time only)
; SGPRBlocks: 4
; VGPRBlocks: 5
; NumSGPRsForWavesPerEU: 40
; NumVGPRsForWavesPerEU: 44
; AccumOffset: 44
; Occupancy: 8
; WaveLimiterHint : 1
; COMPUTE_PGM_RSRC2:SCRATCH_EN: 0
; COMPUTE_PGM_RSRC2:USER_SGPR: 2
; COMPUTE_PGM_RSRC2:TRAP_HANDLER: 0
; COMPUTE_PGM_RSRC2:TGID_X_EN: 1
; COMPUTE_PGM_RSRC2:TGID_Y_EN: 1
; COMPUTE_PGM_RSRC2:TGID_Z_EN: 1
; COMPUTE_PGM_RSRC2:TIDIG_COMP_CNT: 0
; COMPUTE_PGM_RSRC3_GFX90A:ACCUM_OFFSET: 10
; COMPUTE_PGM_RSRC3_GFX90A:TG_SPLIT: 0
	.section	.text._ZN4vllm25paged_attention_v1_kernelIffLi112ELi8ELi128ELNS_18Fp8KVCacheDataTypeE0ELb0EEEvPT_PKS2_PKT0_S8_ifPKiSA_iPKfiiiSC_SC_iiiii,"axG",@progbits,_ZN4vllm25paged_attention_v1_kernelIffLi112ELi8ELi128ELNS_18Fp8KVCacheDataTypeE0ELb0EEEvPT_PKS2_PKT0_S8_ifPKiSA_iPKfiiiSC_SC_iiiii,comdat
	.protected	_ZN4vllm25paged_attention_v1_kernelIffLi112ELi8ELi128ELNS_18Fp8KVCacheDataTypeE0ELb0EEEvPT_PKS2_PKT0_S8_ifPKiSA_iPKfiiiSC_SC_iiiii ; -- Begin function _ZN4vllm25paged_attention_v1_kernelIffLi112ELi8ELi128ELNS_18Fp8KVCacheDataTypeE0ELb0EEEvPT_PKS2_PKT0_S8_ifPKiSA_iPKfiiiSC_SC_iiiii
	.globl	_ZN4vllm25paged_attention_v1_kernelIffLi112ELi8ELi128ELNS_18Fp8KVCacheDataTypeE0ELb0EEEvPT_PKS2_PKT0_S8_ifPKiSA_iPKfiiiSC_SC_iiiii
	.p2align	8
	.type	_ZN4vllm25paged_attention_v1_kernelIffLi112ELi8ELi128ELNS_18Fp8KVCacheDataTypeE0ELb0EEEvPT_PKS2_PKT0_S8_ifPKiSA_iPKfiiiSC_SC_iiiii,@function
_ZN4vllm25paged_attention_v1_kernelIffLi112ELi8ELi128ELNS_18Fp8KVCacheDataTypeE0ELb0EEEvPT_PKS2_PKT0_S8_ifPKiSA_iPKfiiiSC_SC_iiiii: ; @_ZN4vllm25paged_attention_v1_kernelIffLi112ELi8ELi128ELNS_18Fp8KVCacheDataTypeE0ELb0EEEvPT_PKS2_PKT0_S8_ifPKiSA_iPKfiiiSC_SC_iiiii
; %bb.0:
	s_load_dword s5, s[0:1], 0x80
	s_load_dwordx2 s[6:7], s[0:1], 0x30
	s_load_dwordx2 s[8:9], s[0:1], 0x20
	s_mov_b32 s10, s3
	s_ashr_i32 s11, s3, 31
	s_lshl_b64 s[12:13], s[10:11], 2
	s_waitcnt lgkmcnt(0)
	s_add_u32 s6, s6, s12
	s_addc_u32 s7, s7, s13
	s_abs_i32 s3, s8
	v_cvt_f32_u32_e32 v1, s3
	s_sub_i32 s12, 0, s3
	s_abs_i32 s11, s5
	s_xor_b32 s8, s5, s8
	v_rcp_iflag_f32_e32 v1, v1
	s_ashr_i32 s8, s8, 31
	v_mul_f32_e32 v1, 0x4f7ffffe, v1
	v_cvt_u32_f32_e32 v1, v1
	s_nop 0
	v_readfirstlane_b32 s13, v1
	s_mul_i32 s12, s12, s13
	s_mul_hi_u32 s12, s13, s12
	s_add_i32 s13, s13, s12
	s_mul_hi_u32 s12, s11, s13
	s_mul_i32 s13, s12, s3
	s_sub_i32 s11, s11, s13
	s_add_i32 s13, s12, 1
	s_sub_i32 s14, s11, s3
	s_cmp_ge_u32 s11, s3
	s_cselect_b32 s12, s13, s12
	s_cselect_b32 s11, s14, s11
	s_add_i32 s13, s12, 1
	s_cmp_ge_u32 s11, s3
	s_cselect_b32 s3, s13, s12
	s_xor_b32 s3, s3, s8
	s_sub_i32 s14, s3, s8
	s_abs_i32 s11, s14
	v_cvt_f32_u32_e32 v1, s11
	s_load_dwordx2 s[12:13], s[0:1], 0x40
	s_sub_i32 s3, 0, s11
	s_abs_i32 s18, s2
	v_rcp_iflag_f32_e32 v1, v1
	s_mov_b32 s8, 0
	v_mul_f32_e32 v1, 0x4f7ffffe, v1
	v_cvt_u32_f32_e32 v1, v1
	s_nop 0
	v_readfirstlane_b32 s15, v1
	s_mul_i32 s3, s3, s15
	s_mul_hi_u32 s3, s15, s3
	s_add_i32 s15, s15, s3
	s_waitcnt lgkmcnt(0)
	s_cmp_eq_u64 s[12:13], 0
	s_mul_hi_u32 s19, s18, s15
	s_cbranch_scc1 .LBB13_2
; %bb.1:
	s_ashr_i32 s3, s2, 31
	s_lshl_b64 s[16:17], s[2:3], 2
	s_add_u32 s12, s12, s16
	s_addc_u32 s13, s13, s17
	s_load_dword s8, s[12:13], 0x0
.LBB13_2:
	s_load_dword s33, s[6:7], 0x0
	s_ashr_i32 s7, s14, 31
	s_load_dwordx4 s[12:15], s[0:1], 0x48
	s_movk_i32 s3, 0x70
	s_ashr_i32 s6, s2, 31
	v_and_b32_e32 v16, 7, v0
	s_mul_i32 s16, s2, 0x70
	v_cmp_gt_u32_e32 vcc, s3, v0
	v_lshlrev_b32_e32 v20, 2, v0
	v_lshrrev_b32_e32 v1, 1, v0
	s_and_saveexec_b64 s[2:3], vcc
	s_cbranch_execz .LBB13_4
; %bb.3:
	s_load_dwordx2 s[20:21], s[0:1], 0x8
	s_waitcnt lgkmcnt(0)
	s_mul_i32 s22, s10, s12
	s_ashr_i32 s23, s22, 31
	s_lshl_b64 s[22:23], s[22:23], 2
	v_and_b32_e32 v3, 0x1fc, v1
	s_add_u32 s12, s20, s22
	s_addc_u32 s15, s21, s23
	s_ashr_i32 s17, s16, 31
	s_lshl_b64 s[20:21], s[16:17], 2
	s_add_u32 s20, s12, s20
	s_addc_u32 s21, s15, s21
	global_load_dword v2, v20, s[20:21]
	v_mad_u32_u24 v3, v16, 56, v3
	s_waitcnt vmcnt(0)
	ds_write_b32 v3, v2
.LBB13_4:
	s_or_b64 exec, exec, s[2:3]
	s_waitcnt lgkmcnt(0)
	s_add_i32 s3, s33, 7
	s_ashr_i32 s12, s3, 31
	s_lshr_b32 s12, s12, 29
	s_add_i32 s3, s3, s12
	s_ashr_i32 s17, s3, 3
	s_xor_b32 s3, s6, s7
	s_mul_i32 s6, s19, s11
	s_sub_i32 s6, s18, s6
	s_add_i32 s7, s19, 1
	s_sub_i32 s12, s6, s11
	s_load_dwordx2 s[20:21], s[0:1], 0x28
	s_load_dword s2, s[0:1], 0x38
	s_cmp_ge_u32 s6, s11
	s_cselect_b32 s7, s7, s19
	s_cselect_b32 s6, s12, s6
	s_add_i32 s12, s7, 1
	s_cmp_ge_u32 s6, s11
	s_cselect_b32 s6, s12, s7
	v_lshrrev_b32_e32 v30, 6, v0
	s_xor_b32 s6, s6, s3
	s_waitcnt lgkmcnt(0)
	s_mul_i32 s22, s10, s2
	s_sub_i32 s12, s6, s3
	s_ashr_i32 s23, s22, 31
	v_cmp_gt_i32_e64 s[2:3], s17, v30
	v_cmp_le_i32_e32 vcc, s17, v30
	v_mbcnt_lo_u32_b32 v17, -1, 0
	s_barrier
	s_waitcnt lgkmcnt(0)
                                        ; implicit-def: $sgpr15
                                        ; implicit-def: $vgpr21
                                        ; implicit-def: $vgpr22
	s_and_saveexec_b64 s[6:7], vcc
	s_xor_b64 s[6:7], exec, s[6:7]
; %bb.5:
	v_mbcnt_hi_u32_b32 v21, -1, v17
	v_and_b32_e32 v2, 64, v21
	v_add_u32_e32 v22, 64, v2
	s_mov_b32 s15, 0xff7fffff
                                        ; implicit-def: $vgpr16
                                        ; implicit-def: $vgpr17
; %bb.6:
	s_or_saveexec_b64 s[26:27], s[6:7]
	s_load_dwordx2 s[18:19], s[0:1], 0x0
	s_load_dwordx2 s[24:25], s[0:1], 0x18
	s_load_dword s11, s[0:1], 0x88
	v_mov_b32_e32 v23, s15
	s_mul_i32 s14, s12, s14
	v_lshrrev_b32_e32 v24, 4, v0
	s_xor_b64 exec, exec, s[26:27]
	s_cbranch_execz .LBB13_12
; %bb.7:
	s_load_dwordx2 s[0:1], s[0:1], 0x10
	v_mbcnt_hi_u32_b32 v21, -1, v17
	v_and_b32_e32 v17, 64, v21
	v_add_u32_e32 v22, 64, v17
	v_xor_b32_e32 v17, 4, v21
	s_ashr_i32 s15, s14, 31
	v_cmp_lt_i32_e32 vcc, v17, v22
	s_lshl_b64 s[6:7], s[14:15], 2
	v_bfe_u32 v23, v0, 3, 3
	v_cndmask_b32_e32 v17, v21, v17, vcc
	s_waitcnt lgkmcnt(0)
	s_add_u32 s0, s0, s6
	v_lshlrev_b32_e32 v25, 2, v17
	v_xor_b32_e32 v17, 2, v21
	s_addc_u32 s1, s1, s7
	v_lshlrev_b32_e32 v18, 4, v23
	v_mov_b32_e32 v19, 0
	v_and_b32_e32 v4, 3, v0
	v_cmp_lt_i32_e32 vcc, v17, v22
	v_lshl_add_u64 v[2:3], s[0:1], 0, v[18:19]
	v_lshlrev_b32_e32 v18, 2, v4
	v_mul_u32_u24_e32 v14, 56, v16
	v_cndmask_b32_e32 v17, v21, v17, vcc
	v_lshl_add_u64 v[28:29], v[2:3], 0, v[18:19]
	ds_read2_b64 v[2:5], v14 offset1:1
	ds_read2_b64 v[6:9], v14 offset0:2 offset1:3
	ds_read2_b64 v[10:13], v14 offset0:4 offset1:5
	ds_read_b64 v[14:15], v14 offset:48
	v_lshlrev_b32_e32 v26, 2, v17
	v_xor_b32_e32 v17, 1, v21
	v_cmp_lt_i32_e32 vcc, v17, v22
	v_lshlrev_b32_e32 v31, 2, v23
	s_sub_i32 s15, 1, s33
	v_cndmask_b32_e32 v17, v21, v17, vcc
	v_cmp_eq_u32_e32 vcc, 0, v16
	v_lshlrev_b32_e32 v16, 5, v0
	v_and_b32_e32 v18, 0x80, v16
	s_lshl_b64 s[6:7], s[22:23], 2
	v_lshlrev_b32_e32 v27, 2, v17
	v_lshl_add_u64 v[16:17], v[28:29], 0, v[18:19]
	v_lshl_or_b32 v18, v30, 5, v31
	s_add_u32 s6, s20, s6
	v_add_u32_e32 v29, 0x1d0, v18
	v_and_b32_e32 v18, 60, v24
	s_addc_u32 s7, s21, s7
	s_mov_b32 s12, s13
	v_cmp_neq_f32_e64 s[0:1], s8, 0
	v_lshl_or_b32 v28, v30, 3, v23
	v_lshl_add_u64 v[18:19], s[6:7], 0, v[18:19]
	s_mov_b64 s[28:29], 0
	v_mov_b32_e32 v23, 0xff7fffff
	v_mov_b32_e32 v31, v30
	s_branch .LBB13_9
.LBB13_8:                               ;   in Loop: Header=BB13_9 Depth=1
	s_or_b64 exec, exec, s[30:31]
	v_add_u32_e32 v31, 2, v31
	v_cmp_le_i32_e64 s[6:7], s17, v31
	v_add_u32_e32 v28, 16, v28
	v_add_u32_e32 v29, 64, v29
	s_or_b64 s[28:29], s[6:7], s[28:29]
	v_lshl_add_u64 v[18:19], v[18:19], 0, 8
	s_andn2_b64 exec, exec, s[28:29]
	s_cbranch_execz .LBB13_11
.LBB13_9:                               ; =>This Inner Loop Header: Depth=1
	global_load_dword v32, v[18:19], off
	s_waitcnt vmcnt(0) lgkmcnt(0)
	v_mad_i64_i32 v[32:33], s[6:7], v32, s12, 0
	v_lshl_add_u64 v[32:33], v[32:33], 2, v[16:17]
	global_load_dword v34, v[32:33], off offset:256
	global_load_dword v35, v[32:33], off
	global_load_dword v36, v[32:33], off offset:512
	global_load_dword v37, v[32:33], off offset:768
	;; [unrolled: 1-line block ×12, first 2 shown]
	s_waitcnt vmcnt(13) lgkmcnt(3)
	v_mul_f32_e32 v32, v3, v34
	s_waitcnt vmcnt(12)
	v_fmac_f32_e32 v32, v2, v35
	s_waitcnt vmcnt(11)
	v_fmac_f32_e32 v32, v4, v36
	s_waitcnt vmcnt(10)
	v_fmac_f32_e32 v32, v5, v37
	s_waitcnt vmcnt(9) lgkmcnt(2)
	v_fmac_f32_e32 v32, v6, v38
	s_waitcnt vmcnt(8)
	v_fmac_f32_e32 v32, v7, v39
	s_waitcnt vmcnt(7)
	v_fmac_f32_e32 v32, v8, v40
	s_waitcnt vmcnt(6)
	v_fmac_f32_e32 v32, v9, v41
	s_waitcnt vmcnt(5) lgkmcnt(1)
	v_fmac_f32_e32 v32, v10, v42
	;; [unrolled: 8-line block ×3, first 2 shown]
	s_waitcnt vmcnt(0)
	v_fmac_f32_e32 v32, v15, v47
	ds_bpermute_b32 v33, v25, v32
	s_waitcnt lgkmcnt(0)
	v_add_f32_e32 v32, v32, v33
	ds_bpermute_b32 v33, v26, v32
	s_waitcnt lgkmcnt(0)
	v_add_f32_e32 v32, v32, v33
	ds_bpermute_b32 v33, v27, v32
	s_and_saveexec_b64 s[30:31], vcc
	s_cbranch_execz .LBB13_8
; %bb.10:                               ;   in Loop: Header=BB13_9 Depth=1
	v_add_u32_e32 v34, s15, v28
	v_cvt_f32_i32_e32 v34, v34
	s_waitcnt lgkmcnt(0)
	v_add_f32_e32 v32, v32, v33
	v_cmp_gt_i32_e64 s[6:7], s33, v28
	v_max_f32_e32 v33, v23, v23
	v_mul_f32_e32 v34, s8, v34
	v_cndmask_b32_e64 v34, 0, v34, s[0:1]
	v_fmac_f32_e32 v34, s9, v32
	v_cndmask_b32_e64 v32, 0, v34, s[6:7]
	ds_write_b32 v29, v32
	v_max_f32_e32 v32, v33, v34
	v_cndmask_b32_e64 v23, v23, v32, s[6:7]
	s_branch .LBB13_8
.LBB13_11:
	s_or_b64 exec, exec, s[28:29]
.LBB13_12:
	s_or_b64 exec, exec, s[26:27]
	v_xor_b32_e32 v2, 32, v21
	v_cmp_lt_i32_e32 vcc, v2, v22
	v_xor_b32_e32 v5, 16, v21
	v_max_f32_e32 v4, v23, v23
	v_cndmask_b32_e32 v2, v21, v2, vcc
	v_lshlrev_b32_e32 v3, 2, v2
	ds_bpermute_b32 v2, v3, v23
	v_cmp_lt_i32_e32 vcc, v5, v22
	v_xor_b32_e32 v7, 8, v21
	s_waitcnt lgkmcnt(0)
	v_max_f32_e32 v2, v2, v2
	v_max_f32_e32 v2, v4, v2
	v_cndmask_b32_e32 v4, v21, v5, vcc
	v_lshlrev_b32_e32 v6, 2, v4
	ds_bpermute_b32 v4, v6, v2
	v_cmp_lt_i32_e32 vcc, v7, v22
	s_waitcnt lgkmcnt(0)
	v_max_f32_e32 v4, v4, v4
	v_max_f32_e32 v5, v2, v4
	v_cndmask_b32_e32 v2, v21, v7, vcc
	v_lshlrev_b32_e32 v7, 2, v2
	ds_bpermute_b32 v8, v7, v5
	v_and_b32_e32 v4, 63, v0
	v_cmp_eq_u32_e32 vcc, 0, v4
	v_lshlrev_b32_e32 v2, 2, v30
	s_and_saveexec_b64 s[0:1], vcc
	s_cbranch_execz .LBB13_14
; %bb.13:
	s_waitcnt lgkmcnt(0)
	v_max_f32_e32 v8, v8, v8
	v_max_f32_e32 v5, v5, v5
	;; [unrolled: 1-line block ×3, first 2 shown]
	ds_write_b32 v2, v5 offset:448
.LBB13_14:
	s_or_b64 exec, exec, s[0:1]
	v_cmp_gt_u32_e64 s[0:1], 2, v4
	s_waitcnt lgkmcnt(0)
	v_mov_b32_e32 v8, 0xff7fffff
	v_lshlrev_b32_e32 v5, 2, v4
	s_barrier
	s_and_saveexec_b64 s[6:7], s[0:1]
	s_cbranch_execz .LBB13_16
; %bb.15:
	ds_read_b32 v8, v5 offset:448
.LBB13_16:
	s_or_b64 exec, exec, s[6:7]
	v_xor_b32_e32 v9, 1, v21
	v_cmp_lt_i32_e64 s[6:7], v9, v22
	v_lshlrev_b32_e32 v10, 2, v21
	s_nop 0
	v_cndmask_b32_e64 v9, v21, v9, s[6:7]
	v_lshlrev_b32_e32 v31, 2, v9
	s_waitcnt lgkmcnt(0)
	ds_bpermute_b32 v9, v31, v8
	v_max_f32_e32 v8, v8, v8
	s_lshl_b32 s6, s17, 3
	s_min_i32 s12, s6, s33
	v_cmp_gt_i32_e64 s[6:7], s12, v0
	s_waitcnt lgkmcnt(0)
	v_max_f32_e32 v9, v9, v9
	v_max_f32_e32 v9, v8, v9
	v_and_b32_e32 v8, 0xffffff00, v10
	ds_bpermute_b32 v10, v8, v9
	v_mov_b32_e32 v9, 0
	s_and_saveexec_b64 s[26:27], s[6:7]
	s_cbranch_execz .LBB13_20
; %bb.17:
	v_mov_b32_e32 v9, 0x1d0
	v_lshl_add_u32 v11, v0, 2, v9
	s_mov_b64 s[28:29], 0
	v_mov_b32_e32 v9, 0
	v_mov_b32_e32 v12, v0
.LBB13_18:                              ; =>This Inner Loop Header: Depth=1
	ds_read_b32 v13, v11
	v_add_u32_e32 v12, 0x80, v12
	v_cmp_le_i32_e64 s[8:9], s12, v12
	s_or_b64 s[28:29], s[8:9], s[28:29]
	s_waitcnt lgkmcnt(0)
	v_sub_f32_e32 v13, v13, v10
	v_mul_f32_e32 v13, 0x3fb8aa3b, v13
	v_exp_f32_e32 v13, v13
	ds_write_b32 v11, v13
	v_add_f32_e32 v9, v9, v13
	v_add_u32_e32 v11, 0x200, v11
	s_andn2_b64 exec, exec, s[28:29]
	s_cbranch_execnz .LBB13_18
; %bb.19:
	s_or_b64 exec, exec, s[28:29]
.LBB13_20:
	s_or_b64 exec, exec, s[26:27]
	ds_bpermute_b32 v3, v3, v9
	s_waitcnt lgkmcnt(0)
	v_add_f32_e32 v3, v9, v3
	ds_bpermute_b32 v6, v6, v3
	s_waitcnt lgkmcnt(0)
	v_add_f32_e32 v3, v3, v6
	ds_bpermute_b32 v6, v7, v3
	v_xor_b32_e32 v7, 4, v21
	v_cmp_lt_i32_e64 s[8:9], v7, v22
	s_waitcnt lgkmcnt(0)
	v_add_f32_e32 v3, v3, v6
	v_cndmask_b32_e64 v7, v21, v7, s[8:9]
	v_lshlrev_b32_e32 v7, 2, v7
	ds_bpermute_b32 v6, v7, v3
	v_xor_b32_e32 v7, 2, v21
	v_cmp_lt_i32_e64 s[8:9], v7, v22
	s_waitcnt lgkmcnt(0)
	v_add_f32_e32 v3, v3, v6
	v_cndmask_b32_e64 v7, v21, v7, s[8:9]
	v_lshlrev_b32_e32 v6, 2, v7
	ds_bpermute_b32 v6, v6, v3
	s_waitcnt lgkmcnt(0)
	v_add_f32_e32 v3, v3, v6
	ds_bpermute_b32 v6, v31, v3
	s_waitcnt lgkmcnt(0)
	v_add_f32_e32 v3, v3, v6
	s_and_saveexec_b64 s[8:9], vcc
	s_cbranch_execz .LBB13_22
; %bb.21:
	ds_write_b32 v2, v3 offset:456
.LBB13_22:
	s_or_b64 exec, exec, s[8:9]
	s_waitcnt lgkmcnt(0)
	s_barrier
	s_and_saveexec_b64 s[8:9], s[0:1]
	s_cbranch_execz .LBB13_24
; %bb.23:
	ds_read_b32 v3, v5 offset:456
.LBB13_24:
	s_or_b64 exec, exec, s[8:9]
	s_waitcnt lgkmcnt(0)
	ds_bpermute_b32 v2, v31, v3
	s_waitcnt lgkmcnt(0)
	v_add_f32_e32 v2, v3, v2
	ds_bpermute_b32 v2, v8, v2
	s_and_saveexec_b64 s[0:1], s[6:7]
	s_cbranch_execz .LBB13_37
; %bb.25:
	s_waitcnt lgkmcnt(0)
	v_add_f32_e32 v2, 0x358637bd, v2
	v_div_scale_f32 v3, s[6:7], v2, v2, 1.0
	v_rcp_f32_e32 v5, v3
	v_div_scale_f32 v6, vcc, 1.0, v2, 1.0
	s_movk_i32 s6, 0x7f
	v_fma_f32 v7, -v3, v5, 1.0
	v_fmac_f32_e32 v5, v7, v5
	v_mul_f32_e32 v7, v6, v5
	v_fma_f32 v8, -v3, v7, v6
	v_fmac_f32_e32 v7, v8, v5
	v_fma_f32 v3, -v3, v7, v6
	v_div_fmas_f32 v3, v3, v5, v7
	v_xad_u32 v5, v0, -1, s12
	v_div_fixup_f32 v2, v3, v2, 1.0
	v_cmp_lt_u32_e32 vcc, s6, v5
	s_mov_b64 s[8:9], -1
	v_mov_b32_e32 v3, v0
	s_and_saveexec_b64 s[6:7], vcc
	s_cbranch_execz .LBB13_34
; %bb.26:
	v_lshrrev_b32_e32 v5, 7, v5
	v_add_u32_e32 v7, -1, v5
	v_lshrrev_b32_e32 v6, 1, v7
	v_mov_b32_e32 v3, v2
	v_add_u32_e32 v6, 1, v6
	v_cmp_lt_u32_e32 vcc, 13, v7
	v_mov_b32_e32 v9, 0
	s_and_saveexec_b64 s[8:9], vcc
	s_cbranch_execz .LBB13_30
; %bb.27:
	v_mov_b32_e32 v8, 0x1d0
	v_and_b32_e32 v7, -8, v6
	v_lshl_add_u32 v8, v0, 2, v8
	s_mov_b32 s15, 0
	s_mov_b64 s[26:27], 0
.LBB13_28:                              ; =>This Inner Loop Header: Depth=1
	ds_read2st64_b32 v[10:11], v8 offset1:2
	ds_read2st64_b32 v[12:13], v8 offset0:4 offset1:6
	ds_read2st64_b32 v[14:15], v8 offset0:8 offset1:10
	;; [unrolled: 1-line block ×3, first 2 shown]
	v_add_u32_e32 v7, -8, v7
	s_waitcnt lgkmcnt(3)
	v_pk_mul_f32 v[10:11], v[2:3], v[10:11]
	s_waitcnt lgkmcnt(2)
	v_pk_mul_f32 v[12:13], v[2:3], v[12:13]
	ds_write2st64_b32 v8, v10, v11 offset1:2
	ds_write2st64_b32 v8, v12, v13 offset0:4 offset1:6
	ds_read2st64_b32 v[12:13], v8 offset0:16 offset1:18
	s_waitcnt lgkmcnt(4)
	v_pk_mul_f32 v[10:11], v[2:3], v[14:15]
	ds_write2st64_b32 v8, v10, v11 offset0:8 offset1:10
	s_waitcnt lgkmcnt(4)
	v_pk_mul_f32 v[10:11], v[2:3], v[16:17]
	ds_write2st64_b32 v8, v10, v11 offset0:12 offset1:14
	ds_read2st64_b32 v[10:11], v8 offset0:20 offset1:22
	s_waitcnt lgkmcnt(3)
	v_pk_mul_f32 v[12:13], v[2:3], v[12:13]
	ds_read2st64_b32 v[14:15], v8 offset0:24 offset1:26
	ds_write2st64_b32 v8, v12, v13 offset0:16 offset1:18
	ds_read2st64_b32 v[12:13], v8 offset0:28 offset1:30
	s_waitcnt lgkmcnt(3)
	v_pk_mul_f32 v[10:11], v[2:3], v[10:11]
	ds_write2st64_b32 v8, v10, v11 offset0:20 offset1:22
	s_waitcnt lgkmcnt(3)
	v_pk_mul_f32 v[10:11], v[2:3], v[14:15]
	ds_write2st64_b32 v8, v10, v11 offset0:24 offset1:26
	s_waitcnt lgkmcnt(2)
	v_pk_mul_f32 v[10:11], v[2:3], v[12:13]
	s_add_i32 s15, s15, 16
	v_cmp_eq_u32_e32 vcc, 0, v7
	ds_write2st64_b32 v8, v10, v11 offset0:28 offset1:30
	v_add_u32_e32 v8, 0x2000, v8
	s_or_b64 s[26:27], vcc, s[26:27]
	v_mov_b32_e32 v9, s15
	s_andn2_b64 exec, exec, s[26:27]
	s_cbranch_execnz .LBB13_28
; %bb.29:
	s_or_b64 exec, exec, s[26:27]
.LBB13_30:
	s_or_b64 exec, exec, s[8:9]
	v_and_b32_e32 v6, 7, v6
	v_cmp_ne_u32_e32 vcc, 0, v6
	s_and_saveexec_b64 s[8:9], vcc
	s_cbranch_execz .LBB13_33
; %bb.31:
	v_lshlrev_b32_e32 v7, 9, v9
	s_movk_i32 s15, 0x1d0
	v_add3_u32 v7, v7, v20, s15
	s_mov_b64 s[26:27], 0
.LBB13_32:                              ; =>This Inner Loop Header: Depth=1
	ds_read2st64_b32 v[8:9], v7 offset1:2
	v_add_u32_e32 v6, -1, v6
	v_cmp_eq_u32_e32 vcc, 0, v6
	s_or_b64 s[26:27], vcc, s[26:27]
	s_waitcnt lgkmcnt(0)
	v_pk_mul_f32 v[8:9], v[2:3], v[8:9]
	ds_write2st64_b32 v7, v8, v9 offset1:2
	v_add_u32_e32 v7, 0x400, v7
	s_andn2_b64 exec, exec, s[26:27]
	s_cbranch_execnz .LBB13_32
.LBB13_33:
	s_or_b64 exec, exec, s[8:9]
	v_add_u32_e32 v5, 1, v5
	v_and_b32_e32 v6, 0x3fffffe, v5
	v_cmp_ne_u32_e32 vcc, v5, v6
	v_lshl_add_u32 v3, v6, 7, v0
	s_orn2_b64 s[8:9], vcc, exec
.LBB13_34:
	s_or_b64 exec, exec, s[6:7]
	s_and_b64 exec, exec, s[8:9]
	s_cbranch_execz .LBB13_37
; %bb.35:
	v_mov_b32_e32 v5, 0x1d0
	v_lshl_add_u32 v5, v3, 2, v5
	s_mov_b64 s[6:7], 0
.LBB13_36:                              ; =>This Inner Loop Header: Depth=1
	ds_read_b32 v6, v5
	v_add_u32_e32 v3, 0x80, v3
	v_cmp_le_i32_e32 vcc, s12, v3
	s_or_b64 s[6:7], vcc, s[6:7]
	s_waitcnt lgkmcnt(0)
	v_mul_f32_e32 v6, v2, v6
	ds_write_b32 v5, v6
	v_add_u32_e32 v5, 0x200, v5
	s_andn2_b64 exec, exec, s[6:7]
	s_cbranch_execnz .LBB13_36
.LBB13_37:
	s_or_b64 exec, exec, s[0:1]
	v_mov_b32_e32 v19, 0
	v_lshrrev_b32_e32 v33, 1, v4
	v_and_b32_e32 v32, 1, v0
	v_mov_b32_e32 v18, v19
	v_mov_b32_e32 v23, v19
	;; [unrolled: 1-line block ×3, first 2 shown]
	s_waitcnt lgkmcnt(0)
	s_barrier
	s_and_saveexec_b64 s[6:7], s[2:3]
	s_cbranch_execz .LBB13_51
; %bb.38:
	s_ashr_i32 s15, s14, 31
	s_lshl_b64 s[0:1], s[14:15], 2
	s_add_u32 s8, s24, s0
	v_or_b32_e32 v4, 0x60, v33
	s_movk_i32 s0, 0x70
	v_and_b32_e32 v3, 4, v20
	s_addc_u32 s9, s25, s1
	s_add_i32 s24, s17, -1
	v_cmp_gt_u32_e32 vcc, s0, v4
	v_lshlrev_b32_e32 v5, 3, v30
	s_lshl_b64 s[0:1], s[22:23], 2
	v_lshl_or_b32 v2, v33, 3, v3
	v_lshl_or_b32 v4, v4, 3, v3
	v_or3_b32 v34, v5, v3, 3
	v_lshlrev_b32_e32 v3, 4, v32
	s_add_u32 s0, s20, s0
	v_mov_b32_e32 v21, 0
	v_lshl_or_b32 v3, v30, 5, v3
	v_and_b32_e32 v20, 60, v24
	s_addc_u32 s1, s21, s1
	s_mov_b32 s26, s13
	v_add_u32_e32 v35, 0x1d0, v3
	v_lshl_add_u64 v[24:25], s[0:1], 0, v[20:21]
	s_mov_b64 s[12:13], 0
	v_lshlrev_b32_e32 v26, 2, v2
	v_mov_b32_e32 v27, v21
	v_lshlrev_b32_e32 v20, 2, v4
	v_mov_b32_e32 v22, v21
	v_mov_b32_e32 v23, v21
	;; [unrolled: 1-line block ×4, first 2 shown]
	s_branch .LBB13_41
.LBB13_39:                              ;   in Loop: Header=BB13_41 Depth=1
	s_or_b64 exec, exec, s[14:15]
	s_waitcnt vmcnt(0)
	v_mul_f32_e32 v3, v3, v7
	v_fmac_f32_e32 v3, v2, v6
	v_fmac_f32_e32 v3, v4, v8
	;; [unrolled: 1-line block ×3, first 2 shown]
	v_add_f32_e32 v19, v19, v3
.LBB13_40:                              ;   in Loop: Header=BB13_41 Depth=1
	s_or_b64 exec, exec, s[2:3]
	v_add_u32_e32 v30, 2, v30
	v_cmp_le_i32_e64 s[0:1], s17, v30
	v_add_u32_e32 v34, 16, v34
	v_add_u32_e32 v35, 64, v35
	s_or_b64 s[12:13], s[0:1], s[12:13]
	v_lshl_add_u64 v[24:25], v[24:25], 0, 8
	s_andn2_b64 exec, exec, s[12:13]
	s_cbranch_execz .LBB13_50
.LBB13_41:                              ; =>This Inner Loop Header: Depth=1
	global_load_dword v2, v[24:25], off
	v_add_u32_e32 v36, -3, v34
	s_waitcnt vmcnt(0)
	v_mad_i64_i32 v[2:3], s[0:1], v2, s26, 0
	v_lshl_add_u64 v[28:29], v[2:3], 2, s[8:9]
	v_lshl_add_u64 v[14:15], v[28:29], 0, v[26:27]
	global_load_dwordx4 v[6:9], v[14:15], off
	ds_read_b128 v[2:5], v35
	v_cmp_eq_u32_e64 s[0:1], s24, v30
	s_and_saveexec_b64 s[14:15], s[0:1]
	s_cbranch_execnz .LBB13_48
; %bb.42:                               ;   in Loop: Header=BB13_41 Depth=1
	s_or_b64 exec, exec, s[14:15]
	global_load_dwordx4 v[10:13], v[14:15], off offset:1024
	s_and_saveexec_b64 s[14:15], s[0:1]
	s_cbranch_execnz .LBB13_49
.LBB13_43:                              ;   in Loop: Header=BB13_41 Depth=1
	s_or_b64 exec, exec, s[14:15]
	global_load_dwordx4 v[14:17], v[14:15], off offset:2048
	s_and_saveexec_b64 s[14:15], s[0:1]
	s_cbranch_execz .LBB13_45
.LBB13_44:                              ;   in Loop: Header=BB13_41 Depth=1
	v_cmp_gt_i32_e64 s[2:3], s33, v36
	v_add_u32_e32 v37, -2, v34
	s_waitcnt vmcnt(0)
	v_cndmask_b32_e64 v14, 0, v14, s[2:3]
	v_cmp_gt_i32_e64 s[2:3], s33, v37
	v_add_u32_e32 v37, -1, v34
	s_nop 0
	v_cndmask_b32_e64 v15, 0, v15, s[2:3]
	v_cmp_gt_i32_e64 s[2:3], s33, v37
	s_nop 1
	v_cndmask_b32_e64 v16, 0, v16, s[2:3]
	v_cmp_gt_i32_e64 s[2:3], s33, v34
	s_nop 1
	v_cndmask_b32_e64 v17, 0, v17, s[2:3]
.LBB13_45:                              ;   in Loop: Header=BB13_41 Depth=1
	s_or_b64 exec, exec, s[14:15]
	s_waitcnt vmcnt(2) lgkmcnt(0)
	v_mul_f32_e32 v7, v3, v7
	v_fmac_f32_e32 v7, v2, v6
	s_waitcnt vmcnt(1)
	v_mul_f32_e32 v6, v3, v11
	v_fmac_f32_e32 v6, v2, v10
	v_fmac_f32_e32 v6, v4, v12
	;; [unrolled: 1-line block ×3, first 2 shown]
	v_add_f32_e32 v23, v23, v6
	s_waitcnt vmcnt(0)
	v_mul_f32_e32 v6, v3, v15
	v_fmac_f32_e32 v6, v2, v14
	v_fmac_f32_e32 v7, v4, v8
	;; [unrolled: 1-line block ×5, first 2 shown]
	v_add_f32_e32 v22, v22, v7
	v_add_f32_e32 v18, v18, v6
	s_and_saveexec_b64 s[2:3], vcc
	s_cbranch_execz .LBB13_40
; %bb.46:                               ;   in Loop: Header=BB13_41 Depth=1
	v_lshl_add_u64 v[6:7], v[28:29], 0, v[20:21]
	global_load_dwordx4 v[6:9], v[6:7], off
	s_and_saveexec_b64 s[14:15], s[0:1]
	s_cbranch_execz .LBB13_39
; %bb.47:                               ;   in Loop: Header=BB13_41 Depth=1
	v_cmp_gt_i32_e64 s[0:1], s33, v36
	v_add_u32_e32 v10, -2, v34
	s_waitcnt vmcnt(0)
	v_cndmask_b32_e64 v6, 0, v6, s[0:1]
	v_cmp_gt_i32_e64 s[0:1], s33, v10
	v_add_u32_e32 v10, -1, v34
	s_nop 0
	v_cndmask_b32_e64 v7, 0, v7, s[0:1]
	v_cmp_gt_i32_e64 s[0:1], s33, v10
	s_nop 1
	v_cndmask_b32_e64 v8, 0, v8, s[0:1]
	v_cmp_gt_i32_e64 s[0:1], s33, v34
	s_nop 1
	v_cndmask_b32_e64 v9, 0, v9, s[0:1]
	s_branch .LBB13_39
.LBB13_48:                              ;   in Loop: Header=BB13_41 Depth=1
	v_cmp_gt_i32_e64 s[2:3], s33, v36
	v_add_u32_e32 v10, -2, v34
	s_waitcnt vmcnt(0)
	v_cndmask_b32_e64 v6, 0, v6, s[2:3]
	v_cmp_gt_i32_e64 s[2:3], s33, v10
	v_add_u32_e32 v10, -1, v34
	s_nop 0
	v_cndmask_b32_e64 v7, 0, v7, s[2:3]
	v_cmp_gt_i32_e64 s[2:3], s33, v10
	s_nop 1
	v_cndmask_b32_e64 v8, 0, v8, s[2:3]
	v_cmp_gt_i32_e64 s[2:3], s33, v34
	s_nop 1
	v_cndmask_b32_e64 v9, 0, v9, s[2:3]
	s_or_b64 exec, exec, s[14:15]
	global_load_dwordx4 v[10:13], v[14:15], off offset:1024
	s_and_saveexec_b64 s[14:15], s[0:1]
	s_cbranch_execz .LBB13_43
.LBB13_49:                              ;   in Loop: Header=BB13_41 Depth=1
	v_cmp_gt_i32_e64 s[2:3], s33, v36
	v_add_u32_e32 v16, -2, v34
	s_waitcnt vmcnt(0)
	v_cndmask_b32_e64 v10, 0, v10, s[2:3]
	v_cmp_gt_i32_e64 s[2:3], s33, v16
	v_add_u32_e32 v16, -1, v34
	s_nop 0
	v_cndmask_b32_e64 v11, 0, v11, s[2:3]
	v_cmp_gt_i32_e64 s[2:3], s33, v16
	s_nop 1
	v_cndmask_b32_e64 v12, 0, v12, s[2:3]
	v_cmp_gt_i32_e64 s[2:3], s33, v34
	s_nop 1
	v_cndmask_b32_e64 v13, 0, v13, s[2:3]
	s_or_b64 exec, exec, s[14:15]
	global_load_dwordx4 v[14:17], v[14:15], off offset:2048
	s_and_saveexec_b64 s[14:15], s[0:1]
	s_cbranch_execnz .LBB13_44
	s_branch .LBB13_45
.LBB13_50:
	s_or_b64 exec, exec, s[12:13]
.LBB13_51:
	s_or_b64 exec, exec, s[6:7]
	ds_bpermute_b32 v2, v31, v22
	ds_bpermute_b32 v3, v31, v23
	;; [unrolled: 1-line block ×4, first 2 shown]
	s_waitcnt lgkmcnt(0)
	s_barrier
	v_pk_add_f32 v[4:5], v[22:23], v[2:3]
	v_pk_add_f32 v[2:3], v[18:19], v[6:7]
	v_and_b32_e32 v6, 0x3c0, v0
	v_cmp_eq_u32_e32 vcc, 64, v6
	s_and_saveexec_b64 s[2:3], vcc
	s_cbranch_execz .LBB13_56
; %bb.52:
	v_cmp_eq_u32_e32 vcc, 0, v32
	s_and_saveexec_b64 s[0:1], vcc
	s_cbranch_execz .LBB13_54
; %bb.53:
	v_mov_b32_e32 v6, 0x1d0
	v_lshl_add_u32 v6, v33, 2, v6
	ds_write2_b32 v6, v4, v5 offset1:32
	ds_write_b32 v6, v2 offset:256
.LBB13_54:
	s_or_b64 exec, exec, s[0:1]
	v_or_b32_e32 v6, 0x60, v33
	s_movk_i32 s0, 0x70
	v_cmp_gt_u32_e64 s[0:1], s0, v6
	s_and_b64 s[0:1], vcc, s[0:1]
	s_and_b64 exec, exec, s[0:1]
	s_cbranch_execz .LBB13_56
; %bb.55:
	v_mov_b32_e32 v6, 0x1d0
	v_lshl_add_u32 v6, v33, 2, v6
	ds_write_b32 v6, v3 offset:384
.LBB13_56:
	s_or_b64 exec, exec, s[2:3]
	v_cmp_gt_u32_e32 vcc, 64, v0
	s_waitcnt lgkmcnt(0)
	s_barrier
	s_and_saveexec_b64 s[6:7], vcc
	s_cbranch_execz .LBB13_64
; %bb.57:
	v_cmp_eq_u32_e64 s[0:1], 0, v32
	s_and_saveexec_b64 s[2:3], s[0:1]
	s_cbranch_execnz .LBB13_70
; %bb.58:
	s_or_b64 exec, exec, s[2:3]
	s_and_saveexec_b64 s[2:3], s[0:1]
	s_cbranch_execnz .LBB13_71
.LBB13_59:
	s_or_b64 exec, exec, s[2:3]
	s_and_saveexec_b64 s[2:3], s[0:1]
	s_cbranch_execz .LBB13_61
.LBB13_60:
	v_mov_b32_e32 v0, 0x1d0
	v_lshl_add_u32 v0, v1, 2, v0
	ds_read_b32 v0, v0 offset:256
	s_waitcnt lgkmcnt(0)
	v_add_f32_e32 v2, v2, v0
.LBB13_61:
	s_or_b64 exec, exec, s[2:3]
	v_or_b32_e32 v0, 0x60, v1
	s_movk_i32 s2, 0x70
	v_cmp_gt_u32_e64 s[2:3], s2, v0
	s_and_b64 s[2:3], s[0:1], s[2:3]
	s_and_saveexec_b64 s[0:1], s[2:3]
	s_cbranch_execz .LBB13_63
; %bb.62:
	v_mov_b32_e32 v0, 0x1d0
	v_lshl_add_u32 v0, v1, 2, v0
	ds_read_b32 v0, v0 offset:384
	s_waitcnt lgkmcnt(0)
	v_add_f32_e32 v3, v3, v0
.LBB13_63:
	s_or_b64 exec, exec, s[0:1]
.LBB13_64:
	s_or_b64 exec, exec, s[6:7]
	s_barrier
	s_and_saveexec_b64 s[0:1], vcc
	s_cbranch_execz .LBB13_69
; %bb.65:
	s_mul_i32 s0, s10, s11
	s_mul_i32 s0, s0, s5
	s_mulk_i32 s0, 0x70
	s_ashr_i32 s1, s0, 31
	s_lshl_b64 s[0:1], s[0:1], 2
	s_add_u32 s2, s18, s0
	s_mul_i32 s0, s11, s16
	s_addc_u32 s3, s19, s1
	s_ashr_i32 s1, s0, 31
	s_lshl_b64 s[0:1], s[0:1], 2
	s_add_u32 s2, s2, s0
	s_mul_i32 s0, s4, 0x70
	s_addc_u32 s3, s3, s1
	s_ashr_i32 s1, s0, 31
	s_lshl_b64 s[0:1], s[0:1], 2
	s_add_u32 s2, s2, s0
	s_movk_i32 s5, 0x70
	s_addc_u32 s3, s3, s1
	v_cmp_eq_u32_e32 vcc, 0, v32
	v_lshlrev_b32_e32 v0, 2, v1
	s_and_saveexec_b64 s[0:1], vcc
	s_cbranch_execz .LBB13_67
; %bb.66:
	global_store_dword v0, v4, s[2:3]
	global_store_dword v0, v5, s[2:3] offset:128
	global_store_dword v0, v2, s[2:3] offset:256
.LBB13_67:
	s_or_b64 exec, exec, s[0:1]
	v_or_b32_e32 v1, 0x60, v1
	v_cmp_gt_u32_e64 s[0:1], s5, v1
	s_and_b64 s[0:1], vcc, s[0:1]
	s_and_b64 exec, exec, s[0:1]
	s_cbranch_execz .LBB13_69
; %bb.68:
	global_store_dword v0, v3, s[2:3] offset:384
.LBB13_69:
	s_endpgm
.LBB13_70:
	v_mov_b32_e32 v0, 0x1d0
	v_lshl_add_u32 v0, v1, 2, v0
	ds_read_b32 v0, v0
	s_waitcnt lgkmcnt(0)
	v_add_f32_e32 v4, v4, v0
	s_or_b64 exec, exec, s[2:3]
	s_and_saveexec_b64 s[2:3], s[0:1]
	s_cbranch_execz .LBB13_59
.LBB13_71:
	v_mov_b32_e32 v0, 0x1d0
	v_lshl_add_u32 v0, v1, 2, v0
	ds_read_b32 v0, v0 offset:128
	s_waitcnt lgkmcnt(0)
	v_add_f32_e32 v5, v5, v0
	s_or_b64 exec, exec, s[2:3]
	s_and_saveexec_b64 s[2:3], s[0:1]
	s_cbranch_execnz .LBB13_60
	s_branch .LBB13_61
	.section	.rodata,"a",@progbits
	.p2align	6, 0x0
	.amdhsa_kernel _ZN4vllm25paged_attention_v1_kernelIffLi112ELi8ELi128ELNS_18Fp8KVCacheDataTypeE0ELb0EEEvPT_PKS2_PKT0_S8_ifPKiSA_iPKfiiiSC_SC_iiiii
		.amdhsa_group_segment_fixed_size 464
		.amdhsa_private_segment_fixed_size 0
		.amdhsa_kernarg_size 384
		.amdhsa_user_sgpr_count 2
		.amdhsa_user_sgpr_dispatch_ptr 0
		.amdhsa_user_sgpr_queue_ptr 0
		.amdhsa_user_sgpr_kernarg_segment_ptr 1
		.amdhsa_user_sgpr_dispatch_id 0
		.amdhsa_user_sgpr_kernarg_preload_length 0
		.amdhsa_user_sgpr_kernarg_preload_offset 0
		.amdhsa_user_sgpr_private_segment_size 0
		.amdhsa_uses_dynamic_stack 0
		.amdhsa_enable_private_segment 0
		.amdhsa_system_sgpr_workgroup_id_x 1
		.amdhsa_system_sgpr_workgroup_id_y 1
		.amdhsa_system_sgpr_workgroup_id_z 1
		.amdhsa_system_sgpr_workgroup_info 0
		.amdhsa_system_vgpr_workitem_id 0
		.amdhsa_next_free_vgpr 48
		.amdhsa_next_free_sgpr 34
		.amdhsa_accum_offset 48
		.amdhsa_reserve_vcc 1
		.amdhsa_float_round_mode_32 0
		.amdhsa_float_round_mode_16_64 0
		.amdhsa_float_denorm_mode_32 3
		.amdhsa_float_denorm_mode_16_64 3
		.amdhsa_dx10_clamp 1
		.amdhsa_ieee_mode 1
		.amdhsa_fp16_overflow 0
		.amdhsa_tg_split 0
		.amdhsa_exception_fp_ieee_invalid_op 0
		.amdhsa_exception_fp_denorm_src 0
		.amdhsa_exception_fp_ieee_div_zero 0
		.amdhsa_exception_fp_ieee_overflow 0
		.amdhsa_exception_fp_ieee_underflow 0
		.amdhsa_exception_fp_ieee_inexact 0
		.amdhsa_exception_int_div_zero 0
	.end_amdhsa_kernel
	.section	.text._ZN4vllm25paged_attention_v1_kernelIffLi112ELi8ELi128ELNS_18Fp8KVCacheDataTypeE0ELb0EEEvPT_PKS2_PKT0_S8_ifPKiSA_iPKfiiiSC_SC_iiiii,"axG",@progbits,_ZN4vllm25paged_attention_v1_kernelIffLi112ELi8ELi128ELNS_18Fp8KVCacheDataTypeE0ELb0EEEvPT_PKS2_PKT0_S8_ifPKiSA_iPKfiiiSC_SC_iiiii,comdat
.Lfunc_end13:
	.size	_ZN4vllm25paged_attention_v1_kernelIffLi112ELi8ELi128ELNS_18Fp8KVCacheDataTypeE0ELb0EEEvPT_PKS2_PKT0_S8_ifPKiSA_iPKfiiiSC_SC_iiiii, .Lfunc_end13-_ZN4vllm25paged_attention_v1_kernelIffLi112ELi8ELi128ELNS_18Fp8KVCacheDataTypeE0ELb0EEEvPT_PKS2_PKT0_S8_ifPKiSA_iPKfiiiSC_SC_iiiii
                                        ; -- End function
	.section	.AMDGPU.csdata,"",@progbits
; Kernel info:
; codeLenInByte = 4152
; NumSgprs: 40
; NumVgprs: 48
; NumAgprs: 0
; TotalNumVgprs: 48
; ScratchSize: 0
; MemoryBound: 0
; FloatMode: 240
; IeeeMode: 1
; LDSByteSize: 464 bytes/workgroup (compile time only)
; SGPRBlocks: 4
; VGPRBlocks: 5
; NumSGPRsForWavesPerEU: 40
; NumVGPRsForWavesPerEU: 48
; AccumOffset: 48
; Occupancy: 8
; WaveLimiterHint : 1
; COMPUTE_PGM_RSRC2:SCRATCH_EN: 0
; COMPUTE_PGM_RSRC2:USER_SGPR: 2
; COMPUTE_PGM_RSRC2:TRAP_HANDLER: 0
; COMPUTE_PGM_RSRC2:TGID_X_EN: 1
; COMPUTE_PGM_RSRC2:TGID_Y_EN: 1
; COMPUTE_PGM_RSRC2:TGID_Z_EN: 1
; COMPUTE_PGM_RSRC2:TIDIG_COMP_CNT: 0
; COMPUTE_PGM_RSRC3_GFX90A:ACCUM_OFFSET: 11
; COMPUTE_PGM_RSRC3_GFX90A:TG_SPLIT: 0
	.section	.text._ZN4vllm25paged_attention_v1_kernelIffLi120ELi8ELi128ELNS_18Fp8KVCacheDataTypeE0ELb0EEEvPT_PKS2_PKT0_S8_ifPKiSA_iPKfiiiSC_SC_iiiii,"axG",@progbits,_ZN4vllm25paged_attention_v1_kernelIffLi120ELi8ELi128ELNS_18Fp8KVCacheDataTypeE0ELb0EEEvPT_PKS2_PKT0_S8_ifPKiSA_iPKfiiiSC_SC_iiiii,comdat
	.protected	_ZN4vllm25paged_attention_v1_kernelIffLi120ELi8ELi128ELNS_18Fp8KVCacheDataTypeE0ELb0EEEvPT_PKS2_PKT0_S8_ifPKiSA_iPKfiiiSC_SC_iiiii ; -- Begin function _ZN4vllm25paged_attention_v1_kernelIffLi120ELi8ELi128ELNS_18Fp8KVCacheDataTypeE0ELb0EEEvPT_PKS2_PKT0_S8_ifPKiSA_iPKfiiiSC_SC_iiiii
	.globl	_ZN4vllm25paged_attention_v1_kernelIffLi120ELi8ELi128ELNS_18Fp8KVCacheDataTypeE0ELb0EEEvPT_PKS2_PKT0_S8_ifPKiSA_iPKfiiiSC_SC_iiiii
	.p2align	8
	.type	_ZN4vllm25paged_attention_v1_kernelIffLi120ELi8ELi128ELNS_18Fp8KVCacheDataTypeE0ELb0EEEvPT_PKS2_PKT0_S8_ifPKiSA_iPKfiiiSC_SC_iiiii,@function
_ZN4vllm25paged_attention_v1_kernelIffLi120ELi8ELi128ELNS_18Fp8KVCacheDataTypeE0ELb0EEEvPT_PKS2_PKT0_S8_ifPKiSA_iPKfiiiSC_SC_iiiii: ; @_ZN4vllm25paged_attention_v1_kernelIffLi120ELi8ELi128ELNS_18Fp8KVCacheDataTypeE0ELb0EEEvPT_PKS2_PKT0_S8_ifPKiSA_iPKfiiiSC_SC_iiiii
; %bb.0:
	s_load_dword s5, s[0:1], 0x80
	s_load_dwordx2 s[6:7], s[0:1], 0x30
	s_load_dwordx2 s[8:9], s[0:1], 0x20
	s_mov_b32 s10, s3
	s_ashr_i32 s11, s3, 31
	s_lshl_b64 s[12:13], s[10:11], 2
	s_waitcnt lgkmcnt(0)
	s_add_u32 s6, s6, s12
	s_addc_u32 s7, s7, s13
	s_abs_i32 s3, s8
	v_cvt_f32_u32_e32 v1, s3
	s_sub_i32 s12, 0, s3
	s_abs_i32 s11, s5
	s_xor_b32 s8, s5, s8
	v_rcp_iflag_f32_e32 v1, v1
	s_ashr_i32 s8, s8, 31
	v_mul_f32_e32 v1, 0x4f7ffffe, v1
	v_cvt_u32_f32_e32 v1, v1
	s_nop 0
	v_readfirstlane_b32 s13, v1
	s_mul_i32 s12, s12, s13
	s_mul_hi_u32 s12, s13, s12
	s_add_i32 s13, s13, s12
	s_mul_hi_u32 s12, s11, s13
	s_mul_i32 s13, s12, s3
	s_sub_i32 s11, s11, s13
	s_add_i32 s13, s12, 1
	s_sub_i32 s14, s11, s3
	s_cmp_ge_u32 s11, s3
	s_cselect_b32 s12, s13, s12
	s_cselect_b32 s11, s14, s11
	s_add_i32 s13, s12, 1
	s_cmp_ge_u32 s11, s3
	s_cselect_b32 s3, s13, s12
	s_xor_b32 s3, s3, s8
	s_sub_i32 s14, s3, s8
	s_abs_i32 s11, s14
	v_cvt_f32_u32_e32 v1, s11
	s_load_dwordx2 s[12:13], s[0:1], 0x40
	s_sub_i32 s3, 0, s11
	s_abs_i32 s18, s2
	v_rcp_iflag_f32_e32 v1, v1
	s_mov_b32 s8, 0
	v_mul_f32_e32 v1, 0x4f7ffffe, v1
	v_cvt_u32_f32_e32 v1, v1
	s_nop 0
	v_readfirstlane_b32 s15, v1
	s_mul_i32 s3, s3, s15
	s_mul_hi_u32 s3, s15, s3
	s_add_i32 s15, s15, s3
	s_waitcnt lgkmcnt(0)
	s_cmp_eq_u64 s[12:13], 0
	s_mul_hi_u32 s19, s18, s15
	s_cbranch_scc1 .LBB14_2
; %bb.1:
	s_ashr_i32 s3, s2, 31
	s_lshl_b64 s[16:17], s[2:3], 2
	s_add_u32 s12, s12, s16
	s_addc_u32 s13, s13, s17
	s_load_dword s8, s[12:13], 0x0
.LBB14_2:
	s_load_dword s33, s[6:7], 0x0
	s_ashr_i32 s7, s14, 31
	s_load_dwordx4 s[12:15], s[0:1], 0x48
	s_movk_i32 s3, 0x78
	s_ashr_i32 s6, s2, 31
	v_and_b32_e32 v16, 7, v0
	s_mul_i32 s16, s2, 0x78
	v_cmp_gt_u32_e32 vcc, s3, v0
	v_lshlrev_b32_e32 v20, 2, v0
	v_lshrrev_b32_e32 v1, 1, v0
	s_and_saveexec_b64 s[2:3], vcc
	s_cbranch_execz .LBB14_4
; %bb.3:
	s_load_dwordx2 s[20:21], s[0:1], 0x8
	s_waitcnt lgkmcnt(0)
	s_mul_i32 s22, s10, s12
	s_ashr_i32 s23, s22, 31
	s_lshl_b64 s[22:23], s[22:23], 2
	v_and_b32_e32 v3, 0x1fc, v1
	s_add_u32 s12, s20, s22
	s_addc_u32 s15, s21, s23
	s_ashr_i32 s17, s16, 31
	s_lshl_b64 s[20:21], s[16:17], 2
	s_add_u32 s20, s12, s20
	s_addc_u32 s21, s15, s21
	global_load_dword v2, v20, s[20:21]
	v_mad_u32_u24 v3, v16, 60, v3
	s_waitcnt vmcnt(0)
	ds_write_b32 v3, v2
.LBB14_4:
	s_or_b64 exec, exec, s[2:3]
	s_waitcnt lgkmcnt(0)
	s_add_i32 s3, s33, 7
	s_ashr_i32 s12, s3, 31
	s_lshr_b32 s12, s12, 29
	s_add_i32 s3, s3, s12
	s_ashr_i32 s17, s3, 3
	s_xor_b32 s3, s6, s7
	s_mul_i32 s6, s19, s11
	s_sub_i32 s6, s18, s6
	s_add_i32 s7, s19, 1
	s_sub_i32 s12, s6, s11
	s_load_dwordx2 s[20:21], s[0:1], 0x28
	s_load_dword s2, s[0:1], 0x38
	s_cmp_ge_u32 s6, s11
	s_cselect_b32 s7, s7, s19
	s_cselect_b32 s6, s12, s6
	s_add_i32 s12, s7, 1
	s_cmp_ge_u32 s6, s11
	s_cselect_b32 s6, s12, s7
	v_lshrrev_b32_e32 v30, 6, v0
	s_xor_b32 s6, s6, s3
	s_waitcnt lgkmcnt(0)
	s_mul_i32 s22, s10, s2
	s_sub_i32 s12, s6, s3
	s_ashr_i32 s23, s22, 31
	v_cmp_gt_i32_e64 s[2:3], s17, v30
	v_cmp_le_i32_e32 vcc, s17, v30
	v_mbcnt_lo_u32_b32 v17, -1, 0
	s_barrier
	s_waitcnt lgkmcnt(0)
                                        ; implicit-def: $sgpr15
                                        ; implicit-def: $vgpr21
                                        ; implicit-def: $vgpr22
	s_and_saveexec_b64 s[6:7], vcc
	s_xor_b64 s[6:7], exec, s[6:7]
; %bb.5:
	v_mbcnt_hi_u32_b32 v21, -1, v17
	v_and_b32_e32 v2, 64, v21
	v_add_u32_e32 v22, 64, v2
	s_mov_b32 s15, 0xff7fffff
                                        ; implicit-def: $vgpr16
                                        ; implicit-def: $vgpr17
; %bb.6:
	s_or_saveexec_b64 s[26:27], s[6:7]
	s_load_dwordx2 s[18:19], s[0:1], 0x0
	s_load_dwordx2 s[24:25], s[0:1], 0x18
	s_load_dword s11, s[0:1], 0x88
	v_mov_b32_e32 v25, s15
	s_mul_i32 s14, s12, s14
	v_lshrrev_b32_e32 v24, 4, v0
	s_xor_b64 exec, exec, s[26:27]
	s_cbranch_execz .LBB14_12
; %bb.7:
	s_load_dwordx2 s[0:1], s[0:1], 0x10
	s_ashr_i32 s15, s14, 31
	s_lshl_b64 s[6:7], s[14:15], 2
	v_bfe_u32 v25, v0, 3, 3
	v_mbcnt_hi_u32_b32 v21, -1, v17
	s_waitcnt lgkmcnt(0)
	s_add_u32 s0, s0, s6
	s_addc_u32 s1, s1, s7
	v_lshlrev_b32_e32 v18, 4, v25
	v_mov_b32_e32 v19, 0
	v_and_b32_e32 v4, 3, v0
	v_and_b32_e32 v17, 64, v21
	v_lshl_add_u64 v[2:3], s[0:1], 0, v[18:19]
	v_lshlrev_b32_e32 v18, 2, v4
	v_add_u32_e32 v22, 64, v17
	v_xor_b32_e32 v17, 4, v21
	v_lshl_add_u64 v[32:33], v[2:3], 0, v[18:19]
	v_mul_u32_u24_e32 v18, 60, v16
	v_cmp_lt_i32_e32 vcc, v17, v22
	ds_read2_b32 v[2:3], v18 offset1:1
	ds_read2_b32 v[4:5], v18 offset0:2 offset1:3
	ds_read2_b32 v[6:7], v18 offset0:4 offset1:5
	;; [unrolled: 1-line block ×6, first 2 shown]
	ds_read_b32 v23, v18 offset:56
	v_cndmask_b32_e32 v17, v21, v17, vcc
	v_lshlrev_b32_e32 v26, 2, v17
	v_xor_b32_e32 v17, 2, v21
	v_cmp_lt_i32_e32 vcc, v17, v22
	v_lshlrev_b32_e32 v31, 2, v25
	s_sub_i32 s15, 1, s33
	v_cndmask_b32_e32 v17, v21, v17, vcc
	v_lshlrev_b32_e32 v27, 2, v17
	v_xor_b32_e32 v17, 1, v21
	v_cmp_lt_i32_e32 vcc, v17, v22
	s_lshl_b64 s[6:7], s[22:23], 2
	s_add_u32 s6, s20, s6
	v_cndmask_b32_e32 v17, v21, v17, vcc
	v_cmp_eq_u32_e32 vcc, 0, v16
	v_lshlrev_b32_e32 v16, 5, v0
	v_and_b32_e32 v18, 0x80, v16
	v_lshlrev_b32_e32 v28, 2, v17
	v_lshl_add_u64 v[16:17], v[32:33], 0, v[18:19]
	v_lshl_or_b32 v18, v30, 5, v31
	v_add_u32_e32 v31, 0x1f0, v18
	v_and_b32_e32 v18, 60, v24
	s_addc_u32 s7, s21, s7
	s_mov_b32 s12, s13
	v_cmp_neq_f32_e64 s[0:1], s8, 0
	v_lshl_or_b32 v29, v30, 3, v25
	v_lshl_add_u64 v[18:19], s[6:7], 0, v[18:19]
	s_mov_b64 s[28:29], 0
	v_mov_b32_e32 v25, 0xff7fffff
	v_mov_b32_e32 v32, v30
	s_branch .LBB14_9
.LBB14_8:                               ;   in Loop: Header=BB14_9 Depth=1
	s_or_b64 exec, exec, s[30:31]
	v_add_u32_e32 v32, 2, v32
	v_cmp_le_i32_e64 s[6:7], s17, v32
	v_add_u32_e32 v29, 16, v29
	v_add_u32_e32 v31, 64, v31
	s_or_b64 s[28:29], s[6:7], s[28:29]
	v_lshl_add_u64 v[18:19], v[18:19], 0, 8
	s_andn2_b64 exec, exec, s[28:29]
	s_cbranch_execz .LBB14_11
.LBB14_9:                               ; =>This Inner Loop Header: Depth=1
	global_load_dword v33, v[18:19], off
	s_waitcnt vmcnt(0) lgkmcnt(0)
	v_mad_i64_i32 v[34:35], s[6:7], v33, s12, 0
	v_lshl_add_u64 v[34:35], v[34:35], 2, v[16:17]
	global_load_dword v33, v[34:35], off offset:256
	global_load_dword v36, v[34:35], off
	global_load_dword v37, v[34:35], off offset:512
	global_load_dword v38, v[34:35], off offset:768
	;; [unrolled: 1-line block ×13, first 2 shown]
	s_waitcnt vmcnt(14) lgkmcnt(7)
	v_mul_f32_e32 v33, v3, v33
	s_waitcnt vmcnt(13)
	v_fmac_f32_e32 v33, v2, v36
	s_waitcnt vmcnt(12) lgkmcnt(6)
	v_fmac_f32_e32 v33, v4, v37
	s_waitcnt vmcnt(11)
	v_fmac_f32_e32 v33, v5, v38
	s_waitcnt vmcnt(10) lgkmcnt(5)
	v_fmac_f32_e32 v33, v6, v39
	;; [unrolled: 4-line block ×7, first 2 shown]
	ds_bpermute_b32 v34, v26, v33
	s_waitcnt lgkmcnt(0)
	v_add_f32_e32 v33, v33, v34
	ds_bpermute_b32 v34, v27, v33
	s_waitcnt lgkmcnt(0)
	v_add_f32_e32 v33, v33, v34
	ds_bpermute_b32 v34, v28, v33
	s_and_saveexec_b64 s[30:31], vcc
	s_cbranch_execz .LBB14_8
; %bb.10:                               ;   in Loop: Header=BB14_9 Depth=1
	v_add_u32_e32 v35, s15, v29
	v_cvt_f32_i32_e32 v35, v35
	s_waitcnt lgkmcnt(0)
	v_add_f32_e32 v33, v33, v34
	v_cmp_gt_i32_e64 s[6:7], s33, v29
	v_max_f32_e32 v34, v25, v25
	v_mul_f32_e32 v35, s8, v35
	v_cndmask_b32_e64 v35, 0, v35, s[0:1]
	v_fmac_f32_e32 v35, s9, v33
	v_cndmask_b32_e64 v33, 0, v35, s[6:7]
	ds_write_b32 v31, v33
	v_max_f32_e32 v33, v34, v35
	v_cndmask_b32_e64 v25, v25, v33, s[6:7]
	s_branch .LBB14_8
.LBB14_11:
	s_or_b64 exec, exec, s[28:29]
.LBB14_12:
	s_or_b64 exec, exec, s[26:27]
	v_xor_b32_e32 v2, 32, v21
	v_cmp_lt_i32_e32 vcc, v2, v22
	v_xor_b32_e32 v5, 16, v21
	v_max_f32_e32 v4, v25, v25
	v_cndmask_b32_e32 v2, v21, v2, vcc
	v_lshlrev_b32_e32 v3, 2, v2
	ds_bpermute_b32 v2, v3, v25
	v_cmp_lt_i32_e32 vcc, v5, v22
	v_xor_b32_e32 v7, 8, v21
	s_waitcnt lgkmcnt(0)
	v_max_f32_e32 v2, v2, v2
	v_max_f32_e32 v2, v4, v2
	v_cndmask_b32_e32 v4, v21, v5, vcc
	v_lshlrev_b32_e32 v6, 2, v4
	ds_bpermute_b32 v4, v6, v2
	v_cmp_lt_i32_e32 vcc, v7, v22
	s_waitcnt lgkmcnt(0)
	v_max_f32_e32 v4, v4, v4
	v_max_f32_e32 v5, v2, v4
	v_cndmask_b32_e32 v2, v21, v7, vcc
	v_lshlrev_b32_e32 v7, 2, v2
	ds_bpermute_b32 v8, v7, v5
	v_and_b32_e32 v4, 63, v0
	v_cmp_eq_u32_e32 vcc, 0, v4
	v_lshlrev_b32_e32 v2, 2, v30
	s_and_saveexec_b64 s[0:1], vcc
	s_cbranch_execz .LBB14_14
; %bb.13:
	s_waitcnt lgkmcnt(0)
	v_max_f32_e32 v8, v8, v8
	v_max_f32_e32 v5, v5, v5
	;; [unrolled: 1-line block ×3, first 2 shown]
	ds_write_b32 v2, v5 offset:480
.LBB14_14:
	s_or_b64 exec, exec, s[0:1]
	v_cmp_gt_u32_e64 s[0:1], 2, v4
	s_waitcnt lgkmcnt(0)
	v_mov_b32_e32 v8, 0xff7fffff
	v_lshlrev_b32_e32 v5, 2, v4
	s_barrier
	s_and_saveexec_b64 s[6:7], s[0:1]
	s_cbranch_execz .LBB14_16
; %bb.15:
	ds_read_b32 v8, v5 offset:480
.LBB14_16:
	s_or_b64 exec, exec, s[6:7]
	v_xor_b32_e32 v9, 1, v21
	v_cmp_lt_i32_e64 s[6:7], v9, v22
	v_lshlrev_b32_e32 v10, 2, v21
	s_nop 0
	v_cndmask_b32_e64 v9, v21, v9, s[6:7]
	v_lshlrev_b32_e32 v31, 2, v9
	s_waitcnt lgkmcnt(0)
	ds_bpermute_b32 v9, v31, v8
	v_max_f32_e32 v8, v8, v8
	s_lshl_b32 s6, s17, 3
	s_min_i32 s12, s6, s33
	v_cmp_gt_i32_e64 s[6:7], s12, v0
	s_waitcnt lgkmcnt(0)
	v_max_f32_e32 v9, v9, v9
	v_max_f32_e32 v9, v8, v9
	v_and_b32_e32 v8, 0xffffff00, v10
	ds_bpermute_b32 v10, v8, v9
	v_mov_b32_e32 v9, 0
	s_and_saveexec_b64 s[26:27], s[6:7]
	s_cbranch_execz .LBB14_20
; %bb.17:
	v_mov_b32_e32 v9, 0x1f0
	v_lshl_add_u32 v11, v0, 2, v9
	s_mov_b64 s[28:29], 0
	v_mov_b32_e32 v9, 0
	v_mov_b32_e32 v12, v0
.LBB14_18:                              ; =>This Inner Loop Header: Depth=1
	ds_read_b32 v13, v11
	v_add_u32_e32 v12, 0x80, v12
	v_cmp_le_i32_e64 s[8:9], s12, v12
	s_or_b64 s[28:29], s[8:9], s[28:29]
	s_waitcnt lgkmcnt(0)
	v_sub_f32_e32 v13, v13, v10
	v_mul_f32_e32 v13, 0x3fb8aa3b, v13
	v_exp_f32_e32 v13, v13
	ds_write_b32 v11, v13
	v_add_f32_e32 v9, v9, v13
	v_add_u32_e32 v11, 0x200, v11
	s_andn2_b64 exec, exec, s[28:29]
	s_cbranch_execnz .LBB14_18
; %bb.19:
	s_or_b64 exec, exec, s[28:29]
.LBB14_20:
	s_or_b64 exec, exec, s[26:27]
	ds_bpermute_b32 v3, v3, v9
	s_waitcnt lgkmcnt(0)
	v_add_f32_e32 v3, v9, v3
	ds_bpermute_b32 v6, v6, v3
	s_waitcnt lgkmcnt(0)
	v_add_f32_e32 v3, v3, v6
	ds_bpermute_b32 v6, v7, v3
	v_xor_b32_e32 v7, 4, v21
	v_cmp_lt_i32_e64 s[8:9], v7, v22
	s_waitcnt lgkmcnt(0)
	v_add_f32_e32 v3, v3, v6
	v_cndmask_b32_e64 v7, v21, v7, s[8:9]
	v_lshlrev_b32_e32 v7, 2, v7
	ds_bpermute_b32 v6, v7, v3
	v_xor_b32_e32 v7, 2, v21
	v_cmp_lt_i32_e64 s[8:9], v7, v22
	s_waitcnt lgkmcnt(0)
	v_add_f32_e32 v3, v3, v6
	v_cndmask_b32_e64 v7, v21, v7, s[8:9]
	v_lshlrev_b32_e32 v6, 2, v7
	ds_bpermute_b32 v6, v6, v3
	s_waitcnt lgkmcnt(0)
	v_add_f32_e32 v3, v3, v6
	ds_bpermute_b32 v6, v31, v3
	s_waitcnt lgkmcnt(0)
	v_add_f32_e32 v3, v3, v6
	s_and_saveexec_b64 s[8:9], vcc
	s_cbranch_execz .LBB14_22
; %bb.21:
	ds_write_b32 v2, v3 offset:488
.LBB14_22:
	s_or_b64 exec, exec, s[8:9]
	s_waitcnt lgkmcnt(0)
	s_barrier
	s_and_saveexec_b64 s[8:9], s[0:1]
	s_cbranch_execz .LBB14_24
; %bb.23:
	ds_read_b32 v3, v5 offset:488
.LBB14_24:
	s_or_b64 exec, exec, s[8:9]
	s_waitcnt lgkmcnt(0)
	ds_bpermute_b32 v2, v31, v3
	s_waitcnt lgkmcnt(0)
	v_add_f32_e32 v2, v3, v2
	ds_bpermute_b32 v2, v8, v2
	s_and_saveexec_b64 s[0:1], s[6:7]
	s_cbranch_execz .LBB14_37
; %bb.25:
	s_waitcnt lgkmcnt(0)
	v_add_f32_e32 v2, 0x358637bd, v2
	v_div_scale_f32 v3, s[6:7], v2, v2, 1.0
	v_rcp_f32_e32 v5, v3
	v_div_scale_f32 v6, vcc, 1.0, v2, 1.0
	s_movk_i32 s6, 0x7f
	v_fma_f32 v7, -v3, v5, 1.0
	v_fmac_f32_e32 v5, v7, v5
	v_mul_f32_e32 v7, v6, v5
	v_fma_f32 v8, -v3, v7, v6
	v_fmac_f32_e32 v7, v8, v5
	v_fma_f32 v3, -v3, v7, v6
	v_div_fmas_f32 v3, v3, v5, v7
	v_xad_u32 v5, v0, -1, s12
	v_div_fixup_f32 v2, v3, v2, 1.0
	v_cmp_lt_u32_e32 vcc, s6, v5
	s_mov_b64 s[8:9], -1
	v_mov_b32_e32 v3, v0
	s_and_saveexec_b64 s[6:7], vcc
	s_cbranch_execz .LBB14_34
; %bb.26:
	v_lshrrev_b32_e32 v5, 7, v5
	v_add_u32_e32 v7, -1, v5
	v_lshrrev_b32_e32 v6, 1, v7
	v_mov_b32_e32 v3, v2
	v_add_u32_e32 v6, 1, v6
	v_cmp_lt_u32_e32 vcc, 13, v7
	v_mov_b32_e32 v9, 0
	s_and_saveexec_b64 s[8:9], vcc
	s_cbranch_execz .LBB14_30
; %bb.27:
	v_mov_b32_e32 v8, 0x1f0
	v_and_b32_e32 v7, -8, v6
	v_lshl_add_u32 v8, v0, 2, v8
	s_mov_b32 s15, 0
	s_mov_b64 s[26:27], 0
.LBB14_28:                              ; =>This Inner Loop Header: Depth=1
	ds_read2st64_b32 v[10:11], v8 offset1:2
	ds_read2st64_b32 v[12:13], v8 offset0:4 offset1:6
	ds_read2st64_b32 v[14:15], v8 offset0:8 offset1:10
	;; [unrolled: 1-line block ×3, first 2 shown]
	v_add_u32_e32 v7, -8, v7
	s_waitcnt lgkmcnt(3)
	v_pk_mul_f32 v[10:11], v[2:3], v[10:11]
	s_waitcnt lgkmcnt(2)
	v_pk_mul_f32 v[12:13], v[2:3], v[12:13]
	ds_write2st64_b32 v8, v10, v11 offset1:2
	ds_write2st64_b32 v8, v12, v13 offset0:4 offset1:6
	ds_read2st64_b32 v[12:13], v8 offset0:16 offset1:18
	s_waitcnt lgkmcnt(4)
	v_pk_mul_f32 v[10:11], v[2:3], v[14:15]
	ds_write2st64_b32 v8, v10, v11 offset0:8 offset1:10
	s_waitcnt lgkmcnt(4)
	v_pk_mul_f32 v[10:11], v[2:3], v[16:17]
	ds_write2st64_b32 v8, v10, v11 offset0:12 offset1:14
	ds_read2st64_b32 v[10:11], v8 offset0:20 offset1:22
	s_waitcnt lgkmcnt(3)
	v_pk_mul_f32 v[12:13], v[2:3], v[12:13]
	ds_read2st64_b32 v[14:15], v8 offset0:24 offset1:26
	ds_write2st64_b32 v8, v12, v13 offset0:16 offset1:18
	ds_read2st64_b32 v[12:13], v8 offset0:28 offset1:30
	s_waitcnt lgkmcnt(3)
	v_pk_mul_f32 v[10:11], v[2:3], v[10:11]
	ds_write2st64_b32 v8, v10, v11 offset0:20 offset1:22
	s_waitcnt lgkmcnt(3)
	v_pk_mul_f32 v[10:11], v[2:3], v[14:15]
	ds_write2st64_b32 v8, v10, v11 offset0:24 offset1:26
	s_waitcnt lgkmcnt(2)
	v_pk_mul_f32 v[10:11], v[2:3], v[12:13]
	s_add_i32 s15, s15, 16
	v_cmp_eq_u32_e32 vcc, 0, v7
	ds_write2st64_b32 v8, v10, v11 offset0:28 offset1:30
	v_add_u32_e32 v8, 0x2000, v8
	s_or_b64 s[26:27], vcc, s[26:27]
	v_mov_b32_e32 v9, s15
	s_andn2_b64 exec, exec, s[26:27]
	s_cbranch_execnz .LBB14_28
; %bb.29:
	s_or_b64 exec, exec, s[26:27]
.LBB14_30:
	s_or_b64 exec, exec, s[8:9]
	v_and_b32_e32 v6, 7, v6
	v_cmp_ne_u32_e32 vcc, 0, v6
	s_and_saveexec_b64 s[8:9], vcc
	s_cbranch_execz .LBB14_33
; %bb.31:
	v_lshlrev_b32_e32 v7, 9, v9
	s_movk_i32 s15, 0x1f0
	v_add3_u32 v7, v7, v20, s15
	s_mov_b64 s[26:27], 0
.LBB14_32:                              ; =>This Inner Loop Header: Depth=1
	ds_read2st64_b32 v[8:9], v7 offset1:2
	v_add_u32_e32 v6, -1, v6
	v_cmp_eq_u32_e32 vcc, 0, v6
	s_or_b64 s[26:27], vcc, s[26:27]
	s_waitcnt lgkmcnt(0)
	v_pk_mul_f32 v[8:9], v[2:3], v[8:9]
	ds_write2st64_b32 v7, v8, v9 offset1:2
	v_add_u32_e32 v7, 0x400, v7
	s_andn2_b64 exec, exec, s[26:27]
	s_cbranch_execnz .LBB14_32
.LBB14_33:
	s_or_b64 exec, exec, s[8:9]
	v_add_u32_e32 v5, 1, v5
	v_and_b32_e32 v6, 0x3fffffe, v5
	v_cmp_ne_u32_e32 vcc, v5, v6
	v_lshl_add_u32 v3, v6, 7, v0
	s_orn2_b64 s[8:9], vcc, exec
.LBB14_34:
	s_or_b64 exec, exec, s[6:7]
	s_and_b64 exec, exec, s[8:9]
	s_cbranch_execz .LBB14_37
; %bb.35:
	v_mov_b32_e32 v5, 0x1f0
	v_lshl_add_u32 v5, v3, 2, v5
	s_mov_b64 s[6:7], 0
.LBB14_36:                              ; =>This Inner Loop Header: Depth=1
	ds_read_b32 v6, v5
	v_add_u32_e32 v3, 0x80, v3
	v_cmp_le_i32_e32 vcc, s12, v3
	s_or_b64 s[6:7], vcc, s[6:7]
	s_waitcnt lgkmcnt(0)
	v_mul_f32_e32 v6, v2, v6
	ds_write_b32 v5, v6
	v_add_u32_e32 v5, 0x200, v5
	s_andn2_b64 exec, exec, s[6:7]
	s_cbranch_execnz .LBB14_36
.LBB14_37:
	s_or_b64 exec, exec, s[0:1]
	v_mov_b32_e32 v19, 0
	v_lshrrev_b32_e32 v33, 1, v4
	v_and_b32_e32 v32, 1, v0
	v_mov_b32_e32 v18, v19
	v_mov_b32_e32 v23, v19
	;; [unrolled: 1-line block ×3, first 2 shown]
	s_waitcnt lgkmcnt(0)
	s_barrier
	s_and_saveexec_b64 s[6:7], s[2:3]
	s_cbranch_execz .LBB14_51
; %bb.38:
	s_ashr_i32 s15, s14, 31
	s_lshl_b64 s[0:1], s[14:15], 2
	s_add_u32 s8, s24, s0
	v_or_b32_e32 v4, 0x60, v33
	s_movk_i32 s0, 0x78
	v_and_b32_e32 v3, 4, v20
	s_addc_u32 s9, s25, s1
	s_add_i32 s24, s17, -1
	v_cmp_gt_u32_e32 vcc, s0, v4
	v_lshlrev_b32_e32 v5, 3, v30
	s_lshl_b64 s[0:1], s[22:23], 2
	v_lshl_or_b32 v2, v33, 3, v3
	v_lshl_or_b32 v4, v4, 3, v3
	v_or3_b32 v34, v5, v3, 3
	v_lshlrev_b32_e32 v3, 4, v32
	s_add_u32 s0, s20, s0
	v_mov_b32_e32 v21, 0
	v_lshl_or_b32 v3, v30, 5, v3
	v_and_b32_e32 v20, 60, v24
	s_addc_u32 s1, s21, s1
	s_mov_b32 s26, s13
	v_add_u32_e32 v35, 0x1f0, v3
	v_lshl_add_u64 v[24:25], s[0:1], 0, v[20:21]
	s_mov_b64 s[12:13], 0
	v_lshlrev_b32_e32 v26, 2, v2
	v_mov_b32_e32 v27, v21
	v_lshlrev_b32_e32 v20, 2, v4
	v_mov_b32_e32 v22, v21
	v_mov_b32_e32 v23, v21
	;; [unrolled: 1-line block ×4, first 2 shown]
	s_branch .LBB14_41
.LBB14_39:                              ;   in Loop: Header=BB14_41 Depth=1
	s_or_b64 exec, exec, s[14:15]
	s_waitcnt vmcnt(0)
	v_mul_f32_e32 v3, v3, v7
	v_fmac_f32_e32 v3, v2, v6
	v_fmac_f32_e32 v3, v4, v8
	;; [unrolled: 1-line block ×3, first 2 shown]
	v_add_f32_e32 v19, v19, v3
.LBB14_40:                              ;   in Loop: Header=BB14_41 Depth=1
	s_or_b64 exec, exec, s[2:3]
	v_add_u32_e32 v30, 2, v30
	v_cmp_le_i32_e64 s[0:1], s17, v30
	v_add_u32_e32 v34, 16, v34
	v_add_u32_e32 v35, 64, v35
	s_or_b64 s[12:13], s[0:1], s[12:13]
	v_lshl_add_u64 v[24:25], v[24:25], 0, 8
	s_andn2_b64 exec, exec, s[12:13]
	s_cbranch_execz .LBB14_50
.LBB14_41:                              ; =>This Inner Loop Header: Depth=1
	global_load_dword v2, v[24:25], off
	v_add_u32_e32 v36, -3, v34
	s_waitcnt vmcnt(0)
	v_mad_i64_i32 v[2:3], s[0:1], v2, s26, 0
	v_lshl_add_u64 v[28:29], v[2:3], 2, s[8:9]
	v_lshl_add_u64 v[14:15], v[28:29], 0, v[26:27]
	global_load_dwordx4 v[6:9], v[14:15], off
	ds_read_b128 v[2:5], v35
	v_cmp_eq_u32_e64 s[0:1], s24, v30
	s_and_saveexec_b64 s[14:15], s[0:1]
	s_cbranch_execnz .LBB14_48
; %bb.42:                               ;   in Loop: Header=BB14_41 Depth=1
	s_or_b64 exec, exec, s[14:15]
	global_load_dwordx4 v[10:13], v[14:15], off offset:1024
	s_and_saveexec_b64 s[14:15], s[0:1]
	s_cbranch_execnz .LBB14_49
.LBB14_43:                              ;   in Loop: Header=BB14_41 Depth=1
	s_or_b64 exec, exec, s[14:15]
	global_load_dwordx4 v[14:17], v[14:15], off offset:2048
	s_and_saveexec_b64 s[14:15], s[0:1]
	s_cbranch_execz .LBB14_45
.LBB14_44:                              ;   in Loop: Header=BB14_41 Depth=1
	v_cmp_gt_i32_e64 s[2:3], s33, v36
	v_add_u32_e32 v37, -2, v34
	s_waitcnt vmcnt(0)
	v_cndmask_b32_e64 v14, 0, v14, s[2:3]
	v_cmp_gt_i32_e64 s[2:3], s33, v37
	v_add_u32_e32 v37, -1, v34
	s_nop 0
	v_cndmask_b32_e64 v15, 0, v15, s[2:3]
	v_cmp_gt_i32_e64 s[2:3], s33, v37
	s_nop 1
	v_cndmask_b32_e64 v16, 0, v16, s[2:3]
	v_cmp_gt_i32_e64 s[2:3], s33, v34
	s_nop 1
	v_cndmask_b32_e64 v17, 0, v17, s[2:3]
.LBB14_45:                              ;   in Loop: Header=BB14_41 Depth=1
	s_or_b64 exec, exec, s[14:15]
	s_waitcnt vmcnt(2) lgkmcnt(0)
	v_mul_f32_e32 v7, v3, v7
	v_fmac_f32_e32 v7, v2, v6
	s_waitcnt vmcnt(1)
	v_mul_f32_e32 v6, v3, v11
	v_fmac_f32_e32 v6, v2, v10
	v_fmac_f32_e32 v6, v4, v12
	;; [unrolled: 1-line block ×3, first 2 shown]
	v_add_f32_e32 v23, v23, v6
	s_waitcnt vmcnt(0)
	v_mul_f32_e32 v6, v3, v15
	v_fmac_f32_e32 v6, v2, v14
	v_fmac_f32_e32 v7, v4, v8
	;; [unrolled: 1-line block ×5, first 2 shown]
	v_add_f32_e32 v22, v22, v7
	v_add_f32_e32 v18, v18, v6
	s_and_saveexec_b64 s[2:3], vcc
	s_cbranch_execz .LBB14_40
; %bb.46:                               ;   in Loop: Header=BB14_41 Depth=1
	v_lshl_add_u64 v[6:7], v[28:29], 0, v[20:21]
	global_load_dwordx4 v[6:9], v[6:7], off
	s_and_saveexec_b64 s[14:15], s[0:1]
	s_cbranch_execz .LBB14_39
; %bb.47:                               ;   in Loop: Header=BB14_41 Depth=1
	v_cmp_gt_i32_e64 s[0:1], s33, v36
	v_add_u32_e32 v10, -2, v34
	s_waitcnt vmcnt(0)
	v_cndmask_b32_e64 v6, 0, v6, s[0:1]
	v_cmp_gt_i32_e64 s[0:1], s33, v10
	v_add_u32_e32 v10, -1, v34
	s_nop 0
	v_cndmask_b32_e64 v7, 0, v7, s[0:1]
	v_cmp_gt_i32_e64 s[0:1], s33, v10
	s_nop 1
	v_cndmask_b32_e64 v8, 0, v8, s[0:1]
	v_cmp_gt_i32_e64 s[0:1], s33, v34
	s_nop 1
	v_cndmask_b32_e64 v9, 0, v9, s[0:1]
	s_branch .LBB14_39
.LBB14_48:                              ;   in Loop: Header=BB14_41 Depth=1
	v_cmp_gt_i32_e64 s[2:3], s33, v36
	v_add_u32_e32 v10, -2, v34
	s_waitcnt vmcnt(0)
	v_cndmask_b32_e64 v6, 0, v6, s[2:3]
	v_cmp_gt_i32_e64 s[2:3], s33, v10
	v_add_u32_e32 v10, -1, v34
	s_nop 0
	v_cndmask_b32_e64 v7, 0, v7, s[2:3]
	v_cmp_gt_i32_e64 s[2:3], s33, v10
	s_nop 1
	v_cndmask_b32_e64 v8, 0, v8, s[2:3]
	v_cmp_gt_i32_e64 s[2:3], s33, v34
	s_nop 1
	v_cndmask_b32_e64 v9, 0, v9, s[2:3]
	s_or_b64 exec, exec, s[14:15]
	global_load_dwordx4 v[10:13], v[14:15], off offset:1024
	s_and_saveexec_b64 s[14:15], s[0:1]
	s_cbranch_execz .LBB14_43
.LBB14_49:                              ;   in Loop: Header=BB14_41 Depth=1
	v_cmp_gt_i32_e64 s[2:3], s33, v36
	v_add_u32_e32 v16, -2, v34
	s_waitcnt vmcnt(0)
	v_cndmask_b32_e64 v10, 0, v10, s[2:3]
	v_cmp_gt_i32_e64 s[2:3], s33, v16
	v_add_u32_e32 v16, -1, v34
	s_nop 0
	v_cndmask_b32_e64 v11, 0, v11, s[2:3]
	v_cmp_gt_i32_e64 s[2:3], s33, v16
	s_nop 1
	v_cndmask_b32_e64 v12, 0, v12, s[2:3]
	v_cmp_gt_i32_e64 s[2:3], s33, v34
	s_nop 1
	v_cndmask_b32_e64 v13, 0, v13, s[2:3]
	s_or_b64 exec, exec, s[14:15]
	global_load_dwordx4 v[14:17], v[14:15], off offset:2048
	s_and_saveexec_b64 s[14:15], s[0:1]
	s_cbranch_execnz .LBB14_44
	s_branch .LBB14_45
.LBB14_50:
	s_or_b64 exec, exec, s[12:13]
.LBB14_51:
	s_or_b64 exec, exec, s[6:7]
	ds_bpermute_b32 v2, v31, v22
	ds_bpermute_b32 v3, v31, v23
	;; [unrolled: 1-line block ×4, first 2 shown]
	s_waitcnt lgkmcnt(0)
	s_barrier
	v_pk_add_f32 v[4:5], v[22:23], v[2:3]
	v_pk_add_f32 v[2:3], v[18:19], v[6:7]
	v_and_b32_e32 v6, 0x3c0, v0
	v_cmp_eq_u32_e32 vcc, 64, v6
	s_and_saveexec_b64 s[2:3], vcc
	s_cbranch_execz .LBB14_56
; %bb.52:
	v_cmp_eq_u32_e32 vcc, 0, v32
	s_and_saveexec_b64 s[0:1], vcc
	s_cbranch_execz .LBB14_54
; %bb.53:
	v_mov_b32_e32 v6, 0x1f0
	v_lshl_add_u32 v6, v33, 2, v6
	ds_write2_b32 v6, v4, v5 offset1:32
	ds_write_b32 v6, v2 offset:256
.LBB14_54:
	s_or_b64 exec, exec, s[0:1]
	v_or_b32_e32 v6, 0x60, v33
	s_movk_i32 s0, 0x78
	v_cmp_gt_u32_e64 s[0:1], s0, v6
	s_and_b64 s[0:1], vcc, s[0:1]
	s_and_b64 exec, exec, s[0:1]
	s_cbranch_execz .LBB14_56
; %bb.55:
	v_mov_b32_e32 v6, 0x1f0
	v_lshl_add_u32 v6, v33, 2, v6
	ds_write_b32 v6, v3 offset:384
.LBB14_56:
	s_or_b64 exec, exec, s[2:3]
	v_cmp_gt_u32_e32 vcc, 64, v0
	s_waitcnt lgkmcnt(0)
	s_barrier
	s_and_saveexec_b64 s[6:7], vcc
	s_cbranch_execz .LBB14_64
; %bb.57:
	v_cmp_eq_u32_e64 s[0:1], 0, v32
	s_and_saveexec_b64 s[2:3], s[0:1]
	s_cbranch_execnz .LBB14_70
; %bb.58:
	s_or_b64 exec, exec, s[2:3]
	s_and_saveexec_b64 s[2:3], s[0:1]
	s_cbranch_execnz .LBB14_71
.LBB14_59:
	s_or_b64 exec, exec, s[2:3]
	s_and_saveexec_b64 s[2:3], s[0:1]
	s_cbranch_execz .LBB14_61
.LBB14_60:
	v_mov_b32_e32 v0, 0x1f0
	v_lshl_add_u32 v0, v1, 2, v0
	ds_read_b32 v0, v0 offset:256
	s_waitcnt lgkmcnt(0)
	v_add_f32_e32 v2, v2, v0
.LBB14_61:
	s_or_b64 exec, exec, s[2:3]
	v_or_b32_e32 v0, 0x60, v1
	s_movk_i32 s2, 0x78
	v_cmp_gt_u32_e64 s[2:3], s2, v0
	s_and_b64 s[2:3], s[0:1], s[2:3]
	s_and_saveexec_b64 s[0:1], s[2:3]
	s_cbranch_execz .LBB14_63
; %bb.62:
	v_mov_b32_e32 v0, 0x1f0
	v_lshl_add_u32 v0, v1, 2, v0
	ds_read_b32 v0, v0 offset:384
	s_waitcnt lgkmcnt(0)
	v_add_f32_e32 v3, v3, v0
.LBB14_63:
	s_or_b64 exec, exec, s[0:1]
.LBB14_64:
	s_or_b64 exec, exec, s[6:7]
	s_barrier
	s_and_saveexec_b64 s[0:1], vcc
	s_cbranch_execz .LBB14_69
; %bb.65:
	s_mul_i32 s0, s10, s11
	s_mul_i32 s0, s0, s5
	s_mulk_i32 s0, 0x78
	s_ashr_i32 s1, s0, 31
	s_lshl_b64 s[0:1], s[0:1], 2
	s_add_u32 s2, s18, s0
	s_mul_i32 s0, s11, s16
	s_addc_u32 s3, s19, s1
	s_ashr_i32 s1, s0, 31
	s_lshl_b64 s[0:1], s[0:1], 2
	s_add_u32 s2, s2, s0
	s_mul_i32 s0, s4, 0x78
	s_addc_u32 s3, s3, s1
	s_ashr_i32 s1, s0, 31
	s_lshl_b64 s[0:1], s[0:1], 2
	s_add_u32 s2, s2, s0
	s_movk_i32 s5, 0x78
	s_addc_u32 s3, s3, s1
	v_cmp_eq_u32_e32 vcc, 0, v32
	v_lshlrev_b32_e32 v0, 2, v1
	s_and_saveexec_b64 s[0:1], vcc
	s_cbranch_execz .LBB14_67
; %bb.66:
	global_store_dword v0, v4, s[2:3]
	global_store_dword v0, v5, s[2:3] offset:128
	global_store_dword v0, v2, s[2:3] offset:256
.LBB14_67:
	s_or_b64 exec, exec, s[0:1]
	v_or_b32_e32 v1, 0x60, v1
	v_cmp_gt_u32_e64 s[0:1], s5, v1
	s_and_b64 s[0:1], vcc, s[0:1]
	s_and_b64 exec, exec, s[0:1]
	s_cbranch_execz .LBB14_69
; %bb.68:
	global_store_dword v0, v3, s[2:3] offset:384
.LBB14_69:
	s_endpgm
.LBB14_70:
	v_mov_b32_e32 v0, 0x1f0
	v_lshl_add_u32 v0, v1, 2, v0
	ds_read_b32 v0, v0
	s_waitcnt lgkmcnt(0)
	v_add_f32_e32 v4, v4, v0
	s_or_b64 exec, exec, s[2:3]
	s_and_saveexec_b64 s[2:3], s[0:1]
	s_cbranch_execz .LBB14_59
.LBB14_71:
	v_mov_b32_e32 v0, 0x1f0
	v_lshl_add_u32 v0, v1, 2, v0
	ds_read_b32 v0, v0 offset:128
	s_waitcnt lgkmcnt(0)
	v_add_f32_e32 v5, v5, v0
	s_or_b64 exec, exec, s[2:3]
	s_and_saveexec_b64 s[2:3], s[0:1]
	s_cbranch_execnz .LBB14_60
	s_branch .LBB14_61
	.section	.rodata,"a",@progbits
	.p2align	6, 0x0
	.amdhsa_kernel _ZN4vllm25paged_attention_v1_kernelIffLi120ELi8ELi128ELNS_18Fp8KVCacheDataTypeE0ELb0EEEvPT_PKS2_PKT0_S8_ifPKiSA_iPKfiiiSC_SC_iiiii
		.amdhsa_group_segment_fixed_size 496
		.amdhsa_private_segment_fixed_size 0
		.amdhsa_kernarg_size 384
		.amdhsa_user_sgpr_count 2
		.amdhsa_user_sgpr_dispatch_ptr 0
		.amdhsa_user_sgpr_queue_ptr 0
		.amdhsa_user_sgpr_kernarg_segment_ptr 1
		.amdhsa_user_sgpr_dispatch_id 0
		.amdhsa_user_sgpr_kernarg_preload_length 0
		.amdhsa_user_sgpr_kernarg_preload_offset 0
		.amdhsa_user_sgpr_private_segment_size 0
		.amdhsa_uses_dynamic_stack 0
		.amdhsa_enable_private_segment 0
		.amdhsa_system_sgpr_workgroup_id_x 1
		.amdhsa_system_sgpr_workgroup_id_y 1
		.amdhsa_system_sgpr_workgroup_id_z 1
		.amdhsa_system_sgpr_workgroup_info 0
		.amdhsa_system_vgpr_workitem_id 0
		.amdhsa_next_free_vgpr 50
		.amdhsa_next_free_sgpr 34
		.amdhsa_accum_offset 52
		.amdhsa_reserve_vcc 1
		.amdhsa_float_round_mode_32 0
		.amdhsa_float_round_mode_16_64 0
		.amdhsa_float_denorm_mode_32 3
		.amdhsa_float_denorm_mode_16_64 3
		.amdhsa_dx10_clamp 1
		.amdhsa_ieee_mode 1
		.amdhsa_fp16_overflow 0
		.amdhsa_tg_split 0
		.amdhsa_exception_fp_ieee_invalid_op 0
		.amdhsa_exception_fp_denorm_src 0
		.amdhsa_exception_fp_ieee_div_zero 0
		.amdhsa_exception_fp_ieee_overflow 0
		.amdhsa_exception_fp_ieee_underflow 0
		.amdhsa_exception_fp_ieee_inexact 0
		.amdhsa_exception_int_div_zero 0
	.end_amdhsa_kernel
	.section	.text._ZN4vllm25paged_attention_v1_kernelIffLi120ELi8ELi128ELNS_18Fp8KVCacheDataTypeE0ELb0EEEvPT_PKS2_PKT0_S8_ifPKiSA_iPKfiiiSC_SC_iiiii,"axG",@progbits,_ZN4vllm25paged_attention_v1_kernelIffLi120ELi8ELi128ELNS_18Fp8KVCacheDataTypeE0ELb0EEEvPT_PKS2_PKT0_S8_ifPKiSA_iPKfiiiSC_SC_iiiii,comdat
.Lfunc_end14:
	.size	_ZN4vllm25paged_attention_v1_kernelIffLi120ELi8ELi128ELNS_18Fp8KVCacheDataTypeE0ELb0EEEvPT_PKS2_PKT0_S8_ifPKiSA_iPKfiiiSC_SC_iiiii, .Lfunc_end14-_ZN4vllm25paged_attention_v1_kernelIffLi120ELi8ELi128ELNS_18Fp8KVCacheDataTypeE0ELb0EEEvPT_PKS2_PKT0_S8_ifPKiSA_iPKfiiiSC_SC_iiiii
                                        ; -- End function
	.section	.AMDGPU.csdata,"",@progbits
; Kernel info:
; codeLenInByte = 4200
; NumSgprs: 40
; NumVgprs: 50
; NumAgprs: 0
; TotalNumVgprs: 50
; ScratchSize: 0
; MemoryBound: 0
; FloatMode: 240
; IeeeMode: 1
; LDSByteSize: 496 bytes/workgroup (compile time only)
; SGPRBlocks: 4
; VGPRBlocks: 6
; NumSGPRsForWavesPerEU: 40
; NumVGPRsForWavesPerEU: 50
; AccumOffset: 52
; Occupancy: 8
; WaveLimiterHint : 1
; COMPUTE_PGM_RSRC2:SCRATCH_EN: 0
; COMPUTE_PGM_RSRC2:USER_SGPR: 2
; COMPUTE_PGM_RSRC2:TRAP_HANDLER: 0
; COMPUTE_PGM_RSRC2:TGID_X_EN: 1
; COMPUTE_PGM_RSRC2:TGID_Y_EN: 1
; COMPUTE_PGM_RSRC2:TGID_Z_EN: 1
; COMPUTE_PGM_RSRC2:TIDIG_COMP_CNT: 0
; COMPUTE_PGM_RSRC3_GFX90A:ACCUM_OFFSET: 12
; COMPUTE_PGM_RSRC3_GFX90A:TG_SPLIT: 0
	.section	.text._ZN4vllm25paged_attention_v1_kernelIffLi128ELi8ELi128ELNS_18Fp8KVCacheDataTypeE0ELb0EEEvPT_PKS2_PKT0_S8_ifPKiSA_iPKfiiiSC_SC_iiiii,"axG",@progbits,_ZN4vllm25paged_attention_v1_kernelIffLi128ELi8ELi128ELNS_18Fp8KVCacheDataTypeE0ELb0EEEvPT_PKS2_PKT0_S8_ifPKiSA_iPKfiiiSC_SC_iiiii,comdat
	.protected	_ZN4vllm25paged_attention_v1_kernelIffLi128ELi8ELi128ELNS_18Fp8KVCacheDataTypeE0ELb0EEEvPT_PKS2_PKT0_S8_ifPKiSA_iPKfiiiSC_SC_iiiii ; -- Begin function _ZN4vllm25paged_attention_v1_kernelIffLi128ELi8ELi128ELNS_18Fp8KVCacheDataTypeE0ELb0EEEvPT_PKS2_PKT0_S8_ifPKiSA_iPKfiiiSC_SC_iiiii
	.globl	_ZN4vllm25paged_attention_v1_kernelIffLi128ELi8ELi128ELNS_18Fp8KVCacheDataTypeE0ELb0EEEvPT_PKS2_PKT0_S8_ifPKiSA_iPKfiiiSC_SC_iiiii
	.p2align	8
	.type	_ZN4vllm25paged_attention_v1_kernelIffLi128ELi8ELi128ELNS_18Fp8KVCacheDataTypeE0ELb0EEEvPT_PKS2_PKT0_S8_ifPKiSA_iPKfiiiSC_SC_iiiii,@function
_ZN4vllm25paged_attention_v1_kernelIffLi128ELi8ELi128ELNS_18Fp8KVCacheDataTypeE0ELb0EEEvPT_PKS2_PKT0_S8_ifPKiSA_iPKfiiiSC_SC_iiiii: ; @_ZN4vllm25paged_attention_v1_kernelIffLi128ELi8ELi128ELNS_18Fp8KVCacheDataTypeE0ELb0EEEvPT_PKS2_PKT0_S8_ifPKiSA_iPKfiiiSC_SC_iiiii
; %bb.0:
	s_load_dword s5, s[0:1], 0x80
	s_load_dwordx2 s[6:7], s[0:1], 0x30
	s_load_dwordx2 s[8:9], s[0:1], 0x20
	s_mov_b32 s10, s3
	s_ashr_i32 s11, s3, 31
	s_lshl_b64 s[12:13], s[10:11], 2
	s_waitcnt lgkmcnt(0)
	s_add_u32 s6, s6, s12
	s_addc_u32 s7, s7, s13
	s_abs_i32 s3, s8
	v_cvt_f32_u32_e32 v1, s3
	s_sub_i32 s12, 0, s3
	s_abs_i32 s11, s5
	s_xor_b32 s8, s5, s8
	v_rcp_iflag_f32_e32 v1, v1
	s_ashr_i32 s8, s8, 31
	v_mul_f32_e32 v1, 0x4f7ffffe, v1
	v_cvt_u32_f32_e32 v1, v1
	s_nop 0
	v_readfirstlane_b32 s13, v1
	s_mul_i32 s12, s12, s13
	s_mul_hi_u32 s12, s13, s12
	s_add_i32 s13, s13, s12
	s_mul_hi_u32 s12, s11, s13
	s_mul_i32 s13, s12, s3
	s_sub_i32 s11, s11, s13
	s_add_i32 s13, s12, 1
	s_sub_i32 s14, s11, s3
	s_cmp_ge_u32 s11, s3
	s_cselect_b32 s12, s13, s12
	s_cselect_b32 s11, s14, s11
	s_add_i32 s13, s12, 1
	s_cmp_ge_u32 s11, s3
	s_cselect_b32 s3, s13, s12
	s_xor_b32 s3, s3, s8
	s_sub_i32 s14, s3, s8
	s_abs_i32 s11, s14
	v_cvt_f32_u32_e32 v1, s11
	s_load_dwordx2 s[12:13], s[0:1], 0x40
	s_sub_i32 s3, 0, s11
	s_abs_i32 s18, s2
	v_rcp_iflag_f32_e32 v1, v1
	s_mov_b32 s8, 0
	v_mul_f32_e32 v1, 0x4f7ffffe, v1
	v_cvt_u32_f32_e32 v1, v1
	s_nop 0
	v_readfirstlane_b32 s15, v1
	s_mul_i32 s3, s3, s15
	s_mul_hi_u32 s3, s15, s3
	s_add_i32 s15, s15, s3
	s_waitcnt lgkmcnt(0)
	s_cmp_eq_u64 s[12:13], 0
	s_mul_hi_u32 s19, s18, s15
	s_cbranch_scc1 .LBB15_2
; %bb.1:
	s_ashr_i32 s3, s2, 31
	s_lshl_b64 s[16:17], s[2:3], 2
	s_add_u32 s12, s12, s16
	s_addc_u32 s13, s13, s17
	s_load_dword s8, s[12:13], 0x0
.LBB15_2:
	s_load_dword s33, s[6:7], 0x0
	s_ashr_i32 s7, s14, 31
	s_load_dwordx4 s[12:15], s[0:1], 0x48
	s_ashr_i32 s6, s2, 31
	s_lshl_b32 s16, s2, 7
	s_movk_i32 s2, 0x80
	v_and_b32_e32 v18, 7, v0
	v_cmp_gt_u32_e32 vcc, s2, v0
	v_lshlrev_b32_e32 v26, 2, v0
	v_lshrrev_b32_e32 v1, 1, v0
	s_and_saveexec_b64 s[2:3], vcc
	s_cbranch_execz .LBB15_4
; %bb.3:
	s_load_dwordx2 s[20:21], s[0:1], 0x8
	s_waitcnt lgkmcnt(0)
	s_mul_i32 s22, s10, s12
	s_ashr_i32 s23, s22, 31
	s_lshl_b64 s[22:23], s[22:23], 2
	v_and_b32_e32 v3, 0x1fc, v1
	s_add_u32 s12, s20, s22
	s_addc_u32 s15, s21, s23
	s_ashr_i32 s17, s16, 31
	s_lshl_b64 s[20:21], s[16:17], 2
	s_add_u32 s20, s12, s20
	s_addc_u32 s21, s15, s21
	global_load_dword v2, v26, s[20:21]
	v_lshl_add_u32 v3, v18, 6, v3
	s_waitcnt vmcnt(0)
	ds_write_b32 v3, v2
.LBB15_4:
	s_or_b64 exec, exec, s[2:3]
	s_waitcnt lgkmcnt(0)
	s_add_i32 s3, s33, 7
	s_ashr_i32 s12, s3, 31
	s_lshr_b32 s12, s12, 29
	s_add_i32 s3, s3, s12
	s_ashr_i32 s12, s3, 3
	s_xor_b32 s3, s6, s7
	s_mul_i32 s6, s19, s11
	s_sub_i32 s6, s18, s6
	s_add_i32 s7, s19, 1
	s_sub_i32 s15, s6, s11
	s_load_dwordx2 s[20:21], s[0:1], 0x28
	s_load_dword s2, s[0:1], 0x38
	s_cmp_ge_u32 s6, s11
	s_cselect_b32 s7, s7, s19
	s_cselect_b32 s6, s15, s6
	s_add_i32 s15, s7, 1
	s_cmp_ge_u32 s6, s11
	s_cselect_b32 s6, s15, s7
	v_lshrrev_b32_e32 v30, 6, v0
	s_xor_b32 s6, s6, s3
	s_waitcnt lgkmcnt(0)
	s_mul_i32 s22, s10, s2
	s_sub_i32 s15, s6, s3
	s_ashr_i32 s23, s22, 31
	v_cmp_gt_i32_e64 s[2:3], s12, v30
	v_cmp_le_i32_e32 vcc, s12, v30
	v_mbcnt_lo_u32_b32 v19, -1, 0
	s_barrier
	s_waitcnt lgkmcnt(0)
                                        ; implicit-def: $sgpr17
                                        ; implicit-def: $vgpr22
                                        ; implicit-def: $vgpr23
	s_and_saveexec_b64 s[6:7], vcc
	s_xor_b64 s[6:7], exec, s[6:7]
; %bb.5:
	v_mbcnt_hi_u32_b32 v22, -1, v19
	v_and_b32_e32 v2, 64, v22
	v_add_u32_e32 v23, 64, v2
	s_mov_b32 s17, 0xff7fffff
                                        ; implicit-def: $vgpr18
                                        ; implicit-def: $vgpr19
; %bb.6:
	s_or_saveexec_b64 s[26:27], s[6:7]
	s_load_dwordx2 s[18:19], s[0:1], 0x0
	s_load_dwordx2 s[24:25], s[0:1], 0x18
	s_load_dword s11, s[0:1], 0x88
	v_mov_b32_e32 v24, s17
	s_mul_i32 s14, s15, s14
	v_lshrrev_b32_e32 v28, 4, v0
	s_xor_b64 exec, exec, s[26:27]
	s_cbranch_execz .LBB15_12
; %bb.7:
	s_load_dwordx2 s[0:1], s[0:1], 0x10
	v_mbcnt_hi_u32_b32 v22, -1, v19
	v_and_b32_e32 v19, 64, v22
	v_add_u32_e32 v23, 64, v19
	v_xor_b32_e32 v19, 4, v22
	s_ashr_i32 s15, s14, 31
	v_cmp_lt_i32_e32 vcc, v19, v23
	s_lshl_b64 s[6:7], s[14:15], 2
	v_bfe_u32 v24, v0, 3, 3
	v_cndmask_b32_e32 v19, v22, v19, vcc
	s_waitcnt lgkmcnt(0)
	s_add_u32 s0, s0, s6
	v_lshlrev_b32_e32 v25, 2, v19
	v_xor_b32_e32 v19, 2, v22
	s_addc_u32 s1, s1, s7
	v_lshlrev_b32_e32 v20, 4, v24
	v_mov_b32_e32 v21, 0
	v_and_b32_e32 v4, 3, v0
	v_cmp_lt_i32_e32 vcc, v19, v23
	v_lshl_add_u64 v[2:3], s[0:1], 0, v[20:21]
	v_lshlrev_b32_e32 v20, 2, v4
	v_lshlrev_b32_e32 v14, 6, v18
	v_cndmask_b32_e32 v19, v22, v19, vcc
	v_lshl_add_u64 v[32:33], v[2:3], 0, v[20:21]
	ds_read_b128 v[2:5], v14
	ds_read_b128 v[6:9], v14 offset:16
	ds_read_b128 v[10:13], v14 offset:32
	;; [unrolled: 1-line block ×3, first 2 shown]
	v_lshlrev_b32_e32 v27, 2, v19
	v_xor_b32_e32 v19, 1, v22
	v_cmp_lt_i32_e32 vcc, v19, v23
	v_lshlrev_b32_e32 v34, 2, v24
	s_sub_i32 s15, 1, s33
	v_cndmask_b32_e32 v19, v22, v19, vcc
	v_cmp_eq_u32_e32 vcc, 0, v18
	v_lshlrev_b32_e32 v18, 5, v0
	v_and_b32_e32 v20, 0x80, v18
	s_lshl_b64 s[6:7], s[22:23], 2
	v_lshlrev_b32_e32 v29, 2, v19
	v_lshl_add_u64 v[18:19], v[32:33], 0, v[20:21]
	v_lshl_or_b32 v20, v30, 5, v34
	s_add_u32 s6, s20, s6
	v_add_u32_e32 v32, 0x210, v20
	v_and_b32_e32 v20, 60, v28
	s_addc_u32 s7, s21, s7
	s_mov_b32 s17, s13
	v_cmp_neq_f32_e64 s[0:1], s8, 0
	v_lshl_or_b32 v31, v30, 3, v24
	v_lshl_add_u64 v[20:21], s[6:7], 0, v[20:21]
	s_mov_b64 s[28:29], 0
	v_mov_b32_e32 v24, 0xff7fffff
	v_mov_b32_e32 v33, v30
	s_branch .LBB15_9
.LBB15_8:                               ;   in Loop: Header=BB15_9 Depth=1
	s_or_b64 exec, exec, s[30:31]
	v_add_u32_e32 v33, 2, v33
	v_cmp_le_i32_e64 s[6:7], s12, v33
	v_add_u32_e32 v31, 16, v31
	v_add_u32_e32 v32, 64, v32
	s_or_b64 s[28:29], s[6:7], s[28:29]
	v_lshl_add_u64 v[20:21], v[20:21], 0, 8
	s_andn2_b64 exec, exec, s[28:29]
	s_cbranch_execz .LBB15_11
.LBB15_9:                               ; =>This Inner Loop Header: Depth=1
	global_load_dword v34, v[20:21], off
	s_waitcnt vmcnt(0) lgkmcnt(0)
	v_mad_i64_i32 v[34:35], s[6:7], v34, s17, 0
	v_lshl_add_u64 v[34:35], v[34:35], 2, v[18:19]
	global_load_dword v36, v[34:35], off offset:256
	global_load_dword v37, v[34:35], off
	global_load_dword v38, v[34:35], off offset:512
	global_load_dword v39, v[34:35], off offset:768
	;; [unrolled: 1-line block ×13, first 2 shown]
	s_nop 0
	global_load_dword v34, v[34:35], off offset:3840
	s_waitcnt vmcnt(15) lgkmcnt(3)
	v_mul_f32_e32 v35, v3, v36
	s_waitcnt vmcnt(14)
	v_fmac_f32_e32 v35, v2, v37
	s_waitcnt vmcnt(13)
	v_fmac_f32_e32 v35, v4, v38
	s_waitcnt vmcnt(12)
	v_fmac_f32_e32 v35, v5, v39
	s_waitcnt vmcnt(11) lgkmcnt(2)
	v_fmac_f32_e32 v35, v6, v40
	s_waitcnt vmcnt(10)
	v_fmac_f32_e32 v35, v7, v41
	s_waitcnt vmcnt(9)
	v_fmac_f32_e32 v35, v8, v42
	s_waitcnt vmcnt(8)
	v_fmac_f32_e32 v35, v9, v43
	s_waitcnt vmcnt(7) lgkmcnt(1)
	v_fmac_f32_e32 v35, v10, v44
	;; [unrolled: 8-line block ×3, first 2 shown]
	s_waitcnt vmcnt(2)
	v_fmac_f32_e32 v35, v15, v49
	s_waitcnt vmcnt(1)
	v_fmac_f32_e32 v35, v16, v50
	;; [unrolled: 2-line block ×3, first 2 shown]
	ds_bpermute_b32 v34, v25, v35
	s_waitcnt lgkmcnt(0)
	v_add_f32_e32 v34, v35, v34
	ds_bpermute_b32 v35, v27, v34
	s_waitcnt lgkmcnt(0)
	v_add_f32_e32 v34, v34, v35
	ds_bpermute_b32 v35, v29, v34
	s_and_saveexec_b64 s[30:31], vcc
	s_cbranch_execz .LBB15_8
; %bb.10:                               ;   in Loop: Header=BB15_9 Depth=1
	v_add_u32_e32 v36, s15, v31
	v_cvt_f32_i32_e32 v36, v36
	s_waitcnt lgkmcnt(0)
	v_add_f32_e32 v34, v34, v35
	v_cmp_gt_i32_e64 s[6:7], s33, v31
	v_max_f32_e32 v35, v24, v24
	v_mul_f32_e32 v36, s8, v36
	v_cndmask_b32_e64 v36, 0, v36, s[0:1]
	v_fmac_f32_e32 v36, s9, v34
	v_cndmask_b32_e64 v34, 0, v36, s[6:7]
	ds_write_b32 v32, v34
	v_max_f32_e32 v34, v35, v36
	v_cndmask_b32_e64 v24, v24, v34, s[6:7]
	s_branch .LBB15_8
.LBB15_11:
	s_or_b64 exec, exec, s[28:29]
.LBB15_12:
	s_or_b64 exec, exec, s[26:27]
	v_xor_b32_e32 v2, 32, v22
	v_cmp_lt_i32_e32 vcc, v2, v23
	v_xor_b32_e32 v5, 16, v22
	v_max_f32_e32 v4, v24, v24
	v_cndmask_b32_e32 v2, v22, v2, vcc
	v_lshlrev_b32_e32 v3, 2, v2
	ds_bpermute_b32 v2, v3, v24
	v_cmp_lt_i32_e32 vcc, v5, v23
	v_xor_b32_e32 v6, 8, v22
	v_and_b32_e32 v31, 63, v0
	s_waitcnt lgkmcnt(0)
	v_max_f32_e32 v2, v2, v2
	v_max_f32_e32 v2, v4, v2
	v_cndmask_b32_e32 v4, v22, v5, vcc
	v_lshlrev_b32_e32 v5, 2, v4
	ds_bpermute_b32 v4, v5, v2
	v_cmp_lt_i32_e32 vcc, v6, v23
	s_waitcnt lgkmcnt(0)
	v_max_f32_e32 v4, v4, v4
	v_max_f32_e32 v4, v2, v4
	v_cndmask_b32_e32 v2, v22, v6, vcc
	v_lshlrev_b32_e32 v6, 2, v2
	ds_bpermute_b32 v7, v6, v4
	v_cmp_eq_u32_e32 vcc, 0, v31
	v_lshlrev_b32_e32 v2, 2, v30
	s_and_saveexec_b64 s[0:1], vcc
	s_cbranch_execz .LBB15_14
; %bb.13:
	s_waitcnt lgkmcnt(0)
	v_max_f32_e32 v7, v7, v7
	v_max_f32_e32 v4, v4, v4
	;; [unrolled: 1-line block ×3, first 2 shown]
	ds_write_b32 v2, v4 offset:512
.LBB15_14:
	s_or_b64 exec, exec, s[0:1]
	v_cmp_gt_u32_e64 s[0:1], 2, v31
	s_waitcnt lgkmcnt(0)
	v_mov_b32_e32 v7, 0xff7fffff
	v_lshlrev_b32_e32 v4, 2, v31
	s_barrier
	s_and_saveexec_b64 s[6:7], s[0:1]
	s_cbranch_execz .LBB15_16
; %bb.15:
	ds_read_b32 v7, v4 offset:512
.LBB15_16:
	s_or_b64 exec, exec, s[6:7]
	v_xor_b32_e32 v8, 1, v22
	v_cmp_lt_i32_e64 s[6:7], v8, v23
	v_lshlrev_b32_e32 v9, 2, v22
	s_nop 0
	v_cndmask_b32_e64 v8, v22, v8, s[6:7]
	v_lshlrev_b32_e32 v32, 2, v8
	s_waitcnt lgkmcnt(0)
	ds_bpermute_b32 v8, v32, v7
	v_max_f32_e32 v7, v7, v7
	s_lshl_b32 s6, s12, 3
	s_min_i32 s15, s6, s33
	v_cmp_gt_i32_e64 s[6:7], s15, v0
	s_waitcnt lgkmcnt(0)
	v_max_f32_e32 v8, v8, v8
	v_max_f32_e32 v8, v7, v8
	v_and_b32_e32 v7, 0xffffff00, v9
	ds_bpermute_b32 v9, v7, v8
	v_mov_b32_e32 v8, 0
	s_and_saveexec_b64 s[26:27], s[6:7]
	s_cbranch_execz .LBB15_20
; %bb.17:
	v_mov_b32_e32 v8, 0x210
	v_lshl_add_u32 v10, v0, 2, v8
	s_mov_b64 s[28:29], 0
	v_mov_b32_e32 v8, 0
	v_mov_b32_e32 v11, v0
.LBB15_18:                              ; =>This Inner Loop Header: Depth=1
	ds_read_b32 v12, v10
	v_add_u32_e32 v11, 0x80, v11
	v_cmp_le_i32_e64 s[8:9], s15, v11
	s_or_b64 s[28:29], s[8:9], s[28:29]
	s_waitcnt lgkmcnt(0)
	v_sub_f32_e32 v12, v12, v9
	v_mul_f32_e32 v12, 0x3fb8aa3b, v12
	v_exp_f32_e32 v12, v12
	ds_write_b32 v10, v12
	v_add_f32_e32 v8, v8, v12
	v_add_u32_e32 v10, 0x200, v10
	s_andn2_b64 exec, exec, s[28:29]
	s_cbranch_execnz .LBB15_18
; %bb.19:
	s_or_b64 exec, exec, s[28:29]
.LBB15_20:
	s_or_b64 exec, exec, s[26:27]
	ds_bpermute_b32 v3, v3, v8
	s_waitcnt lgkmcnt(0)
	v_add_f32_e32 v3, v8, v3
	ds_bpermute_b32 v5, v5, v3
	s_waitcnt lgkmcnt(0)
	v_add_f32_e32 v3, v3, v5
	ds_bpermute_b32 v5, v6, v3
	v_xor_b32_e32 v6, 4, v22
	v_cmp_lt_i32_e64 s[8:9], v6, v23
	s_waitcnt lgkmcnt(0)
	v_add_f32_e32 v3, v3, v5
	v_cndmask_b32_e64 v6, v22, v6, s[8:9]
	v_lshlrev_b32_e32 v6, 2, v6
	ds_bpermute_b32 v5, v6, v3
	v_xor_b32_e32 v6, 2, v22
	v_cmp_lt_i32_e64 s[8:9], v6, v23
	s_waitcnt lgkmcnt(0)
	v_add_f32_e32 v3, v3, v5
	v_cndmask_b32_e64 v6, v22, v6, s[8:9]
	v_lshlrev_b32_e32 v5, 2, v6
	ds_bpermute_b32 v5, v5, v3
	s_waitcnt lgkmcnt(0)
	v_add_f32_e32 v3, v3, v5
	ds_bpermute_b32 v5, v32, v3
	s_waitcnt lgkmcnt(0)
	v_add_f32_e32 v3, v3, v5
	s_and_saveexec_b64 s[8:9], vcc
	s_cbranch_execz .LBB15_22
; %bb.21:
	ds_write_b32 v2, v3 offset:520
.LBB15_22:
	s_or_b64 exec, exec, s[8:9]
	s_waitcnt lgkmcnt(0)
	s_barrier
	s_and_saveexec_b64 s[8:9], s[0:1]
	s_cbranch_execz .LBB15_24
; %bb.23:
	ds_read_b32 v3, v4 offset:520
.LBB15_24:
	s_or_b64 exec, exec, s[8:9]
	s_waitcnt lgkmcnt(0)
	ds_bpermute_b32 v2, v32, v3
	s_waitcnt lgkmcnt(0)
	v_add_f32_e32 v2, v3, v2
	ds_bpermute_b32 v2, v7, v2
	s_and_saveexec_b64 s[0:1], s[6:7]
	s_cbranch_execz .LBB15_37
; %bb.25:
	s_waitcnt lgkmcnt(0)
	v_add_f32_e32 v2, 0x358637bd, v2
	v_div_scale_f32 v3, s[6:7], v2, v2, 1.0
	v_rcp_f32_e32 v4, v3
	v_div_scale_f32 v5, vcc, 1.0, v2, 1.0
	s_movk_i32 s6, 0x7f
	v_fma_f32 v6, -v3, v4, 1.0
	v_fmac_f32_e32 v4, v6, v4
	v_mul_f32_e32 v6, v5, v4
	v_fma_f32 v7, -v3, v6, v5
	v_fmac_f32_e32 v6, v7, v4
	v_fma_f32 v3, -v3, v6, v5
	v_div_fmas_f32 v3, v3, v4, v6
	v_xad_u32 v4, v0, -1, s15
	v_div_fixup_f32 v2, v3, v2, 1.0
	v_cmp_lt_u32_e32 vcc, s6, v4
	s_mov_b64 s[8:9], -1
	v_mov_b32_e32 v3, v0
	s_and_saveexec_b64 s[6:7], vcc
	s_cbranch_execz .LBB15_34
; %bb.26:
	v_lshrrev_b32_e32 v4, 7, v4
	v_add_u32_e32 v6, -1, v4
	v_lshrrev_b32_e32 v5, 1, v6
	v_mov_b32_e32 v3, v2
	v_add_u32_e32 v5, 1, v5
	v_cmp_lt_u32_e32 vcc, 13, v6
	v_mov_b32_e32 v8, 0
	s_and_saveexec_b64 s[8:9], vcc
	s_cbranch_execz .LBB15_30
; %bb.27:
	v_mov_b32_e32 v7, 0x210
	v_and_b32_e32 v6, -8, v5
	v_lshl_add_u32 v7, v0, 2, v7
	s_mov_b32 s17, 0
	s_mov_b64 s[26:27], 0
.LBB15_28:                              ; =>This Inner Loop Header: Depth=1
	ds_read2st64_b32 v[8:9], v7 offset1:2
	ds_read2st64_b32 v[10:11], v7 offset0:4 offset1:6
	ds_read2st64_b32 v[12:13], v7 offset0:8 offset1:10
	ds_read2st64_b32 v[14:15], v7 offset0:12 offset1:14
	v_add_u32_e32 v6, -8, v6
	s_waitcnt lgkmcnt(3)
	v_pk_mul_f32 v[8:9], v[2:3], v[8:9]
	s_waitcnt lgkmcnt(2)
	v_pk_mul_f32 v[10:11], v[2:3], v[10:11]
	ds_write2st64_b32 v7, v8, v9 offset1:2
	ds_write2st64_b32 v7, v10, v11 offset0:4 offset1:6
	ds_read2st64_b32 v[10:11], v7 offset0:16 offset1:18
	s_waitcnt lgkmcnt(4)
	v_pk_mul_f32 v[8:9], v[2:3], v[12:13]
	ds_write2st64_b32 v7, v8, v9 offset0:8 offset1:10
	s_waitcnt lgkmcnt(4)
	v_pk_mul_f32 v[8:9], v[2:3], v[14:15]
	ds_write2st64_b32 v7, v8, v9 offset0:12 offset1:14
	ds_read2st64_b32 v[8:9], v7 offset0:20 offset1:22
	s_waitcnt lgkmcnt(3)
	v_pk_mul_f32 v[10:11], v[2:3], v[10:11]
	ds_read2st64_b32 v[12:13], v7 offset0:24 offset1:26
	ds_write2st64_b32 v7, v10, v11 offset0:16 offset1:18
	ds_read2st64_b32 v[10:11], v7 offset0:28 offset1:30
	s_waitcnt lgkmcnt(3)
	v_pk_mul_f32 v[8:9], v[2:3], v[8:9]
	ds_write2st64_b32 v7, v8, v9 offset0:20 offset1:22
	s_waitcnt lgkmcnt(3)
	v_pk_mul_f32 v[8:9], v[2:3], v[12:13]
	ds_write2st64_b32 v7, v8, v9 offset0:24 offset1:26
	s_waitcnt lgkmcnt(2)
	v_pk_mul_f32 v[8:9], v[2:3], v[10:11]
	s_add_i32 s17, s17, 16
	v_cmp_eq_u32_e32 vcc, 0, v6
	ds_write2st64_b32 v7, v8, v9 offset0:28 offset1:30
	v_add_u32_e32 v7, 0x2000, v7
	s_or_b64 s[26:27], vcc, s[26:27]
	v_mov_b32_e32 v8, s17
	s_andn2_b64 exec, exec, s[26:27]
	s_cbranch_execnz .LBB15_28
; %bb.29:
	s_or_b64 exec, exec, s[26:27]
.LBB15_30:
	s_or_b64 exec, exec, s[8:9]
	v_and_b32_e32 v5, 7, v5
	v_cmp_ne_u32_e32 vcc, 0, v5
	s_and_saveexec_b64 s[8:9], vcc
	s_cbranch_execz .LBB15_33
; %bb.31:
	v_lshlrev_b32_e32 v6, 9, v8
	s_movk_i32 s17, 0x210
	v_add3_u32 v6, v6, v26, s17
	s_mov_b64 s[26:27], 0
.LBB15_32:                              ; =>This Inner Loop Header: Depth=1
	ds_read2st64_b32 v[8:9], v6 offset1:2
	v_add_u32_e32 v5, -1, v5
	v_cmp_eq_u32_e32 vcc, 0, v5
	s_or_b64 s[26:27], vcc, s[26:27]
	s_waitcnt lgkmcnt(0)
	v_pk_mul_f32 v[8:9], v[2:3], v[8:9]
	ds_write2st64_b32 v6, v8, v9 offset1:2
	v_add_u32_e32 v6, 0x400, v6
	s_andn2_b64 exec, exec, s[26:27]
	s_cbranch_execnz .LBB15_32
.LBB15_33:
	s_or_b64 exec, exec, s[8:9]
	v_add_u32_e32 v4, 1, v4
	v_and_b32_e32 v5, 0x3fffffe, v4
	v_cmp_ne_u32_e32 vcc, v4, v5
	v_lshl_add_u32 v3, v5, 7, v0
	s_orn2_b64 s[8:9], vcc, exec
.LBB15_34:
	s_or_b64 exec, exec, s[6:7]
	s_and_b64 exec, exec, s[8:9]
	s_cbranch_execz .LBB15_37
; %bb.35:
	v_mov_b32_e32 v4, 0x210
	v_lshl_add_u32 v4, v3, 2, v4
	s_mov_b64 s[6:7], 0
.LBB15_36:                              ; =>This Inner Loop Header: Depth=1
	ds_read_b32 v5, v4
	v_add_u32_e32 v3, 0x80, v3
	v_cmp_le_i32_e32 vcc, s15, v3
	s_or_b64 s[6:7], vcc, s[6:7]
	s_waitcnt lgkmcnt(0)
	v_mul_f32_e32 v5, v2, v5
	ds_write_b32 v4, v5
	v_add_u32_e32 v4, 0x200, v4
	s_andn2_b64 exec, exec, s[6:7]
	s_cbranch_execnz .LBB15_36
.LBB15_37:
	s_or_b64 exec, exec, s[0:1]
	v_mov_b32_e32 v25, 0
	v_and_b32_e32 v33, 1, v0
	v_mov_b32_e32 v24, 0
	v_mov_b32_e32 v23, 0
	;; [unrolled: 1-line block ×3, first 2 shown]
	s_waitcnt lgkmcnt(0)
	s_barrier
	s_and_saveexec_b64 s[6:7], s[2:3]
	s_cbranch_execz .LBB15_49
; %bb.38:
	s_ashr_i32 s15, s14, 31
	s_lshl_b64 s[0:1], s[14:15], 2
	s_add_u32 s0, s24, s0
	v_lshlrev_b32_e32 v3, 4, v0
	s_addc_u32 s1, s25, s1
	v_and_b32_e32 v22, 0x3f0, v3
	v_mov_b32_e32 v23, 0
	v_and_b32_e32 v2, 4, v26
	s_add_i32 s14, s12, -1
	v_lshl_add_u64 v[26:27], s[0:1], 0, v[22:23]
	v_lshlrev_b32_e32 v3, 3, v30
	s_lshl_b64 s[0:1], s[22:23], 2
	v_or3_b32 v34, v3, v2, 3
	v_lshlrev_b32_e32 v2, 4, v33
	s_add_u32 s0, s20, s0
	v_lshl_or_b32 v2, v30, 5, v2
	v_and_b32_e32 v22, 60, v28
	s_addc_u32 s1, s21, s1
	v_add_u32_e32 v35, 0x210, v2
	v_lshl_add_u64 v[28:29], s[0:1], 0, v[22:23]
	s_mov_b64 s[2:3], 0
	v_mov_b32_e32 v22, v23
	v_mov_b32_e32 v24, v23
	;; [unrolled: 1-line block ×3, first 2 shown]
	s_branch .LBB15_40
.LBB15_39:                              ;   in Loop: Header=BB15_40 Depth=1
	s_or_b64 exec, exec, s[0:1]
	s_waitcnt vmcnt(3) lgkmcnt(0)
	v_mul_f32_e32 v7, v3, v7
	v_fmac_f32_e32 v7, v2, v6
	s_waitcnt vmcnt(2)
	v_mul_f32_e32 v6, v3, v11
	v_fmac_f32_e32 v6, v2, v10
	v_fmac_f32_e32 v6, v4, v12
	;; [unrolled: 1-line block ×3, first 2 shown]
	v_add_f32_e32 v23, v23, v6
	s_waitcnt vmcnt(1)
	v_mul_f32_e32 v6, v3, v15
	s_waitcnt vmcnt(0)
	v_mul_f32_e32 v3, v3, v19
	v_fmac_f32_e32 v6, v2, v14
	v_fmac_f32_e32 v3, v2, v18
	;; [unrolled: 1-line block ×5, first 2 shown]
	v_add_u32_e32 v30, 2, v30
	v_fmac_f32_e32 v7, v5, v9
	v_fmac_f32_e32 v6, v5, v17
	;; [unrolled: 1-line block ×3, first 2 shown]
	v_cmp_le_i32_e32 vcc, s12, v30
	v_add_f32_e32 v22, v22, v7
	v_add_f32_e32 v24, v24, v6
	;; [unrolled: 1-line block ×3, first 2 shown]
	v_add_u32_e32 v34, 16, v34
	v_add_u32_e32 v35, 64, v35
	s_or_b64 s[2:3], vcc, s[2:3]
	v_lshl_add_u64 v[28:29], v[28:29], 0, 8
	s_andn2_b64 exec, exec, s[2:3]
	s_cbranch_execz .LBB15_48
.LBB15_40:                              ; =>This Inner Loop Header: Depth=1
	global_load_dword v2, v[28:29], off
	v_add_u32_e32 v36, -3, v34
	v_cmp_eq_u32_e32 vcc, s14, v30
	v_add_u32_e32 v38, -2, v34
	v_add_u32_e32 v37, -1, v34
	s_waitcnt vmcnt(0)
	v_mad_i64_i32 v[2:3], s[0:1], v2, s13, 0
	v_lshl_add_u64 v[18:19], v[2:3], 2, v[26:27]
	global_load_dwordx4 v[6:9], v[18:19], off
	ds_read_b128 v[2:5], v35
	s_and_saveexec_b64 s[8:9], vcc
	s_cbranch_execnz .LBB15_44
; %bb.41:                               ;   in Loop: Header=BB15_40 Depth=1
	s_or_b64 exec, exec, s[8:9]
	global_load_dwordx4 v[10:13], v[18:19], off offset:1024
	s_and_saveexec_b64 s[8:9], vcc
	s_cbranch_execnz .LBB15_45
.LBB15_42:                              ;   in Loop: Header=BB15_40 Depth=1
	s_or_b64 exec, exec, s[8:9]
	global_load_dwordx4 v[14:17], v[18:19], off offset:2048
	s_and_saveexec_b64 s[8:9], vcc
	s_cbranch_execnz .LBB15_46
.LBB15_43:                              ;   in Loop: Header=BB15_40 Depth=1
	s_or_b64 exec, exec, s[8:9]
	global_load_dwordx4 v[18:21], v[18:19], off offset:3072
	s_and_saveexec_b64 s[0:1], vcc
	s_cbranch_execz .LBB15_39
	s_branch .LBB15_47
.LBB15_44:                              ;   in Loop: Header=BB15_40 Depth=1
	v_cmp_gt_i32_e64 s[0:1], s33, v36
	s_waitcnt vmcnt(0)
	s_nop 0
	v_cndmask_b32_e64 v6, 0, v6, s[0:1]
	v_cmp_gt_i32_e64 s[0:1], s33, v38
	s_nop 1
	v_cndmask_b32_e64 v7, 0, v7, s[0:1]
	v_cmp_gt_i32_e64 s[0:1], s33, v37
	;; [unrolled: 3-line block ×3, first 2 shown]
	s_nop 1
	v_cndmask_b32_e64 v9, 0, v9, s[0:1]
	s_or_b64 exec, exec, s[8:9]
	global_load_dwordx4 v[10:13], v[18:19], off offset:1024
	s_and_saveexec_b64 s[8:9], vcc
	s_cbranch_execz .LBB15_42
.LBB15_45:                              ;   in Loop: Header=BB15_40 Depth=1
	v_cmp_gt_i32_e64 s[0:1], s33, v36
	s_waitcnt vmcnt(0)
	s_nop 0
	v_cndmask_b32_e64 v10, 0, v10, s[0:1]
	v_cmp_gt_i32_e64 s[0:1], s33, v38
	s_nop 1
	v_cndmask_b32_e64 v11, 0, v11, s[0:1]
	v_cmp_gt_i32_e64 s[0:1], s33, v37
	;; [unrolled: 3-line block ×3, first 2 shown]
	s_nop 1
	v_cndmask_b32_e64 v13, 0, v13, s[0:1]
	s_or_b64 exec, exec, s[8:9]
	global_load_dwordx4 v[14:17], v[18:19], off offset:2048
	s_and_saveexec_b64 s[8:9], vcc
	s_cbranch_execz .LBB15_43
.LBB15_46:                              ;   in Loop: Header=BB15_40 Depth=1
	v_cmp_gt_i32_e64 s[0:1], s33, v36
	s_waitcnt vmcnt(0)
	s_nop 0
	v_cndmask_b32_e64 v14, 0, v14, s[0:1]
	v_cmp_gt_i32_e64 s[0:1], s33, v38
	s_nop 1
	v_cndmask_b32_e64 v15, 0, v15, s[0:1]
	v_cmp_gt_i32_e64 s[0:1], s33, v37
	;; [unrolled: 3-line block ×3, first 2 shown]
	s_nop 1
	v_cndmask_b32_e64 v17, 0, v17, s[0:1]
	s_or_b64 exec, exec, s[8:9]
	global_load_dwordx4 v[18:21], v[18:19], off offset:3072
	s_and_saveexec_b64 s[0:1], vcc
	s_cbranch_execz .LBB15_39
.LBB15_47:                              ;   in Loop: Header=BB15_40 Depth=1
	v_cmp_gt_i32_e32 vcc, s33, v36
	s_waitcnt vmcnt(0)
	s_nop 0
	v_cndmask_b32_e32 v18, 0, v18, vcc
	v_cmp_gt_i32_e32 vcc, s33, v38
	s_nop 1
	v_cndmask_b32_e32 v19, 0, v19, vcc
	v_cmp_gt_i32_e32 vcc, s33, v37
	;; [unrolled: 3-line block ×3, first 2 shown]
	s_nop 1
	v_cndmask_b32_e32 v21, 0, v21, vcc
	s_branch .LBB15_39
.LBB15_48:
	s_or_b64 exec, exec, s[2:3]
.LBB15_49:
	s_or_b64 exec, exec, s[6:7]
	ds_bpermute_b32 v2, v32, v22
	ds_bpermute_b32 v3, v32, v23
	;; [unrolled: 1-line block ×4, first 2 shown]
	v_and_b32_e32 v6, 0x3c1, v0
	v_cmp_eq_u32_e32 vcc, 64, v6
	s_waitcnt lgkmcnt(2)
	v_pk_add_f32 v[2:3], v[22:23], v[2:3]
	s_waitcnt lgkmcnt(0)
	v_pk_add_f32 v[4:5], v[24:25], v[4:5]
	s_barrier
	s_and_saveexec_b64 s[0:1], vcc
	s_cbranch_execz .LBB15_51
; %bb.50:
	v_mov_b32_e32 v7, 0x210
	v_lshl_add_u32 v7, v31, 1, v7
	ds_write2_b32 v7, v2, v3 offset1:32
	ds_write2_b32 v7, v4, v5 offset0:64 offset1:96
.LBB15_51:
	s_or_b64 exec, exec, s[0:1]
	v_cmp_gt_u32_e32 vcc, 64, v0
	s_waitcnt lgkmcnt(0)
	s_barrier
	s_and_saveexec_b64 s[0:1], vcc
	s_cbranch_execz .LBB15_58
; %bb.52:
	v_cmp_eq_u32_e32 vcc, 0, v33
	s_and_saveexec_b64 s[2:3], vcc
	s_cbranch_execnz .LBB15_61
; %bb.53:
	s_or_b64 exec, exec, s[2:3]
	s_and_saveexec_b64 s[2:3], vcc
	s_cbranch_execnz .LBB15_62
.LBB15_54:
	s_or_b64 exec, exec, s[2:3]
	s_and_saveexec_b64 s[2:3], vcc
	s_cbranch_execnz .LBB15_63
.LBB15_55:
	s_or_b64 exec, exec, s[2:3]
	s_and_saveexec_b64 s[2:3], vcc
	s_cbranch_execz .LBB15_57
.LBB15_56:
	v_mov_b32_e32 v7, 0x210
	v_lshl_add_u32 v1, v1, 2, v7
	ds_read_b32 v1, v1 offset:384
	s_waitcnt lgkmcnt(0)
	v_add_f32_e32 v5, v5, v1
.LBB15_57:
	s_or_b64 exec, exec, s[2:3]
.LBB15_58:
	s_or_b64 exec, exec, s[0:1]
	v_cmp_eq_u32_e32 vcc, 0, v6
	s_barrier
	s_and_saveexec_b64 s[0:1], vcc
	s_cbranch_execz .LBB15_60
; %bb.59:
	s_mul_i32 s0, s10, s11
	s_mul_i32 s0, s0, s5
	s_lshl_b32 s0, s0, 7
	s_ashr_i32 s1, s0, 31
	s_lshl_b64 s[0:1], s[0:1], 2
	s_add_u32 s2, s18, s0
	s_mul_i32 s0, s11, s16
	s_addc_u32 s3, s19, s1
	s_ashr_i32 s1, s0, 31
	s_lshl_b64 s[0:1], s[0:1], 2
	s_add_u32 s2, s2, s0
	s_addc_u32 s3, s3, s1
	s_lshl_b32 s0, s4, 7
	s_ashr_i32 s1, s0, 31
	s_lshl_b64 s[0:1], s[0:1], 2
	s_add_u32 s0, s2, s0
	s_addc_u32 s1, s3, s1
	v_lshlrev_b32_e32 v0, 1, v0
	global_store_dword v0, v2, s[0:1]
	global_store_dword v0, v3, s[0:1] offset:128
	global_store_dword v0, v4, s[0:1] offset:256
	;; [unrolled: 1-line block ×3, first 2 shown]
.LBB15_60:
	s_endpgm
.LBB15_61:
	v_mov_b32_e32 v7, 0x210
	v_lshl_add_u32 v7, v1, 2, v7
	ds_read_b32 v7, v7
	s_waitcnt lgkmcnt(0)
	v_add_f32_e32 v2, v2, v7
	s_or_b64 exec, exec, s[2:3]
	s_and_saveexec_b64 s[2:3], vcc
	s_cbranch_execz .LBB15_54
.LBB15_62:
	v_mov_b32_e32 v7, 0x210
	v_lshl_add_u32 v7, v1, 2, v7
	ds_read_b32 v7, v7 offset:128
	s_waitcnt lgkmcnt(0)
	v_add_f32_e32 v3, v3, v7
	s_or_b64 exec, exec, s[2:3]
	s_and_saveexec_b64 s[2:3], vcc
	s_cbranch_execz .LBB15_55
.LBB15_63:
	v_mov_b32_e32 v7, 0x210
	v_lshl_add_u32 v7, v1, 2, v7
	ds_read_b32 v7, v7 offset:256
	s_waitcnt lgkmcnt(0)
	v_add_f32_e32 v4, v4, v7
	s_or_b64 exec, exec, s[2:3]
	s_and_saveexec_b64 s[2:3], vcc
	s_cbranch_execnz .LBB15_56
	s_branch .LBB15_57
	.section	.rodata,"a",@progbits
	.p2align	6, 0x0
	.amdhsa_kernel _ZN4vllm25paged_attention_v1_kernelIffLi128ELi8ELi128ELNS_18Fp8KVCacheDataTypeE0ELb0EEEvPT_PKS2_PKT0_S8_ifPKiSA_iPKfiiiSC_SC_iiiii
		.amdhsa_group_segment_fixed_size 528
		.amdhsa_private_segment_fixed_size 0
		.amdhsa_kernarg_size 384
		.amdhsa_user_sgpr_count 2
		.amdhsa_user_sgpr_dispatch_ptr 0
		.amdhsa_user_sgpr_queue_ptr 0
		.amdhsa_user_sgpr_kernarg_segment_ptr 1
		.amdhsa_user_sgpr_dispatch_id 0
		.amdhsa_user_sgpr_kernarg_preload_length 0
		.amdhsa_user_sgpr_kernarg_preload_offset 0
		.amdhsa_user_sgpr_private_segment_size 0
		.amdhsa_uses_dynamic_stack 0
		.amdhsa_enable_private_segment 0
		.amdhsa_system_sgpr_workgroup_id_x 1
		.amdhsa_system_sgpr_workgroup_id_y 1
		.amdhsa_system_sgpr_workgroup_id_z 1
		.amdhsa_system_sgpr_workgroup_info 0
		.amdhsa_system_vgpr_workitem_id 0
		.amdhsa_next_free_vgpr 51
		.amdhsa_next_free_sgpr 34
		.amdhsa_accum_offset 52
		.amdhsa_reserve_vcc 1
		.amdhsa_float_round_mode_32 0
		.amdhsa_float_round_mode_16_64 0
		.amdhsa_float_denorm_mode_32 3
		.amdhsa_float_denorm_mode_16_64 3
		.amdhsa_dx10_clamp 1
		.amdhsa_ieee_mode 1
		.amdhsa_fp16_overflow 0
		.amdhsa_tg_split 0
		.amdhsa_exception_fp_ieee_invalid_op 0
		.amdhsa_exception_fp_denorm_src 0
		.amdhsa_exception_fp_ieee_div_zero 0
		.amdhsa_exception_fp_ieee_overflow 0
		.amdhsa_exception_fp_ieee_underflow 0
		.amdhsa_exception_fp_ieee_inexact 0
		.amdhsa_exception_int_div_zero 0
	.end_amdhsa_kernel
	.section	.text._ZN4vllm25paged_attention_v1_kernelIffLi128ELi8ELi128ELNS_18Fp8KVCacheDataTypeE0ELb0EEEvPT_PKS2_PKT0_S8_ifPKiSA_iPKfiiiSC_SC_iiiii,"axG",@progbits,_ZN4vllm25paged_attention_v1_kernelIffLi128ELi8ELi128ELNS_18Fp8KVCacheDataTypeE0ELb0EEEvPT_PKS2_PKT0_S8_ifPKiSA_iPKfiiiSC_SC_iiiii,comdat
.Lfunc_end15:
	.size	_ZN4vllm25paged_attention_v1_kernelIffLi128ELi8ELi128ELNS_18Fp8KVCacheDataTypeE0ELb0EEEvPT_PKS2_PKT0_S8_ifPKiSA_iPKfiiiSC_SC_iiiii, .Lfunc_end15-_ZN4vllm25paged_attention_v1_kernelIffLi128ELi8ELi128ELNS_18Fp8KVCacheDataTypeE0ELb0EEEvPT_PKS2_PKT0_S8_ifPKiSA_iPKfiiiSC_SC_iiiii
                                        ; -- End function
	.section	.AMDGPU.csdata,"",@progbits
; Kernel info:
; codeLenInByte = 3960
; NumSgprs: 40
; NumVgprs: 51
; NumAgprs: 0
; TotalNumVgprs: 51
; ScratchSize: 0
; MemoryBound: 0
; FloatMode: 240
; IeeeMode: 1
; LDSByteSize: 528 bytes/workgroup (compile time only)
; SGPRBlocks: 4
; VGPRBlocks: 6
; NumSGPRsForWavesPerEU: 40
; NumVGPRsForWavesPerEU: 51
; AccumOffset: 52
; Occupancy: 8
; WaveLimiterHint : 1
; COMPUTE_PGM_RSRC2:SCRATCH_EN: 0
; COMPUTE_PGM_RSRC2:USER_SGPR: 2
; COMPUTE_PGM_RSRC2:TRAP_HANDLER: 0
; COMPUTE_PGM_RSRC2:TGID_X_EN: 1
; COMPUTE_PGM_RSRC2:TGID_Y_EN: 1
; COMPUTE_PGM_RSRC2:TGID_Z_EN: 1
; COMPUTE_PGM_RSRC2:TIDIG_COMP_CNT: 0
; COMPUTE_PGM_RSRC3_GFX90A:ACCUM_OFFSET: 12
; COMPUTE_PGM_RSRC3_GFX90A:TG_SPLIT: 0
	.section	.text._ZN4vllm25paged_attention_v1_kernelIffLi192ELi8ELi128ELNS_18Fp8KVCacheDataTypeE0ELb0EEEvPT_PKS2_PKT0_S8_ifPKiSA_iPKfiiiSC_SC_iiiii,"axG",@progbits,_ZN4vllm25paged_attention_v1_kernelIffLi192ELi8ELi128ELNS_18Fp8KVCacheDataTypeE0ELb0EEEvPT_PKS2_PKT0_S8_ifPKiSA_iPKfiiiSC_SC_iiiii,comdat
	.protected	_ZN4vllm25paged_attention_v1_kernelIffLi192ELi8ELi128ELNS_18Fp8KVCacheDataTypeE0ELb0EEEvPT_PKS2_PKT0_S8_ifPKiSA_iPKfiiiSC_SC_iiiii ; -- Begin function _ZN4vllm25paged_attention_v1_kernelIffLi192ELi8ELi128ELNS_18Fp8KVCacheDataTypeE0ELb0EEEvPT_PKS2_PKT0_S8_ifPKiSA_iPKfiiiSC_SC_iiiii
	.globl	_ZN4vllm25paged_attention_v1_kernelIffLi192ELi8ELi128ELNS_18Fp8KVCacheDataTypeE0ELb0EEEvPT_PKS2_PKT0_S8_ifPKiSA_iPKfiiiSC_SC_iiiii
	.p2align	8
	.type	_ZN4vllm25paged_attention_v1_kernelIffLi192ELi8ELi128ELNS_18Fp8KVCacheDataTypeE0ELb0EEEvPT_PKS2_PKT0_S8_ifPKiSA_iPKfiiiSC_SC_iiiii,@function
_ZN4vllm25paged_attention_v1_kernelIffLi192ELi8ELi128ELNS_18Fp8KVCacheDataTypeE0ELb0EEEvPT_PKS2_PKT0_S8_ifPKiSA_iPKfiiiSC_SC_iiiii: ; @_ZN4vllm25paged_attention_v1_kernelIffLi192ELi8ELi128ELNS_18Fp8KVCacheDataTypeE0ELb0EEEvPT_PKS2_PKT0_S8_ifPKiSA_iPKfiiiSC_SC_iiiii
; %bb.0:
	s_load_dword s5, s[0:1], 0x80
	s_load_dwordx2 s[6:7], s[0:1], 0x30
	s_load_dwordx2 s[26:27], s[0:1], 0x20
	s_mov_b32 s16, s3
	s_ashr_i32 s17, s3, 31
	s_lshl_b64 s[8:9], s[16:17], 2
	s_waitcnt lgkmcnt(0)
	s_add_u32 s6, s6, s8
	s_addc_u32 s7, s7, s9
	s_abs_i32 s3, s26
	v_cvt_f32_u32_e32 v1, s3
	s_sub_i32 s10, 0, s3
	s_abs_i32 s9, s5
	s_xor_b32 s8, s5, s26
	v_rcp_iflag_f32_e32 v1, v1
	s_ashr_i32 s8, s8, 31
	s_mov_b32 s26, 0
	v_mul_f32_e32 v1, 0x4f7ffffe, v1
	v_cvt_u32_f32_e32 v1, v1
	s_nop 0
	v_readfirstlane_b32 s11, v1
	s_mul_i32 s10, s10, s11
	s_mul_hi_u32 s10, s11, s10
	s_add_i32 s11, s11, s10
	s_mul_hi_u32 s10, s9, s11
	s_mul_i32 s11, s10, s3
	s_sub_i32 s9, s9, s11
	s_add_i32 s11, s10, 1
	s_sub_i32 s12, s9, s3
	s_cmp_ge_u32 s9, s3
	s_cselect_b32 s10, s11, s10
	s_cselect_b32 s9, s12, s9
	s_add_i32 s11, s10, 1
	s_cmp_ge_u32 s9, s3
	s_cselect_b32 s3, s11, s10
	s_xor_b32 s3, s3, s8
	s_sub_i32 s34, s3, s8
	s_abs_i32 s30, s34
	v_cvt_f32_u32_e32 v1, s30
	s_load_dwordx2 s[8:9], s[0:1], 0x40
	s_sub_i32 s3, 0, s30
	s_abs_i32 s31, s2
	v_rcp_iflag_f32_e32 v1, v1
	s_nop 0
	v_mul_f32_e32 v1, 0x4f7ffffe, v1
	v_cvt_u32_f32_e32 v1, v1
	s_nop 0
	v_readfirstlane_b32 s12, v1
	s_mul_i32 s3, s3, s12
	s_mul_hi_u32 s3, s12, s3
	s_add_i32 s12, s12, s3
	s_waitcnt lgkmcnt(0)
	s_cmp_eq_u64 s[8:9], 0
	s_cbranch_scc1 .LBB16_2
; %bb.1:
	s_ashr_i32 s3, s2, 31
	s_lshl_b64 s[10:11], s[2:3], 2
	s_add_u32 s8, s8, s10
	s_addc_u32 s9, s9, s11
	s_load_dword s26, s[8:9], 0x0
.LBB16_2:
	s_load_dwordx2 s[18:19], s[0:1], 0x0
	s_nop 0
	s_load_dwordx4 s[8:11], s[0:1], 0x10
	s_mul_hi_u32 s3, s31, s12
	s_load_dword s17, s[0:1], 0x88
	s_load_dword s33, s[6:7], 0x0
	s_load_dwordx2 s[22:23], s[0:1], 0x28
	s_load_dwordx4 s[12:15], s[0:1], 0x48
	s_movk_i32 s6, 0xc0
	s_mul_i32 s20, s2, 0xc0
	v_and_b32_e32 v30, 7, v0
	s_ashr_i32 s21, s20, 31
	v_cmp_gt_u32_e32 vcc, s6, v0
	s_and_saveexec_b64 s[6:7], vcc
	s_cbranch_execz .LBB16_5
; %bb.3:
	s_load_dwordx2 s[24:25], s[0:1], 0x8
	s_waitcnt lgkmcnt(0)
	s_mul_i32 s28, s16, s12
	v_lshrrev_b32_e32 v2, 3, v0
	s_ashr_i32 s29, s28, 31
	v_lshlrev_b32_e32 v3, 2, v2
	s_movk_i32 s12, 0x60
	s_lshl_b64 s[28:29], s[28:29], 2
	s_lshl_b64 s[36:37], s[20:21], 2
	v_mad_u32_u24 v4, v30, s12, v3
	s_add_u32 s12, s28, s36
	s_addc_u32 s15, s29, s37
	v_lshlrev_b32_e32 v3, 2, v30
	s_add_u32 s24, s24, s12
	v_add_u32_e32 v1, -16, v2
	v_lshl_or_b32 v2, v2, 5, v3
	v_mov_b32_e32 v3, 0
	s_addc_u32 s25, s25, s15
	v_lshl_add_u64 v[2:3], s[24:25], 0, v[2:3]
	s_mov_b64 s[24:25], 0
	s_mov_b64 s[28:29], 0x200
.LBB16_4:                               ; =>This Inner Loop Header: Depth=1
	global_load_dword v5, v[2:3], off
	v_add_u32_e32 v1, 16, v1
	v_cmp_lt_u32_e32 vcc, 7, v1
	v_lshl_add_u64 v[2:3], v[2:3], 0, s[28:29]
	s_or_b64 s[24:25], vcc, s[24:25]
	s_waitcnt vmcnt(0)
	ds_write_b32 v4, v5
	v_add_u32_e32 v4, 64, v4
	s_andn2_b64 exec, exec, s[24:25]
	s_cbranch_execnz .LBB16_4
.LBB16_5:
	s_or_b64 exec, exec, s[6:7]
	s_load_dword s0, s[0:1], 0x38
	s_waitcnt lgkmcnt(0)
	s_add_i32 s1, s33, 7
	s_ashr_i32 s7, s1, 31
	s_lshr_b32 s7, s7, 29
	s_ashr_i32 s2, s2, 31
	s_ashr_i32 s6, s34, 31
	s_add_i32 s1, s1, s7
	s_ashr_i32 s12, s1, 3
	s_xor_b32 s1, s2, s6
	s_mul_i32 s2, s3, s30
	s_sub_i32 s2, s31, s2
	s_add_i32 s6, s3, 1
	s_sub_i32 s7, s2, s30
	s_cmp_ge_u32 s2, s30
	s_cselect_b32 s3, s6, s3
	s_cselect_b32 s2, s7, s2
	s_add_i32 s6, s3, 1
	s_cmp_ge_u32 s2, s30
	s_cselect_b32 s2, s6, s3
	v_lshrrev_b32_e32 v1, 6, v0
	s_xor_b32 s2, s2, s1
	s_mul_i32 s24, s16, s0
	s_sub_i32 s6, s2, s1
	s_ashr_i32 s25, s24, 31
	v_cmp_gt_i32_e64 s[0:1], s12, v1
	v_cmp_le_i32_e32 vcc, s12, v1
	v_mbcnt_lo_u32_b32 v31, -1, 0
	s_barrier
	s_waitcnt lgkmcnt(0)
                                        ; implicit-def: $sgpr7
                                        ; implicit-def: $vgpr49
                                        ; implicit-def: $vgpr50
	s_and_saveexec_b64 s[2:3], vcc
	s_xor_b64 s[2:3], exec, s[2:3]
; %bb.6:
	v_mbcnt_hi_u32_b32 v49, -1, v31
	v_and_b32_e32 v2, 64, v49
	v_add_u32_e32 v50, 64, v2
	s_mov_b32 s7, 0xff7fffff
                                        ; implicit-def: $vgpr30
                                        ; implicit-def: $vgpr31
; %bb.7:
	s_or_saveexec_b64 s[28:29], s[2:3]
	v_mov_b32_e32 v54, s7
	s_mul_i32 s14, s6, s14
	v_lshrrev_b32_e32 v48, 4, v0
	s_xor_b64 exec, exec, s[28:29]
	s_cbranch_execz .LBB16_13
; %bb.8:
	s_ashr_i32 s15, s14, 31
	s_lshl_b64 s[2:3], s[14:15], 2
	v_bfe_u32 v33, v0, 3, 3
	s_add_u32 s2, s8, s2
	s_addc_u32 s3, s9, s3
	v_lshlrev_b32_e32 v26, 4, v33
	v_mov_b32_e32 v27, 0
	v_and_b32_e32 v4, 3, v0
	v_lshl_add_u64 v[2:3], s[2:3], 0, v[26:27]
	v_lshlrev_b32_e32 v26, 2, v4
	v_mbcnt_hi_u32_b32 v49, -1, v31
	v_lshl_add_u64 v[28:29], v[2:3], 0, v[26:27]
	v_and_b32_e32 v26, 64, v49
	v_add_u32_e32 v50, 64, v26
	v_xor_b32_e32 v26, 4, v49
	v_cmp_lt_i32_e32 vcc, v26, v50
	v_lshlrev_b32_e32 v5, 3, v0
	v_mul_u32_u24_e32 v22, 0x60, v30
	v_cndmask_b32_e32 v26, v49, v26, vcc
	v_and_b32_e32 v32, 32, v5
	ds_read_b128 v[2:5], v22
	ds_read_b128 v[6:9], v22 offset:16
	ds_read_b128 v[10:13], v22 offset:32
	;; [unrolled: 1-line block ×5, first 2 shown]
	v_lshlrev_b32_e32 v51, 2, v26
	v_xor_b32_e32 v26, 2, v49
	v_cmp_lt_i32_e32 vcc, v26, v50
	v_lshlrev_b32_e32 v35, 2, v33
	s_sub_i32 s15, 1, s33
	v_cndmask_b32_e32 v26, v49, v26, vcc
	v_lshlrev_b32_e32 v52, 2, v26
	v_xor_b32_e32 v26, 1, v49
	v_cmp_lt_i32_e32 vcc, v26, v50
	s_lshl_b64 s[6:7], s[24:25], 2
	s_add_u32 s6, s22, s6
	v_cndmask_b32_e32 v26, v49, v26, vcc
	v_lshlrev_b32_e32 v53, 2, v26
	v_lshl_or_b32 v26, v1, 5, v35
	v_or_b32_e32 v34, 0x400, v32
	v_or_b32_e32 v36, 0x440, v32
	;; [unrolled: 1-line block ×8, first 2 shown]
	v_add_u32_e32 v56, 0x310, v26
	v_and_b32_e32 v26, 60, v48
	s_addc_u32 s7, s23, s7
	s_mov_b32 s21, s13
	v_cmp_eq_u32_e32 vcc, 0, v30
	v_cmp_neq_f32_e64 s[2:3], s26, 0
	v_lshl_or_b32 v55, v1, 3, v33
	v_lshl_add_u64 v[30:31], s[6:7], 0, v[26:27]
	s_mov_b64 s[8:9], 0
	v_mov_b32_e32 v54, 0xff7fffff
	v_lshlrev_b32_e32 v32, 2, v32
	v_lshlrev_b32_e32 v34, 2, v34
	;; [unrolled: 1-line block ×9, first 2 shown]
	v_mov_b32_e32 v33, v27
	v_mov_b32_e32 v35, v27
	v_mov_b32_e32 v37, v27
	v_mov_b32_e32 v39, v27
	v_mov_b32_e32 v41, v27
	v_mov_b32_e32 v57, v1
	s_branch .LBB16_10
.LBB16_9:                               ;   in Loop: Header=BB16_10 Depth=1
	s_or_b64 exec, exec, s[30:31]
	v_add_u32_e32 v57, 2, v57
	v_cmp_le_i32_e64 s[6:7], s12, v57
	v_add_u32_e32 v55, 16, v55
	v_add_u32_e32 v56, 64, v56
	s_or_b64 s[8:9], s[6:7], s[8:9]
	v_lshl_add_u64 v[30:31], v[30:31], 0, 8
	s_andn2_b64 exec, exec, s[8:9]
	s_cbranch_execz .LBB16_12
.LBB16_10:                              ; =>This Inner Loop Header: Depth=1
	global_load_dword v43, v[30:31], off
	s_waitcnt lgkmcnt(0)
	v_mov_b32_e32 v45, v27
	v_mov_b32_e32 v47, v27
	s_waitcnt vmcnt(0)
	v_mad_i64_i32 v[58:59], s[6:7], v43, s21, 0
	v_lshl_add_u64 v[58:59], v[58:59], 2, v[28:29]
	v_lshl_add_u64 v[60:61], v[58:59], 0, v[32:33]
	global_load_dword v74, v[60:61], off
	global_load_dword v75, v[60:61], off offset:256
	global_load_dword v76, v[60:61], off offset:512
	;; [unrolled: 1-line block ×15, first 2 shown]
	v_mov_b32_e32 v43, v27
	v_lshl_add_u64 v[60:61], v[58:59], 0, v[34:35]
	v_lshl_add_u64 v[62:63], v[58:59], 0, v[36:37]
	;; [unrolled: 1-line block ×8, first 2 shown]
	global_load_dword v43, v[60:61], off
	global_load_dword v45, v[62:63], off
	;; [unrolled: 1-line block ×3, first 2 shown]
	s_nop 0
	global_load_dword v60, v[66:67], off
	global_load_dword v61, v[68:69], off
	;; [unrolled: 1-line block ×4, first 2 shown]
	s_nop 0
	global_load_dword v58, v[58:59], off
	s_waitcnt vmcnt(22) lgkmcnt(5)
	v_mul_f32_e32 v59, v3, v75
	v_fmac_f32_e32 v59, v2, v74
	s_waitcnt vmcnt(21)
	v_fmac_f32_e32 v59, v4, v76
	s_waitcnt vmcnt(20)
	v_fmac_f32_e32 v59, v5, v77
	s_waitcnt vmcnt(19) lgkmcnt(4)
	v_fmac_f32_e32 v59, v6, v78
	s_waitcnt vmcnt(18)
	v_fmac_f32_e32 v59, v7, v79
	s_waitcnt vmcnt(17)
	v_fmac_f32_e32 v59, v8, v80
	s_waitcnt vmcnt(16)
	v_fmac_f32_e32 v59, v9, v81
	s_waitcnt vmcnt(15) lgkmcnt(3)
	v_fmac_f32_e32 v59, v10, v82
	s_waitcnt vmcnt(14)
	;; [unrolled: 8-line block ×5, first 2 shown]
	v_fmac_f32_e32 v59, v23, v62
	s_waitcnt vmcnt(1)
	v_fmac_f32_e32 v59, v24, v63
	s_waitcnt vmcnt(0)
	v_fmac_f32_e32 v59, v25, v58
	ds_bpermute_b32 v43, v51, v59
	s_waitcnt lgkmcnt(0)
	v_add_f32_e32 v43, v59, v43
	ds_bpermute_b32 v45, v52, v43
	s_waitcnt lgkmcnt(0)
	v_add_f32_e32 v43, v43, v45
	ds_bpermute_b32 v45, v53, v43
	s_and_saveexec_b64 s[30:31], vcc
	s_cbranch_execz .LBB16_9
; %bb.11:                               ;   in Loop: Header=BB16_10 Depth=1
	v_add_u32_e32 v47, s15, v55
	v_cvt_f32_i32_e32 v47, v47
	s_waitcnt lgkmcnt(0)
	v_add_f32_e32 v43, v43, v45
	v_cmp_gt_i32_e64 s[6:7], s33, v55
	v_max_f32_e32 v45, v54, v54
	v_mul_f32_e32 v47, s26, v47
	v_cndmask_b32_e64 v47, 0, v47, s[2:3]
	v_fmac_f32_e32 v47, s27, v43
	v_cndmask_b32_e64 v43, 0, v47, s[6:7]
	ds_write_b32 v56, v43
	v_max_f32_e32 v43, v45, v47
	v_cndmask_b32_e64 v54, v54, v43, s[6:7]
	s_branch .LBB16_9
.LBB16_12:
	s_or_b64 exec, exec, s[8:9]
.LBB16_13:
	s_or_b64 exec, exec, s[28:29]
	v_xor_b32_e32 v2, 32, v49
	v_cmp_lt_i32_e32 vcc, v2, v50
	v_xor_b32_e32 v5, 16, v49
	v_max_f32_e32 v4, v54, v54
	v_cndmask_b32_e32 v2, v49, v2, vcc
	v_lshlrev_b32_e32 v3, 2, v2
	ds_bpermute_b32 v2, v3, v54
	v_cmp_lt_i32_e32 vcc, v5, v50
	v_xor_b32_e32 v6, 8, v49
	v_and_b32_e32 v44, 63, v0
	s_waitcnt lgkmcnt(0)
	v_max_f32_e32 v2, v2, v2
	v_max_f32_e32 v2, v4, v2
	v_cndmask_b32_e32 v4, v49, v5, vcc
	v_lshlrev_b32_e32 v5, 2, v4
	ds_bpermute_b32 v4, v5, v2
	v_cmp_lt_i32_e32 vcc, v6, v50
	s_waitcnt lgkmcnt(0)
	v_max_f32_e32 v4, v4, v4
	v_max_f32_e32 v4, v2, v4
	v_cndmask_b32_e32 v2, v49, v6, vcc
	v_lshlrev_b32_e32 v6, 2, v2
	ds_bpermute_b32 v7, v6, v4
	v_cmp_eq_u32_e32 vcc, 0, v44
	v_lshlrev_b32_e32 v2, 2, v1
	s_and_saveexec_b64 s[2:3], vcc
	s_cbranch_execz .LBB16_15
; %bb.14:
	s_waitcnt lgkmcnt(0)
	v_max_f32_e32 v7, v7, v7
	v_max_f32_e32 v4, v4, v4
	;; [unrolled: 1-line block ×3, first 2 shown]
	ds_write_b32 v2, v4 offset:768
.LBB16_15:
	s_or_b64 exec, exec, s[2:3]
	v_cmp_gt_u32_e64 s[2:3], 2, v44
	s_waitcnt lgkmcnt(0)
	v_mov_b32_e32 v7, 0xff7fffff
	v_lshlrev_b32_e32 v4, 2, v44
	s_barrier
	s_and_saveexec_b64 s[6:7], s[2:3]
	s_cbranch_execz .LBB16_17
; %bb.16:
	ds_read_b32 v7, v4 offset:768
.LBB16_17:
	s_or_b64 exec, exec, s[6:7]
	v_xor_b32_e32 v8, 1, v49
	v_cmp_lt_i32_e64 s[6:7], v8, v50
	v_lshlrev_b32_e32 v9, 2, v49
	s_nop 0
	v_cndmask_b32_e64 v8, v49, v8, s[6:7]
	v_lshlrev_b32_e32 v45, 2, v8
	s_waitcnt lgkmcnt(0)
	ds_bpermute_b32 v8, v45, v7
	v_max_f32_e32 v7, v7, v7
	s_lshl_b32 s6, s12, 3
	s_min_i32 s15, s6, s33
	v_cmp_gt_i32_e64 s[6:7], s15, v0
	s_waitcnt lgkmcnt(0)
	v_max_f32_e32 v8, v8, v8
	v_max_f32_e32 v8, v7, v8
	v_and_b32_e32 v7, 0xffffff00, v9
	ds_bpermute_b32 v9, v7, v8
	v_mov_b32_e32 v8, 0
	s_and_saveexec_b64 s[26:27], s[6:7]
	s_cbranch_execz .LBB16_21
; %bb.18:
	v_mov_b32_e32 v8, 0x310
	v_lshl_add_u32 v10, v0, 2, v8
	s_mov_b64 s[28:29], 0
	v_mov_b32_e32 v8, 0
	v_mov_b32_e32 v11, v0
.LBB16_19:                              ; =>This Inner Loop Header: Depth=1
	ds_read_b32 v12, v10
	v_add_u32_e32 v11, 0x80, v11
	v_cmp_le_i32_e64 s[8:9], s15, v11
	s_or_b64 s[28:29], s[8:9], s[28:29]
	s_waitcnt lgkmcnt(0)
	v_sub_f32_e32 v12, v12, v9
	v_mul_f32_e32 v12, 0x3fb8aa3b, v12
	v_exp_f32_e32 v12, v12
	ds_write_b32 v10, v12
	v_add_f32_e32 v8, v8, v12
	v_add_u32_e32 v10, 0x200, v10
	s_andn2_b64 exec, exec, s[28:29]
	s_cbranch_execnz .LBB16_19
; %bb.20:
	s_or_b64 exec, exec, s[28:29]
.LBB16_21:
	s_or_b64 exec, exec, s[26:27]
	ds_bpermute_b32 v3, v3, v8
	s_waitcnt lgkmcnt(0)
	v_add_f32_e32 v3, v8, v3
	ds_bpermute_b32 v5, v5, v3
	s_waitcnt lgkmcnt(0)
	v_add_f32_e32 v3, v3, v5
	ds_bpermute_b32 v5, v6, v3
	v_xor_b32_e32 v6, 4, v49
	v_cmp_lt_i32_e64 s[8:9], v6, v50
	s_waitcnt lgkmcnt(0)
	v_add_f32_e32 v3, v3, v5
	v_cndmask_b32_e64 v6, v49, v6, s[8:9]
	v_lshlrev_b32_e32 v6, 2, v6
	ds_bpermute_b32 v5, v6, v3
	v_xor_b32_e32 v6, 2, v49
	v_cmp_lt_i32_e64 s[8:9], v6, v50
	s_waitcnt lgkmcnt(0)
	v_add_f32_e32 v3, v3, v5
	v_cndmask_b32_e64 v6, v49, v6, s[8:9]
	v_lshlrev_b32_e32 v5, 2, v6
	ds_bpermute_b32 v5, v5, v3
	s_waitcnt lgkmcnt(0)
	v_add_f32_e32 v3, v3, v5
	ds_bpermute_b32 v5, v45, v3
	s_waitcnt lgkmcnt(0)
	v_add_f32_e32 v3, v3, v5
	s_and_saveexec_b64 s[8:9], vcc
	s_cbranch_execz .LBB16_23
; %bb.22:
	ds_write_b32 v2, v3 offset:776
.LBB16_23:
	s_or_b64 exec, exec, s[8:9]
	s_waitcnt lgkmcnt(0)
	s_barrier
	s_and_saveexec_b64 s[8:9], s[2:3]
	s_cbranch_execz .LBB16_25
; %bb.24:
	ds_read_b32 v3, v4 offset:776
.LBB16_25:
	s_or_b64 exec, exec, s[8:9]
	s_waitcnt lgkmcnt(0)
	ds_bpermute_b32 v2, v45, v3
	s_waitcnt lgkmcnt(0)
	v_add_f32_e32 v2, v3, v2
	ds_bpermute_b32 v2, v7, v2
	s_and_saveexec_b64 s[2:3], s[6:7]
	s_cbranch_execz .LBB16_38
; %bb.26:
	s_waitcnt lgkmcnt(0)
	v_add_f32_e32 v2, 0x358637bd, v2
	v_div_scale_f32 v3, s[6:7], v2, v2, 1.0
	v_rcp_f32_e32 v4, v3
	v_div_scale_f32 v5, vcc, 1.0, v2, 1.0
	s_movk_i32 s6, 0x7f
	v_fma_f32 v6, -v3, v4, 1.0
	v_fmac_f32_e32 v4, v6, v4
	v_mul_f32_e32 v6, v5, v4
	v_fma_f32 v7, -v3, v6, v5
	v_fmac_f32_e32 v6, v7, v4
	v_fma_f32 v3, -v3, v6, v5
	v_div_fmas_f32 v3, v3, v4, v6
	v_xad_u32 v4, v0, -1, s15
	v_div_fixup_f32 v2, v3, v2, 1.0
	v_cmp_lt_u32_e32 vcc, s6, v4
	s_mov_b64 s[8:9], -1
	v_mov_b32_e32 v3, v0
	s_and_saveexec_b64 s[6:7], vcc
	s_cbranch_execz .LBB16_35
; %bb.27:
	v_lshrrev_b32_e32 v4, 7, v4
	v_add_u32_e32 v6, -1, v4
	v_lshrrev_b32_e32 v5, 1, v6
	v_mov_b32_e32 v3, v2
	v_add_u32_e32 v5, 1, v5
	v_cmp_lt_u32_e32 vcc, 13, v6
	v_mov_b32_e32 v8, 0
	s_and_saveexec_b64 s[8:9], vcc
	s_cbranch_execz .LBB16_31
; %bb.28:
	v_mov_b32_e32 v7, 0x310
	v_and_b32_e32 v6, -8, v5
	v_lshl_add_u32 v7, v0, 2, v7
	s_mov_b32 s21, 0
	s_mov_b64 s[26:27], 0
.LBB16_29:                              ; =>This Inner Loop Header: Depth=1
	ds_read2st64_b32 v[8:9], v7 offset1:2
	ds_read2st64_b32 v[10:11], v7 offset0:4 offset1:6
	ds_read2st64_b32 v[12:13], v7 offset0:8 offset1:10
	;; [unrolled: 1-line block ×3, first 2 shown]
	v_add_u32_e32 v6, -8, v6
	s_waitcnt lgkmcnt(3)
	v_pk_mul_f32 v[8:9], v[2:3], v[8:9]
	s_waitcnt lgkmcnt(2)
	v_pk_mul_f32 v[10:11], v[2:3], v[10:11]
	ds_write2st64_b32 v7, v8, v9 offset1:2
	ds_write2st64_b32 v7, v10, v11 offset0:4 offset1:6
	ds_read2st64_b32 v[10:11], v7 offset0:16 offset1:18
	s_waitcnt lgkmcnt(4)
	v_pk_mul_f32 v[8:9], v[2:3], v[12:13]
	ds_write2st64_b32 v7, v8, v9 offset0:8 offset1:10
	s_waitcnt lgkmcnt(4)
	v_pk_mul_f32 v[8:9], v[2:3], v[14:15]
	ds_write2st64_b32 v7, v8, v9 offset0:12 offset1:14
	ds_read2st64_b32 v[8:9], v7 offset0:20 offset1:22
	s_waitcnt lgkmcnt(3)
	v_pk_mul_f32 v[10:11], v[2:3], v[10:11]
	ds_read2st64_b32 v[12:13], v7 offset0:24 offset1:26
	ds_write2st64_b32 v7, v10, v11 offset0:16 offset1:18
	ds_read2st64_b32 v[10:11], v7 offset0:28 offset1:30
	s_waitcnt lgkmcnt(3)
	v_pk_mul_f32 v[8:9], v[2:3], v[8:9]
	ds_write2st64_b32 v7, v8, v9 offset0:20 offset1:22
	s_waitcnt lgkmcnt(3)
	v_pk_mul_f32 v[8:9], v[2:3], v[12:13]
	ds_write2st64_b32 v7, v8, v9 offset0:24 offset1:26
	s_waitcnt lgkmcnt(2)
	v_pk_mul_f32 v[8:9], v[2:3], v[10:11]
	s_add_i32 s21, s21, 16
	v_cmp_eq_u32_e32 vcc, 0, v6
	ds_write2st64_b32 v7, v8, v9 offset0:28 offset1:30
	v_add_u32_e32 v7, 0x2000, v7
	s_or_b64 s[26:27], vcc, s[26:27]
	v_mov_b32_e32 v8, s21
	s_andn2_b64 exec, exec, s[26:27]
	s_cbranch_execnz .LBB16_29
; %bb.30:
	s_or_b64 exec, exec, s[26:27]
.LBB16_31:
	s_or_b64 exec, exec, s[8:9]
	v_and_b32_e32 v5, 7, v5
	v_cmp_ne_u32_e32 vcc, 0, v5
	s_and_saveexec_b64 s[8:9], vcc
	s_cbranch_execz .LBB16_34
; %bb.32:
	v_lshlrev_b32_e32 v6, 9, v8
	v_lshlrev_b32_e32 v7, 2, v0
	s_movk_i32 s21, 0x310
	v_add3_u32 v6, v6, v7, s21
	s_mov_b64 s[26:27], 0
.LBB16_33:                              ; =>This Inner Loop Header: Depth=1
	ds_read2st64_b32 v[8:9], v6 offset1:2
	v_add_u32_e32 v5, -1, v5
	v_cmp_eq_u32_e32 vcc, 0, v5
	s_or_b64 s[26:27], vcc, s[26:27]
	s_waitcnt lgkmcnt(0)
	v_pk_mul_f32 v[8:9], v[2:3], v[8:9]
	ds_write2st64_b32 v6, v8, v9 offset1:2
	v_add_u32_e32 v6, 0x400, v6
	s_andn2_b64 exec, exec, s[26:27]
	s_cbranch_execnz .LBB16_33
.LBB16_34:
	s_or_b64 exec, exec, s[8:9]
	v_add_u32_e32 v4, 1, v4
	v_and_b32_e32 v5, 0x3fffffe, v4
	v_cmp_ne_u32_e32 vcc, v4, v5
	v_lshl_add_u32 v3, v5, 7, v0
	s_orn2_b64 s[8:9], vcc, exec
.LBB16_35:
	s_or_b64 exec, exec, s[6:7]
	s_and_b64 exec, exec, s[8:9]
	s_cbranch_execz .LBB16_38
; %bb.36:
	v_mov_b32_e32 v4, 0x310
	v_lshl_add_u32 v4, v3, 2, v4
	s_mov_b64 s[6:7], 0
.LBB16_37:                              ; =>This Inner Loop Header: Depth=1
	ds_read_b32 v5, v4
	v_add_u32_e32 v3, 0x80, v3
	v_cmp_le_i32_e32 vcc, s15, v3
	s_or_b64 s[6:7], vcc, s[6:7]
	s_waitcnt lgkmcnt(0)
	v_mul_f32_e32 v5, v2, v5
	ds_write_b32 v4, v5
	v_add_u32_e32 v4, 0x200, v4
	s_andn2_b64 exec, exec, s[6:7]
	s_cbranch_execnz .LBB16_37
.LBB16_38:
	s_or_b64 exec, exec, s[2:3]
	v_mov_b32_e32 v31, 0
	v_and_b32_e32 v46, 1, v0
	v_mov_b32_e32 v30, 0
	v_mov_b32_e32 v33, 0
	;; [unrolled: 1-line block ×5, first 2 shown]
	s_waitcnt lgkmcnt(0)
	s_barrier
	s_and_saveexec_b64 s[2:3], s[0:1]
	s_cbranch_execz .LBB16_54
; %bb.39:
	s_ashr_i32 s15, s14, 31
	s_lshl_b64 s[0:1], s[14:15], 2
	v_lshlrev_b32_e32 v2, 2, v0
	s_add_u32 s6, s10, s0
	v_and_b32_e32 v3, 4, v2
	s_addc_u32 s7, s11, s1
	s_add_i32 s14, s12, -1
	v_lshlrev_b32_e32 v5, 3, v1
	s_lshl_b64 s[0:1], s[24:25], 2
	v_and_b32_e32 v2, 0xfc, v2
	v_or3_b32 v47, v5, v3, 3
	v_lshlrev_b32_e32 v3, 4, v46
	s_add_u32 s0, s22, s0
	v_mov_b32_e32 v37, 0
	v_or_b32_e32 v4, 0x400, v2
	v_or_b32_e32 v6, 0x500, v2
	v_lshl_or_b32 v3, v1, 5, v3
	v_and_b32_e32 v36, 60, v48
	s_addc_u32 s1, s23, s1
	v_add_u32_e32 v49, 0x310, v3
	v_lshl_add_u64 v[38:39], s[0:1], 0, v[36:37]
	s_mov_b64 s[8:9], 0
	v_lshlrev_b32_e32 v40, 2, v2
	v_mov_b32_e32 v41, v37
	v_lshlrev_b32_e32 v36, 2, v4
	v_lshlrev_b32_e32 v42, 2, v6
	v_mov_b32_e32 v34, v37
	v_mov_b32_e32 v35, v37
	;; [unrolled: 1-line block ×6, first 2 shown]
	s_branch .LBB16_41
.LBB16_40:                              ;   in Loop: Header=BB16_41 Depth=1
	s_or_b64 exec, exec, s[0:1]
	s_waitcnt vmcnt(5) lgkmcnt(0)
	v_mul_f32_e32 v7, v3, v7
	v_fmac_f32_e32 v7, v2, v6
	s_waitcnt vmcnt(4)
	v_mul_f32_e32 v6, v3, v11
	v_fmac_f32_e32 v6, v2, v10
	v_fmac_f32_e32 v6, v4, v12
	v_fmac_f32_e32 v6, v5, v13
	v_add_f32_e32 v35, v35, v6
	s_waitcnt vmcnt(3)
	v_mul_f32_e32 v6, v3, v15
	v_fmac_f32_e32 v6, v2, v14
	v_fmac_f32_e32 v6, v4, v16
	v_fmac_f32_e32 v6, v5, v17
	v_add_f32_e32 v32, v32, v6
	;; [unrolled: 6-line block ×3, first 2 shown]
	s_waitcnt vmcnt(1)
	v_mul_f32_e32 v6, v3, v23
	s_waitcnt vmcnt(0)
	v_mul_f32_e32 v3, v3, v27
	v_fmac_f32_e32 v6, v2, v22
	v_fmac_f32_e32 v3, v2, v26
	;; [unrolled: 1-line block ×5, first 2 shown]
	v_add_u32_e32 v1, 2, v1
	v_fmac_f32_e32 v7, v5, v9
	v_fmac_f32_e32 v6, v5, v25
	;; [unrolled: 1-line block ×3, first 2 shown]
	v_cmp_le_i32_e32 vcc, s12, v1
	v_add_f32_e32 v34, v34, v7
	v_add_f32_e32 v30, v30, v6
	;; [unrolled: 1-line block ×3, first 2 shown]
	v_add_u32_e32 v47, 16, v47
	v_add_u32_e32 v49, 64, v49
	s_or_b64 s[8:9], vcc, s[8:9]
	v_lshl_add_u64 v[38:39], v[38:39], 0, 8
	s_andn2_b64 exec, exec, s[8:9]
	s_cbranch_execz .LBB16_53
.LBB16_41:                              ; =>This Inner Loop Header: Depth=1
	global_load_dword v2, v[38:39], off
	v_add_u32_e32 v48, -3, v47
	v_cmp_eq_u32_e32 vcc, s14, v1
	v_add_u32_e32 v51, -2, v47
	v_add_u32_e32 v50, -1, v47
	s_waitcnt vmcnt(0)
	v_mad_i64_i32 v[2:3], s[0:1], v2, s13, 0
	v_lshl_add_u64 v[26:27], v[2:3], 2, s[6:7]
	v_lshl_add_u64 v[18:19], v[26:27], 0, v[40:41]
	global_load_dwordx4 v[6:9], v[18:19], off
	ds_read_b128 v[2:5], v49
	s_and_saveexec_b64 s[10:11], vcc
	s_cbranch_execnz .LBB16_50
; %bb.42:                               ;   in Loop: Header=BB16_41 Depth=1
	s_or_b64 exec, exec, s[10:11]
	global_load_dwordx4 v[10:13], v[18:19], off offset:1024
	s_and_saveexec_b64 s[10:11], vcc
	s_cbranch_execnz .LBB16_51
.LBB16_43:                              ;   in Loop: Header=BB16_41 Depth=1
	s_or_b64 exec, exec, s[10:11]
	global_load_dwordx4 v[14:17], v[18:19], off offset:2048
	s_and_saveexec_b64 s[10:11], vcc
	s_cbranch_execnz .LBB16_52
.LBB16_44:                              ;   in Loop: Header=BB16_41 Depth=1
	s_or_b64 exec, exec, s[10:11]
	global_load_dwordx4 v[18:21], v[18:19], off offset:3072
	s_and_saveexec_b64 s[10:11], vcc
	s_cbranch_execz .LBB16_46
.LBB16_45:                              ;   in Loop: Header=BB16_41 Depth=1
	v_cmp_gt_i32_e64 s[0:1], s33, v48
	s_waitcnt vmcnt(0)
	s_nop 0
	v_cndmask_b32_e64 v18, 0, v18, s[0:1]
	v_cmp_gt_i32_e64 s[0:1], s33, v51
	s_nop 1
	v_cndmask_b32_e64 v19, 0, v19, s[0:1]
	v_cmp_gt_i32_e64 s[0:1], s33, v50
	;; [unrolled: 3-line block ×3, first 2 shown]
	s_nop 1
	v_cndmask_b32_e64 v21, 0, v21, s[0:1]
.LBB16_46:                              ;   in Loop: Header=BB16_41 Depth=1
	s_or_b64 exec, exec, s[10:11]
	v_lshl_add_u64 v[22:23], v[26:27], 0, v[36:37]
	global_load_dwordx4 v[22:25], v[22:23], off
	s_and_saveexec_b64 s[10:11], vcc
	s_cbranch_execz .LBB16_48
; %bb.47:                               ;   in Loop: Header=BB16_41 Depth=1
	v_cmp_gt_i32_e64 s[0:1], s33, v48
	s_waitcnt vmcnt(0)
	s_nop 0
	v_cndmask_b32_e64 v22, 0, v22, s[0:1]
	v_cmp_gt_i32_e64 s[0:1], s33, v51
	s_nop 1
	v_cndmask_b32_e64 v23, 0, v23, s[0:1]
	v_cmp_gt_i32_e64 s[0:1], s33, v50
	s_nop 1
	v_cndmask_b32_e64 v24, 0, v24, s[0:1]
	v_cmp_gt_i32_e64 s[0:1], s33, v47
	s_nop 1
	v_cndmask_b32_e64 v25, 0, v25, s[0:1]
.LBB16_48:                              ;   in Loop: Header=BB16_41 Depth=1
	s_or_b64 exec, exec, s[10:11]
	v_mov_b32_e32 v43, v37
	v_lshl_add_u64 v[26:27], v[26:27], 0, v[42:43]
	global_load_dwordx4 v[26:29], v[26:27], off
	s_and_saveexec_b64 s[0:1], vcc
	s_cbranch_execz .LBB16_40
; %bb.49:                               ;   in Loop: Header=BB16_41 Depth=1
	v_cmp_gt_i32_e32 vcc, s33, v48
	s_waitcnt vmcnt(0)
	s_nop 0
	v_cndmask_b32_e32 v26, 0, v26, vcc
	v_cmp_gt_i32_e32 vcc, s33, v51
	s_nop 1
	v_cndmask_b32_e32 v27, 0, v27, vcc
	v_cmp_gt_i32_e32 vcc, s33, v50
	;; [unrolled: 3-line block ×3, first 2 shown]
	s_nop 1
	v_cndmask_b32_e32 v29, 0, v29, vcc
	s_branch .LBB16_40
.LBB16_50:                              ;   in Loop: Header=BB16_41 Depth=1
	v_cmp_gt_i32_e64 s[0:1], s33, v48
	s_waitcnt vmcnt(0)
	s_nop 0
	v_cndmask_b32_e64 v6, 0, v6, s[0:1]
	v_cmp_gt_i32_e64 s[0:1], s33, v51
	s_nop 1
	v_cndmask_b32_e64 v7, 0, v7, s[0:1]
	v_cmp_gt_i32_e64 s[0:1], s33, v50
	;; [unrolled: 3-line block ×3, first 2 shown]
	s_nop 1
	v_cndmask_b32_e64 v9, 0, v9, s[0:1]
	s_or_b64 exec, exec, s[10:11]
	global_load_dwordx4 v[10:13], v[18:19], off offset:1024
	s_and_saveexec_b64 s[10:11], vcc
	s_cbranch_execz .LBB16_43
.LBB16_51:                              ;   in Loop: Header=BB16_41 Depth=1
	v_cmp_gt_i32_e64 s[0:1], s33, v48
	s_waitcnt vmcnt(0)
	s_nop 0
	v_cndmask_b32_e64 v10, 0, v10, s[0:1]
	v_cmp_gt_i32_e64 s[0:1], s33, v51
	s_nop 1
	v_cndmask_b32_e64 v11, 0, v11, s[0:1]
	v_cmp_gt_i32_e64 s[0:1], s33, v50
	;; [unrolled: 3-line block ×3, first 2 shown]
	s_nop 1
	v_cndmask_b32_e64 v13, 0, v13, s[0:1]
	s_or_b64 exec, exec, s[10:11]
	global_load_dwordx4 v[14:17], v[18:19], off offset:2048
	s_and_saveexec_b64 s[10:11], vcc
	s_cbranch_execz .LBB16_44
.LBB16_52:                              ;   in Loop: Header=BB16_41 Depth=1
	v_cmp_gt_i32_e64 s[0:1], s33, v48
	s_waitcnt vmcnt(0)
	s_nop 0
	v_cndmask_b32_e64 v14, 0, v14, s[0:1]
	v_cmp_gt_i32_e64 s[0:1], s33, v51
	s_nop 1
	v_cndmask_b32_e64 v15, 0, v15, s[0:1]
	v_cmp_gt_i32_e64 s[0:1], s33, v50
	;; [unrolled: 3-line block ×3, first 2 shown]
	s_nop 1
	v_cndmask_b32_e64 v17, 0, v17, s[0:1]
	s_or_b64 exec, exec, s[10:11]
	global_load_dwordx4 v[18:21], v[18:19], off offset:3072
	s_and_saveexec_b64 s[10:11], vcc
	s_cbranch_execnz .LBB16_45
	s_branch .LBB16_46
.LBB16_53:
	s_or_b64 exec, exec, s[8:9]
.LBB16_54:
	s_or_b64 exec, exec, s[2:3]
	ds_bpermute_b32 v2, v45, v34
	ds_bpermute_b32 v3, v45, v35
	;; [unrolled: 1-line block ×6, first 2 shown]
	v_and_b32_e32 v1, 0x3c1, v0
	s_waitcnt lgkmcnt(4)
	v_pk_add_f32 v[4:5], v[34:35], v[2:3]
	s_waitcnt lgkmcnt(2)
	v_pk_add_f32 v[2:3], v[32:33], v[6:7]
	v_cmp_eq_u32_e32 vcc, 64, v1
	s_waitcnt lgkmcnt(0)
	v_pk_add_f32 v[6:7], v[30:31], v[8:9]
	s_barrier
	s_and_saveexec_b64 s[0:1], vcc
	s_cbranch_execz .LBB16_56
; %bb.55:
	v_mov_b32_e32 v8, 0x310
	v_lshl_add_u32 v8, v44, 1, v8
	ds_write2_b32 v8, v4, v5 offset1:32
	ds_write2_b32 v8, v2, v3 offset0:64 offset1:96
	ds_write2_b32 v8, v6, v7 offset0:128 offset1:160
.LBB16_56:
	s_or_b64 exec, exec, s[0:1]
	v_cmp_gt_u32_e32 vcc, 64, v0
	s_waitcnt lgkmcnt(0)
	s_barrier
	s_and_saveexec_b64 s[0:1], vcc
	s_cbranch_execz .LBB16_65
; %bb.57:
	v_cmp_eq_u32_e32 vcc, 0, v46
	v_lshrrev_b32_e32 v8, 1, v0
	s_and_saveexec_b64 s[2:3], vcc
	s_cbranch_execnz .LBB16_68
; %bb.58:
	s_or_b64 exec, exec, s[2:3]
	s_and_saveexec_b64 s[2:3], vcc
	s_cbranch_execnz .LBB16_69
.LBB16_59:
	s_or_b64 exec, exec, s[2:3]
	s_and_saveexec_b64 s[2:3], vcc
	s_cbranch_execnz .LBB16_70
.LBB16_60:
	s_or_b64 exec, exec, s[2:3]
	s_and_saveexec_b64 s[2:3], vcc
	s_cbranch_execnz .LBB16_71
.LBB16_61:
	s_or_b64 exec, exec, s[2:3]
	s_and_saveexec_b64 s[2:3], vcc
	s_cbranch_execnz .LBB16_72
.LBB16_62:
	s_or_b64 exec, exec, s[2:3]
	s_and_saveexec_b64 s[2:3], vcc
	s_cbranch_execz .LBB16_64
.LBB16_63:
	v_mov_b32_e32 v9, 0x310
	v_lshl_add_u32 v8, v8, 2, v9
	ds_read_b32 v8, v8 offset:640
	s_waitcnt lgkmcnt(0)
	v_add_f32_e32 v7, v7, v8
.LBB16_64:
	s_or_b64 exec, exec, s[2:3]
.LBB16_65:
	s_or_b64 exec, exec, s[0:1]
	v_cmp_eq_u32_e32 vcc, 0, v1
	s_barrier
	s_and_saveexec_b64 s[0:1], vcc
	s_cbranch_execz .LBB16_67
; %bb.66:
	s_mul_i32 s0, s16, s17
	s_mul_i32 s0, s0, s5
	s_mulk_i32 s0, 0xc0
	s_ashr_i32 s1, s0, 31
	s_lshl_b64 s[0:1], s[0:1], 2
	s_add_u32 s2, s18, s0
	s_mul_i32 s0, s17, s20
	s_addc_u32 s3, s19, s1
	s_ashr_i32 s1, s0, 31
	s_lshl_b64 s[0:1], s[0:1], 2
	s_add_u32 s2, s2, s0
	s_mul_i32 s0, s4, 0xc0
	s_addc_u32 s3, s3, s1
	s_ashr_i32 s1, s0, 31
	s_lshl_b64 s[0:1], s[0:1], 2
	s_add_u32 s0, s2, s0
	s_addc_u32 s1, s3, s1
	v_lshlrev_b32_e32 v0, 1, v0
	global_store_dword v0, v4, s[0:1]
	global_store_dword v0, v5, s[0:1] offset:128
	global_store_dword v0, v2, s[0:1] offset:256
	;; [unrolled: 1-line block ×5, first 2 shown]
.LBB16_67:
	s_endpgm
.LBB16_68:
	v_mov_b32_e32 v9, 0x310
	v_lshl_add_u32 v9, v8, 2, v9
	ds_read_b32 v9, v9
	s_waitcnt lgkmcnt(0)
	v_add_f32_e32 v4, v4, v9
	s_or_b64 exec, exec, s[2:3]
	s_and_saveexec_b64 s[2:3], vcc
	s_cbranch_execz .LBB16_59
.LBB16_69:
	v_mov_b32_e32 v9, 0x310
	v_lshl_add_u32 v9, v8, 2, v9
	ds_read_b32 v9, v9 offset:128
	s_waitcnt lgkmcnt(0)
	v_add_f32_e32 v5, v5, v9
	s_or_b64 exec, exec, s[2:3]
	s_and_saveexec_b64 s[2:3], vcc
	s_cbranch_execz .LBB16_60
.LBB16_70:
	v_mov_b32_e32 v9, 0x310
	v_lshl_add_u32 v9, v8, 2, v9
	ds_read_b32 v9, v9 offset:256
	s_waitcnt lgkmcnt(0)
	v_add_f32_e32 v2, v2, v9
	s_or_b64 exec, exec, s[2:3]
	s_and_saveexec_b64 s[2:3], vcc
	s_cbranch_execz .LBB16_61
.LBB16_71:
	v_mov_b32_e32 v9, 0x310
	v_lshl_add_u32 v9, v8, 2, v9
	ds_read_b32 v9, v9 offset:384
	s_waitcnt lgkmcnt(0)
	v_add_f32_e32 v3, v3, v9
	s_or_b64 exec, exec, s[2:3]
	s_and_saveexec_b64 s[2:3], vcc
	s_cbranch_execz .LBB16_62
.LBB16_72:
	v_mov_b32_e32 v9, 0x310
	v_lshl_add_u32 v9, v8, 2, v9
	ds_read_b32 v9, v9 offset:512
	s_waitcnt lgkmcnt(0)
	v_add_f32_e32 v6, v6, v9
	s_or_b64 exec, exec, s[2:3]
	s_and_saveexec_b64 s[2:3], vcc
	s_cbranch_execnz .LBB16_63
	s_branch .LBB16_64
	.section	.rodata,"a",@progbits
	.p2align	6, 0x0
	.amdhsa_kernel _ZN4vllm25paged_attention_v1_kernelIffLi192ELi8ELi128ELNS_18Fp8KVCacheDataTypeE0ELb0EEEvPT_PKS2_PKT0_S8_ifPKiSA_iPKfiiiSC_SC_iiiii
		.amdhsa_group_segment_fixed_size 784
		.amdhsa_private_segment_fixed_size 0
		.amdhsa_kernarg_size 384
		.amdhsa_user_sgpr_count 2
		.amdhsa_user_sgpr_dispatch_ptr 0
		.amdhsa_user_sgpr_queue_ptr 0
		.amdhsa_user_sgpr_kernarg_segment_ptr 1
		.amdhsa_user_sgpr_dispatch_id 0
		.amdhsa_user_sgpr_kernarg_preload_length 0
		.amdhsa_user_sgpr_kernarg_preload_offset 0
		.amdhsa_user_sgpr_private_segment_size 0
		.amdhsa_uses_dynamic_stack 0
		.amdhsa_enable_private_segment 0
		.amdhsa_system_sgpr_workgroup_id_x 1
		.amdhsa_system_sgpr_workgroup_id_y 1
		.amdhsa_system_sgpr_workgroup_id_z 1
		.amdhsa_system_sgpr_workgroup_info 0
		.amdhsa_system_vgpr_workitem_id 0
		.amdhsa_next_free_vgpr 90
		.amdhsa_next_free_sgpr 38
		.amdhsa_accum_offset 92
		.amdhsa_reserve_vcc 1
		.amdhsa_float_round_mode_32 0
		.amdhsa_float_round_mode_16_64 0
		.amdhsa_float_denorm_mode_32 3
		.amdhsa_float_denorm_mode_16_64 3
		.amdhsa_dx10_clamp 1
		.amdhsa_ieee_mode 1
		.amdhsa_fp16_overflow 0
		.amdhsa_tg_split 0
		.amdhsa_exception_fp_ieee_invalid_op 0
		.amdhsa_exception_fp_denorm_src 0
		.amdhsa_exception_fp_ieee_div_zero 0
		.amdhsa_exception_fp_ieee_overflow 0
		.amdhsa_exception_fp_ieee_underflow 0
		.amdhsa_exception_fp_ieee_inexact 0
		.amdhsa_exception_int_div_zero 0
	.end_amdhsa_kernel
	.section	.text._ZN4vllm25paged_attention_v1_kernelIffLi192ELi8ELi128ELNS_18Fp8KVCacheDataTypeE0ELb0EEEvPT_PKS2_PKT0_S8_ifPKiSA_iPKfiiiSC_SC_iiiii,"axG",@progbits,_ZN4vllm25paged_attention_v1_kernelIffLi192ELi8ELi128ELNS_18Fp8KVCacheDataTypeE0ELb0EEEvPT_PKS2_PKT0_S8_ifPKiSA_iPKfiiiSC_SC_iiiii,comdat
.Lfunc_end16:
	.size	_ZN4vllm25paged_attention_v1_kernelIffLi192ELi8ELi128ELNS_18Fp8KVCacheDataTypeE0ELb0EEEvPT_PKS2_PKT0_S8_ifPKiSA_iPKfiiiSC_SC_iiiii, .Lfunc_end16-_ZN4vllm25paged_attention_v1_kernelIffLi192ELi8ELi128ELNS_18Fp8KVCacheDataTypeE0ELb0EEEvPT_PKS2_PKT0_S8_ifPKiSA_iPKfiiiSC_SC_iiiii
                                        ; -- End function
	.section	.AMDGPU.csdata,"",@progbits
; Kernel info:
; codeLenInByte = 4872
; NumSgprs: 44
; NumVgprs: 90
; NumAgprs: 0
; TotalNumVgprs: 90
; ScratchSize: 0
; MemoryBound: 0
; FloatMode: 240
; IeeeMode: 1
; LDSByteSize: 784 bytes/workgroup (compile time only)
; SGPRBlocks: 5
; VGPRBlocks: 11
; NumSGPRsForWavesPerEU: 44
; NumVGPRsForWavesPerEU: 90
; AccumOffset: 92
; Occupancy: 5
; WaveLimiterHint : 1
; COMPUTE_PGM_RSRC2:SCRATCH_EN: 0
; COMPUTE_PGM_RSRC2:USER_SGPR: 2
; COMPUTE_PGM_RSRC2:TRAP_HANDLER: 0
; COMPUTE_PGM_RSRC2:TGID_X_EN: 1
; COMPUTE_PGM_RSRC2:TGID_Y_EN: 1
; COMPUTE_PGM_RSRC2:TGID_Z_EN: 1
; COMPUTE_PGM_RSRC2:TIDIG_COMP_CNT: 0
; COMPUTE_PGM_RSRC3_GFX90A:ACCUM_OFFSET: 22
; COMPUTE_PGM_RSRC3_GFX90A:TG_SPLIT: 0
	.section	.text._ZN4vllm25paged_attention_v1_kernelIffLi256ELi8ELi128ELNS_18Fp8KVCacheDataTypeE0ELb0EEEvPT_PKS2_PKT0_S8_ifPKiSA_iPKfiiiSC_SC_iiiii,"axG",@progbits,_ZN4vllm25paged_attention_v1_kernelIffLi256ELi8ELi128ELNS_18Fp8KVCacheDataTypeE0ELb0EEEvPT_PKS2_PKT0_S8_ifPKiSA_iPKfiiiSC_SC_iiiii,comdat
	.protected	_ZN4vllm25paged_attention_v1_kernelIffLi256ELi8ELi128ELNS_18Fp8KVCacheDataTypeE0ELb0EEEvPT_PKS2_PKT0_S8_ifPKiSA_iPKfiiiSC_SC_iiiii ; -- Begin function _ZN4vllm25paged_attention_v1_kernelIffLi256ELi8ELi128ELNS_18Fp8KVCacheDataTypeE0ELb0EEEvPT_PKS2_PKT0_S8_ifPKiSA_iPKfiiiSC_SC_iiiii
	.globl	_ZN4vllm25paged_attention_v1_kernelIffLi256ELi8ELi128ELNS_18Fp8KVCacheDataTypeE0ELb0EEEvPT_PKS2_PKT0_S8_ifPKiSA_iPKfiiiSC_SC_iiiii
	.p2align	8
	.type	_ZN4vllm25paged_attention_v1_kernelIffLi256ELi8ELi128ELNS_18Fp8KVCacheDataTypeE0ELb0EEEvPT_PKS2_PKT0_S8_ifPKiSA_iPKfiiiSC_SC_iiiii,@function
_ZN4vllm25paged_attention_v1_kernelIffLi256ELi8ELi128ELNS_18Fp8KVCacheDataTypeE0ELb0EEEvPT_PKS2_PKT0_S8_ifPKiSA_iPKfiiiSC_SC_iiiii: ; @_ZN4vllm25paged_attention_v1_kernelIffLi256ELi8ELi128ELNS_18Fp8KVCacheDataTypeE0ELb0EEEvPT_PKS2_PKT0_S8_ifPKiSA_iPKfiiiSC_SC_iiiii
; %bb.0:
	s_load_dword s5, s[0:1], 0x80
	s_load_dwordx2 s[6:7], s[0:1], 0x30
	s_load_dwordx2 s[26:27], s[0:1], 0x20
	s_mov_b32 s16, s3
	s_ashr_i32 s17, s3, 31
	s_lshl_b64 s[8:9], s[16:17], 2
	s_waitcnt lgkmcnt(0)
	s_add_u32 s6, s6, s8
	s_addc_u32 s7, s7, s9
	s_abs_i32 s3, s26
	v_cvt_f32_u32_e32 v1, s3
	s_sub_i32 s10, 0, s3
	s_abs_i32 s9, s5
	s_xor_b32 s8, s5, s26
	v_rcp_iflag_f32_e32 v1, v1
	s_ashr_i32 s8, s8, 31
	s_mov_b32 s26, 0
	v_mul_f32_e32 v1, 0x4f7ffffe, v1
	v_cvt_u32_f32_e32 v1, v1
	s_nop 0
	v_readfirstlane_b32 s11, v1
	s_mul_i32 s10, s10, s11
	s_mul_hi_u32 s10, s11, s10
	s_add_i32 s11, s11, s10
	s_mul_hi_u32 s10, s9, s11
	s_mul_i32 s11, s10, s3
	s_sub_i32 s9, s9, s11
	s_add_i32 s11, s10, 1
	s_sub_i32 s12, s9, s3
	s_cmp_ge_u32 s9, s3
	s_cselect_b32 s10, s11, s10
	s_cselect_b32 s9, s12, s9
	s_add_i32 s11, s10, 1
	s_cmp_ge_u32 s9, s3
	s_cselect_b32 s3, s11, s10
	s_xor_b32 s3, s3, s8
	s_sub_i32 s34, s3, s8
	s_abs_i32 s30, s34
	v_cvt_f32_u32_e32 v1, s30
	s_load_dwordx2 s[8:9], s[0:1], 0x40
	s_sub_i32 s3, 0, s30
	s_abs_i32 s31, s2
	v_rcp_iflag_f32_e32 v1, v1
	s_nop 0
	v_mul_f32_e32 v1, 0x4f7ffffe, v1
	v_cvt_u32_f32_e32 v1, v1
	s_nop 0
	v_readfirstlane_b32 s12, v1
	s_mul_i32 s3, s3, s12
	s_mul_hi_u32 s3, s12, s3
	s_add_i32 s12, s12, s3
	s_waitcnt lgkmcnt(0)
	s_cmp_eq_u64 s[8:9], 0
	s_cbranch_scc1 .LBB17_2
; %bb.1:
	s_ashr_i32 s3, s2, 31
	s_lshl_b64 s[10:11], s[2:3], 2
	s_add_u32 s8, s8, s10
	s_addc_u32 s9, s9, s11
	s_load_dword s26, s[8:9], 0x0
.LBB17_2:
	s_load_dwordx2 s[18:19], s[0:1], 0x0
	s_nop 0
	s_load_dwordx4 s[8:11], s[0:1], 0x10
	s_mul_hi_u32 s3, s31, s12
	s_load_dword s17, s[0:1], 0x88
	s_load_dword s33, s[6:7], 0x0
	s_load_dwordx2 s[22:23], s[0:1], 0x28
	s_load_dwordx4 s[12:15], s[0:1], 0x48
	s_lshl_b32 s20, s2, 8
	s_movk_i32 s6, 0x100
	v_and_b32_e32 v10, 7, v0
	s_ashr_i32 s21, s20, 31
	v_cmp_gt_u32_e32 vcc, s6, v0
	s_and_saveexec_b64 s[6:7], vcc
	s_cbranch_execz .LBB17_5
; %bb.3:
	s_load_dwordx2 s[24:25], s[0:1], 0x8
	s_waitcnt lgkmcnt(0)
	s_mul_i32 s28, s16, s12
	s_ashr_i32 s29, s28, 31
	s_lshl_b64 s[28:29], s[28:29], 2
	s_lshl_b64 s[36:37], s[20:21], 2
	v_lshrrev_b32_e32 v2, 3, v0
	s_add_u32 s12, s28, s36
	v_lshlrev_b32_e32 v3, 2, v2
	s_addc_u32 s15, s29, s37
	v_lshl_add_u32 v4, v10, 7, v3
	v_lshlrev_b32_e32 v3, 2, v10
	s_add_u32 s24, s24, s12
	v_add_u32_e32 v1, -16, v2
	v_lshl_or_b32 v2, v2, 5, v3
	v_mov_b32_e32 v3, 0
	s_addc_u32 s25, s25, s15
	v_lshl_add_u64 v[2:3], s[24:25], 0, v[2:3]
	s_mov_b64 s[24:25], 0
	s_mov_b64 s[28:29], 0x200
.LBB17_4:                               ; =>This Inner Loop Header: Depth=1
	global_load_dword v5, v[2:3], off
	v_add_co_u32_e32 v1, vcc, 16, v1
	s_xor_b64 s[36:37], vcc, -1
	s_and_b64 s[36:37], exec, s[36:37]
	v_lshl_add_u64 v[2:3], v[2:3], 0, s[28:29]
	s_or_b64 s[24:25], s[36:37], s[24:25]
	s_waitcnt vmcnt(0)
	ds_write_b32 v4, v5
	v_add_u32_e32 v4, 64, v4
	s_andn2_b64 exec, exec, s[24:25]
	s_cbranch_execnz .LBB17_4
.LBB17_5:
	s_or_b64 exec, exec, s[6:7]
	s_load_dword s0, s[0:1], 0x38
	s_waitcnt lgkmcnt(0)
	s_add_i32 s1, s33, 7
	s_ashr_i32 s7, s1, 31
	s_lshr_b32 s7, s7, 29
	s_ashr_i32 s2, s2, 31
	s_ashr_i32 s6, s34, 31
	s_add_i32 s1, s1, s7
	s_ashr_i32 s12, s1, 3
	s_xor_b32 s1, s2, s6
	s_mul_i32 s2, s3, s30
	s_sub_i32 s2, s31, s2
	s_add_i32 s6, s3, 1
	s_sub_i32 s7, s2, s30
	s_cmp_ge_u32 s2, s30
	s_cselect_b32 s3, s6, s3
	s_cselect_b32 s2, s7, s2
	s_add_i32 s6, s3, 1
	s_cmp_ge_u32 s2, s30
	s_cselect_b32 s2, s6, s3
	v_lshrrev_b32_e32 v1, 6, v0
	s_xor_b32 s2, s2, s1
	s_mul_i32 s24, s16, s0
	s_sub_i32 s6, s2, s1
	s_ashr_i32 s25, s24, 31
	v_cmp_gt_i32_e64 s[0:1], s12, v1
	v_cmp_le_i32_e32 vcc, s12, v1
	v_mbcnt_lo_u32_b32 v11, -1, 0
	s_barrier
	s_waitcnt lgkmcnt(0)
                                        ; implicit-def: $sgpr7
                                        ; implicit-def: $vgpr73
                                        ; implicit-def: $vgpr74
	s_and_saveexec_b64 s[2:3], vcc
	s_xor_b64 s[2:3], exec, s[2:3]
; %bb.6:
	v_mbcnt_hi_u32_b32 v73, -1, v11
	v_and_b32_e32 v2, 64, v73
	v_add_u32_e32 v74, 64, v2
	s_mov_b32 s7, 0xff7fffff
                                        ; implicit-def: $vgpr10
                                        ; implicit-def: $vgpr11
; %bb.7:
	s_or_saveexec_b64 s[28:29], s[2:3]
	v_mov_b32_e32 v78, s7
	s_mul_i32 s14, s6, s14
	v_lshrrev_b32_e32 v72, 4, v0
	s_xor_b64 exec, exec, s[28:29]
	s_cbranch_execz .LBB17_13
; %bb.8:
	v_mbcnt_hi_u32_b32 v73, -1, v11
	v_and_b32_e32 v11, 64, v73
	v_add_u32_e32 v74, 64, v11
	v_xor_b32_e32 v11, 4, v73
	v_cmp_lt_i32_e32 vcc, v11, v74
	s_ashr_i32 s15, s14, 31
	s_lshl_b64 s[2:3], s[14:15], 2
	v_cndmask_b32_e32 v11, v73, v11, vcc
	v_lshlrev_b32_e32 v75, 2, v11
	v_xor_b32_e32 v11, 2, v73
	v_cmp_lt_i32_e32 vcc, v11, v74
	v_bfe_u32 v13, v0, 3, 3
	s_add_u32 s2, s8, s2
	v_cndmask_b32_e32 v11, v73, v11, vcc
	v_lshlrev_b32_e32 v76, 2, v11
	v_xor_b32_e32 v11, 1, v73
	s_addc_u32 s3, s9, s3
	v_lshlrev_b32_e32 v34, 4, v13
	v_mov_b32_e32 v35, 0
	v_and_b32_e32 v4, 3, v0
	v_lshlrev_b32_e32 v5, 3, v0
	v_cmp_lt_i32_e32 vcc, v11, v74
	s_sub_i32 s15, 1, s33
	s_lshl_b64 s[6:7], s[24:25], 2
	v_lshlrev_b32_e32 v15, 2, v13
	v_lshl_add_u64 v[2:3], s[2:3], 0, v[34:35]
	v_and_b32_e32 v12, 32, v5
	v_lshlrev_b32_e32 v34, 2, v4
	v_cndmask_b32_e32 v11, v73, v11, vcc
	s_add_u32 s6, s22, s6
	v_lshl_add_u64 v[36:37], v[2:3], 0, v[34:35]
	v_lshlrev_b32_e32 v31, 7, v10
	v_lshlrev_b32_e32 v77, 2, v11
	v_cmp_eq_u32_e32 vcc, 0, v10
	v_or_b32_e32 v10, 0x400, v12
	v_or_b32_e32 v14, 0x440, v12
	;; [unrolled: 1-line block ×11, first 2 shown]
	v_lshl_or_b32 v11, v1, 5, v15
	v_and_b32_e32 v34, 60, v72
	s_addc_u32 s7, s23, s7
	ds_read_b128 v[2:5], v31
	ds_read_b128 v[6:9], v31 offset:16
	v_or_b32_e32 v62, 0x6c0, v12
	v_or_b32_e32 v64, 0x700, v12
	;; [unrolled: 1-line block ×5, first 2 shown]
	v_lshl_or_b32 v79, v1, 3, v13
	v_add_u32_e32 v80, 0x410, v11
	v_lshl_add_u64 v[38:39], s[6:7], 0, v[34:35]
	v_lshlrev_b32_e32 v34, 2, v12
	v_lshlrev_b32_e32 v40, 2, v10
	;; [unrolled: 1-line block ×12, first 2 shown]
	ds_read_b128 v[10:13], v31 offset:32
	ds_read_b128 v[14:17], v31 offset:48
	;; [unrolled: 1-line block ×6, first 2 shown]
	s_mov_b32 s21, s13
	v_cmp_neq_f32_e64 s[2:3], s26, 0
	s_mov_b64 s[8:9], 0
	v_mov_b32_e32 v78, 0xff7fffff
	v_lshlrev_b32_e32 v62, 2, v62
	v_lshlrev_b32_e32 v64, 2, v64
	v_lshlrev_b32_e32 v66, 2, v66
	v_lshlrev_b32_e32 v68, 2, v68
	v_lshlrev_b32_e32 v70, 2, v70
	v_mov_b32_e32 v81, v1
	s_branch .LBB17_10
.LBB17_9:                               ;   in Loop: Header=BB17_10 Depth=1
	s_or_b64 exec, exec, s[30:31]
	v_add_u32_e32 v81, 2, v81
	v_cmp_le_i32_e64 s[6:7], s12, v81
	v_add_u32_e32 v79, 16, v79
	v_add_u32_e32 v80, 64, v80
	s_or_b64 s[8:9], s[6:7], s[8:9]
	v_lshl_add_u64 v[38:39], v[38:39], 0, 8
	s_andn2_b64 exec, exec, s[8:9]
	s_cbranch_execz .LBB17_12
.LBB17_10:                              ; =>This Inner Loop Header: Depth=1
	global_load_dword v57, v[38:39], off
	v_mov_b32_e32 v53, v35
	v_mov_b32_e32 v41, v35
	s_waitcnt lgkmcnt(0)
	v_mov_b32_e32 v43, v35
	v_mov_b32_e32 v45, v35
	;; [unrolled: 1-line block ×13, first 2 shown]
	s_waitcnt vmcnt(0)
	v_mad_i64_i32 v[82:83], s[6:7], v57, s21, 0
	v_lshl_add_u64 v[82:83], v[82:83], 2, v[36:37]
	v_lshl_add_u64 v[84:85], v[82:83], 0, v[34:35]
	;; [unrolled: 1-line block ×10, first 2 shown]
	global_load_dword v41, v[84:85], off
	global_load_dword v43, v[84:85], off offset:256
	global_load_dword v45, v[84:85], off offset:512
	;; [unrolled: 1-line block ×15, first 2 shown]
	global_load_dword v110, v[86:87], off
	global_load_dword v111, v[88:89], off
	;; [unrolled: 1-line block ×6, first 2 shown]
	s_nop 0
	global_load_dword v98, v[98:99], off
	s_nop 0
	global_load_dword v99, v[100:101], off
	v_mov_b32_e32 v57, v35
	v_lshl_add_u64 v[84:85], v[82:83], 0, v[56:57]
	v_lshl_add_u64 v[86:87], v[82:83], 0, v[58:59]
	;; [unrolled: 1-line block ×8, first 2 shown]
	global_load_dword v57, v[84:85], off
	global_load_dword v59, v[86:87], off
	global_load_dword v61, v[88:89], off
	global_load_dword v63, v[90:91], off
	global_load_dword v65, v[92:93], off
	global_load_dword v67, v[94:95], off
	global_load_dword v69, v[96:97], off
	global_load_dword v71, v[82:83], off
	s_waitcnt vmcnt(30) lgkmcnt(7)
	v_mul_f32_e32 v43, v3, v43
	v_fmac_f32_e32 v43, v2, v41
	s_waitcnt vmcnt(29)
	v_fmac_f32_e32 v43, v4, v45
	s_waitcnt vmcnt(28)
	v_fmac_f32_e32 v43, v5, v47
	s_waitcnt vmcnt(27) lgkmcnt(6)
	v_fmac_f32_e32 v43, v6, v49
	s_waitcnt vmcnt(26)
	v_fmac_f32_e32 v43, v7, v51
	s_waitcnt vmcnt(25)
	v_fmac_f32_e32 v43, v8, v53
	s_waitcnt vmcnt(24)
	v_fmac_f32_e32 v43, v9, v55
	s_waitcnt vmcnt(23) lgkmcnt(5)
	v_fmac_f32_e32 v43, v10, v102
	s_waitcnt vmcnt(22)
	v_fmac_f32_e32 v43, v11, v103
	s_waitcnt vmcnt(21)
	v_fmac_f32_e32 v43, v12, v104
	s_waitcnt vmcnt(20)
	v_fmac_f32_e32 v43, v13, v105
	s_waitcnt vmcnt(19) lgkmcnt(4)
	v_fmac_f32_e32 v43, v14, v106
	s_waitcnt vmcnt(18)
	v_fmac_f32_e32 v43, v15, v107
	s_waitcnt vmcnt(17)
	v_fmac_f32_e32 v43, v16, v108
	s_waitcnt vmcnt(16)
	v_fmac_f32_e32 v43, v17, v109
	s_waitcnt vmcnt(15) lgkmcnt(3)
	v_fmac_f32_e32 v43, v18, v110
	s_waitcnt vmcnt(14)
	v_fmac_f32_e32 v43, v19, v111
	s_waitcnt vmcnt(13)
	v_fmac_f32_e32 v43, v20, v112
	s_waitcnt vmcnt(12)
	v_fmac_f32_e32 v43, v21, v113
	s_waitcnt vmcnt(11) lgkmcnt(2)
	v_fmac_f32_e32 v43, v22, v114
	s_waitcnt vmcnt(10)
	v_fmac_f32_e32 v43, v23, v115
	s_waitcnt vmcnt(9)
	v_fmac_f32_e32 v43, v24, v98
	s_waitcnt vmcnt(8)
	v_fmac_f32_e32 v43, v25, v99
	s_waitcnt vmcnt(7) lgkmcnt(1)
	v_fmac_f32_e32 v43, v26, v57
	s_waitcnt vmcnt(6)
	v_fmac_f32_e32 v43, v27, v59
	s_waitcnt vmcnt(5)
	v_fmac_f32_e32 v43, v28, v61
	s_waitcnt vmcnt(4)
	v_fmac_f32_e32 v43, v29, v63
	s_waitcnt vmcnt(3) lgkmcnt(0)
	v_fmac_f32_e32 v43, v30, v65
	s_waitcnt vmcnt(2)
	v_fmac_f32_e32 v43, v31, v67
	s_waitcnt vmcnt(1)
	v_fmac_f32_e32 v43, v32, v69
	s_waitcnt vmcnt(0)
	v_fmac_f32_e32 v43, v33, v71
	ds_bpermute_b32 v41, v75, v43
	s_waitcnt lgkmcnt(0)
	v_add_f32_e32 v41, v43, v41
	ds_bpermute_b32 v43, v76, v41
	s_waitcnt lgkmcnt(0)
	v_add_f32_e32 v41, v41, v43
	ds_bpermute_b32 v43, v77, v41
	s_and_saveexec_b64 s[30:31], vcc
	s_cbranch_execz .LBB17_9
; %bb.11:                               ;   in Loop: Header=BB17_10 Depth=1
	v_add_u32_e32 v45, s15, v79
	v_cvt_f32_i32_e32 v45, v45
	s_waitcnt lgkmcnt(0)
	v_add_f32_e32 v41, v41, v43
	v_cmp_gt_i32_e64 s[6:7], s33, v79
	v_max_f32_e32 v43, v78, v78
	v_mul_f32_e32 v45, s26, v45
	v_cndmask_b32_e64 v45, 0, v45, s[2:3]
	v_fmac_f32_e32 v45, s27, v41
	v_cndmask_b32_e64 v41, 0, v45, s[6:7]
	ds_write_b32 v80, v41
	v_max_f32_e32 v41, v43, v45
	v_cndmask_b32_e64 v78, v78, v41, s[6:7]
	s_branch .LBB17_9
.LBB17_12:
	s_or_b64 exec, exec, s[8:9]
.LBB17_13:
	s_or_b64 exec, exec, s[28:29]
	v_xor_b32_e32 v2, 32, v73
	v_cmp_lt_i32_e32 vcc, v2, v74
	v_xor_b32_e32 v5, 16, v73
	v_max_f32_e32 v4, v78, v78
	v_cndmask_b32_e32 v2, v73, v2, vcc
	v_lshlrev_b32_e32 v3, 2, v2
	ds_bpermute_b32 v2, v3, v78
	v_cmp_lt_i32_e32 vcc, v5, v74
	v_xor_b32_e32 v6, 8, v73
	v_and_b32_e32 v58, 63, v0
	s_waitcnt lgkmcnt(0)
	v_max_f32_e32 v2, v2, v2
	v_max_f32_e32 v2, v4, v2
	v_cndmask_b32_e32 v4, v73, v5, vcc
	v_lshlrev_b32_e32 v5, 2, v4
	ds_bpermute_b32 v4, v5, v2
	v_cmp_lt_i32_e32 vcc, v6, v74
	s_waitcnt lgkmcnt(0)
	v_max_f32_e32 v4, v4, v4
	v_max_f32_e32 v4, v2, v4
	v_cndmask_b32_e32 v2, v73, v6, vcc
	v_lshlrev_b32_e32 v6, 2, v2
	ds_bpermute_b32 v7, v6, v4
	v_cmp_eq_u32_e32 vcc, 0, v58
	v_lshlrev_b32_e32 v2, 2, v1
	s_and_saveexec_b64 s[2:3], vcc
	s_cbranch_execz .LBB17_15
; %bb.14:
	s_waitcnt lgkmcnt(0)
	v_max_f32_e32 v7, v7, v7
	v_max_f32_e32 v4, v4, v4
	;; [unrolled: 1-line block ×3, first 2 shown]
	ds_write_b32 v2, v4 offset:1024
.LBB17_15:
	s_or_b64 exec, exec, s[2:3]
	v_cmp_gt_u32_e64 s[2:3], 2, v58
	s_waitcnt lgkmcnt(0)
	v_mov_b32_e32 v7, 0xff7fffff
	v_lshlrev_b32_e32 v4, 2, v58
	s_barrier
	s_and_saveexec_b64 s[6:7], s[2:3]
	s_cbranch_execz .LBB17_17
; %bb.16:
	ds_read_b32 v7, v4 offset:1024
.LBB17_17:
	s_or_b64 exec, exec, s[6:7]
	v_xor_b32_e32 v8, 1, v73
	v_cmp_lt_i32_e64 s[6:7], v8, v74
	v_lshlrev_b32_e32 v9, 2, v73
	s_nop 0
	v_cndmask_b32_e64 v8, v73, v8, s[6:7]
	v_lshlrev_b32_e32 v59, 2, v8
	s_waitcnt lgkmcnt(0)
	ds_bpermute_b32 v8, v59, v7
	v_max_f32_e32 v7, v7, v7
	s_lshl_b32 s6, s12, 3
	s_min_i32 s15, s6, s33
	v_cmp_gt_i32_e64 s[6:7], s15, v0
	s_waitcnt lgkmcnt(0)
	v_max_f32_e32 v8, v8, v8
	v_max_f32_e32 v8, v7, v8
	v_and_b32_e32 v7, 0xffffff00, v9
	ds_bpermute_b32 v9, v7, v8
	v_mov_b32_e32 v8, 0
	s_and_saveexec_b64 s[26:27], s[6:7]
	s_cbranch_execz .LBB17_21
; %bb.18:
	v_mov_b32_e32 v8, 0x410
	v_lshl_add_u32 v10, v0, 2, v8
	s_mov_b64 s[28:29], 0
	v_mov_b32_e32 v8, 0
	v_mov_b32_e32 v11, v0
.LBB17_19:                              ; =>This Inner Loop Header: Depth=1
	ds_read_b32 v12, v10
	v_add_u32_e32 v11, 0x80, v11
	v_cmp_le_i32_e64 s[8:9], s15, v11
	s_or_b64 s[28:29], s[8:9], s[28:29]
	s_waitcnt lgkmcnt(0)
	v_sub_f32_e32 v12, v12, v9
	v_mul_f32_e32 v12, 0x3fb8aa3b, v12
	v_exp_f32_e32 v12, v12
	ds_write_b32 v10, v12
	v_add_f32_e32 v8, v8, v12
	v_add_u32_e32 v10, 0x200, v10
	s_andn2_b64 exec, exec, s[28:29]
	s_cbranch_execnz .LBB17_19
; %bb.20:
	s_or_b64 exec, exec, s[28:29]
.LBB17_21:
	s_or_b64 exec, exec, s[26:27]
	ds_bpermute_b32 v3, v3, v8
	s_waitcnt lgkmcnt(0)
	v_add_f32_e32 v3, v8, v3
	ds_bpermute_b32 v5, v5, v3
	s_waitcnt lgkmcnt(0)
	v_add_f32_e32 v3, v3, v5
	ds_bpermute_b32 v5, v6, v3
	v_xor_b32_e32 v6, 4, v73
	v_cmp_lt_i32_e64 s[8:9], v6, v74
	s_waitcnt lgkmcnt(0)
	v_add_f32_e32 v3, v3, v5
	v_cndmask_b32_e64 v6, v73, v6, s[8:9]
	v_lshlrev_b32_e32 v6, 2, v6
	ds_bpermute_b32 v5, v6, v3
	v_xor_b32_e32 v6, 2, v73
	v_cmp_lt_i32_e64 s[8:9], v6, v74
	s_waitcnt lgkmcnt(0)
	v_add_f32_e32 v3, v3, v5
	v_cndmask_b32_e64 v6, v73, v6, s[8:9]
	v_lshlrev_b32_e32 v5, 2, v6
	ds_bpermute_b32 v5, v5, v3
	s_waitcnt lgkmcnt(0)
	v_add_f32_e32 v3, v3, v5
	ds_bpermute_b32 v5, v59, v3
	s_waitcnt lgkmcnt(0)
	v_add_f32_e32 v3, v3, v5
	s_and_saveexec_b64 s[8:9], vcc
	s_cbranch_execz .LBB17_23
; %bb.22:
	ds_write_b32 v2, v3 offset:1032
.LBB17_23:
	s_or_b64 exec, exec, s[8:9]
	s_waitcnt lgkmcnt(0)
	s_barrier
	s_and_saveexec_b64 s[8:9], s[2:3]
	s_cbranch_execz .LBB17_25
; %bb.24:
	ds_read_b32 v3, v4 offset:1032
.LBB17_25:
	s_or_b64 exec, exec, s[8:9]
	s_waitcnt lgkmcnt(0)
	ds_bpermute_b32 v2, v59, v3
	s_waitcnt lgkmcnt(0)
	v_add_f32_e32 v2, v3, v2
	ds_bpermute_b32 v2, v7, v2
	s_and_saveexec_b64 s[2:3], s[6:7]
	s_cbranch_execz .LBB17_38
; %bb.26:
	s_waitcnt lgkmcnt(0)
	v_add_f32_e32 v2, 0x358637bd, v2
	v_div_scale_f32 v3, s[6:7], v2, v2, 1.0
	v_rcp_f32_e32 v4, v3
	v_div_scale_f32 v5, vcc, 1.0, v2, 1.0
	s_movk_i32 s6, 0x7f
	v_fma_f32 v6, -v3, v4, 1.0
	v_fmac_f32_e32 v4, v6, v4
	v_mul_f32_e32 v6, v5, v4
	v_fma_f32 v7, -v3, v6, v5
	v_fmac_f32_e32 v6, v7, v4
	v_fma_f32 v3, -v3, v6, v5
	v_div_fmas_f32 v3, v3, v4, v6
	v_xad_u32 v4, v0, -1, s15
	v_div_fixup_f32 v2, v3, v2, 1.0
	v_cmp_lt_u32_e32 vcc, s6, v4
	s_mov_b64 s[8:9], -1
	v_mov_b32_e32 v3, v0
	s_and_saveexec_b64 s[6:7], vcc
	s_cbranch_execz .LBB17_35
; %bb.27:
	v_lshrrev_b32_e32 v4, 7, v4
	v_add_u32_e32 v6, -1, v4
	v_lshrrev_b32_e32 v5, 1, v6
	v_mov_b32_e32 v3, v2
	v_add_u32_e32 v5, 1, v5
	v_cmp_lt_u32_e32 vcc, 13, v6
	v_mov_b32_e32 v8, 0
	s_and_saveexec_b64 s[8:9], vcc
	s_cbranch_execz .LBB17_31
; %bb.28:
	v_mov_b32_e32 v7, 0x410
	v_and_b32_e32 v6, -8, v5
	v_lshl_add_u32 v7, v0, 2, v7
	s_mov_b32 s21, 0
	s_mov_b64 s[26:27], 0
.LBB17_29:                              ; =>This Inner Loop Header: Depth=1
	ds_read2st64_b32 v[8:9], v7 offset1:2
	ds_read2st64_b32 v[10:11], v7 offset0:4 offset1:6
	ds_read2st64_b32 v[12:13], v7 offset0:8 offset1:10
	;; [unrolled: 1-line block ×3, first 2 shown]
	v_add_u32_e32 v6, -8, v6
	s_waitcnt lgkmcnt(3)
	v_pk_mul_f32 v[8:9], v[2:3], v[8:9]
	s_waitcnt lgkmcnt(2)
	v_pk_mul_f32 v[10:11], v[2:3], v[10:11]
	ds_write2st64_b32 v7, v8, v9 offset1:2
	ds_write2st64_b32 v7, v10, v11 offset0:4 offset1:6
	ds_read2st64_b32 v[10:11], v7 offset0:16 offset1:18
	s_waitcnt lgkmcnt(4)
	v_pk_mul_f32 v[8:9], v[2:3], v[12:13]
	ds_write2st64_b32 v7, v8, v9 offset0:8 offset1:10
	s_waitcnt lgkmcnt(4)
	v_pk_mul_f32 v[8:9], v[2:3], v[14:15]
	ds_write2st64_b32 v7, v8, v9 offset0:12 offset1:14
	ds_read2st64_b32 v[8:9], v7 offset0:20 offset1:22
	s_waitcnt lgkmcnt(3)
	v_pk_mul_f32 v[10:11], v[2:3], v[10:11]
	ds_read2st64_b32 v[12:13], v7 offset0:24 offset1:26
	ds_write2st64_b32 v7, v10, v11 offset0:16 offset1:18
	ds_read2st64_b32 v[10:11], v7 offset0:28 offset1:30
	s_waitcnt lgkmcnt(3)
	v_pk_mul_f32 v[8:9], v[2:3], v[8:9]
	ds_write2st64_b32 v7, v8, v9 offset0:20 offset1:22
	s_waitcnt lgkmcnt(3)
	v_pk_mul_f32 v[8:9], v[2:3], v[12:13]
	ds_write2st64_b32 v7, v8, v9 offset0:24 offset1:26
	s_waitcnt lgkmcnt(2)
	v_pk_mul_f32 v[8:9], v[2:3], v[10:11]
	s_add_i32 s21, s21, 16
	v_cmp_eq_u32_e32 vcc, 0, v6
	ds_write2st64_b32 v7, v8, v9 offset0:28 offset1:30
	v_add_u32_e32 v7, 0x2000, v7
	s_or_b64 s[26:27], vcc, s[26:27]
	v_mov_b32_e32 v8, s21
	s_andn2_b64 exec, exec, s[26:27]
	s_cbranch_execnz .LBB17_29
; %bb.30:
	s_or_b64 exec, exec, s[26:27]
.LBB17_31:
	s_or_b64 exec, exec, s[8:9]
	v_and_b32_e32 v5, 7, v5
	v_cmp_ne_u32_e32 vcc, 0, v5
	s_and_saveexec_b64 s[8:9], vcc
	s_cbranch_execz .LBB17_34
; %bb.32:
	v_lshlrev_b32_e32 v6, 9, v8
	v_lshlrev_b32_e32 v7, 2, v0
	s_movk_i32 s21, 0x410
	v_add3_u32 v6, v6, v7, s21
	s_mov_b64 s[26:27], 0
.LBB17_33:                              ; =>This Inner Loop Header: Depth=1
	ds_read2st64_b32 v[8:9], v6 offset1:2
	v_add_u32_e32 v5, -1, v5
	v_cmp_eq_u32_e32 vcc, 0, v5
	s_or_b64 s[26:27], vcc, s[26:27]
	s_waitcnt lgkmcnt(0)
	v_pk_mul_f32 v[8:9], v[2:3], v[8:9]
	ds_write2st64_b32 v6, v8, v9 offset1:2
	v_add_u32_e32 v6, 0x400, v6
	s_andn2_b64 exec, exec, s[26:27]
	s_cbranch_execnz .LBB17_33
.LBB17_34:
	s_or_b64 exec, exec, s[8:9]
	v_add_u32_e32 v4, 1, v4
	v_and_b32_e32 v5, 0x3fffffe, v4
	v_cmp_ne_u32_e32 vcc, v4, v5
	v_lshl_add_u32 v3, v5, 7, v0
	s_orn2_b64 s[8:9], vcc, exec
.LBB17_35:
	s_or_b64 exec, exec, s[6:7]
	s_and_b64 exec, exec, s[8:9]
	s_cbranch_execz .LBB17_38
; %bb.36:
	v_mov_b32_e32 v4, 0x410
	v_lshl_add_u32 v4, v3, 2, v4
	s_mov_b64 s[6:7], 0
.LBB17_37:                              ; =>This Inner Loop Header: Depth=1
	ds_read_b32 v5, v4
	v_add_u32_e32 v3, 0x80, v3
	v_cmp_le_i32_e32 vcc, s15, v3
	s_or_b64 s[6:7], vcc, s[6:7]
	s_waitcnt lgkmcnt(0)
	v_mul_f32_e32 v5, v2, v5
	ds_write_b32 v4, v5
	v_add_u32_e32 v4, 0x200, v4
	s_andn2_b64 exec, exec, s[6:7]
	s_cbranch_execnz .LBB17_37
.LBB17_38:
	s_or_b64 exec, exec, s[2:3]
	v_mov_b32_e32 v39, 0
	v_and_b32_e32 v60, 1, v0
	v_mov_b32_e32 v38, 0
	v_mov_b32_e32 v41, 0
	;; [unrolled: 1-line block ×7, first 2 shown]
	s_waitcnt lgkmcnt(0)
	s_barrier
	s_and_saveexec_b64 s[2:3], s[0:1]
	s_cbranch_execz .LBB17_58
; %bb.39:
	s_ashr_i32 s15, s14, 31
	s_lshl_b64 s[0:1], s[14:15], 2
	v_lshlrev_b32_e32 v2, 2, v0
	s_add_u32 s6, s10, s0
	v_and_b32_e32 v3, 4, v2
	s_addc_u32 s7, s11, s1
	s_add_i32 s14, s12, -1
	v_lshlrev_b32_e32 v5, 3, v1
	s_lshl_b64 s[0:1], s[24:25], 2
	v_and_b32_e32 v2, 0xfc, v2
	v_or3_b32 v61, v5, v3, 3
	v_lshlrev_b32_e32 v3, 4, v60
	s_add_u32 s0, s22, s0
	v_mov_b32_e32 v47, 0
	v_or_b32_e32 v4, 0x400, v2
	v_or_b32_e32 v6, 0x500, v2
	;; [unrolled: 1-line block ×4, first 2 shown]
	v_lshl_or_b32 v3, v1, 5, v3
	v_and_b32_e32 v46, 60, v72
	s_addc_u32 s1, s23, s1
	v_add_u32_e32 v62, 0x410, v3
	v_lshl_add_u64 v[48:49], s[0:1], 0, v[46:47]
	s_mov_b64 s[8:9], 0
	v_lshlrev_b32_e32 v50, 2, v2
	v_mov_b32_e32 v51, v47
	v_lshlrev_b32_e32 v46, 2, v4
	v_lshlrev_b32_e32 v52, 2, v6
	;; [unrolled: 1-line block ×4, first 2 shown]
	v_mov_b32_e32 v44, v47
	v_mov_b32_e32 v45, v47
	;; [unrolled: 1-line block ×8, first 2 shown]
	s_branch .LBB17_41
.LBB17_40:                              ;   in Loop: Header=BB17_41 Depth=1
	s_or_b64 exec, exec, s[0:1]
	s_waitcnt vmcnt(7) lgkmcnt(0)
	v_mul_f32_e32 v7, v3, v7
	v_fmac_f32_e32 v7, v2, v6
	s_waitcnt vmcnt(6)
	v_mul_f32_e32 v6, v3, v11
	v_fmac_f32_e32 v6, v2, v10
	v_fmac_f32_e32 v6, v4, v12
	v_fmac_f32_e32 v6, v5, v13
	v_add_f32_e32 v45, v45, v6
	s_waitcnt vmcnt(5)
	v_mul_f32_e32 v6, v3, v15
	v_fmac_f32_e32 v6, v2, v14
	v_fmac_f32_e32 v6, v4, v16
	v_fmac_f32_e32 v6, v5, v17
	v_add_f32_e32 v42, v42, v6
	s_waitcnt vmcnt(4)
	v_mul_f32_e32 v6, v3, v19
	v_fmac_f32_e32 v6, v2, v18
	v_fmac_f32_e32 v6, v4, v20
	v_fmac_f32_e32 v6, v5, v21
	v_add_f32_e32 v43, v43, v6
	s_waitcnt vmcnt(3)
	v_mul_f32_e32 v6, v3, v23
	v_fmac_f32_e32 v6, v2, v22
	v_fmac_f32_e32 v6, v4, v24
	v_fmac_f32_e32 v6, v5, v25
	v_add_f32_e32 v40, v40, v6
	s_waitcnt vmcnt(2)
	v_mul_f32_e32 v6, v3, v27
	v_fmac_f32_e32 v6, v2, v26
	v_fmac_f32_e32 v6, v4, v28
	v_fmac_f32_e32 v6, v5, v29
	v_add_f32_e32 v41, v41, v6
	s_waitcnt vmcnt(1)
	v_mul_f32_e32 v6, v3, v31
	s_waitcnt vmcnt(0)
	v_mul_f32_e32 v3, v3, v35
	v_fmac_f32_e32 v6, v2, v30
	v_fmac_f32_e32 v3, v2, v34
	;; [unrolled: 1-line block ×5, first 2 shown]
	v_add_u32_e32 v1, 2, v1
	v_fmac_f32_e32 v7, v5, v9
	v_fmac_f32_e32 v6, v5, v33
	;; [unrolled: 1-line block ×3, first 2 shown]
	v_cmp_le_i32_e32 vcc, s12, v1
	v_add_f32_e32 v44, v44, v7
	v_add_f32_e32 v38, v38, v6
	v_add_f32_e32 v39, v39, v3
	v_add_u32_e32 v61, 16, v61
	v_add_u32_e32 v62, 64, v62
	s_or_b64 s[8:9], vcc, s[8:9]
	v_lshl_add_u64 v[48:49], v[48:49], 0, 8
	s_andn2_b64 exec, exec, s[8:9]
	s_cbranch_execz .LBB17_57
.LBB17_41:                              ; =>This Inner Loop Header: Depth=1
	global_load_dword v2, v[48:49], off
	v_add_u32_e32 v63, -3, v61
	v_cmp_eq_u32_e32 vcc, s14, v1
	v_add_u32_e32 v65, -2, v61
	v_add_u32_e32 v64, -1, v61
	s_waitcnt vmcnt(0)
	v_mad_i64_i32 v[2:3], s[0:1], v2, s13, 0
	v_lshl_add_u64 v[34:35], v[2:3], 2, s[6:7]
	v_lshl_add_u64 v[18:19], v[34:35], 0, v[50:51]
	global_load_dwordx4 v[6:9], v[18:19], off
	ds_read_b128 v[2:5], v62
	s_and_saveexec_b64 s[10:11], vcc
	s_cbranch_execnz .LBB17_54
; %bb.42:                               ;   in Loop: Header=BB17_41 Depth=1
	s_or_b64 exec, exec, s[10:11]
	global_load_dwordx4 v[10:13], v[18:19], off offset:1024
	s_and_saveexec_b64 s[10:11], vcc
	s_cbranch_execnz .LBB17_55
.LBB17_43:                              ;   in Loop: Header=BB17_41 Depth=1
	s_or_b64 exec, exec, s[10:11]
	global_load_dwordx4 v[14:17], v[18:19], off offset:2048
	s_and_saveexec_b64 s[10:11], vcc
	s_cbranch_execnz .LBB17_56
.LBB17_44:                              ;   in Loop: Header=BB17_41 Depth=1
	s_or_b64 exec, exec, s[10:11]
	global_load_dwordx4 v[18:21], v[18:19], off offset:3072
	s_and_saveexec_b64 s[10:11], vcc
	s_cbranch_execz .LBB17_46
.LBB17_45:                              ;   in Loop: Header=BB17_41 Depth=1
	v_cmp_gt_i32_e64 s[0:1], s33, v63
	s_waitcnt vmcnt(0)
	s_nop 0
	v_cndmask_b32_e64 v18, 0, v18, s[0:1]
	v_cmp_gt_i32_e64 s[0:1], s33, v65
	s_nop 1
	v_cndmask_b32_e64 v19, 0, v19, s[0:1]
	v_cmp_gt_i32_e64 s[0:1], s33, v64
	;; [unrolled: 3-line block ×3, first 2 shown]
	s_nop 1
	v_cndmask_b32_e64 v21, 0, v21, s[0:1]
.LBB17_46:                              ;   in Loop: Header=BB17_41 Depth=1
	s_or_b64 exec, exec, s[10:11]
	v_lshl_add_u64 v[22:23], v[34:35], 0, v[46:47]
	global_load_dwordx4 v[22:25], v[22:23], off
	s_and_saveexec_b64 s[10:11], vcc
	s_cbranch_execz .LBB17_48
; %bb.47:                               ;   in Loop: Header=BB17_41 Depth=1
	v_cmp_gt_i32_e64 s[0:1], s33, v63
	s_waitcnt vmcnt(0)
	s_nop 0
	v_cndmask_b32_e64 v22, 0, v22, s[0:1]
	v_cmp_gt_i32_e64 s[0:1], s33, v65
	s_nop 1
	v_cndmask_b32_e64 v23, 0, v23, s[0:1]
	v_cmp_gt_i32_e64 s[0:1], s33, v64
	s_nop 1
	v_cndmask_b32_e64 v24, 0, v24, s[0:1]
	v_cmp_gt_i32_e64 s[0:1], s33, v61
	s_nop 1
	v_cndmask_b32_e64 v25, 0, v25, s[0:1]
.LBB17_48:                              ;   in Loop: Header=BB17_41 Depth=1
	s_or_b64 exec, exec, s[10:11]
	v_mov_b32_e32 v53, v47
	v_lshl_add_u64 v[26:27], v[34:35], 0, v[52:53]
	global_load_dwordx4 v[26:29], v[26:27], off
	s_and_saveexec_b64 s[10:11], vcc
	s_cbranch_execz .LBB17_50
; %bb.49:                               ;   in Loop: Header=BB17_41 Depth=1
	v_cmp_gt_i32_e64 s[0:1], s33, v63
	s_waitcnt vmcnt(0)
	s_nop 0
	v_cndmask_b32_e64 v26, 0, v26, s[0:1]
	v_cmp_gt_i32_e64 s[0:1], s33, v65
	s_nop 1
	v_cndmask_b32_e64 v27, 0, v27, s[0:1]
	v_cmp_gt_i32_e64 s[0:1], s33, v64
	s_nop 1
	v_cndmask_b32_e64 v28, 0, v28, s[0:1]
	v_cmp_gt_i32_e64 s[0:1], s33, v61
	s_nop 1
	v_cndmask_b32_e64 v29, 0, v29, s[0:1]
.LBB17_50:                              ;   in Loop: Header=BB17_41 Depth=1
	s_or_b64 exec, exec, s[10:11]
	v_mov_b32_e32 v55, v47
	;; [unrolled: 21-line block ×3, first 2 shown]
	v_lshl_add_u64 v[34:35], v[34:35], 0, v[56:57]
	global_load_dwordx4 v[34:37], v[34:35], off
	s_and_saveexec_b64 s[0:1], vcc
	s_cbranch_execz .LBB17_40
; %bb.53:                               ;   in Loop: Header=BB17_41 Depth=1
	v_cmp_gt_i32_e32 vcc, s33, v63
	s_waitcnt vmcnt(0)
	s_nop 0
	v_cndmask_b32_e32 v34, 0, v34, vcc
	v_cmp_gt_i32_e32 vcc, s33, v65
	s_nop 1
	v_cndmask_b32_e32 v35, 0, v35, vcc
	v_cmp_gt_i32_e32 vcc, s33, v64
	;; [unrolled: 3-line block ×3, first 2 shown]
	s_nop 1
	v_cndmask_b32_e32 v37, 0, v37, vcc
	s_branch .LBB17_40
.LBB17_54:                              ;   in Loop: Header=BB17_41 Depth=1
	v_cmp_gt_i32_e64 s[0:1], s33, v63
	s_waitcnt vmcnt(0)
	s_nop 0
	v_cndmask_b32_e64 v6, 0, v6, s[0:1]
	v_cmp_gt_i32_e64 s[0:1], s33, v65
	s_nop 1
	v_cndmask_b32_e64 v7, 0, v7, s[0:1]
	v_cmp_gt_i32_e64 s[0:1], s33, v64
	;; [unrolled: 3-line block ×3, first 2 shown]
	s_nop 1
	v_cndmask_b32_e64 v9, 0, v9, s[0:1]
	s_or_b64 exec, exec, s[10:11]
	global_load_dwordx4 v[10:13], v[18:19], off offset:1024
	s_and_saveexec_b64 s[10:11], vcc
	s_cbranch_execz .LBB17_43
.LBB17_55:                              ;   in Loop: Header=BB17_41 Depth=1
	v_cmp_gt_i32_e64 s[0:1], s33, v63
	s_waitcnt vmcnt(0)
	s_nop 0
	v_cndmask_b32_e64 v10, 0, v10, s[0:1]
	v_cmp_gt_i32_e64 s[0:1], s33, v65
	s_nop 1
	v_cndmask_b32_e64 v11, 0, v11, s[0:1]
	v_cmp_gt_i32_e64 s[0:1], s33, v64
	;; [unrolled: 3-line block ×3, first 2 shown]
	s_nop 1
	v_cndmask_b32_e64 v13, 0, v13, s[0:1]
	s_or_b64 exec, exec, s[10:11]
	global_load_dwordx4 v[14:17], v[18:19], off offset:2048
	s_and_saveexec_b64 s[10:11], vcc
	s_cbranch_execz .LBB17_44
.LBB17_56:                              ;   in Loop: Header=BB17_41 Depth=1
	v_cmp_gt_i32_e64 s[0:1], s33, v63
	s_waitcnt vmcnt(0)
	s_nop 0
	v_cndmask_b32_e64 v14, 0, v14, s[0:1]
	v_cmp_gt_i32_e64 s[0:1], s33, v65
	s_nop 1
	v_cndmask_b32_e64 v15, 0, v15, s[0:1]
	v_cmp_gt_i32_e64 s[0:1], s33, v64
	;; [unrolled: 3-line block ×3, first 2 shown]
	s_nop 1
	v_cndmask_b32_e64 v17, 0, v17, s[0:1]
	s_or_b64 exec, exec, s[10:11]
	global_load_dwordx4 v[18:21], v[18:19], off offset:3072
	s_and_saveexec_b64 s[10:11], vcc
	s_cbranch_execnz .LBB17_45
	s_branch .LBB17_46
.LBB17_57:
	s_or_b64 exec, exec, s[8:9]
.LBB17_58:
	s_or_b64 exec, exec, s[2:3]
	ds_bpermute_b32 v2, v59, v44
	ds_bpermute_b32 v3, v59, v45
	;; [unrolled: 1-line block ×8, first 2 shown]
	v_and_b32_e32 v1, 0x3c1, v0
	s_waitcnt lgkmcnt(6)
	v_pk_add_f32 v[6:7], v[44:45], v[2:3]
	s_waitcnt lgkmcnt(4)
	v_pk_add_f32 v[4:5], v[42:43], v[4:5]
	;; [unrolled: 2-line block ×4, first 2 shown]
	v_cmp_eq_u32_e32 vcc, 64, v1
	s_barrier
	s_and_saveexec_b64 s[0:1], vcc
	s_cbranch_execz .LBB17_60
; %bb.59:
	v_mov_b32_e32 v10, 0x410
	v_lshl_add_u32 v10, v58, 1, v10
	ds_write2_b32 v10, v6, v7 offset1:32
	ds_write2_b32 v10, v4, v5 offset0:64 offset1:96
	ds_write2_b32 v10, v2, v3 offset0:128 offset1:160
	;; [unrolled: 1-line block ×3, first 2 shown]
.LBB17_60:
	s_or_b64 exec, exec, s[0:1]
	v_cmp_gt_u32_e32 vcc, 64, v0
	s_waitcnt lgkmcnt(0)
	s_barrier
	s_and_saveexec_b64 s[0:1], vcc
	s_cbranch_execz .LBB17_71
; %bb.61:
	v_cmp_eq_u32_e32 vcc, 0, v60
	v_lshrrev_b32_e32 v10, 1, v0
	s_and_saveexec_b64 s[2:3], vcc
	s_cbranch_execnz .LBB17_74
; %bb.62:
	s_or_b64 exec, exec, s[2:3]
	s_and_saveexec_b64 s[2:3], vcc
	s_cbranch_execnz .LBB17_75
.LBB17_63:
	s_or_b64 exec, exec, s[2:3]
	s_and_saveexec_b64 s[2:3], vcc
	s_cbranch_execnz .LBB17_76
.LBB17_64:
	s_or_b64 exec, exec, s[2:3]
	s_and_saveexec_b64 s[2:3], vcc
	s_cbranch_execnz .LBB17_77
.LBB17_65:
	s_or_b64 exec, exec, s[2:3]
	s_and_saveexec_b64 s[2:3], vcc
	s_cbranch_execnz .LBB17_78
.LBB17_66:
	s_or_b64 exec, exec, s[2:3]
	s_and_saveexec_b64 s[2:3], vcc
	s_cbranch_execnz .LBB17_79
.LBB17_67:
	s_or_b64 exec, exec, s[2:3]
	s_and_saveexec_b64 s[2:3], vcc
	s_cbranch_execnz .LBB17_80
.LBB17_68:
	s_or_b64 exec, exec, s[2:3]
	s_and_saveexec_b64 s[2:3], vcc
	s_cbranch_execz .LBB17_70
.LBB17_69:
	v_mov_b32_e32 v11, 0x410
	v_lshl_add_u32 v10, v10, 2, v11
	ds_read_b32 v10, v10 offset:896
	s_waitcnt lgkmcnt(0)
	v_add_f32_e32 v9, v9, v10
.LBB17_70:
	s_or_b64 exec, exec, s[2:3]
.LBB17_71:
	s_or_b64 exec, exec, s[0:1]
	v_cmp_eq_u32_e32 vcc, 0, v1
	s_barrier
	s_and_saveexec_b64 s[0:1], vcc
	s_cbranch_execz .LBB17_73
; %bb.72:
	s_mul_i32 s0, s16, s17
	s_mul_i32 s0, s0, s5
	s_lshl_b32 s0, s0, 8
	s_ashr_i32 s1, s0, 31
	s_lshl_b64 s[0:1], s[0:1], 2
	s_add_u32 s2, s18, s0
	s_mul_i32 s0, s17, s20
	s_addc_u32 s3, s19, s1
	s_ashr_i32 s1, s0, 31
	s_lshl_b64 s[0:1], s[0:1], 2
	s_add_u32 s2, s2, s0
	s_addc_u32 s3, s3, s1
	s_lshl_b32 s0, s4, 8
	s_ashr_i32 s1, s0, 31
	s_lshl_b64 s[0:1], s[0:1], 2
	s_add_u32 s0, s2, s0
	s_addc_u32 s1, s3, s1
	v_lshlrev_b32_e32 v0, 1, v0
	global_store_dword v0, v6, s[0:1]
	global_store_dword v0, v7, s[0:1] offset:128
	global_store_dword v0, v4, s[0:1] offset:256
	;; [unrolled: 1-line block ×7, first 2 shown]
.LBB17_73:
	s_endpgm
.LBB17_74:
	v_mov_b32_e32 v11, 0x410
	v_lshl_add_u32 v11, v10, 2, v11
	ds_read_b32 v11, v11
	s_waitcnt lgkmcnt(0)
	v_add_f32_e32 v6, v6, v11
	s_or_b64 exec, exec, s[2:3]
	s_and_saveexec_b64 s[2:3], vcc
	s_cbranch_execz .LBB17_63
.LBB17_75:
	v_mov_b32_e32 v11, 0x410
	v_lshl_add_u32 v11, v10, 2, v11
	ds_read_b32 v11, v11 offset:128
	s_waitcnt lgkmcnt(0)
	v_add_f32_e32 v7, v7, v11
	s_or_b64 exec, exec, s[2:3]
	s_and_saveexec_b64 s[2:3], vcc
	s_cbranch_execz .LBB17_64
.LBB17_76:
	v_mov_b32_e32 v11, 0x410
	v_lshl_add_u32 v11, v10, 2, v11
	ds_read_b32 v11, v11 offset:256
	s_waitcnt lgkmcnt(0)
	v_add_f32_e32 v4, v4, v11
	s_or_b64 exec, exec, s[2:3]
	s_and_saveexec_b64 s[2:3], vcc
	s_cbranch_execz .LBB17_65
.LBB17_77:
	v_mov_b32_e32 v11, 0x410
	v_lshl_add_u32 v11, v10, 2, v11
	ds_read_b32 v11, v11 offset:384
	s_waitcnt lgkmcnt(0)
	v_add_f32_e32 v5, v5, v11
	s_or_b64 exec, exec, s[2:3]
	s_and_saveexec_b64 s[2:3], vcc
	s_cbranch_execz .LBB17_66
.LBB17_78:
	v_mov_b32_e32 v11, 0x410
	v_lshl_add_u32 v11, v10, 2, v11
	ds_read_b32 v11, v11 offset:512
	s_waitcnt lgkmcnt(0)
	v_add_f32_e32 v2, v2, v11
	s_or_b64 exec, exec, s[2:3]
	s_and_saveexec_b64 s[2:3], vcc
	s_cbranch_execz .LBB17_67
.LBB17_79:
	v_mov_b32_e32 v11, 0x410
	v_lshl_add_u32 v11, v10, 2, v11
	ds_read_b32 v11, v11 offset:640
	s_waitcnt lgkmcnt(0)
	v_add_f32_e32 v3, v3, v11
	s_or_b64 exec, exec, s[2:3]
	s_and_saveexec_b64 s[2:3], vcc
	s_cbranch_execz .LBB17_68
.LBB17_80:
	v_mov_b32_e32 v11, 0x410
	v_lshl_add_u32 v11, v10, 2, v11
	ds_read_b32 v11, v11 offset:768
	s_waitcnt lgkmcnt(0)
	v_add_f32_e32 v8, v8, v11
	s_or_b64 exec, exec, s[2:3]
	s_and_saveexec_b64 s[2:3], vcc
	s_cbranch_execnz .LBB17_69
	s_branch .LBB17_70
	.section	.rodata,"a",@progbits
	.p2align	6, 0x0
	.amdhsa_kernel _ZN4vllm25paged_attention_v1_kernelIffLi256ELi8ELi128ELNS_18Fp8KVCacheDataTypeE0ELb0EEEvPT_PKS2_PKT0_S8_ifPKiSA_iPKfiiiSC_SC_iiiii
		.amdhsa_group_segment_fixed_size 1040
		.amdhsa_private_segment_fixed_size 0
		.amdhsa_kernarg_size 384
		.amdhsa_user_sgpr_count 2
		.amdhsa_user_sgpr_dispatch_ptr 0
		.amdhsa_user_sgpr_queue_ptr 0
		.amdhsa_user_sgpr_kernarg_segment_ptr 1
		.amdhsa_user_sgpr_dispatch_id 0
		.amdhsa_user_sgpr_kernarg_preload_length 0
		.amdhsa_user_sgpr_kernarg_preload_offset 0
		.amdhsa_user_sgpr_private_segment_size 0
		.amdhsa_uses_dynamic_stack 0
		.amdhsa_enable_private_segment 0
		.amdhsa_system_sgpr_workgroup_id_x 1
		.amdhsa_system_sgpr_workgroup_id_y 1
		.amdhsa_system_sgpr_workgroup_id_z 1
		.amdhsa_system_sgpr_workgroup_info 0
		.amdhsa_system_vgpr_workitem_id 0
		.amdhsa_next_free_vgpr 116
		.amdhsa_next_free_sgpr 38
		.amdhsa_accum_offset 116
		.amdhsa_reserve_vcc 1
		.amdhsa_float_round_mode_32 0
		.amdhsa_float_round_mode_16_64 0
		.amdhsa_float_denorm_mode_32 3
		.amdhsa_float_denorm_mode_16_64 3
		.amdhsa_dx10_clamp 1
		.amdhsa_ieee_mode 1
		.amdhsa_fp16_overflow 0
		.amdhsa_tg_split 0
		.amdhsa_exception_fp_ieee_invalid_op 0
		.amdhsa_exception_fp_denorm_src 0
		.amdhsa_exception_fp_ieee_div_zero 0
		.amdhsa_exception_fp_ieee_overflow 0
		.amdhsa_exception_fp_ieee_underflow 0
		.amdhsa_exception_fp_ieee_inexact 0
		.amdhsa_exception_int_div_zero 0
	.end_amdhsa_kernel
	.section	.text._ZN4vllm25paged_attention_v1_kernelIffLi256ELi8ELi128ELNS_18Fp8KVCacheDataTypeE0ELb0EEEvPT_PKS2_PKT0_S8_ifPKiSA_iPKfiiiSC_SC_iiiii,"axG",@progbits,_ZN4vllm25paged_attention_v1_kernelIffLi256ELi8ELi128ELNS_18Fp8KVCacheDataTypeE0ELb0EEEvPT_PKS2_PKT0_S8_ifPKiSA_iPKfiiiSC_SC_iiiii,comdat
.Lfunc_end17:
	.size	_ZN4vllm25paged_attention_v1_kernelIffLi256ELi8ELi128ELNS_18Fp8KVCacheDataTypeE0ELb0EEEvPT_PKS2_PKT0_S8_ifPKiSA_iPKfiiiSC_SC_iiiii, .Lfunc_end17-_ZN4vllm25paged_attention_v1_kernelIffLi256ELi8ELi128ELNS_18Fp8KVCacheDataTypeE0ELb0EEEvPT_PKS2_PKT0_S8_ifPKiSA_iPKfiiiSC_SC_iiiii
                                        ; -- End function
	.section	.AMDGPU.csdata,"",@progbits
; Kernel info:
; codeLenInByte = 5680
; NumSgprs: 44
; NumVgprs: 116
; NumAgprs: 0
; TotalNumVgprs: 116
; ScratchSize: 0
; MemoryBound: 0
; FloatMode: 240
; IeeeMode: 1
; LDSByteSize: 1040 bytes/workgroup (compile time only)
; SGPRBlocks: 5
; VGPRBlocks: 14
; NumSGPRsForWavesPerEU: 44
; NumVGPRsForWavesPerEU: 116
; AccumOffset: 116
; Occupancy: 4
; WaveLimiterHint : 1
; COMPUTE_PGM_RSRC2:SCRATCH_EN: 0
; COMPUTE_PGM_RSRC2:USER_SGPR: 2
; COMPUTE_PGM_RSRC2:TRAP_HANDLER: 0
; COMPUTE_PGM_RSRC2:TGID_X_EN: 1
; COMPUTE_PGM_RSRC2:TGID_Y_EN: 1
; COMPUTE_PGM_RSRC2:TGID_Z_EN: 1
; COMPUTE_PGM_RSRC2:TIDIG_COMP_CNT: 0
; COMPUTE_PGM_RSRC3_GFX90A:ACCUM_OFFSET: 28
; COMPUTE_PGM_RSRC3_GFX90A:TG_SPLIT: 0
	.section	.text._ZN4vllm25paged_attention_v1_kernelIffLi32ELi16ELi128ELNS_18Fp8KVCacheDataTypeE0ELb1EEEvPT_PKS2_PKT0_S8_ifPKiSA_iPKfiiiSC_SC_iiiii,"axG",@progbits,_ZN4vllm25paged_attention_v1_kernelIffLi32ELi16ELi128ELNS_18Fp8KVCacheDataTypeE0ELb1EEEvPT_PKS2_PKT0_S8_ifPKiSA_iPKfiiiSC_SC_iiiii,comdat
	.protected	_ZN4vllm25paged_attention_v1_kernelIffLi32ELi16ELi128ELNS_18Fp8KVCacheDataTypeE0ELb1EEEvPT_PKS2_PKT0_S8_ifPKiSA_iPKfiiiSC_SC_iiiii ; -- Begin function _ZN4vllm25paged_attention_v1_kernelIffLi32ELi16ELi128ELNS_18Fp8KVCacheDataTypeE0ELb1EEEvPT_PKS2_PKT0_S8_ifPKiSA_iPKfiiiSC_SC_iiiii
	.globl	_ZN4vllm25paged_attention_v1_kernelIffLi32ELi16ELi128ELNS_18Fp8KVCacheDataTypeE0ELb1EEEvPT_PKS2_PKT0_S8_ifPKiSA_iPKfiiiSC_SC_iiiii
	.p2align	8
	.type	_ZN4vllm25paged_attention_v1_kernelIffLi32ELi16ELi128ELNS_18Fp8KVCacheDataTypeE0ELb1EEEvPT_PKS2_PKT0_S8_ifPKiSA_iPKfiiiSC_SC_iiiii,@function
_ZN4vllm25paged_attention_v1_kernelIffLi32ELi16ELi128ELNS_18Fp8KVCacheDataTypeE0ELb1EEEvPT_PKS2_PKT0_S8_ifPKiSA_iPKfiiiSC_SC_iiiii: ; @_ZN4vllm25paged_attention_v1_kernelIffLi32ELi16ELi128ELNS_18Fp8KVCacheDataTypeE0ELb1EEEvPT_PKS2_PKT0_S8_ifPKiSA_iPKfiiiSC_SC_iiiii
; %bb.0:
	s_load_dword s5, s[0:1], 0x80
	s_load_dwordx2 s[6:7], s[0:1], 0x30
	s_load_dwordx2 s[30:31], s[0:1], 0x20
	s_mov_b32 s10, s3
	s_ashr_i32 s11, s3, 31
	s_lshl_b64 s[8:9], s[10:11], 2
	s_waitcnt lgkmcnt(0)
	s_add_u32 s6, s6, s8
	s_addc_u32 s7, s7, s9
	s_abs_i32 s3, s30
	v_cvt_f32_u32_e32 v1, s3
	s_sub_i32 s11, 0, s3
	s_abs_i32 s9, s5
	s_xor_b32 s8, s5, s30
	v_rcp_iflag_f32_e32 v1, v1
	s_ashr_i32 s8, s8, 31
	s_mov_b32 s42, 0
	v_mul_f32_e32 v1, 0x4f7ffffe, v1
	v_cvt_u32_f32_e32 v1, v1
	s_nop 0
	v_readfirstlane_b32 s12, v1
	s_mul_i32 s11, s11, s12
	s_mul_hi_u32 s11, s12, s11
	s_add_i32 s12, s12, s11
	s_mul_hi_u32 s11, s9, s12
	s_mul_i32 s12, s11, s3
	s_sub_i32 s9, s9, s12
	s_add_i32 s12, s11, 1
	s_sub_i32 s13, s9, s3
	s_cmp_ge_u32 s9, s3
	s_cselect_b32 s11, s12, s11
	s_cselect_b32 s9, s13, s9
	s_add_i32 s12, s11, 1
	s_cmp_ge_u32 s9, s3
	s_cselect_b32 s3, s12, s11
	s_xor_b32 s3, s3, s8
	s_sub_i32 s12, s3, s8
	s_abs_i32 s22, s12
	v_cvt_f32_u32_e32 v1, s22
	s_load_dwordx2 s[8:9], s[0:1], 0x40
	s_sub_i32 s3, 0, s22
	s_abs_i32 s23, s2
	v_rcp_iflag_f32_e32 v1, v1
	s_nop 0
	v_mul_f32_e32 v1, 0x4f7ffffe, v1
	v_cvt_u32_f32_e32 v1, v1
	s_nop 0
	v_readfirstlane_b32 s11, v1
	s_mul_i32 s3, s3, s11
	s_mul_hi_u32 s3, s11, s3
	s_add_i32 s11, s11, s3
	s_waitcnt lgkmcnt(0)
	s_cmp_eq_u64 s[8:9], 0
	s_mul_hi_u32 s24, s23, s11
	s_cbranch_scc1 .LBB18_2
; %bb.1:
	s_ashr_i32 s3, s2, 31
	s_lshl_b64 s[14:15], s[2:3], 2
	s_add_u32 s8, s8, s14
	s_addc_u32 s9, s9, s15
	s_load_dword s42, s[8:9], 0x0
.LBB18_2:
	s_load_dword s11, s[6:7], 0x0
	s_ashr_i32 s9, s12, 31
	s_load_dwordx4 s[12:15], s[0:1], 0x48
	v_lshrrev_b32_e32 v20, 2, v0
	s_ashr_i32 s8, s2, 31
	v_and_b32_e32 v21, 3, v0
	s_lshl_b32 s20, s2, 5
	v_cmp_gt_u32_e32 vcc, 32, v0
	v_lshlrev_b32_e32 v6, 2, v0
	v_lshlrev_b32_e32 v1, 2, v20
	s_and_saveexec_b64 s[6:7], vcc
	s_cbranch_execz .LBB18_4
; %bb.3:
	s_load_dwordx2 s[16:17], s[0:1], 0x8
	s_waitcnt lgkmcnt(0)
	s_mul_i32 s18, s10, s12
	s_ashr_i32 s19, s18, 31
	s_lshl_b64 s[18:19], s[18:19], 2
	v_lshl_add_u32 v3, v21, 5, v1
	s_add_u32 s3, s16, s18
	s_addc_u32 s12, s17, s19
	s_ashr_i32 s21, s20, 31
	s_lshl_b64 s[16:17], s[20:21], 2
	s_add_u32 s16, s3, s16
	s_addc_u32 s17, s12, s17
	global_load_dword v2, v6, s[16:17]
	s_waitcnt vmcnt(0)
	ds_write_b32 v3, v2
.LBB18_4:
	s_or_b64 exec, exec, s[6:7]
	s_mul_i32 s7, s24, s22
	s_sub_i32 s7, s23, s7
	s_xor_b32 s6, s8, s9
	s_add_i32 s8, s24, 1
	s_sub_i32 s9, s7, s22
	s_load_dwordx4 s[16:19], s[0:1], 0x68
	s_load_dword s3, s[0:1], 0x78
	s_cmp_ge_u32 s7, s22
	s_cselect_b32 s8, s8, s24
	s_cselect_b32 s7, s9, s7
	s_add_i32 s9, s8, 1
	s_cmp_ge_u32 s7, s22
	s_cselect_b32 s7, s9, s8
	s_waitcnt lgkmcnt(0)
	s_abs_i32 s21, s19
	v_cvt_f32_u32_e32 v2, s21
	s_xor_b32 s7, s7, s6
	s_sub_i32 s8, s7, s6
	s_sub_i32 s6, 0, s21
	v_rcp_iflag_f32_e32 v2, v2
	s_add_i32 s15, s11, -1
	s_abs_i32 s9, s15
	v_mul_f32_e32 v2, 0x4f7ffffe, v2
	v_cvt_u32_f32_e32 v2, v2
	s_barrier
	v_readfirstlane_b32 s33, v2
	s_mul_i32 s6, s6, s33
	s_mul_hi_u32 s6, s33, s6
	s_add_i32 s33, s33, s6
	s_cmp_lt_i32 s3, 0
	s_mul_hi_u32 s12, s9, s33
	s_cbranch_scc0 .LBB18_6
; %bb.5:
	s_mul_i32 s6, s16, s30
	s_add_i32 s6, s8, s6
	s_mul_i32 s6, s6, s3
	s_sub_i32 s40, 1, s6
	s_mov_b64 s[6:7], 0
	s_branch .LBB18_7
.LBB18_6:
	s_mov_b64 s[6:7], -1
                                        ; implicit-def: $sgpr40
.LBB18_7:
	s_load_dwordx2 s[24:25], s[0:1], 0x28
	s_ashr_i32 s15, s15, 31
	s_andn2_b64 vcc, exec, s[6:7]
	s_ashr_i32 s19, s19, 31
	s_cbranch_vccnz .LBB18_9
; %bb.8:
	s_mul_i32 s6, s5, s16
	s_add_i32 s2, s6, s2
	s_mul_i32 s2, s2, s3
	s_add_i32 s40, s2, 1
.LBB18_9:
	s_load_dword s2, s[0:1], 0x38
	s_load_dwordx2 s[22:23], s[0:1], 0x0
	s_load_dwordx2 s[28:29], s[0:1], 0x18
	s_load_dword s16, s[0:1], 0x88
	s_xor_b32 s3, s15, s19
	s_waitcnt lgkmcnt(0)
	s_mul_i32 s26, s10, s2
	s_mul_i32 s2, s12, s21
	s_sub_i32 s2, s9, s2
	s_ashr_i32 s27, s26, 31
	s_add_i32 s6, s12, 1
	s_sub_i32 s7, s2, s21
	s_cmp_ge_u32 s2, s21
	s_cselect_b32 s6, s6, s12
	s_cselect_b32 s2, s7, s2
	s_add_i32 s7, s6, 1
	s_cmp_ge_u32 s2, s21
	s_cselect_b32 s2, s7, s6
	s_xor_b32 s2, s2, s3
	s_sub_i32 s12, s2, s3
	s_add_i32 s2, s11, 15
	s_ashr_i32 s3, s2, 31
	s_lshr_b32 s3, s3, 28
	s_add_i32 s2, s2, s3
	s_ashr_i32 s41, s2, 4
	v_lshrrev_b32_e32 v22, 6, v0
	v_cmp_gt_i32_e64 s[2:3], s41, v22
	v_mov_b32_e32 v11, 0xff7fffff
	s_mul_i32 s14, s8, s14
	v_lshrrev_b32_e32 v7, 4, v0
	v_lshlrev_b32_e32 v23, 4, v22
	v_mbcnt_lo_u32_b32 v8, -1, 0
	s_and_saveexec_b64 s[34:35], s[2:3]
	s_cbranch_execz .LBB18_19
; %bb.10:
	s_load_dwordx2 s[0:1], s[0:1], 0x10
	s_ashr_i32 s15, s14, 31
	s_sub_i32 s30, s12, s17
	s_lshl_b64 s[6:7], s[14:15], 2
	v_bfe_u32 v9, v0, 2, 4
	s_waitcnt lgkmcnt(0)
	s_add_u32 s0, s0, s6
	s_addc_u32 s1, s1, s7
	s_abs_i32 s15, s18
	v_cvt_f32_u32_e32 v2, s15
	v_lshlrev_b32_e32 v4, 4, v9
	v_mov_b32_e32 v5, 0
	v_lshlrev_b32_e32 v11, 2, v9
	v_rcp_iflag_f32_e32 v10, v2
	v_lshl_add_u64 v[2:3], s[0:1], 0, v[4:5]
	v_lshlrev_b32_e32 v4, 2, v21
	v_lshl_add_u64 v[2:3], v[2:3], 0, v[4:5]
	v_mul_f32_e32 v4, 0x4f7ffffe, v10
	v_cvt_u32_f32_e32 v4, v4
	s_sub_i32 s6, 0, s15
	v_lshl_or_b32 v11, v22, 6, v11
	v_add_u32_e32 v14, 0x90, v11
	v_mul_lo_u32 v12, s6, v4
	s_lshl_b64 s[6:7], s[26:27], 2
	v_mul_hi_u32 v12, v4, v12
	s_add_u32 s6, s24, s6
	v_subrev_u32_e32 v11, s11, v9
	v_mbcnt_hi_u32_b32 v17, -1, v8
	v_add_u32_e32 v12, v4, v12
	v_and_b32_e32 v4, 60, v7
	s_addc_u32 s7, s25, s7
	v_add_u32_e32 v15, 1, v11
	v_and_b32_e32 v11, 64, v17
	v_cmp_eq_u32_e32 vcc, 0, v21
	s_mov_b32 s43, s13
	v_lshlrev_b32_e32 v10, 5, v21
	v_cmp_neq_f32_e64 s[0:1], s42, 0
	v_lshl_add_u64 v[4:5], s[6:7], 0, v[4:5]
	v_lshlrev_b32_e32 v13, 4, v22
	s_mov_b64 s[36:37], 0
	v_mov_b32_e32 v16, 0xff7fffff
	v_add_u32_e32 v18, 64, v11
	v_xor_b32_e32 v19, 2, v17
	v_xor_b32_e32 v24, 1, v17
	v_mov_b32_e32 v11, 0xff7fffff
	v_mov_b32_e32 v25, v22
	s_branch .LBB18_13
.LBB18_11:                              ;   in Loop: Header=BB18_13 Depth=1
	s_or_b64 exec, exec, s[38:39]
.LBB18_12:                              ;   in Loop: Header=BB18_13 Depth=1
	s_or_b64 exec, exec, s[8:9]
	v_add_u32_e32 v25, 2, v25
	v_cmp_le_i32_e64 s[6:7], s41, v25
	v_lshl_add_u64 v[4:5], v[4:5], 0, 8
	v_add_u32_e32 v13, 32, v13
	s_or_b64 s[36:37], s[6:7], s[36:37]
	v_add_u32_e32 v14, 0x80, v14
	s_andn2_b64 exec, exec, s[36:37]
	s_cbranch_execz .LBB18_18
.LBB18_13:                              ; =>This Inner Loop Header: Depth=1
	v_mul_hi_u32 v26, v13, s33
	s_waitcnt lgkmcnt(0)
	v_mul_lo_u32 v27, v26, s21
	v_sub_u32_e32 v27, v13, v27
	v_add_u32_e32 v28, 1, v26
	v_cmp_le_u32_e64 s[6:7], s21, v27
	s_nop 1
	v_cndmask_b32_e64 v26, v26, v28, s[6:7]
	v_subrev_u32_e32 v28, s21, v27
	v_cndmask_b32_e64 v27, v27, v28, s[6:7]
	v_add_u32_e32 v28, 1, v26
	v_cmp_le_u32_e64 s[6:7], s21, v27
	s_nop 1
	v_cndmask_b32_e64 v26, v26, v28, s[6:7]
	v_xor_b32_e32 v26, s19, v26
	v_subrev_u32_e32 v26, s19, v26
	v_add_u32_e32 v27, s40, v26
	v_sub_u32_e32 v29, 0, v27
	v_ashrrev_i32_e32 v28, 31, v27
	v_max_i32_e32 v27, v27, v29
	v_mul_hi_u32 v29, v27, v12
	v_mul_lo_u32 v29, v29, s15
	v_sub_u32_e32 v27, v27, v29
	v_subrev_u32_e32 v29, s15, v27
	v_cmp_le_u32_e64 s[6:7], s15, v27
	v_cmp_ge_i32_e64 s[8:9], s30, v26
	s_nop 0
	v_cndmask_b32_e64 v27, v27, v29, s[6:7]
	v_subrev_u32_e32 v29, s15, v27
	v_cmp_le_u32_e64 s[6:7], s15, v27
	s_nop 1
	v_cndmask_b32_e64 v27, v27, v29, s[6:7]
	v_xor_b32_e32 v27, v27, v28
	v_sub_u32_e32 v27, v27, v28
	v_cmp_ne_u32_e64 s[6:7], 0, v27
	s_and_b64 s[6:7], s[6:7], s[8:9]
	s_and_b64 s[38:39], vcc, s[6:7]
	s_and_saveexec_b64 s[8:9], s[38:39]
	s_cbranch_execz .LBB18_15
; %bb.14:                               ;   in Loop: Header=BB18_13 Depth=1
	ds_write_b32 v14, v16
.LBB18_15:                              ;   in Loop: Header=BB18_13 Depth=1
	s_or_b64 exec, exec, s[8:9]
	s_xor_b64 s[6:7], s[6:7], -1
	s_and_saveexec_b64 s[8:9], s[6:7]
	s_cbranch_execz .LBB18_12
; %bb.16:                               ;   in Loop: Header=BB18_13 Depth=1
	global_load_dword v26, v[4:5], off
	s_waitcnt vmcnt(0)
	v_mad_i64_i32 v[26:27], s[6:7], v26, s43, 0
	v_lshl_add_u64 v[26:27], v[26:27], 2, v[2:3]
	global_load_dword v34, v[26:27], off offset:256
	global_load_dword v35, v[26:27], off
	global_load_dword v36, v[26:27], off offset:512
	global_load_dword v37, v[26:27], off offset:768
	;; [unrolled: 1-line block ×6, first 2 shown]
	ds_read_b128 v[26:29], v10
	ds_read_b128 v[30:33], v10 offset:16
	v_cmp_lt_i32_e64 s[6:7], v19, v18
	s_waitcnt vmcnt(7) lgkmcnt(1)
	v_mul_f32_e32 v27, v27, v34
	s_waitcnt vmcnt(6)
	v_fmac_f32_e32 v27, v26, v35
	s_waitcnt vmcnt(5)
	v_fmac_f32_e32 v27, v28, v36
	;; [unrolled: 2-line block ×3, first 2 shown]
	s_waitcnt vmcnt(3) lgkmcnt(0)
	v_fmac_f32_e32 v27, v30, v38
	s_waitcnt vmcnt(2)
	v_fmac_f32_e32 v27, v31, v39
	v_cndmask_b32_e64 v42, v17, v19, s[6:7]
	s_waitcnt vmcnt(1)
	v_fmac_f32_e32 v27, v32, v40
	v_lshlrev_b32_e32 v42, 2, v42
	s_waitcnt vmcnt(0)
	v_fmac_f32_e32 v27, v33, v41
	ds_bpermute_b32 v26, v42, v27
	v_cmp_lt_i32_e64 s[6:7], v24, v18
	s_waitcnt lgkmcnt(0)
	v_add_f32_e32 v26, v27, v26
	v_cndmask_b32_e64 v28, v17, v24, s[6:7]
	v_lshlrev_b32_e32 v28, 2, v28
	ds_bpermute_b32 v27, v28, v26
	s_and_saveexec_b64 s[38:39], vcc
	s_cbranch_execz .LBB18_11
; %bb.17:                               ;   in Loop: Header=BB18_13 Depth=1
	v_add_u32_e32 v28, v15, v13
	v_cvt_f32_i32_e32 v28, v28
	s_waitcnt lgkmcnt(0)
	v_add_f32_e32 v26, v26, v27
	v_add_u32_e32 v29, v9, v13
	v_cmp_gt_i32_e64 s[6:7], s11, v29
	v_mul_f32_e32 v27, s42, v28
	v_cndmask_b32_e64 v27, 0, v27, s[0:1]
	v_fmac_f32_e32 v27, s31, v26
	v_cndmask_b32_e64 v26, 0, v27, s[6:7]
	ds_write_b32 v14, v26
	v_max_f32_e32 v26, v11, v11
	v_max_f32_e32 v26, v26, v27
	v_cndmask_b32_e64 v11, v11, v26, s[6:7]
	s_branch .LBB18_11
.LBB18_18:
	s_or_b64 exec, exec, s[36:37]
.LBB18_19:
	s_or_b64 exec, exec, s[34:35]
	v_mbcnt_hi_u32_b32 v2, -1, v8
	v_and_b32_e32 v3, 64, v2
	v_add_u32_e32 v3, 64, v3
	v_xor_b32_e32 v4, 32, v2
	v_cmp_lt_i32_e32 vcc, v4, v3
	v_xor_b32_e32 v9, 16, v2
	v_max_f32_e32 v8, v11, v11
	v_cndmask_b32_e32 v4, v2, v4, vcc
	v_lshlrev_b32_e32 v4, 2, v4
	ds_bpermute_b32 v5, v4, v11
	v_cmp_lt_i32_e32 vcc, v9, v3
	v_xor_b32_e32 v10, 8, v2
	v_xor_b32_e32 v11, 4, v2
	v_and_b32_e32 v24, 63, v0
	s_waitcnt lgkmcnt(0)
	v_max_f32_e32 v5, v5, v5
	v_max_f32_e32 v8, v8, v5
	v_cndmask_b32_e32 v5, v2, v9, vcc
	v_lshlrev_b32_e32 v5, 2, v5
	ds_bpermute_b32 v9, v5, v8
	v_cmp_lt_i32_e32 vcc, v10, v3
	s_waitcnt lgkmcnt(0)
	v_max_f32_e32 v9, v9, v9
	v_max_f32_e32 v8, v8, v9
	v_cndmask_b32_e32 v9, v2, v10, vcc
	v_lshlrev_b32_e32 v10, 2, v9
	ds_bpermute_b32 v9, v10, v8
	v_cmp_lt_i32_e32 vcc, v11, v3
	s_waitcnt lgkmcnt(0)
	v_max_f32_e32 v9, v9, v9
	v_max_f32_e32 v9, v8, v9
	v_cndmask_b32_e32 v8, v2, v11, vcc
	v_lshlrev_b32_e32 v11, 2, v8
	ds_bpermute_b32 v12, v11, v9
	v_cmp_eq_u32_e32 vcc, 0, v24
	v_lshlrev_b32_e32 v8, 2, v22
	s_and_saveexec_b64 s[0:1], vcc
	s_cbranch_execz .LBB18_21
; %bb.20:
	s_waitcnt lgkmcnt(0)
	v_max_f32_e32 v12, v12, v12
	v_max_f32_e32 v9, v9, v9
	;; [unrolled: 1-line block ×3, first 2 shown]
	ds_write_b32 v8, v9 offset:128
.LBB18_21:
	s_or_b64 exec, exec, s[0:1]
	v_cmp_gt_u32_e64 s[0:1], 2, v24
	s_waitcnt lgkmcnt(0)
	v_mov_b32_e32 v12, 0xff7fffff
	v_lshlrev_b32_e32 v9, 2, v24
	s_barrier
	s_and_saveexec_b64 s[6:7], s[0:1]
	s_cbranch_execz .LBB18_23
; %bb.22:
	ds_read_b32 v12, v9 offset:128
.LBB18_23:
	s_or_b64 exec, exec, s[6:7]
	v_xor_b32_e32 v13, 1, v2
	v_cmp_lt_i32_e64 s[6:7], v13, v3
	v_lshlrev_b32_e32 v14, 2, v2
	s_nop 0
	v_cndmask_b32_e64 v13, v2, v13, s[6:7]
	v_lshlrev_b32_e32 v25, 2, v13
	s_waitcnt lgkmcnt(0)
	ds_bpermute_b32 v13, v25, v12
	v_max_f32_e32 v12, v12, v12
	s_lshl_b32 s6, s41, 4
	s_min_i32 s15, s6, s11
	v_cmp_gt_i32_e64 s[6:7], s15, v0
	s_waitcnt lgkmcnt(0)
	v_max_f32_e32 v13, v13, v13
	v_max_f32_e32 v13, v12, v13
	v_and_b32_e32 v12, 0x100, v14
	ds_bpermute_b32 v14, v12, v13
	v_mov_b32_e32 v13, 0
	s_and_saveexec_b64 s[30:31], s[6:7]
	s_cbranch_execz .LBB18_27
; %bb.24:
	v_mov_b32_e32 v13, 0x90
	v_lshl_add_u32 v15, v0, 2, v13
	s_mov_b64 s[34:35], 0
	v_mov_b32_e32 v13, 0
	v_mov_b32_e32 v16, v0
.LBB18_25:                              ; =>This Inner Loop Header: Depth=1
	ds_read_b32 v17, v15
	v_add_u32_e32 v16, 0x80, v16
	v_cmp_le_i32_e64 s[8:9], s15, v16
	s_or_b64 s[34:35], s[8:9], s[34:35]
	s_waitcnt lgkmcnt(0)
	v_sub_f32_e32 v17, v17, v14
	v_mul_f32_e32 v17, 0x3fb8aa3b, v17
	v_exp_f32_e32 v17, v17
	ds_write_b32 v15, v17
	v_add_f32_e32 v13, v13, v17
	v_add_u32_e32 v15, 0x200, v15
	s_andn2_b64 exec, exec, s[34:35]
	s_cbranch_execnz .LBB18_25
; %bb.26:
	s_or_b64 exec, exec, s[34:35]
.LBB18_27:
	s_or_b64 exec, exec, s[30:31]
	ds_bpermute_b32 v4, v4, v13
	s_waitcnt lgkmcnt(0)
	v_add_f32_e32 v4, v13, v4
	ds_bpermute_b32 v5, v5, v4
	s_waitcnt lgkmcnt(0)
	v_add_f32_e32 v4, v4, v5
	ds_bpermute_b32 v5, v10, v4
	v_xor_b32_e32 v10, 2, v2
	v_cmp_lt_i32_e64 s[8:9], v10, v3
	s_waitcnt lgkmcnt(0)
	v_add_f32_e32 v4, v4, v5
	ds_bpermute_b32 v5, v11, v4
	v_cndmask_b32_e64 v2, v2, v10, s[8:9]
	v_lshlrev_b32_e32 v26, 2, v2
	s_waitcnt lgkmcnt(0)
	v_add_f32_e32 v3, v4, v5
	ds_bpermute_b32 v2, v26, v3
	s_waitcnt lgkmcnt(0)
	v_add_f32_e32 v2, v3, v2
	ds_bpermute_b32 v3, v25, v2
	s_waitcnt lgkmcnt(0)
	v_add_f32_e32 v2, v2, v3
	s_and_saveexec_b64 s[8:9], vcc
	s_cbranch_execz .LBB18_29
; %bb.28:
	ds_write_b32 v8, v2 offset:136
.LBB18_29:
	s_or_b64 exec, exec, s[8:9]
	s_waitcnt lgkmcnt(0)
	s_barrier
	s_and_saveexec_b64 s[8:9], s[0:1]
	s_cbranch_execz .LBB18_31
; %bb.30:
	ds_read_b32 v2, v9 offset:136
.LBB18_31:
	s_or_b64 exec, exec, s[8:9]
	s_waitcnt lgkmcnt(0)
	ds_bpermute_b32 v3, v25, v2
	s_waitcnt lgkmcnt(0)
	v_add_f32_e32 v2, v2, v3
	ds_bpermute_b32 v2, v12, v2
	s_and_saveexec_b64 s[0:1], s[6:7]
	s_cbranch_execz .LBB18_44
; %bb.32:
	s_waitcnt lgkmcnt(0)
	v_add_f32_e32 v2, 0x358637bd, v2
	v_div_scale_f32 v3, s[6:7], v2, v2, 1.0
	v_rcp_f32_e32 v4, v3
	v_div_scale_f32 v5, vcc, 1.0, v2, 1.0
	s_movk_i32 s6, 0x7f
	v_fma_f32 v8, -v3, v4, 1.0
	v_fmac_f32_e32 v4, v8, v4
	v_mul_f32_e32 v8, v5, v4
	v_fma_f32 v9, -v3, v8, v5
	v_fmac_f32_e32 v8, v9, v4
	v_fma_f32 v3, -v3, v8, v5
	v_div_fmas_f32 v3, v3, v4, v8
	v_xad_u32 v4, v0, -1, s15
	v_div_fixup_f32 v2, v3, v2, 1.0
	v_cmp_lt_u32_e32 vcc, s6, v4
	s_mov_b64 s[8:9], -1
	v_mov_b32_e32 v3, v0
	s_and_saveexec_b64 s[6:7], vcc
	s_cbranch_execz .LBB18_41
; %bb.33:
	v_lshrrev_b32_e32 v4, 7, v4
	v_add_u32_e32 v8, -1, v4
	v_lshrrev_b32_e32 v5, 1, v8
	v_mov_b32_e32 v3, v2
	v_add_u32_e32 v5, 1, v5
	v_cmp_lt_u32_e32 vcc, 13, v8
	v_mov_b32_e32 v10, 0
	s_and_saveexec_b64 s[8:9], vcc
	s_cbranch_execz .LBB18_37
; %bb.34:
	v_mov_b32_e32 v9, 0x90
	v_and_b32_e32 v8, -8, v5
	v_lshl_add_u32 v9, v0, 2, v9
	s_mov_b32 s34, 0
	s_mov_b64 s[30:31], 0
.LBB18_35:                              ; =>This Inner Loop Header: Depth=1
	ds_read2st64_b32 v[10:11], v9 offset1:2
	ds_read2st64_b32 v[12:13], v9 offset0:4 offset1:6
	ds_read2st64_b32 v[14:15], v9 offset0:8 offset1:10
	;; [unrolled: 1-line block ×3, first 2 shown]
	v_add_u32_e32 v8, -8, v8
	s_waitcnt lgkmcnt(3)
	v_pk_mul_f32 v[10:11], v[2:3], v[10:11]
	s_waitcnt lgkmcnt(2)
	v_pk_mul_f32 v[12:13], v[2:3], v[12:13]
	ds_write2st64_b32 v9, v10, v11 offset1:2
	ds_write2st64_b32 v9, v12, v13 offset0:4 offset1:6
	ds_read2st64_b32 v[12:13], v9 offset0:16 offset1:18
	s_waitcnt lgkmcnt(4)
	v_pk_mul_f32 v[10:11], v[2:3], v[14:15]
	ds_write2st64_b32 v9, v10, v11 offset0:8 offset1:10
	s_waitcnt lgkmcnt(4)
	v_pk_mul_f32 v[10:11], v[2:3], v[16:17]
	ds_write2st64_b32 v9, v10, v11 offset0:12 offset1:14
	ds_read2st64_b32 v[10:11], v9 offset0:20 offset1:22
	s_waitcnt lgkmcnt(3)
	v_pk_mul_f32 v[12:13], v[2:3], v[12:13]
	ds_read2st64_b32 v[14:15], v9 offset0:24 offset1:26
	ds_write2st64_b32 v9, v12, v13 offset0:16 offset1:18
	ds_read2st64_b32 v[12:13], v9 offset0:28 offset1:30
	s_waitcnt lgkmcnt(3)
	v_pk_mul_f32 v[10:11], v[2:3], v[10:11]
	ds_write2st64_b32 v9, v10, v11 offset0:20 offset1:22
	s_waitcnt lgkmcnt(3)
	v_pk_mul_f32 v[10:11], v[2:3], v[14:15]
	ds_write2st64_b32 v9, v10, v11 offset0:24 offset1:26
	s_waitcnt lgkmcnt(2)
	v_pk_mul_f32 v[10:11], v[2:3], v[12:13]
	s_add_i32 s34, s34, 16
	v_cmp_eq_u32_e32 vcc, 0, v8
	ds_write2st64_b32 v9, v10, v11 offset0:28 offset1:30
	v_add_u32_e32 v9, 0x2000, v9
	s_or_b64 s[30:31], vcc, s[30:31]
	v_mov_b32_e32 v10, s34
	s_andn2_b64 exec, exec, s[30:31]
	s_cbranch_execnz .LBB18_35
; %bb.36:
	s_or_b64 exec, exec, s[30:31]
.LBB18_37:
	s_or_b64 exec, exec, s[8:9]
	v_and_b32_e32 v5, 7, v5
	v_cmp_ne_u32_e32 vcc, 0, v5
	s_and_saveexec_b64 s[8:9], vcc
	s_cbranch_execz .LBB18_40
; %bb.38:
	v_lshlrev_b32_e32 v8, 9, v10
	s_movk_i32 s30, 0x90
	v_add3_u32 v8, v8, v6, s30
	s_mov_b64 s[30:31], 0
.LBB18_39:                              ; =>This Inner Loop Header: Depth=1
	ds_read2st64_b32 v[10:11], v8 offset1:2
	v_add_u32_e32 v5, -1, v5
	v_cmp_eq_u32_e32 vcc, 0, v5
	s_or_b64 s[30:31], vcc, s[30:31]
	s_waitcnt lgkmcnt(0)
	v_pk_mul_f32 v[10:11], v[2:3], v[10:11]
	ds_write2st64_b32 v8, v10, v11 offset1:2
	v_add_u32_e32 v8, 0x400, v8
	s_andn2_b64 exec, exec, s[30:31]
	s_cbranch_execnz .LBB18_39
.LBB18_40:
	s_or_b64 exec, exec, s[8:9]
	v_add_u32_e32 v4, 1, v4
	v_and_b32_e32 v5, 0x3fffffe, v4
	v_cmp_ne_u32_e32 vcc, v4, v5
	v_lshl_add_u32 v3, v5, 7, v0
	s_orn2_b64 s[8:9], vcc, exec
.LBB18_41:
	s_or_b64 exec, exec, s[6:7]
	s_and_b64 exec, exec, s[8:9]
	s_cbranch_execz .LBB18_44
; %bb.42:
	v_mov_b32_e32 v4, 0x90
	v_lshl_add_u32 v4, v3, 2, v4
	s_mov_b64 s[6:7], 0
.LBB18_43:                              ; =>This Inner Loop Header: Depth=1
	ds_read_b32 v5, v4
	v_add_u32_e32 v3, 0x80, v3
	v_cmp_le_i32_e32 vcc, s15, v3
	s_or_b64 s[6:7], vcc, s[6:7]
	s_waitcnt lgkmcnt(0)
	v_mul_f32_e32 v5, v2, v5
	ds_write_b32 v4, v5
	v_add_u32_e32 v4, 0x200, v4
	s_andn2_b64 exec, exec, s[6:7]
	s_cbranch_execnz .LBB18_43
.LBB18_44:
	s_or_b64 exec, exec, s[0:1]
	v_mov_b32_e32 v15, 0
	v_mov_b32_e32 v14, 0
	s_waitcnt lgkmcnt(0)
	s_barrier
	s_and_saveexec_b64 s[6:7], s[2:3]
	s_cbranch_execz .LBB18_54
; %bb.45:
	s_ashr_i32 s15, s14, 31
	s_sub_i32 s17, s12, s17
	s_lshl_b64 s[0:1], s[14:15], 2
	s_add_u32 s0, s28, s0
	s_addc_u32 s1, s29, s1
	s_abs_i32 s14, s18
	v_cvt_f32_u32_e32 v2, s14
	v_lshlrev_b32_e32 v3, 4, v0
	s_sub_i32 s2, 0, s14
	v_mov_b32_e32 v15, 0
	v_rcp_iflag_f32_e32 v2, v2
	v_and_b32_e32 v14, 0x3f0, v3
	s_add_i32 s18, s41, -1
	v_lshl_add_u64 v[16:17], s[0:1], 0, v[14:15]
	v_mul_f32_e32 v2, 0x4f7ffffe, v2
	v_cvt_u32_f32_e32 v2, v2
	s_lshl_b64 s[0:1], s[26:27], 2
	s_add_u32 s0, s24, s0
	v_and_b32_e32 v14, 60, v7
	v_mul_lo_u32 v3, s2, v2
	v_mul_hi_u32 v3, v2, v3
	v_add_u32_e32 v28, v2, v3
	v_lshlrev_b32_e32 v2, 4, v21
	s_addc_u32 s1, s25, s1
	v_lshl_or_b32 v2, v22, 6, v2
	v_and_b32_e32 v27, 12, v6
	s_mov_b32 s15, s13
	v_lshl_add_u64 v[18:19], s[0:1], 0, v[14:15]
	v_add_u32_e32 v29, 0x90, v2
	s_mov_b64 s[2:3], 0
	v_mov_b32_e32 v14, v15
	s_branch .LBB18_48
.LBB18_46:                              ;   in Loop: Header=BB18_48 Depth=1
	s_or_b64 exec, exec, s[0:1]
	s_waitcnt vmcnt(1) lgkmcnt(0)
	v_mul_f32_e32 v7, v3, v7
	s_waitcnt vmcnt(0)
	v_mul_f32_e32 v3, v3, v11
	v_fmac_f32_e32 v7, v2, v6
	v_fmac_f32_e32 v3, v2, v10
	;; [unrolled: 1-line block ×6, first 2 shown]
	v_add_f32_e32 v14, v14, v7
	v_add_f32_e32 v15, v15, v3
.LBB18_47:                              ;   in Loop: Header=BB18_48 Depth=1
	s_or_b64 exec, exec, s[8:9]
	v_add_u32_e32 v22, 2, v22
	v_cmp_le_i32_e32 vcc, s41, v22
	v_lshl_add_u64 v[18:19], v[18:19], 0, 8
	v_add_u32_e32 v23, 32, v23
	s_or_b64 s[2:3], vcc, s[2:3]
	v_add_u32_e32 v29, 0x80, v29
	s_andn2_b64 exec, exec, s[2:3]
	s_cbranch_execz .LBB18_53
.LBB18_48:                              ; =>This Inner Loop Header: Depth=1
	v_mul_hi_u32 v2, v23, s33
	v_mul_lo_u32 v3, v2, s21
	v_sub_u32_e32 v3, v23, v3
	v_add_u32_e32 v4, 1, v2
	v_cmp_le_u32_e32 vcc, s21, v3
	s_nop 1
	v_cndmask_b32_e32 v2, v2, v4, vcc
	v_subrev_u32_e32 v4, s21, v3
	v_cndmask_b32_e32 v3, v3, v4, vcc
	v_add_u32_e32 v4, 1, v2
	v_cmp_le_u32_e32 vcc, s21, v3
	s_nop 1
	v_cndmask_b32_e32 v2, v2, v4, vcc
	v_xor_b32_e32 v2, s19, v2
	v_subrev_u32_e32 v2, s19, v2
	v_add_u32_e32 v3, s40, v2
	v_sub_u32_e32 v5, 0, v3
	v_ashrrev_i32_e32 v4, 31, v3
	v_max_i32_e32 v3, v3, v5
	v_mul_hi_u32 v5, v3, v28
	v_mul_lo_u32 v5, v5, s14
	v_sub_u32_e32 v3, v3, v5
	v_subrev_u32_e32 v5, s14, v3
	v_cmp_le_u32_e32 vcc, s14, v3
	v_cmp_lt_i32_e64 s[0:1], s17, v2
	s_nop 0
	v_cndmask_b32_e32 v3, v3, v5, vcc
	v_subrev_u32_e32 v5, s14, v3
	v_cmp_le_u32_e32 vcc, s14, v3
	s_nop 1
	v_cndmask_b32_e32 v3, v3, v5, vcc
	v_xor_b32_e32 v3, v3, v4
	v_sub_u32_e32 v3, v3, v4
	v_cmp_eq_u32_e32 vcc, 0, v3
	s_or_b64 s[0:1], vcc, s[0:1]
	s_and_saveexec_b64 s[8:9], s[0:1]
	s_cbranch_execz .LBB18_47
; %bb.49:                               ;   in Loop: Header=BB18_48 Depth=1
	global_load_dword v2, v[18:19], off
	v_add_u32_e32 v30, v27, v23
	v_cmp_eq_u32_e32 vcc, s18, v22
	v_add_u32_e32 v33, 1, v30
	v_add_u32_e32 v32, 2, v30
	;; [unrolled: 1-line block ×3, first 2 shown]
	s_waitcnt vmcnt(0)
	v_mad_i64_i32 v[2:3], s[0:1], v2, s15, 0
	v_lshl_add_u64 v[10:11], v[2:3], 2, v[16:17]
	global_load_dwordx4 v[6:9], v[10:11], off
	ds_read_b128 v[2:5], v29
	s_and_saveexec_b64 s[12:13], vcc
	s_cbranch_execz .LBB18_51
; %bb.50:                               ;   in Loop: Header=BB18_48 Depth=1
	v_cmp_gt_i32_e64 s[0:1], s11, v30
	s_waitcnt vmcnt(0)
	s_nop 0
	v_cndmask_b32_e64 v6, 0, v6, s[0:1]
	v_cmp_gt_i32_e64 s[0:1], s11, v33
	s_nop 1
	v_cndmask_b32_e64 v7, 0, v7, s[0:1]
	v_cmp_gt_i32_e64 s[0:1], s11, v32
	s_nop 1
	v_cndmask_b32_e64 v8, 0, v8, s[0:1]
	v_cmp_gt_i32_e64 s[0:1], s11, v31
	s_nop 1
	v_cndmask_b32_e64 v9, 0, v9, s[0:1]
.LBB18_51:                              ;   in Loop: Header=BB18_48 Depth=1
	s_or_b64 exec, exec, s[12:13]
	global_load_dwordx4 v[10:13], v[10:11], off offset:1024
	s_and_saveexec_b64 s[0:1], vcc
	s_cbranch_execz .LBB18_46
; %bb.52:                               ;   in Loop: Header=BB18_48 Depth=1
	v_cmp_gt_i32_e32 vcc, s11, v30
	s_waitcnt vmcnt(0)
	s_nop 0
	v_cndmask_b32_e32 v10, 0, v10, vcc
	v_cmp_gt_i32_e32 vcc, s11, v33
	s_nop 1
	v_cndmask_b32_e32 v11, 0, v11, vcc
	v_cmp_gt_i32_e32 vcc, s11, v32
	;; [unrolled: 3-line block ×3, first 2 shown]
	s_nop 1
	v_cndmask_b32_e32 v13, 0, v13, vcc
	s_branch .LBB18_46
.LBB18_53:
	s_or_b64 exec, exec, s[2:3]
.LBB18_54:
	s_or_b64 exec, exec, s[6:7]
	ds_bpermute_b32 v2, v26, v14
	ds_bpermute_b32 v3, v26, v15
	v_and_b32_e32 v4, 0x3c3, v0
	v_cmp_eq_u32_e32 vcc, 64, v4
	s_waitcnt lgkmcnt(0)
	s_barrier
	v_pk_add_f32 v[2:3], v[14:15], v[2:3]
	ds_bpermute_b32 v6, v25, v2
	ds_bpermute_b32 v7, v25, v3
	s_waitcnt lgkmcnt(0)
	v_pk_add_f32 v[2:3], v[2:3], v[6:7]
	s_and_saveexec_b64 s[0:1], vcc
	s_cbranch_execz .LBB18_56
; %bb.55:
	v_add_u32_e32 v6, 0x90, v24
	v_add_u32_e32 v5, 0x90, v0
	ds_write_b32 v6, v2
	ds_write_b32 v5, v3
.LBB18_56:
	s_or_b64 exec, exec, s[0:1]
	v_cmp_gt_u32_e32 vcc, 64, v0
	s_waitcnt lgkmcnt(0)
	s_barrier
	s_and_saveexec_b64 s[0:1], vcc
	s_cbranch_execz .LBB18_62
; %bb.57:
	v_cmp_eq_u32_e32 vcc, 0, v21
	s_and_saveexec_b64 s[2:3], vcc
	s_cbranch_execz .LBB18_59
; %bb.58:
	v_mov_b32_e32 v0, 0x90
	v_lshl_add_u32 v0, v20, 2, v0
	ds_read_b32 v0, v0
	s_waitcnt lgkmcnt(0)
	v_add_f32_e32 v2, v2, v0
.LBB18_59:
	s_or_b64 exec, exec, s[2:3]
	s_and_saveexec_b64 s[2:3], vcc
	s_cbranch_execz .LBB18_61
; %bb.60:
	v_mov_b32_e32 v0, 0x90
	v_lshl_add_u32 v0, v20, 2, v0
	ds_read_b32 v0, v0 offset:64
	s_waitcnt lgkmcnt(0)
	v_add_f32_e32 v3, v3, v0
.LBB18_61:
	s_or_b64 exec, exec, s[2:3]
.LBB18_62:
	s_or_b64 exec, exec, s[0:1]
	v_cmp_eq_u32_e32 vcc, 0, v4
	s_barrier
	s_and_saveexec_b64 s[0:1], vcc
	s_cbranch_execz .LBB18_64
; %bb.63:
	s_mul_i32 s0, s10, s16
	s_mul_i32 s0, s0, s5
	s_lshl_b32 s0, s0, 5
	s_ashr_i32 s1, s0, 31
	s_lshl_b64 s[0:1], s[0:1], 2
	s_add_u32 s2, s22, s0
	s_mul_i32 s0, s16, s20
	s_addc_u32 s3, s23, s1
	s_ashr_i32 s1, s0, 31
	s_lshl_b64 s[0:1], s[0:1], 2
	s_add_u32 s2, s2, s0
	s_addc_u32 s3, s3, s1
	s_lshl_b32 s0, s4, 5
	s_ashr_i32 s1, s0, 31
	s_lshl_b64 s[0:1], s[0:1], 2
	s_add_u32 s0, s2, s0
	s_addc_u32 s1, s3, s1
	global_store_dword v1, v2, s[0:1]
	global_store_dword v1, v3, s[0:1] offset:64
.LBB18_64:
	s_endpgm
	.section	.rodata,"a",@progbits
	.p2align	6, 0x0
	.amdhsa_kernel _ZN4vllm25paged_attention_v1_kernelIffLi32ELi16ELi128ELNS_18Fp8KVCacheDataTypeE0ELb1EEEvPT_PKS2_PKT0_S8_ifPKiSA_iPKfiiiSC_SC_iiiii
		.amdhsa_group_segment_fixed_size 144
		.amdhsa_private_segment_fixed_size 0
		.amdhsa_kernarg_size 384
		.amdhsa_user_sgpr_count 2
		.amdhsa_user_sgpr_dispatch_ptr 0
		.amdhsa_user_sgpr_queue_ptr 0
		.amdhsa_user_sgpr_kernarg_segment_ptr 1
		.amdhsa_user_sgpr_dispatch_id 0
		.amdhsa_user_sgpr_kernarg_preload_length 0
		.amdhsa_user_sgpr_kernarg_preload_offset 0
		.amdhsa_user_sgpr_private_segment_size 0
		.amdhsa_uses_dynamic_stack 0
		.amdhsa_enable_private_segment 0
		.amdhsa_system_sgpr_workgroup_id_x 1
		.amdhsa_system_sgpr_workgroup_id_y 1
		.amdhsa_system_sgpr_workgroup_id_z 1
		.amdhsa_system_sgpr_workgroup_info 0
		.amdhsa_system_vgpr_workitem_id 0
		.amdhsa_next_free_vgpr 43
		.amdhsa_next_free_sgpr 44
		.amdhsa_accum_offset 44
		.amdhsa_reserve_vcc 1
		.amdhsa_float_round_mode_32 0
		.amdhsa_float_round_mode_16_64 0
		.amdhsa_float_denorm_mode_32 3
		.amdhsa_float_denorm_mode_16_64 3
		.amdhsa_dx10_clamp 1
		.amdhsa_ieee_mode 1
		.amdhsa_fp16_overflow 0
		.amdhsa_tg_split 0
		.amdhsa_exception_fp_ieee_invalid_op 0
		.amdhsa_exception_fp_denorm_src 0
		.amdhsa_exception_fp_ieee_div_zero 0
		.amdhsa_exception_fp_ieee_overflow 0
		.amdhsa_exception_fp_ieee_underflow 0
		.amdhsa_exception_fp_ieee_inexact 0
		.amdhsa_exception_int_div_zero 0
	.end_amdhsa_kernel
	.section	.text._ZN4vllm25paged_attention_v1_kernelIffLi32ELi16ELi128ELNS_18Fp8KVCacheDataTypeE0ELb1EEEvPT_PKS2_PKT0_S8_ifPKiSA_iPKfiiiSC_SC_iiiii,"axG",@progbits,_ZN4vllm25paged_attention_v1_kernelIffLi32ELi16ELi128ELNS_18Fp8KVCacheDataTypeE0ELb1EEEvPT_PKS2_PKT0_S8_ifPKiSA_iPKfiiiSC_SC_iiiii,comdat
.Lfunc_end18:
	.size	_ZN4vllm25paged_attention_v1_kernelIffLi32ELi16ELi128ELNS_18Fp8KVCacheDataTypeE0ELb1EEEvPT_PKS2_PKT0_S8_ifPKiSA_iPKfiiiSC_SC_iiiii, .Lfunc_end18-_ZN4vllm25paged_attention_v1_kernelIffLi32ELi16ELi128ELNS_18Fp8KVCacheDataTypeE0ELb1EEEvPT_PKS2_PKT0_S8_ifPKiSA_iPKfiiiSC_SC_iiiii
                                        ; -- End function
	.section	.AMDGPU.csdata,"",@progbits
; Kernel info:
; codeLenInByte = 4000
; NumSgprs: 50
; NumVgprs: 43
; NumAgprs: 0
; TotalNumVgprs: 43
; ScratchSize: 0
; MemoryBound: 0
; FloatMode: 240
; IeeeMode: 1
; LDSByteSize: 144 bytes/workgroup (compile time only)
; SGPRBlocks: 6
; VGPRBlocks: 5
; NumSGPRsForWavesPerEU: 50
; NumVGPRsForWavesPerEU: 43
; AccumOffset: 44
; Occupancy: 8
; WaveLimiterHint : 1
; COMPUTE_PGM_RSRC2:SCRATCH_EN: 0
; COMPUTE_PGM_RSRC2:USER_SGPR: 2
; COMPUTE_PGM_RSRC2:TRAP_HANDLER: 0
; COMPUTE_PGM_RSRC2:TGID_X_EN: 1
; COMPUTE_PGM_RSRC2:TGID_Y_EN: 1
; COMPUTE_PGM_RSRC2:TGID_Z_EN: 1
; COMPUTE_PGM_RSRC2:TIDIG_COMP_CNT: 0
; COMPUTE_PGM_RSRC3_GFX90A:ACCUM_OFFSET: 10
; COMPUTE_PGM_RSRC3_GFX90A:TG_SPLIT: 0
	.section	.text._ZN4vllm25paged_attention_v1_kernelIffLi64ELi16ELi128ELNS_18Fp8KVCacheDataTypeE0ELb1EEEvPT_PKS2_PKT0_S8_ifPKiSA_iPKfiiiSC_SC_iiiii,"axG",@progbits,_ZN4vllm25paged_attention_v1_kernelIffLi64ELi16ELi128ELNS_18Fp8KVCacheDataTypeE0ELb1EEEvPT_PKS2_PKT0_S8_ifPKiSA_iPKfiiiSC_SC_iiiii,comdat
	.protected	_ZN4vllm25paged_attention_v1_kernelIffLi64ELi16ELi128ELNS_18Fp8KVCacheDataTypeE0ELb1EEEvPT_PKS2_PKT0_S8_ifPKiSA_iPKfiiiSC_SC_iiiii ; -- Begin function _ZN4vllm25paged_attention_v1_kernelIffLi64ELi16ELi128ELNS_18Fp8KVCacheDataTypeE0ELb1EEEvPT_PKS2_PKT0_S8_ifPKiSA_iPKfiiiSC_SC_iiiii
	.globl	_ZN4vllm25paged_attention_v1_kernelIffLi64ELi16ELi128ELNS_18Fp8KVCacheDataTypeE0ELb1EEEvPT_PKS2_PKT0_S8_ifPKiSA_iPKfiiiSC_SC_iiiii
	.p2align	8
	.type	_ZN4vllm25paged_attention_v1_kernelIffLi64ELi16ELi128ELNS_18Fp8KVCacheDataTypeE0ELb1EEEvPT_PKS2_PKT0_S8_ifPKiSA_iPKfiiiSC_SC_iiiii,@function
_ZN4vllm25paged_attention_v1_kernelIffLi64ELi16ELi128ELNS_18Fp8KVCacheDataTypeE0ELb1EEEvPT_PKS2_PKT0_S8_ifPKiSA_iPKfiiiSC_SC_iiiii: ; @_ZN4vllm25paged_attention_v1_kernelIffLi64ELi16ELi128ELNS_18Fp8KVCacheDataTypeE0ELb1EEEvPT_PKS2_PKT0_S8_ifPKiSA_iPKfiiiSC_SC_iiiii
; %bb.0:
	s_load_dword s5, s[0:1], 0x80
	s_load_dwordx2 s[6:7], s[0:1], 0x30
	s_load_dwordx2 s[34:35], s[0:1], 0x20
	s_mov_b32 s20, s3
	s_ashr_i32 s21, s3, 31
	s_lshl_b64 s[8:9], s[20:21], 2
	s_waitcnt lgkmcnt(0)
	s_add_u32 s6, s6, s8
	s_addc_u32 s7, s7, s9
	s_abs_i32 s3, s34
	v_cvt_f32_u32_e32 v1, s3
	s_sub_i32 s10, 0, s3
	s_abs_i32 s9, s5
	s_xor_b32 s8, s5, s34
	v_rcp_iflag_f32_e32 v1, v1
	s_ashr_i32 s8, s8, 31
	s_mov_b32 s44, 0
	v_mul_f32_e32 v1, 0x4f7ffffe, v1
	v_cvt_u32_f32_e32 v1, v1
	s_nop 0
	v_readfirstlane_b32 s11, v1
	s_mul_i32 s10, s10, s11
	s_mul_hi_u32 s10, s11, s10
	s_add_i32 s11, s11, s10
	s_mul_hi_u32 s10, s9, s11
	s_mul_i32 s11, s10, s3
	s_sub_i32 s9, s9, s11
	s_add_i32 s11, s10, 1
	s_sub_i32 s12, s9, s3
	s_cmp_ge_u32 s9, s3
	s_cselect_b32 s10, s11, s10
	s_cselect_b32 s9, s12, s9
	s_add_i32 s11, s10, 1
	s_cmp_ge_u32 s9, s3
	s_cselect_b32 s3, s11, s10
	s_xor_b32 s3, s3, s8
	s_sub_i32 s12, s3, s8
	s_abs_i32 s10, s12
	v_cvt_f32_u32_e32 v1, s10
	s_load_dwordx2 s[8:9], s[0:1], 0x40
	s_sub_i32 s3, 0, s10
	s_abs_i32 s11, s2
	v_rcp_iflag_f32_e32 v1, v1
	s_nop 0
	v_mul_f32_e32 v1, 0x4f7ffffe, v1
	v_cvt_u32_f32_e32 v1, v1
	s_nop 0
	v_readfirstlane_b32 s13, v1
	s_mul_i32 s3, s3, s13
	s_mul_hi_u32 s3, s13, s3
	s_add_i32 s13, s13, s3
	s_waitcnt lgkmcnt(0)
	s_cmp_eq_u64 s[8:9], 0
	s_mul_hi_u32 s24, s11, s13
	s_cbranch_scc1 .LBB19_2
; %bb.1:
	s_ashr_i32 s3, s2, 31
	s_lshl_b64 s[14:15], s[2:3], 2
	s_add_u32 s8, s8, s14
	s_addc_u32 s9, s9, s15
	s_load_dword s44, s[8:9], 0x0
.LBB19_2:
	s_load_dword s21, s[6:7], 0x0
	s_ashr_i32 s26, s12, 31
	s_load_dwordx4 s[12:15], s[0:1], 0x48
	v_lshrrev_b32_e32 v30, 2, v0
	s_ashr_i32 s25, s2, 31
	v_and_b32_e32 v31, 3, v0
	s_lshl_b32 s22, s2, 6
	v_cmp_gt_u32_e64 s[8:9], 64, v0
	v_lshlrev_b32_e32 v6, 2, v0
	v_lshlrev_b32_e32 v1, 2, v30
	s_and_saveexec_b64 s[6:7], s[8:9]
	s_cbranch_execz .LBB19_4
; %bb.3:
	s_load_dwordx2 s[16:17], s[0:1], 0x8
	s_waitcnt lgkmcnt(0)
	s_mul_i32 s18, s20, s12
	s_ashr_i32 s19, s18, 31
	s_lshl_b64 s[18:19], s[18:19], 2
	v_lshl_add_u32 v3, v31, 6, v1
	s_add_u32 s3, s16, s18
	s_addc_u32 s12, s17, s19
	s_ashr_i32 s23, s22, 31
	s_lshl_b64 s[16:17], s[22:23], 2
	s_add_u32 s16, s3, s16
	s_addc_u32 s17, s12, s17
	global_load_dword v2, v6, s[16:17]
	s_waitcnt vmcnt(0)
	ds_write_b32 v3, v2
.LBB19_4:
	s_or_b64 exec, exec, s[6:7]
	s_mul_i32 s7, s24, s10
	s_sub_i32 s7, s11, s7
	s_xor_b32 s6, s25, s26
	s_add_i32 s11, s24, 1
	s_waitcnt lgkmcnt(0)
	s_sub_i32 s12, s7, s10
	s_load_dwordx4 s[16:19], s[0:1], 0x68
	s_load_dword s3, s[0:1], 0x78
	s_cmp_ge_u32 s7, s10
	s_cselect_b32 s11, s11, s24
	s_cselect_b32 s7, s12, s7
	s_add_i32 s12, s11, 1
	s_cmp_ge_u32 s7, s10
	s_cselect_b32 s7, s12, s11
	s_waitcnt lgkmcnt(0)
	s_abs_i32 s23, s19
	v_cvt_f32_u32_e32 v2, s23
	s_xor_b32 s7, s7, s6
	s_sub_i32 s10, s7, s6
	s_sub_i32 s6, 0, s23
	v_rcp_iflag_f32_e32 v2, v2
	s_add_i32 s15, s21, -1
	s_abs_i32 s11, s15
	v_mul_f32_e32 v2, 0x4f7ffffe, v2
	v_cvt_u32_f32_e32 v2, v2
	s_barrier
	v_readfirstlane_b32 s33, v2
	s_mul_i32 s6, s6, s33
	s_mul_hi_u32 s6, s33, s6
	s_add_i32 s33, s33, s6
	s_cmp_lt_i32 s3, 0
	s_mul_hi_u32 s12, s11, s33
	s_cbranch_scc0 .LBB19_6
; %bb.5:
	s_mul_i32 s6, s16, s34
	s_add_i32 s6, s10, s6
	s_mul_i32 s6, s6, s3
	s_sub_i32 s42, 1, s6
	s_mov_b64 s[6:7], 0
	s_branch .LBB19_7
.LBB19_6:
	s_mov_b64 s[6:7], -1
                                        ; implicit-def: $sgpr42
.LBB19_7:
	s_load_dwordx2 s[26:27], s[0:1], 0x28
	s_ashr_i32 s15, s15, 31
	s_andn2_b64 vcc, exec, s[6:7]
	s_ashr_i32 s19, s19, 31
	s_cbranch_vccnz .LBB19_9
; %bb.8:
	s_mul_i32 s6, s5, s16
	s_add_i32 s2, s6, s2
	s_mul_i32 s2, s2, s3
	s_add_i32 s42, s2, 1
.LBB19_9:
	s_load_dword s2, s[0:1], 0x38
	s_load_dwordx2 s[24:25], s[0:1], 0x0
	s_load_dwordx2 s[30:31], s[0:1], 0x18
	s_load_dword s16, s[0:1], 0x88
	s_xor_b32 s3, s15, s19
	s_waitcnt lgkmcnt(0)
	s_mul_i32 s28, s20, s2
	s_mul_i32 s2, s12, s23
	s_sub_i32 s2, s11, s2
	s_ashr_i32 s29, s28, 31
	s_add_i32 s6, s12, 1
	s_sub_i32 s7, s2, s23
	s_cmp_ge_u32 s2, s23
	s_cselect_b32 s6, s6, s12
	s_cselect_b32 s2, s7, s2
	s_add_i32 s7, s6, 1
	s_cmp_ge_u32 s2, s23
	s_cselect_b32 s2, s7, s6
	s_xor_b32 s2, s2, s3
	s_sub_i32 s12, s2, s3
	s_add_i32 s2, s21, 15
	s_ashr_i32 s3, s2, 31
	s_lshr_b32 s3, s3, 28
	s_add_i32 s2, s2, s3
	s_ashr_i32 s43, s2, 4
	v_lshrrev_b32_e32 v32, 6, v0
	v_cmp_gt_i32_e64 s[2:3], s43, v32
	v_mov_b32_e32 v11, 0xff7fffff
	s_mul_i32 s14, s10, s14
	v_lshrrev_b32_e32 v7, 4, v0
	v_lshlrev_b32_e32 v33, 4, v32
	v_mbcnt_lo_u32_b32 v8, -1, 0
	s_and_saveexec_b64 s[36:37], s[2:3]
	s_cbranch_execz .LBB19_19
; %bb.10:
	s_load_dwordx2 s[0:1], s[0:1], 0x10
	s_ashr_i32 s15, s14, 31
	s_sub_i32 s34, s12, s17
	s_lshl_b64 s[6:7], s[14:15], 2
	v_bfe_u32 v9, v0, 2, 4
	s_waitcnt lgkmcnt(0)
	s_add_u32 s0, s0, s6
	s_addc_u32 s1, s1, s7
	s_abs_i32 s15, s18
	v_cvt_f32_u32_e32 v2, s15
	v_lshlrev_b32_e32 v4, 4, v9
	v_mov_b32_e32 v5, 0
	v_lshlrev_b32_e32 v11, 2, v9
	v_rcp_iflag_f32_e32 v10, v2
	v_lshl_add_u64 v[2:3], s[0:1], 0, v[4:5]
	v_lshlrev_b32_e32 v4, 2, v31
	v_lshl_add_u64 v[2:3], v[2:3], 0, v[4:5]
	v_mul_f32_e32 v4, 0x4f7ffffe, v10
	v_cvt_u32_f32_e32 v4, v4
	s_sub_i32 s6, 0, s15
	v_lshl_or_b32 v11, v32, 6, v11
	v_add_u32_e32 v14, 0x110, v11
	v_mul_lo_u32 v12, s6, v4
	s_lshl_b64 s[6:7], s[28:29], 2
	v_mul_hi_u32 v12, v4, v12
	s_add_u32 s6, s26, s6
	v_subrev_u32_e32 v11, s21, v9
	v_mbcnt_hi_u32_b32 v17, -1, v8
	v_add_u32_e32 v12, v4, v12
	v_and_b32_e32 v4, 60, v7
	s_addc_u32 s7, s27, s7
	v_add_u32_e32 v15, 1, v11
	v_and_b32_e32 v11, 64, v17
	v_cmp_eq_u32_e32 vcc, 0, v31
	s_mov_b32 s45, s13
	v_lshlrev_b32_e32 v10, 6, v31
	v_cmp_neq_f32_e64 s[0:1], s44, 0
	v_lshl_add_u64 v[4:5], s[6:7], 0, v[4:5]
	v_lshlrev_b32_e32 v13, 4, v32
	s_mov_b64 s[38:39], 0
	v_mov_b32_e32 v16, 0xff7fffff
	v_add_u32_e32 v18, 64, v11
	v_xor_b32_e32 v19, 2, v17
	v_xor_b32_e32 v20, 1, v17
	v_mov_b32_e32 v11, 0xff7fffff
	v_mov_b32_e32 v21, v32
	s_branch .LBB19_13
.LBB19_11:                              ;   in Loop: Header=BB19_13 Depth=1
	s_or_b64 exec, exec, s[40:41]
.LBB19_12:                              ;   in Loop: Header=BB19_13 Depth=1
	s_or_b64 exec, exec, s[10:11]
	v_add_u32_e32 v21, 2, v21
	v_cmp_le_i32_e64 s[6:7], s43, v21
	v_lshl_add_u64 v[4:5], v[4:5], 0, 8
	v_add_u32_e32 v13, 32, v13
	s_or_b64 s[38:39], s[6:7], s[38:39]
	v_add_u32_e32 v14, 0x80, v14
	s_andn2_b64 exec, exec, s[38:39]
	s_cbranch_execz .LBB19_18
.LBB19_13:                              ; =>This Inner Loop Header: Depth=1
	v_mul_hi_u32 v22, v13, s33
	s_waitcnt lgkmcnt(0)
	v_mul_lo_u32 v23, v22, s23
	v_sub_u32_e32 v23, v13, v23
	v_add_u32_e32 v24, 1, v22
	v_cmp_le_u32_e64 s[6:7], s23, v23
	s_nop 1
	v_cndmask_b32_e64 v22, v22, v24, s[6:7]
	v_subrev_u32_e32 v24, s23, v23
	v_cndmask_b32_e64 v23, v23, v24, s[6:7]
	v_add_u32_e32 v24, 1, v22
	v_cmp_le_u32_e64 s[6:7], s23, v23
	s_nop 1
	v_cndmask_b32_e64 v22, v22, v24, s[6:7]
	v_xor_b32_e32 v22, s19, v22
	v_subrev_u32_e32 v22, s19, v22
	v_add_u32_e32 v23, s42, v22
	v_sub_u32_e32 v25, 0, v23
	v_ashrrev_i32_e32 v24, 31, v23
	v_max_i32_e32 v23, v23, v25
	v_mul_hi_u32 v25, v23, v12
	v_mul_lo_u32 v25, v25, s15
	v_sub_u32_e32 v23, v23, v25
	v_subrev_u32_e32 v25, s15, v23
	v_cmp_le_u32_e64 s[6:7], s15, v23
	v_cmp_ge_i32_e64 s[10:11], s34, v22
	s_nop 0
	v_cndmask_b32_e64 v23, v23, v25, s[6:7]
	v_subrev_u32_e32 v25, s15, v23
	v_cmp_le_u32_e64 s[6:7], s15, v23
	s_nop 1
	v_cndmask_b32_e64 v23, v23, v25, s[6:7]
	v_xor_b32_e32 v23, v23, v24
	v_sub_u32_e32 v23, v23, v24
	v_cmp_ne_u32_e64 s[6:7], 0, v23
	s_and_b64 s[6:7], s[6:7], s[10:11]
	s_and_b64 s[40:41], vcc, s[6:7]
	s_and_saveexec_b64 s[10:11], s[40:41]
	s_cbranch_execz .LBB19_15
; %bb.14:                               ;   in Loop: Header=BB19_13 Depth=1
	ds_write_b32 v14, v16
.LBB19_15:                              ;   in Loop: Header=BB19_13 Depth=1
	s_or_b64 exec, exec, s[10:11]
	s_xor_b64 s[6:7], s[6:7], -1
	s_and_saveexec_b64 s[10:11], s[6:7]
	s_cbranch_execz .LBB19_12
; %bb.16:                               ;   in Loop: Header=BB19_13 Depth=1
	global_load_dword v22, v[4:5], off
	s_waitcnt vmcnt(0)
	v_mad_i64_i32 v[22:23], s[6:7], v22, s45, 0
	v_lshl_add_u64 v[22:23], v[22:23], 2, v[2:3]
	global_load_dword v42, v[22:23], off offset:256
	global_load_dword v43, v[22:23], off
	global_load_dword v44, v[22:23], off offset:512
	global_load_dword v45, v[22:23], off offset:768
	;; [unrolled: 1-line block ×14, first 2 shown]
	ds_read_b128 v[22:25], v10
	ds_read_b128 v[26:29], v10 offset:16
	ds_read_b128 v[34:37], v10 offset:32
	;; [unrolled: 1-line block ×3, first 2 shown]
	v_cmp_lt_i32_e64 s[6:7], v19, v18
	s_waitcnt vmcnt(15) lgkmcnt(3)
	v_mul_f32_e32 v23, v23, v42
	s_waitcnt vmcnt(14)
	v_fmac_f32_e32 v23, v22, v43
	s_waitcnt vmcnt(13)
	v_fmac_f32_e32 v23, v24, v44
	s_waitcnt vmcnt(12)
	v_fmac_f32_e32 v23, v25, v45
	s_waitcnt vmcnt(11) lgkmcnt(2)
	v_fmac_f32_e32 v23, v26, v46
	s_waitcnt vmcnt(10)
	v_fmac_f32_e32 v23, v27, v47
	s_waitcnt vmcnt(9)
	v_fmac_f32_e32 v23, v28, v48
	s_waitcnt vmcnt(8)
	v_fmac_f32_e32 v23, v29, v49
	s_waitcnt vmcnt(7) lgkmcnt(1)
	v_fmac_f32_e32 v23, v34, v50
	;; [unrolled: 8-line block ×3, first 2 shown]
	s_waitcnt vmcnt(2)
	v_fmac_f32_e32 v23, v39, v55
	v_cndmask_b32_e64 v58, v17, v19, s[6:7]
	s_waitcnt vmcnt(1)
	v_fmac_f32_e32 v23, v40, v56
	v_lshlrev_b32_e32 v58, 2, v58
	s_waitcnt vmcnt(0)
	v_fmac_f32_e32 v23, v41, v57
	ds_bpermute_b32 v22, v58, v23
	v_cmp_lt_i32_e64 s[6:7], v20, v18
	s_waitcnt lgkmcnt(0)
	v_add_f32_e32 v22, v23, v22
	v_cndmask_b32_e64 v24, v17, v20, s[6:7]
	v_lshlrev_b32_e32 v24, 2, v24
	ds_bpermute_b32 v23, v24, v22
	s_and_saveexec_b64 s[40:41], vcc
	s_cbranch_execz .LBB19_11
; %bb.17:                               ;   in Loop: Header=BB19_13 Depth=1
	v_add_u32_e32 v24, v15, v13
	v_cvt_f32_i32_e32 v24, v24
	s_waitcnt lgkmcnt(0)
	v_add_f32_e32 v22, v22, v23
	v_add_u32_e32 v25, v9, v13
	v_cmp_gt_i32_e64 s[6:7], s21, v25
	v_mul_f32_e32 v23, s44, v24
	v_cndmask_b32_e64 v23, 0, v23, s[0:1]
	v_fmac_f32_e32 v23, s35, v22
	v_cndmask_b32_e64 v22, 0, v23, s[6:7]
	ds_write_b32 v14, v22
	v_max_f32_e32 v22, v11, v11
	v_max_f32_e32 v22, v22, v23
	v_cndmask_b32_e64 v11, v11, v22, s[6:7]
	s_branch .LBB19_11
.LBB19_18:
	s_or_b64 exec, exec, s[38:39]
.LBB19_19:
	s_or_b64 exec, exec, s[36:37]
	v_mbcnt_hi_u32_b32 v2, -1, v8
	v_and_b32_e32 v3, 64, v2
	v_add_u32_e32 v3, 64, v3
	v_xor_b32_e32 v4, 32, v2
	v_cmp_lt_i32_e32 vcc, v4, v3
	v_xor_b32_e32 v9, 16, v2
	v_max_f32_e32 v8, v11, v11
	v_cndmask_b32_e32 v4, v2, v4, vcc
	v_lshlrev_b32_e32 v4, 2, v4
	ds_bpermute_b32 v5, v4, v11
	v_cmp_lt_i32_e32 vcc, v9, v3
	v_xor_b32_e32 v10, 8, v2
	v_xor_b32_e32 v11, 4, v2
	v_and_b32_e32 v34, 63, v0
	s_waitcnt lgkmcnt(0)
	v_max_f32_e32 v5, v5, v5
	v_max_f32_e32 v8, v8, v5
	v_cndmask_b32_e32 v5, v2, v9, vcc
	v_lshlrev_b32_e32 v5, 2, v5
	ds_bpermute_b32 v9, v5, v8
	v_cmp_lt_i32_e32 vcc, v10, v3
	s_waitcnt lgkmcnt(0)
	v_max_f32_e32 v9, v9, v9
	v_max_f32_e32 v8, v8, v9
	v_cndmask_b32_e32 v9, v2, v10, vcc
	v_lshlrev_b32_e32 v10, 2, v9
	ds_bpermute_b32 v9, v10, v8
	v_cmp_lt_i32_e32 vcc, v11, v3
	s_waitcnt lgkmcnt(0)
	v_max_f32_e32 v9, v9, v9
	v_max_f32_e32 v9, v8, v9
	v_cndmask_b32_e32 v8, v2, v11, vcc
	v_lshlrev_b32_e32 v11, 2, v8
	ds_bpermute_b32 v12, v11, v9
	v_cmp_eq_u32_e32 vcc, 0, v34
	v_lshlrev_b32_e32 v8, 2, v32
	s_and_saveexec_b64 s[0:1], vcc
	s_cbranch_execz .LBB19_21
; %bb.20:
	s_waitcnt lgkmcnt(0)
	v_max_f32_e32 v12, v12, v12
	v_max_f32_e32 v9, v9, v9
	;; [unrolled: 1-line block ×3, first 2 shown]
	ds_write_b32 v8, v9 offset:256
.LBB19_21:
	s_or_b64 exec, exec, s[0:1]
	v_cmp_gt_u32_e64 s[0:1], 2, v34
	s_waitcnt lgkmcnt(0)
	v_mov_b32_e32 v12, 0xff7fffff
	v_lshlrev_b32_e32 v9, 2, v34
	s_barrier
	s_and_saveexec_b64 s[6:7], s[0:1]
	s_cbranch_execz .LBB19_23
; %bb.22:
	ds_read_b32 v12, v9 offset:256
.LBB19_23:
	s_or_b64 exec, exec, s[6:7]
	v_xor_b32_e32 v13, 1, v2
	v_cmp_lt_i32_e64 s[6:7], v13, v3
	v_lshlrev_b32_e32 v14, 2, v2
	s_nop 0
	v_cndmask_b32_e64 v13, v2, v13, s[6:7]
	v_lshlrev_b32_e32 v35, 2, v13
	s_waitcnt lgkmcnt(0)
	ds_bpermute_b32 v13, v35, v12
	v_max_f32_e32 v12, v12, v12
	s_lshl_b32 s6, s43, 4
	s_min_i32 s15, s6, s21
	v_cmp_gt_i32_e64 s[6:7], s15, v0
	s_waitcnt lgkmcnt(0)
	v_max_f32_e32 v13, v13, v13
	v_max_f32_e32 v13, v12, v13
	v_and_b32_e32 v12, 0x100, v14
	ds_bpermute_b32 v14, v12, v13
	v_mov_b32_e32 v13, 0
	s_and_saveexec_b64 s[34:35], s[6:7]
	s_cbranch_execz .LBB19_27
; %bb.24:
	v_mov_b32_e32 v13, 0x110
	v_lshl_add_u32 v15, v0, 2, v13
	s_mov_b64 s[36:37], 0
	v_mov_b32_e32 v13, 0
	v_mov_b32_e32 v16, v0
.LBB19_25:                              ; =>This Inner Loop Header: Depth=1
	ds_read_b32 v17, v15
	v_add_u32_e32 v16, 0x80, v16
	v_cmp_le_i32_e64 s[10:11], s15, v16
	s_or_b64 s[36:37], s[10:11], s[36:37]
	s_waitcnt lgkmcnt(0)
	v_sub_f32_e32 v17, v17, v14
	v_mul_f32_e32 v17, 0x3fb8aa3b, v17
	v_exp_f32_e32 v17, v17
	ds_write_b32 v15, v17
	v_add_f32_e32 v13, v13, v17
	v_add_u32_e32 v15, 0x200, v15
	s_andn2_b64 exec, exec, s[36:37]
	s_cbranch_execnz .LBB19_25
; %bb.26:
	s_or_b64 exec, exec, s[36:37]
.LBB19_27:
	s_or_b64 exec, exec, s[34:35]
	ds_bpermute_b32 v4, v4, v13
	s_waitcnt lgkmcnt(0)
	v_add_f32_e32 v4, v13, v4
	ds_bpermute_b32 v5, v5, v4
	s_waitcnt lgkmcnt(0)
	v_add_f32_e32 v4, v4, v5
	ds_bpermute_b32 v5, v10, v4
	v_xor_b32_e32 v10, 2, v2
	v_cmp_lt_i32_e64 s[10:11], v10, v3
	s_waitcnt lgkmcnt(0)
	v_add_f32_e32 v4, v4, v5
	ds_bpermute_b32 v5, v11, v4
	v_cndmask_b32_e64 v2, v2, v10, s[10:11]
	v_lshlrev_b32_e32 v36, 2, v2
	s_waitcnt lgkmcnt(0)
	v_add_f32_e32 v3, v4, v5
	ds_bpermute_b32 v2, v36, v3
	s_waitcnt lgkmcnt(0)
	v_add_f32_e32 v2, v3, v2
	ds_bpermute_b32 v3, v35, v2
	s_waitcnt lgkmcnt(0)
	v_add_f32_e32 v2, v2, v3
	s_and_saveexec_b64 s[10:11], vcc
	s_cbranch_execz .LBB19_29
; %bb.28:
	ds_write_b32 v8, v2 offset:264
.LBB19_29:
	s_or_b64 exec, exec, s[10:11]
	s_waitcnt lgkmcnt(0)
	s_barrier
	s_and_saveexec_b64 s[10:11], s[0:1]
	s_cbranch_execz .LBB19_31
; %bb.30:
	ds_read_b32 v2, v9 offset:264
.LBB19_31:
	s_or_b64 exec, exec, s[10:11]
	s_waitcnt lgkmcnt(0)
	ds_bpermute_b32 v3, v35, v2
	s_waitcnt lgkmcnt(0)
	v_add_f32_e32 v2, v2, v3
	ds_bpermute_b32 v2, v12, v2
	s_and_saveexec_b64 s[0:1], s[6:7]
	s_cbranch_execz .LBB19_44
; %bb.32:
	s_waitcnt lgkmcnt(0)
	v_add_f32_e32 v2, 0x358637bd, v2
	v_div_scale_f32 v3, s[6:7], v2, v2, 1.0
	v_rcp_f32_e32 v4, v3
	v_div_scale_f32 v5, vcc, 1.0, v2, 1.0
	s_movk_i32 s6, 0x7f
	v_fma_f32 v8, -v3, v4, 1.0
	v_fmac_f32_e32 v4, v8, v4
	v_mul_f32_e32 v8, v5, v4
	v_fma_f32 v9, -v3, v8, v5
	v_fmac_f32_e32 v8, v9, v4
	v_fma_f32 v3, -v3, v8, v5
	v_div_fmas_f32 v3, v3, v4, v8
	v_xad_u32 v4, v0, -1, s15
	v_div_fixup_f32 v2, v3, v2, 1.0
	v_cmp_lt_u32_e32 vcc, s6, v4
	s_mov_b64 s[10:11], -1
	v_mov_b32_e32 v3, v0
	s_and_saveexec_b64 s[6:7], vcc
	s_cbranch_execz .LBB19_41
; %bb.33:
	v_lshrrev_b32_e32 v4, 7, v4
	v_add_u32_e32 v8, -1, v4
	v_lshrrev_b32_e32 v5, 1, v8
	v_mov_b32_e32 v3, v2
	v_add_u32_e32 v5, 1, v5
	v_cmp_lt_u32_e32 vcc, 13, v8
	v_mov_b32_e32 v10, 0
	s_and_saveexec_b64 s[10:11], vcc
	s_cbranch_execz .LBB19_37
; %bb.34:
	v_mov_b32_e32 v9, 0x110
	v_and_b32_e32 v8, -8, v5
	v_lshl_add_u32 v9, v0, 2, v9
	s_mov_b32 s36, 0
	s_mov_b64 s[34:35], 0
.LBB19_35:                              ; =>This Inner Loop Header: Depth=1
	ds_read2st64_b32 v[10:11], v9 offset1:2
	ds_read2st64_b32 v[12:13], v9 offset0:4 offset1:6
	ds_read2st64_b32 v[14:15], v9 offset0:8 offset1:10
	;; [unrolled: 1-line block ×3, first 2 shown]
	v_add_u32_e32 v8, -8, v8
	s_waitcnt lgkmcnt(3)
	v_pk_mul_f32 v[10:11], v[2:3], v[10:11]
	s_waitcnt lgkmcnt(2)
	v_pk_mul_f32 v[12:13], v[2:3], v[12:13]
	ds_write2st64_b32 v9, v10, v11 offset1:2
	ds_write2st64_b32 v9, v12, v13 offset0:4 offset1:6
	ds_read2st64_b32 v[12:13], v9 offset0:16 offset1:18
	s_waitcnt lgkmcnt(4)
	v_pk_mul_f32 v[10:11], v[2:3], v[14:15]
	ds_write2st64_b32 v9, v10, v11 offset0:8 offset1:10
	s_waitcnt lgkmcnt(4)
	v_pk_mul_f32 v[10:11], v[2:3], v[16:17]
	ds_write2st64_b32 v9, v10, v11 offset0:12 offset1:14
	ds_read2st64_b32 v[10:11], v9 offset0:20 offset1:22
	s_waitcnt lgkmcnt(3)
	v_pk_mul_f32 v[12:13], v[2:3], v[12:13]
	ds_read2st64_b32 v[14:15], v9 offset0:24 offset1:26
	ds_write2st64_b32 v9, v12, v13 offset0:16 offset1:18
	ds_read2st64_b32 v[12:13], v9 offset0:28 offset1:30
	s_waitcnt lgkmcnt(3)
	v_pk_mul_f32 v[10:11], v[2:3], v[10:11]
	ds_write2st64_b32 v9, v10, v11 offset0:20 offset1:22
	s_waitcnt lgkmcnt(3)
	v_pk_mul_f32 v[10:11], v[2:3], v[14:15]
	ds_write2st64_b32 v9, v10, v11 offset0:24 offset1:26
	s_waitcnt lgkmcnt(2)
	v_pk_mul_f32 v[10:11], v[2:3], v[12:13]
	s_add_i32 s36, s36, 16
	v_cmp_eq_u32_e32 vcc, 0, v8
	ds_write2st64_b32 v9, v10, v11 offset0:28 offset1:30
	v_add_u32_e32 v9, 0x2000, v9
	s_or_b64 s[34:35], vcc, s[34:35]
	v_mov_b32_e32 v10, s36
	s_andn2_b64 exec, exec, s[34:35]
	s_cbranch_execnz .LBB19_35
; %bb.36:
	s_or_b64 exec, exec, s[34:35]
.LBB19_37:
	s_or_b64 exec, exec, s[10:11]
	v_and_b32_e32 v5, 7, v5
	v_cmp_ne_u32_e32 vcc, 0, v5
	s_and_saveexec_b64 s[10:11], vcc
	s_cbranch_execz .LBB19_40
; %bb.38:
	v_lshlrev_b32_e32 v8, 9, v10
	s_movk_i32 s34, 0x110
	v_add3_u32 v8, v8, v6, s34
	s_mov_b64 s[34:35], 0
.LBB19_39:                              ; =>This Inner Loop Header: Depth=1
	ds_read2st64_b32 v[10:11], v8 offset1:2
	v_add_u32_e32 v5, -1, v5
	v_cmp_eq_u32_e32 vcc, 0, v5
	s_or_b64 s[34:35], vcc, s[34:35]
	s_waitcnt lgkmcnt(0)
	v_pk_mul_f32 v[10:11], v[2:3], v[10:11]
	ds_write2st64_b32 v8, v10, v11 offset1:2
	v_add_u32_e32 v8, 0x400, v8
	s_andn2_b64 exec, exec, s[34:35]
	s_cbranch_execnz .LBB19_39
.LBB19_40:
	s_or_b64 exec, exec, s[10:11]
	v_add_u32_e32 v4, 1, v4
	v_and_b32_e32 v5, 0x3fffffe, v4
	v_cmp_ne_u32_e32 vcc, v4, v5
	v_lshl_add_u32 v3, v5, 7, v0
	s_orn2_b64 s[10:11], vcc, exec
.LBB19_41:
	s_or_b64 exec, exec, s[6:7]
	s_and_b64 exec, exec, s[10:11]
	s_cbranch_execz .LBB19_44
; %bb.42:
	v_mov_b32_e32 v4, 0x110
	v_lshl_add_u32 v4, v3, 2, v4
	s_mov_b64 s[6:7], 0
.LBB19_43:                              ; =>This Inner Loop Header: Depth=1
	ds_read_b32 v5, v4
	v_add_u32_e32 v3, 0x80, v3
	v_cmp_le_i32_e32 vcc, s15, v3
	s_or_b64 s[6:7], vcc, s[6:7]
	s_waitcnt lgkmcnt(0)
	v_mul_f32_e32 v5, v2, v5
	ds_write_b32 v4, v5
	v_add_u32_e32 v4, 0x200, v4
	s_andn2_b64 exec, exec, s[6:7]
	s_cbranch_execnz .LBB19_43
.LBB19_44:
	s_or_b64 exec, exec, s[0:1]
	v_mov_b32_e32 v5, 0
	v_mov_b32_e32 v4, 0
	;; [unrolled: 1-line block ×3, first 2 shown]
	s_waitcnt lgkmcnt(0)
	v_mov_b32_e32 v2, 0
	s_barrier
	s_and_saveexec_b64 s[6:7], s[2:3]
	s_cbranch_execz .LBB19_58
; %bb.45:
	s_ashr_i32 s15, s14, 31
	s_sub_i32 s17, s12, s17
	s_lshl_b64 s[0:1], s[14:15], 2
	s_add_u32 s0, s30, s0
	s_addc_u32 s1, s31, s1
	s_abs_i32 s14, s18
	v_cvt_f32_u32_e32 v2, s14
	s_sub_i32 s2, 0, s14
	v_lshlrev_b32_e32 v4, 4, v0
	v_mov_b32_e32 v3, 0
	v_rcp_iflag_f32_e32 v2, v2
	s_add_i32 s18, s43, -1
	s_mov_b32 s36, 0
	s_mov_b32 s37, s36
	v_mul_f32_e32 v2, 0x4f7ffffe, v2
	v_cvt_u32_f32_e32 v2, v2
	s_mov_b32 s38, s36
	s_mov_b32 s39, s36
	v_and_b32_e32 v37, 12, v6
	v_mul_lo_u32 v5, s2, v2
	v_mul_hi_u32 v5, v2, v5
	v_add_u32_e32 v38, v2, v5
	v_and_b32_e32 v2, 0x3f0, v4
	v_lshl_add_u64 v[26:27], s[0:1], 0, v[2:3]
	s_lshl_b64 s[0:1], s[28:29], 2
	s_add_u32 s0, s26, s0
	v_and_b32_e32 v2, 60, v7
	s_addc_u32 s1, s27, s1
	v_lshl_add_u64 v[28:29], s[0:1], 0, v[2:3]
	v_lshlrev_b32_e32 v2, 4, v31
	v_lshl_or_b32 v2, v32, 6, v2
	v_add_u32_e32 v39, 0x110, v2
	v_mov_b64_e32 v[2:3], s[36:37]
	s_mov_b32 s15, s13
	s_mov_b64 s[2:3], 0
	v_mov_b64_e32 v[4:5], s[38:39]
	s_branch .LBB19_48
.LBB19_46:                              ;   in Loop: Header=BB19_48 Depth=1
	s_or_b64 exec, exec, s[0:1]
	s_waitcnt vmcnt(3) lgkmcnt(0)
	v_mul_f32_e32 v11, v7, v11
	v_fmac_f32_e32 v11, v6, v10
	s_waitcnt vmcnt(2)
	v_mul_f32_e32 v10, v7, v15
	v_fmac_f32_e32 v10, v6, v14
	v_fmac_f32_e32 v10, v8, v16
	;; [unrolled: 1-line block ×3, first 2 shown]
	v_add_f32_e32 v3, v3, v10
	s_waitcnt vmcnt(1)
	v_mul_f32_e32 v10, v7, v19
	s_waitcnt vmcnt(0)
	v_mul_f32_e32 v7, v7, v23
	v_fmac_f32_e32 v10, v6, v18
	v_fmac_f32_e32 v7, v6, v22
	;; [unrolled: 1-line block ×8, first 2 shown]
	v_add_f32_e32 v2, v2, v11
	v_add_f32_e32 v4, v4, v10
	;; [unrolled: 1-line block ×3, first 2 shown]
.LBB19_47:                              ;   in Loop: Header=BB19_48 Depth=1
	s_or_b64 exec, exec, s[10:11]
	v_add_u32_e32 v32, 2, v32
	v_cmp_le_i32_e32 vcc, s43, v32
	v_lshl_add_u64 v[28:29], v[28:29], 0, 8
	v_add_u32_e32 v33, 32, v33
	s_or_b64 s[2:3], vcc, s[2:3]
	v_add_u32_e32 v39, 0x80, v39
	s_andn2_b64 exec, exec, s[2:3]
	s_cbranch_execz .LBB19_57
.LBB19_48:                              ; =>This Inner Loop Header: Depth=1
	v_mul_hi_u32 v6, v33, s33
	v_mul_lo_u32 v7, v6, s23
	v_sub_u32_e32 v7, v33, v7
	v_add_u32_e32 v8, 1, v6
	v_cmp_le_u32_e32 vcc, s23, v7
	s_nop 1
	v_cndmask_b32_e32 v6, v6, v8, vcc
	v_subrev_u32_e32 v8, s23, v7
	v_cndmask_b32_e32 v7, v7, v8, vcc
	v_add_u32_e32 v8, 1, v6
	v_cmp_le_u32_e32 vcc, s23, v7
	s_nop 1
	v_cndmask_b32_e32 v6, v6, v8, vcc
	v_xor_b32_e32 v6, s19, v6
	v_subrev_u32_e32 v6, s19, v6
	v_add_u32_e32 v7, s42, v6
	v_sub_u32_e32 v9, 0, v7
	v_ashrrev_i32_e32 v8, 31, v7
	v_max_i32_e32 v7, v7, v9
	v_mul_hi_u32 v9, v7, v38
	v_mul_lo_u32 v9, v9, s14
	v_sub_u32_e32 v7, v7, v9
	v_subrev_u32_e32 v9, s14, v7
	v_cmp_le_u32_e32 vcc, s14, v7
	v_cmp_lt_i32_e64 s[0:1], s17, v6
	s_nop 0
	v_cndmask_b32_e32 v7, v7, v9, vcc
	v_subrev_u32_e32 v9, s14, v7
	v_cmp_le_u32_e32 vcc, s14, v7
	s_nop 1
	v_cndmask_b32_e32 v7, v7, v9, vcc
	v_xor_b32_e32 v7, v7, v8
	v_sub_u32_e32 v7, v7, v8
	v_cmp_eq_u32_e32 vcc, 0, v7
	s_or_b64 s[0:1], vcc, s[0:1]
	s_and_saveexec_b64 s[10:11], s[0:1]
	s_cbranch_execz .LBB19_47
; %bb.49:                               ;   in Loop: Header=BB19_48 Depth=1
	global_load_dword v6, v[28:29], off
	v_add_u32_e32 v40, v37, v33
	v_cmp_eq_u32_e32 vcc, s18, v32
	v_add_u32_e32 v43, 1, v40
	v_add_u32_e32 v42, 2, v40
	;; [unrolled: 1-line block ×3, first 2 shown]
	s_waitcnt vmcnt(0)
	v_mad_i64_i32 v[6:7], s[0:1], v6, s15, 0
	v_lshl_add_u64 v[22:23], v[6:7], 2, v[26:27]
	global_load_dwordx4 v[10:13], v[22:23], off
	ds_read_b128 v[6:9], v39
	s_and_saveexec_b64 s[12:13], vcc
	s_cbranch_execnz .LBB19_53
; %bb.50:                               ;   in Loop: Header=BB19_48 Depth=1
	s_or_b64 exec, exec, s[12:13]
	global_load_dwordx4 v[14:17], v[22:23], off offset:1024
	s_and_saveexec_b64 s[12:13], vcc
	s_cbranch_execnz .LBB19_54
.LBB19_51:                              ;   in Loop: Header=BB19_48 Depth=1
	s_or_b64 exec, exec, s[12:13]
	global_load_dwordx4 v[18:21], v[22:23], off offset:2048
	s_and_saveexec_b64 s[12:13], vcc
	s_cbranch_execnz .LBB19_55
.LBB19_52:                              ;   in Loop: Header=BB19_48 Depth=1
	s_or_b64 exec, exec, s[12:13]
	global_load_dwordx4 v[22:25], v[22:23], off offset:3072
	s_and_saveexec_b64 s[0:1], vcc
	s_cbranch_execz .LBB19_46
	s_branch .LBB19_56
.LBB19_53:                              ;   in Loop: Header=BB19_48 Depth=1
	v_cmp_gt_i32_e64 s[0:1], s21, v40
	s_waitcnt vmcnt(0)
	s_nop 0
	v_cndmask_b32_e64 v10, 0, v10, s[0:1]
	v_cmp_gt_i32_e64 s[0:1], s21, v43
	s_nop 1
	v_cndmask_b32_e64 v11, 0, v11, s[0:1]
	v_cmp_gt_i32_e64 s[0:1], s21, v42
	;; [unrolled: 3-line block ×3, first 2 shown]
	s_nop 1
	v_cndmask_b32_e64 v13, 0, v13, s[0:1]
	s_or_b64 exec, exec, s[12:13]
	global_load_dwordx4 v[14:17], v[22:23], off offset:1024
	s_and_saveexec_b64 s[12:13], vcc
	s_cbranch_execz .LBB19_51
.LBB19_54:                              ;   in Loop: Header=BB19_48 Depth=1
	v_cmp_gt_i32_e64 s[0:1], s21, v40
	s_waitcnt vmcnt(0)
	s_nop 0
	v_cndmask_b32_e64 v14, 0, v14, s[0:1]
	v_cmp_gt_i32_e64 s[0:1], s21, v43
	s_nop 1
	v_cndmask_b32_e64 v15, 0, v15, s[0:1]
	v_cmp_gt_i32_e64 s[0:1], s21, v42
	;; [unrolled: 3-line block ×3, first 2 shown]
	s_nop 1
	v_cndmask_b32_e64 v17, 0, v17, s[0:1]
	s_or_b64 exec, exec, s[12:13]
	global_load_dwordx4 v[18:21], v[22:23], off offset:2048
	s_and_saveexec_b64 s[12:13], vcc
	s_cbranch_execz .LBB19_52
.LBB19_55:                              ;   in Loop: Header=BB19_48 Depth=1
	v_cmp_gt_i32_e64 s[0:1], s21, v40
	s_waitcnt vmcnt(0)
	s_nop 0
	v_cndmask_b32_e64 v18, 0, v18, s[0:1]
	v_cmp_gt_i32_e64 s[0:1], s21, v43
	s_nop 1
	v_cndmask_b32_e64 v19, 0, v19, s[0:1]
	v_cmp_gt_i32_e64 s[0:1], s21, v42
	;; [unrolled: 3-line block ×3, first 2 shown]
	s_nop 1
	v_cndmask_b32_e64 v21, 0, v21, s[0:1]
	s_or_b64 exec, exec, s[12:13]
	global_load_dwordx4 v[22:25], v[22:23], off offset:3072
	s_and_saveexec_b64 s[0:1], vcc
	s_cbranch_execz .LBB19_46
.LBB19_56:                              ;   in Loop: Header=BB19_48 Depth=1
	v_cmp_gt_i32_e32 vcc, s21, v40
	s_waitcnt vmcnt(0)
	s_nop 0
	v_cndmask_b32_e32 v22, 0, v22, vcc
	v_cmp_gt_i32_e32 vcc, s21, v43
	s_nop 1
	v_cndmask_b32_e32 v23, 0, v23, vcc
	v_cmp_gt_i32_e32 vcc, s21, v42
	;; [unrolled: 3-line block ×3, first 2 shown]
	s_nop 1
	v_cndmask_b32_e32 v25, 0, v25, vcc
	s_branch .LBB19_46
.LBB19_57:
	s_or_b64 exec, exec, s[2:3]
.LBB19_58:
	s_or_b64 exec, exec, s[6:7]
	ds_bpermute_b32 v6, v36, v2
	ds_bpermute_b32 v7, v36, v3
	;; [unrolled: 1-line block ×4, first 2 shown]
	v_and_b32_e32 v0, 0x3c3, v0
	v_cmp_eq_u32_e32 vcc, 64, v0
	s_waitcnt lgkmcnt(2)
	v_pk_add_f32 v[2:3], v[2:3], v[6:7]
	ds_bpermute_b32 v6, v35, v2
	s_waitcnt lgkmcnt(1)
	v_pk_add_f32 v[4:5], v[4:5], v[8:9]
	ds_bpermute_b32 v7, v35, v3
	ds_bpermute_b32 v8, v35, v4
	;; [unrolled: 1-line block ×3, first 2 shown]
	s_waitcnt lgkmcnt(0)
	s_barrier
	v_pk_add_f32 v[2:3], v[2:3], v[6:7]
	v_pk_add_f32 v[4:5], v[4:5], v[8:9]
	s_and_saveexec_b64 s[0:1], vcc
	s_cbranch_execz .LBB19_60
; %bb.59:
	v_add_u32_e32 v6, 0x110, v34
	ds_write2_b32 v6, v2, v3 offset1:16
	ds_write2_b32 v6, v4, v5 offset0:32 offset1:48
.LBB19_60:
	s_or_b64 exec, exec, s[0:1]
	s_waitcnt lgkmcnt(0)
	s_barrier
	s_and_saveexec_b64 s[0:1], s[8:9]
	s_cbranch_execz .LBB19_67
; %bb.61:
	v_cmp_eq_u32_e32 vcc, 0, v31
	s_and_saveexec_b64 s[2:3], vcc
	s_cbranch_execnz .LBB19_70
; %bb.62:
	s_or_b64 exec, exec, s[2:3]
	s_and_saveexec_b64 s[2:3], vcc
	s_cbranch_execnz .LBB19_71
.LBB19_63:
	s_or_b64 exec, exec, s[2:3]
	s_and_saveexec_b64 s[2:3], vcc
	s_cbranch_execnz .LBB19_72
.LBB19_64:
	s_or_b64 exec, exec, s[2:3]
	s_and_saveexec_b64 s[2:3], vcc
	s_cbranch_execz .LBB19_66
.LBB19_65:
	v_mov_b32_e32 v6, 0x110
	v_lshl_add_u32 v6, v30, 2, v6
	ds_read_b32 v6, v6 offset:192
	s_waitcnt lgkmcnt(0)
	v_add_f32_e32 v5, v5, v6
.LBB19_66:
	s_or_b64 exec, exec, s[2:3]
.LBB19_67:
	s_or_b64 exec, exec, s[0:1]
	v_cmp_eq_u32_e32 vcc, 0, v0
	s_barrier
	s_and_saveexec_b64 s[0:1], vcc
	s_cbranch_execz .LBB19_69
; %bb.68:
	s_mul_i32 s0, s20, s16
	s_mul_i32 s0, s0, s5
	s_lshl_b32 s0, s0, 6
	s_ashr_i32 s1, s0, 31
	s_lshl_b64 s[0:1], s[0:1], 2
	s_add_u32 s2, s24, s0
	s_mul_i32 s0, s16, s22
	s_addc_u32 s3, s25, s1
	s_ashr_i32 s1, s0, 31
	s_lshl_b64 s[0:1], s[0:1], 2
	s_add_u32 s2, s2, s0
	s_addc_u32 s3, s3, s1
	s_lshl_b32 s0, s4, 6
	s_ashr_i32 s1, s0, 31
	s_lshl_b64 s[0:1], s[0:1], 2
	s_add_u32 s0, s2, s0
	s_addc_u32 s1, s3, s1
	global_store_dword v1, v2, s[0:1]
	global_store_dword v1, v3, s[0:1] offset:64
	global_store_dword v1, v4, s[0:1] offset:128
	;; [unrolled: 1-line block ×3, first 2 shown]
.LBB19_69:
	s_endpgm
.LBB19_70:
	v_mov_b32_e32 v6, 0x110
	v_lshl_add_u32 v6, v30, 2, v6
	ds_read_b32 v6, v6
	s_waitcnt lgkmcnt(0)
	v_add_f32_e32 v2, v2, v6
	s_or_b64 exec, exec, s[2:3]
	s_and_saveexec_b64 s[2:3], vcc
	s_cbranch_execz .LBB19_63
.LBB19_71:
	v_mov_b32_e32 v6, 0x110
	v_lshl_add_u32 v6, v30, 2, v6
	ds_read_b32 v6, v6 offset:64
	s_waitcnt lgkmcnt(0)
	v_add_f32_e32 v3, v3, v6
	s_or_b64 exec, exec, s[2:3]
	s_and_saveexec_b64 s[2:3], vcc
	s_cbranch_execz .LBB19_64
.LBB19_72:
	v_mov_b32_e32 v6, 0x110
	v_lshl_add_u32 v6, v30, 2, v6
	ds_read_b32 v6, v6 offset:128
	s_waitcnt lgkmcnt(0)
	v_add_f32_e32 v4, v4, v6
	s_or_b64 exec, exec, s[2:3]
	s_and_saveexec_b64 s[2:3], vcc
	s_cbranch_execnz .LBB19_65
	s_branch .LBB19_66
	.section	.rodata,"a",@progbits
	.p2align	6, 0x0
	.amdhsa_kernel _ZN4vllm25paged_attention_v1_kernelIffLi64ELi16ELi128ELNS_18Fp8KVCacheDataTypeE0ELb1EEEvPT_PKS2_PKT0_S8_ifPKiSA_iPKfiiiSC_SC_iiiii
		.amdhsa_group_segment_fixed_size 272
		.amdhsa_private_segment_fixed_size 0
		.amdhsa_kernarg_size 384
		.amdhsa_user_sgpr_count 2
		.amdhsa_user_sgpr_dispatch_ptr 0
		.amdhsa_user_sgpr_queue_ptr 0
		.amdhsa_user_sgpr_kernarg_segment_ptr 1
		.amdhsa_user_sgpr_dispatch_id 0
		.amdhsa_user_sgpr_kernarg_preload_length 0
		.amdhsa_user_sgpr_kernarg_preload_offset 0
		.amdhsa_user_sgpr_private_segment_size 0
		.amdhsa_uses_dynamic_stack 0
		.amdhsa_enable_private_segment 0
		.amdhsa_system_sgpr_workgroup_id_x 1
		.amdhsa_system_sgpr_workgroup_id_y 1
		.amdhsa_system_sgpr_workgroup_id_z 1
		.amdhsa_system_sgpr_workgroup_info 0
		.amdhsa_system_vgpr_workitem_id 0
		.amdhsa_next_free_vgpr 59
		.amdhsa_next_free_sgpr 46
		.amdhsa_accum_offset 60
		.amdhsa_reserve_vcc 1
		.amdhsa_float_round_mode_32 0
		.amdhsa_float_round_mode_16_64 0
		.amdhsa_float_denorm_mode_32 3
		.amdhsa_float_denorm_mode_16_64 3
		.amdhsa_dx10_clamp 1
		.amdhsa_ieee_mode 1
		.amdhsa_fp16_overflow 0
		.amdhsa_tg_split 0
		.amdhsa_exception_fp_ieee_invalid_op 0
		.amdhsa_exception_fp_denorm_src 0
		.amdhsa_exception_fp_ieee_div_zero 0
		.amdhsa_exception_fp_ieee_overflow 0
		.amdhsa_exception_fp_ieee_underflow 0
		.amdhsa_exception_fp_ieee_inexact 0
		.amdhsa_exception_int_div_zero 0
	.end_amdhsa_kernel
	.section	.text._ZN4vllm25paged_attention_v1_kernelIffLi64ELi16ELi128ELNS_18Fp8KVCacheDataTypeE0ELb1EEEvPT_PKS2_PKT0_S8_ifPKiSA_iPKfiiiSC_SC_iiiii,"axG",@progbits,_ZN4vllm25paged_attention_v1_kernelIffLi64ELi16ELi128ELNS_18Fp8KVCacheDataTypeE0ELb1EEEvPT_PKS2_PKT0_S8_ifPKiSA_iPKfiiiSC_SC_iiiii,comdat
.Lfunc_end19:
	.size	_ZN4vllm25paged_attention_v1_kernelIffLi64ELi16ELi128ELNS_18Fp8KVCacheDataTypeE0ELb1EEEvPT_PKS2_PKT0_S8_ifPKiSA_iPKfiiiSC_SC_iiiii, .Lfunc_end19-_ZN4vllm25paged_attention_v1_kernelIffLi64ELi16ELi128ELNS_18Fp8KVCacheDataTypeE0ELb1EEEvPT_PKS2_PKT0_S8_ifPKiSA_iPKfiiiSC_SC_iiiii
                                        ; -- End function
	.section	.AMDGPU.csdata,"",@progbits
; Kernel info:
; codeLenInByte = 4684
; NumSgprs: 52
; NumVgprs: 59
; NumAgprs: 0
; TotalNumVgprs: 59
; ScratchSize: 0
; MemoryBound: 0
; FloatMode: 240
; IeeeMode: 1
; LDSByteSize: 272 bytes/workgroup (compile time only)
; SGPRBlocks: 6
; VGPRBlocks: 7
; NumSGPRsForWavesPerEU: 52
; NumVGPRsForWavesPerEU: 59
; AccumOffset: 60
; Occupancy: 8
; WaveLimiterHint : 1
; COMPUTE_PGM_RSRC2:SCRATCH_EN: 0
; COMPUTE_PGM_RSRC2:USER_SGPR: 2
; COMPUTE_PGM_RSRC2:TRAP_HANDLER: 0
; COMPUTE_PGM_RSRC2:TGID_X_EN: 1
; COMPUTE_PGM_RSRC2:TGID_Y_EN: 1
; COMPUTE_PGM_RSRC2:TGID_Z_EN: 1
; COMPUTE_PGM_RSRC2:TIDIG_COMP_CNT: 0
; COMPUTE_PGM_RSRC3_GFX90A:ACCUM_OFFSET: 14
; COMPUTE_PGM_RSRC3_GFX90A:TG_SPLIT: 0
	.section	.text._ZN4vllm25paged_attention_v1_kernelIffLi80ELi16ELi128ELNS_18Fp8KVCacheDataTypeE0ELb1EEEvPT_PKS2_PKT0_S8_ifPKiSA_iPKfiiiSC_SC_iiiii,"axG",@progbits,_ZN4vllm25paged_attention_v1_kernelIffLi80ELi16ELi128ELNS_18Fp8KVCacheDataTypeE0ELb1EEEvPT_PKS2_PKT0_S8_ifPKiSA_iPKfiiiSC_SC_iiiii,comdat
	.protected	_ZN4vllm25paged_attention_v1_kernelIffLi80ELi16ELi128ELNS_18Fp8KVCacheDataTypeE0ELb1EEEvPT_PKS2_PKT0_S8_ifPKiSA_iPKfiiiSC_SC_iiiii ; -- Begin function _ZN4vllm25paged_attention_v1_kernelIffLi80ELi16ELi128ELNS_18Fp8KVCacheDataTypeE0ELb1EEEvPT_PKS2_PKT0_S8_ifPKiSA_iPKfiiiSC_SC_iiiii
	.globl	_ZN4vllm25paged_attention_v1_kernelIffLi80ELi16ELi128ELNS_18Fp8KVCacheDataTypeE0ELb1EEEvPT_PKS2_PKT0_S8_ifPKiSA_iPKfiiiSC_SC_iiiii
	.p2align	8
	.type	_ZN4vllm25paged_attention_v1_kernelIffLi80ELi16ELi128ELNS_18Fp8KVCacheDataTypeE0ELb1EEEvPT_PKS2_PKT0_S8_ifPKiSA_iPKfiiiSC_SC_iiiii,@function
_ZN4vllm25paged_attention_v1_kernelIffLi80ELi16ELi128ELNS_18Fp8KVCacheDataTypeE0ELb1EEEvPT_PKS2_PKT0_S8_ifPKiSA_iPKfiiiSC_SC_iiiii: ; @_ZN4vllm25paged_attention_v1_kernelIffLi80ELi16ELi128ELNS_18Fp8KVCacheDataTypeE0ELb1EEEvPT_PKS2_PKT0_S8_ifPKiSA_iPKfiiiSC_SC_iiiii
; %bb.0:
	s_load_dword s5, s[0:1], 0x80
	s_load_dwordx2 s[6:7], s[0:1], 0x30
	s_load_dwordx2 s[30:31], s[0:1], 0x20
	s_mov_b32 s20, s3
	s_ashr_i32 s21, s3, 31
	s_lshl_b64 s[8:9], s[20:21], 2
	s_waitcnt lgkmcnt(0)
	s_add_u32 s6, s6, s8
	s_addc_u32 s7, s7, s9
	s_abs_i32 s3, s30
	v_cvt_f32_u32_e32 v1, s3
	s_sub_i32 s10, 0, s3
	s_abs_i32 s9, s5
	s_xor_b32 s8, s5, s30
	v_rcp_iflag_f32_e32 v1, v1
	s_ashr_i32 s8, s8, 31
	s_mov_b32 s42, 0
	v_mul_f32_e32 v1, 0x4f7ffffe, v1
	v_cvt_u32_f32_e32 v1, v1
	s_nop 0
	v_readfirstlane_b32 s11, v1
	s_mul_i32 s10, s10, s11
	s_mul_hi_u32 s10, s11, s10
	s_add_i32 s11, s11, s10
	s_mul_hi_u32 s10, s9, s11
	s_mul_i32 s11, s10, s3
	s_sub_i32 s9, s9, s11
	s_add_i32 s11, s10, 1
	s_sub_i32 s12, s9, s3
	s_cmp_ge_u32 s9, s3
	s_cselect_b32 s10, s11, s10
	s_cselect_b32 s9, s12, s9
	s_add_i32 s11, s10, 1
	s_cmp_ge_u32 s9, s3
	s_cselect_b32 s3, s11, s10
	s_xor_b32 s3, s3, s8
	s_sub_i32 s12, s3, s8
	s_abs_i32 s10, s12
	v_cvt_f32_u32_e32 v1, s10
	s_load_dwordx2 s[8:9], s[0:1], 0x40
	s_sub_i32 s3, 0, s10
	s_abs_i32 s11, s2
	v_rcp_iflag_f32_e32 v1, v1
	s_nop 0
	v_mul_f32_e32 v1, 0x4f7ffffe, v1
	v_cvt_u32_f32_e32 v1, v1
	s_nop 0
	v_readfirstlane_b32 s13, v1
	s_mul_i32 s3, s3, s13
	s_mul_hi_u32 s3, s13, s3
	s_add_i32 s13, s13, s3
	s_waitcnt lgkmcnt(0)
	s_cmp_eq_u64 s[8:9], 0
	s_mul_hi_u32 s24, s11, s13
	s_cbranch_scc1 .LBB20_2
; %bb.1:
	s_ashr_i32 s3, s2, 31
	s_lshl_b64 s[14:15], s[2:3], 2
	s_add_u32 s8, s8, s14
	s_addc_u32 s9, s9, s15
	s_load_dword s42, s[8:9], 0x0
.LBB20_2:
	s_load_dword s21, s[6:7], 0x0
	s_ashr_i32 s9, s12, 31
	s_load_dwordx4 s[12:15], s[0:1], 0x48
	v_lshrrev_b32_e32 v38, 2, v0
	s_movk_i32 s3, 0x50
	s_ashr_i32 s8, s2, 31
	v_and_b32_e32 v39, 3, v0
	s_mul_i32 s22, s2, 0x50
	v_cmp_gt_u32_e32 vcc, s3, v0
	v_lshlrev_b32_e32 v8, 2, v0
	v_lshlrev_b32_e32 v1, 2, v38
	s_and_saveexec_b64 s[6:7], vcc
	s_cbranch_execz .LBB20_4
; %bb.3:
	s_load_dwordx2 s[16:17], s[0:1], 0x8
	s_waitcnt lgkmcnt(0)
	s_mul_i32 s18, s20, s12
	s_ashr_i32 s19, s18, 31
	s_lshl_b64 s[18:19], s[18:19], 2
	v_mad_u32_u24 v3, v39, s3, v1
	s_add_u32 s12, s16, s18
	s_addc_u32 s15, s17, s19
	s_ashr_i32 s23, s22, 31
	s_lshl_b64 s[16:17], s[22:23], 2
	s_add_u32 s16, s12, s16
	s_addc_u32 s17, s15, s17
	global_load_dword v2, v8, s[16:17]
	s_waitcnt vmcnt(0)
	ds_write_b32 v3, v2
.LBB20_4:
	s_or_b64 exec, exec, s[6:7]
	s_mul_i32 s7, s24, s10
	s_sub_i32 s7, s11, s7
	s_xor_b32 s6, s8, s9
	s_add_i32 s8, s24, 1
	s_sub_i32 s9, s7, s10
	s_load_dwordx4 s[16:19], s[0:1], 0x68
	s_load_dword s3, s[0:1], 0x78
	s_cmp_ge_u32 s7, s10
	s_cselect_b32 s8, s8, s24
	s_cselect_b32 s7, s9, s7
	s_add_i32 s9, s8, 1
	s_cmp_ge_u32 s7, s10
	s_cselect_b32 s7, s9, s8
	s_waitcnt lgkmcnt(0)
	s_abs_i32 s23, s19
	v_cvt_f32_u32_e32 v2, s23
	s_xor_b32 s7, s7, s6
	s_sub_i32 s8, s7, s6
	s_sub_i32 s6, 0, s23
	v_rcp_iflag_f32_e32 v2, v2
	s_add_i32 s15, s21, -1
	s_abs_i32 s9, s15
	v_mul_f32_e32 v2, 0x4f7ffffe, v2
	v_cvt_u32_f32_e32 v2, v2
	s_barrier
	v_readfirstlane_b32 s33, v2
	s_mul_i32 s6, s6, s33
	s_mul_hi_u32 s6, s33, s6
	s_add_i32 s33, s33, s6
	s_cmp_lt_i32 s3, 0
	s_mul_hi_u32 s12, s9, s33
	s_cbranch_scc0 .LBB20_6
; %bb.5:
	s_mul_i32 s6, s16, s30
	s_add_i32 s6, s8, s6
	s_mul_i32 s6, s6, s3
	s_sub_i32 s40, 1, s6
	s_mov_b64 s[6:7], 0
	s_branch .LBB20_7
.LBB20_6:
	s_mov_b64 s[6:7], -1
                                        ; implicit-def: $sgpr40
.LBB20_7:
	s_load_dwordx2 s[10:11], s[0:1], 0x28
	s_ashr_i32 s15, s15, 31
	s_andn2_b64 vcc, exec, s[6:7]
	s_ashr_i32 s19, s19, 31
	s_cbranch_vccnz .LBB20_9
; %bb.8:
	s_mul_i32 s6, s5, s16
	s_add_i32 s2, s6, s2
	s_mul_i32 s2, s2, s3
	s_add_i32 s40, s2, 1
.LBB20_9:
	s_load_dword s2, s[0:1], 0x38
	s_load_dwordx2 s[24:25], s[0:1], 0x0
	s_load_dwordx2 s[28:29], s[0:1], 0x18
	s_load_dword s16, s[0:1], 0x88
	s_xor_b32 s3, s15, s19
	s_waitcnt lgkmcnt(0)
	s_mul_i32 s26, s20, s2
	s_mul_i32 s2, s12, s23
	s_sub_i32 s2, s9, s2
	s_ashr_i32 s27, s26, 31
	s_add_i32 s6, s12, 1
	s_sub_i32 s7, s2, s23
	s_cmp_ge_u32 s2, s23
	s_cselect_b32 s6, s6, s12
	s_cselect_b32 s2, s7, s2
	s_add_i32 s7, s6, 1
	s_cmp_ge_u32 s2, s23
	s_cselect_b32 s2, s7, s6
	s_xor_b32 s2, s2, s3
	s_sub_i32 s12, s2, s3
	s_add_i32 s2, s21, 15
	s_ashr_i32 s3, s2, 31
	s_lshr_b32 s3, s3, 28
	s_add_i32 s2, s2, s3
	s_ashr_i32 s41, s2, 4
	v_lshrrev_b32_e32 v7, 6, v0
	v_cmp_gt_i32_e64 s[2:3], s41, v7
	v_mov_b32_e32 v12, 0xff7fffff
	s_mul_i32 s14, s8, s14
	v_lshrrev_b32_e32 v9, 4, v0
	v_lshlrev_b32_e32 v40, 4, v7
	v_mbcnt_lo_u32_b32 v6, -1, 0
	s_and_saveexec_b64 s[34:35], s[2:3]
	s_cbranch_execz .LBB20_19
; %bb.10:
	s_load_dwordx2 s[0:1], s[0:1], 0x10
	s_ashr_i32 s15, s14, 31
	s_sub_i32 s30, s12, s17
	s_lshl_b64 s[6:7], s[14:15], 2
	v_bfe_u32 v10, v0, 2, 4
	s_waitcnt lgkmcnt(0)
	s_add_u32 s0, s0, s6
	s_addc_u32 s1, s1, s7
	s_abs_i32 s15, s18
	v_cvt_f32_u32_e32 v2, s15
	v_lshlrev_b32_e32 v4, 4, v10
	v_mov_b32_e32 v5, 0
	v_lshlrev_b32_e32 v12, 2, v10
	v_rcp_iflag_f32_e32 v11, v2
	v_lshl_add_u64 v[2:3], s[0:1], 0, v[4:5]
	v_lshlrev_b32_e32 v4, 2, v39
	v_lshl_add_u64 v[2:3], v[2:3], 0, v[4:5]
	v_mul_f32_e32 v4, 0x4f7ffffe, v11
	v_cvt_u32_f32_e32 v4, v4
	s_sub_i32 s6, 0, s15
	v_lshl_or_b32 v12, v7, 6, v12
	v_add_u32_e32 v15, 0x150, v12
	v_mul_lo_u32 v13, s6, v4
	s_lshl_b64 s[6:7], s[26:27], 2
	v_mul_hi_u32 v13, v4, v13
	s_add_u32 s6, s10, s6
	v_subrev_u32_e32 v12, s21, v10
	v_mbcnt_hi_u32_b32 v18, -1, v6
	v_add_u32_e32 v13, v4, v13
	v_and_b32_e32 v4, 60, v9
	s_addc_u32 s7, s11, s7
	v_add_u32_e32 v16, 1, v12
	v_and_b32_e32 v12, 64, v18
	v_cmp_eq_u32_e32 vcc, 0, v39
	s_mov_b32 s43, s13
	v_mul_u32_u24_e32 v11, 0x50, v39
	v_cmp_neq_f32_e64 s[0:1], s42, 0
	v_lshl_add_u64 v[4:5], s[6:7], 0, v[4:5]
	v_lshlrev_b32_e32 v14, 4, v7
	s_mov_b64 s[36:37], 0
	v_mov_b32_e32 v17, 0xff7fffff
	s_movk_i32 s44, 0x1000
	v_add_u32_e32 v19, 64, v12
	v_xor_b32_e32 v20, 2, v18
	v_xor_b32_e32 v21, 1, v18
	v_mov_b32_e32 v12, 0xff7fffff
	v_mov_b32_e32 v22, v7
	s_branch .LBB20_13
.LBB20_11:                              ;   in Loop: Header=BB20_13 Depth=1
	s_or_b64 exec, exec, s[38:39]
.LBB20_12:                              ;   in Loop: Header=BB20_13 Depth=1
	s_or_b64 exec, exec, s[8:9]
	v_add_u32_e32 v22, 2, v22
	v_cmp_le_i32_e64 s[6:7], s41, v22
	v_lshl_add_u64 v[4:5], v[4:5], 0, 8
	v_add_u32_e32 v14, 32, v14
	s_or_b64 s[36:37], s[6:7], s[36:37]
	v_add_u32_e32 v15, 0x80, v15
	s_andn2_b64 exec, exec, s[36:37]
	s_cbranch_execz .LBB20_18
.LBB20_13:                              ; =>This Inner Loop Header: Depth=1
	v_mul_hi_u32 v23, v14, s33
	s_waitcnt lgkmcnt(0)
	v_mul_lo_u32 v24, v23, s23
	v_sub_u32_e32 v24, v14, v24
	v_add_u32_e32 v25, 1, v23
	v_cmp_le_u32_e64 s[6:7], s23, v24
	s_nop 1
	v_cndmask_b32_e64 v23, v23, v25, s[6:7]
	v_subrev_u32_e32 v25, s23, v24
	v_cndmask_b32_e64 v24, v24, v25, s[6:7]
	v_add_u32_e32 v25, 1, v23
	v_cmp_le_u32_e64 s[6:7], s23, v24
	s_nop 1
	v_cndmask_b32_e64 v23, v23, v25, s[6:7]
	v_xor_b32_e32 v23, s19, v23
	v_subrev_u32_e32 v23, s19, v23
	v_add_u32_e32 v24, s40, v23
	v_sub_u32_e32 v26, 0, v24
	v_ashrrev_i32_e32 v25, 31, v24
	v_max_i32_e32 v24, v24, v26
	v_mul_hi_u32 v26, v24, v13
	v_mul_lo_u32 v26, v26, s15
	v_sub_u32_e32 v24, v24, v26
	v_subrev_u32_e32 v26, s15, v24
	v_cmp_le_u32_e64 s[6:7], s15, v24
	v_cmp_ge_i32_e64 s[8:9], s30, v23
	s_nop 0
	v_cndmask_b32_e64 v24, v24, v26, s[6:7]
	v_subrev_u32_e32 v26, s15, v24
	v_cmp_le_u32_e64 s[6:7], s15, v24
	s_nop 1
	v_cndmask_b32_e64 v24, v24, v26, s[6:7]
	v_xor_b32_e32 v24, v24, v25
	v_sub_u32_e32 v24, v24, v25
	v_cmp_ne_u32_e64 s[6:7], 0, v24
	s_and_b64 s[6:7], s[6:7], s[8:9]
	s_and_b64 s[38:39], vcc, s[6:7]
	s_and_saveexec_b64 s[8:9], s[38:39]
	s_cbranch_execz .LBB20_15
; %bb.14:                               ;   in Loop: Header=BB20_13 Depth=1
	ds_write_b32 v15, v17
.LBB20_15:                              ;   in Loop: Header=BB20_13 Depth=1
	s_or_b64 exec, exec, s[8:9]
	s_xor_b64 s[6:7], s[6:7], -1
	s_and_saveexec_b64 s[8:9], s[6:7]
	s_cbranch_execz .LBB20_12
; %bb.16:                               ;   in Loop: Header=BB20_13 Depth=1
	global_load_dword v23, v[4:5], off
	s_waitcnt vmcnt(0)
	v_mad_i64_i32 v[24:25], s[6:7], v23, s43, 0
	v_lshl_add_u64 v[24:25], v[24:25], 2, v[2:3]
	global_load_dword v23, v[24:25], off
	global_load_dword v36, v[24:25], off offset:256
	global_load_dword v37, v[24:25], off offset:512
	;; [unrolled: 1-line block ×15, first 2 shown]
	v_add_co_u32_e64 v24, s[6:7], s44, v24
	s_nop 1
	v_addc_co_u32_e64 v25, s[6:7], 0, v25, s[6:7]
	global_load_dword v62, v[24:25], off
	global_load_dword v63, v[24:25], off offset:256
	global_load_dword v64, v[24:25], off offset:512
	global_load_dword v65, v[24:25], off offset:768
	ds_read_b128 v[24:27], v11
	ds_read_b128 v[28:31], v11 offset:16
	ds_read_b128 v[32:35], v11 offset:32
	;; [unrolled: 1-line block ×4, first 2 shown]
	v_cmp_lt_i32_e64 s[6:7], v20, v19
	s_waitcnt vmcnt(18) lgkmcnt(4)
	v_mul_f32_e32 v25, v25, v36
	v_fmac_f32_e32 v25, v24, v23
	s_waitcnt vmcnt(17)
	v_fmac_f32_e32 v25, v26, v37
	s_waitcnt vmcnt(16)
	v_fmac_f32_e32 v25, v27, v41
	s_waitcnt vmcnt(15) lgkmcnt(3)
	v_fmac_f32_e32 v25, v28, v50
	s_waitcnt vmcnt(14)
	v_fmac_f32_e32 v25, v29, v51
	s_waitcnt vmcnt(13)
	v_fmac_f32_e32 v25, v30, v52
	s_waitcnt vmcnt(12)
	v_fmac_f32_e32 v25, v31, v53
	s_waitcnt vmcnt(11) lgkmcnt(2)
	v_fmac_f32_e32 v25, v32, v54
	s_waitcnt vmcnt(10)
	;; [unrolled: 8-line block ×3, first 2 shown]
	v_fmac_f32_e32 v25, v43, v59
	s_waitcnt vmcnt(5)
	v_fmac_f32_e32 v25, v44, v60
	s_waitcnt vmcnt(4)
	v_fmac_f32_e32 v25, v45, v61
	v_cndmask_b32_e64 v66, v18, v20, s[6:7]
	s_waitcnt vmcnt(3) lgkmcnt(0)
	v_fmac_f32_e32 v25, v46, v62
	s_waitcnt vmcnt(2)
	v_fmac_f32_e32 v25, v47, v63
	s_waitcnt vmcnt(1)
	v_fmac_f32_e32 v25, v48, v64
	v_lshlrev_b32_e32 v66, 2, v66
	s_waitcnt vmcnt(0)
	v_fmac_f32_e32 v25, v49, v65
	ds_bpermute_b32 v23, v66, v25
	v_cmp_lt_i32_e64 s[6:7], v21, v19
	s_waitcnt lgkmcnt(0)
	v_add_f32_e32 v23, v25, v23
	v_cndmask_b32_e64 v24, v18, v21, s[6:7]
	v_lshlrev_b32_e32 v24, 2, v24
	ds_bpermute_b32 v24, v24, v23
	s_and_saveexec_b64 s[38:39], vcc
	s_cbranch_execz .LBB20_11
; %bb.17:                               ;   in Loop: Header=BB20_13 Depth=1
	v_add_u32_e32 v25, v16, v14
	v_cvt_f32_i32_e32 v25, v25
	s_waitcnt lgkmcnt(0)
	v_add_f32_e32 v23, v23, v24
	v_add_u32_e32 v26, v10, v14
	v_cmp_gt_i32_e64 s[6:7], s21, v26
	v_mul_f32_e32 v24, s42, v25
	v_cndmask_b32_e64 v24, 0, v24, s[0:1]
	v_fmac_f32_e32 v24, s31, v23
	v_cndmask_b32_e64 v23, 0, v24, s[6:7]
	ds_write_b32 v15, v23
	v_max_f32_e32 v23, v12, v12
	v_max_f32_e32 v23, v23, v24
	v_cndmask_b32_e64 v12, v12, v23, s[6:7]
	s_branch .LBB20_11
.LBB20_18:
	s_or_b64 exec, exec, s[36:37]
.LBB20_19:
	s_or_b64 exec, exec, s[34:35]
	v_mbcnt_hi_u32_b32 v2, -1, v6
	v_and_b32_e32 v3, 64, v2
	v_add_u32_e32 v3, 64, v3
	v_xor_b32_e32 v4, 32, v2
	v_cmp_lt_i32_e32 vcc, v4, v3
	v_xor_b32_e32 v10, 16, v2
	v_max_f32_e32 v6, v12, v12
	v_cndmask_b32_e32 v4, v2, v4, vcc
	v_lshlrev_b32_e32 v4, 2, v4
	ds_bpermute_b32 v5, v4, v12
	v_cmp_lt_i32_e32 vcc, v10, v3
	v_xor_b32_e32 v11, 8, v2
	v_xor_b32_e32 v12, 4, v2
	v_and_b32_e32 v41, 63, v0
	s_waitcnt lgkmcnt(0)
	v_max_f32_e32 v5, v5, v5
	v_max_f32_e32 v6, v6, v5
	v_cndmask_b32_e32 v5, v2, v10, vcc
	v_lshlrev_b32_e32 v5, 2, v5
	ds_bpermute_b32 v10, v5, v6
	v_cmp_lt_i32_e32 vcc, v11, v3
	s_waitcnt lgkmcnt(0)
	v_max_f32_e32 v10, v10, v10
	v_max_f32_e32 v6, v6, v10
	v_cndmask_b32_e32 v10, v2, v11, vcc
	v_lshlrev_b32_e32 v11, 2, v10
	ds_bpermute_b32 v10, v11, v6
	v_cmp_lt_i32_e32 vcc, v12, v3
	s_waitcnt lgkmcnt(0)
	v_max_f32_e32 v10, v10, v10
	v_max_f32_e32 v10, v6, v10
	v_cndmask_b32_e32 v6, v2, v12, vcc
	v_lshlrev_b32_e32 v12, 2, v6
	ds_bpermute_b32 v13, v12, v10
	v_cmp_eq_u32_e32 vcc, 0, v41
	v_lshlrev_b32_e32 v6, 2, v7
	s_and_saveexec_b64 s[0:1], vcc
	s_cbranch_execz .LBB20_21
; %bb.20:
	s_waitcnt lgkmcnt(0)
	v_max_f32_e32 v13, v13, v13
	v_max_f32_e32 v10, v10, v10
	;; [unrolled: 1-line block ×3, first 2 shown]
	ds_write_b32 v6, v10 offset:320
.LBB20_21:
	s_or_b64 exec, exec, s[0:1]
	v_cmp_gt_u32_e64 s[0:1], 2, v41
	s_waitcnt lgkmcnt(0)
	v_mov_b32_e32 v13, 0xff7fffff
	v_lshlrev_b32_e32 v10, 2, v41
	s_barrier
	s_and_saveexec_b64 s[6:7], s[0:1]
	s_cbranch_execz .LBB20_23
; %bb.22:
	ds_read_b32 v13, v10 offset:320
.LBB20_23:
	s_or_b64 exec, exec, s[6:7]
	v_xor_b32_e32 v14, 1, v2
	v_cmp_lt_i32_e64 s[6:7], v14, v3
	v_lshlrev_b32_e32 v15, 2, v2
	s_nop 0
	v_cndmask_b32_e64 v14, v2, v14, s[6:7]
	v_lshlrev_b32_e32 v42, 2, v14
	s_waitcnt lgkmcnt(0)
	ds_bpermute_b32 v14, v42, v13
	v_max_f32_e32 v13, v13, v13
	s_lshl_b32 s6, s41, 4
	s_min_i32 s15, s6, s21
	v_cmp_gt_i32_e64 s[6:7], s15, v0
	s_waitcnt lgkmcnt(0)
	v_max_f32_e32 v14, v14, v14
	v_max_f32_e32 v14, v13, v14
	v_and_b32_e32 v13, 0x100, v15
	ds_bpermute_b32 v15, v13, v14
	v_mov_b32_e32 v14, 0
	s_and_saveexec_b64 s[30:31], s[6:7]
	s_cbranch_execz .LBB20_27
; %bb.24:
	v_mov_b32_e32 v14, 0x150
	v_lshl_add_u32 v16, v0, 2, v14
	s_mov_b64 s[34:35], 0
	v_mov_b32_e32 v14, 0
	v_mov_b32_e32 v17, v0
.LBB20_25:                              ; =>This Inner Loop Header: Depth=1
	ds_read_b32 v18, v16
	v_add_u32_e32 v17, 0x80, v17
	v_cmp_le_i32_e64 s[8:9], s15, v17
	s_or_b64 s[34:35], s[8:9], s[34:35]
	s_waitcnt lgkmcnt(0)
	v_sub_f32_e32 v18, v18, v15
	v_mul_f32_e32 v18, 0x3fb8aa3b, v18
	v_exp_f32_e32 v18, v18
	ds_write_b32 v16, v18
	v_add_f32_e32 v14, v14, v18
	v_add_u32_e32 v16, 0x200, v16
	s_andn2_b64 exec, exec, s[34:35]
	s_cbranch_execnz .LBB20_25
; %bb.26:
	s_or_b64 exec, exec, s[34:35]
.LBB20_27:
	s_or_b64 exec, exec, s[30:31]
	ds_bpermute_b32 v4, v4, v14
	s_waitcnt lgkmcnt(0)
	v_add_f32_e32 v4, v14, v4
	ds_bpermute_b32 v5, v5, v4
	s_waitcnt lgkmcnt(0)
	v_add_f32_e32 v4, v4, v5
	ds_bpermute_b32 v5, v11, v4
	v_xor_b32_e32 v11, 2, v2
	v_cmp_lt_i32_e64 s[8:9], v11, v3
	s_waitcnt lgkmcnt(0)
	v_add_f32_e32 v4, v4, v5
	ds_bpermute_b32 v5, v12, v4
	v_cndmask_b32_e64 v2, v2, v11, s[8:9]
	v_lshlrev_b32_e32 v43, 2, v2
	s_waitcnt lgkmcnt(0)
	v_add_f32_e32 v3, v4, v5
	ds_bpermute_b32 v2, v43, v3
	s_waitcnt lgkmcnt(0)
	v_add_f32_e32 v2, v3, v2
	ds_bpermute_b32 v3, v42, v2
	s_waitcnt lgkmcnt(0)
	v_add_f32_e32 v2, v2, v3
	s_and_saveexec_b64 s[8:9], vcc
	s_cbranch_execz .LBB20_29
; %bb.28:
	ds_write_b32 v6, v2 offset:328
.LBB20_29:
	s_or_b64 exec, exec, s[8:9]
	s_waitcnt lgkmcnt(0)
	s_barrier
	s_and_saveexec_b64 s[8:9], s[0:1]
	s_cbranch_execz .LBB20_31
; %bb.30:
	ds_read_b32 v2, v10 offset:328
.LBB20_31:
	s_or_b64 exec, exec, s[8:9]
	s_waitcnt lgkmcnt(0)
	ds_bpermute_b32 v3, v42, v2
	s_waitcnt lgkmcnt(0)
	v_add_f32_e32 v2, v2, v3
	ds_bpermute_b32 v2, v13, v2
	s_and_saveexec_b64 s[0:1], s[6:7]
	s_cbranch_execz .LBB20_44
; %bb.32:
	s_waitcnt lgkmcnt(0)
	v_add_f32_e32 v2, 0x358637bd, v2
	v_div_scale_f32 v3, s[6:7], v2, v2, 1.0
	v_rcp_f32_e32 v4, v3
	v_div_scale_f32 v5, vcc, 1.0, v2, 1.0
	s_movk_i32 s6, 0x7f
	v_fma_f32 v6, -v3, v4, 1.0
	v_fmac_f32_e32 v4, v6, v4
	v_mul_f32_e32 v6, v5, v4
	v_fma_f32 v10, -v3, v6, v5
	v_fmac_f32_e32 v6, v10, v4
	v_fma_f32 v3, -v3, v6, v5
	v_div_fmas_f32 v3, v3, v4, v6
	v_xad_u32 v4, v0, -1, s15
	v_div_fixup_f32 v2, v3, v2, 1.0
	v_cmp_lt_u32_e32 vcc, s6, v4
	s_mov_b64 s[8:9], -1
	v_mov_b32_e32 v3, v0
	s_and_saveexec_b64 s[6:7], vcc
	s_cbranch_execz .LBB20_41
; %bb.33:
	v_lshrrev_b32_e32 v4, 7, v4
	v_add_u32_e32 v6, -1, v4
	v_lshrrev_b32_e32 v5, 1, v6
	v_mov_b32_e32 v3, v2
	v_add_u32_e32 v5, 1, v5
	v_cmp_lt_u32_e32 vcc, 13, v6
	v_mov_b32_e32 v11, 0
	s_and_saveexec_b64 s[8:9], vcc
	s_cbranch_execz .LBB20_37
; %bb.34:
	v_mov_b32_e32 v10, 0x150
	v_and_b32_e32 v6, -8, v5
	v_lshl_add_u32 v10, v0, 2, v10
	s_mov_b32 s34, 0
	s_mov_b64 s[30:31], 0
.LBB20_35:                              ; =>This Inner Loop Header: Depth=1
	ds_read2st64_b32 v[12:13], v10 offset1:2
	ds_read2st64_b32 v[14:15], v10 offset0:4 offset1:6
	ds_read2st64_b32 v[16:17], v10 offset0:8 offset1:10
	;; [unrolled: 1-line block ×3, first 2 shown]
	v_add_u32_e32 v6, -8, v6
	s_waitcnt lgkmcnt(3)
	v_pk_mul_f32 v[12:13], v[2:3], v[12:13]
	s_waitcnt lgkmcnt(2)
	v_pk_mul_f32 v[14:15], v[2:3], v[14:15]
	ds_write2st64_b32 v10, v12, v13 offset1:2
	ds_write2st64_b32 v10, v14, v15 offset0:4 offset1:6
	ds_read2st64_b32 v[14:15], v10 offset0:16 offset1:18
	s_waitcnt lgkmcnt(4)
	v_pk_mul_f32 v[12:13], v[2:3], v[16:17]
	ds_write2st64_b32 v10, v12, v13 offset0:8 offset1:10
	s_waitcnt lgkmcnt(4)
	v_pk_mul_f32 v[12:13], v[2:3], v[18:19]
	ds_write2st64_b32 v10, v12, v13 offset0:12 offset1:14
	ds_read2st64_b32 v[12:13], v10 offset0:20 offset1:22
	s_waitcnt lgkmcnt(3)
	v_pk_mul_f32 v[14:15], v[2:3], v[14:15]
	ds_read2st64_b32 v[16:17], v10 offset0:24 offset1:26
	ds_write2st64_b32 v10, v14, v15 offset0:16 offset1:18
	ds_read2st64_b32 v[14:15], v10 offset0:28 offset1:30
	s_waitcnt lgkmcnt(3)
	v_pk_mul_f32 v[12:13], v[2:3], v[12:13]
	ds_write2st64_b32 v10, v12, v13 offset0:20 offset1:22
	s_waitcnt lgkmcnt(3)
	v_pk_mul_f32 v[12:13], v[2:3], v[16:17]
	ds_write2st64_b32 v10, v12, v13 offset0:24 offset1:26
	s_waitcnt lgkmcnt(2)
	v_pk_mul_f32 v[12:13], v[2:3], v[14:15]
	s_add_i32 s34, s34, 16
	v_cmp_eq_u32_e32 vcc, 0, v6
	ds_write2st64_b32 v10, v12, v13 offset0:28 offset1:30
	v_add_u32_e32 v10, 0x2000, v10
	s_or_b64 s[30:31], vcc, s[30:31]
	v_mov_b32_e32 v11, s34
	s_andn2_b64 exec, exec, s[30:31]
	s_cbranch_execnz .LBB20_35
; %bb.36:
	s_or_b64 exec, exec, s[30:31]
.LBB20_37:
	s_or_b64 exec, exec, s[8:9]
	v_and_b32_e32 v5, 7, v5
	v_cmp_ne_u32_e32 vcc, 0, v5
	s_and_saveexec_b64 s[8:9], vcc
	s_cbranch_execz .LBB20_40
; %bb.38:
	v_lshlrev_b32_e32 v6, 9, v11
	s_movk_i32 s30, 0x150
	v_add3_u32 v6, v6, v8, s30
	s_mov_b64 s[30:31], 0
.LBB20_39:                              ; =>This Inner Loop Header: Depth=1
	ds_read2st64_b32 v[10:11], v6 offset1:2
	v_add_u32_e32 v5, -1, v5
	v_cmp_eq_u32_e32 vcc, 0, v5
	s_or_b64 s[30:31], vcc, s[30:31]
	s_waitcnt lgkmcnt(0)
	v_pk_mul_f32 v[10:11], v[2:3], v[10:11]
	ds_write2st64_b32 v6, v10, v11 offset1:2
	v_add_u32_e32 v6, 0x400, v6
	s_andn2_b64 exec, exec, s[30:31]
	s_cbranch_execnz .LBB20_39
.LBB20_40:
	s_or_b64 exec, exec, s[8:9]
	v_add_u32_e32 v4, 1, v4
	v_and_b32_e32 v5, 0x3fffffe, v4
	v_cmp_ne_u32_e32 vcc, v4, v5
	v_lshl_add_u32 v3, v5, 7, v0
	s_orn2_b64 s[8:9], vcc, exec
.LBB20_41:
	s_or_b64 exec, exec, s[6:7]
	s_and_b64 exec, exec, s[8:9]
	s_cbranch_execz .LBB20_44
; %bb.42:
	v_mov_b32_e32 v4, 0x150
	v_lshl_add_u32 v4, v3, 2, v4
	s_mov_b64 s[6:7], 0
.LBB20_43:                              ; =>This Inner Loop Header: Depth=1
	ds_read_b32 v5, v4
	v_add_u32_e32 v3, 0x80, v3
	v_cmp_le_i32_e32 vcc, s15, v3
	s_or_b64 s[6:7], vcc, s[6:7]
	s_waitcnt lgkmcnt(0)
	v_mul_f32_e32 v5, v2, v5
	ds_write_b32 v4, v5
	v_add_u32_e32 v4, 0x200, v4
	s_andn2_b64 exec, exec, s[6:7]
	s_cbranch_execnz .LBB20_43
.LBB20_44:
	s_or_b64 exec, exec, s[0:1]
	s_mov_b32 s8, 0
	v_mov_b32_e32 v6, 0
	v_mov_b32_e32 v5, 0
	v_mov_b32_e32 v4, 0
	v_mov_b32_e32 v3, 0
	s_waitcnt lgkmcnt(0)
	v_mov_b32_e32 v2, 0
	s_barrier
	s_and_saveexec_b64 s[6:7], s[2:3]
	s_cbranch_execz .LBB20_60
; %bb.45:
	s_ashr_i32 s15, s14, 31
	s_sub_i32 s17, s12, s17
	s_lshl_b64 s[0:1], s[14:15], 2
	s_add_u32 s2, s28, s0
	s_addc_u32 s3, s29, s1
	s_abs_i32 s18, s18
	v_cvt_f32_u32_e32 v2, s18
	s_sub_i32 s0, 0, s18
	s_add_i32 s28, s41, -1
	v_and_b32_e32 v44, 12, v8
	v_rcp_iflag_f32_e32 v2, v2
	v_and_b32_e32 v8, 0xfc, v8
	v_mov_b32_e32 v33, 0
	v_or_b32_e32 v10, 0x400, v8
	v_mul_f32_e32 v2, 0x4f7ffffe, v2
	v_cvt_u32_f32_e32 v2, v2
	v_and_b32_e32 v32, 60, v9
	s_mov_b32 s9, s8
	s_mov_b32 s12, s8
	v_mul_lo_u32 v3, s0, v2
	v_mul_hi_u32 v3, v2, v3
	v_add_u32_e32 v45, v2, v3
	s_lshl_b64 s[0:1], s[26:27], 2
	v_lshlrev_b32_e32 v2, 4, v39
	s_add_u32 s0, s10, s0
	v_lshl_or_b32 v2, v7, 6, v2
	s_addc_u32 s1, s11, s1
	v_add_u32_e32 v46, 0x150, v2
	s_mov_b32 s10, s8
	s_mov_b32 s11, s8
	v_mov_b32_e32 v2, s8
	v_lshl_add_u64 v[34:35], s[0:1], 0, v[32:33]
	s_mov_b64 s[14:15], 0
	v_mov_b32_e32 v3, s9
	v_mov_b32_e32 v4, s10
	;; [unrolled: 1-line block ×4, first 2 shown]
	v_lshlrev_b32_e32 v36, 2, v8
	v_lshlrev_b32_e32 v32, 2, v10
	s_branch .LBB20_48
.LBB20_46:                              ;   in Loop: Header=BB20_48 Depth=1
	s_or_b64 exec, exec, s[0:1]
	s_waitcnt vmcnt(4) lgkmcnt(0)
	v_mul_f32_e32 v13, v9, v13
	v_fmac_f32_e32 v13, v8, v12
	s_waitcnt vmcnt(3)
	v_mul_f32_e32 v12, v9, v17
	v_fmac_f32_e32 v12, v8, v16
	v_fmac_f32_e32 v12, v10, v18
	;; [unrolled: 1-line block ×3, first 2 shown]
	v_add_f32_e32 v3, v3, v12
	s_waitcnt vmcnt(2)
	v_mul_f32_e32 v12, v9, v21
	v_fmac_f32_e32 v12, v8, v20
	v_fmac_f32_e32 v12, v10, v22
	v_fmac_f32_e32 v12, v11, v23
	v_add_f32_e32 v4, v4, v12
	s_waitcnt vmcnt(1)
	v_mul_f32_e32 v12, v9, v25
	s_waitcnt vmcnt(0)
	v_mul_f32_e32 v9, v9, v29
	v_fmac_f32_e32 v12, v8, v24
	v_fmac_f32_e32 v9, v8, v28
	v_fmac_f32_e32 v13, v10, v14
	v_fmac_f32_e32 v12, v10, v26
	v_fmac_f32_e32 v9, v10, v30
	v_fmac_f32_e32 v13, v11, v15
	v_fmac_f32_e32 v12, v11, v27
	v_fmac_f32_e32 v9, v11, v31
	v_add_f32_e32 v2, v2, v13
	v_add_f32_e32 v5, v5, v12
	;; [unrolled: 1-line block ×3, first 2 shown]
.LBB20_47:                              ;   in Loop: Header=BB20_48 Depth=1
	s_or_b64 exec, exec, s[8:9]
	v_add_u32_e32 v7, 2, v7
	v_cmp_le_i32_e32 vcc, s41, v7
	v_lshl_add_u64 v[34:35], v[34:35], 0, 8
	v_add_u32_e32 v40, 32, v40
	s_or_b64 s[14:15], vcc, s[14:15]
	v_add_u32_e32 v46, 0x80, v46
	s_andn2_b64 exec, exec, s[14:15]
	s_cbranch_execz .LBB20_59
.LBB20_48:                              ; =>This Inner Loop Header: Depth=1
	v_mul_hi_u32 v8, v40, s33
	v_mul_lo_u32 v9, v8, s23
	v_sub_u32_e32 v9, v40, v9
	v_add_u32_e32 v10, 1, v8
	v_cmp_le_u32_e32 vcc, s23, v9
	s_nop 1
	v_cndmask_b32_e32 v8, v8, v10, vcc
	v_subrev_u32_e32 v10, s23, v9
	v_cndmask_b32_e32 v9, v9, v10, vcc
	v_add_u32_e32 v10, 1, v8
	v_cmp_le_u32_e32 vcc, s23, v9
	s_nop 1
	v_cndmask_b32_e32 v8, v8, v10, vcc
	v_xor_b32_e32 v8, s19, v8
	v_subrev_u32_e32 v8, s19, v8
	v_add_u32_e32 v9, s40, v8
	v_sub_u32_e32 v11, 0, v9
	v_ashrrev_i32_e32 v10, 31, v9
	v_max_i32_e32 v9, v9, v11
	v_mul_hi_u32 v11, v9, v45
	v_mul_lo_u32 v11, v11, s18
	v_sub_u32_e32 v9, v9, v11
	v_subrev_u32_e32 v11, s18, v9
	v_cmp_le_u32_e32 vcc, s18, v9
	v_cmp_lt_i32_e64 s[0:1], s17, v8
	s_nop 0
	v_cndmask_b32_e32 v9, v9, v11, vcc
	v_subrev_u32_e32 v11, s18, v9
	v_cmp_le_u32_e32 vcc, s18, v9
	s_nop 1
	v_cndmask_b32_e32 v9, v9, v11, vcc
	v_xor_b32_e32 v9, v9, v10
	v_sub_u32_e32 v9, v9, v10
	v_cmp_eq_u32_e32 vcc, 0, v9
	s_or_b64 s[0:1], vcc, s[0:1]
	s_and_saveexec_b64 s[8:9], s[0:1]
	s_cbranch_execz .LBB20_47
; %bb.49:                               ;   in Loop: Header=BB20_48 Depth=1
	global_load_dword v8, v[34:35], off
	v_mov_b32_e32 v37, v33
	v_cmp_eq_u32_e32 vcc, s28, v7
	s_waitcnt vmcnt(0)
	v_mad_i64_i32 v[8:9], s[0:1], v8, s13, 0
	v_lshl_add_u64 v[28:29], v[8:9], 2, s[2:3]
	v_lshl_add_u64 v[24:25], v[28:29], 0, v[36:37]
	global_load_dwordx4 v[12:15], v[24:25], off
	ds_read_b128 v[8:11], v46
	v_add_u32_e32 v37, v44, v40
	v_add_u32_e32 v49, 1, v37
	;; [unrolled: 1-line block ×4, first 2 shown]
	s_and_saveexec_b64 s[10:11], vcc
	s_cbranch_execnz .LBB20_56
; %bb.50:                               ;   in Loop: Header=BB20_48 Depth=1
	s_or_b64 exec, exec, s[10:11]
	global_load_dwordx4 v[16:19], v[24:25], off offset:1024
	s_and_saveexec_b64 s[10:11], vcc
	s_cbranch_execnz .LBB20_57
.LBB20_51:                              ;   in Loop: Header=BB20_48 Depth=1
	s_or_b64 exec, exec, s[10:11]
	global_load_dwordx4 v[20:23], v[24:25], off offset:2048
	s_and_saveexec_b64 s[10:11], vcc
	s_cbranch_execnz .LBB20_58
.LBB20_52:                              ;   in Loop: Header=BB20_48 Depth=1
	s_or_b64 exec, exec, s[10:11]
	global_load_dwordx4 v[24:27], v[24:25], off offset:3072
	s_and_saveexec_b64 s[10:11], vcc
	s_cbranch_execz .LBB20_54
.LBB20_53:                              ;   in Loop: Header=BB20_48 Depth=1
	v_cmp_gt_i32_e64 s[0:1], s21, v37
	s_waitcnt vmcnt(0)
	s_nop 0
	v_cndmask_b32_e64 v24, 0, v24, s[0:1]
	v_cmp_gt_i32_e64 s[0:1], s21, v49
	s_nop 1
	v_cndmask_b32_e64 v25, 0, v25, s[0:1]
	v_cmp_gt_i32_e64 s[0:1], s21, v48
	;; [unrolled: 3-line block ×3, first 2 shown]
	s_nop 1
	v_cndmask_b32_e64 v27, 0, v27, s[0:1]
.LBB20_54:                              ;   in Loop: Header=BB20_48 Depth=1
	s_or_b64 exec, exec, s[10:11]
	v_lshl_add_u64 v[28:29], v[28:29], 0, v[32:33]
	global_load_dwordx4 v[28:31], v[28:29], off
	s_and_saveexec_b64 s[0:1], vcc
	s_cbranch_execz .LBB20_46
; %bb.55:                               ;   in Loop: Header=BB20_48 Depth=1
	v_cmp_gt_i32_e32 vcc, s21, v37
	s_waitcnt vmcnt(0)
	s_nop 0
	v_cndmask_b32_e32 v28, 0, v28, vcc
	v_cmp_gt_i32_e32 vcc, s21, v49
	s_nop 1
	v_cndmask_b32_e32 v29, 0, v29, vcc
	v_cmp_gt_i32_e32 vcc, s21, v48
	;; [unrolled: 3-line block ×3, first 2 shown]
	s_nop 1
	v_cndmask_b32_e32 v31, 0, v31, vcc
	s_branch .LBB20_46
.LBB20_56:                              ;   in Loop: Header=BB20_48 Depth=1
	v_cmp_gt_i32_e64 s[0:1], s21, v37
	s_waitcnt vmcnt(0)
	s_nop 0
	v_cndmask_b32_e64 v12, 0, v12, s[0:1]
	v_cmp_gt_i32_e64 s[0:1], s21, v49
	s_nop 1
	v_cndmask_b32_e64 v13, 0, v13, s[0:1]
	v_cmp_gt_i32_e64 s[0:1], s21, v48
	;; [unrolled: 3-line block ×3, first 2 shown]
	s_nop 1
	v_cndmask_b32_e64 v15, 0, v15, s[0:1]
	s_or_b64 exec, exec, s[10:11]
	global_load_dwordx4 v[16:19], v[24:25], off offset:1024
	s_and_saveexec_b64 s[10:11], vcc
	s_cbranch_execz .LBB20_51
.LBB20_57:                              ;   in Loop: Header=BB20_48 Depth=1
	v_cmp_gt_i32_e64 s[0:1], s21, v37
	s_waitcnt vmcnt(0)
	s_nop 0
	v_cndmask_b32_e64 v16, 0, v16, s[0:1]
	v_cmp_gt_i32_e64 s[0:1], s21, v49
	s_nop 1
	v_cndmask_b32_e64 v17, 0, v17, s[0:1]
	v_cmp_gt_i32_e64 s[0:1], s21, v48
	;; [unrolled: 3-line block ×3, first 2 shown]
	s_nop 1
	v_cndmask_b32_e64 v19, 0, v19, s[0:1]
	s_or_b64 exec, exec, s[10:11]
	global_load_dwordx4 v[20:23], v[24:25], off offset:2048
	s_and_saveexec_b64 s[10:11], vcc
	s_cbranch_execz .LBB20_52
.LBB20_58:                              ;   in Loop: Header=BB20_48 Depth=1
	v_cmp_gt_i32_e64 s[0:1], s21, v37
	s_waitcnt vmcnt(0)
	s_nop 0
	v_cndmask_b32_e64 v20, 0, v20, s[0:1]
	v_cmp_gt_i32_e64 s[0:1], s21, v49
	s_nop 1
	v_cndmask_b32_e64 v21, 0, v21, s[0:1]
	v_cmp_gt_i32_e64 s[0:1], s21, v48
	;; [unrolled: 3-line block ×3, first 2 shown]
	s_nop 1
	v_cndmask_b32_e64 v23, 0, v23, s[0:1]
	s_or_b64 exec, exec, s[10:11]
	global_load_dwordx4 v[24:27], v[24:25], off offset:3072
	s_and_saveexec_b64 s[10:11], vcc
	s_cbranch_execnz .LBB20_53
	s_branch .LBB20_54
.LBB20_59:
	s_or_b64 exec, exec, s[14:15]
.LBB20_60:
	s_or_b64 exec, exec, s[6:7]
	ds_bpermute_b32 v8, v43, v2
	ds_bpermute_b32 v9, v43, v3
	;; [unrolled: 1-line block ×5, first 2 shown]
	s_waitcnt lgkmcnt(0)
	v_pk_add_f32 v[2:3], v[2:3], v[8:9]
	ds_bpermute_b32 v8, v42, v2
	v_pk_add_f32 v[4:5], v[4:5], v[10:11]
	ds_bpermute_b32 v9, v42, v3
	ds_bpermute_b32 v10, v42, v4
	;; [unrolled: 1-line block ×3, first 2 shown]
	v_add_f32_e32 v12, v6, v7
	ds_bpermute_b32 v13, v42, v12
	s_waitcnt lgkmcnt(3)
	v_pk_add_f32 v[6:7], v[2:3], v[8:9]
	s_barrier
	s_waitcnt lgkmcnt(1)
	v_pk_add_f32 v[2:3], v[4:5], v[10:11]
	v_and_b32_e32 v5, 0x3c3, v0
	s_waitcnt lgkmcnt(0)
	v_add_f32_e32 v4, v12, v13
	v_cmp_eq_u32_e32 vcc, 64, v5
	s_and_saveexec_b64 s[0:1], vcc
	s_cbranch_execz .LBB20_62
; %bb.61:
	v_add_u32_e32 v8, 0x150, v41
	ds_write2_b32 v8, v6, v7 offset1:16
	ds_write2_b32 v8, v2, v3 offset0:32 offset1:48
	ds_write_b32 v8, v4 offset:256
.LBB20_62:
	s_or_b64 exec, exec, s[0:1]
	v_cmp_gt_u32_e32 vcc, 64, v0
	s_waitcnt lgkmcnt(0)
	s_barrier
	s_and_saveexec_b64 s[0:1], vcc
	s_cbranch_execz .LBB20_70
; %bb.63:
	v_cmp_eq_u32_e32 vcc, 0, v39
	s_and_saveexec_b64 s[2:3], vcc
	s_cbranch_execnz .LBB20_73
; %bb.64:
	s_or_b64 exec, exec, s[2:3]
	s_and_saveexec_b64 s[2:3], vcc
	s_cbranch_execnz .LBB20_74
.LBB20_65:
	s_or_b64 exec, exec, s[2:3]
	s_and_saveexec_b64 s[2:3], vcc
	s_cbranch_execnz .LBB20_75
.LBB20_66:
	s_or_b64 exec, exec, s[2:3]
	s_and_saveexec_b64 s[2:3], vcc
	s_cbranch_execnz .LBB20_76
.LBB20_67:
	s_or_b64 exec, exec, s[2:3]
	s_and_saveexec_b64 s[2:3], vcc
	s_cbranch_execz .LBB20_69
.LBB20_68:
	v_mov_b32_e32 v0, 0x150
	v_lshl_add_u32 v0, v38, 2, v0
	ds_read_b32 v0, v0 offset:256
	s_waitcnt lgkmcnt(0)
	v_add_f32_e32 v4, v4, v0
.LBB20_69:
	s_or_b64 exec, exec, s[2:3]
.LBB20_70:
	s_or_b64 exec, exec, s[0:1]
	v_cmp_eq_u32_e32 vcc, 0, v5
	s_barrier
	s_and_saveexec_b64 s[0:1], vcc
	s_cbranch_execz .LBB20_72
; %bb.71:
	s_mul_i32 s0, s20, s16
	s_mul_i32 s0, s0, s5
	s_mulk_i32 s0, 0x50
	s_ashr_i32 s1, s0, 31
	s_lshl_b64 s[0:1], s[0:1], 2
	s_add_u32 s2, s24, s0
	s_mul_i32 s0, s16, s22
	s_addc_u32 s3, s25, s1
	s_ashr_i32 s1, s0, 31
	s_lshl_b64 s[0:1], s[0:1], 2
	s_add_u32 s2, s2, s0
	s_mul_i32 s0, s4, 0x50
	s_addc_u32 s3, s3, s1
	s_ashr_i32 s1, s0, 31
	s_lshl_b64 s[0:1], s[0:1], 2
	s_add_u32 s0, s2, s0
	s_addc_u32 s1, s3, s1
	global_store_dword v1, v6, s[0:1]
	global_store_dword v1, v7, s[0:1] offset:64
	global_store_dword v1, v2, s[0:1] offset:128
	;; [unrolled: 1-line block ×4, first 2 shown]
.LBB20_72:
	s_endpgm
.LBB20_73:
	v_mov_b32_e32 v0, 0x150
	v_lshl_add_u32 v0, v38, 2, v0
	ds_read_b32 v0, v0
	s_waitcnt lgkmcnt(0)
	v_add_f32_e32 v6, v6, v0
	s_or_b64 exec, exec, s[2:3]
	s_and_saveexec_b64 s[2:3], vcc
	s_cbranch_execz .LBB20_65
.LBB20_74:
	v_mov_b32_e32 v0, 0x150
	v_lshl_add_u32 v0, v38, 2, v0
	ds_read_b32 v0, v0 offset:64
	s_waitcnt lgkmcnt(0)
	v_add_f32_e32 v7, v7, v0
	s_or_b64 exec, exec, s[2:3]
	s_and_saveexec_b64 s[2:3], vcc
	s_cbranch_execz .LBB20_66
.LBB20_75:
	v_mov_b32_e32 v0, 0x150
	v_lshl_add_u32 v0, v38, 2, v0
	ds_read_b32 v0, v0 offset:128
	s_waitcnt lgkmcnt(0)
	v_add_f32_e32 v2, v2, v0
	s_or_b64 exec, exec, s[2:3]
	s_and_saveexec_b64 s[2:3], vcc
	s_cbranch_execz .LBB20_67
.LBB20_76:
	v_mov_b32_e32 v0, 0x150
	v_lshl_add_u32 v0, v38, 2, v0
	ds_read_b32 v0, v0 offset:192
	s_waitcnt lgkmcnt(0)
	v_add_f32_e32 v3, v3, v0
	s_or_b64 exec, exec, s[2:3]
	s_and_saveexec_b64 s[2:3], vcc
	s_cbranch_execnz .LBB20_68
	s_branch .LBB20_69
	.section	.rodata,"a",@progbits
	.p2align	6, 0x0
	.amdhsa_kernel _ZN4vllm25paged_attention_v1_kernelIffLi80ELi16ELi128ELNS_18Fp8KVCacheDataTypeE0ELb1EEEvPT_PKS2_PKT0_S8_ifPKiSA_iPKfiiiSC_SC_iiiii
		.amdhsa_group_segment_fixed_size 336
		.amdhsa_private_segment_fixed_size 0
		.amdhsa_kernarg_size 384
		.amdhsa_user_sgpr_count 2
		.amdhsa_user_sgpr_dispatch_ptr 0
		.amdhsa_user_sgpr_queue_ptr 0
		.amdhsa_user_sgpr_kernarg_segment_ptr 1
		.amdhsa_user_sgpr_dispatch_id 0
		.amdhsa_user_sgpr_kernarg_preload_length 0
		.amdhsa_user_sgpr_kernarg_preload_offset 0
		.amdhsa_user_sgpr_private_segment_size 0
		.amdhsa_uses_dynamic_stack 0
		.amdhsa_enable_private_segment 0
		.amdhsa_system_sgpr_workgroup_id_x 1
		.amdhsa_system_sgpr_workgroup_id_y 1
		.amdhsa_system_sgpr_workgroup_id_z 1
		.amdhsa_system_sgpr_workgroup_info 0
		.amdhsa_system_vgpr_workitem_id 0
		.amdhsa_next_free_vgpr 67
		.amdhsa_next_free_sgpr 45
		.amdhsa_accum_offset 68
		.amdhsa_reserve_vcc 1
		.amdhsa_float_round_mode_32 0
		.amdhsa_float_round_mode_16_64 0
		.amdhsa_float_denorm_mode_32 3
		.amdhsa_float_denorm_mode_16_64 3
		.amdhsa_dx10_clamp 1
		.amdhsa_ieee_mode 1
		.amdhsa_fp16_overflow 0
		.amdhsa_tg_split 0
		.amdhsa_exception_fp_ieee_invalid_op 0
		.amdhsa_exception_fp_denorm_src 0
		.amdhsa_exception_fp_ieee_div_zero 0
		.amdhsa_exception_fp_ieee_overflow 0
		.amdhsa_exception_fp_ieee_underflow 0
		.amdhsa_exception_fp_ieee_inexact 0
		.amdhsa_exception_int_div_zero 0
	.end_amdhsa_kernel
	.section	.text._ZN4vllm25paged_attention_v1_kernelIffLi80ELi16ELi128ELNS_18Fp8KVCacheDataTypeE0ELb1EEEvPT_PKS2_PKT0_S8_ifPKiSA_iPKfiiiSC_SC_iiiii,"axG",@progbits,_ZN4vllm25paged_attention_v1_kernelIffLi80ELi16ELi128ELNS_18Fp8KVCacheDataTypeE0ELb1EEEvPT_PKS2_PKT0_S8_ifPKiSA_iPKfiiiSC_SC_iiiii,comdat
.Lfunc_end20:
	.size	_ZN4vllm25paged_attention_v1_kernelIffLi80ELi16ELi128ELNS_18Fp8KVCacheDataTypeE0ELb1EEEvPT_PKS2_PKT0_S8_ifPKiSA_iPKfiiiSC_SC_iiiii, .Lfunc_end20-_ZN4vllm25paged_attention_v1_kernelIffLi80ELi16ELi128ELNS_18Fp8KVCacheDataTypeE0ELb1EEEvPT_PKS2_PKT0_S8_ifPKiSA_iPKfiiiSC_SC_iiiii
                                        ; -- End function
	.section	.AMDGPU.csdata,"",@progbits
; Kernel info:
; codeLenInByte = 5056
; NumSgprs: 51
; NumVgprs: 67
; NumAgprs: 0
; TotalNumVgprs: 67
; ScratchSize: 0
; MemoryBound: 0
; FloatMode: 240
; IeeeMode: 1
; LDSByteSize: 336 bytes/workgroup (compile time only)
; SGPRBlocks: 6
; VGPRBlocks: 8
; NumSGPRsForWavesPerEU: 51
; NumVGPRsForWavesPerEU: 67
; AccumOffset: 68
; Occupancy: 7
; WaveLimiterHint : 1
; COMPUTE_PGM_RSRC2:SCRATCH_EN: 0
; COMPUTE_PGM_RSRC2:USER_SGPR: 2
; COMPUTE_PGM_RSRC2:TRAP_HANDLER: 0
; COMPUTE_PGM_RSRC2:TGID_X_EN: 1
; COMPUTE_PGM_RSRC2:TGID_Y_EN: 1
; COMPUTE_PGM_RSRC2:TGID_Z_EN: 1
; COMPUTE_PGM_RSRC2:TIDIG_COMP_CNT: 0
; COMPUTE_PGM_RSRC3_GFX90A:ACCUM_OFFSET: 16
; COMPUTE_PGM_RSRC3_GFX90A:TG_SPLIT: 0
	.section	.text._ZN4vllm25paged_attention_v1_kernelIffLi96ELi16ELi128ELNS_18Fp8KVCacheDataTypeE0ELb1EEEvPT_PKS2_PKT0_S8_ifPKiSA_iPKfiiiSC_SC_iiiii,"axG",@progbits,_ZN4vllm25paged_attention_v1_kernelIffLi96ELi16ELi128ELNS_18Fp8KVCacheDataTypeE0ELb1EEEvPT_PKS2_PKT0_S8_ifPKiSA_iPKfiiiSC_SC_iiiii,comdat
	.protected	_ZN4vllm25paged_attention_v1_kernelIffLi96ELi16ELi128ELNS_18Fp8KVCacheDataTypeE0ELb1EEEvPT_PKS2_PKT0_S8_ifPKiSA_iPKfiiiSC_SC_iiiii ; -- Begin function _ZN4vllm25paged_attention_v1_kernelIffLi96ELi16ELi128ELNS_18Fp8KVCacheDataTypeE0ELb1EEEvPT_PKS2_PKT0_S8_ifPKiSA_iPKfiiiSC_SC_iiiii
	.globl	_ZN4vllm25paged_attention_v1_kernelIffLi96ELi16ELi128ELNS_18Fp8KVCacheDataTypeE0ELb1EEEvPT_PKS2_PKT0_S8_ifPKiSA_iPKfiiiSC_SC_iiiii
	.p2align	8
	.type	_ZN4vllm25paged_attention_v1_kernelIffLi96ELi16ELi128ELNS_18Fp8KVCacheDataTypeE0ELb1EEEvPT_PKS2_PKT0_S8_ifPKiSA_iPKfiiiSC_SC_iiiii,@function
_ZN4vllm25paged_attention_v1_kernelIffLi96ELi16ELi128ELNS_18Fp8KVCacheDataTypeE0ELb1EEEvPT_PKS2_PKT0_S8_ifPKiSA_iPKfiiiSC_SC_iiiii: ; @_ZN4vllm25paged_attention_v1_kernelIffLi96ELi16ELi128ELNS_18Fp8KVCacheDataTypeE0ELb1EEEvPT_PKS2_PKT0_S8_ifPKiSA_iPKfiiiSC_SC_iiiii
; %bb.0:
	s_load_dword s5, s[0:1], 0x80
	s_load_dwordx2 s[6:7], s[0:1], 0x30
	s_load_dwordx2 s[30:31], s[0:1], 0x20
	s_mov_b32 s20, s3
	s_ashr_i32 s21, s3, 31
	s_lshl_b64 s[8:9], s[20:21], 2
	s_waitcnt lgkmcnt(0)
	s_add_u32 s6, s6, s8
	s_addc_u32 s7, s7, s9
	s_abs_i32 s3, s30
	v_cvt_f32_u32_e32 v1, s3
	s_sub_i32 s10, 0, s3
	s_abs_i32 s9, s5
	s_xor_b32 s8, s5, s30
	v_rcp_iflag_f32_e32 v1, v1
	s_ashr_i32 s8, s8, 31
	s_mov_b32 s42, 0
	v_mul_f32_e32 v1, 0x4f7ffffe, v1
	v_cvt_u32_f32_e32 v1, v1
	s_nop 0
	v_readfirstlane_b32 s11, v1
	s_mul_i32 s10, s10, s11
	s_mul_hi_u32 s10, s11, s10
	s_add_i32 s11, s11, s10
	s_mul_hi_u32 s10, s9, s11
	s_mul_i32 s11, s10, s3
	s_sub_i32 s9, s9, s11
	s_add_i32 s11, s10, 1
	s_sub_i32 s12, s9, s3
	s_cmp_ge_u32 s9, s3
	s_cselect_b32 s10, s11, s10
	s_cselect_b32 s9, s12, s9
	s_add_i32 s11, s10, 1
	s_cmp_ge_u32 s9, s3
	s_cselect_b32 s3, s11, s10
	s_xor_b32 s3, s3, s8
	s_sub_i32 s12, s3, s8
	s_abs_i32 s10, s12
	v_cvt_f32_u32_e32 v1, s10
	s_load_dwordx2 s[8:9], s[0:1], 0x40
	s_sub_i32 s3, 0, s10
	s_abs_i32 s11, s2
	v_rcp_iflag_f32_e32 v1, v1
	s_nop 0
	v_mul_f32_e32 v1, 0x4f7ffffe, v1
	v_cvt_u32_f32_e32 v1, v1
	s_nop 0
	v_readfirstlane_b32 s13, v1
	s_mul_i32 s3, s3, s13
	s_mul_hi_u32 s3, s13, s3
	s_add_i32 s13, s13, s3
	s_waitcnt lgkmcnt(0)
	s_cmp_eq_u64 s[8:9], 0
	s_mul_hi_u32 s24, s11, s13
	s_cbranch_scc1 .LBB21_2
; %bb.1:
	s_ashr_i32 s3, s2, 31
	s_lshl_b64 s[14:15], s[2:3], 2
	s_add_u32 s8, s8, s14
	s_addc_u32 s9, s9, s15
	s_load_dword s42, s[8:9], 0x0
.LBB21_2:
	s_load_dword s21, s[6:7], 0x0
	s_ashr_i32 s9, s12, 31
	s_load_dwordx4 s[12:15], s[0:1], 0x48
	v_lshrrev_b32_e32 v44, 2, v0
	s_movk_i32 s8, 0x60
	s_ashr_i32 s3, s2, 31
	v_and_b32_e32 v45, 3, v0
	s_mul_i32 s22, s2, 0x60
	v_cmp_gt_u32_e32 vcc, s8, v0
	v_lshlrev_b32_e32 v8, 2, v0
	v_lshlrev_b32_e32 v1, 2, v44
	s_and_saveexec_b64 s[6:7], vcc
	s_cbranch_execz .LBB21_4
; %bb.3:
	s_load_dwordx2 s[16:17], s[0:1], 0x8
	s_waitcnt lgkmcnt(0)
	s_mul_i32 s18, s20, s12
	s_ashr_i32 s19, s18, 31
	s_lshl_b64 s[18:19], s[18:19], 2
	v_mad_u32_u24 v3, v45, s8, v1
	s_add_u32 s12, s16, s18
	s_addc_u32 s15, s17, s19
	s_ashr_i32 s23, s22, 31
	s_lshl_b64 s[16:17], s[22:23], 2
	s_add_u32 s16, s12, s16
	s_addc_u32 s17, s15, s17
	global_load_dword v2, v8, s[16:17]
	s_waitcnt vmcnt(0)
	ds_write_b32 v3, v2
.LBB21_4:
	s_or_b64 exec, exec, s[6:7]
	s_mul_i32 s6, s24, s10
	s_sub_i32 s6, s11, s6
	s_xor_b32 s3, s3, s9
	s_add_i32 s7, s24, 1
	s_sub_i32 s9, s6, s10
	s_load_dwordx4 s[16:19], s[0:1], 0x68
	s_load_dword s8, s[0:1], 0x78
	s_cmp_ge_u32 s6, s10
	s_cselect_b32 s7, s7, s24
	s_cselect_b32 s6, s9, s6
	s_add_i32 s9, s7, 1
	s_cmp_ge_u32 s6, s10
	s_cselect_b32 s6, s9, s7
	s_waitcnt lgkmcnt(0)
	s_abs_i32 s23, s19
	v_cvt_f32_u32_e32 v2, s23
	s_xor_b32 s6, s6, s3
	s_sub_i32 s3, s6, s3
	s_sub_i32 s6, 0, s23
	v_rcp_iflag_f32_e32 v2, v2
	s_add_i32 s15, s21, -1
	s_abs_i32 s9, s15
	v_mul_f32_e32 v2, 0x4f7ffffe, v2
	v_cvt_u32_f32_e32 v2, v2
	s_barrier
	v_readfirstlane_b32 s33, v2
	s_mul_i32 s6, s6, s33
	s_mul_hi_u32 s6, s33, s6
	s_add_i32 s33, s33, s6
	s_cmp_lt_i32 s8, 0
	s_mul_hi_u32 s12, s9, s33
	s_cbranch_scc0 .LBB21_6
; %bb.5:
	s_mul_i32 s6, s16, s30
	s_add_i32 s6, s3, s6
	s_mul_i32 s6, s6, s8
	s_sub_i32 s40, 1, s6
	s_mov_b64 s[6:7], 0
	s_branch .LBB21_7
.LBB21_6:
	s_mov_b64 s[6:7], -1
                                        ; implicit-def: $sgpr40
.LBB21_7:
	s_load_dwordx2 s[10:11], s[0:1], 0x28
	s_ashr_i32 s15, s15, 31
	s_andn2_b64 vcc, exec, s[6:7]
	s_ashr_i32 s19, s19, 31
	s_cbranch_vccnz .LBB21_9
; %bb.8:
	s_mul_i32 s6, s5, s16
	s_add_i32 s2, s6, s2
	s_mul_i32 s2, s2, s8
	s_add_i32 s40, s2, 1
.LBB21_9:
	s_load_dword s2, s[0:1], 0x38
	s_load_dwordx2 s[24:25], s[0:1], 0x0
	s_load_dwordx2 s[28:29], s[0:1], 0x18
	s_load_dword s16, s[0:1], 0x88
	s_xor_b32 s6, s15, s19
	s_waitcnt lgkmcnt(0)
	s_mul_i32 s26, s20, s2
	s_mul_i32 s2, s12, s23
	s_sub_i32 s2, s9, s2
	s_ashr_i32 s27, s26, 31
	s_add_i32 s7, s12, 1
	s_sub_i32 s8, s2, s23
	s_cmp_ge_u32 s2, s23
	s_cselect_b32 s7, s7, s12
	s_cselect_b32 s2, s8, s2
	s_add_i32 s8, s7, 1
	s_cmp_ge_u32 s2, s23
	s_cselect_b32 s2, s8, s7
	s_xor_b32 s2, s2, s6
	s_sub_i32 s12, s2, s6
	s_add_i32 s2, s21, 15
	s_ashr_i32 s6, s2, 31
	s_lshr_b32 s6, s6, 28
	s_add_i32 s2, s2, s6
	s_ashr_i32 s41, s2, 4
	v_lshrrev_b32_e32 v46, 6, v0
	v_cmp_gt_i32_e64 s[6:7], s41, v46
	v_mov_b32_e32 v11, 0xff7fffff
	s_mul_i32 s14, s3, s14
	v_lshrrev_b32_e32 v9, 4, v0
	v_lshlrev_b32_e32 v47, 4, v46
	v_mbcnt_lo_u32_b32 v6, -1, 0
	s_and_saveexec_b64 s[34:35], s[6:7]
	s_cbranch_execz .LBB21_19
; %bb.10:
	s_load_dwordx2 s[0:1], s[0:1], 0x10
	s_ashr_i32 s15, s14, 31
	s_sub_i32 s30, s12, s17
	s_lshl_b64 s[2:3], s[14:15], 2
	v_bfe_u32 v7, v0, 2, 4
	s_waitcnt lgkmcnt(0)
	s_add_u32 s0, s0, s2
	s_addc_u32 s1, s1, s3
	s_abs_i32 s15, s18
	v_cvt_f32_u32_e32 v2, s15
	v_lshlrev_b32_e32 v4, 4, v7
	v_mov_b32_e32 v5, 0
	v_lshlrev_b32_e32 v11, 2, v7
	v_rcp_iflag_f32_e32 v10, v2
	v_lshl_add_u64 v[2:3], s[0:1], 0, v[4:5]
	v_lshlrev_b32_e32 v4, 2, v45
	v_lshl_add_u64 v[2:3], v[2:3], 0, v[4:5]
	v_mul_f32_e32 v4, 0x4f7ffffe, v10
	v_cvt_u32_f32_e32 v4, v4
	s_sub_i32 s0, 0, s15
	v_lshl_or_b32 v11, v46, 6, v11
	v_add_u32_e32 v14, 0x190, v11
	v_mul_lo_u32 v12, s0, v4
	s_lshl_b64 s[0:1], s[26:27], 2
	v_mul_hi_u32 v12, v4, v12
	s_add_u32 s0, s10, s0
	v_subrev_u32_e32 v11, s21, v7
	v_mbcnt_hi_u32_b32 v17, -1, v6
	v_add_u32_e32 v12, v4, v12
	v_and_b32_e32 v4, 60, v9
	s_addc_u32 s1, s11, s1
	v_add_u32_e32 v15, 1, v11
	v_and_b32_e32 v11, 64, v17
	v_cmp_eq_u32_e32 vcc, 0, v45
	s_mov_b32 s43, s13
	v_mul_u32_u24_e32 v10, 0x60, v45
	v_cmp_neq_f32_e64 s[2:3], s42, 0
	v_lshl_add_u64 v[4:5], s[0:1], 0, v[4:5]
	v_lshlrev_b32_e32 v13, 4, v46
	s_mov_b64 s[36:37], 0
	v_mov_b32_e32 v16, 0xff7fffff
	s_movk_i32 s44, 0x1000
	v_add_u32_e32 v18, 64, v11
	v_xor_b32_e32 v19, 2, v17
	v_xor_b32_e32 v20, 1, v17
	v_mov_b32_e32 v11, 0xff7fffff
	v_mov_b32_e32 v21, v46
	s_branch .LBB21_13
.LBB21_11:                              ;   in Loop: Header=BB21_13 Depth=1
	s_or_b64 exec, exec, s[38:39]
.LBB21_12:                              ;   in Loop: Header=BB21_13 Depth=1
	s_or_b64 exec, exec, s[8:9]
	v_add_u32_e32 v21, 2, v21
	v_cmp_le_i32_e64 s[0:1], s41, v21
	v_lshl_add_u64 v[4:5], v[4:5], 0, 8
	v_add_u32_e32 v13, 32, v13
	s_or_b64 s[36:37], s[0:1], s[36:37]
	v_add_u32_e32 v14, 0x80, v14
	s_andn2_b64 exec, exec, s[36:37]
	s_cbranch_execz .LBB21_18
.LBB21_13:                              ; =>This Inner Loop Header: Depth=1
	v_mul_hi_u32 v22, v13, s33
	s_waitcnt lgkmcnt(0)
	v_mul_lo_u32 v23, v22, s23
	v_sub_u32_e32 v23, v13, v23
	v_add_u32_e32 v24, 1, v22
	v_cmp_le_u32_e64 s[0:1], s23, v23
	s_nop 1
	v_cndmask_b32_e64 v22, v22, v24, s[0:1]
	v_subrev_u32_e32 v24, s23, v23
	v_cndmask_b32_e64 v23, v23, v24, s[0:1]
	v_add_u32_e32 v24, 1, v22
	v_cmp_le_u32_e64 s[0:1], s23, v23
	s_nop 1
	v_cndmask_b32_e64 v22, v22, v24, s[0:1]
	v_xor_b32_e32 v22, s19, v22
	v_subrev_u32_e32 v22, s19, v22
	v_add_u32_e32 v23, s40, v22
	v_sub_u32_e32 v25, 0, v23
	v_ashrrev_i32_e32 v24, 31, v23
	v_max_i32_e32 v23, v23, v25
	v_mul_hi_u32 v25, v23, v12
	v_mul_lo_u32 v25, v25, s15
	v_sub_u32_e32 v23, v23, v25
	v_subrev_u32_e32 v25, s15, v23
	v_cmp_le_u32_e64 s[0:1], s15, v23
	v_cmp_ge_i32_e64 s[8:9], s30, v22
	s_nop 0
	v_cndmask_b32_e64 v23, v23, v25, s[0:1]
	v_subrev_u32_e32 v25, s15, v23
	v_cmp_le_u32_e64 s[0:1], s15, v23
	s_nop 1
	v_cndmask_b32_e64 v23, v23, v25, s[0:1]
	v_xor_b32_e32 v23, v23, v24
	v_sub_u32_e32 v23, v23, v24
	v_cmp_ne_u32_e64 s[0:1], 0, v23
	s_and_b64 s[0:1], s[0:1], s[8:9]
	s_and_b64 s[38:39], vcc, s[0:1]
	s_and_saveexec_b64 s[8:9], s[38:39]
	s_cbranch_execz .LBB21_15
; %bb.14:                               ;   in Loop: Header=BB21_13 Depth=1
	ds_write_b32 v14, v16
.LBB21_15:                              ;   in Loop: Header=BB21_13 Depth=1
	s_or_b64 exec, exec, s[8:9]
	s_xor_b64 s[0:1], s[0:1], -1
	s_and_saveexec_b64 s[8:9], s[0:1]
	s_cbranch_execz .LBB21_12
; %bb.16:                               ;   in Loop: Header=BB21_13 Depth=1
	global_load_dword v22, v[4:5], off
	s_waitcnt vmcnt(0)
	v_mad_i64_i32 v[22:23], s[0:1], v22, s43, 0
	v_lshl_add_u64 v[22:23], v[22:23], 2, v[2:3]
	global_load_dword v42, v[22:23], off
	global_load_dword v43, v[22:23], off offset:256
	global_load_dword v52, v[22:23], off offset:512
	;; [unrolled: 1-line block ×15, first 2 shown]
	v_add_co_u32_e64 v22, s[0:1], s44, v22
	s_nop 1
	v_addc_co_u32_e64 v23, s[0:1], 0, v23, s[0:1]
	global_load_dword v66, v[22:23], off
	global_load_dword v67, v[22:23], off offset:256
	global_load_dword v68, v[22:23], off offset:512
	;; [unrolled: 1-line block ×7, first 2 shown]
	ds_read_b128 v[22:25], v10
	ds_read_b128 v[26:29], v10 offset:16
	ds_read_b128 v[30:33], v10 offset:32
	;; [unrolled: 1-line block ×5, first 2 shown]
	v_cmp_lt_i32_e64 s[0:1], v19, v18
	s_waitcnt vmcnt(22) lgkmcnt(5)
	v_mul_f32_e32 v23, v23, v43
	v_fmac_f32_e32 v23, v22, v42
	s_waitcnt vmcnt(21)
	v_fmac_f32_e32 v23, v24, v52
	s_waitcnt vmcnt(20)
	v_fmac_f32_e32 v23, v25, v53
	s_waitcnt vmcnt(19) lgkmcnt(4)
	v_fmac_f32_e32 v23, v26, v54
	s_waitcnt vmcnt(18)
	v_fmac_f32_e32 v23, v27, v55
	s_waitcnt vmcnt(17)
	v_fmac_f32_e32 v23, v28, v56
	s_waitcnt vmcnt(16)
	v_fmac_f32_e32 v23, v29, v57
	s_waitcnt vmcnt(15) lgkmcnt(3)
	v_fmac_f32_e32 v23, v30, v58
	s_waitcnt vmcnt(14)
	v_fmac_f32_e32 v23, v31, v59
	s_waitcnt vmcnt(13)
	v_fmac_f32_e32 v23, v32, v60
	s_waitcnt vmcnt(12)
	v_fmac_f32_e32 v23, v33, v61
	s_waitcnt vmcnt(11) lgkmcnt(2)
	v_fmac_f32_e32 v23, v34, v62
	s_waitcnt vmcnt(10)
	v_fmac_f32_e32 v23, v35, v63
	s_waitcnt vmcnt(9)
	v_fmac_f32_e32 v23, v36, v64
	s_waitcnt vmcnt(8)
	v_fmac_f32_e32 v23, v37, v65
	s_waitcnt vmcnt(7) lgkmcnt(1)
	v_fmac_f32_e32 v23, v38, v66
	s_waitcnt vmcnt(6)
	v_fmac_f32_e32 v23, v39, v67
	s_waitcnt vmcnt(5)
	v_fmac_f32_e32 v23, v40, v68
	s_waitcnt vmcnt(4)
	v_fmac_f32_e32 v23, v41, v69
	s_waitcnt vmcnt(3) lgkmcnt(0)
	v_fmac_f32_e32 v23, v48, v70
	s_waitcnt vmcnt(2)
	v_fmac_f32_e32 v23, v49, v71
	v_cndmask_b32_e64 v74, v17, v19, s[0:1]
	s_waitcnt vmcnt(1)
	v_fmac_f32_e32 v23, v50, v72
	v_lshlrev_b32_e32 v74, 2, v74
	s_waitcnt vmcnt(0)
	v_fmac_f32_e32 v23, v51, v73
	ds_bpermute_b32 v22, v74, v23
	v_cmp_lt_i32_e64 s[0:1], v20, v18
	s_waitcnt lgkmcnt(0)
	v_add_f32_e32 v22, v23, v22
	v_cndmask_b32_e64 v24, v17, v20, s[0:1]
	v_lshlrev_b32_e32 v24, 2, v24
	ds_bpermute_b32 v23, v24, v22
	s_and_saveexec_b64 s[38:39], vcc
	s_cbranch_execz .LBB21_11
; %bb.17:                               ;   in Loop: Header=BB21_13 Depth=1
	v_add_u32_e32 v24, v15, v13
	v_cvt_f32_i32_e32 v24, v24
	s_waitcnt lgkmcnt(0)
	v_add_f32_e32 v22, v22, v23
	v_add_u32_e32 v25, v7, v13
	v_cmp_gt_i32_e64 s[0:1], s21, v25
	v_mul_f32_e32 v23, s42, v24
	v_cndmask_b32_e64 v23, 0, v23, s[2:3]
	v_fmac_f32_e32 v23, s31, v22
	v_cndmask_b32_e64 v22, 0, v23, s[0:1]
	ds_write_b32 v14, v22
	v_max_f32_e32 v22, v11, v11
	v_max_f32_e32 v22, v22, v23
	v_cndmask_b32_e64 v11, v11, v22, s[0:1]
	s_branch .LBB21_11
.LBB21_18:
	s_or_b64 exec, exec, s[36:37]
.LBB21_19:
	s_or_b64 exec, exec, s[34:35]
	v_mbcnt_hi_u32_b32 v2, -1, v6
	v_and_b32_e32 v3, 64, v2
	v_add_u32_e32 v3, 64, v3
	v_xor_b32_e32 v4, 32, v2
	v_cmp_lt_i32_e32 vcc, v4, v3
	v_xor_b32_e32 v7, 16, v2
	v_max_f32_e32 v6, v11, v11
	v_cndmask_b32_e32 v4, v2, v4, vcc
	v_lshlrev_b32_e32 v4, 2, v4
	ds_bpermute_b32 v5, v4, v11
	v_cmp_lt_i32_e32 vcc, v7, v3
	v_xor_b32_e32 v10, 8, v2
	v_xor_b32_e32 v11, 4, v2
	v_and_b32_e32 v48, 63, v0
	s_waitcnt lgkmcnt(0)
	v_max_f32_e32 v5, v5, v5
	v_max_f32_e32 v6, v6, v5
	v_cndmask_b32_e32 v5, v2, v7, vcc
	v_lshlrev_b32_e32 v5, 2, v5
	ds_bpermute_b32 v7, v5, v6
	v_cmp_lt_i32_e32 vcc, v10, v3
	s_waitcnt lgkmcnt(0)
	v_max_f32_e32 v7, v7, v7
	v_max_f32_e32 v6, v6, v7
	v_cndmask_b32_e32 v7, v2, v10, vcc
	v_lshlrev_b32_e32 v10, 2, v7
	ds_bpermute_b32 v7, v10, v6
	v_cmp_lt_i32_e32 vcc, v11, v3
	s_waitcnt lgkmcnt(0)
	v_max_f32_e32 v7, v7, v7
	v_max_f32_e32 v7, v6, v7
	v_cndmask_b32_e32 v6, v2, v11, vcc
	v_lshlrev_b32_e32 v11, 2, v6
	ds_bpermute_b32 v12, v11, v7
	v_cmp_eq_u32_e32 vcc, 0, v48
	v_lshlrev_b32_e32 v6, 2, v46
	s_and_saveexec_b64 s[0:1], vcc
	s_cbranch_execz .LBB21_21
; %bb.20:
	s_waitcnt lgkmcnt(0)
	v_max_f32_e32 v12, v12, v12
	v_max_f32_e32 v7, v7, v7
	v_max_f32_e32 v7, v7, v12
	ds_write_b32 v6, v7 offset:384
.LBB21_21:
	s_or_b64 exec, exec, s[0:1]
	v_cmp_gt_u32_e64 s[0:1], 2, v48
	s_waitcnt lgkmcnt(0)
	v_mov_b32_e32 v12, 0xff7fffff
	v_lshlrev_b32_e32 v7, 2, v48
	s_barrier
	s_and_saveexec_b64 s[2:3], s[0:1]
	s_cbranch_execz .LBB21_23
; %bb.22:
	ds_read_b32 v12, v7 offset:384
.LBB21_23:
	s_or_b64 exec, exec, s[2:3]
	v_xor_b32_e32 v13, 1, v2
	v_cmp_lt_i32_e64 s[2:3], v13, v3
	v_lshlrev_b32_e32 v14, 2, v2
	s_nop 0
	v_cndmask_b32_e64 v13, v2, v13, s[2:3]
	v_lshlrev_b32_e32 v49, 2, v13
	s_waitcnt lgkmcnt(0)
	ds_bpermute_b32 v13, v49, v12
	v_max_f32_e32 v12, v12, v12
	s_lshl_b32 s2, s41, 4
	s_min_i32 s15, s2, s21
	v_cmp_gt_i32_e64 s[2:3], s15, v0
	s_waitcnt lgkmcnt(0)
	v_max_f32_e32 v13, v13, v13
	v_max_f32_e32 v13, v12, v13
	v_and_b32_e32 v12, 0x100, v14
	ds_bpermute_b32 v14, v12, v13
	v_mov_b32_e32 v13, 0
	s_and_saveexec_b64 s[30:31], s[2:3]
	s_cbranch_execz .LBB21_27
; %bb.24:
	v_mov_b32_e32 v13, 0x190
	v_lshl_add_u32 v15, v0, 2, v13
	s_mov_b64 s[34:35], 0
	v_mov_b32_e32 v13, 0
	v_mov_b32_e32 v16, v0
.LBB21_25:                              ; =>This Inner Loop Header: Depth=1
	ds_read_b32 v17, v15
	v_add_u32_e32 v16, 0x80, v16
	v_cmp_le_i32_e64 s[8:9], s15, v16
	s_or_b64 s[34:35], s[8:9], s[34:35]
	s_waitcnt lgkmcnt(0)
	v_sub_f32_e32 v17, v17, v14
	v_mul_f32_e32 v17, 0x3fb8aa3b, v17
	v_exp_f32_e32 v17, v17
	ds_write_b32 v15, v17
	v_add_f32_e32 v13, v13, v17
	v_add_u32_e32 v15, 0x200, v15
	s_andn2_b64 exec, exec, s[34:35]
	s_cbranch_execnz .LBB21_25
; %bb.26:
	s_or_b64 exec, exec, s[34:35]
.LBB21_27:
	s_or_b64 exec, exec, s[30:31]
	ds_bpermute_b32 v4, v4, v13
	s_waitcnt lgkmcnt(0)
	v_add_f32_e32 v4, v13, v4
	ds_bpermute_b32 v5, v5, v4
	s_waitcnt lgkmcnt(0)
	v_add_f32_e32 v4, v4, v5
	ds_bpermute_b32 v5, v10, v4
	v_xor_b32_e32 v10, 2, v2
	v_cmp_lt_i32_e64 s[8:9], v10, v3
	s_waitcnt lgkmcnt(0)
	v_add_f32_e32 v4, v4, v5
	ds_bpermute_b32 v5, v11, v4
	v_cndmask_b32_e64 v2, v2, v10, s[8:9]
	v_lshlrev_b32_e32 v50, 2, v2
	s_waitcnt lgkmcnt(0)
	v_add_f32_e32 v3, v4, v5
	ds_bpermute_b32 v2, v50, v3
	s_waitcnt lgkmcnt(0)
	v_add_f32_e32 v2, v3, v2
	ds_bpermute_b32 v3, v49, v2
	s_waitcnt lgkmcnt(0)
	v_add_f32_e32 v2, v2, v3
	s_and_saveexec_b64 s[8:9], vcc
	s_cbranch_execz .LBB21_29
; %bb.28:
	ds_write_b32 v6, v2 offset:392
.LBB21_29:
	s_or_b64 exec, exec, s[8:9]
	s_waitcnt lgkmcnt(0)
	s_barrier
	s_and_saveexec_b64 s[8:9], s[0:1]
	s_cbranch_execz .LBB21_31
; %bb.30:
	ds_read_b32 v2, v7 offset:392
.LBB21_31:
	s_or_b64 exec, exec, s[8:9]
	s_waitcnt lgkmcnt(0)
	ds_bpermute_b32 v3, v49, v2
	s_waitcnt lgkmcnt(0)
	v_add_f32_e32 v2, v2, v3
	ds_bpermute_b32 v2, v12, v2
	s_and_saveexec_b64 s[0:1], s[2:3]
	s_cbranch_execz .LBB21_44
; %bb.32:
	s_waitcnt lgkmcnt(0)
	v_add_f32_e32 v2, 0x358637bd, v2
	v_div_scale_f32 v3, s[2:3], v2, v2, 1.0
	v_rcp_f32_e32 v4, v3
	v_div_scale_f32 v5, vcc, 1.0, v2, 1.0
	s_movk_i32 s2, 0x7f
	v_fma_f32 v6, -v3, v4, 1.0
	v_fmac_f32_e32 v4, v6, v4
	v_mul_f32_e32 v6, v5, v4
	v_fma_f32 v7, -v3, v6, v5
	v_fmac_f32_e32 v6, v7, v4
	v_fma_f32 v3, -v3, v6, v5
	v_div_fmas_f32 v3, v3, v4, v6
	v_xad_u32 v4, v0, -1, s15
	v_div_fixup_f32 v2, v3, v2, 1.0
	v_cmp_lt_u32_e32 vcc, s2, v4
	s_mov_b64 s[8:9], -1
	v_mov_b32_e32 v3, v0
	s_and_saveexec_b64 s[2:3], vcc
	s_cbranch_execz .LBB21_41
; %bb.33:
	v_lshrrev_b32_e32 v4, 7, v4
	v_add_u32_e32 v6, -1, v4
	v_lshrrev_b32_e32 v5, 1, v6
	v_mov_b32_e32 v3, v2
	v_add_u32_e32 v5, 1, v5
	v_cmp_lt_u32_e32 vcc, 13, v6
	v_mov_b32_e32 v10, 0
	s_and_saveexec_b64 s[8:9], vcc
	s_cbranch_execz .LBB21_37
; %bb.34:
	v_mov_b32_e32 v7, 0x190
	v_and_b32_e32 v6, -8, v5
	v_lshl_add_u32 v7, v0, 2, v7
	s_mov_b32 s34, 0
	s_mov_b64 s[30:31], 0
.LBB21_35:                              ; =>This Inner Loop Header: Depth=1
	ds_read2st64_b32 v[10:11], v7 offset1:2
	ds_read2st64_b32 v[12:13], v7 offset0:4 offset1:6
	ds_read2st64_b32 v[14:15], v7 offset0:8 offset1:10
	;; [unrolled: 1-line block ×3, first 2 shown]
	v_add_u32_e32 v6, -8, v6
	s_waitcnt lgkmcnt(3)
	v_pk_mul_f32 v[10:11], v[2:3], v[10:11]
	s_waitcnt lgkmcnt(2)
	v_pk_mul_f32 v[12:13], v[2:3], v[12:13]
	ds_write2st64_b32 v7, v10, v11 offset1:2
	ds_write2st64_b32 v7, v12, v13 offset0:4 offset1:6
	ds_read2st64_b32 v[12:13], v7 offset0:16 offset1:18
	s_waitcnt lgkmcnt(4)
	v_pk_mul_f32 v[10:11], v[2:3], v[14:15]
	ds_write2st64_b32 v7, v10, v11 offset0:8 offset1:10
	s_waitcnt lgkmcnt(4)
	v_pk_mul_f32 v[10:11], v[2:3], v[16:17]
	ds_write2st64_b32 v7, v10, v11 offset0:12 offset1:14
	ds_read2st64_b32 v[10:11], v7 offset0:20 offset1:22
	s_waitcnt lgkmcnt(3)
	v_pk_mul_f32 v[12:13], v[2:3], v[12:13]
	ds_read2st64_b32 v[14:15], v7 offset0:24 offset1:26
	ds_write2st64_b32 v7, v12, v13 offset0:16 offset1:18
	ds_read2st64_b32 v[12:13], v7 offset0:28 offset1:30
	s_waitcnt lgkmcnt(3)
	v_pk_mul_f32 v[10:11], v[2:3], v[10:11]
	ds_write2st64_b32 v7, v10, v11 offset0:20 offset1:22
	s_waitcnt lgkmcnt(3)
	v_pk_mul_f32 v[10:11], v[2:3], v[14:15]
	ds_write2st64_b32 v7, v10, v11 offset0:24 offset1:26
	s_waitcnt lgkmcnt(2)
	v_pk_mul_f32 v[10:11], v[2:3], v[12:13]
	s_add_i32 s34, s34, 16
	v_cmp_eq_u32_e32 vcc, 0, v6
	ds_write2st64_b32 v7, v10, v11 offset0:28 offset1:30
	v_add_u32_e32 v7, 0x2000, v7
	s_or_b64 s[30:31], vcc, s[30:31]
	v_mov_b32_e32 v10, s34
	s_andn2_b64 exec, exec, s[30:31]
	s_cbranch_execnz .LBB21_35
; %bb.36:
	s_or_b64 exec, exec, s[30:31]
.LBB21_37:
	s_or_b64 exec, exec, s[8:9]
	v_and_b32_e32 v5, 7, v5
	v_cmp_ne_u32_e32 vcc, 0, v5
	s_and_saveexec_b64 s[8:9], vcc
	s_cbranch_execz .LBB21_40
; %bb.38:
	v_lshlrev_b32_e32 v6, 9, v10
	s_movk_i32 s30, 0x190
	v_add3_u32 v6, v6, v8, s30
	s_mov_b64 s[30:31], 0
.LBB21_39:                              ; =>This Inner Loop Header: Depth=1
	ds_read2st64_b32 v[10:11], v6 offset1:2
	v_add_u32_e32 v5, -1, v5
	v_cmp_eq_u32_e32 vcc, 0, v5
	s_or_b64 s[30:31], vcc, s[30:31]
	s_waitcnt lgkmcnt(0)
	v_pk_mul_f32 v[10:11], v[2:3], v[10:11]
	ds_write2st64_b32 v6, v10, v11 offset1:2
	v_add_u32_e32 v6, 0x400, v6
	s_andn2_b64 exec, exec, s[30:31]
	s_cbranch_execnz .LBB21_39
.LBB21_40:
	s_or_b64 exec, exec, s[8:9]
	v_add_u32_e32 v4, 1, v4
	v_and_b32_e32 v5, 0x3fffffe, v4
	v_cmp_ne_u32_e32 vcc, v4, v5
	v_lshl_add_u32 v3, v5, 7, v0
	s_orn2_b64 s[8:9], vcc, exec
.LBB21_41:
	s_or_b64 exec, exec, s[2:3]
	s_and_b64 exec, exec, s[8:9]
	s_cbranch_execz .LBB21_44
; %bb.42:
	v_mov_b32_e32 v4, 0x190
	v_lshl_add_u32 v4, v3, 2, v4
	s_mov_b64 s[2:3], 0
.LBB21_43:                              ; =>This Inner Loop Header: Depth=1
	ds_read_b32 v5, v4
	v_add_u32_e32 v3, 0x80, v3
	v_cmp_le_i32_e32 vcc, s15, v3
	s_or_b64 s[2:3], vcc, s[2:3]
	s_waitcnt lgkmcnt(0)
	v_mul_f32_e32 v5, v2, v5
	ds_write_b32 v4, v5
	v_add_u32_e32 v4, 0x200, v4
	s_andn2_b64 exec, exec, s[2:3]
	s_cbranch_execnz .LBB21_43
.LBB21_44:
	s_or_b64 exec, exec, s[0:1]
	s_mov_b32 s8, 0
	v_mov_b32_e32 v7, 0
	v_mov_b32_e32 v6, 0
	;; [unrolled: 1-line block ×5, first 2 shown]
	s_waitcnt lgkmcnt(0)
	v_mov_b32_e32 v2, 0
	s_barrier
	s_and_saveexec_b64 s[2:3], s[6:7]
	s_cbranch_execz .LBB21_62
; %bb.45:
	s_ashr_i32 s15, s14, 31
	s_sub_i32 s17, s12, s17
	s_lshl_b64 s[0:1], s[14:15], 2
	s_add_u32 s6, s28, s0
	s_addc_u32 s7, s29, s1
	s_abs_i32 s18, s18
	v_cvt_f32_u32_e32 v2, s18
	s_sub_i32 s0, 0, s18
	s_add_i32 s29, s41, -1
	v_and_b32_e32 v51, 12, v8
	v_rcp_iflag_f32_e32 v2, v2
	v_and_b32_e32 v8, 0xfc, v8
	s_mov_b32 s9, s8
	s_mov_b32 s28, s13
	v_mul_f32_e32 v2, 0x4f7ffffe, v2
	v_cvt_u32_f32_e32 v2, v2
	v_mov_b32_e32 v37, 0
	v_or_b32_e32 v10, 0x400, v8
	v_or_b32_e32 v12, 0x500, v8
	v_mul_lo_u32 v3, s0, v2
	v_mul_hi_u32 v3, v2, v3
	v_add_u32_e32 v52, v2, v3
	s_lshl_b64 s[0:1], s[26:27], 2
	v_lshlrev_b32_e32 v2, 4, v45
	s_add_u32 s0, s10, s0
	v_lshl_or_b32 v2, v46, 6, v2
	v_and_b32_e32 v36, 60, v9
	s_addc_u32 s1, s11, s1
	v_add_u32_e32 v53, 0x190, v2
	s_mov_b32 s10, s8
	s_mov_b32 s11, s8
	;; [unrolled: 1-line block ×4, first 2 shown]
	v_mov_b64_e32 v[2:3], s[8:9]
	v_lshl_add_u64 v[38:39], s[0:1], 0, v[36:37]
	s_mov_b64 s[14:15], 0
	v_mov_b64_e32 v[4:5], s[10:11]
	v_mov_b64_e32 v[6:7], s[12:13]
	v_lshlrev_b32_e32 v40, 2, v8
	v_lshlrev_b32_e32 v36, 2, v10
	;; [unrolled: 1-line block ×3, first 2 shown]
	s_branch .LBB21_48
.LBB21_46:                              ;   in Loop: Header=BB21_48 Depth=1
	s_or_b64 exec, exec, s[0:1]
	s_waitcnt vmcnt(5) lgkmcnt(0)
	v_mul_f32_e32 v13, v9, v13
	v_fmac_f32_e32 v13, v8, v12
	s_waitcnt vmcnt(4)
	v_mul_f32_e32 v12, v9, v17
	v_fmac_f32_e32 v12, v8, v16
	v_fmac_f32_e32 v12, v10, v18
	v_fmac_f32_e32 v12, v11, v19
	v_add_f32_e32 v3, v3, v12
	s_waitcnt vmcnt(3)
	v_mul_f32_e32 v12, v9, v21
	v_fmac_f32_e32 v12, v8, v20
	v_fmac_f32_e32 v12, v10, v22
	v_fmac_f32_e32 v12, v11, v23
	v_add_f32_e32 v4, v4, v12
	;; [unrolled: 6-line block ×3, first 2 shown]
	s_waitcnt vmcnt(1)
	v_mul_f32_e32 v12, v9, v29
	s_waitcnt vmcnt(0)
	v_mul_f32_e32 v9, v9, v33
	v_fmac_f32_e32 v12, v8, v28
	v_fmac_f32_e32 v9, v8, v32
	;; [unrolled: 1-line block ×8, first 2 shown]
	v_add_f32_e32 v2, v2, v13
	v_add_f32_e32 v6, v6, v12
	v_add_f32_e32 v7, v7, v9
.LBB21_47:                              ;   in Loop: Header=BB21_48 Depth=1
	s_or_b64 exec, exec, s[8:9]
	v_add_u32_e32 v46, 2, v46
	v_cmp_le_i32_e32 vcc, s41, v46
	v_lshl_add_u64 v[38:39], v[38:39], 0, 8
	v_add_u32_e32 v47, 32, v47
	s_or_b64 s[14:15], vcc, s[14:15]
	v_add_u32_e32 v53, 0x80, v53
	s_andn2_b64 exec, exec, s[14:15]
	s_cbranch_execz .LBB21_61
.LBB21_48:                              ; =>This Inner Loop Header: Depth=1
	v_mul_hi_u32 v8, v47, s33
	v_mul_lo_u32 v9, v8, s23
	v_sub_u32_e32 v9, v47, v9
	v_add_u32_e32 v10, 1, v8
	v_cmp_le_u32_e32 vcc, s23, v9
	s_nop 1
	v_cndmask_b32_e32 v8, v8, v10, vcc
	v_subrev_u32_e32 v10, s23, v9
	v_cndmask_b32_e32 v9, v9, v10, vcc
	v_add_u32_e32 v10, 1, v8
	v_cmp_le_u32_e32 vcc, s23, v9
	s_nop 1
	v_cndmask_b32_e32 v8, v8, v10, vcc
	v_xor_b32_e32 v8, s19, v8
	v_subrev_u32_e32 v8, s19, v8
	v_add_u32_e32 v9, s40, v8
	v_sub_u32_e32 v11, 0, v9
	v_ashrrev_i32_e32 v10, 31, v9
	v_max_i32_e32 v9, v9, v11
	v_mul_hi_u32 v11, v9, v52
	v_mul_lo_u32 v11, v11, s18
	v_sub_u32_e32 v9, v9, v11
	v_subrev_u32_e32 v11, s18, v9
	v_cmp_le_u32_e32 vcc, s18, v9
	v_cmp_lt_i32_e64 s[0:1], s17, v8
	s_nop 0
	v_cndmask_b32_e32 v9, v9, v11, vcc
	v_subrev_u32_e32 v11, s18, v9
	v_cmp_le_u32_e32 vcc, s18, v9
	s_nop 1
	v_cndmask_b32_e32 v9, v9, v11, vcc
	v_xor_b32_e32 v9, v9, v10
	v_sub_u32_e32 v9, v9, v10
	v_cmp_eq_u32_e32 vcc, 0, v9
	s_or_b64 s[0:1], vcc, s[0:1]
	s_and_saveexec_b64 s[8:9], s[0:1]
	s_cbranch_execz .LBB21_47
; %bb.49:                               ;   in Loop: Header=BB21_48 Depth=1
	global_load_dword v8, v[38:39], off
	v_mov_b32_e32 v41, v37
	v_cmp_eq_u32_e32 vcc, s29, v46
	s_waitcnt vmcnt(0)
	v_mad_i64_i32 v[8:9], s[0:1], v8, s28, 0
	v_lshl_add_u64 v[32:33], v[8:9], 2, s[6:7]
	v_lshl_add_u64 v[24:25], v[32:33], 0, v[40:41]
	global_load_dwordx4 v[12:15], v[24:25], off
	ds_read_b128 v[8:11], v53
	v_add_u32_e32 v41, v51, v47
	v_add_u32_e32 v56, 1, v41
	;; [unrolled: 1-line block ×4, first 2 shown]
	s_and_saveexec_b64 s[10:11], vcc
	s_cbranch_execnz .LBB21_58
; %bb.50:                               ;   in Loop: Header=BB21_48 Depth=1
	s_or_b64 exec, exec, s[10:11]
	global_load_dwordx4 v[16:19], v[24:25], off offset:1024
	s_and_saveexec_b64 s[10:11], vcc
	s_cbranch_execnz .LBB21_59
.LBB21_51:                              ;   in Loop: Header=BB21_48 Depth=1
	s_or_b64 exec, exec, s[10:11]
	global_load_dwordx4 v[20:23], v[24:25], off offset:2048
	s_and_saveexec_b64 s[10:11], vcc
	s_cbranch_execnz .LBB21_60
.LBB21_52:                              ;   in Loop: Header=BB21_48 Depth=1
	s_or_b64 exec, exec, s[10:11]
	global_load_dwordx4 v[24:27], v[24:25], off offset:3072
	s_and_saveexec_b64 s[10:11], vcc
	s_cbranch_execz .LBB21_54
.LBB21_53:                              ;   in Loop: Header=BB21_48 Depth=1
	v_cmp_gt_i32_e64 s[0:1], s21, v41
	s_waitcnt vmcnt(0)
	s_nop 0
	v_cndmask_b32_e64 v24, 0, v24, s[0:1]
	v_cmp_gt_i32_e64 s[0:1], s21, v56
	s_nop 1
	v_cndmask_b32_e64 v25, 0, v25, s[0:1]
	v_cmp_gt_i32_e64 s[0:1], s21, v55
	s_nop 1
	v_cndmask_b32_e64 v26, 0, v26, s[0:1]
	v_cmp_gt_i32_e64 s[0:1], s21, v54
	s_nop 1
	v_cndmask_b32_e64 v27, 0, v27, s[0:1]
.LBB21_54:                              ;   in Loop: Header=BB21_48 Depth=1
	s_or_b64 exec, exec, s[10:11]
	v_lshl_add_u64 v[28:29], v[32:33], 0, v[36:37]
	global_load_dwordx4 v[28:31], v[28:29], off
	s_and_saveexec_b64 s[10:11], vcc
	s_cbranch_execz .LBB21_56
; %bb.55:                               ;   in Loop: Header=BB21_48 Depth=1
	v_cmp_gt_i32_e64 s[0:1], s21, v41
	s_waitcnt vmcnt(0)
	s_nop 0
	v_cndmask_b32_e64 v28, 0, v28, s[0:1]
	v_cmp_gt_i32_e64 s[0:1], s21, v56
	s_nop 1
	v_cndmask_b32_e64 v29, 0, v29, s[0:1]
	v_cmp_gt_i32_e64 s[0:1], s21, v55
	s_nop 1
	v_cndmask_b32_e64 v30, 0, v30, s[0:1]
	v_cmp_gt_i32_e64 s[0:1], s21, v54
	s_nop 1
	v_cndmask_b32_e64 v31, 0, v31, s[0:1]
.LBB21_56:                              ;   in Loop: Header=BB21_48 Depth=1
	s_or_b64 exec, exec, s[10:11]
	v_mov_b32_e32 v43, v37
	v_lshl_add_u64 v[32:33], v[32:33], 0, v[42:43]
	global_load_dwordx4 v[32:35], v[32:33], off
	s_and_saveexec_b64 s[0:1], vcc
	s_cbranch_execz .LBB21_46
; %bb.57:                               ;   in Loop: Header=BB21_48 Depth=1
	v_cmp_gt_i32_e32 vcc, s21, v41
	s_waitcnt vmcnt(0)
	s_nop 0
	v_cndmask_b32_e32 v32, 0, v32, vcc
	v_cmp_gt_i32_e32 vcc, s21, v56
	s_nop 1
	v_cndmask_b32_e32 v33, 0, v33, vcc
	v_cmp_gt_i32_e32 vcc, s21, v55
	;; [unrolled: 3-line block ×3, first 2 shown]
	s_nop 1
	v_cndmask_b32_e32 v35, 0, v35, vcc
	s_branch .LBB21_46
.LBB21_58:                              ;   in Loop: Header=BB21_48 Depth=1
	v_cmp_gt_i32_e64 s[0:1], s21, v41
	s_waitcnt vmcnt(0)
	s_nop 0
	v_cndmask_b32_e64 v12, 0, v12, s[0:1]
	v_cmp_gt_i32_e64 s[0:1], s21, v56
	s_nop 1
	v_cndmask_b32_e64 v13, 0, v13, s[0:1]
	v_cmp_gt_i32_e64 s[0:1], s21, v55
	;; [unrolled: 3-line block ×3, first 2 shown]
	s_nop 1
	v_cndmask_b32_e64 v15, 0, v15, s[0:1]
	s_or_b64 exec, exec, s[10:11]
	global_load_dwordx4 v[16:19], v[24:25], off offset:1024
	s_and_saveexec_b64 s[10:11], vcc
	s_cbranch_execz .LBB21_51
.LBB21_59:                              ;   in Loop: Header=BB21_48 Depth=1
	v_cmp_gt_i32_e64 s[0:1], s21, v41
	s_waitcnt vmcnt(0)
	s_nop 0
	v_cndmask_b32_e64 v16, 0, v16, s[0:1]
	v_cmp_gt_i32_e64 s[0:1], s21, v56
	s_nop 1
	v_cndmask_b32_e64 v17, 0, v17, s[0:1]
	v_cmp_gt_i32_e64 s[0:1], s21, v55
	;; [unrolled: 3-line block ×3, first 2 shown]
	s_nop 1
	v_cndmask_b32_e64 v19, 0, v19, s[0:1]
	s_or_b64 exec, exec, s[10:11]
	global_load_dwordx4 v[20:23], v[24:25], off offset:2048
	s_and_saveexec_b64 s[10:11], vcc
	s_cbranch_execz .LBB21_52
.LBB21_60:                              ;   in Loop: Header=BB21_48 Depth=1
	v_cmp_gt_i32_e64 s[0:1], s21, v41
	s_waitcnt vmcnt(0)
	s_nop 0
	v_cndmask_b32_e64 v20, 0, v20, s[0:1]
	v_cmp_gt_i32_e64 s[0:1], s21, v56
	s_nop 1
	v_cndmask_b32_e64 v21, 0, v21, s[0:1]
	v_cmp_gt_i32_e64 s[0:1], s21, v55
	;; [unrolled: 3-line block ×3, first 2 shown]
	s_nop 1
	v_cndmask_b32_e64 v23, 0, v23, s[0:1]
	s_or_b64 exec, exec, s[10:11]
	global_load_dwordx4 v[24:27], v[24:25], off offset:3072
	s_and_saveexec_b64 s[10:11], vcc
	s_cbranch_execnz .LBB21_53
	s_branch .LBB21_54
.LBB21_61:
	s_or_b64 exec, exec, s[14:15]
.LBB21_62:
	s_or_b64 exec, exec, s[2:3]
	ds_bpermute_b32 v8, v50, v2
	ds_bpermute_b32 v9, v50, v3
	;; [unrolled: 1-line block ×6, first 2 shown]
	s_waitcnt lgkmcnt(4)
	v_pk_add_f32 v[2:3], v[2:3], v[8:9]
	ds_bpermute_b32 v8, v49, v2
	ds_bpermute_b32 v9, v49, v3
	s_waitcnt lgkmcnt(4)
	v_pk_add_f32 v[4:5], v[4:5], v[10:11]
	s_waitcnt lgkmcnt(2)
	v_pk_add_f32 v[12:13], v[6:7], v[12:13]
	ds_bpermute_b32 v10, v49, v4
	ds_bpermute_b32 v11, v49, v5
	;; [unrolled: 1-line block ×4, first 2 shown]
	s_waitcnt lgkmcnt(4)
	v_pk_add_f32 v[6:7], v[2:3], v[8:9]
	v_and_b32_e32 v8, 0x3c3, v0
	s_waitcnt lgkmcnt(2)
	v_pk_add_f32 v[2:3], v[4:5], v[10:11]
	v_cmp_eq_u32_e32 vcc, 64, v8
	s_waitcnt lgkmcnt(0)
	v_pk_add_f32 v[4:5], v[12:13], v[14:15]
	s_barrier
	s_and_saveexec_b64 s[0:1], vcc
	s_cbranch_execz .LBB21_64
; %bb.63:
	v_add_u32_e32 v9, 0x190, v48
	ds_write2_b32 v9, v6, v7 offset1:16
	ds_write2_b32 v9, v2, v3 offset0:32 offset1:48
	ds_write2_b32 v9, v4, v5 offset0:64 offset1:80
.LBB21_64:
	s_or_b64 exec, exec, s[0:1]
	v_cmp_gt_u32_e32 vcc, 64, v0
	s_waitcnt lgkmcnt(0)
	s_barrier
	s_and_saveexec_b64 s[0:1], vcc
	s_cbranch_execz .LBB21_73
; %bb.65:
	v_cmp_eq_u32_e32 vcc, 0, v45
	s_and_saveexec_b64 s[2:3], vcc
	s_cbranch_execnz .LBB21_76
; %bb.66:
	s_or_b64 exec, exec, s[2:3]
	s_and_saveexec_b64 s[2:3], vcc
	s_cbranch_execnz .LBB21_77
.LBB21_67:
	s_or_b64 exec, exec, s[2:3]
	s_and_saveexec_b64 s[2:3], vcc
	s_cbranch_execnz .LBB21_78
.LBB21_68:
	s_or_b64 exec, exec, s[2:3]
	s_and_saveexec_b64 s[2:3], vcc
	s_cbranch_execnz .LBB21_79
.LBB21_69:
	s_or_b64 exec, exec, s[2:3]
	s_and_saveexec_b64 s[2:3], vcc
	s_cbranch_execnz .LBB21_80
.LBB21_70:
	s_or_b64 exec, exec, s[2:3]
	s_and_saveexec_b64 s[2:3], vcc
	s_cbranch_execz .LBB21_72
.LBB21_71:
	v_mov_b32_e32 v0, 0x190
	v_lshl_add_u32 v0, v44, 2, v0
	ds_read_b32 v0, v0 offset:320
	s_waitcnt lgkmcnt(0)
	v_add_f32_e32 v5, v5, v0
.LBB21_72:
	s_or_b64 exec, exec, s[2:3]
.LBB21_73:
	s_or_b64 exec, exec, s[0:1]
	v_cmp_eq_u32_e32 vcc, 0, v8
	s_barrier
	s_and_saveexec_b64 s[0:1], vcc
	s_cbranch_execz .LBB21_75
; %bb.74:
	s_mul_i32 s0, s20, s16
	s_mul_i32 s0, s0, s5
	s_mulk_i32 s0, 0x60
	s_ashr_i32 s1, s0, 31
	s_lshl_b64 s[0:1], s[0:1], 2
	s_add_u32 s2, s24, s0
	s_mul_i32 s0, s16, s22
	s_addc_u32 s3, s25, s1
	s_ashr_i32 s1, s0, 31
	s_lshl_b64 s[0:1], s[0:1], 2
	s_add_u32 s2, s2, s0
	s_mul_i32 s0, s4, 0x60
	s_addc_u32 s3, s3, s1
	s_ashr_i32 s1, s0, 31
	s_lshl_b64 s[0:1], s[0:1], 2
	s_add_u32 s0, s2, s0
	s_addc_u32 s1, s3, s1
	global_store_dword v1, v6, s[0:1]
	global_store_dword v1, v7, s[0:1] offset:64
	global_store_dword v1, v2, s[0:1] offset:128
	global_store_dword v1, v3, s[0:1] offset:192
	global_store_dword v1, v4, s[0:1] offset:256
	global_store_dword v1, v5, s[0:1] offset:320
.LBB21_75:
	s_endpgm
.LBB21_76:
	v_mov_b32_e32 v0, 0x190
	v_lshl_add_u32 v0, v44, 2, v0
	ds_read_b32 v0, v0
	s_waitcnt lgkmcnt(0)
	v_add_f32_e32 v6, v6, v0
	s_or_b64 exec, exec, s[2:3]
	s_and_saveexec_b64 s[2:3], vcc
	s_cbranch_execz .LBB21_67
.LBB21_77:
	v_mov_b32_e32 v0, 0x190
	v_lshl_add_u32 v0, v44, 2, v0
	ds_read_b32 v0, v0 offset:64
	s_waitcnt lgkmcnt(0)
	v_add_f32_e32 v7, v7, v0
	s_or_b64 exec, exec, s[2:3]
	s_and_saveexec_b64 s[2:3], vcc
	s_cbranch_execz .LBB21_68
.LBB21_78:
	v_mov_b32_e32 v0, 0x190
	v_lshl_add_u32 v0, v44, 2, v0
	ds_read_b32 v0, v0 offset:128
	s_waitcnt lgkmcnt(0)
	v_add_f32_e32 v2, v2, v0
	s_or_b64 exec, exec, s[2:3]
	s_and_saveexec_b64 s[2:3], vcc
	s_cbranch_execz .LBB21_69
.LBB21_79:
	v_mov_b32_e32 v0, 0x190
	v_lshl_add_u32 v0, v44, 2, v0
	ds_read_b32 v0, v0 offset:192
	s_waitcnt lgkmcnt(0)
	v_add_f32_e32 v3, v3, v0
	s_or_b64 exec, exec, s[2:3]
	s_and_saveexec_b64 s[2:3], vcc
	s_cbranch_execz .LBB21_70
.LBB21_80:
	v_mov_b32_e32 v0, 0x190
	v_lshl_add_u32 v0, v44, 2, v0
	ds_read_b32 v0, v0 offset:256
	s_waitcnt lgkmcnt(0)
	v_add_f32_e32 v4, v4, v0
	s_or_b64 exec, exec, s[2:3]
	s_and_saveexec_b64 s[2:3], vcc
	s_cbranch_execnz .LBB21_71
	s_branch .LBB21_72
	.section	.rodata,"a",@progbits
	.p2align	6, 0x0
	.amdhsa_kernel _ZN4vllm25paged_attention_v1_kernelIffLi96ELi16ELi128ELNS_18Fp8KVCacheDataTypeE0ELb1EEEvPT_PKS2_PKT0_S8_ifPKiSA_iPKfiiiSC_SC_iiiii
		.amdhsa_group_segment_fixed_size 400
		.amdhsa_private_segment_fixed_size 0
		.amdhsa_kernarg_size 384
		.amdhsa_user_sgpr_count 2
		.amdhsa_user_sgpr_dispatch_ptr 0
		.amdhsa_user_sgpr_queue_ptr 0
		.amdhsa_user_sgpr_kernarg_segment_ptr 1
		.amdhsa_user_sgpr_dispatch_id 0
		.amdhsa_user_sgpr_kernarg_preload_length 0
		.amdhsa_user_sgpr_kernarg_preload_offset 0
		.amdhsa_user_sgpr_private_segment_size 0
		.amdhsa_uses_dynamic_stack 0
		.amdhsa_enable_private_segment 0
		.amdhsa_system_sgpr_workgroup_id_x 1
		.amdhsa_system_sgpr_workgroup_id_y 1
		.amdhsa_system_sgpr_workgroup_id_z 1
		.amdhsa_system_sgpr_workgroup_info 0
		.amdhsa_system_vgpr_workitem_id 0
		.amdhsa_next_free_vgpr 75
		.amdhsa_next_free_sgpr 45
		.amdhsa_accum_offset 76
		.amdhsa_reserve_vcc 1
		.amdhsa_float_round_mode_32 0
		.amdhsa_float_round_mode_16_64 0
		.amdhsa_float_denorm_mode_32 3
		.amdhsa_float_denorm_mode_16_64 3
		.amdhsa_dx10_clamp 1
		.amdhsa_ieee_mode 1
		.amdhsa_fp16_overflow 0
		.amdhsa_tg_split 0
		.amdhsa_exception_fp_ieee_invalid_op 0
		.amdhsa_exception_fp_denorm_src 0
		.amdhsa_exception_fp_ieee_div_zero 0
		.amdhsa_exception_fp_ieee_overflow 0
		.amdhsa_exception_fp_ieee_underflow 0
		.amdhsa_exception_fp_ieee_inexact 0
		.amdhsa_exception_int_div_zero 0
	.end_amdhsa_kernel
	.section	.text._ZN4vllm25paged_attention_v1_kernelIffLi96ELi16ELi128ELNS_18Fp8KVCacheDataTypeE0ELb1EEEvPT_PKS2_PKT0_S8_ifPKiSA_iPKfiiiSC_SC_iiiii,"axG",@progbits,_ZN4vllm25paged_attention_v1_kernelIffLi96ELi16ELi128ELNS_18Fp8KVCacheDataTypeE0ELb1EEEvPT_PKS2_PKT0_S8_ifPKiSA_iPKfiiiSC_SC_iiiii,comdat
.Lfunc_end21:
	.size	_ZN4vllm25paged_attention_v1_kernelIffLi96ELi16ELi128ELNS_18Fp8KVCacheDataTypeE0ELb1EEEvPT_PKS2_PKT0_S8_ifPKiSA_iPKfiiiSC_SC_iiiii, .Lfunc_end21-_ZN4vllm25paged_attention_v1_kernelIffLi96ELi16ELi128ELNS_18Fp8KVCacheDataTypeE0ELb1EEEvPT_PKS2_PKT0_S8_ifPKiSA_iPKfiiiSC_SC_iiiii
                                        ; -- End function
	.section	.AMDGPU.csdata,"",@progbits
; Kernel info:
; codeLenInByte = 5380
; NumSgprs: 51
; NumVgprs: 75
; NumAgprs: 0
; TotalNumVgprs: 75
; ScratchSize: 0
; MemoryBound: 0
; FloatMode: 240
; IeeeMode: 1
; LDSByteSize: 400 bytes/workgroup (compile time only)
; SGPRBlocks: 6
; VGPRBlocks: 9
; NumSGPRsForWavesPerEU: 51
; NumVGPRsForWavesPerEU: 75
; AccumOffset: 76
; Occupancy: 6
; WaveLimiterHint : 1
; COMPUTE_PGM_RSRC2:SCRATCH_EN: 0
; COMPUTE_PGM_RSRC2:USER_SGPR: 2
; COMPUTE_PGM_RSRC2:TRAP_HANDLER: 0
; COMPUTE_PGM_RSRC2:TGID_X_EN: 1
; COMPUTE_PGM_RSRC2:TGID_Y_EN: 1
; COMPUTE_PGM_RSRC2:TGID_Z_EN: 1
; COMPUTE_PGM_RSRC2:TIDIG_COMP_CNT: 0
; COMPUTE_PGM_RSRC3_GFX90A:ACCUM_OFFSET: 18
; COMPUTE_PGM_RSRC3_GFX90A:TG_SPLIT: 0
	.section	.text._ZN4vllm25paged_attention_v1_kernelIffLi112ELi16ELi128ELNS_18Fp8KVCacheDataTypeE0ELb1EEEvPT_PKS2_PKT0_S8_ifPKiSA_iPKfiiiSC_SC_iiiii,"axG",@progbits,_ZN4vllm25paged_attention_v1_kernelIffLi112ELi16ELi128ELNS_18Fp8KVCacheDataTypeE0ELb1EEEvPT_PKS2_PKT0_S8_ifPKiSA_iPKfiiiSC_SC_iiiii,comdat
	.protected	_ZN4vllm25paged_attention_v1_kernelIffLi112ELi16ELi128ELNS_18Fp8KVCacheDataTypeE0ELb1EEEvPT_PKS2_PKT0_S8_ifPKiSA_iPKfiiiSC_SC_iiiii ; -- Begin function _ZN4vllm25paged_attention_v1_kernelIffLi112ELi16ELi128ELNS_18Fp8KVCacheDataTypeE0ELb1EEEvPT_PKS2_PKT0_S8_ifPKiSA_iPKfiiiSC_SC_iiiii
	.globl	_ZN4vllm25paged_attention_v1_kernelIffLi112ELi16ELi128ELNS_18Fp8KVCacheDataTypeE0ELb1EEEvPT_PKS2_PKT0_S8_ifPKiSA_iPKfiiiSC_SC_iiiii
	.p2align	8
	.type	_ZN4vllm25paged_attention_v1_kernelIffLi112ELi16ELi128ELNS_18Fp8KVCacheDataTypeE0ELb1EEEvPT_PKS2_PKT0_S8_ifPKiSA_iPKfiiiSC_SC_iiiii,@function
_ZN4vllm25paged_attention_v1_kernelIffLi112ELi16ELi128ELNS_18Fp8KVCacheDataTypeE0ELb1EEEvPT_PKS2_PKT0_S8_ifPKiSA_iPKfiiiSC_SC_iiiii: ; @_ZN4vllm25paged_attention_v1_kernelIffLi112ELi16ELi128ELNS_18Fp8KVCacheDataTypeE0ELb1EEEvPT_PKS2_PKT0_S8_ifPKiSA_iPKfiiiSC_SC_iiiii
; %bb.0:
	s_load_dword s5, s[0:1], 0x80
	s_load_dwordx2 s[6:7], s[0:1], 0x30
	s_load_dwordx2 s[30:31], s[0:1], 0x20
	s_mov_b32 s20, s3
	s_ashr_i32 s21, s3, 31
	s_lshl_b64 s[8:9], s[20:21], 2
	s_waitcnt lgkmcnt(0)
	s_add_u32 s6, s6, s8
	s_addc_u32 s7, s7, s9
	s_abs_i32 s3, s30
	v_cvt_f32_u32_e32 v1, s3
	s_sub_i32 s10, 0, s3
	s_abs_i32 s9, s5
	s_xor_b32 s8, s5, s30
	v_rcp_iflag_f32_e32 v1, v1
	s_ashr_i32 s8, s8, 31
	s_mov_b32 s43, 0
	v_mul_f32_e32 v1, 0x4f7ffffe, v1
	v_cvt_u32_f32_e32 v1, v1
	s_nop 0
	v_readfirstlane_b32 s11, v1
	s_mul_i32 s10, s10, s11
	s_mul_hi_u32 s10, s11, s10
	s_add_i32 s11, s11, s10
	s_mul_hi_u32 s10, s9, s11
	s_mul_i32 s11, s10, s3
	s_sub_i32 s9, s9, s11
	s_add_i32 s11, s10, 1
	s_sub_i32 s12, s9, s3
	s_cmp_ge_u32 s9, s3
	s_cselect_b32 s10, s11, s10
	s_cselect_b32 s9, s12, s9
	s_add_i32 s11, s10, 1
	s_cmp_ge_u32 s9, s3
	s_cselect_b32 s3, s11, s10
	s_xor_b32 s3, s3, s8
	s_sub_i32 s12, s3, s8
	s_abs_i32 s10, s12
	v_cvt_f32_u32_e32 v1, s10
	s_load_dwordx2 s[8:9], s[0:1], 0x40
	s_sub_i32 s3, 0, s10
	s_abs_i32 s11, s2
	v_rcp_iflag_f32_e32 v1, v1
	s_nop 0
	v_mul_f32_e32 v1, 0x4f7ffffe, v1
	v_cvt_u32_f32_e32 v1, v1
	s_nop 0
	v_readfirstlane_b32 s13, v1
	s_mul_i32 s3, s3, s13
	s_mul_hi_u32 s3, s13, s3
	s_add_i32 s13, s13, s3
	s_waitcnt lgkmcnt(0)
	s_cmp_eq_u64 s[8:9], 0
	s_mul_hi_u32 s24, s11, s13
	s_cbranch_scc1 .LBB22_2
; %bb.1:
	s_ashr_i32 s3, s2, 31
	s_lshl_b64 s[14:15], s[2:3], 2
	s_add_u32 s8, s8, s14
	s_addc_u32 s9, s9, s15
	s_load_dword s43, s[8:9], 0x0
.LBB22_2:
	s_load_dword s21, s[6:7], 0x0
	s_ashr_i32 s9, s12, 31
	s_load_dwordx4 s[12:15], s[0:1], 0x48
	v_lshrrev_b32_e32 v52, 2, v0
	s_movk_i32 s8, 0x70
	s_ashr_i32 s3, s2, 31
	v_and_b32_e32 v53, 3, v0
	s_mul_i32 s22, s2, 0x70
	v_cmp_gt_u32_e32 vcc, s8, v0
	v_lshlrev_b32_e32 v10, 2, v0
	v_lshlrev_b32_e32 v1, 2, v52
	s_and_saveexec_b64 s[6:7], vcc
	s_cbranch_execz .LBB22_4
; %bb.3:
	s_load_dwordx2 s[16:17], s[0:1], 0x8
	s_waitcnt lgkmcnt(0)
	s_mul_i32 s18, s20, s12
	s_ashr_i32 s19, s18, 31
	s_lshl_b64 s[18:19], s[18:19], 2
	v_mad_u32_u24 v3, v53, s8, v1
	s_add_u32 s12, s16, s18
	s_addc_u32 s15, s17, s19
	s_ashr_i32 s23, s22, 31
	s_lshl_b64 s[16:17], s[22:23], 2
	s_add_u32 s16, s12, s16
	s_addc_u32 s17, s15, s17
	global_load_dword v2, v10, s[16:17]
	s_waitcnt vmcnt(0)
	ds_write_b32 v3, v2
.LBB22_4:
	s_or_b64 exec, exec, s[6:7]
	s_mul_i32 s6, s24, s10
	s_sub_i32 s6, s11, s6
	s_xor_b32 s3, s3, s9
	s_add_i32 s7, s24, 1
	s_sub_i32 s9, s6, s10
	s_load_dwordx4 s[16:19], s[0:1], 0x68
	s_load_dword s8, s[0:1], 0x78
	s_cmp_ge_u32 s6, s10
	s_cselect_b32 s7, s7, s24
	s_cselect_b32 s6, s9, s6
	s_add_i32 s9, s7, 1
	s_cmp_ge_u32 s6, s10
	s_cselect_b32 s6, s9, s7
	s_waitcnt lgkmcnt(0)
	s_abs_i32 s23, s19
	v_cvt_f32_u32_e32 v2, s23
	s_xor_b32 s6, s6, s3
	s_sub_i32 s3, s6, s3
	s_sub_i32 s6, 0, s23
	v_rcp_iflag_f32_e32 v2, v2
	s_add_i32 s15, s21, -1
	s_abs_i32 s9, s15
	v_mul_f32_e32 v2, 0x4f7ffffe, v2
	v_cvt_u32_f32_e32 v2, v2
	s_barrier
	v_readfirstlane_b32 s33, v2
	s_mul_i32 s6, s6, s33
	s_mul_hi_u32 s6, s33, s6
	s_add_i32 s33, s33, s6
	s_cmp_lt_i32 s8, 0
	s_mul_hi_u32 s12, s9, s33
	s_cbranch_scc0 .LBB22_6
; %bb.5:
	s_mul_i32 s6, s16, s30
	s_add_i32 s6, s3, s6
	s_mul_i32 s6, s6, s8
	s_sub_i32 s40, 1, s6
	s_mov_b64 s[6:7], 0
	s_branch .LBB22_7
.LBB22_6:
	s_mov_b64 s[6:7], -1
                                        ; implicit-def: $sgpr40
.LBB22_7:
	s_load_dwordx2 s[10:11], s[0:1], 0x28
	s_ashr_i32 s15, s15, 31
	s_andn2_b64 vcc, exec, s[6:7]
	s_ashr_i32 s41, s19, 31
	s_cbranch_vccnz .LBB22_9
; %bb.8:
	s_mul_i32 s6, s5, s16
	s_add_i32 s2, s6, s2
	s_mul_i32 s2, s2, s8
	s_add_i32 s40, s2, 1
.LBB22_9:
	s_load_dword s2, s[0:1], 0x38
	s_load_dwordx2 s[24:25], s[0:1], 0x0
	s_load_dwordx2 s[28:29], s[0:1], 0x18
	s_load_dword s19, s[0:1], 0x88
	s_xor_b32 s6, s15, s41
	s_waitcnt lgkmcnt(0)
	s_mul_i32 s26, s20, s2
	s_mul_i32 s2, s12, s23
	s_sub_i32 s2, s9, s2
	s_ashr_i32 s27, s26, 31
	s_add_i32 s7, s12, 1
	s_sub_i32 s8, s2, s23
	s_cmp_ge_u32 s2, s23
	s_cselect_b32 s7, s7, s12
	s_cselect_b32 s2, s8, s2
	s_add_i32 s8, s7, 1
	s_cmp_ge_u32 s2, s23
	s_cselect_b32 s2, s8, s7
	s_xor_b32 s2, s2, s6
	s_sub_i32 s12, s2, s6
	s_add_i32 s2, s21, 15
	s_ashr_i32 s6, s2, 31
	s_lshr_b32 s6, s6, 28
	s_add_i32 s2, s2, s6
	s_ashr_i32 s42, s2, 4
	v_lshrrev_b32_e32 v9, 6, v0
	v_cmp_gt_i32_e64 s[6:7], s42, v9
	v_mov_b32_e32 v12, 0xff7fffff
	s_mul_i32 s14, s3, s14
	v_lshrrev_b32_e32 v11, 4, v0
	v_lshlrev_b32_e32 v54, 4, v9
	v_mbcnt_lo_u32_b32 v6, -1, 0
	s_and_saveexec_b64 s[34:35], s[6:7]
	s_cbranch_execz .LBB22_19
; %bb.10:
	s_load_dwordx2 s[0:1], s[0:1], 0x10
	s_ashr_i32 s15, s14, 31
	s_sub_i32 s16, s12, s17
	s_lshl_b64 s[2:3], s[14:15], 2
	v_bfe_u32 v7, v0, 2, 4
	s_waitcnt lgkmcnt(0)
	s_add_u32 s0, s0, s2
	s_addc_u32 s1, s1, s3
	s_abs_i32 s15, s18
	v_cvt_f32_u32_e32 v2, s15
	v_lshlrev_b32_e32 v4, 4, v7
	v_mov_b32_e32 v5, 0
	v_lshlrev_b32_e32 v12, 2, v7
	v_rcp_iflag_f32_e32 v8, v2
	v_lshl_add_u64 v[2:3], s[0:1], 0, v[4:5]
	v_lshlrev_b32_e32 v4, 2, v53
	v_lshl_add_u64 v[2:3], v[2:3], 0, v[4:5]
	v_mul_f32_e32 v4, 0x4f7ffffe, v8
	v_cvt_u32_f32_e32 v4, v4
	s_sub_i32 s0, 0, s15
	v_lshl_or_b32 v12, v9, 6, v12
	v_add_u32_e32 v15, 0x1d0, v12
	v_mul_lo_u32 v13, s0, v4
	s_lshl_b64 s[0:1], s[26:27], 2
	v_mul_hi_u32 v13, v4, v13
	s_add_u32 s0, s10, s0
	v_subrev_u32_e32 v12, s21, v7
	v_mbcnt_hi_u32_b32 v18, -1, v6
	v_add_u32_e32 v13, v4, v13
	v_and_b32_e32 v4, 60, v11
	s_addc_u32 s1, s11, s1
	v_add_u32_e32 v16, 1, v12
	v_and_b32_e32 v12, 64, v18
	v_cmp_eq_u32_e32 vcc, 0, v53
	s_mov_b32 s30, s13
	v_mul_u32_u24_e32 v8, 0x70, v53
	v_cmp_neq_f32_e64 s[2:3], s43, 0
	v_lshl_add_u64 v[4:5], s[0:1], 0, v[4:5]
	v_lshlrev_b32_e32 v14, 4, v9
	s_mov_b64 s[36:37], 0
	v_mov_b32_e32 v17, 0xff7fffff
	s_movk_i32 s44, 0x1000
	v_add_u32_e32 v19, 64, v12
	v_xor_b32_e32 v20, 2, v18
	v_xor_b32_e32 v21, 1, v18
	v_mov_b32_e32 v12, 0xff7fffff
	v_mov_b32_e32 v22, v9
	s_branch .LBB22_13
.LBB22_11:                              ;   in Loop: Header=BB22_13 Depth=1
	s_or_b64 exec, exec, s[38:39]
.LBB22_12:                              ;   in Loop: Header=BB22_13 Depth=1
	s_or_b64 exec, exec, s[8:9]
	v_add_u32_e32 v22, 2, v22
	v_cmp_le_i32_e64 s[0:1], s42, v22
	v_lshl_add_u64 v[4:5], v[4:5], 0, 8
	v_add_u32_e32 v14, 32, v14
	s_or_b64 s[36:37], s[0:1], s[36:37]
	v_add_u32_e32 v15, 0x80, v15
	s_andn2_b64 exec, exec, s[36:37]
	s_cbranch_execz .LBB22_18
.LBB22_13:                              ; =>This Inner Loop Header: Depth=1
	v_mul_hi_u32 v23, v14, s33
	s_waitcnt lgkmcnt(0)
	v_mul_lo_u32 v24, v23, s23
	v_sub_u32_e32 v24, v14, v24
	v_add_u32_e32 v25, 1, v23
	v_cmp_le_u32_e64 s[0:1], s23, v24
	s_nop 1
	v_cndmask_b32_e64 v23, v23, v25, s[0:1]
	v_subrev_u32_e32 v25, s23, v24
	v_cndmask_b32_e64 v24, v24, v25, s[0:1]
	v_add_u32_e32 v25, 1, v23
	v_cmp_le_u32_e64 s[0:1], s23, v24
	s_nop 1
	v_cndmask_b32_e64 v23, v23, v25, s[0:1]
	v_xor_b32_e32 v23, s41, v23
	v_subrev_u32_e32 v23, s41, v23
	v_add_u32_e32 v24, s40, v23
	v_sub_u32_e32 v26, 0, v24
	v_ashrrev_i32_e32 v25, 31, v24
	v_max_i32_e32 v24, v24, v26
	v_mul_hi_u32 v26, v24, v13
	v_mul_lo_u32 v26, v26, s15
	v_sub_u32_e32 v24, v24, v26
	v_subrev_u32_e32 v26, s15, v24
	v_cmp_le_u32_e64 s[0:1], s15, v24
	v_cmp_ge_i32_e64 s[8:9], s16, v23
	s_nop 0
	v_cndmask_b32_e64 v24, v24, v26, s[0:1]
	v_subrev_u32_e32 v26, s15, v24
	v_cmp_le_u32_e64 s[0:1], s15, v24
	s_nop 1
	v_cndmask_b32_e64 v24, v24, v26, s[0:1]
	v_xor_b32_e32 v24, v24, v25
	v_sub_u32_e32 v24, v24, v25
	v_cmp_ne_u32_e64 s[0:1], 0, v24
	s_and_b64 s[0:1], s[0:1], s[8:9]
	s_and_b64 s[38:39], vcc, s[0:1]
	s_and_saveexec_b64 s[8:9], s[38:39]
	s_cbranch_execz .LBB22_15
; %bb.14:                               ;   in Loop: Header=BB22_13 Depth=1
	ds_write_b32 v15, v17
.LBB22_15:                              ;   in Loop: Header=BB22_13 Depth=1
	s_or_b64 exec, exec, s[8:9]
	s_xor_b64 s[0:1], s[0:1], -1
	s_and_saveexec_b64 s[8:9], s[0:1]
	s_cbranch_execz .LBB22_12
; %bb.16:                               ;   in Loop: Header=BB22_13 Depth=1
	global_load_dword v23, v[4:5], off
	s_waitcnt vmcnt(0)
	v_mad_i64_i32 v[24:25], s[0:1], v23, s30, 0
	v_lshl_add_u64 v[24:25], v[24:25], 2, v[2:3]
	global_load_dword v23, v[24:25], off offset:512
	global_load_dword v55, v[24:25], off offset:768
	;; [unrolled: 1-line block ×7, first 2 shown]
	global_load_dword v61, v[24:25], off
	global_load_dword v62, v[24:25], off offset:2048
	global_load_dword v63, v[24:25], off offset:2304
	;; [unrolled: 1-line block ×8, first 2 shown]
	v_add_co_u32_e64 v24, s[0:1], s44, v24
	s_nop 1
	v_addc_co_u32_e64 v25, s[0:1], 0, v25, s[0:1]
	global_load_dword v70, v[24:25], off
	global_load_dword v71, v[24:25], off offset:256
	global_load_dword v72, v[24:25], off offset:512
	;; [unrolled: 1-line block ×11, first 2 shown]
	ds_read_b128 v[24:27], v8
	ds_read_b128 v[28:31], v8 offset:16
	ds_read_b128 v[32:35], v8 offset:32
	;; [unrolled: 1-line block ×6, first 2 shown]
	v_cmp_lt_i32_e64 s[0:1], v20, v19
	s_waitcnt vmcnt(21) lgkmcnt(6)
	v_mul_f32_e32 v25, v25, v60
	s_waitcnt vmcnt(20)
	v_fmac_f32_e32 v25, v24, v61
	v_fmac_f32_e32 v25, v26, v23
	;; [unrolled: 1-line block ×3, first 2 shown]
	s_waitcnt lgkmcnt(5)
	v_fmac_f32_e32 v25, v28, v56
	v_fmac_f32_e32 v25, v29, v57
	;; [unrolled: 1-line block ×4, first 2 shown]
	s_waitcnt vmcnt(19) lgkmcnt(4)
	v_fmac_f32_e32 v25, v32, v62
	s_waitcnt vmcnt(18)
	v_fmac_f32_e32 v25, v33, v63
	s_waitcnt vmcnt(17)
	v_fmac_f32_e32 v25, v34, v64
	s_waitcnt vmcnt(16)
	v_fmac_f32_e32 v25, v35, v65
	s_waitcnt vmcnt(15) lgkmcnt(3)
	v_fmac_f32_e32 v25, v36, v66
	s_waitcnt vmcnt(14)
	v_fmac_f32_e32 v25, v37, v67
	s_waitcnt vmcnt(13)
	v_fmac_f32_e32 v25, v38, v68
	s_waitcnt vmcnt(12)
	v_fmac_f32_e32 v25, v39, v69
	;; [unrolled: 8-line block ×4, first 2 shown]
	s_waitcnt vmcnt(3) lgkmcnt(0)
	v_fmac_f32_e32 v25, v48, v78
	s_waitcnt vmcnt(2)
	v_fmac_f32_e32 v25, v49, v79
	v_cndmask_b32_e64 v82, v18, v20, s[0:1]
	s_waitcnt vmcnt(1)
	v_fmac_f32_e32 v25, v50, v80
	v_lshlrev_b32_e32 v23, 2, v82
	s_waitcnt vmcnt(0)
	v_fmac_f32_e32 v25, v51, v81
	ds_bpermute_b32 v23, v23, v25
	v_cmp_lt_i32_e64 s[0:1], v21, v19
	s_waitcnt lgkmcnt(0)
	v_add_f32_e32 v23, v25, v23
	v_cndmask_b32_e64 v24, v18, v21, s[0:1]
	v_lshlrev_b32_e32 v24, 2, v24
	ds_bpermute_b32 v24, v24, v23
	s_and_saveexec_b64 s[38:39], vcc
	s_cbranch_execz .LBB22_11
; %bb.17:                               ;   in Loop: Header=BB22_13 Depth=1
	v_add_u32_e32 v25, v16, v14
	v_cvt_f32_i32_e32 v25, v25
	s_waitcnt lgkmcnt(0)
	v_add_f32_e32 v23, v23, v24
	v_add_u32_e32 v26, v7, v14
	v_cmp_gt_i32_e64 s[0:1], s21, v26
	v_mul_f32_e32 v24, s43, v25
	v_cndmask_b32_e64 v24, 0, v24, s[2:3]
	v_fmac_f32_e32 v24, s31, v23
	v_cndmask_b32_e64 v23, 0, v24, s[0:1]
	ds_write_b32 v15, v23
	v_max_f32_e32 v23, v12, v12
	v_max_f32_e32 v23, v23, v24
	v_cndmask_b32_e64 v12, v12, v23, s[0:1]
	s_branch .LBB22_11
.LBB22_18:
	s_or_b64 exec, exec, s[36:37]
.LBB22_19:
	s_or_b64 exec, exec, s[34:35]
	v_mbcnt_hi_u32_b32 v2, -1, v6
	v_and_b32_e32 v3, 64, v2
	v_add_u32_e32 v3, 64, v3
	v_xor_b32_e32 v4, 32, v2
	v_cmp_lt_i32_e32 vcc, v4, v3
	v_xor_b32_e32 v7, 16, v2
	v_max_f32_e32 v6, v12, v12
	v_cndmask_b32_e32 v4, v2, v4, vcc
	v_lshlrev_b32_e32 v4, 2, v4
	ds_bpermute_b32 v5, v4, v12
	v_cmp_lt_i32_e32 vcc, v7, v3
	v_xor_b32_e32 v8, 8, v2
	v_xor_b32_e32 v12, 4, v2
	v_and_b32_e32 v55, 63, v0
	s_waitcnt lgkmcnt(0)
	v_max_f32_e32 v5, v5, v5
	v_max_f32_e32 v6, v6, v5
	v_cndmask_b32_e32 v5, v2, v7, vcc
	v_lshlrev_b32_e32 v5, 2, v5
	ds_bpermute_b32 v7, v5, v6
	v_cmp_lt_i32_e32 vcc, v8, v3
	s_waitcnt lgkmcnt(0)
	v_max_f32_e32 v7, v7, v7
	v_max_f32_e32 v6, v6, v7
	v_cndmask_b32_e32 v7, v2, v8, vcc
	v_lshlrev_b32_e32 v8, 2, v7
	ds_bpermute_b32 v7, v8, v6
	v_cmp_lt_i32_e32 vcc, v12, v3
	s_waitcnt lgkmcnt(0)
	v_max_f32_e32 v7, v7, v7
	v_max_f32_e32 v7, v6, v7
	v_cndmask_b32_e32 v6, v2, v12, vcc
	v_lshlrev_b32_e32 v12, 2, v6
	ds_bpermute_b32 v13, v12, v7
	v_cmp_eq_u32_e32 vcc, 0, v55
	v_lshlrev_b32_e32 v6, 2, v9
	s_and_saveexec_b64 s[0:1], vcc
	s_cbranch_execz .LBB22_21
; %bb.20:
	s_waitcnt lgkmcnt(0)
	v_max_f32_e32 v13, v13, v13
	v_max_f32_e32 v7, v7, v7
	;; [unrolled: 1-line block ×3, first 2 shown]
	ds_write_b32 v6, v7 offset:448
.LBB22_21:
	s_or_b64 exec, exec, s[0:1]
	v_cmp_gt_u32_e64 s[0:1], 2, v55
	s_waitcnt lgkmcnt(0)
	v_mov_b32_e32 v13, 0xff7fffff
	v_lshlrev_b32_e32 v7, 2, v55
	s_barrier
	s_and_saveexec_b64 s[2:3], s[0:1]
	s_cbranch_execz .LBB22_23
; %bb.22:
	ds_read_b32 v13, v7 offset:448
.LBB22_23:
	s_or_b64 exec, exec, s[2:3]
	v_xor_b32_e32 v14, 1, v2
	v_cmp_lt_i32_e64 s[2:3], v14, v3
	v_lshlrev_b32_e32 v15, 2, v2
	s_nop 0
	v_cndmask_b32_e64 v14, v2, v14, s[2:3]
	v_lshlrev_b32_e32 v56, 2, v14
	s_waitcnt lgkmcnt(0)
	ds_bpermute_b32 v14, v56, v13
	v_max_f32_e32 v13, v13, v13
	s_lshl_b32 s2, s42, 4
	s_min_i32 s15, s2, s21
	v_cmp_gt_i32_e64 s[2:3], s15, v0
	s_waitcnt lgkmcnt(0)
	v_max_f32_e32 v14, v14, v14
	v_max_f32_e32 v14, v13, v14
	v_and_b32_e32 v13, 0x100, v15
	ds_bpermute_b32 v15, v13, v14
	v_mov_b32_e32 v14, 0
	s_and_saveexec_b64 s[30:31], s[2:3]
	s_cbranch_execz .LBB22_27
; %bb.24:
	v_mov_b32_e32 v14, 0x1d0
	v_lshl_add_u32 v16, v0, 2, v14
	s_mov_b64 s[34:35], 0
	v_mov_b32_e32 v14, 0
	v_mov_b32_e32 v17, v0
.LBB22_25:                              ; =>This Inner Loop Header: Depth=1
	ds_read_b32 v18, v16
	v_add_u32_e32 v17, 0x80, v17
	v_cmp_le_i32_e64 s[8:9], s15, v17
	s_or_b64 s[34:35], s[8:9], s[34:35]
	s_waitcnt lgkmcnt(0)
	v_sub_f32_e32 v18, v18, v15
	v_mul_f32_e32 v18, 0x3fb8aa3b, v18
	v_exp_f32_e32 v18, v18
	ds_write_b32 v16, v18
	v_add_f32_e32 v14, v14, v18
	v_add_u32_e32 v16, 0x200, v16
	s_andn2_b64 exec, exec, s[34:35]
	s_cbranch_execnz .LBB22_25
; %bb.26:
	s_or_b64 exec, exec, s[34:35]
.LBB22_27:
	s_or_b64 exec, exec, s[30:31]
	ds_bpermute_b32 v4, v4, v14
	s_waitcnt lgkmcnt(0)
	v_add_f32_e32 v4, v14, v4
	ds_bpermute_b32 v5, v5, v4
	s_waitcnt lgkmcnt(0)
	v_add_f32_e32 v4, v4, v5
	ds_bpermute_b32 v5, v8, v4
	v_xor_b32_e32 v8, 2, v2
	v_cmp_lt_i32_e64 s[8:9], v8, v3
	s_waitcnt lgkmcnt(0)
	v_add_f32_e32 v4, v4, v5
	ds_bpermute_b32 v5, v12, v4
	v_cndmask_b32_e64 v2, v2, v8, s[8:9]
	v_lshlrev_b32_e32 v57, 2, v2
	s_waitcnt lgkmcnt(0)
	v_add_f32_e32 v3, v4, v5
	ds_bpermute_b32 v2, v57, v3
	s_waitcnt lgkmcnt(0)
	v_add_f32_e32 v2, v3, v2
	ds_bpermute_b32 v3, v56, v2
	s_waitcnt lgkmcnt(0)
	v_add_f32_e32 v2, v2, v3
	s_and_saveexec_b64 s[8:9], vcc
	s_cbranch_execz .LBB22_29
; %bb.28:
	ds_write_b32 v6, v2 offset:456
.LBB22_29:
	s_or_b64 exec, exec, s[8:9]
	s_waitcnt lgkmcnt(0)
	s_barrier
	s_and_saveexec_b64 s[8:9], s[0:1]
	s_cbranch_execz .LBB22_31
; %bb.30:
	ds_read_b32 v2, v7 offset:456
.LBB22_31:
	s_or_b64 exec, exec, s[8:9]
	s_waitcnt lgkmcnt(0)
	ds_bpermute_b32 v3, v56, v2
	s_waitcnt lgkmcnt(0)
	v_add_f32_e32 v2, v2, v3
	ds_bpermute_b32 v2, v13, v2
	s_and_saveexec_b64 s[0:1], s[2:3]
	s_cbranch_execz .LBB22_44
; %bb.32:
	s_waitcnt lgkmcnt(0)
	v_add_f32_e32 v2, 0x358637bd, v2
	v_div_scale_f32 v3, s[2:3], v2, v2, 1.0
	v_rcp_f32_e32 v4, v3
	v_div_scale_f32 v5, vcc, 1.0, v2, 1.0
	s_movk_i32 s2, 0x7f
	v_fma_f32 v6, -v3, v4, 1.0
	v_fmac_f32_e32 v4, v6, v4
	v_mul_f32_e32 v6, v5, v4
	v_fma_f32 v7, -v3, v6, v5
	v_fmac_f32_e32 v6, v7, v4
	v_fma_f32 v3, -v3, v6, v5
	v_div_fmas_f32 v3, v3, v4, v6
	v_xad_u32 v4, v0, -1, s15
	v_div_fixup_f32 v2, v3, v2, 1.0
	v_cmp_lt_u32_e32 vcc, s2, v4
	s_mov_b64 s[8:9], -1
	v_mov_b32_e32 v3, v0
	s_and_saveexec_b64 s[2:3], vcc
	s_cbranch_execz .LBB22_41
; %bb.33:
	v_lshrrev_b32_e32 v4, 7, v4
	v_add_u32_e32 v6, -1, v4
	v_lshrrev_b32_e32 v5, 1, v6
	v_mov_b32_e32 v3, v2
	v_add_u32_e32 v5, 1, v5
	v_cmp_lt_u32_e32 vcc, 13, v6
	v_mov_b32_e32 v8, 0
	s_and_saveexec_b64 s[8:9], vcc
	s_cbranch_execz .LBB22_37
; %bb.34:
	v_mov_b32_e32 v7, 0x1d0
	v_and_b32_e32 v6, -8, v5
	v_lshl_add_u32 v7, v0, 2, v7
	s_mov_b32 s16, 0
	s_mov_b64 s[30:31], 0
.LBB22_35:                              ; =>This Inner Loop Header: Depth=1
	ds_read2st64_b32 v[12:13], v7 offset1:2
	ds_read2st64_b32 v[14:15], v7 offset0:4 offset1:6
	ds_read2st64_b32 v[16:17], v7 offset0:8 offset1:10
	;; [unrolled: 1-line block ×3, first 2 shown]
	v_add_u32_e32 v6, -8, v6
	s_waitcnt lgkmcnt(3)
	v_pk_mul_f32 v[12:13], v[2:3], v[12:13]
	s_waitcnt lgkmcnt(2)
	v_pk_mul_f32 v[14:15], v[2:3], v[14:15]
	ds_write2st64_b32 v7, v12, v13 offset1:2
	ds_write2st64_b32 v7, v14, v15 offset0:4 offset1:6
	ds_read2st64_b32 v[14:15], v7 offset0:16 offset1:18
	s_waitcnt lgkmcnt(4)
	v_pk_mul_f32 v[12:13], v[2:3], v[16:17]
	ds_write2st64_b32 v7, v12, v13 offset0:8 offset1:10
	s_waitcnt lgkmcnt(4)
	v_pk_mul_f32 v[12:13], v[2:3], v[18:19]
	ds_write2st64_b32 v7, v12, v13 offset0:12 offset1:14
	ds_read2st64_b32 v[12:13], v7 offset0:20 offset1:22
	s_waitcnt lgkmcnt(3)
	v_pk_mul_f32 v[14:15], v[2:3], v[14:15]
	ds_read2st64_b32 v[16:17], v7 offset0:24 offset1:26
	ds_write2st64_b32 v7, v14, v15 offset0:16 offset1:18
	ds_read2st64_b32 v[14:15], v7 offset0:28 offset1:30
	s_waitcnt lgkmcnt(3)
	v_pk_mul_f32 v[12:13], v[2:3], v[12:13]
	ds_write2st64_b32 v7, v12, v13 offset0:20 offset1:22
	s_waitcnt lgkmcnt(3)
	v_pk_mul_f32 v[12:13], v[2:3], v[16:17]
	ds_write2st64_b32 v7, v12, v13 offset0:24 offset1:26
	s_waitcnt lgkmcnt(2)
	v_pk_mul_f32 v[12:13], v[2:3], v[14:15]
	s_add_i32 s16, s16, 16
	v_cmp_eq_u32_e32 vcc, 0, v6
	ds_write2st64_b32 v7, v12, v13 offset0:28 offset1:30
	v_add_u32_e32 v7, 0x2000, v7
	s_or_b64 s[30:31], vcc, s[30:31]
	v_mov_b32_e32 v8, s16
	s_andn2_b64 exec, exec, s[30:31]
	s_cbranch_execnz .LBB22_35
; %bb.36:
	s_or_b64 exec, exec, s[30:31]
.LBB22_37:
	s_or_b64 exec, exec, s[8:9]
	v_and_b32_e32 v5, 7, v5
	v_cmp_ne_u32_e32 vcc, 0, v5
	s_and_saveexec_b64 s[8:9], vcc
	s_cbranch_execz .LBB22_40
; %bb.38:
	v_lshlrev_b32_e32 v6, 9, v8
	s_movk_i32 s16, 0x1d0
	v_add3_u32 v6, v6, v10, s16
	s_mov_b64 s[30:31], 0
.LBB22_39:                              ; =>This Inner Loop Header: Depth=1
	ds_read2st64_b32 v[12:13], v6 offset1:2
	v_add_u32_e32 v5, -1, v5
	v_cmp_eq_u32_e32 vcc, 0, v5
	s_or_b64 s[30:31], vcc, s[30:31]
	s_waitcnt lgkmcnt(0)
	v_pk_mul_f32 v[12:13], v[2:3], v[12:13]
	ds_write2st64_b32 v6, v12, v13 offset1:2
	v_add_u32_e32 v6, 0x400, v6
	s_andn2_b64 exec, exec, s[30:31]
	s_cbranch_execnz .LBB22_39
.LBB22_40:
	s_or_b64 exec, exec, s[8:9]
	v_add_u32_e32 v4, 1, v4
	v_and_b32_e32 v5, 0x3fffffe, v4
	v_cmp_ne_u32_e32 vcc, v4, v5
	v_lshl_add_u32 v3, v5, 7, v0
	s_orn2_b64 s[8:9], vcc, exec
.LBB22_41:
	s_or_b64 exec, exec, s[2:3]
	s_and_b64 exec, exec, s[8:9]
	s_cbranch_execz .LBB22_44
; %bb.42:
	v_mov_b32_e32 v4, 0x1d0
	v_lshl_add_u32 v4, v3, 2, v4
	s_mov_b64 s[2:3], 0
.LBB22_43:                              ; =>This Inner Loop Header: Depth=1
	ds_read_b32 v5, v4
	v_add_u32_e32 v3, 0x80, v3
	v_cmp_le_i32_e32 vcc, s15, v3
	s_or_b64 s[2:3], vcc, s[2:3]
	s_waitcnt lgkmcnt(0)
	v_mul_f32_e32 v5, v2, v5
	ds_write_b32 v4, v5
	v_add_u32_e32 v4, 0x200, v4
	s_andn2_b64 exec, exec, s[2:3]
	s_cbranch_execnz .LBB22_43
.LBB22_44:
	s_or_b64 exec, exec, s[0:1]
	s_mov_b32 s8, 0
	v_mov_b32_e32 v8, 0
	v_mov_b32_e32 v7, 0
	;; [unrolled: 1-line block ×6, first 2 shown]
	s_waitcnt lgkmcnt(0)
	v_mov_b32_e32 v2, 0
	s_barrier
	s_and_saveexec_b64 s[2:3], s[6:7]
	s_cbranch_execz .LBB22_64
; %bb.45:
	s_ashr_i32 s15, s14, 31
	s_sub_i32 s30, s12, s17
	s_lshl_b64 s[0:1], s[14:15], 2
	s_add_u32 s6, s28, s0
	s_addc_u32 s7, s29, s1
	s_abs_i32 s15, s18
	v_cvt_f32_u32_e32 v2, s15
	s_sub_i32 s0, 0, s15
	s_add_i32 s28, s42, -1
	v_and_b32_e32 v58, 12, v10
	v_rcp_iflag_f32_e32 v2, v2
	v_and_b32_e32 v10, 0xfc, v10
	s_mov_b32 s18, s13
	v_mov_b32_e32 v43, 0
	v_mul_f32_e32 v2, 0x4f7ffffe, v2
	v_cvt_u32_f32_e32 v2, v2
	v_or_b32_e32 v12, 0x400, v10
	v_or_b32_e32 v14, 0x500, v10
	;; [unrolled: 1-line block ×3, first 2 shown]
	v_mul_lo_u32 v3, s0, v2
	v_mul_hi_u32 v3, v2, v3
	v_add_u32_e32 v59, v2, v3
	s_lshl_b64 s[0:1], s[26:27], 2
	v_lshlrev_b32_e32 v2, 4, v53
	s_add_u32 s0, s10, s0
	v_lshl_or_b32 v2, v9, 6, v2
	v_and_b32_e32 v42, 60, v11
	s_addc_u32 s1, s11, s1
	v_add_u32_e32 v60, 0x1d0, v2
	s_mov_b32 s9, s8
	s_mov_b32 s10, s8
	;; [unrolled: 1-line block ×6, first 2 shown]
	v_mov_b32_e32 v2, s8
	v_lshl_add_u64 v[44:45], s[0:1], 0, v[42:43]
	s_mov_b64 s[16:17], 0
	v_mov_b32_e32 v3, s9
	v_mov_b32_e32 v4, s10
	;; [unrolled: 1-line block ×6, first 2 shown]
	v_lshlrev_b32_e32 v46, 2, v10
	v_lshlrev_b32_e32 v42, 2, v12
	;; [unrolled: 1-line block ×4, first 2 shown]
	s_branch .LBB22_48
.LBB22_46:                              ;   in Loop: Header=BB22_48 Depth=1
	s_or_b64 exec, exec, s[0:1]
	s_waitcnt vmcnt(6) lgkmcnt(0)
	v_mul_f32_e32 v15, v11, v15
	v_fmac_f32_e32 v15, v10, v14
	s_waitcnt vmcnt(5)
	v_mul_f32_e32 v14, v11, v19
	v_fmac_f32_e32 v14, v10, v18
	v_fmac_f32_e32 v14, v12, v20
	v_fmac_f32_e32 v14, v13, v21
	v_add_f32_e32 v3, v3, v14
	s_waitcnt vmcnt(4)
	v_mul_f32_e32 v14, v11, v23
	v_fmac_f32_e32 v14, v10, v22
	v_fmac_f32_e32 v14, v12, v24
	v_fmac_f32_e32 v14, v13, v25
	v_add_f32_e32 v4, v4, v14
	;; [unrolled: 6-line block ×4, first 2 shown]
	s_waitcnt vmcnt(1)
	v_mul_f32_e32 v14, v11, v35
	s_waitcnt vmcnt(0)
	v_mul_f32_e32 v11, v11, v39
	v_fmac_f32_e32 v14, v10, v34
	v_fmac_f32_e32 v11, v10, v38
	;; [unrolled: 1-line block ×8, first 2 shown]
	v_add_f32_e32 v2, v2, v15
	v_add_f32_e32 v7, v7, v14
	;; [unrolled: 1-line block ×3, first 2 shown]
.LBB22_47:                              ;   in Loop: Header=BB22_48 Depth=1
	s_or_b64 exec, exec, s[8:9]
	v_add_u32_e32 v9, 2, v9
	v_cmp_le_i32_e32 vcc, s42, v9
	v_lshl_add_u64 v[44:45], v[44:45], 0, 8
	v_add_u32_e32 v54, 32, v54
	s_or_b64 s[16:17], vcc, s[16:17]
	v_add_u32_e32 v60, 0x80, v60
	s_andn2_b64 exec, exec, s[16:17]
	s_cbranch_execz .LBB22_63
.LBB22_48:                              ; =>This Inner Loop Header: Depth=1
	v_mul_hi_u32 v10, v54, s33
	v_mul_lo_u32 v11, v10, s23
	v_sub_u32_e32 v11, v54, v11
	v_add_u32_e32 v12, 1, v10
	v_cmp_le_u32_e32 vcc, s23, v11
	s_nop 1
	v_cndmask_b32_e32 v10, v10, v12, vcc
	v_subrev_u32_e32 v12, s23, v11
	v_cndmask_b32_e32 v11, v11, v12, vcc
	v_add_u32_e32 v12, 1, v10
	v_cmp_le_u32_e32 vcc, s23, v11
	s_nop 1
	v_cndmask_b32_e32 v10, v10, v12, vcc
	v_xor_b32_e32 v10, s41, v10
	v_subrev_u32_e32 v10, s41, v10
	v_add_u32_e32 v11, s40, v10
	v_sub_u32_e32 v13, 0, v11
	v_ashrrev_i32_e32 v12, 31, v11
	v_max_i32_e32 v11, v11, v13
	v_mul_hi_u32 v13, v11, v59
	v_mul_lo_u32 v13, v13, s15
	v_sub_u32_e32 v11, v11, v13
	v_subrev_u32_e32 v13, s15, v11
	v_cmp_le_u32_e32 vcc, s15, v11
	v_cmp_lt_i32_e64 s[0:1], s30, v10
	s_nop 0
	v_cndmask_b32_e32 v11, v11, v13, vcc
	v_subrev_u32_e32 v13, s15, v11
	v_cmp_le_u32_e32 vcc, s15, v11
	s_nop 1
	v_cndmask_b32_e32 v11, v11, v13, vcc
	v_xor_b32_e32 v11, v11, v12
	v_sub_u32_e32 v11, v11, v12
	v_cmp_eq_u32_e32 vcc, 0, v11
	s_or_b64 s[0:1], vcc, s[0:1]
	s_and_saveexec_b64 s[8:9], s[0:1]
	s_cbranch_execz .LBB22_47
; %bb.49:                               ;   in Loop: Header=BB22_48 Depth=1
	global_load_dword v10, v[44:45], off
	v_mov_b32_e32 v47, v43
	v_cmp_eq_u32_e32 vcc, s28, v9
	s_waitcnt vmcnt(0)
	v_mad_i64_i32 v[10:11], s[0:1], v10, s18, 0
	v_lshl_add_u64 v[38:39], v[10:11], 2, s[6:7]
	v_lshl_add_u64 v[26:27], v[38:39], 0, v[46:47]
	global_load_dwordx4 v[14:17], v[26:27], off
	ds_read_b128 v[10:13], v60
	v_add_u32_e32 v47, v58, v54
	v_add_u32_e32 v63, 1, v47
	v_add_u32_e32 v62, 2, v47
	v_add_u32_e32 v61, 3, v47
	s_and_saveexec_b64 s[10:11], vcc
	s_cbranch_execnz .LBB22_60
; %bb.50:                               ;   in Loop: Header=BB22_48 Depth=1
	s_or_b64 exec, exec, s[10:11]
	global_load_dwordx4 v[18:21], v[26:27], off offset:1024
	s_and_saveexec_b64 s[10:11], vcc
	s_cbranch_execnz .LBB22_61
.LBB22_51:                              ;   in Loop: Header=BB22_48 Depth=1
	s_or_b64 exec, exec, s[10:11]
	global_load_dwordx4 v[22:25], v[26:27], off offset:2048
	s_and_saveexec_b64 s[10:11], vcc
	s_cbranch_execnz .LBB22_62
.LBB22_52:                              ;   in Loop: Header=BB22_48 Depth=1
	s_or_b64 exec, exec, s[10:11]
	global_load_dwordx4 v[26:29], v[26:27], off offset:3072
	s_and_saveexec_b64 s[10:11], vcc
	s_cbranch_execz .LBB22_54
.LBB22_53:                              ;   in Loop: Header=BB22_48 Depth=1
	v_cmp_gt_i32_e64 s[0:1], s21, v47
	s_waitcnt vmcnt(0)
	s_nop 0
	v_cndmask_b32_e64 v26, 0, v26, s[0:1]
	v_cmp_gt_i32_e64 s[0:1], s21, v63
	s_nop 1
	v_cndmask_b32_e64 v27, 0, v27, s[0:1]
	v_cmp_gt_i32_e64 s[0:1], s21, v62
	;; [unrolled: 3-line block ×3, first 2 shown]
	s_nop 1
	v_cndmask_b32_e64 v29, 0, v29, s[0:1]
.LBB22_54:                              ;   in Loop: Header=BB22_48 Depth=1
	s_or_b64 exec, exec, s[10:11]
	v_lshl_add_u64 v[30:31], v[38:39], 0, v[42:43]
	global_load_dwordx4 v[30:33], v[30:31], off
	s_and_saveexec_b64 s[10:11], vcc
	s_cbranch_execz .LBB22_56
; %bb.55:                               ;   in Loop: Header=BB22_48 Depth=1
	v_cmp_gt_i32_e64 s[0:1], s21, v47
	s_waitcnt vmcnt(0)
	s_nop 0
	v_cndmask_b32_e64 v30, 0, v30, s[0:1]
	v_cmp_gt_i32_e64 s[0:1], s21, v63
	s_nop 1
	v_cndmask_b32_e64 v31, 0, v31, s[0:1]
	v_cmp_gt_i32_e64 s[0:1], s21, v62
	;; [unrolled: 3-line block ×3, first 2 shown]
	s_nop 1
	v_cndmask_b32_e64 v33, 0, v33, s[0:1]
.LBB22_56:                              ;   in Loop: Header=BB22_48 Depth=1
	s_or_b64 exec, exec, s[10:11]
	v_mov_b32_e32 v49, v43
	v_lshl_add_u64 v[34:35], v[38:39], 0, v[48:49]
	global_load_dwordx4 v[34:37], v[34:35], off
	s_and_saveexec_b64 s[10:11], vcc
	s_cbranch_execz .LBB22_58
; %bb.57:                               ;   in Loop: Header=BB22_48 Depth=1
	v_cmp_gt_i32_e64 s[0:1], s21, v47
	s_waitcnt vmcnt(0)
	s_nop 0
	v_cndmask_b32_e64 v34, 0, v34, s[0:1]
	v_cmp_gt_i32_e64 s[0:1], s21, v63
	s_nop 1
	v_cndmask_b32_e64 v35, 0, v35, s[0:1]
	v_cmp_gt_i32_e64 s[0:1], s21, v62
	;; [unrolled: 3-line block ×3, first 2 shown]
	s_nop 1
	v_cndmask_b32_e64 v37, 0, v37, s[0:1]
.LBB22_58:                              ;   in Loop: Header=BB22_48 Depth=1
	s_or_b64 exec, exec, s[10:11]
	v_mov_b32_e32 v51, v43
	v_lshl_add_u64 v[38:39], v[38:39], 0, v[50:51]
	global_load_dwordx4 v[38:41], v[38:39], off
	s_and_saveexec_b64 s[0:1], vcc
	s_cbranch_execz .LBB22_46
; %bb.59:                               ;   in Loop: Header=BB22_48 Depth=1
	v_cmp_gt_i32_e32 vcc, s21, v47
	s_waitcnt vmcnt(0)
	s_nop 0
	v_cndmask_b32_e32 v38, 0, v38, vcc
	v_cmp_gt_i32_e32 vcc, s21, v63
	s_nop 1
	v_cndmask_b32_e32 v39, 0, v39, vcc
	v_cmp_gt_i32_e32 vcc, s21, v62
	;; [unrolled: 3-line block ×3, first 2 shown]
	s_nop 1
	v_cndmask_b32_e32 v41, 0, v41, vcc
	s_branch .LBB22_46
.LBB22_60:                              ;   in Loop: Header=BB22_48 Depth=1
	v_cmp_gt_i32_e64 s[0:1], s21, v47
	s_waitcnt vmcnt(0)
	s_nop 0
	v_cndmask_b32_e64 v14, 0, v14, s[0:1]
	v_cmp_gt_i32_e64 s[0:1], s21, v63
	s_nop 1
	v_cndmask_b32_e64 v15, 0, v15, s[0:1]
	v_cmp_gt_i32_e64 s[0:1], s21, v62
	;; [unrolled: 3-line block ×3, first 2 shown]
	s_nop 1
	v_cndmask_b32_e64 v17, 0, v17, s[0:1]
	s_or_b64 exec, exec, s[10:11]
	global_load_dwordx4 v[18:21], v[26:27], off offset:1024
	s_and_saveexec_b64 s[10:11], vcc
	s_cbranch_execz .LBB22_51
.LBB22_61:                              ;   in Loop: Header=BB22_48 Depth=1
	v_cmp_gt_i32_e64 s[0:1], s21, v47
	s_waitcnt vmcnt(0)
	s_nop 0
	v_cndmask_b32_e64 v18, 0, v18, s[0:1]
	v_cmp_gt_i32_e64 s[0:1], s21, v63
	s_nop 1
	v_cndmask_b32_e64 v19, 0, v19, s[0:1]
	v_cmp_gt_i32_e64 s[0:1], s21, v62
	;; [unrolled: 3-line block ×3, first 2 shown]
	s_nop 1
	v_cndmask_b32_e64 v21, 0, v21, s[0:1]
	s_or_b64 exec, exec, s[10:11]
	global_load_dwordx4 v[22:25], v[26:27], off offset:2048
	s_and_saveexec_b64 s[10:11], vcc
	s_cbranch_execz .LBB22_52
.LBB22_62:                              ;   in Loop: Header=BB22_48 Depth=1
	v_cmp_gt_i32_e64 s[0:1], s21, v47
	s_waitcnt vmcnt(0)
	s_nop 0
	v_cndmask_b32_e64 v22, 0, v22, s[0:1]
	v_cmp_gt_i32_e64 s[0:1], s21, v63
	s_nop 1
	v_cndmask_b32_e64 v23, 0, v23, s[0:1]
	v_cmp_gt_i32_e64 s[0:1], s21, v62
	;; [unrolled: 3-line block ×3, first 2 shown]
	s_nop 1
	v_cndmask_b32_e64 v25, 0, v25, s[0:1]
	s_or_b64 exec, exec, s[10:11]
	global_load_dwordx4 v[26:29], v[26:27], off offset:3072
	s_and_saveexec_b64 s[10:11], vcc
	s_cbranch_execnz .LBB22_53
	s_branch .LBB22_54
.LBB22_63:
	s_or_b64 exec, exec, s[16:17]
.LBB22_64:
	s_or_b64 exec, exec, s[2:3]
	ds_bpermute_b32 v10, v57, v2
	ds_bpermute_b32 v11, v57, v3
	;; [unrolled: 1-line block ×7, first 2 shown]
	s_waitcnt lgkmcnt(5)
	v_pk_add_f32 v[2:3], v[2:3], v[10:11]
	s_waitcnt lgkmcnt(3)
	v_pk_add_f32 v[6:7], v[6:7], v[14:15]
	ds_bpermute_b32 v10, v56, v2
	ds_bpermute_b32 v11, v56, v3
	s_waitcnt lgkmcnt(3)
	v_pk_add_f32 v[4:5], v[4:5], v[12:13]
	ds_bpermute_b32 v14, v56, v6
	ds_bpermute_b32 v15, v56, v7
	s_waitcnt lgkmcnt(4)
	v_add_f32_e32 v16, v8, v9
	ds_bpermute_b32 v12, v56, v4
	ds_bpermute_b32 v13, v56, v5
	;; [unrolled: 1-line block ×3, first 2 shown]
	s_waitcnt lgkmcnt(5)
	v_pk_add_f32 v[8:9], v[2:3], v[10:11]
	s_waitcnt lgkmcnt(3)
	v_pk_add_f32 v[2:3], v[6:7], v[14:15]
	v_and_b32_e32 v7, 0x3c3, v0
	s_waitcnt lgkmcnt(1)
	v_pk_add_f32 v[4:5], v[4:5], v[12:13]
	s_waitcnt lgkmcnt(0)
	v_add_f32_e32 v6, v16, v17
	v_cmp_eq_u32_e32 vcc, 64, v7
	s_barrier
	s_and_saveexec_b64 s[0:1], vcc
	s_cbranch_execz .LBB22_66
; %bb.65:
	v_add_u32_e32 v10, 0x1d0, v55
	ds_write2_b32 v10, v8, v9 offset1:16
	ds_write2_b32 v10, v4, v5 offset0:32 offset1:48
	ds_write2_b32 v10, v2, v3 offset0:64 offset1:80
	ds_write_b32 v10, v6 offset:384
.LBB22_66:
	s_or_b64 exec, exec, s[0:1]
	v_cmp_gt_u32_e32 vcc, 64, v0
	s_waitcnt lgkmcnt(0)
	s_barrier
	s_and_saveexec_b64 s[0:1], vcc
	s_cbranch_execz .LBB22_76
; %bb.67:
	v_cmp_eq_u32_e32 vcc, 0, v53
	s_and_saveexec_b64 s[2:3], vcc
	s_cbranch_execnz .LBB22_79
; %bb.68:
	s_or_b64 exec, exec, s[2:3]
	s_and_saveexec_b64 s[2:3], vcc
	s_cbranch_execnz .LBB22_80
.LBB22_69:
	s_or_b64 exec, exec, s[2:3]
	s_and_saveexec_b64 s[2:3], vcc
	s_cbranch_execnz .LBB22_81
.LBB22_70:
	s_or_b64 exec, exec, s[2:3]
	s_and_saveexec_b64 s[2:3], vcc
	s_cbranch_execnz .LBB22_82
.LBB22_71:
	s_or_b64 exec, exec, s[2:3]
	s_and_saveexec_b64 s[2:3], vcc
	s_cbranch_execnz .LBB22_83
.LBB22_72:
	s_or_b64 exec, exec, s[2:3]
	s_and_saveexec_b64 s[2:3], vcc
	s_cbranch_execnz .LBB22_84
.LBB22_73:
	s_or_b64 exec, exec, s[2:3]
	s_and_saveexec_b64 s[2:3], vcc
	s_cbranch_execz .LBB22_75
.LBB22_74:
	v_mov_b32_e32 v0, 0x1d0
	v_lshl_add_u32 v0, v52, 2, v0
	ds_read_b32 v0, v0 offset:384
	s_waitcnt lgkmcnt(0)
	v_add_f32_e32 v6, v6, v0
.LBB22_75:
	s_or_b64 exec, exec, s[2:3]
.LBB22_76:
	s_or_b64 exec, exec, s[0:1]
	v_cmp_eq_u32_e32 vcc, 0, v7
	s_barrier
	s_and_saveexec_b64 s[0:1], vcc
	s_cbranch_execz .LBB22_78
; %bb.77:
	s_mul_i32 s0, s20, s19
	s_mul_i32 s0, s0, s5
	s_mulk_i32 s0, 0x70
	s_ashr_i32 s1, s0, 31
	s_lshl_b64 s[0:1], s[0:1], 2
	s_add_u32 s2, s24, s0
	s_mul_i32 s0, s19, s22
	s_addc_u32 s3, s25, s1
	s_ashr_i32 s1, s0, 31
	s_lshl_b64 s[0:1], s[0:1], 2
	s_add_u32 s2, s2, s0
	s_mul_i32 s0, s4, 0x70
	s_addc_u32 s3, s3, s1
	s_ashr_i32 s1, s0, 31
	s_lshl_b64 s[0:1], s[0:1], 2
	s_add_u32 s0, s2, s0
	s_addc_u32 s1, s3, s1
	global_store_dword v1, v8, s[0:1]
	global_store_dword v1, v9, s[0:1] offset:64
	global_store_dword v1, v4, s[0:1] offset:128
	;; [unrolled: 1-line block ×6, first 2 shown]
.LBB22_78:
	s_endpgm
.LBB22_79:
	v_mov_b32_e32 v0, 0x1d0
	v_lshl_add_u32 v0, v52, 2, v0
	ds_read_b32 v0, v0
	s_waitcnt lgkmcnt(0)
	v_add_f32_e32 v8, v8, v0
	s_or_b64 exec, exec, s[2:3]
	s_and_saveexec_b64 s[2:3], vcc
	s_cbranch_execz .LBB22_69
.LBB22_80:
	v_mov_b32_e32 v0, 0x1d0
	v_lshl_add_u32 v0, v52, 2, v0
	ds_read_b32 v0, v0 offset:64
	s_waitcnt lgkmcnt(0)
	v_add_f32_e32 v9, v9, v0
	s_or_b64 exec, exec, s[2:3]
	s_and_saveexec_b64 s[2:3], vcc
	s_cbranch_execz .LBB22_70
.LBB22_81:
	v_mov_b32_e32 v0, 0x1d0
	v_lshl_add_u32 v0, v52, 2, v0
	ds_read_b32 v0, v0 offset:128
	s_waitcnt lgkmcnt(0)
	v_add_f32_e32 v4, v4, v0
	s_or_b64 exec, exec, s[2:3]
	s_and_saveexec_b64 s[2:3], vcc
	s_cbranch_execz .LBB22_71
.LBB22_82:
	v_mov_b32_e32 v0, 0x1d0
	v_lshl_add_u32 v0, v52, 2, v0
	ds_read_b32 v0, v0 offset:192
	s_waitcnt lgkmcnt(0)
	v_add_f32_e32 v5, v5, v0
	s_or_b64 exec, exec, s[2:3]
	s_and_saveexec_b64 s[2:3], vcc
	s_cbranch_execz .LBB22_72
.LBB22_83:
	v_mov_b32_e32 v0, 0x1d0
	v_lshl_add_u32 v0, v52, 2, v0
	ds_read_b32 v0, v0 offset:256
	s_waitcnt lgkmcnt(0)
	v_add_f32_e32 v2, v2, v0
	s_or_b64 exec, exec, s[2:3]
	s_and_saveexec_b64 s[2:3], vcc
	s_cbranch_execz .LBB22_73
.LBB22_84:
	v_mov_b32_e32 v0, 0x1d0
	v_lshl_add_u32 v0, v52, 2, v0
	ds_read_b32 v0, v0 offset:320
	s_waitcnt lgkmcnt(0)
	v_add_f32_e32 v3, v3, v0
	s_or_b64 exec, exec, s[2:3]
	s_and_saveexec_b64 s[2:3], vcc
	s_cbranch_execnz .LBB22_74
	s_branch .LBB22_75
	.section	.rodata,"a",@progbits
	.p2align	6, 0x0
	.amdhsa_kernel _ZN4vllm25paged_attention_v1_kernelIffLi112ELi16ELi128ELNS_18Fp8KVCacheDataTypeE0ELb1EEEvPT_PKS2_PKT0_S8_ifPKiSA_iPKfiiiSC_SC_iiiii
		.amdhsa_group_segment_fixed_size 464
		.amdhsa_private_segment_fixed_size 0
		.amdhsa_kernarg_size 384
		.amdhsa_user_sgpr_count 2
		.amdhsa_user_sgpr_dispatch_ptr 0
		.amdhsa_user_sgpr_queue_ptr 0
		.amdhsa_user_sgpr_kernarg_segment_ptr 1
		.amdhsa_user_sgpr_dispatch_id 0
		.amdhsa_user_sgpr_kernarg_preload_length 0
		.amdhsa_user_sgpr_kernarg_preload_offset 0
		.amdhsa_user_sgpr_private_segment_size 0
		.amdhsa_uses_dynamic_stack 0
		.amdhsa_enable_private_segment 0
		.amdhsa_system_sgpr_workgroup_id_x 1
		.amdhsa_system_sgpr_workgroup_id_y 1
		.amdhsa_system_sgpr_workgroup_id_z 1
		.amdhsa_system_sgpr_workgroup_info 0
		.amdhsa_system_vgpr_workitem_id 0
		.amdhsa_next_free_vgpr 83
		.amdhsa_next_free_sgpr 45
		.amdhsa_accum_offset 84
		.amdhsa_reserve_vcc 1
		.amdhsa_float_round_mode_32 0
		.amdhsa_float_round_mode_16_64 0
		.amdhsa_float_denorm_mode_32 3
		.amdhsa_float_denorm_mode_16_64 3
		.amdhsa_dx10_clamp 1
		.amdhsa_ieee_mode 1
		.amdhsa_fp16_overflow 0
		.amdhsa_tg_split 0
		.amdhsa_exception_fp_ieee_invalid_op 0
		.amdhsa_exception_fp_denorm_src 0
		.amdhsa_exception_fp_ieee_div_zero 0
		.amdhsa_exception_fp_ieee_overflow 0
		.amdhsa_exception_fp_ieee_underflow 0
		.amdhsa_exception_fp_ieee_inexact 0
		.amdhsa_exception_int_div_zero 0
	.end_amdhsa_kernel
	.section	.text._ZN4vllm25paged_attention_v1_kernelIffLi112ELi16ELi128ELNS_18Fp8KVCacheDataTypeE0ELb1EEEvPT_PKS2_PKT0_S8_ifPKiSA_iPKfiiiSC_SC_iiiii,"axG",@progbits,_ZN4vllm25paged_attention_v1_kernelIffLi112ELi16ELi128ELNS_18Fp8KVCacheDataTypeE0ELb1EEEvPT_PKS2_PKT0_S8_ifPKiSA_iPKfiiiSC_SC_iiiii,comdat
.Lfunc_end22:
	.size	_ZN4vllm25paged_attention_v1_kernelIffLi112ELi16ELi128ELNS_18Fp8KVCacheDataTypeE0ELb1EEEvPT_PKS2_PKT0_S8_ifPKiSA_iPKfiiiSC_SC_iiiii, .Lfunc_end22-_ZN4vllm25paged_attention_v1_kernelIffLi112ELi16ELi128ELNS_18Fp8KVCacheDataTypeE0ELb1EEEvPT_PKS2_PKT0_S8_ifPKiSA_iPKfiiiSC_SC_iiiii
                                        ; -- End function
	.section	.AMDGPU.csdata,"",@progbits
; Kernel info:
; codeLenInByte = 5716
; NumSgprs: 51
; NumVgprs: 83
; NumAgprs: 0
; TotalNumVgprs: 83
; ScratchSize: 0
; MemoryBound: 0
; FloatMode: 240
; IeeeMode: 1
; LDSByteSize: 464 bytes/workgroup (compile time only)
; SGPRBlocks: 6
; VGPRBlocks: 10
; NumSGPRsForWavesPerEU: 51
; NumVGPRsForWavesPerEU: 83
; AccumOffset: 84
; Occupancy: 5
; WaveLimiterHint : 1
; COMPUTE_PGM_RSRC2:SCRATCH_EN: 0
; COMPUTE_PGM_RSRC2:USER_SGPR: 2
; COMPUTE_PGM_RSRC2:TRAP_HANDLER: 0
; COMPUTE_PGM_RSRC2:TGID_X_EN: 1
; COMPUTE_PGM_RSRC2:TGID_Y_EN: 1
; COMPUTE_PGM_RSRC2:TGID_Z_EN: 1
; COMPUTE_PGM_RSRC2:TIDIG_COMP_CNT: 0
; COMPUTE_PGM_RSRC3_GFX90A:ACCUM_OFFSET: 20
; COMPUTE_PGM_RSRC3_GFX90A:TG_SPLIT: 0
	.section	.text._ZN4vllm25paged_attention_v1_kernelIffLi120ELi16ELi128ELNS_18Fp8KVCacheDataTypeE0ELb1EEEvPT_PKS2_PKT0_S8_ifPKiSA_iPKfiiiSC_SC_iiiii,"axG",@progbits,_ZN4vllm25paged_attention_v1_kernelIffLi120ELi16ELi128ELNS_18Fp8KVCacheDataTypeE0ELb1EEEvPT_PKS2_PKT0_S8_ifPKiSA_iPKfiiiSC_SC_iiiii,comdat
	.protected	_ZN4vllm25paged_attention_v1_kernelIffLi120ELi16ELi128ELNS_18Fp8KVCacheDataTypeE0ELb1EEEvPT_PKS2_PKT0_S8_ifPKiSA_iPKfiiiSC_SC_iiiii ; -- Begin function _ZN4vllm25paged_attention_v1_kernelIffLi120ELi16ELi128ELNS_18Fp8KVCacheDataTypeE0ELb1EEEvPT_PKS2_PKT0_S8_ifPKiSA_iPKfiiiSC_SC_iiiii
	.globl	_ZN4vllm25paged_attention_v1_kernelIffLi120ELi16ELi128ELNS_18Fp8KVCacheDataTypeE0ELb1EEEvPT_PKS2_PKT0_S8_ifPKiSA_iPKfiiiSC_SC_iiiii
	.p2align	8
	.type	_ZN4vllm25paged_attention_v1_kernelIffLi120ELi16ELi128ELNS_18Fp8KVCacheDataTypeE0ELb1EEEvPT_PKS2_PKT0_S8_ifPKiSA_iPKfiiiSC_SC_iiiii,@function
_ZN4vllm25paged_attention_v1_kernelIffLi120ELi16ELi128ELNS_18Fp8KVCacheDataTypeE0ELb1EEEvPT_PKS2_PKT0_S8_ifPKiSA_iPKfiiiSC_SC_iiiii: ; @_ZN4vllm25paged_attention_v1_kernelIffLi120ELi16ELi128ELNS_18Fp8KVCacheDataTypeE0ELb1EEEvPT_PKS2_PKT0_S8_ifPKiSA_iPKfiiiSC_SC_iiiii
; %bb.0:
	s_load_dword s5, s[0:1], 0x80
	s_load_dwordx2 s[6:7], s[0:1], 0x30
	s_load_dwordx2 s[30:31], s[0:1], 0x20
	s_mov_b32 s10, s3
	s_ashr_i32 s11, s3, 31
	s_lshl_b64 s[8:9], s[10:11], 2
	s_waitcnt lgkmcnt(0)
	s_add_u32 s6, s6, s8
	s_addc_u32 s7, s7, s9
	s_abs_i32 s3, s30
	v_cvt_f32_u32_e32 v1, s3
	s_sub_i32 s11, 0, s3
	s_abs_i32 s9, s5
	s_xor_b32 s8, s5, s30
	v_rcp_iflag_f32_e32 v1, v1
	s_ashr_i32 s8, s8, 31
	s_mov_b32 s43, 0
	v_mul_f32_e32 v1, 0x4f7ffffe, v1
	v_cvt_u32_f32_e32 v1, v1
	s_nop 0
	v_readfirstlane_b32 s12, v1
	s_mul_i32 s11, s11, s12
	s_mul_hi_u32 s11, s12, s11
	s_add_i32 s12, s12, s11
	s_mul_hi_u32 s11, s9, s12
	s_mul_i32 s12, s11, s3
	s_sub_i32 s9, s9, s12
	s_add_i32 s12, s11, 1
	s_sub_i32 s13, s9, s3
	s_cmp_ge_u32 s9, s3
	s_cselect_b32 s11, s12, s11
	s_cselect_b32 s9, s13, s9
	s_add_i32 s12, s11, 1
	s_cmp_ge_u32 s9, s3
	s_cselect_b32 s3, s12, s11
	s_xor_b32 s3, s3, s8
	s_sub_i32 s12, s3, s8
	s_abs_i32 s11, s12
	v_cvt_f32_u32_e32 v1, s11
	s_load_dwordx2 s[8:9], s[0:1], 0x40
	s_sub_i32 s3, 0, s11
	s_abs_i32 s22, s2
	v_rcp_iflag_f32_e32 v1, v1
	s_nop 0
	v_mul_f32_e32 v1, 0x4f7ffffe, v1
	v_cvt_u32_f32_e32 v1, v1
	s_nop 0
	v_readfirstlane_b32 s13, v1
	s_mul_i32 s3, s3, s13
	s_mul_hi_u32 s3, s13, s3
	s_add_i32 s13, s13, s3
	s_waitcnt lgkmcnt(0)
	s_cmp_eq_u64 s[8:9], 0
	s_mul_hi_u32 s23, s22, s13
	s_cbranch_scc1 .LBB23_2
; %bb.1:
	s_ashr_i32 s3, s2, 31
	s_lshl_b64 s[14:15], s[2:3], 2
	s_add_u32 s8, s8, s14
	s_addc_u32 s9, s9, s15
	s_load_dword s43, s[8:9], 0x0
.LBB23_2:
	s_load_dword s33, s[6:7], 0x0
	s_ashr_i32 s9, s12, 31
	s_load_dwordx4 s[12:15], s[0:1], 0x48
	v_lshrrev_b32_e32 v58, 2, v0
	s_movk_i32 s8, 0x78
	s_ashr_i32 s3, s2, 31
	v_and_b32_e32 v59, 3, v0
	s_mul_i32 s20, s2, 0x78
	v_cmp_gt_u32_e32 vcc, s8, v0
	v_lshlrev_b32_e32 v6, 2, v0
	v_lshlrev_b32_e32 v1, 2, v58
	s_and_saveexec_b64 s[6:7], vcc
	s_cbranch_execz .LBB23_4
; %bb.3:
	s_load_dwordx2 s[16:17], s[0:1], 0x8
	s_waitcnt lgkmcnt(0)
	s_mul_i32 s18, s10, s12
	s_ashr_i32 s19, s18, 31
	s_lshl_b64 s[18:19], s[18:19], 2
	v_mad_u32_u24 v3, v59, s8, v1
	s_add_u32 s12, s16, s18
	s_addc_u32 s15, s17, s19
	s_ashr_i32 s21, s20, 31
	s_lshl_b64 s[16:17], s[20:21], 2
	s_add_u32 s16, s12, s16
	s_addc_u32 s17, s15, s17
	global_load_dword v2, v6, s[16:17]
	s_waitcnt vmcnt(0)
	ds_write_b32 v3, v2
.LBB23_4:
	s_or_b64 exec, exec, s[6:7]
	s_mul_i32 s6, s23, s11
	s_sub_i32 s6, s22, s6
	s_xor_b32 s3, s3, s9
	s_add_i32 s7, s23, 1
	s_sub_i32 s9, s6, s11
	s_load_dwordx4 s[16:19], s[0:1], 0x68
	s_load_dword s8, s[0:1], 0x78
	s_cmp_ge_u32 s6, s11
	s_cselect_b32 s7, s7, s23
	s_cselect_b32 s6, s9, s6
	s_add_i32 s9, s7, 1
	s_cmp_ge_u32 s6, s11
	s_cselect_b32 s6, s9, s7
	s_waitcnt lgkmcnt(0)
	s_abs_i32 s21, s19
	v_cvt_f32_u32_e32 v2, s21
	s_xor_b32 s6, s6, s3
	s_sub_i32 s3, s6, s3
	s_sub_i32 s6, 0, s21
	v_rcp_iflag_f32_e32 v2, v2
	s_add_i32 s11, s33, -1
	s_abs_i32 s9, s11
	v_mul_f32_e32 v2, 0x4f7ffffe, v2
	v_cvt_u32_f32_e32 v2, v2
	s_barrier
	v_readfirstlane_b32 s40, v2
	s_mul_i32 s6, s6, s40
	s_mul_hi_u32 s6, s40, s6
	s_add_i32 s40, s40, s6
	s_cmp_lt_i32 s8, 0
	s_mul_hi_u32 s12, s9, s40
	s_cbranch_scc0 .LBB23_6
; %bb.5:
	s_mul_i32 s6, s16, s30
	s_add_i32 s6, s3, s6
	s_mul_i32 s6, s6, s8
	s_sub_i32 s41, 1, s6
	s_mov_b64 s[6:7], 0
	s_branch .LBB23_7
.LBB23_6:
	s_mov_b64 s[6:7], -1
                                        ; implicit-def: $sgpr41
.LBB23_7:
	s_load_dwordx2 s[24:25], s[0:1], 0x28
	s_ashr_i32 s15, s11, 31
	s_andn2_b64 vcc, exec, s[6:7]
	s_ashr_i32 s19, s19, 31
	s_cbranch_vccnz .LBB23_9
; %bb.8:
	s_mul_i32 s6, s5, s16
	s_add_i32 s2, s6, s2
	s_mul_i32 s2, s2, s8
	s_add_i32 s41, s2, 1
.LBB23_9:
	s_load_dword s2, s[0:1], 0x38
	s_load_dwordx2 s[22:23], s[0:1], 0x0
	s_load_dwordx2 s[28:29], s[0:1], 0x18
	s_load_dword s11, s[0:1], 0x88
	s_xor_b32 s6, s15, s19
	s_waitcnt lgkmcnt(0)
	s_mul_i32 s26, s10, s2
	s_mul_i32 s2, s12, s21
	s_sub_i32 s2, s9, s2
	s_ashr_i32 s27, s26, 31
	s_add_i32 s7, s12, 1
	s_sub_i32 s8, s2, s21
	s_cmp_ge_u32 s2, s21
	s_cselect_b32 s7, s7, s12
	s_cselect_b32 s2, s8, s2
	s_add_i32 s8, s7, 1
	s_cmp_ge_u32 s2, s21
	s_cselect_b32 s2, s8, s7
	s_xor_b32 s2, s2, s6
	s_sub_i32 s12, s2, s6
	s_add_i32 s2, s33, 15
	s_ashr_i32 s6, s2, 31
	s_lshr_b32 s6, s6, 28
	s_add_i32 s2, s2, s6
	s_ashr_i32 s42, s2, 4
	v_lshrrev_b32_e32 v60, 6, v0
	v_cmp_gt_i32_e64 s[6:7], s42, v60
	v_mov_b32_e32 v11, 0xff7fffff
	s_mul_i32 s14, s3, s14
	v_lshrrev_b32_e32 v7, 4, v0
	v_lshlrev_b32_e32 v61, 4, v60
	v_mbcnt_lo_u32_b32 v8, -1, 0
	s_and_saveexec_b64 s[34:35], s[6:7]
	s_cbranch_execz .LBB23_19
; %bb.10:
	s_load_dwordx2 s[0:1], s[0:1], 0x10
	s_ashr_i32 s15, s14, 31
	s_sub_i32 s16, s12, s17
	s_lshl_b64 s[2:3], s[14:15], 2
	v_bfe_u32 v9, v0, 2, 4
	s_waitcnt lgkmcnt(0)
	s_add_u32 s0, s0, s2
	s_addc_u32 s1, s1, s3
	s_abs_i32 s15, s18
	v_cvt_f32_u32_e32 v2, s15
	v_lshlrev_b32_e32 v4, 4, v9
	v_mov_b32_e32 v5, 0
	v_lshlrev_b32_e32 v11, 2, v9
	v_rcp_iflag_f32_e32 v10, v2
	v_lshl_add_u64 v[2:3], s[0:1], 0, v[4:5]
	v_lshlrev_b32_e32 v4, 2, v59
	v_lshl_add_u64 v[2:3], v[2:3], 0, v[4:5]
	v_mul_f32_e32 v4, 0x4f7ffffe, v10
	v_cvt_u32_f32_e32 v4, v4
	s_sub_i32 s0, 0, s15
	v_lshl_or_b32 v11, v60, 6, v11
	v_add_u32_e32 v14, 0x1f0, v11
	v_mul_lo_u32 v12, s0, v4
	s_lshl_b64 s[0:1], s[26:27], 2
	v_mul_hi_u32 v12, v4, v12
	s_add_u32 s0, s24, s0
	v_subrev_u32_e32 v11, s33, v9
	v_mbcnt_hi_u32_b32 v17, -1, v8
	v_add_u32_e32 v12, v4, v12
	v_and_b32_e32 v4, 60, v7
	s_addc_u32 s1, s25, s1
	v_add_u32_e32 v15, 1, v11
	v_and_b32_e32 v11, 64, v17
	v_cmp_eq_u32_e32 vcc, 0, v59
	s_mov_b32 s30, s13
	v_mul_u32_u24_e32 v10, 0x78, v59
	v_cmp_neq_f32_e64 s[2:3], s43, 0
	v_lshl_add_u64 v[4:5], s[0:1], 0, v[4:5]
	v_lshlrev_b32_e32 v13, 4, v60
	s_mov_b64 s[36:37], 0
	v_mov_b32_e32 v16, 0xff7fffff
	s_movk_i32 s44, 0x1000
	v_add_u32_e32 v18, 64, v11
	v_xor_b32_e32 v19, 2, v17
	v_xor_b32_e32 v20, 1, v17
	v_mov_b32_e32 v11, 0xff7fffff
	v_mov_b32_e32 v21, v60
	s_branch .LBB23_13
.LBB23_11:                              ;   in Loop: Header=BB23_13 Depth=1
	s_or_b64 exec, exec, s[38:39]
.LBB23_12:                              ;   in Loop: Header=BB23_13 Depth=1
	s_or_b64 exec, exec, s[8:9]
	v_add_u32_e32 v21, 2, v21
	v_cmp_le_i32_e64 s[0:1], s42, v21
	v_lshl_add_u64 v[4:5], v[4:5], 0, 8
	v_add_u32_e32 v13, 32, v13
	s_or_b64 s[36:37], s[0:1], s[36:37]
	v_add_u32_e32 v14, 0x80, v14
	s_andn2_b64 exec, exec, s[36:37]
	s_cbranch_execz .LBB23_18
.LBB23_13:                              ; =>This Inner Loop Header: Depth=1
	v_mul_hi_u32 v22, v13, s40
	s_waitcnt lgkmcnt(0)
	v_mul_lo_u32 v23, v22, s21
	v_sub_u32_e32 v23, v13, v23
	v_add_u32_e32 v24, 1, v22
	v_cmp_le_u32_e64 s[0:1], s21, v23
	s_nop 1
	v_cndmask_b32_e64 v22, v22, v24, s[0:1]
	v_subrev_u32_e32 v24, s21, v23
	v_cndmask_b32_e64 v23, v23, v24, s[0:1]
	v_add_u32_e32 v24, 1, v22
	v_cmp_le_u32_e64 s[0:1], s21, v23
	s_nop 1
	v_cndmask_b32_e64 v22, v22, v24, s[0:1]
	v_xor_b32_e32 v22, s19, v22
	v_subrev_u32_e32 v22, s19, v22
	v_add_u32_e32 v23, s41, v22
	v_sub_u32_e32 v25, 0, v23
	v_ashrrev_i32_e32 v24, 31, v23
	v_max_i32_e32 v23, v23, v25
	v_mul_hi_u32 v25, v23, v12
	v_mul_lo_u32 v25, v25, s15
	v_sub_u32_e32 v23, v23, v25
	v_subrev_u32_e32 v25, s15, v23
	v_cmp_le_u32_e64 s[0:1], s15, v23
	v_cmp_ge_i32_e64 s[8:9], s16, v22
	s_nop 0
	v_cndmask_b32_e64 v23, v23, v25, s[0:1]
	v_subrev_u32_e32 v25, s15, v23
	v_cmp_le_u32_e64 s[0:1], s15, v23
	s_nop 1
	v_cndmask_b32_e64 v23, v23, v25, s[0:1]
	v_xor_b32_e32 v23, v23, v24
	v_sub_u32_e32 v23, v23, v24
	v_cmp_ne_u32_e64 s[0:1], 0, v23
	s_and_b64 s[0:1], s[0:1], s[8:9]
	s_and_b64 s[38:39], vcc, s[0:1]
	s_and_saveexec_b64 s[8:9], s[38:39]
	s_cbranch_execz .LBB23_15
; %bb.14:                               ;   in Loop: Header=BB23_13 Depth=1
	ds_write_b32 v14, v16
.LBB23_15:                              ;   in Loop: Header=BB23_13 Depth=1
	s_or_b64 exec, exec, s[8:9]
	s_xor_b64 s[0:1], s[0:1], -1
	s_and_saveexec_b64 s[8:9], s[0:1]
	s_cbranch_execz .LBB23_12
; %bb.16:                               ;   in Loop: Header=BB23_13 Depth=1
	global_load_dword v22, v[4:5], off
	s_waitcnt vmcnt(0)
	v_mad_i64_i32 v[22:23], s[0:1], v22, s30, 0
	v_lshl_add_u64 v[22:23], v[22:23], 2, v[2:3]
	global_load_dword v52, v[22:23], off offset:512
	global_load_dword v53, v[22:23], off offset:768
	global_load_dword v54, v[22:23], off offset:1024
	global_load_dword v55, v[22:23], off offset:1280
	global_load_dword v56, v[22:23], off offset:1536
	global_load_dword v57, v[22:23], off offset:1792
	global_load_dword v62, v[22:23], off offset:256
	global_load_dword v63, v[22:23], off
	global_load_dword v64, v[22:23], off offset:2048
	global_load_dword v65, v[22:23], off offset:2304
	;; [unrolled: 1-line block ×8, first 2 shown]
	v_add_co_u32_e64 v22, s[0:1], s44, v22
	s_nop 1
	v_addc_co_u32_e64 v23, s[0:1], 0, v23, s[0:1]
	global_load_dword v72, v[22:23], off
	global_load_dword v73, v[22:23], off offset:256
	global_load_dword v74, v[22:23], off offset:512
	;; [unrolled: 1-line block ×13, first 2 shown]
	ds_read2_b64 v[22:25], v10 offset1:1
	ds_read2_b64 v[26:29], v10 offset0:2 offset1:3
	ds_read2_b64 v[30:33], v10 offset0:4 offset1:5
	ds_read2_b64 v[34:37], v10 offset0:6 offset1:7
	ds_read2_b64 v[38:41], v10 offset0:8 offset1:9
	ds_read2_b64 v[42:45], v10 offset0:10 offset1:11
	ds_read2_b64 v[46:49], v10 offset0:12 offset1:13
	ds_read_b64 v[50:51], v10 offset:112
	v_cmp_lt_i32_e64 s[0:1], v19, v18
	s_waitcnt vmcnt(23) lgkmcnt(7)
	v_mul_f32_e32 v23, v23, v62
	s_waitcnt vmcnt(22)
	v_fmac_f32_e32 v23, v22, v63
	v_fmac_f32_e32 v23, v24, v52
	;; [unrolled: 1-line block ×3, first 2 shown]
	s_waitcnt lgkmcnt(6)
	v_fmac_f32_e32 v23, v26, v54
	v_fmac_f32_e32 v23, v27, v55
	v_fmac_f32_e32 v23, v28, v56
	v_fmac_f32_e32 v23, v29, v57
	s_waitcnt vmcnt(21) lgkmcnt(5)
	v_fmac_f32_e32 v23, v30, v64
	s_waitcnt vmcnt(20)
	v_fmac_f32_e32 v23, v31, v65
	s_waitcnt vmcnt(19)
	v_fmac_f32_e32 v23, v32, v66
	s_waitcnt vmcnt(18)
	v_fmac_f32_e32 v23, v33, v67
	s_waitcnt vmcnt(17) lgkmcnt(4)
	v_fmac_f32_e32 v23, v34, v68
	s_waitcnt vmcnt(16)
	v_fmac_f32_e32 v23, v35, v69
	s_waitcnt vmcnt(15)
	v_fmac_f32_e32 v23, v36, v70
	s_waitcnt vmcnt(14)
	v_fmac_f32_e32 v23, v37, v71
	;; [unrolled: 8-line block ×5, first 2 shown]
	v_cndmask_b32_e64 v86, v17, v19, s[0:1]
	s_waitcnt vmcnt(1) lgkmcnt(0)
	v_fmac_f32_e32 v23, v50, v84
	v_lshlrev_b32_e32 v22, 2, v86
	s_waitcnt vmcnt(0)
	v_fmac_f32_e32 v23, v51, v85
	ds_bpermute_b32 v22, v22, v23
	v_cmp_lt_i32_e64 s[0:1], v20, v18
	s_waitcnt lgkmcnt(0)
	v_add_f32_e32 v22, v23, v22
	v_cndmask_b32_e64 v24, v17, v20, s[0:1]
	v_lshlrev_b32_e32 v24, 2, v24
	ds_bpermute_b32 v23, v24, v22
	s_and_saveexec_b64 s[38:39], vcc
	s_cbranch_execz .LBB23_11
; %bb.17:                               ;   in Loop: Header=BB23_13 Depth=1
	v_add_u32_e32 v24, v15, v13
	v_cvt_f32_i32_e32 v24, v24
	s_waitcnt lgkmcnt(0)
	v_add_f32_e32 v22, v22, v23
	v_add_u32_e32 v25, v9, v13
	v_cmp_gt_i32_e64 s[0:1], s33, v25
	v_mul_f32_e32 v23, s43, v24
	v_cndmask_b32_e64 v23, 0, v23, s[2:3]
	v_fmac_f32_e32 v23, s31, v22
	v_cndmask_b32_e64 v22, 0, v23, s[0:1]
	ds_write_b32 v14, v22
	v_max_f32_e32 v22, v11, v11
	v_max_f32_e32 v22, v22, v23
	v_cndmask_b32_e64 v11, v11, v22, s[0:1]
	s_branch .LBB23_11
.LBB23_18:
	s_or_b64 exec, exec, s[36:37]
.LBB23_19:
	s_or_b64 exec, exec, s[34:35]
	v_mbcnt_hi_u32_b32 v2, -1, v8
	v_and_b32_e32 v3, 64, v2
	v_add_u32_e32 v3, 64, v3
	v_xor_b32_e32 v4, 32, v2
	v_cmp_lt_i32_e32 vcc, v4, v3
	v_xor_b32_e32 v9, 16, v2
	v_max_f32_e32 v8, v11, v11
	v_cndmask_b32_e32 v4, v2, v4, vcc
	v_lshlrev_b32_e32 v5, 2, v4
	ds_bpermute_b32 v4, v5, v11
	v_cmp_lt_i32_e32 vcc, v9, v3
	v_xor_b32_e32 v10, 8, v2
	v_xor_b32_e32 v12, 4, v2
	s_waitcnt lgkmcnt(0)
	v_max_f32_e32 v4, v4, v4
	v_max_f32_e32 v4, v8, v4
	v_cndmask_b32_e32 v8, v2, v9, vcc
	v_lshlrev_b32_e32 v8, 2, v8
	ds_bpermute_b32 v9, v8, v4
	v_cmp_lt_i32_e32 vcc, v10, v3
	s_waitcnt lgkmcnt(0)
	v_max_f32_e32 v9, v9, v9
	v_max_f32_e32 v4, v4, v9
	v_cndmask_b32_e32 v9, v2, v10, vcc
	v_lshlrev_b32_e32 v11, 2, v9
	ds_bpermute_b32 v9, v11, v4
	v_cmp_lt_i32_e32 vcc, v12, v3
	s_waitcnt lgkmcnt(0)
	v_max_f32_e32 v9, v9, v9
	v_max_f32_e32 v10, v4, v9
	v_cndmask_b32_e32 v4, v2, v12, vcc
	v_lshlrev_b32_e32 v12, 2, v4
	ds_bpermute_b32 v13, v12, v10
	v_and_b32_e32 v4, 63, v0
	v_cmp_eq_u32_e32 vcc, 0, v4
	v_lshlrev_b32_e32 v9, 2, v60
	s_and_saveexec_b64 s[0:1], vcc
	s_cbranch_execz .LBB23_21
; %bb.20:
	s_waitcnt lgkmcnt(0)
	v_max_f32_e32 v13, v13, v13
	v_max_f32_e32 v10, v10, v10
	;; [unrolled: 1-line block ×3, first 2 shown]
	ds_write_b32 v9, v10 offset:480
.LBB23_21:
	s_or_b64 exec, exec, s[0:1]
	v_cmp_gt_u32_e64 s[0:1], 2, v4
	s_waitcnt lgkmcnt(0)
	v_mov_b32_e32 v13, 0xff7fffff
	v_lshlrev_b32_e32 v10, 2, v4
	s_barrier
	s_and_saveexec_b64 s[2:3], s[0:1]
	s_cbranch_execz .LBB23_23
; %bb.22:
	ds_read_b32 v13, v10 offset:480
.LBB23_23:
	s_or_b64 exec, exec, s[2:3]
	v_xor_b32_e32 v14, 1, v2
	v_cmp_lt_i32_e64 s[2:3], v14, v3
	v_lshlrev_b32_e32 v15, 2, v2
	s_nop 0
	v_cndmask_b32_e64 v14, v2, v14, s[2:3]
	v_lshlrev_b32_e32 v62, 2, v14
	s_waitcnt lgkmcnt(0)
	ds_bpermute_b32 v14, v62, v13
	v_max_f32_e32 v13, v13, v13
	s_lshl_b32 s2, s42, 4
	s_min_i32 s15, s2, s33
	v_cmp_gt_i32_e64 s[2:3], s15, v0
	s_waitcnt lgkmcnt(0)
	v_max_f32_e32 v14, v14, v14
	v_max_f32_e32 v14, v13, v14
	v_and_b32_e32 v13, 0x100, v15
	ds_bpermute_b32 v15, v13, v14
	v_mov_b32_e32 v14, 0
	s_and_saveexec_b64 s[30:31], s[2:3]
	s_cbranch_execz .LBB23_27
; %bb.24:
	v_mov_b32_e32 v14, 0x1f0
	v_lshl_add_u32 v16, v0, 2, v14
	s_mov_b64 s[34:35], 0
	v_mov_b32_e32 v14, 0
	v_mov_b32_e32 v17, v0
.LBB23_25:                              ; =>This Inner Loop Header: Depth=1
	ds_read_b32 v18, v16
	v_add_u32_e32 v17, 0x80, v17
	v_cmp_le_i32_e64 s[8:9], s15, v17
	s_or_b64 s[34:35], s[8:9], s[34:35]
	s_waitcnt lgkmcnt(0)
	v_sub_f32_e32 v18, v18, v15
	v_mul_f32_e32 v18, 0x3fb8aa3b, v18
	v_exp_f32_e32 v18, v18
	ds_write_b32 v16, v18
	v_add_f32_e32 v14, v14, v18
	v_add_u32_e32 v16, 0x200, v16
	s_andn2_b64 exec, exec, s[34:35]
	s_cbranch_execnz .LBB23_25
; %bb.26:
	s_or_b64 exec, exec, s[34:35]
.LBB23_27:
	s_or_b64 exec, exec, s[30:31]
	ds_bpermute_b32 v5, v5, v14
	s_waitcnt lgkmcnt(0)
	v_add_f32_e32 v5, v14, v5
	ds_bpermute_b32 v8, v8, v5
	s_waitcnt lgkmcnt(0)
	v_add_f32_e32 v5, v5, v8
	ds_bpermute_b32 v8, v11, v5
	v_xor_b32_e32 v11, 2, v2
	v_cmp_lt_i32_e64 s[8:9], v11, v3
	s_waitcnt lgkmcnt(0)
	v_add_f32_e32 v5, v5, v8
	ds_bpermute_b32 v8, v12, v5
	v_cndmask_b32_e64 v2, v2, v11, s[8:9]
	v_lshlrev_b32_e32 v63, 2, v2
	s_waitcnt lgkmcnt(0)
	v_add_f32_e32 v3, v5, v8
	ds_bpermute_b32 v2, v63, v3
	s_waitcnt lgkmcnt(0)
	v_add_f32_e32 v2, v3, v2
	ds_bpermute_b32 v3, v62, v2
	s_waitcnt lgkmcnt(0)
	v_add_f32_e32 v2, v2, v3
	s_and_saveexec_b64 s[8:9], vcc
	s_cbranch_execz .LBB23_29
; %bb.28:
	ds_write_b32 v9, v2 offset:488
.LBB23_29:
	s_or_b64 exec, exec, s[8:9]
	s_waitcnt lgkmcnt(0)
	s_barrier
	s_and_saveexec_b64 s[8:9], s[0:1]
	s_cbranch_execz .LBB23_31
; %bb.30:
	ds_read_b32 v2, v10 offset:488
.LBB23_31:
	s_or_b64 exec, exec, s[8:9]
	s_waitcnt lgkmcnt(0)
	ds_bpermute_b32 v3, v62, v2
	s_waitcnt lgkmcnt(0)
	v_add_f32_e32 v2, v2, v3
	ds_bpermute_b32 v2, v13, v2
	s_and_saveexec_b64 s[0:1], s[2:3]
	s_cbranch_execz .LBB23_44
; %bb.32:
	s_waitcnt lgkmcnt(0)
	v_add_f32_e32 v2, 0x358637bd, v2
	v_div_scale_f32 v3, s[2:3], v2, v2, 1.0
	v_rcp_f32_e32 v5, v3
	v_div_scale_f32 v8, vcc, 1.0, v2, 1.0
	s_movk_i32 s2, 0x7f
	v_fma_f32 v9, -v3, v5, 1.0
	v_fmac_f32_e32 v5, v9, v5
	v_mul_f32_e32 v9, v8, v5
	v_fma_f32 v10, -v3, v9, v8
	v_fmac_f32_e32 v9, v10, v5
	v_fma_f32 v3, -v3, v9, v8
	v_div_fmas_f32 v3, v3, v5, v9
	v_xad_u32 v5, v0, -1, s15
	v_div_fixup_f32 v2, v3, v2, 1.0
	v_cmp_lt_u32_e32 vcc, s2, v5
	s_mov_b64 s[8:9], -1
	v_mov_b32_e32 v3, v0
	s_and_saveexec_b64 s[2:3], vcc
	s_cbranch_execz .LBB23_41
; %bb.33:
	v_lshrrev_b32_e32 v5, 7, v5
	v_add_u32_e32 v9, -1, v5
	v_lshrrev_b32_e32 v8, 1, v9
	v_mov_b32_e32 v3, v2
	v_add_u32_e32 v8, 1, v8
	v_cmp_lt_u32_e32 vcc, 13, v9
	v_mov_b32_e32 v11, 0
	s_and_saveexec_b64 s[8:9], vcc
	s_cbranch_execz .LBB23_37
; %bb.34:
	v_mov_b32_e32 v10, 0x1f0
	v_and_b32_e32 v9, -8, v8
	v_lshl_add_u32 v10, v0, 2, v10
	s_mov_b32 s16, 0
	s_mov_b64 s[30:31], 0
.LBB23_35:                              ; =>This Inner Loop Header: Depth=1
	ds_read2st64_b32 v[12:13], v10 offset1:2
	ds_read2st64_b32 v[14:15], v10 offset0:4 offset1:6
	ds_read2st64_b32 v[16:17], v10 offset0:8 offset1:10
	ds_read2st64_b32 v[18:19], v10 offset0:12 offset1:14
	v_add_u32_e32 v9, -8, v9
	s_waitcnt lgkmcnt(3)
	v_pk_mul_f32 v[12:13], v[2:3], v[12:13]
	s_waitcnt lgkmcnt(2)
	v_pk_mul_f32 v[14:15], v[2:3], v[14:15]
	ds_write2st64_b32 v10, v12, v13 offset1:2
	ds_write2st64_b32 v10, v14, v15 offset0:4 offset1:6
	ds_read2st64_b32 v[14:15], v10 offset0:16 offset1:18
	s_waitcnt lgkmcnt(4)
	v_pk_mul_f32 v[12:13], v[2:3], v[16:17]
	ds_write2st64_b32 v10, v12, v13 offset0:8 offset1:10
	s_waitcnt lgkmcnt(4)
	v_pk_mul_f32 v[12:13], v[2:3], v[18:19]
	ds_write2st64_b32 v10, v12, v13 offset0:12 offset1:14
	ds_read2st64_b32 v[12:13], v10 offset0:20 offset1:22
	s_waitcnt lgkmcnt(3)
	v_pk_mul_f32 v[14:15], v[2:3], v[14:15]
	ds_read2st64_b32 v[16:17], v10 offset0:24 offset1:26
	ds_write2st64_b32 v10, v14, v15 offset0:16 offset1:18
	ds_read2st64_b32 v[14:15], v10 offset0:28 offset1:30
	s_waitcnt lgkmcnt(3)
	v_pk_mul_f32 v[12:13], v[2:3], v[12:13]
	ds_write2st64_b32 v10, v12, v13 offset0:20 offset1:22
	s_waitcnt lgkmcnt(3)
	v_pk_mul_f32 v[12:13], v[2:3], v[16:17]
	ds_write2st64_b32 v10, v12, v13 offset0:24 offset1:26
	s_waitcnt lgkmcnt(2)
	v_pk_mul_f32 v[12:13], v[2:3], v[14:15]
	s_add_i32 s16, s16, 16
	v_cmp_eq_u32_e32 vcc, 0, v9
	ds_write2st64_b32 v10, v12, v13 offset0:28 offset1:30
	v_add_u32_e32 v10, 0x2000, v10
	s_or_b64 s[30:31], vcc, s[30:31]
	v_mov_b32_e32 v11, s16
	s_andn2_b64 exec, exec, s[30:31]
	s_cbranch_execnz .LBB23_35
; %bb.36:
	s_or_b64 exec, exec, s[30:31]
.LBB23_37:
	s_or_b64 exec, exec, s[8:9]
	v_and_b32_e32 v8, 7, v8
	v_cmp_ne_u32_e32 vcc, 0, v8
	s_and_saveexec_b64 s[8:9], vcc
	s_cbranch_execz .LBB23_40
; %bb.38:
	v_lshlrev_b32_e32 v9, 9, v11
	s_movk_i32 s16, 0x1f0
	v_add3_u32 v9, v9, v6, s16
	s_mov_b64 s[30:31], 0
.LBB23_39:                              ; =>This Inner Loop Header: Depth=1
	ds_read2st64_b32 v[10:11], v9 offset1:2
	v_add_u32_e32 v8, -1, v8
	v_cmp_eq_u32_e32 vcc, 0, v8
	s_or_b64 s[30:31], vcc, s[30:31]
	s_waitcnt lgkmcnt(0)
	v_pk_mul_f32 v[10:11], v[2:3], v[10:11]
	ds_write2st64_b32 v9, v10, v11 offset1:2
	v_add_u32_e32 v9, 0x400, v9
	s_andn2_b64 exec, exec, s[30:31]
	s_cbranch_execnz .LBB23_39
.LBB23_40:
	s_or_b64 exec, exec, s[8:9]
	v_add_u32_e32 v5, 1, v5
	v_and_b32_e32 v8, 0x3fffffe, v5
	v_cmp_ne_u32_e32 vcc, v5, v8
	v_lshl_add_u32 v3, v8, 7, v0
	s_orn2_b64 s[8:9], vcc, exec
.LBB23_41:
	s_or_b64 exec, exec, s[2:3]
	s_and_b64 exec, exec, s[8:9]
	s_cbranch_execz .LBB23_44
; %bb.42:
	v_mov_b32_e32 v5, 0x1f0
	v_lshl_add_u32 v5, v3, 2, v5
	s_mov_b64 s[2:3], 0
.LBB23_43:                              ; =>This Inner Loop Header: Depth=1
	ds_read_b32 v8, v5
	v_add_u32_e32 v3, 0x80, v3
	v_cmp_le_i32_e32 vcc, s15, v3
	s_or_b64 s[2:3], vcc, s[2:3]
	s_waitcnt lgkmcnt(0)
	v_mul_f32_e32 v8, v2, v8
	ds_write_b32 v5, v8
	v_add_u32_e32 v5, 0x200, v5
	s_andn2_b64 exec, exec, s[2:3]
	s_cbranch_execnz .LBB23_43
.LBB23_44:
	s_or_b64 exec, exec, s[0:1]
	v_mov_b32_e32 v39, 0
	v_lshrrev_b32_e32 v64, 2, v4
	v_mov_b32_e32 v38, 0
	v_mov_b32_e32 v41, 0
	v_mov_b32_e32 v40, 0
	v_mov_b32_e32 v43, 0
	v_mov_b32_e32 v42, 0
	v_mov_b32_e32 v45, 0
	v_mov_b32_e32 v44, 0
	s_waitcnt lgkmcnt(0)
	s_barrier
	s_and_saveexec_b64 s[8:9], s[6:7]
	s_cbranch_execz .LBB23_68
; %bb.45:
	s_ashr_i32 s15, s14, 31
	s_sub_i32 s30, s12, s17
	s_lshl_b64 s[0:1], s[14:15], 2
	s_add_u32 s6, s28, s0
	s_addc_u32 s7, s29, s1
	s_abs_i32 s18, s18
	v_cvt_f32_u32_e32 v3, s18
	v_or_b32_e32 v5, 0x70, v64
	s_movk_i32 s0, 0x78
	v_and_b32_e32 v65, 12, v6
	v_rcp_iflag_f32_e32 v3, v3
	v_cmp_gt_u32_e32 vcc, s0, v5
	s_sub_i32 s0, 0, s18
	v_lshl_or_b32 v10, v5, 4, v65
	v_mul_f32_e32 v3, 0x4f7ffffe, v3
	v_cvt_u32_f32_e32 v3, v3
	s_add_i32 s28, s42, -1
	v_lshl_or_b32 v2, v64, 4, v65
	v_mov_b32_e32 v47, 0
	v_mul_lo_u32 v5, s0, v3
	v_mul_hi_u32 v5, v3, v5
	s_lshl_b64 s[0:1], s[26:27], 2
	v_add_u32_e32 v66, v3, v5
	s_add_u32 s0, s24, s0
	v_lshlrev_b32_e32 v3, 4, v59
	v_or_b32_e32 v4, 0x400, v2
	v_or_b32_e32 v6, 0x500, v2
	;; [unrolled: 1-line block ×3, first 2 shown]
	v_and_b32_e32 v46, 60, v7
	s_addc_u32 s1, s25, s1
	v_lshl_or_b32 v3, v60, 6, v3
	s_mov_b32 s31, s13
	v_lshl_add_u64 v[48:49], s[0:1], 0, v[46:47]
	v_add_u32_e32 v67, 0x1f0, v3
	s_mov_b64 s[12:13], 0
	v_lshlrev_b32_e32 v50, 2, v2
	v_lshlrev_b32_e32 v46, 2, v4
	;; [unrolled: 1-line block ×5, first 2 shown]
	v_mov_b32_e32 v44, v47
	v_mov_b32_e32 v45, v47
	v_mov_b32_e32 v42, v47
	v_mov_b32_e32 v43, v47
	v_mov_b32_e32 v40, v47
	v_mov_b32_e32 v41, v47
	v_mov_b32_e32 v38, v47
	v_mov_b32_e32 v39, v47
	s_branch .LBB23_49
.LBB23_46:                              ;   in Loop: Header=BB23_49 Depth=1
	s_or_b64 exec, exec, s[16:17]
	s_waitcnt vmcnt(0) lgkmcnt(0)
	v_mul_f32_e32 v35, v3, v35
	v_fmac_f32_e32 v35, v2, v34
	v_fmac_f32_e32 v35, v4, v36
	;; [unrolled: 1-line block ×3, first 2 shown]
	v_add_f32_e32 v39, v39, v35
.LBB23_47:                              ;   in Loop: Header=BB23_49 Depth=1
	s_or_b64 exec, exec, s[2:3]
	s_waitcnt vmcnt(6) lgkmcnt(0)
	v_mul_f32_e32 v7, v3, v7
	v_fmac_f32_e32 v7, v2, v6
	s_waitcnt vmcnt(5)
	v_mul_f32_e32 v6, v3, v11
	v_fmac_f32_e32 v6, v2, v10
	v_fmac_f32_e32 v6, v4, v12
	v_fmac_f32_e32 v6, v5, v13
	v_add_f32_e32 v45, v45, v6
	s_waitcnt vmcnt(4)
	v_mul_f32_e32 v6, v3, v15
	v_fmac_f32_e32 v6, v2, v14
	v_fmac_f32_e32 v6, v4, v16
	v_fmac_f32_e32 v6, v5, v17
	v_add_f32_e32 v42, v42, v6
	;; [unrolled: 6-line block ×4, first 2 shown]
	s_waitcnt vmcnt(1)
	v_mul_f32_e32 v6, v3, v27
	s_waitcnt vmcnt(0)
	v_mul_f32_e32 v3, v3, v31
	v_fmac_f32_e32 v6, v2, v26
	v_fmac_f32_e32 v3, v2, v30
	;; [unrolled: 1-line block ×8, first 2 shown]
	v_add_f32_e32 v44, v44, v7
	v_add_f32_e32 v41, v41, v6
	;; [unrolled: 1-line block ×3, first 2 shown]
.LBB23_48:                              ;   in Loop: Header=BB23_49 Depth=1
	s_or_b64 exec, exec, s[14:15]
	v_add_u32_e32 v60, 2, v60
	v_cmp_le_i32_e64 s[0:1], s42, v60
	v_lshl_add_u64 v[48:49], v[48:49], 0, 8
	v_add_u32_e32 v61, 32, v61
	s_or_b64 s[12:13], s[0:1], s[12:13]
	v_add_u32_e32 v67, 0x80, v67
	s_andn2_b64 exec, exec, s[12:13]
	s_cbranch_execz .LBB23_67
.LBB23_49:                              ; =>This Inner Loop Header: Depth=1
	v_mul_hi_u32 v2, v61, s40
	v_mul_lo_u32 v3, v2, s21
	v_sub_u32_e32 v3, v61, v3
	v_add_u32_e32 v4, 1, v2
	v_cmp_le_u32_e64 s[0:1], s21, v3
	s_nop 1
	v_cndmask_b32_e64 v2, v2, v4, s[0:1]
	v_subrev_u32_e32 v4, s21, v3
	v_cndmask_b32_e64 v3, v3, v4, s[0:1]
	v_add_u32_e32 v4, 1, v2
	v_cmp_le_u32_e64 s[0:1], s21, v3
	s_nop 1
	v_cndmask_b32_e64 v2, v2, v4, s[0:1]
	v_xor_b32_e32 v2, s19, v2
	v_subrev_u32_e32 v2, s19, v2
	v_add_u32_e32 v3, s41, v2
	v_sub_u32_e32 v5, 0, v3
	v_ashrrev_i32_e32 v4, 31, v3
	v_max_i32_e32 v3, v3, v5
	v_mul_hi_u32 v5, v3, v66
	v_mul_lo_u32 v5, v5, s18
	v_sub_u32_e32 v3, v3, v5
	v_subrev_u32_e32 v5, s18, v3
	v_cmp_le_u32_e64 s[0:1], s18, v3
	v_cmp_lt_i32_e64 s[2:3], s30, v2
	s_nop 0
	v_cndmask_b32_e64 v3, v3, v5, s[0:1]
	v_subrev_u32_e32 v5, s18, v3
	v_cmp_le_u32_e64 s[0:1], s18, v3
	s_nop 1
	v_cndmask_b32_e64 v3, v3, v5, s[0:1]
	v_xor_b32_e32 v3, v3, v4
	v_sub_u32_e32 v3, v3, v4
	v_cmp_eq_u32_e64 s[0:1], 0, v3
	s_or_b64 s[0:1], s[0:1], s[2:3]
	s_and_saveexec_b64 s[14:15], s[0:1]
	s_cbranch_execz .LBB23_48
; %bb.50:                               ;   in Loop: Header=BB23_49 Depth=1
	global_load_dword v2, v[48:49], off
	v_mov_b32_e32 v51, v47
	s_waitcnt vmcnt(0)
	v_mad_i64_i32 v[2:3], s[0:1], v2, s31, 0
	v_lshl_add_u64 v[34:35], v[2:3], 2, s[6:7]
	v_lshl_add_u64 v[18:19], v[34:35], 0, v[50:51]
	global_load_dwordx4 v[6:9], v[18:19], off
	ds_read_b128 v[2:5], v67
	v_add_u32_e32 v51, v65, v61
	v_cmp_eq_u32_e64 s[0:1], s28, v60
	s_and_saveexec_b64 s[16:17], s[0:1]
	s_cbranch_execnz .LBB23_64
; %bb.51:                               ;   in Loop: Header=BB23_49 Depth=1
	s_or_b64 exec, exec, s[16:17]
	global_load_dwordx4 v[10:13], v[18:19], off offset:1024
	s_and_saveexec_b64 s[16:17], s[0:1]
	s_cbranch_execnz .LBB23_65
.LBB23_52:                              ;   in Loop: Header=BB23_49 Depth=1
	s_or_b64 exec, exec, s[16:17]
	global_load_dwordx4 v[14:17], v[18:19], off offset:2048
	s_and_saveexec_b64 s[16:17], s[0:1]
	s_cbranch_execnz .LBB23_66
.LBB23_53:                              ;   in Loop: Header=BB23_49 Depth=1
	s_or_b64 exec, exec, s[16:17]
	global_load_dwordx4 v[18:21], v[18:19], off offset:3072
	s_and_saveexec_b64 s[16:17], s[0:1]
	s_cbranch_execz .LBB23_55
.LBB23_54:                              ;   in Loop: Header=BB23_49 Depth=1
	v_cmp_gt_i32_e64 s[2:3], s33, v51
	v_add_u32_e32 v22, 1, v51
	s_waitcnt vmcnt(0)
	v_cndmask_b32_e64 v18, 0, v18, s[2:3]
	v_cmp_gt_i32_e64 s[2:3], s33, v22
	v_add_u32_e32 v22, 2, v51
	s_nop 0
	v_cndmask_b32_e64 v19, 0, v19, s[2:3]
	v_cmp_gt_i32_e64 s[2:3], s33, v22
	v_add_u32_e32 v22, 3, v51
	s_nop 0
	v_cndmask_b32_e64 v20, 0, v20, s[2:3]
	v_cmp_gt_i32_e64 s[2:3], s33, v22
	s_nop 1
	v_cndmask_b32_e64 v21, 0, v21, s[2:3]
.LBB23_55:                              ;   in Loop: Header=BB23_49 Depth=1
	s_or_b64 exec, exec, s[16:17]
	v_lshl_add_u64 v[22:23], v[34:35], 0, v[46:47]
	global_load_dwordx4 v[22:25], v[22:23], off
	s_and_saveexec_b64 s[16:17], s[0:1]
	s_cbranch_execz .LBB23_57
; %bb.56:                               ;   in Loop: Header=BB23_49 Depth=1
	v_cmp_gt_i32_e64 s[2:3], s33, v51
	v_add_u32_e32 v26, 1, v51
	s_waitcnt vmcnt(0)
	v_cndmask_b32_e64 v22, 0, v22, s[2:3]
	v_cmp_gt_i32_e64 s[2:3], s33, v26
	v_add_u32_e32 v26, 2, v51
	s_nop 0
	v_cndmask_b32_e64 v23, 0, v23, s[2:3]
	v_cmp_gt_i32_e64 s[2:3], s33, v26
	v_add_u32_e32 v26, 3, v51
	s_nop 0
	v_cndmask_b32_e64 v24, 0, v24, s[2:3]
	v_cmp_gt_i32_e64 s[2:3], s33, v26
	s_nop 1
	v_cndmask_b32_e64 v25, 0, v25, s[2:3]
.LBB23_57:                              ;   in Loop: Header=BB23_49 Depth=1
	s_or_b64 exec, exec, s[16:17]
	v_mov_b32_e32 v53, v47
	v_lshl_add_u64 v[26:27], v[34:35], 0, v[52:53]
	global_load_dwordx4 v[26:29], v[26:27], off
	s_and_saveexec_b64 s[16:17], s[0:1]
	s_cbranch_execz .LBB23_59
; %bb.58:                               ;   in Loop: Header=BB23_49 Depth=1
	v_cmp_gt_i32_e64 s[2:3], s33, v51
	v_add_u32_e32 v30, 1, v51
	s_waitcnt vmcnt(0)
	v_cndmask_b32_e64 v26, 0, v26, s[2:3]
	v_cmp_gt_i32_e64 s[2:3], s33, v30
	v_add_u32_e32 v30, 2, v51
	s_nop 0
	v_cndmask_b32_e64 v27, 0, v27, s[2:3]
	v_cmp_gt_i32_e64 s[2:3], s33, v30
	v_add_u32_e32 v30, 3, v51
	s_nop 0
	v_cndmask_b32_e64 v28, 0, v28, s[2:3]
	v_cmp_gt_i32_e64 s[2:3], s33, v30
	s_nop 1
	v_cndmask_b32_e64 v29, 0, v29, s[2:3]
.LBB23_59:                              ;   in Loop: Header=BB23_49 Depth=1
	s_or_b64 exec, exec, s[16:17]
	v_mov_b32_e32 v55, v47
	v_lshl_add_u64 v[30:31], v[34:35], 0, v[54:55]
	global_load_dwordx4 v[30:33], v[30:31], off
	s_and_saveexec_b64 s[16:17], s[0:1]
	s_cbranch_execz .LBB23_61
; %bb.60:                               ;   in Loop: Header=BB23_49 Depth=1
	v_cmp_gt_i32_e64 s[2:3], s33, v51
	v_add_u32_e32 v36, 1, v51
	s_waitcnt vmcnt(0)
	v_cndmask_b32_e64 v30, 0, v30, s[2:3]
	v_cmp_gt_i32_e64 s[2:3], s33, v36
	v_add_u32_e32 v36, 2, v51
	s_nop 0
	v_cndmask_b32_e64 v31, 0, v31, s[2:3]
	v_cmp_gt_i32_e64 s[2:3], s33, v36
	v_add_u32_e32 v36, 3, v51
	s_nop 0
	v_cndmask_b32_e64 v32, 0, v32, s[2:3]
	v_cmp_gt_i32_e64 s[2:3], s33, v36
	s_nop 1
	v_cndmask_b32_e64 v33, 0, v33, s[2:3]
.LBB23_61:                              ;   in Loop: Header=BB23_49 Depth=1
	s_or_b64 exec, exec, s[16:17]
	s_and_saveexec_b64 s[2:3], vcc
	s_cbranch_execz .LBB23_47
; %bb.62:                               ;   in Loop: Header=BB23_49 Depth=1
	v_mov_b32_e32 v57, v47
	v_lshl_add_u64 v[34:35], v[34:35], 0, v[56:57]
	global_load_dwordx4 v[34:37], v[34:35], off
	s_and_saveexec_b64 s[16:17], s[0:1]
	s_cbranch_execz .LBB23_46
; %bb.63:                               ;   in Loop: Header=BB23_49 Depth=1
	v_cmp_gt_i32_e64 s[0:1], s33, v51
	v_add_u32_e32 v53, 1, v51
	s_waitcnt vmcnt(0)
	v_cndmask_b32_e64 v34, 0, v34, s[0:1]
	v_cmp_gt_i32_e64 s[0:1], s33, v53
	v_add_u32_e32 v53, 2, v51
	v_add_u32_e32 v51, 3, v51
	v_cndmask_b32_e64 v35, 0, v35, s[0:1]
	v_cmp_gt_i32_e64 s[0:1], s33, v53
	s_nop 1
	v_cndmask_b32_e64 v36, 0, v36, s[0:1]
	v_cmp_gt_i32_e64 s[0:1], s33, v51
	s_nop 1
	v_cndmask_b32_e64 v37, 0, v37, s[0:1]
	s_branch .LBB23_46
.LBB23_64:                              ;   in Loop: Header=BB23_49 Depth=1
	v_cmp_gt_i32_e64 s[2:3], s33, v51
	v_add_u32_e32 v10, 1, v51
	s_waitcnt vmcnt(0)
	v_cndmask_b32_e64 v6, 0, v6, s[2:3]
	v_cmp_gt_i32_e64 s[2:3], s33, v10
	v_add_u32_e32 v10, 2, v51
	s_nop 0
	v_cndmask_b32_e64 v7, 0, v7, s[2:3]
	v_cmp_gt_i32_e64 s[2:3], s33, v10
	v_add_u32_e32 v10, 3, v51
	s_nop 0
	v_cndmask_b32_e64 v8, 0, v8, s[2:3]
	v_cmp_gt_i32_e64 s[2:3], s33, v10
	s_nop 1
	v_cndmask_b32_e64 v9, 0, v9, s[2:3]
	s_or_b64 exec, exec, s[16:17]
	global_load_dwordx4 v[10:13], v[18:19], off offset:1024
	s_and_saveexec_b64 s[16:17], s[0:1]
	s_cbranch_execz .LBB23_52
.LBB23_65:                              ;   in Loop: Header=BB23_49 Depth=1
	v_cmp_gt_i32_e64 s[2:3], s33, v51
	v_add_u32_e32 v14, 1, v51
	s_waitcnt vmcnt(0)
	v_cndmask_b32_e64 v10, 0, v10, s[2:3]
	v_cmp_gt_i32_e64 s[2:3], s33, v14
	v_add_u32_e32 v14, 2, v51
	s_nop 0
	v_cndmask_b32_e64 v11, 0, v11, s[2:3]
	v_cmp_gt_i32_e64 s[2:3], s33, v14
	v_add_u32_e32 v14, 3, v51
	s_nop 0
	v_cndmask_b32_e64 v12, 0, v12, s[2:3]
	v_cmp_gt_i32_e64 s[2:3], s33, v14
	s_nop 1
	v_cndmask_b32_e64 v13, 0, v13, s[2:3]
	s_or_b64 exec, exec, s[16:17]
	global_load_dwordx4 v[14:17], v[18:19], off offset:2048
	s_and_saveexec_b64 s[16:17], s[0:1]
	s_cbranch_execz .LBB23_53
.LBB23_66:                              ;   in Loop: Header=BB23_49 Depth=1
	v_cmp_gt_i32_e64 s[2:3], s33, v51
	v_add_u32_e32 v20, 1, v51
	s_waitcnt vmcnt(0)
	v_cndmask_b32_e64 v14, 0, v14, s[2:3]
	v_cmp_gt_i32_e64 s[2:3], s33, v20
	v_add_u32_e32 v20, 2, v51
	s_nop 0
	v_cndmask_b32_e64 v15, 0, v15, s[2:3]
	v_cmp_gt_i32_e64 s[2:3], s33, v20
	v_add_u32_e32 v20, 3, v51
	s_nop 0
	v_cndmask_b32_e64 v16, 0, v16, s[2:3]
	v_cmp_gt_i32_e64 s[2:3], s33, v20
	s_nop 1
	v_cndmask_b32_e64 v17, 0, v17, s[2:3]
	s_or_b64 exec, exec, s[16:17]
	global_load_dwordx4 v[18:21], v[18:19], off offset:3072
	s_and_saveexec_b64 s[16:17], s[0:1]
	s_cbranch_execnz .LBB23_54
	s_branch .LBB23_55
.LBB23_67:
	s_or_b64 exec, exec, s[12:13]
.LBB23_68:
	s_or_b64 exec, exec, s[8:9]
	ds_bpermute_b32 v2, v63, v44
	ds_bpermute_b32 v3, v63, v45
	;; [unrolled: 1-line block ×8, first 2 shown]
	s_waitcnt lgkmcnt(6)
	v_pk_add_f32 v[2:3], v[44:45], v[2:3]
	s_waitcnt lgkmcnt(4)
	v_pk_add_f32 v[4:5], v[42:43], v[4:5]
	ds_bpermute_b32 v6, v62, v2
	ds_bpermute_b32 v7, v62, v3
	;; [unrolled: 1-line block ×4, first 2 shown]
	s_waitcnt lgkmcnt(6)
	v_pk_add_f32 v[14:15], v[40:41], v[8:9]
	s_waitcnt lgkmcnt(4)
	v_pk_add_f32 v[12:13], v[38:39], v[12:13]
	ds_bpermute_b32 v16, v62, v14
	ds_bpermute_b32 v17, v62, v15
	;; [unrolled: 1-line block ×4, first 2 shown]
	s_waitcnt lgkmcnt(6)
	v_pk_add_f32 v[8:9], v[2:3], v[6:7]
	s_waitcnt lgkmcnt(4)
	v_pk_add_f32 v[6:7], v[4:5], v[10:11]
	v_and_b32_e32 v10, 0x3c0, v0
	s_waitcnt lgkmcnt(2)
	v_pk_add_f32 v[4:5], v[14:15], v[16:17]
	s_waitcnt lgkmcnt(0)
	v_pk_add_f32 v[2:3], v[12:13], v[18:19]
	v_cmp_eq_u32_e32 vcc, 64, v10
	s_barrier
	s_and_saveexec_b64 s[2:3], vcc
	s_cbranch_execz .LBB23_73
; %bb.69:
	v_cmp_eq_u32_e32 vcc, 0, v59
	s_and_saveexec_b64 s[0:1], vcc
	s_cbranch_execz .LBB23_71
; %bb.70:
	v_mov_b32_e32 v10, 0x1f0
	v_lshl_add_u32 v10, v64, 2, v10
	ds_write2_b32 v10, v8, v9 offset1:16
	ds_write2_b32 v10, v6, v7 offset0:32 offset1:48
	ds_write2_b32 v10, v4, v5 offset0:64 offset1:80
	ds_write_b32 v10, v2 offset:384
.LBB23_71:
	s_or_b64 exec, exec, s[0:1]
	v_or_b32_e32 v10, 0x70, v64
	s_movk_i32 s0, 0x78
	v_cmp_gt_u32_e64 s[0:1], s0, v10
	s_and_b64 s[0:1], vcc, s[0:1]
	s_and_b64 exec, exec, s[0:1]
	s_cbranch_execz .LBB23_73
; %bb.72:
	v_mov_b32_e32 v10, 0x1f0
	v_lshl_add_u32 v10, v64, 2, v10
	ds_write_b32 v10, v3 offset:448
.LBB23_73:
	s_or_b64 exec, exec, s[2:3]
	v_cmp_gt_u32_e32 vcc, 64, v0
	s_waitcnt lgkmcnt(0)
	s_barrier
	s_and_saveexec_b64 s[6:7], vcc
	s_cbranch_execz .LBB23_91
; %bb.74:
	v_cmp_eq_u32_e64 s[0:1], 0, v59
	s_and_saveexec_b64 s[2:3], s[0:1]
	s_cbranch_execz .LBB23_76
; %bb.75:
	v_mov_b32_e32 v0, 0x1f0
	v_lshl_add_u32 v0, v58, 2, v0
	ds_read_b32 v0, v0
	s_waitcnt lgkmcnt(0)
	v_add_f32_e32 v8, v8, v0
.LBB23_76:
	s_or_b64 exec, exec, s[2:3]
	v_or_b32_e32 v0, 16, v58
	s_movk_i32 s8, 0x78
	v_cmp_gt_u32_e64 s[2:3], s8, v0
	s_and_b64 s[12:13], s[0:1], s[2:3]
	s_and_saveexec_b64 s[2:3], s[12:13]
	s_cbranch_execz .LBB23_78
; %bb.77:
	v_mov_b32_e32 v0, 0x1f0
	v_lshl_add_u32 v0, v58, 2, v0
	ds_read_b32 v0, v0 offset:64
	s_waitcnt lgkmcnt(0)
	v_add_f32_e32 v9, v9, v0
.LBB23_78:
	s_or_b64 exec, exec, s[2:3]
	v_or_b32_e32 v0, 32, v58
	v_cmp_gt_u32_e64 s[2:3], s8, v0
	s_and_b64 s[8:9], s[0:1], s[2:3]
	s_and_saveexec_b64 s[2:3], s[8:9]
	s_cbranch_execz .LBB23_80
; %bb.79:
	v_mov_b32_e32 v0, 0x1f0
	v_lshl_add_u32 v0, v58, 2, v0
	ds_read_b32 v0, v0 offset:128
	s_waitcnt lgkmcnt(0)
	v_add_f32_e32 v6, v6, v0
.LBB23_80:
	s_or_b64 exec, exec, s[2:3]
	v_or_b32_e32 v0, 48, v58
	s_movk_i32 s8, 0x78
	v_cmp_gt_u32_e64 s[2:3], s8, v0
	s_and_b64 s[12:13], s[0:1], s[2:3]
	s_and_saveexec_b64 s[2:3], s[12:13]
	s_cbranch_execz .LBB23_82
; %bb.81:
	v_mov_b32_e32 v0, 0x1f0
	v_lshl_add_u32 v0, v58, 2, v0
	ds_read_b32 v0, v0 offset:192
	s_waitcnt lgkmcnt(0)
	v_add_f32_e32 v7, v7, v0
.LBB23_82:
	s_or_b64 exec, exec, s[2:3]
	v_or_b32_e32 v0, 64, v58
	v_cmp_gt_u32_e64 s[2:3], s8, v0
	s_and_b64 s[8:9], s[0:1], s[2:3]
	s_and_saveexec_b64 s[2:3], s[8:9]
	s_cbranch_execz .LBB23_84
; %bb.83:
	v_mov_b32_e32 v0, 0x1f0
	v_lshl_add_u32 v0, v58, 2, v0
	ds_read_b32 v0, v0 offset:256
	s_waitcnt lgkmcnt(0)
	v_add_f32_e32 v4, v4, v0
.LBB23_84:
	;; [unrolled: 27-line block ×3, first 2 shown]
	s_or_b64 exec, exec, s[2:3]
	v_or_b32_e32 v0, 0x70, v58
	s_movk_i32 s2, 0x78
	v_cmp_gt_u32_e64 s[2:3], s2, v0
	s_and_b64 s[2:3], s[0:1], s[2:3]
	s_and_saveexec_b64 s[0:1], s[2:3]
	s_cbranch_execz .LBB23_90
; %bb.89:
	v_mov_b32_e32 v0, 0x1f0
	v_lshl_add_u32 v0, v58, 2, v0
	ds_read_b32 v0, v0 offset:448
	s_waitcnt lgkmcnt(0)
	v_add_f32_e32 v3, v3, v0
.LBB23_90:
	s_or_b64 exec, exec, s[0:1]
.LBB23_91:
	s_or_b64 exec, exec, s[6:7]
	s_barrier
	s_and_saveexec_b64 s[0:1], vcc
	s_cbranch_execz .LBB23_108
; %bb.92:
	s_mul_i32 s0, s10, s11
	s_mul_i32 s0, s0, s5
	s_mulk_i32 s0, 0x78
	s_ashr_i32 s1, s0, 31
	s_lshl_b64 s[0:1], s[0:1], 2
	s_add_u32 s2, s22, s0
	s_mul_i32 s0, s11, s20
	s_addc_u32 s3, s23, s1
	s_ashr_i32 s1, s0, 31
	s_lshl_b64 s[0:1], s[0:1], 2
	s_add_u32 s2, s2, s0
	s_mul_i32 s0, s4, 0x78
	s_addc_u32 s3, s3, s1
	s_ashr_i32 s1, s0, 31
	s_lshl_b64 s[0:1], s[0:1], 2
	s_add_u32 s2, s2, s0
	s_movk_i32 s5, 0x78
	s_addc_u32 s3, s3, s1
	v_cmp_eq_u32_e32 vcc, 0, v59
	s_and_saveexec_b64 s[0:1], vcc
	s_cbranch_execz .LBB23_94
; %bb.93:
	global_store_dword v1, v8, s[2:3]
.LBB23_94:
	s_or_b64 exec, exec, s[0:1]
	v_or_b32_e32 v0, 16, v58
	v_cmp_gt_u32_e64 s[0:1], s5, v0
	s_and_b64 s[4:5], vcc, s[0:1]
	s_and_saveexec_b64 s[0:1], s[4:5]
	s_cbranch_execz .LBB23_96
; %bb.95:
	global_store_dword v1, v9, s[2:3] offset:64
.LBB23_96:
	s_or_b64 exec, exec, s[0:1]
	v_or_b32_e32 v0, 32, v58
	s_movk_i32 s4, 0x78
	v_cmp_gt_u32_e64 s[0:1], s4, v0
	s_and_b64 s[6:7], vcc, s[0:1]
	s_and_saveexec_b64 s[0:1], s[6:7]
	s_cbranch_execz .LBB23_98
; %bb.97:
	global_store_dword v1, v6, s[2:3] offset:128
.LBB23_98:
	s_or_b64 exec, exec, s[0:1]
	v_or_b32_e32 v0, 48, v58
	v_cmp_gt_u32_e64 s[0:1], s4, v0
	s_and_b64 s[4:5], vcc, s[0:1]
	s_and_saveexec_b64 s[0:1], s[4:5]
	s_cbranch_execz .LBB23_100
; %bb.99:
	global_store_dword v1, v7, s[2:3] offset:192
.LBB23_100:
	s_or_b64 exec, exec, s[0:1]
	v_or_b32_e32 v0, 64, v58
	s_movk_i32 s4, 0x78
	v_cmp_gt_u32_e64 s[0:1], s4, v0
	s_and_b64 s[6:7], vcc, s[0:1]
	s_and_saveexec_b64 s[0:1], s[6:7]
	s_cbranch_execz .LBB23_102
; %bb.101:
	global_store_dword v1, v4, s[2:3] offset:256
.LBB23_102:
	;; [unrolled: 19-line block ×3, first 2 shown]
	s_or_b64 exec, exec, s[0:1]
	v_or_b32_e32 v0, 0x70, v58
	v_cmp_gt_u32_e64 s[0:1], s4, v0
	s_and_b64 s[0:1], vcc, s[0:1]
	s_and_b64 exec, exec, s[0:1]
	s_cbranch_execz .LBB23_108
; %bb.107:
	global_store_dword v1, v3, s[2:3] offset:448
.LBB23_108:
	s_endpgm
	.section	.rodata,"a",@progbits
	.p2align	6, 0x0
	.amdhsa_kernel _ZN4vllm25paged_attention_v1_kernelIffLi120ELi16ELi128ELNS_18Fp8KVCacheDataTypeE0ELb1EEEvPT_PKS2_PKT0_S8_ifPKiSA_iPKfiiiSC_SC_iiiii
		.amdhsa_group_segment_fixed_size 496
		.amdhsa_private_segment_fixed_size 0
		.amdhsa_kernarg_size 384
		.amdhsa_user_sgpr_count 2
		.amdhsa_user_sgpr_dispatch_ptr 0
		.amdhsa_user_sgpr_queue_ptr 0
		.amdhsa_user_sgpr_kernarg_segment_ptr 1
		.amdhsa_user_sgpr_dispatch_id 0
		.amdhsa_user_sgpr_kernarg_preload_length 0
		.amdhsa_user_sgpr_kernarg_preload_offset 0
		.amdhsa_user_sgpr_private_segment_size 0
		.amdhsa_uses_dynamic_stack 0
		.amdhsa_enable_private_segment 0
		.amdhsa_system_sgpr_workgroup_id_x 1
		.amdhsa_system_sgpr_workgroup_id_y 1
		.amdhsa_system_sgpr_workgroup_id_z 1
		.amdhsa_system_sgpr_workgroup_info 0
		.amdhsa_system_vgpr_workitem_id 0
		.amdhsa_next_free_vgpr 87
		.amdhsa_next_free_sgpr 45
		.amdhsa_accum_offset 88
		.amdhsa_reserve_vcc 1
		.amdhsa_float_round_mode_32 0
		.amdhsa_float_round_mode_16_64 0
		.amdhsa_float_denorm_mode_32 3
		.amdhsa_float_denorm_mode_16_64 3
		.amdhsa_dx10_clamp 1
		.amdhsa_ieee_mode 1
		.amdhsa_fp16_overflow 0
		.amdhsa_tg_split 0
		.amdhsa_exception_fp_ieee_invalid_op 0
		.amdhsa_exception_fp_denorm_src 0
		.amdhsa_exception_fp_ieee_div_zero 0
		.amdhsa_exception_fp_ieee_overflow 0
		.amdhsa_exception_fp_ieee_underflow 0
		.amdhsa_exception_fp_ieee_inexact 0
		.amdhsa_exception_int_div_zero 0
	.end_amdhsa_kernel
	.section	.text._ZN4vllm25paged_attention_v1_kernelIffLi120ELi16ELi128ELNS_18Fp8KVCacheDataTypeE0ELb1EEEvPT_PKS2_PKT0_S8_ifPKiSA_iPKfiiiSC_SC_iiiii,"axG",@progbits,_ZN4vllm25paged_attention_v1_kernelIffLi120ELi16ELi128ELNS_18Fp8KVCacheDataTypeE0ELb1EEEvPT_PKS2_PKT0_S8_ifPKiSA_iPKfiiiSC_SC_iiiii,comdat
.Lfunc_end23:
	.size	_ZN4vllm25paged_attention_v1_kernelIffLi120ELi16ELi128ELNS_18Fp8KVCacheDataTypeE0ELb1EEEvPT_PKS2_PKT0_S8_ifPKiSA_iPKfiiiSC_SC_iiiii, .Lfunc_end23-_ZN4vllm25paged_attention_v1_kernelIffLi120ELi16ELi128ELNS_18Fp8KVCacheDataTypeE0ELb1EEEvPT_PKS2_PKT0_S8_ifPKiSA_iPKfiiiSC_SC_iiiii
                                        ; -- End function
	.section	.AMDGPU.csdata,"",@progbits
; Kernel info:
; codeLenInByte = 6504
; NumSgprs: 51
; NumVgprs: 87
; NumAgprs: 0
; TotalNumVgprs: 87
; ScratchSize: 0
; MemoryBound: 0
; FloatMode: 240
; IeeeMode: 1
; LDSByteSize: 496 bytes/workgroup (compile time only)
; SGPRBlocks: 6
; VGPRBlocks: 10
; NumSGPRsForWavesPerEU: 51
; NumVGPRsForWavesPerEU: 87
; AccumOffset: 88
; Occupancy: 5
; WaveLimiterHint : 1
; COMPUTE_PGM_RSRC2:SCRATCH_EN: 0
; COMPUTE_PGM_RSRC2:USER_SGPR: 2
; COMPUTE_PGM_RSRC2:TRAP_HANDLER: 0
; COMPUTE_PGM_RSRC2:TGID_X_EN: 1
; COMPUTE_PGM_RSRC2:TGID_Y_EN: 1
; COMPUTE_PGM_RSRC2:TGID_Z_EN: 1
; COMPUTE_PGM_RSRC2:TIDIG_COMP_CNT: 0
; COMPUTE_PGM_RSRC3_GFX90A:ACCUM_OFFSET: 21
; COMPUTE_PGM_RSRC3_GFX90A:TG_SPLIT: 0
	.section	.text._ZN4vllm25paged_attention_v1_kernelIffLi128ELi16ELi128ELNS_18Fp8KVCacheDataTypeE0ELb1EEEvPT_PKS2_PKT0_S8_ifPKiSA_iPKfiiiSC_SC_iiiii,"axG",@progbits,_ZN4vllm25paged_attention_v1_kernelIffLi128ELi16ELi128ELNS_18Fp8KVCacheDataTypeE0ELb1EEEvPT_PKS2_PKT0_S8_ifPKiSA_iPKfiiiSC_SC_iiiii,comdat
	.protected	_ZN4vllm25paged_attention_v1_kernelIffLi128ELi16ELi128ELNS_18Fp8KVCacheDataTypeE0ELb1EEEvPT_PKS2_PKT0_S8_ifPKiSA_iPKfiiiSC_SC_iiiii ; -- Begin function _ZN4vllm25paged_attention_v1_kernelIffLi128ELi16ELi128ELNS_18Fp8KVCacheDataTypeE0ELb1EEEvPT_PKS2_PKT0_S8_ifPKiSA_iPKfiiiSC_SC_iiiii
	.globl	_ZN4vllm25paged_attention_v1_kernelIffLi128ELi16ELi128ELNS_18Fp8KVCacheDataTypeE0ELb1EEEvPT_PKS2_PKT0_S8_ifPKiSA_iPKfiiiSC_SC_iiiii
	.p2align	8
	.type	_ZN4vllm25paged_attention_v1_kernelIffLi128ELi16ELi128ELNS_18Fp8KVCacheDataTypeE0ELb1EEEvPT_PKS2_PKT0_S8_ifPKiSA_iPKfiiiSC_SC_iiiii,@function
_ZN4vllm25paged_attention_v1_kernelIffLi128ELi16ELi128ELNS_18Fp8KVCacheDataTypeE0ELb1EEEvPT_PKS2_PKT0_S8_ifPKiSA_iPKfiiiSC_SC_iiiii: ; @_ZN4vllm25paged_attention_v1_kernelIffLi128ELi16ELi128ELNS_18Fp8KVCacheDataTypeE0ELb1EEEvPT_PKS2_PKT0_S8_ifPKiSA_iPKfiiiSC_SC_iiiii
; %bb.0:
	s_load_dword s5, s[0:1], 0x80
	s_load_dwordx2 s[6:7], s[0:1], 0x30
	s_load_dwordx2 s[30:31], s[0:1], 0x20
	s_mov_b32 s20, s3
	s_ashr_i32 s21, s3, 31
	s_lshl_b64 s[8:9], s[20:21], 2
	s_waitcnt lgkmcnt(0)
	s_add_u32 s6, s6, s8
	s_addc_u32 s7, s7, s9
	s_abs_i32 s3, s30
	v_cvt_f32_u32_e32 v1, s3
	s_sub_i32 s10, 0, s3
	s_abs_i32 s9, s5
	s_xor_b32 s8, s5, s30
	v_rcp_iflag_f32_e32 v1, v1
	s_ashr_i32 s8, s8, 31
	s_mov_b32 s43, 0
	v_mul_f32_e32 v1, 0x4f7ffffe, v1
	v_cvt_u32_f32_e32 v1, v1
	s_nop 0
	v_readfirstlane_b32 s11, v1
	s_mul_i32 s10, s10, s11
	s_mul_hi_u32 s10, s11, s10
	s_add_i32 s11, s11, s10
	s_mul_hi_u32 s10, s9, s11
	s_mul_i32 s11, s10, s3
	s_sub_i32 s9, s9, s11
	s_add_i32 s11, s10, 1
	s_sub_i32 s12, s9, s3
	s_cmp_ge_u32 s9, s3
	s_cselect_b32 s10, s11, s10
	s_cselect_b32 s9, s12, s9
	s_add_i32 s11, s10, 1
	s_cmp_ge_u32 s9, s3
	s_cselect_b32 s3, s11, s10
	s_xor_b32 s3, s3, s8
	s_sub_i32 s12, s3, s8
	s_abs_i32 s10, s12
	v_cvt_f32_u32_e32 v1, s10
	s_load_dwordx2 s[8:9], s[0:1], 0x40
	s_sub_i32 s3, 0, s10
	s_abs_i32 s11, s2
	v_rcp_iflag_f32_e32 v1, v1
	s_nop 0
	v_mul_f32_e32 v1, 0x4f7ffffe, v1
	v_cvt_u32_f32_e32 v1, v1
	s_nop 0
	v_readfirstlane_b32 s13, v1
	s_mul_i32 s3, s3, s13
	s_mul_hi_u32 s3, s13, s3
	s_add_i32 s13, s13, s3
	s_waitcnt lgkmcnt(0)
	s_cmp_eq_u64 s[8:9], 0
	s_mul_hi_u32 s24, s11, s13
	s_cbranch_scc1 .LBB24_2
; %bb.1:
	s_ashr_i32 s3, s2, 31
	s_lshl_b64 s[14:15], s[2:3], 2
	s_add_u32 s8, s8, s14
	s_addc_u32 s9, s9, s15
	s_load_dword s43, s[8:9], 0x0
.LBB24_2:
	s_load_dword s21, s[6:7], 0x0
	s_ashr_i32 s9, s12, 31
	s_load_dwordx4 s[12:15], s[0:1], 0x48
	v_lshrrev_b32_e32 v58, 2, v0
	s_movk_i32 s6, 0x80
	s_ashr_i32 s3, s2, 31
	v_and_b32_e32 v59, 3, v0
	s_lshl_b32 s22, s2, 7
	v_cmp_gt_u32_e32 vcc, s6, v0
	v_lshlrev_b32_e32 v10, 2, v0
	v_lshlrev_b32_e32 v1, 2, v58
	s_and_saveexec_b64 s[6:7], vcc
	s_cbranch_execz .LBB24_4
; %bb.3:
	s_load_dwordx2 s[16:17], s[0:1], 0x8
	s_waitcnt lgkmcnt(0)
	s_mul_i32 s18, s20, s12
	s_ashr_i32 s19, s18, 31
	s_lshl_b64 s[18:19], s[18:19], 2
	v_lshl_add_u32 v3, v59, 7, v1
	s_add_u32 s8, s16, s18
	s_addc_u32 s12, s17, s19
	s_ashr_i32 s23, s22, 31
	s_lshl_b64 s[16:17], s[22:23], 2
	s_add_u32 s16, s8, s16
	s_addc_u32 s17, s12, s17
	global_load_dword v2, v10, s[16:17]
	s_waitcnt vmcnt(0)
	ds_write_b32 v3, v2
.LBB24_4:
	s_or_b64 exec, exec, s[6:7]
	s_mul_i32 s6, s24, s10
	s_sub_i32 s6, s11, s6
	s_xor_b32 s3, s3, s9
	s_add_i32 s7, s24, 1
	s_sub_i32 s9, s6, s10
	s_load_dwordx4 s[16:19], s[0:1], 0x68
	s_load_dword s8, s[0:1], 0x78
	s_cmp_ge_u32 s6, s10
	s_cselect_b32 s7, s7, s24
	s_cselect_b32 s6, s9, s6
	s_add_i32 s9, s7, 1
	s_cmp_ge_u32 s6, s10
	s_cselect_b32 s6, s9, s7
	s_waitcnt lgkmcnt(0)
	s_abs_i32 s23, s19
	v_cvt_f32_u32_e32 v2, s23
	s_xor_b32 s6, s6, s3
	s_sub_i32 s3, s6, s3
	s_sub_i32 s6, 0, s23
	v_rcp_iflag_f32_e32 v2, v2
	s_add_i32 s15, s21, -1
	s_abs_i32 s9, s15
	v_mul_f32_e32 v2, 0x4f7ffffe, v2
	v_cvt_u32_f32_e32 v2, v2
	s_barrier
	v_readfirstlane_b32 s33, v2
	s_mul_i32 s6, s6, s33
	s_mul_hi_u32 s6, s33, s6
	s_add_i32 s33, s33, s6
	s_cmp_lt_i32 s8, 0
	s_mul_hi_u32 s12, s9, s33
	s_cbranch_scc0 .LBB24_6
; %bb.5:
	s_mul_i32 s6, s16, s30
	s_add_i32 s6, s3, s6
	s_mul_i32 s6, s6, s8
	s_sub_i32 s40, 1, s6
	s_mov_b64 s[6:7], 0
	s_branch .LBB24_7
.LBB24_6:
	s_mov_b64 s[6:7], -1
                                        ; implicit-def: $sgpr40
.LBB24_7:
	s_load_dwordx2 s[10:11], s[0:1], 0x28
	s_ashr_i32 s15, s15, 31
	s_andn2_b64 vcc, exec, s[6:7]
	s_ashr_i32 s41, s19, 31
	s_cbranch_vccnz .LBB24_9
; %bb.8:
	s_mul_i32 s6, s5, s16
	s_add_i32 s2, s6, s2
	s_mul_i32 s2, s2, s8
	s_add_i32 s40, s2, 1
.LBB24_9:
	s_load_dword s2, s[0:1], 0x38
	s_load_dwordx2 s[24:25], s[0:1], 0x0
	s_load_dwordx2 s[28:29], s[0:1], 0x18
	s_load_dword s19, s[0:1], 0x88
	s_xor_b32 s6, s15, s41
	s_waitcnt lgkmcnt(0)
	s_mul_i32 s26, s20, s2
	s_mul_i32 s2, s12, s23
	s_sub_i32 s2, s9, s2
	s_ashr_i32 s27, s26, 31
	s_add_i32 s7, s12, 1
	s_sub_i32 s8, s2, s23
	s_cmp_ge_u32 s2, s23
	s_cselect_b32 s7, s7, s12
	s_cselect_b32 s2, s8, s2
	s_add_i32 s8, s7, 1
	s_cmp_ge_u32 s2, s23
	s_cselect_b32 s2, s8, s7
	s_xor_b32 s2, s2, s6
	s_sub_i32 s12, s2, s6
	s_add_i32 s2, s21, 15
	s_ashr_i32 s6, s2, 31
	s_lshr_b32 s6, s6, 28
	s_add_i32 s2, s2, s6
	s_ashr_i32 s42, s2, 4
	v_lshrrev_b32_e32 v60, 6, v0
	v_cmp_gt_i32_e64 s[6:7], s42, v60
	v_mov_b32_e32 v9, 0xff7fffff
	s_mul_i32 s14, s3, s14
	v_lshrrev_b32_e32 v11, 4, v0
	v_lshlrev_b32_e32 v61, 4, v60
	v_mbcnt_lo_u32_b32 v6, -1, 0
	s_and_saveexec_b64 s[34:35], s[6:7]
	s_cbranch_execz .LBB24_19
; %bb.10:
	s_load_dwordx2 s[0:1], s[0:1], 0x10
	s_ashr_i32 s15, s14, 31
	s_sub_i32 s16, s12, s17
	s_lshl_b64 s[2:3], s[14:15], 2
	v_bfe_u32 v7, v0, 2, 4
	s_waitcnt lgkmcnt(0)
	s_add_u32 s0, s0, s2
	s_addc_u32 s1, s1, s3
	s_abs_i32 s15, s18
	v_cvt_f32_u32_e32 v2, s15
	v_lshlrev_b32_e32 v4, 4, v7
	v_mov_b32_e32 v5, 0
	v_lshlrev_b32_e32 v9, 2, v7
	v_rcp_iflag_f32_e32 v8, v2
	v_lshl_add_u64 v[2:3], s[0:1], 0, v[4:5]
	v_lshlrev_b32_e32 v4, 2, v59
	v_lshl_add_u64 v[2:3], v[2:3], 0, v[4:5]
	v_mul_f32_e32 v4, 0x4f7ffffe, v8
	v_cvt_u32_f32_e32 v4, v4
	s_sub_i32 s0, 0, s15
	v_lshl_or_b32 v9, v60, 6, v9
	v_add_u32_e32 v14, 0x210, v9
	v_mul_lo_u32 v12, s0, v4
	s_lshl_b64 s[0:1], s[26:27], 2
	v_mul_hi_u32 v12, v4, v12
	s_add_u32 s0, s10, s0
	v_subrev_u32_e32 v9, s21, v7
	v_mbcnt_hi_u32_b32 v17, -1, v6
	v_add_u32_e32 v12, v4, v12
	v_and_b32_e32 v4, 60, v11
	s_addc_u32 s1, s11, s1
	v_add_u32_e32 v15, 1, v9
	v_and_b32_e32 v9, 64, v17
	v_cmp_eq_u32_e32 vcc, 0, v59
	s_mov_b32 s30, s13
	v_lshlrev_b32_e32 v8, 7, v59
	v_cmp_neq_f32_e64 s[2:3], s43, 0
	v_lshl_add_u64 v[4:5], s[0:1], 0, v[4:5]
	v_lshlrev_b32_e32 v13, 4, v60
	s_mov_b64 s[36:37], 0
	v_mov_b32_e32 v16, 0xff7fffff
	s_movk_i32 s44, 0x1000
	v_add_u32_e32 v18, 64, v9
	v_xor_b32_e32 v19, 2, v17
	v_xor_b32_e32 v20, 1, v17
	v_mov_b32_e32 v9, 0xff7fffff
	v_mov_b32_e32 v21, v60
	s_branch .LBB24_13
.LBB24_11:                              ;   in Loop: Header=BB24_13 Depth=1
	s_or_b64 exec, exec, s[38:39]
.LBB24_12:                              ;   in Loop: Header=BB24_13 Depth=1
	s_or_b64 exec, exec, s[8:9]
	v_add_u32_e32 v21, 2, v21
	v_cmp_le_i32_e64 s[0:1], s42, v21
	v_lshl_add_u64 v[4:5], v[4:5], 0, 8
	v_add_u32_e32 v13, 32, v13
	s_or_b64 s[36:37], s[0:1], s[36:37]
	v_add_u32_e32 v14, 0x80, v14
	s_andn2_b64 exec, exec, s[36:37]
	s_cbranch_execz .LBB24_18
.LBB24_13:                              ; =>This Inner Loop Header: Depth=1
	v_mul_hi_u32 v22, v13, s33
	s_waitcnt lgkmcnt(0)
	v_mul_lo_u32 v23, v22, s23
	v_sub_u32_e32 v23, v13, v23
	v_add_u32_e32 v24, 1, v22
	v_cmp_le_u32_e64 s[0:1], s23, v23
	s_nop 1
	v_cndmask_b32_e64 v22, v22, v24, s[0:1]
	v_subrev_u32_e32 v24, s23, v23
	v_cndmask_b32_e64 v23, v23, v24, s[0:1]
	v_add_u32_e32 v24, 1, v22
	v_cmp_le_u32_e64 s[0:1], s23, v23
	s_nop 1
	v_cndmask_b32_e64 v22, v22, v24, s[0:1]
	v_xor_b32_e32 v22, s41, v22
	v_subrev_u32_e32 v22, s41, v22
	v_add_u32_e32 v23, s40, v22
	v_sub_u32_e32 v25, 0, v23
	v_ashrrev_i32_e32 v24, 31, v23
	v_max_i32_e32 v23, v23, v25
	v_mul_hi_u32 v25, v23, v12
	v_mul_lo_u32 v25, v25, s15
	v_sub_u32_e32 v23, v23, v25
	v_subrev_u32_e32 v25, s15, v23
	v_cmp_le_u32_e64 s[0:1], s15, v23
	v_cmp_ge_i32_e64 s[8:9], s16, v22
	s_nop 0
	v_cndmask_b32_e64 v23, v23, v25, s[0:1]
	v_subrev_u32_e32 v25, s15, v23
	v_cmp_le_u32_e64 s[0:1], s15, v23
	s_nop 1
	v_cndmask_b32_e64 v23, v23, v25, s[0:1]
	v_xor_b32_e32 v23, v23, v24
	v_sub_u32_e32 v23, v23, v24
	v_cmp_ne_u32_e64 s[0:1], 0, v23
	s_and_b64 s[0:1], s[0:1], s[8:9]
	s_and_b64 s[38:39], vcc, s[0:1]
	s_and_saveexec_b64 s[8:9], s[38:39]
	s_cbranch_execz .LBB24_15
; %bb.14:                               ;   in Loop: Header=BB24_13 Depth=1
	ds_write_b32 v14, v16
.LBB24_15:                              ;   in Loop: Header=BB24_13 Depth=1
	s_or_b64 exec, exec, s[8:9]
	s_xor_b64 s[0:1], s[0:1], -1
	s_and_saveexec_b64 s[8:9], s[0:1]
	s_cbranch_execz .LBB24_12
; %bb.16:                               ;   in Loop: Header=BB24_13 Depth=1
	global_load_dword v22, v[4:5], off
	s_waitcnt vmcnt(0)
	v_mad_i64_i32 v[22:23], s[0:1], v22, s30, 0
	v_lshl_add_u64 v[22:23], v[22:23], 2, v[2:3]
	global_load_dword v54, v[22:23], off offset:512
	global_load_dword v55, v[22:23], off offset:768
	;; [unrolled: 1-line block ×7, first 2 shown]
	global_load_dword v65, v[22:23], off
	global_load_dword v66, v[22:23], off offset:2048
	global_load_dword v67, v[22:23], off offset:2304
	global_load_dword v68, v[22:23], off offset:2560
	global_load_dword v69, v[22:23], off offset:2816
	global_load_dword v70, v[22:23], off offset:3072
	global_load_dword v71, v[22:23], off offset:3328
	global_load_dword v72, v[22:23], off offset:3584
	global_load_dword v73, v[22:23], off offset:3840
	v_add_co_u32_e64 v22, s[0:1], s44, v22
	s_nop 1
	v_addc_co_u32_e64 v23, s[0:1], 0, v23, s[0:1]
	global_load_dword v74, v[22:23], off
	global_load_dword v75, v[22:23], off offset:256
	global_load_dword v76, v[22:23], off offset:512
	;; [unrolled: 1-line block ×15, first 2 shown]
	ds_read_b128 v[22:25], v8
	ds_read_b128 v[26:29], v8 offset:16
	ds_read_b128 v[30:33], v8 offset:32
	;; [unrolled: 1-line block ×7, first 2 shown]
	v_cmp_lt_i32_e64 s[0:1], v19, v18
	s_waitcnt vmcnt(25) lgkmcnt(7)
	v_mul_f32_e32 v23, v23, v64
	s_waitcnt vmcnt(24)
	v_fmac_f32_e32 v23, v22, v65
	v_fmac_f32_e32 v23, v24, v54
	;; [unrolled: 1-line block ×3, first 2 shown]
	s_waitcnt lgkmcnt(6)
	v_fmac_f32_e32 v23, v26, v56
	v_fmac_f32_e32 v23, v27, v57
	;; [unrolled: 1-line block ×4, first 2 shown]
	s_waitcnt vmcnt(23) lgkmcnt(5)
	v_fmac_f32_e32 v23, v30, v66
	s_waitcnt vmcnt(22)
	v_fmac_f32_e32 v23, v31, v67
	s_waitcnt vmcnt(21)
	v_fmac_f32_e32 v23, v32, v68
	s_waitcnt vmcnt(20)
	v_fmac_f32_e32 v23, v33, v69
	s_waitcnt vmcnt(19) lgkmcnt(4)
	v_fmac_f32_e32 v23, v34, v70
	s_waitcnt vmcnt(18)
	v_fmac_f32_e32 v23, v35, v71
	s_waitcnt vmcnt(17)
	v_fmac_f32_e32 v23, v36, v72
	s_waitcnt vmcnt(16)
	v_fmac_f32_e32 v23, v37, v73
	;; [unrolled: 8-line block ×5, first 2 shown]
	s_waitcnt vmcnt(3) lgkmcnt(0)
	v_fmac_f32_e32 v23, v50, v86
	s_waitcnt vmcnt(2)
	v_fmac_f32_e32 v23, v51, v87
	v_cndmask_b32_e64 v90, v17, v19, s[0:1]
	s_waitcnt vmcnt(1)
	v_fmac_f32_e32 v23, v52, v88
	v_lshlrev_b32_e32 v22, 2, v90
	s_waitcnt vmcnt(0)
	v_fmac_f32_e32 v23, v53, v89
	ds_bpermute_b32 v22, v22, v23
	v_cmp_lt_i32_e64 s[0:1], v20, v18
	s_waitcnt lgkmcnt(0)
	v_add_f32_e32 v22, v23, v22
	v_cndmask_b32_e64 v24, v17, v20, s[0:1]
	v_lshlrev_b32_e32 v24, 2, v24
	ds_bpermute_b32 v23, v24, v22
	s_and_saveexec_b64 s[38:39], vcc
	s_cbranch_execz .LBB24_11
; %bb.17:                               ;   in Loop: Header=BB24_13 Depth=1
	v_add_u32_e32 v24, v15, v13
	v_cvt_f32_i32_e32 v24, v24
	s_waitcnt lgkmcnt(0)
	v_add_f32_e32 v22, v22, v23
	v_add_u32_e32 v25, v7, v13
	v_cmp_gt_i32_e64 s[0:1], s21, v25
	v_mul_f32_e32 v23, s43, v24
	v_cndmask_b32_e64 v23, 0, v23, s[2:3]
	v_fmac_f32_e32 v23, s31, v22
	v_cndmask_b32_e64 v22, 0, v23, s[0:1]
	ds_write_b32 v14, v22
	v_max_f32_e32 v22, v9, v9
	v_max_f32_e32 v22, v22, v23
	v_cndmask_b32_e64 v9, v9, v22, s[0:1]
	s_branch .LBB24_11
.LBB24_18:
	s_or_b64 exec, exec, s[36:37]
.LBB24_19:
	s_or_b64 exec, exec, s[34:35]
	v_mbcnt_hi_u32_b32 v2, -1, v6
	v_and_b32_e32 v3, 64, v2
	v_add_u32_e32 v3, 64, v3
	v_xor_b32_e32 v4, 32, v2
	v_cmp_lt_i32_e32 vcc, v4, v3
	v_xor_b32_e32 v7, 16, v2
	v_max_f32_e32 v6, v9, v9
	v_cndmask_b32_e32 v4, v2, v4, vcc
	v_lshlrev_b32_e32 v4, 2, v4
	ds_bpermute_b32 v5, v4, v9
	v_cmp_lt_i32_e32 vcc, v7, v3
	v_xor_b32_e32 v8, 8, v2
	v_xor_b32_e32 v9, 4, v2
	v_and_b32_e32 v62, 63, v0
	s_waitcnt lgkmcnt(0)
	v_max_f32_e32 v5, v5, v5
	v_max_f32_e32 v6, v6, v5
	v_cndmask_b32_e32 v5, v2, v7, vcc
	v_lshlrev_b32_e32 v5, 2, v5
	ds_bpermute_b32 v7, v5, v6
	v_cmp_lt_i32_e32 vcc, v8, v3
	s_waitcnt lgkmcnt(0)
	v_max_f32_e32 v7, v7, v7
	v_max_f32_e32 v6, v6, v7
	v_cndmask_b32_e32 v7, v2, v8, vcc
	v_lshlrev_b32_e32 v8, 2, v7
	ds_bpermute_b32 v7, v8, v6
	v_cmp_lt_i32_e32 vcc, v9, v3
	s_waitcnt lgkmcnt(0)
	v_max_f32_e32 v7, v7, v7
	v_max_f32_e32 v7, v6, v7
	v_cndmask_b32_e32 v6, v2, v9, vcc
	v_lshlrev_b32_e32 v9, 2, v6
	ds_bpermute_b32 v12, v9, v7
	v_cmp_eq_u32_e32 vcc, 0, v62
	v_lshlrev_b32_e32 v6, 2, v60
	s_and_saveexec_b64 s[0:1], vcc
	s_cbranch_execz .LBB24_21
; %bb.20:
	s_waitcnt lgkmcnt(0)
	v_max_f32_e32 v12, v12, v12
	v_max_f32_e32 v7, v7, v7
	;; [unrolled: 1-line block ×3, first 2 shown]
	ds_write_b32 v6, v7 offset:512
.LBB24_21:
	s_or_b64 exec, exec, s[0:1]
	v_cmp_gt_u32_e64 s[0:1], 2, v62
	s_waitcnt lgkmcnt(0)
	v_mov_b32_e32 v12, 0xff7fffff
	v_lshlrev_b32_e32 v7, 2, v62
	s_barrier
	s_and_saveexec_b64 s[2:3], s[0:1]
	s_cbranch_execz .LBB24_23
; %bb.22:
	ds_read_b32 v12, v7 offset:512
.LBB24_23:
	s_or_b64 exec, exec, s[2:3]
	v_xor_b32_e32 v13, 1, v2
	v_cmp_lt_i32_e64 s[2:3], v13, v3
	v_lshlrev_b32_e32 v14, 2, v2
	s_nop 0
	v_cndmask_b32_e64 v13, v2, v13, s[2:3]
	v_lshlrev_b32_e32 v63, 2, v13
	s_waitcnt lgkmcnt(0)
	ds_bpermute_b32 v13, v63, v12
	v_max_f32_e32 v12, v12, v12
	s_lshl_b32 s2, s42, 4
	s_min_i32 s15, s2, s21
	v_cmp_gt_i32_e64 s[2:3], s15, v0
	s_waitcnt lgkmcnt(0)
	v_max_f32_e32 v13, v13, v13
	v_max_f32_e32 v13, v12, v13
	v_and_b32_e32 v12, 0x100, v14
	ds_bpermute_b32 v14, v12, v13
	v_mov_b32_e32 v13, 0
	s_and_saveexec_b64 s[30:31], s[2:3]
	s_cbranch_execz .LBB24_27
; %bb.24:
	v_mov_b32_e32 v13, 0x210
	v_lshl_add_u32 v15, v0, 2, v13
	s_mov_b64 s[34:35], 0
	v_mov_b32_e32 v13, 0
	v_mov_b32_e32 v16, v0
.LBB24_25:                              ; =>This Inner Loop Header: Depth=1
	ds_read_b32 v17, v15
	v_add_u32_e32 v16, 0x80, v16
	v_cmp_le_i32_e64 s[8:9], s15, v16
	s_or_b64 s[34:35], s[8:9], s[34:35]
	s_waitcnt lgkmcnt(0)
	v_sub_f32_e32 v17, v17, v14
	v_mul_f32_e32 v17, 0x3fb8aa3b, v17
	v_exp_f32_e32 v17, v17
	ds_write_b32 v15, v17
	v_add_f32_e32 v13, v13, v17
	v_add_u32_e32 v15, 0x200, v15
	s_andn2_b64 exec, exec, s[34:35]
	s_cbranch_execnz .LBB24_25
; %bb.26:
	s_or_b64 exec, exec, s[34:35]
.LBB24_27:
	s_or_b64 exec, exec, s[30:31]
	ds_bpermute_b32 v4, v4, v13
	s_waitcnt lgkmcnt(0)
	v_add_f32_e32 v4, v13, v4
	ds_bpermute_b32 v5, v5, v4
	s_waitcnt lgkmcnt(0)
	v_add_f32_e32 v4, v4, v5
	ds_bpermute_b32 v5, v8, v4
	v_xor_b32_e32 v8, 2, v2
	v_cmp_lt_i32_e64 s[8:9], v8, v3
	s_waitcnt lgkmcnt(0)
	v_add_f32_e32 v4, v4, v5
	ds_bpermute_b32 v5, v9, v4
	v_cndmask_b32_e64 v2, v2, v8, s[8:9]
	v_lshlrev_b32_e32 v64, 2, v2
	s_waitcnt lgkmcnt(0)
	v_add_f32_e32 v3, v4, v5
	ds_bpermute_b32 v2, v64, v3
	s_waitcnt lgkmcnt(0)
	v_add_f32_e32 v2, v3, v2
	ds_bpermute_b32 v3, v63, v2
	s_waitcnt lgkmcnt(0)
	v_add_f32_e32 v2, v2, v3
	s_and_saveexec_b64 s[8:9], vcc
	s_cbranch_execz .LBB24_29
; %bb.28:
	ds_write_b32 v6, v2 offset:520
.LBB24_29:
	s_or_b64 exec, exec, s[8:9]
	s_waitcnt lgkmcnt(0)
	s_barrier
	s_and_saveexec_b64 s[8:9], s[0:1]
	s_cbranch_execz .LBB24_31
; %bb.30:
	ds_read_b32 v2, v7 offset:520
.LBB24_31:
	s_or_b64 exec, exec, s[8:9]
	s_waitcnt lgkmcnt(0)
	ds_bpermute_b32 v3, v63, v2
	s_waitcnt lgkmcnt(0)
	v_add_f32_e32 v2, v2, v3
	ds_bpermute_b32 v2, v12, v2
	s_and_saveexec_b64 s[0:1], s[2:3]
	s_cbranch_execz .LBB24_44
; %bb.32:
	s_waitcnt lgkmcnt(0)
	v_add_f32_e32 v2, 0x358637bd, v2
	v_div_scale_f32 v3, s[2:3], v2, v2, 1.0
	v_rcp_f32_e32 v4, v3
	v_div_scale_f32 v5, vcc, 1.0, v2, 1.0
	s_movk_i32 s2, 0x7f
	v_fma_f32 v6, -v3, v4, 1.0
	v_fmac_f32_e32 v4, v6, v4
	v_mul_f32_e32 v6, v5, v4
	v_fma_f32 v7, -v3, v6, v5
	v_fmac_f32_e32 v6, v7, v4
	v_fma_f32 v3, -v3, v6, v5
	v_div_fmas_f32 v3, v3, v4, v6
	v_xad_u32 v4, v0, -1, s15
	v_div_fixup_f32 v2, v3, v2, 1.0
	v_cmp_lt_u32_e32 vcc, s2, v4
	s_mov_b64 s[8:9], -1
	v_mov_b32_e32 v3, v0
	s_and_saveexec_b64 s[2:3], vcc
	s_cbranch_execz .LBB24_41
; %bb.33:
	v_lshrrev_b32_e32 v4, 7, v4
	v_add_u32_e32 v6, -1, v4
	v_lshrrev_b32_e32 v5, 1, v6
	v_mov_b32_e32 v3, v2
	v_add_u32_e32 v5, 1, v5
	v_cmp_lt_u32_e32 vcc, 13, v6
	v_mov_b32_e32 v8, 0
	s_and_saveexec_b64 s[8:9], vcc
	s_cbranch_execz .LBB24_37
; %bb.34:
	v_mov_b32_e32 v7, 0x210
	v_and_b32_e32 v6, -8, v5
	v_lshl_add_u32 v7, v0, 2, v7
	s_mov_b32 s16, 0
	s_mov_b64 s[30:31], 0
.LBB24_35:                              ; =>This Inner Loop Header: Depth=1
	ds_read2st64_b32 v[8:9], v7 offset1:2
	ds_read2st64_b32 v[12:13], v7 offset0:4 offset1:6
	ds_read2st64_b32 v[14:15], v7 offset0:8 offset1:10
	;; [unrolled: 1-line block ×3, first 2 shown]
	v_add_u32_e32 v6, -8, v6
	s_waitcnt lgkmcnt(3)
	v_pk_mul_f32 v[8:9], v[2:3], v[8:9]
	s_waitcnt lgkmcnt(2)
	v_pk_mul_f32 v[12:13], v[2:3], v[12:13]
	ds_write2st64_b32 v7, v8, v9 offset1:2
	ds_write2st64_b32 v7, v12, v13 offset0:4 offset1:6
	ds_read2st64_b32 v[12:13], v7 offset0:16 offset1:18
	s_waitcnt lgkmcnt(4)
	v_pk_mul_f32 v[8:9], v[2:3], v[14:15]
	ds_write2st64_b32 v7, v8, v9 offset0:8 offset1:10
	s_waitcnt lgkmcnt(4)
	v_pk_mul_f32 v[8:9], v[2:3], v[16:17]
	ds_write2st64_b32 v7, v8, v9 offset0:12 offset1:14
	ds_read2st64_b32 v[8:9], v7 offset0:20 offset1:22
	s_waitcnt lgkmcnt(3)
	v_pk_mul_f32 v[12:13], v[2:3], v[12:13]
	ds_read2st64_b32 v[14:15], v7 offset0:24 offset1:26
	ds_write2st64_b32 v7, v12, v13 offset0:16 offset1:18
	ds_read2st64_b32 v[12:13], v7 offset0:28 offset1:30
	s_waitcnt lgkmcnt(3)
	v_pk_mul_f32 v[8:9], v[2:3], v[8:9]
	ds_write2st64_b32 v7, v8, v9 offset0:20 offset1:22
	s_waitcnt lgkmcnt(3)
	v_pk_mul_f32 v[8:9], v[2:3], v[14:15]
	ds_write2st64_b32 v7, v8, v9 offset0:24 offset1:26
	s_waitcnt lgkmcnt(2)
	v_pk_mul_f32 v[8:9], v[2:3], v[12:13]
	s_add_i32 s16, s16, 16
	v_cmp_eq_u32_e32 vcc, 0, v6
	ds_write2st64_b32 v7, v8, v9 offset0:28 offset1:30
	v_add_u32_e32 v7, 0x2000, v7
	s_or_b64 s[30:31], vcc, s[30:31]
	v_mov_b32_e32 v8, s16
	s_andn2_b64 exec, exec, s[30:31]
	s_cbranch_execnz .LBB24_35
; %bb.36:
	s_or_b64 exec, exec, s[30:31]
.LBB24_37:
	s_or_b64 exec, exec, s[8:9]
	v_and_b32_e32 v5, 7, v5
	v_cmp_ne_u32_e32 vcc, 0, v5
	s_and_saveexec_b64 s[8:9], vcc
	s_cbranch_execz .LBB24_40
; %bb.38:
	v_lshlrev_b32_e32 v6, 9, v8
	s_movk_i32 s16, 0x210
	v_add3_u32 v6, v6, v10, s16
	s_mov_b64 s[30:31], 0
.LBB24_39:                              ; =>This Inner Loop Header: Depth=1
	ds_read2st64_b32 v[8:9], v6 offset1:2
	v_add_u32_e32 v5, -1, v5
	v_cmp_eq_u32_e32 vcc, 0, v5
	s_or_b64 s[30:31], vcc, s[30:31]
	s_waitcnt lgkmcnt(0)
	v_pk_mul_f32 v[8:9], v[2:3], v[8:9]
	ds_write2st64_b32 v6, v8, v9 offset1:2
	v_add_u32_e32 v6, 0x400, v6
	s_andn2_b64 exec, exec, s[30:31]
	s_cbranch_execnz .LBB24_39
.LBB24_40:
	s_or_b64 exec, exec, s[8:9]
	v_add_u32_e32 v4, 1, v4
	v_and_b32_e32 v5, 0x3fffffe, v4
	v_cmp_ne_u32_e32 vcc, v4, v5
	v_lshl_add_u32 v3, v5, 7, v0
	s_orn2_b64 s[8:9], vcc, exec
.LBB24_41:
	s_or_b64 exec, exec, s[2:3]
	s_and_b64 exec, exec, s[8:9]
	s_cbranch_execz .LBB24_44
; %bb.42:
	v_mov_b32_e32 v4, 0x210
	v_lshl_add_u32 v4, v3, 2, v4
	s_mov_b64 s[2:3], 0
.LBB24_43:                              ; =>This Inner Loop Header: Depth=1
	ds_read_b32 v5, v4
	v_add_u32_e32 v3, 0x80, v3
	v_cmp_le_i32_e32 vcc, s15, v3
	s_or_b64 s[2:3], vcc, s[2:3]
	s_waitcnt lgkmcnt(0)
	v_mul_f32_e32 v5, v2, v5
	ds_write_b32 v4, v5
	v_add_u32_e32 v4, 0x200, v4
	s_andn2_b64 exec, exec, s[2:3]
	s_cbranch_execnz .LBB24_43
.LBB24_44:
	s_or_b64 exec, exec, s[0:1]
	s_mov_b32 s8, 0
	v_mov_b32_e32 v9, 0
	v_mov_b32_e32 v8, 0
	;; [unrolled: 1-line block ×7, first 2 shown]
	s_waitcnt lgkmcnt(0)
	v_mov_b32_e32 v2, 0
	s_barrier
	s_and_saveexec_b64 s[2:3], s[6:7]
	s_cbranch_execz .LBB24_66
; %bb.45:
	s_ashr_i32 s15, s14, 31
	s_sub_i32 s30, s12, s17
	s_lshl_b64 s[0:1], s[14:15], 2
	s_add_u32 s6, s28, s0
	s_addc_u32 s7, s29, s1
	s_abs_i32 s18, s18
	v_cvt_f32_u32_e32 v2, s18
	s_sub_i32 s0, 0, s18
	s_add_i32 s29, s42, -1
	v_and_b32_e32 v65, 12, v10
	v_rcp_iflag_f32_e32 v2, v2
	v_and_b32_e32 v10, 0xfc, v10
	s_mov_b32 s9, s8
	s_mov_b32 s28, s13
	v_mul_f32_e32 v2, 0x4f7ffffe, v2
	v_cvt_u32_f32_e32 v2, v2
	v_mov_b32_e32 v47, 0
	v_or_b32_e32 v12, 0x400, v10
	v_or_b32_e32 v14, 0x500, v10
	v_mul_lo_u32 v3, s0, v2
	v_mul_hi_u32 v3, v2, v3
	v_add_u32_e32 v66, v2, v3
	s_lshl_b64 s[0:1], s[26:27], 2
	v_lshlrev_b32_e32 v2, 4, v59
	s_add_u32 s0, s10, s0
	v_lshl_or_b32 v2, v60, 6, v2
	v_or_b32_e32 v16, 0x600, v10
	v_or_b32_e32 v18, 0x700, v10
	v_and_b32_e32 v46, 60, v11
	s_addc_u32 s1, s11, s1
	v_add_u32_e32 v67, 0x210, v2
	s_mov_b32 s10, s8
	s_mov_b32 s11, s8
	;; [unrolled: 1-line block ×6, first 2 shown]
	v_mov_b64_e32 v[2:3], s[8:9]
	v_lshl_add_u64 v[48:49], s[0:1], 0, v[46:47]
	s_mov_b64 s[16:17], 0
	v_mov_b64_e32 v[4:5], s[10:11]
	v_mov_b64_e32 v[6:7], s[12:13]
	;; [unrolled: 1-line block ×3, first 2 shown]
	v_lshlrev_b32_e32 v50, 2, v10
	v_lshlrev_b32_e32 v46, 2, v12
	;; [unrolled: 1-line block ×5, first 2 shown]
	s_branch .LBB24_48
.LBB24_46:                              ;   in Loop: Header=BB24_48 Depth=1
	s_or_b64 exec, exec, s[0:1]
	s_waitcnt vmcnt(7) lgkmcnt(0)
	v_mul_f32_e32 v15, v11, v15
	v_fmac_f32_e32 v15, v10, v14
	s_waitcnt vmcnt(6)
	v_mul_f32_e32 v14, v11, v19
	v_fmac_f32_e32 v14, v10, v18
	v_fmac_f32_e32 v14, v12, v20
	v_fmac_f32_e32 v14, v13, v21
	v_add_f32_e32 v3, v3, v14
	s_waitcnt vmcnt(5)
	v_mul_f32_e32 v14, v11, v23
	v_fmac_f32_e32 v14, v10, v22
	v_fmac_f32_e32 v14, v12, v24
	v_fmac_f32_e32 v14, v13, v25
	v_add_f32_e32 v4, v4, v14
	;; [unrolled: 6-line block ×5, first 2 shown]
	s_waitcnt vmcnt(1)
	v_mul_f32_e32 v14, v11, v39
	s_waitcnt vmcnt(0)
	v_mul_f32_e32 v11, v11, v43
	v_fmac_f32_e32 v14, v10, v38
	v_fmac_f32_e32 v11, v10, v42
	;; [unrolled: 1-line block ×8, first 2 shown]
	v_add_f32_e32 v2, v2, v15
	v_add_f32_e32 v8, v8, v14
	v_add_f32_e32 v9, v9, v11
.LBB24_47:                              ;   in Loop: Header=BB24_48 Depth=1
	s_or_b64 exec, exec, s[8:9]
	v_add_u32_e32 v60, 2, v60
	v_cmp_le_i32_e32 vcc, s42, v60
	v_lshl_add_u64 v[48:49], v[48:49], 0, 8
	v_add_u32_e32 v61, 32, v61
	s_or_b64 s[16:17], vcc, s[16:17]
	v_add_u32_e32 v67, 0x80, v67
	s_andn2_b64 exec, exec, s[16:17]
	s_cbranch_execz .LBB24_65
.LBB24_48:                              ; =>This Inner Loop Header: Depth=1
	v_mul_hi_u32 v10, v61, s33
	v_mul_lo_u32 v11, v10, s23
	v_sub_u32_e32 v11, v61, v11
	v_add_u32_e32 v12, 1, v10
	v_cmp_le_u32_e32 vcc, s23, v11
	s_nop 1
	v_cndmask_b32_e32 v10, v10, v12, vcc
	v_subrev_u32_e32 v12, s23, v11
	v_cndmask_b32_e32 v11, v11, v12, vcc
	v_add_u32_e32 v12, 1, v10
	v_cmp_le_u32_e32 vcc, s23, v11
	s_nop 1
	v_cndmask_b32_e32 v10, v10, v12, vcc
	v_xor_b32_e32 v10, s41, v10
	v_subrev_u32_e32 v10, s41, v10
	v_add_u32_e32 v11, s40, v10
	v_sub_u32_e32 v13, 0, v11
	v_ashrrev_i32_e32 v12, 31, v11
	v_max_i32_e32 v11, v11, v13
	v_mul_hi_u32 v13, v11, v66
	v_mul_lo_u32 v13, v13, s18
	v_sub_u32_e32 v11, v11, v13
	v_subrev_u32_e32 v13, s18, v11
	v_cmp_le_u32_e32 vcc, s18, v11
	v_cmp_lt_i32_e64 s[0:1], s30, v10
	s_nop 0
	v_cndmask_b32_e32 v11, v11, v13, vcc
	v_subrev_u32_e32 v13, s18, v11
	v_cmp_le_u32_e32 vcc, s18, v11
	s_nop 1
	v_cndmask_b32_e32 v11, v11, v13, vcc
	v_xor_b32_e32 v11, v11, v12
	v_sub_u32_e32 v11, v11, v12
	v_cmp_eq_u32_e32 vcc, 0, v11
	s_or_b64 s[0:1], vcc, s[0:1]
	s_and_saveexec_b64 s[8:9], s[0:1]
	s_cbranch_execz .LBB24_47
; %bb.49:                               ;   in Loop: Header=BB24_48 Depth=1
	global_load_dword v10, v[48:49], off
	v_mov_b32_e32 v51, v47
	v_cmp_eq_u32_e32 vcc, s29, v60
	s_waitcnt vmcnt(0)
	v_mad_i64_i32 v[10:11], s[0:1], v10, s28, 0
	v_lshl_add_u64 v[42:43], v[10:11], 2, s[6:7]
	v_lshl_add_u64 v[26:27], v[42:43], 0, v[50:51]
	global_load_dwordx4 v[14:17], v[26:27], off
	ds_read_b128 v[10:13], v67
	v_add_u32_e32 v51, v65, v61
	v_add_u32_e32 v70, 1, v51
	;; [unrolled: 1-line block ×4, first 2 shown]
	s_and_saveexec_b64 s[10:11], vcc
	s_cbranch_execnz .LBB24_62
; %bb.50:                               ;   in Loop: Header=BB24_48 Depth=1
	s_or_b64 exec, exec, s[10:11]
	global_load_dwordx4 v[18:21], v[26:27], off offset:1024
	s_and_saveexec_b64 s[10:11], vcc
	s_cbranch_execnz .LBB24_63
.LBB24_51:                              ;   in Loop: Header=BB24_48 Depth=1
	s_or_b64 exec, exec, s[10:11]
	global_load_dwordx4 v[22:25], v[26:27], off offset:2048
	s_and_saveexec_b64 s[10:11], vcc
	s_cbranch_execnz .LBB24_64
.LBB24_52:                              ;   in Loop: Header=BB24_48 Depth=1
	s_or_b64 exec, exec, s[10:11]
	global_load_dwordx4 v[26:29], v[26:27], off offset:3072
	s_and_saveexec_b64 s[10:11], vcc
	s_cbranch_execz .LBB24_54
.LBB24_53:                              ;   in Loop: Header=BB24_48 Depth=1
	v_cmp_gt_i32_e64 s[0:1], s21, v51
	s_waitcnt vmcnt(0)
	s_nop 0
	v_cndmask_b32_e64 v26, 0, v26, s[0:1]
	v_cmp_gt_i32_e64 s[0:1], s21, v70
	s_nop 1
	v_cndmask_b32_e64 v27, 0, v27, s[0:1]
	v_cmp_gt_i32_e64 s[0:1], s21, v69
	;; [unrolled: 3-line block ×3, first 2 shown]
	s_nop 1
	v_cndmask_b32_e64 v29, 0, v29, s[0:1]
.LBB24_54:                              ;   in Loop: Header=BB24_48 Depth=1
	s_or_b64 exec, exec, s[10:11]
	v_lshl_add_u64 v[30:31], v[42:43], 0, v[46:47]
	global_load_dwordx4 v[30:33], v[30:31], off
	s_and_saveexec_b64 s[10:11], vcc
	s_cbranch_execz .LBB24_56
; %bb.55:                               ;   in Loop: Header=BB24_48 Depth=1
	v_cmp_gt_i32_e64 s[0:1], s21, v51
	s_waitcnt vmcnt(0)
	s_nop 0
	v_cndmask_b32_e64 v30, 0, v30, s[0:1]
	v_cmp_gt_i32_e64 s[0:1], s21, v70
	s_nop 1
	v_cndmask_b32_e64 v31, 0, v31, s[0:1]
	v_cmp_gt_i32_e64 s[0:1], s21, v69
	s_nop 1
	v_cndmask_b32_e64 v32, 0, v32, s[0:1]
	v_cmp_gt_i32_e64 s[0:1], s21, v68
	s_nop 1
	v_cndmask_b32_e64 v33, 0, v33, s[0:1]
.LBB24_56:                              ;   in Loop: Header=BB24_48 Depth=1
	s_or_b64 exec, exec, s[10:11]
	v_mov_b32_e32 v53, v47
	v_lshl_add_u64 v[34:35], v[42:43], 0, v[52:53]
	global_load_dwordx4 v[34:37], v[34:35], off
	s_and_saveexec_b64 s[10:11], vcc
	s_cbranch_execz .LBB24_58
; %bb.57:                               ;   in Loop: Header=BB24_48 Depth=1
	v_cmp_gt_i32_e64 s[0:1], s21, v51
	s_waitcnt vmcnt(0)
	s_nop 0
	v_cndmask_b32_e64 v34, 0, v34, s[0:1]
	v_cmp_gt_i32_e64 s[0:1], s21, v70
	s_nop 1
	v_cndmask_b32_e64 v35, 0, v35, s[0:1]
	v_cmp_gt_i32_e64 s[0:1], s21, v69
	s_nop 1
	v_cndmask_b32_e64 v36, 0, v36, s[0:1]
	v_cmp_gt_i32_e64 s[0:1], s21, v68
	s_nop 1
	v_cndmask_b32_e64 v37, 0, v37, s[0:1]
.LBB24_58:                              ;   in Loop: Header=BB24_48 Depth=1
	s_or_b64 exec, exec, s[10:11]
	v_mov_b32_e32 v55, v47
	;; [unrolled: 21-line block ×3, first 2 shown]
	v_lshl_add_u64 v[42:43], v[42:43], 0, v[56:57]
	global_load_dwordx4 v[42:45], v[42:43], off
	s_and_saveexec_b64 s[0:1], vcc
	s_cbranch_execz .LBB24_46
; %bb.61:                               ;   in Loop: Header=BB24_48 Depth=1
	v_cmp_gt_i32_e32 vcc, s21, v51
	s_waitcnt vmcnt(0)
	s_nop 0
	v_cndmask_b32_e32 v42, 0, v42, vcc
	v_cmp_gt_i32_e32 vcc, s21, v70
	s_nop 1
	v_cndmask_b32_e32 v43, 0, v43, vcc
	v_cmp_gt_i32_e32 vcc, s21, v69
	;; [unrolled: 3-line block ×3, first 2 shown]
	s_nop 1
	v_cndmask_b32_e32 v45, 0, v45, vcc
	s_branch .LBB24_46
.LBB24_62:                              ;   in Loop: Header=BB24_48 Depth=1
	v_cmp_gt_i32_e64 s[0:1], s21, v51
	s_waitcnt vmcnt(0)
	s_nop 0
	v_cndmask_b32_e64 v14, 0, v14, s[0:1]
	v_cmp_gt_i32_e64 s[0:1], s21, v70
	s_nop 1
	v_cndmask_b32_e64 v15, 0, v15, s[0:1]
	v_cmp_gt_i32_e64 s[0:1], s21, v69
	;; [unrolled: 3-line block ×3, first 2 shown]
	s_nop 1
	v_cndmask_b32_e64 v17, 0, v17, s[0:1]
	s_or_b64 exec, exec, s[10:11]
	global_load_dwordx4 v[18:21], v[26:27], off offset:1024
	s_and_saveexec_b64 s[10:11], vcc
	s_cbranch_execz .LBB24_51
.LBB24_63:                              ;   in Loop: Header=BB24_48 Depth=1
	v_cmp_gt_i32_e64 s[0:1], s21, v51
	s_waitcnt vmcnt(0)
	s_nop 0
	v_cndmask_b32_e64 v18, 0, v18, s[0:1]
	v_cmp_gt_i32_e64 s[0:1], s21, v70
	s_nop 1
	v_cndmask_b32_e64 v19, 0, v19, s[0:1]
	v_cmp_gt_i32_e64 s[0:1], s21, v69
	;; [unrolled: 3-line block ×3, first 2 shown]
	s_nop 1
	v_cndmask_b32_e64 v21, 0, v21, s[0:1]
	s_or_b64 exec, exec, s[10:11]
	global_load_dwordx4 v[22:25], v[26:27], off offset:2048
	s_and_saveexec_b64 s[10:11], vcc
	s_cbranch_execz .LBB24_52
.LBB24_64:                              ;   in Loop: Header=BB24_48 Depth=1
	v_cmp_gt_i32_e64 s[0:1], s21, v51
	s_waitcnt vmcnt(0)
	s_nop 0
	v_cndmask_b32_e64 v22, 0, v22, s[0:1]
	v_cmp_gt_i32_e64 s[0:1], s21, v70
	s_nop 1
	v_cndmask_b32_e64 v23, 0, v23, s[0:1]
	v_cmp_gt_i32_e64 s[0:1], s21, v69
	s_nop 1
	v_cndmask_b32_e64 v24, 0, v24, s[0:1]
	v_cmp_gt_i32_e64 s[0:1], s21, v68
	s_nop 1
	v_cndmask_b32_e64 v25, 0, v25, s[0:1]
	s_or_b64 exec, exec, s[10:11]
	global_load_dwordx4 v[26:29], v[26:27], off offset:3072
	s_and_saveexec_b64 s[10:11], vcc
	s_cbranch_execnz .LBB24_53
	s_branch .LBB24_54
.LBB24_65:
	s_or_b64 exec, exec, s[16:17]
.LBB24_66:
	s_or_b64 exec, exec, s[2:3]
	ds_bpermute_b32 v12, v64, v4
	ds_bpermute_b32 v13, v64, v5
	;; [unrolled: 1-line block ×6, first 2 shown]
	s_waitcnt lgkmcnt(4)
	v_pk_add_f32 v[4:5], v[4:5], v[12:13]
	ds_bpermute_b32 v12, v64, v6
	ds_bpermute_b32 v13, v64, v7
	s_waitcnt lgkmcnt(4)
	v_pk_add_f32 v[2:3], v[2:3], v[10:11]
	ds_bpermute_b32 v10, v63, v2
	ds_bpermute_b32 v11, v63, v3
	s_waitcnt lgkmcnt(4)
	v_pk_add_f32 v[16:17], v[8:9], v[16:17]
	s_waitcnt lgkmcnt(2)
	v_pk_add_f32 v[12:13], v[6:7], v[12:13]
	ds_bpermute_b32 v14, v63, v4
	ds_bpermute_b32 v15, v63, v5
	ds_bpermute_b32 v18, v63, v12
	ds_bpermute_b32 v19, v63, v13
	ds_bpermute_b32 v20, v63, v16
	ds_bpermute_b32 v21, v63, v17
	s_waitcnt lgkmcnt(6)
	v_pk_add_f32 v[8:9], v[2:3], v[10:11]
	v_and_b32_e32 v10, 0x3c3, v0
	s_waitcnt lgkmcnt(4)
	v_pk_add_f32 v[6:7], v[4:5], v[14:15]
	s_waitcnt lgkmcnt(2)
	v_pk_add_f32 v[2:3], v[12:13], v[18:19]
	;; [unrolled: 2-line block ×3, first 2 shown]
	v_cmp_eq_u32_e32 vcc, 64, v10
	s_barrier
	s_and_saveexec_b64 s[0:1], vcc
	s_cbranch_execz .LBB24_68
; %bb.67:
	v_add_u32_e32 v11, 0x210, v62
	ds_write2_b32 v11, v8, v9 offset1:16
	ds_write2_b32 v11, v6, v7 offset0:32 offset1:48
	ds_write2_b32 v11, v2, v3 offset0:64 offset1:80
	;; [unrolled: 1-line block ×3, first 2 shown]
.LBB24_68:
	s_or_b64 exec, exec, s[0:1]
	v_cmp_gt_u32_e32 vcc, 64, v0
	s_waitcnt lgkmcnt(0)
	s_barrier
	s_and_saveexec_b64 s[0:1], vcc
	s_cbranch_execz .LBB24_79
; %bb.69:
	v_cmp_eq_u32_e32 vcc, 0, v59
	s_and_saveexec_b64 s[2:3], vcc
	s_cbranch_execnz .LBB24_82
; %bb.70:
	s_or_b64 exec, exec, s[2:3]
	s_and_saveexec_b64 s[2:3], vcc
	s_cbranch_execnz .LBB24_83
.LBB24_71:
	s_or_b64 exec, exec, s[2:3]
	s_and_saveexec_b64 s[2:3], vcc
	s_cbranch_execnz .LBB24_84
.LBB24_72:
	s_or_b64 exec, exec, s[2:3]
	s_and_saveexec_b64 s[2:3], vcc
	s_cbranch_execnz .LBB24_85
.LBB24_73:
	s_or_b64 exec, exec, s[2:3]
	s_and_saveexec_b64 s[2:3], vcc
	s_cbranch_execnz .LBB24_86
.LBB24_74:
	s_or_b64 exec, exec, s[2:3]
	s_and_saveexec_b64 s[2:3], vcc
	s_cbranch_execnz .LBB24_87
.LBB24_75:
	s_or_b64 exec, exec, s[2:3]
	s_and_saveexec_b64 s[2:3], vcc
	s_cbranch_execnz .LBB24_88
.LBB24_76:
	s_or_b64 exec, exec, s[2:3]
	s_and_saveexec_b64 s[2:3], vcc
	s_cbranch_execz .LBB24_78
.LBB24_77:
	v_mov_b32_e32 v0, 0x210
	v_lshl_add_u32 v0, v58, 2, v0
	ds_read_b32 v0, v0 offset:448
	s_waitcnt lgkmcnt(0)
	v_add_f32_e32 v5, v5, v0
.LBB24_78:
	s_or_b64 exec, exec, s[2:3]
.LBB24_79:
	s_or_b64 exec, exec, s[0:1]
	v_cmp_eq_u32_e32 vcc, 0, v10
	s_barrier
	s_and_saveexec_b64 s[0:1], vcc
	s_cbranch_execz .LBB24_81
; %bb.80:
	s_mul_i32 s0, s20, s19
	s_mul_i32 s0, s0, s5
	s_lshl_b32 s0, s0, 7
	s_ashr_i32 s1, s0, 31
	s_lshl_b64 s[0:1], s[0:1], 2
	s_add_u32 s2, s24, s0
	s_mul_i32 s0, s19, s22
	s_addc_u32 s3, s25, s1
	s_ashr_i32 s1, s0, 31
	s_lshl_b64 s[0:1], s[0:1], 2
	s_add_u32 s2, s2, s0
	s_addc_u32 s3, s3, s1
	s_lshl_b32 s0, s4, 7
	s_ashr_i32 s1, s0, 31
	s_lshl_b64 s[0:1], s[0:1], 2
	s_add_u32 s0, s2, s0
	s_addc_u32 s1, s3, s1
	global_store_dword v1, v8, s[0:1]
	global_store_dword v1, v9, s[0:1] offset:64
	global_store_dword v1, v6, s[0:1] offset:128
	;; [unrolled: 1-line block ×7, first 2 shown]
.LBB24_81:
	s_endpgm
.LBB24_82:
	v_mov_b32_e32 v0, 0x210
	v_lshl_add_u32 v0, v58, 2, v0
	ds_read_b32 v0, v0
	s_waitcnt lgkmcnt(0)
	v_add_f32_e32 v8, v8, v0
	s_or_b64 exec, exec, s[2:3]
	s_and_saveexec_b64 s[2:3], vcc
	s_cbranch_execz .LBB24_71
.LBB24_83:
	v_mov_b32_e32 v0, 0x210
	v_lshl_add_u32 v0, v58, 2, v0
	ds_read_b32 v0, v0 offset:64
	s_waitcnt lgkmcnt(0)
	v_add_f32_e32 v9, v9, v0
	s_or_b64 exec, exec, s[2:3]
	s_and_saveexec_b64 s[2:3], vcc
	s_cbranch_execz .LBB24_72
.LBB24_84:
	v_mov_b32_e32 v0, 0x210
	v_lshl_add_u32 v0, v58, 2, v0
	ds_read_b32 v0, v0 offset:128
	s_waitcnt lgkmcnt(0)
	v_add_f32_e32 v6, v6, v0
	s_or_b64 exec, exec, s[2:3]
	s_and_saveexec_b64 s[2:3], vcc
	s_cbranch_execz .LBB24_73
.LBB24_85:
	v_mov_b32_e32 v0, 0x210
	v_lshl_add_u32 v0, v58, 2, v0
	ds_read_b32 v0, v0 offset:192
	s_waitcnt lgkmcnt(0)
	v_add_f32_e32 v7, v7, v0
	s_or_b64 exec, exec, s[2:3]
	s_and_saveexec_b64 s[2:3], vcc
	s_cbranch_execz .LBB24_74
.LBB24_86:
	v_mov_b32_e32 v0, 0x210
	v_lshl_add_u32 v0, v58, 2, v0
	ds_read_b32 v0, v0 offset:256
	s_waitcnt lgkmcnt(0)
	v_add_f32_e32 v2, v2, v0
	s_or_b64 exec, exec, s[2:3]
	s_and_saveexec_b64 s[2:3], vcc
	s_cbranch_execz .LBB24_75
.LBB24_87:
	v_mov_b32_e32 v0, 0x210
	v_lshl_add_u32 v0, v58, 2, v0
	ds_read_b32 v0, v0 offset:320
	s_waitcnt lgkmcnt(0)
	v_add_f32_e32 v3, v3, v0
	s_or_b64 exec, exec, s[2:3]
	s_and_saveexec_b64 s[2:3], vcc
	s_cbranch_execz .LBB24_76
.LBB24_88:
	v_mov_b32_e32 v0, 0x210
	v_lshl_add_u32 v0, v58, 2, v0
	ds_read_b32 v0, v0 offset:384
	s_waitcnt lgkmcnt(0)
	v_add_f32_e32 v4, v4, v0
	s_or_b64 exec, exec, s[2:3]
	s_and_saveexec_b64 s[2:3], vcc
	s_cbranch_execnz .LBB24_77
	s_branch .LBB24_78
	.section	.rodata,"a",@progbits
	.p2align	6, 0x0
	.amdhsa_kernel _ZN4vllm25paged_attention_v1_kernelIffLi128ELi16ELi128ELNS_18Fp8KVCacheDataTypeE0ELb1EEEvPT_PKS2_PKT0_S8_ifPKiSA_iPKfiiiSC_SC_iiiii
		.amdhsa_group_segment_fixed_size 528
		.amdhsa_private_segment_fixed_size 0
		.amdhsa_kernarg_size 384
		.amdhsa_user_sgpr_count 2
		.amdhsa_user_sgpr_dispatch_ptr 0
		.amdhsa_user_sgpr_queue_ptr 0
		.amdhsa_user_sgpr_kernarg_segment_ptr 1
		.amdhsa_user_sgpr_dispatch_id 0
		.amdhsa_user_sgpr_kernarg_preload_length 0
		.amdhsa_user_sgpr_kernarg_preload_offset 0
		.amdhsa_user_sgpr_private_segment_size 0
		.amdhsa_uses_dynamic_stack 0
		.amdhsa_enable_private_segment 0
		.amdhsa_system_sgpr_workgroup_id_x 1
		.amdhsa_system_sgpr_workgroup_id_y 1
		.amdhsa_system_sgpr_workgroup_id_z 1
		.amdhsa_system_sgpr_workgroup_info 0
		.amdhsa_system_vgpr_workitem_id 0
		.amdhsa_next_free_vgpr 91
		.amdhsa_next_free_sgpr 45
		.amdhsa_accum_offset 92
		.amdhsa_reserve_vcc 1
		.amdhsa_float_round_mode_32 0
		.amdhsa_float_round_mode_16_64 0
		.amdhsa_float_denorm_mode_32 3
		.amdhsa_float_denorm_mode_16_64 3
		.amdhsa_dx10_clamp 1
		.amdhsa_ieee_mode 1
		.amdhsa_fp16_overflow 0
		.amdhsa_tg_split 0
		.amdhsa_exception_fp_ieee_invalid_op 0
		.amdhsa_exception_fp_denorm_src 0
		.amdhsa_exception_fp_ieee_div_zero 0
		.amdhsa_exception_fp_ieee_overflow 0
		.amdhsa_exception_fp_ieee_underflow 0
		.amdhsa_exception_fp_ieee_inexact 0
		.amdhsa_exception_int_div_zero 0
	.end_amdhsa_kernel
	.section	.text._ZN4vllm25paged_attention_v1_kernelIffLi128ELi16ELi128ELNS_18Fp8KVCacheDataTypeE0ELb1EEEvPT_PKS2_PKT0_S8_ifPKiSA_iPKfiiiSC_SC_iiiii,"axG",@progbits,_ZN4vllm25paged_attention_v1_kernelIffLi128ELi16ELi128ELNS_18Fp8KVCacheDataTypeE0ELb1EEEvPT_PKS2_PKT0_S8_ifPKiSA_iPKfiiiSC_SC_iiiii,comdat
.Lfunc_end24:
	.size	_ZN4vllm25paged_attention_v1_kernelIffLi128ELi16ELi128ELNS_18Fp8KVCacheDataTypeE0ELb1EEEvPT_PKS2_PKT0_S8_ifPKiSA_iPKfiiiSC_SC_iiiii, .Lfunc_end24-_ZN4vllm25paged_attention_v1_kernelIffLi128ELi16ELi128ELNS_18Fp8KVCacheDataTypeE0ELb1EEEvPT_PKS2_PKT0_S8_ifPKiSA_iPKfiiiSC_SC_iiiii
                                        ; -- End function
	.section	.AMDGPU.csdata,"",@progbits
; Kernel info:
; codeLenInByte = 6012
; NumSgprs: 51
; NumVgprs: 91
; NumAgprs: 0
; TotalNumVgprs: 91
; ScratchSize: 0
; MemoryBound: 0
; FloatMode: 240
; IeeeMode: 1
; LDSByteSize: 528 bytes/workgroup (compile time only)
; SGPRBlocks: 6
; VGPRBlocks: 11
; NumSGPRsForWavesPerEU: 51
; NumVGPRsForWavesPerEU: 91
; AccumOffset: 92
; Occupancy: 5
; WaveLimiterHint : 1
; COMPUTE_PGM_RSRC2:SCRATCH_EN: 0
; COMPUTE_PGM_RSRC2:USER_SGPR: 2
; COMPUTE_PGM_RSRC2:TRAP_HANDLER: 0
; COMPUTE_PGM_RSRC2:TGID_X_EN: 1
; COMPUTE_PGM_RSRC2:TGID_Y_EN: 1
; COMPUTE_PGM_RSRC2:TGID_Z_EN: 1
; COMPUTE_PGM_RSRC2:TIDIG_COMP_CNT: 0
; COMPUTE_PGM_RSRC3_GFX90A:ACCUM_OFFSET: 22
; COMPUTE_PGM_RSRC3_GFX90A:TG_SPLIT: 0
	.section	.text._ZN4vllm25paged_attention_v1_kernelIffLi192ELi16ELi128ELNS_18Fp8KVCacheDataTypeE0ELb1EEEvPT_PKS2_PKT0_S8_ifPKiSA_iPKfiiiSC_SC_iiiii,"axG",@progbits,_ZN4vllm25paged_attention_v1_kernelIffLi192ELi16ELi128ELNS_18Fp8KVCacheDataTypeE0ELb1EEEvPT_PKS2_PKT0_S8_ifPKiSA_iPKfiiiSC_SC_iiiii,comdat
	.protected	_ZN4vllm25paged_attention_v1_kernelIffLi192ELi16ELi128ELNS_18Fp8KVCacheDataTypeE0ELb1EEEvPT_PKS2_PKT0_S8_ifPKiSA_iPKfiiiSC_SC_iiiii ; -- Begin function _ZN4vllm25paged_attention_v1_kernelIffLi192ELi16ELi128ELNS_18Fp8KVCacheDataTypeE0ELb1EEEvPT_PKS2_PKT0_S8_ifPKiSA_iPKfiiiSC_SC_iiiii
	.globl	_ZN4vllm25paged_attention_v1_kernelIffLi192ELi16ELi128ELNS_18Fp8KVCacheDataTypeE0ELb1EEEvPT_PKS2_PKT0_S8_ifPKiSA_iPKfiiiSC_SC_iiiii
	.p2align	8
	.type	_ZN4vllm25paged_attention_v1_kernelIffLi192ELi16ELi128ELNS_18Fp8KVCacheDataTypeE0ELb1EEEvPT_PKS2_PKT0_S8_ifPKiSA_iPKfiiiSC_SC_iiiii,@function
_ZN4vllm25paged_attention_v1_kernelIffLi192ELi16ELi128ELNS_18Fp8KVCacheDataTypeE0ELb1EEEvPT_PKS2_PKT0_S8_ifPKiSA_iPKfiiiSC_SC_iiiii: ; @_ZN4vllm25paged_attention_v1_kernelIffLi192ELi16ELi128ELNS_18Fp8KVCacheDataTypeE0ELb1EEEvPT_PKS2_PKT0_S8_ifPKiSA_iPKfiiiSC_SC_iiiii
; %bb.0:
	s_load_dword s5, s[0:1], 0x80
	s_load_dwordx2 s[6:7], s[0:1], 0x30
	s_load_dwordx2 s[30:31], s[0:1], 0x20
	s_mov_b32 s20, s3
	s_ashr_i32 s21, s3, 31
	s_lshl_b64 s[8:9], s[20:21], 2
	s_waitcnt lgkmcnt(0)
	s_add_u32 s6, s6, s8
	s_addc_u32 s7, s7, s9
	s_abs_i32 s3, s30
	v_cvt_f32_u32_e32 v1, s3
	s_sub_i32 s10, 0, s3
	s_abs_i32 s9, s5
	s_xor_b32 s8, s5, s30
	v_rcp_iflag_f32_e32 v1, v1
	s_ashr_i32 s8, s8, 31
	s_mov_b32 s42, 0
	v_mul_f32_e32 v1, 0x4f7ffffe, v1
	v_cvt_u32_f32_e32 v1, v1
	s_nop 0
	v_readfirstlane_b32 s11, v1
	s_mul_i32 s10, s10, s11
	s_mul_hi_u32 s10, s11, s10
	s_add_i32 s11, s11, s10
	s_mul_hi_u32 s10, s9, s11
	s_mul_i32 s11, s10, s3
	s_sub_i32 s9, s9, s11
	s_add_i32 s11, s10, 1
	s_sub_i32 s12, s9, s3
	s_cmp_ge_u32 s9, s3
	s_cselect_b32 s10, s11, s10
	s_cselect_b32 s9, s12, s9
	s_add_i32 s11, s10, 1
	s_cmp_ge_u32 s9, s3
	s_cselect_b32 s3, s11, s10
	s_xor_b32 s3, s3, s8
	s_sub_i32 s34, s3, s8
	s_abs_i32 s28, s34
	v_cvt_f32_u32_e32 v1, s28
	s_load_dwordx2 s[8:9], s[0:1], 0x40
	s_sub_i32 s3, 0, s28
	s_abs_i32 s29, s2
	v_rcp_iflag_f32_e32 v1, v1
	s_nop 0
	v_mul_f32_e32 v1, 0x4f7ffffe, v1
	v_cvt_u32_f32_e32 v1, v1
	s_nop 0
	v_readfirstlane_b32 s12, v1
	s_mul_i32 s3, s3, s12
	s_mul_hi_u32 s3, s12, s3
	s_add_i32 s12, s12, s3
	s_waitcnt lgkmcnt(0)
	s_cmp_eq_u64 s[8:9], 0
	s_cbranch_scc1 .LBB25_2
; %bb.1:
	s_ashr_i32 s3, s2, 31
	s_lshl_b64 s[10:11], s[2:3], 2
	s_add_u32 s8, s8, s10
	s_addc_u32 s9, s9, s11
	s_load_dword s42, s[8:9], 0x0
.LBB25_2:
	s_load_dwordx2 s[22:23], s[0:1], 0x0
	s_nop 0
	s_load_dwordx4 s[8:11], s[0:1], 0x10
	s_mul_hi_u32 s3, s29, s12
	s_load_dword s21, s[0:1], 0x88
	s_load_dword s33, s[6:7], 0x0
	s_load_dwordx2 s[26:27], s[0:1], 0x28
	s_load_dwordx4 s[12:15], s[0:1], 0x48
	v_lshrrev_b32_e32 v86, 2, v0
	s_waitcnt lgkmcnt(0)
	s_movk_i32 s15, 0xc0
	s_mul_i32 s24, s2, 0xc0
	v_and_b32_e32 v87, 3, v0
	s_ashr_i32 s25, s24, 31
	v_cmp_gt_u32_e32 vcc, s15, v0
	v_lshlrev_b32_e32 v1, 2, v86
	s_and_saveexec_b64 s[6:7], vcc
	s_cbranch_execz .LBB25_5
; %bb.3:
	s_load_dwordx2 s[16:17], s[0:1], 0x8
	s_mul_i32 s18, s20, s12
	s_ashr_i32 s19, s18, 31
	s_lshl_b64 s[18:19], s[18:19], 2
	s_lshl_b64 s[36:37], s[24:25], 2
	s_add_u32 s12, s18, s36
	v_mad_u32_u24 v5, v87, s15, v1
	s_addc_u32 s15, s19, s37
	v_or_b32_e32 v2, v1, v87
	s_waitcnt lgkmcnt(0)
	s_add_u32 s16, s16, s12
	v_lshlrev_b32_e32 v2, 2, v2
	v_mov_b32_e32 v3, 0
	s_addc_u32 s17, s17, s15
	v_subrev_u32_e32 v4, 32, v86
	v_lshl_add_u64 v[2:3], s[16:17], 0, v[2:3]
	s_mov_b64 s[16:17], 0
	s_mov_b64 s[18:19], 0x200
.LBB25_4:                               ; =>This Inner Loop Header: Depth=1
	global_load_dword v6, v[2:3], off
	v_add_u32_e32 v4, 32, v4
	v_cmp_lt_u32_e32 vcc, 15, v4
	v_lshl_add_u64 v[2:3], v[2:3], 0, s[18:19]
	s_or_b64 s[16:17], vcc, s[16:17]
	s_waitcnt vmcnt(0)
	ds_write_b32 v5, v6
	v_add_u32_e32 v5, 0x80, v5
	s_andn2_b64 exec, exec, s[16:17]
	s_cbranch_execnz .LBB25_4
.LBB25_5:
	s_or_b64 exec, exec, s[6:7]
	s_ashr_i32 s6, s2, 31
	s_ashr_i32 s7, s34, 31
	s_xor_b32 s6, s6, s7
	s_mul_i32 s7, s3, s28
	s_sub_i32 s7, s29, s7
	s_add_i32 s15, s3, 1
	s_sub_i32 s25, s7, s28
	s_load_dwordx4 s[16:19], s[0:1], 0x68
	s_load_dword s12, s[0:1], 0x78
	s_cmp_ge_u32 s7, s28
	s_cselect_b32 s3, s15, s3
	s_cselect_b32 s7, s25, s7
	s_add_i32 s15, s3, 1
	s_cmp_ge_u32 s7, s28
	s_cselect_b32 s3, s15, s3
	s_waitcnt lgkmcnt(0)
	s_abs_i32 s25, s19
	v_cvt_f32_u32_e32 v2, s25
	s_xor_b32 s3, s3, s6
	s_sub_i32 s3, s3, s6
	s_sub_i32 s6, 0, s25
	v_rcp_iflag_f32_e32 v2, v2
	s_add_i32 s28, s33, -1
	s_abs_i32 s15, s28
	v_mul_f32_e32 v2, 0x4f7ffffe, v2
	v_cvt_u32_f32_e32 v2, v2
	s_barrier
	v_readfirstlane_b32 s40, v2
	s_mul_i32 s6, s6, s40
	s_mul_hi_u32 s6, s40, s6
	s_add_i32 s40, s40, s6
	s_cmp_lt_i32 s12, 0
	s_mul_hi_u32 s34, s15, s40
	s_cbranch_scc0 .LBB25_7
; %bb.6:
	s_mul_i32 s6, s16, s30
	s_add_i32 s6, s3, s6
	s_mul_i32 s6, s6, s12
	s_sub_i32 s41, 1, s6
	s_ashr_i32 s28, s28, 31
	s_ashr_i32 s19, s19, 31
	s_cbranch_execz .LBB25_8
	s_branch .LBB25_9
.LBB25_7:
                                        ; implicit-def: $sgpr41
	s_ashr_i32 s28, s28, 31
	s_ashr_i32 s19, s19, 31
.LBB25_8:
	s_mul_i32 s6, s5, s16
	s_add_i32 s2, s6, s2
	s_mul_i32 s2, s2, s12
	s_add_i32 s41, s2, 1
.LBB25_9:
	s_load_dword s0, s[0:1], 0x38
	s_mul_i32 s2, s34, s25
	s_xor_b32 s1, s28, s19
	s_sub_i32 s2, s15, s2
	s_add_i32 s6, s34, 1
	s_waitcnt lgkmcnt(0)
	s_mul_i32 s28, s20, s0
	s_ashr_i32 s29, s28, 31
	s_sub_i32 s0, s2, s25
	s_cmp_ge_u32 s2, s25
	s_cselect_b32 s6, s6, s34
	s_cselect_b32 s0, s0, s2
	s_add_i32 s2, s6, 1
	s_cmp_ge_u32 s0, s25
	s_cselect_b32 s0, s2, s6
	s_xor_b32 s0, s0, s1
	s_sub_i32 s12, s0, s1
	s_add_i32 s0, s33, 15
	s_ashr_i32 s1, s0, 31
	s_lshr_b32 s1, s1, 28
	s_add_i32 s0, s0, s1
	s_ashr_i32 s16, s0, 4
	v_lshrrev_b32_e32 v88, 6, v0
	v_cmp_gt_i32_e64 s[0:1], s16, v88
	v_mov_b32_e32 v10, 0xff7fffff
	s_mul_i32 s14, s3, s14
	v_lshrrev_b32_e32 v6, 4, v0
	v_lshlrev_b32_e32 v89, 4, v88
	v_mbcnt_lo_u32_b32 v7, -1, 0
	s_and_saveexec_b64 s[34:35], s[0:1]
	s_cbranch_execz .LBB25_19
; %bb.10:
	s_ashr_i32 s15, s14, 31
	s_sub_i32 s30, s12, s17
	s_lshl_b64 s[2:3], s[14:15], 2
	s_add_u32 s2, s8, s2
	s_addc_u32 s3, s9, s3
	s_abs_i32 s15, s18
	v_cvt_f32_u32_e32 v2, s15
	v_bfe_u32 v8, v0, 2, 4
	v_lshlrev_b32_e32 v4, 4, v8
	v_mov_b32_e32 v5, 0
	v_rcp_iflag_f32_e32 v9, v2
	v_lshl_add_u64 v[2:3], s[2:3], 0, v[4:5]
	v_lshlrev_b32_e32 v4, 2, v87
	v_lshl_add_u64 v[2:3], v[2:3], 0, v[4:5]
	v_mul_f32_e32 v4, 0x4f7ffffe, v9
	v_cvt_u32_f32_e32 v4, v4
	v_lshlrev_b32_e32 v10, 2, v8
	s_sub_i32 s6, 0, s15
	v_lshl_or_b32 v10, v88, 6, v10
	v_mul_lo_u32 v11, s6, v4
	s_lshl_b64 s[6:7], s[28:29], 2
	v_mul_hi_u32 v11, v4, v11
	s_add_u32 s6, s26, s6
	v_add_u32_e32 v13, 0x310, v10
	v_subrev_u32_e32 v10, s33, v8
	v_mbcnt_hi_u32_b32 v16, -1, v7
	v_add_u32_e32 v11, v4, v11
	v_and_b32_e32 v4, 60, v6
	s_addc_u32 s7, s27, s7
	v_add_u32_e32 v14, 1, v10
	v_and_b32_e32 v10, 64, v16
	v_cmp_eq_u32_e32 vcc, 0, v87
	s_mov_b32 s43, s13
	v_mul_u32_u24_e32 v9, 0xc0, v87
	v_cmp_neq_f32_e64 s[2:3], s42, 0
	v_lshl_add_u64 v[4:5], s[6:7], 0, v[4:5]
	v_lshlrev_b32_e32 v12, 4, v88
	s_mov_b64 s[36:37], 0
	v_mov_b32_e32 v15, 0xff7fffff
	s_movk_i32 s44, 0x1000
	s_movk_i32 s45, 0x2000
	v_add_u32_e32 v17, 64, v10
	v_xor_b32_e32 v18, 2, v16
	v_xor_b32_e32 v19, 1, v16
	v_mov_b32_e32 v10, 0xff7fffff
	v_mov_b32_e32 v20, v88
	s_branch .LBB25_13
.LBB25_11:                              ;   in Loop: Header=BB25_13 Depth=1
	s_or_b64 exec, exec, s[38:39]
.LBB25_12:                              ;   in Loop: Header=BB25_13 Depth=1
	s_or_b64 exec, exec, s[8:9]
	v_add_u32_e32 v20, 2, v20
	v_cmp_le_i32_e64 s[6:7], s16, v20
	v_lshl_add_u64 v[4:5], v[4:5], 0, 8
	v_add_u32_e32 v12, 32, v12
	s_or_b64 s[36:37], s[6:7], s[36:37]
	v_add_u32_e32 v13, 0x80, v13
	s_andn2_b64 exec, exec, s[36:37]
	s_cbranch_execz .LBB25_18
.LBB25_13:                              ; =>This Inner Loop Header: Depth=1
	v_mul_hi_u32 v21, v12, s40
	s_waitcnt lgkmcnt(0)
	v_mul_lo_u32 v22, v21, s25
	v_sub_u32_e32 v22, v12, v22
	v_add_u32_e32 v23, 1, v21
	v_cmp_le_u32_e64 s[6:7], s25, v22
	s_nop 1
	v_cndmask_b32_e64 v21, v21, v23, s[6:7]
	v_subrev_u32_e32 v23, s25, v22
	v_cndmask_b32_e64 v22, v22, v23, s[6:7]
	v_add_u32_e32 v23, 1, v21
	v_cmp_le_u32_e64 s[6:7], s25, v22
	s_nop 1
	v_cndmask_b32_e64 v21, v21, v23, s[6:7]
	v_xor_b32_e32 v21, s19, v21
	v_subrev_u32_e32 v21, s19, v21
	v_add_u32_e32 v22, s41, v21
	v_sub_u32_e32 v24, 0, v22
	v_ashrrev_i32_e32 v23, 31, v22
	v_max_i32_e32 v22, v22, v24
	v_mul_hi_u32 v24, v22, v11
	v_mul_lo_u32 v24, v24, s15
	v_sub_u32_e32 v22, v22, v24
	v_subrev_u32_e32 v24, s15, v22
	v_cmp_le_u32_e64 s[6:7], s15, v22
	v_cmp_ge_i32_e64 s[8:9], s30, v21
	s_nop 0
	v_cndmask_b32_e64 v22, v22, v24, s[6:7]
	v_subrev_u32_e32 v24, s15, v22
	v_cmp_le_u32_e64 s[6:7], s15, v22
	s_nop 1
	v_cndmask_b32_e64 v22, v22, v24, s[6:7]
	v_xor_b32_e32 v22, v22, v23
	v_sub_u32_e32 v22, v22, v23
	v_cmp_ne_u32_e64 s[6:7], 0, v22
	s_and_b64 s[6:7], s[6:7], s[8:9]
	s_and_b64 s[38:39], vcc, s[6:7]
	s_and_saveexec_b64 s[8:9], s[38:39]
	s_cbranch_execz .LBB25_15
; %bb.14:                               ;   in Loop: Header=BB25_13 Depth=1
	ds_write_b32 v13, v15
.LBB25_15:                              ;   in Loop: Header=BB25_13 Depth=1
	s_or_b64 exec, exec, s[8:9]
	s_xor_b64 s[6:7], s[6:7], -1
	s_and_saveexec_b64 s[8:9], s[6:7]
	s_cbranch_execz .LBB25_12
; %bb.16:                               ;   in Loop: Header=BB25_13 Depth=1
	global_load_dword v21, v[4:5], off
	s_waitcnt vmcnt(0)
	v_mad_i64_i32 v[22:23], s[6:7], v21, s43, 0
	v_lshl_add_u64 v[22:23], v[22:23], 2, v[2:3]
	global_load_dword v21, v[22:23], off offset:512
	global_load_dword v54, v[22:23], off offset:768
	;; [unrolled: 1-line block ×7, first 2 shown]
	global_load_dword v56, v[22:23], off
	global_load_dword v62, v[22:23], off offset:2048
	global_load_dword v63, v[22:23], off offset:2304
	;; [unrolled: 1-line block ×8, first 2 shown]
	v_add_co_u32_e64 v24, s[6:7], s44, v22
	s_nop 1
	v_addc_co_u32_e64 v25, s[6:7], 0, v23, s[6:7]
	v_add_co_u32_e64 v22, s[6:7], s45, v22
	s_nop 1
	v_addc_co_u32_e64 v23, s[6:7], 0, v23, s[6:7]
	global_load_dword v70, v[22:23], off offset:-4096
	global_load_dword v71, v[24:25], off offset:256
	global_load_dword v72, v[24:25], off offset:512
	;; [unrolled: 1-line block ×15, first 2 shown]
	global_load_dword v90, v[22:23], off
	global_load_dword v91, v[22:23], off offset:256
	global_load_dword v92, v[22:23], off offset:512
                                        ; kill: killed $vgpr24 killed $vgpr25
	global_load_dword v93, v[22:23], off offset:768
	global_load_dword v94, v[22:23], off offset:1024
	;; [unrolled: 1-line block ×13, first 2 shown]
	ds_read_b128 v[22:25], v9
	ds_read_b128 v[26:29], v9 offset:16
	ds_read_b128 v[30:33], v9 offset:32
	;; [unrolled: 1-line block ×7, first 2 shown]
	v_cmp_lt_i32_e64 s[6:7], v18, v17
	s_waitcnt vmcnt(41) lgkmcnt(7)
	v_mul_f32_e32 v106, v23, v55
	s_waitcnt vmcnt(40)
	v_fmac_f32_e32 v106, v22, v56
	v_fmac_f32_e32 v106, v24, v21
	;; [unrolled: 1-line block ×3, first 2 shown]
	s_waitcnt lgkmcnt(6)
	v_fmac_f32_e32 v106, v26, v58
	v_fmac_f32_e32 v106, v27, v59
	;; [unrolled: 1-line block ×4, first 2 shown]
	s_waitcnt vmcnt(39) lgkmcnt(5)
	v_fmac_f32_e32 v106, v30, v62
	s_waitcnt vmcnt(38)
	v_fmac_f32_e32 v106, v31, v63
	s_waitcnt vmcnt(37)
	v_fmac_f32_e32 v106, v32, v64
	s_waitcnt vmcnt(36)
	v_fmac_f32_e32 v106, v33, v65
	s_waitcnt vmcnt(35) lgkmcnt(4)
	v_fmac_f32_e32 v106, v34, v66
	s_waitcnt vmcnt(34)
	v_fmac_f32_e32 v106, v35, v67
	s_waitcnt vmcnt(33)
	v_fmac_f32_e32 v106, v36, v68
	s_waitcnt vmcnt(32)
	v_fmac_f32_e32 v106, v37, v69
	;; [unrolled: 8-line block ×5, first 2 shown]
	ds_read_b128 v[22:25], v9 offset:128
	ds_read_b128 v[54:57], v9 offset:144
	s_waitcnt vmcnt(19) lgkmcnt(2)
	v_fmac_f32_e32 v106, v50, v82
	s_waitcnt vmcnt(18)
	v_fmac_f32_e32 v106, v51, v83
	s_waitcnt vmcnt(17)
	;; [unrolled: 2-line block ×3, first 2 shown]
	v_fmac_f32_e32 v106, v53, v85
	s_waitcnt vmcnt(15) lgkmcnt(1)
	v_fmac_f32_e32 v106, v22, v90
	s_waitcnt vmcnt(14)
	v_fmac_f32_e32 v106, v23, v91
	s_waitcnt vmcnt(13)
	;; [unrolled: 2-line block ×3, first 2 shown]
	v_fmac_f32_e32 v106, v25, v93
	ds_read_b128 v[26:29], v9 offset:160
	ds_read_b128 v[58:61], v9 offset:176
	s_waitcnt vmcnt(11) lgkmcnt(2)
	v_fmac_f32_e32 v106, v54, v94
	s_waitcnt vmcnt(10)
	v_fmac_f32_e32 v106, v55, v95
	s_waitcnt vmcnt(9)
	;; [unrolled: 2-line block ×3, first 2 shown]
	v_fmac_f32_e32 v106, v57, v97
	s_waitcnt vmcnt(7) lgkmcnt(1)
	v_fmac_f32_e32 v106, v26, v98
	s_waitcnt vmcnt(6)
	v_fmac_f32_e32 v106, v27, v99
	s_waitcnt vmcnt(5)
	;; [unrolled: 2-line block ×3, first 2 shown]
	v_fmac_f32_e32 v106, v29, v101
	s_waitcnt vmcnt(3) lgkmcnt(0)
	v_fmac_f32_e32 v106, v58, v102
	s_waitcnt vmcnt(2)
	v_fmac_f32_e32 v106, v59, v103
	v_cndmask_b32_e64 v21, v16, v18, s[6:7]
	s_waitcnt vmcnt(1)
	v_fmac_f32_e32 v106, v60, v104
	v_lshlrev_b32_e32 v21, 2, v21
	s_waitcnt vmcnt(0)
	v_fmac_f32_e32 v106, v61, v105
	ds_bpermute_b32 v21, v21, v106
	v_cmp_lt_i32_e64 s[6:7], v19, v17
	s_waitcnt lgkmcnt(0)
	v_add_f32_e32 v21, v106, v21
	v_cndmask_b32_e64 v22, v16, v19, s[6:7]
	v_lshlrev_b32_e32 v22, 2, v22
	ds_bpermute_b32 v22, v22, v21
	s_and_saveexec_b64 s[38:39], vcc
	s_cbranch_execz .LBB25_11
; %bb.17:                               ;   in Loop: Header=BB25_13 Depth=1
	v_add_u32_e32 v23, v14, v12
	v_cvt_f32_i32_e32 v23, v23
	s_waitcnt lgkmcnt(0)
	v_add_f32_e32 v21, v21, v22
	v_add_u32_e32 v24, v8, v12
	v_cmp_gt_i32_e64 s[6:7], s33, v24
	v_mul_f32_e32 v22, s42, v23
	v_cndmask_b32_e64 v22, 0, v22, s[2:3]
	v_fmac_f32_e32 v22, s31, v21
	v_cndmask_b32_e64 v21, 0, v22, s[6:7]
	ds_write_b32 v13, v21
	v_max_f32_e32 v21, v10, v10
	v_max_f32_e32 v21, v21, v22
	v_cndmask_b32_e64 v10, v10, v21, s[6:7]
	s_branch .LBB25_11
.LBB25_18:
	s_or_b64 exec, exec, s[36:37]
.LBB25_19:
	s_or_b64 exec, exec, s[34:35]
	v_mbcnt_hi_u32_b32 v2, -1, v7
	v_and_b32_e32 v3, 64, v2
	v_add_u32_e32 v3, 64, v3
	v_xor_b32_e32 v4, 32, v2
	v_cmp_lt_i32_e32 vcc, v4, v3
	v_xor_b32_e32 v8, 16, v2
	v_max_f32_e32 v7, v10, v10
	v_cndmask_b32_e32 v4, v2, v4, vcc
	v_lshlrev_b32_e32 v4, 2, v4
	ds_bpermute_b32 v5, v4, v10
	v_cmp_lt_i32_e32 vcc, v8, v3
	v_xor_b32_e32 v9, 8, v2
	v_xor_b32_e32 v10, 4, v2
	v_and_b32_e32 v90, 63, v0
	s_waitcnt lgkmcnt(0)
	v_max_f32_e32 v5, v5, v5
	v_max_f32_e32 v7, v7, v5
	v_cndmask_b32_e32 v5, v2, v8, vcc
	v_lshlrev_b32_e32 v5, 2, v5
	ds_bpermute_b32 v8, v5, v7
	v_cmp_lt_i32_e32 vcc, v9, v3
	s_waitcnt lgkmcnt(0)
	v_max_f32_e32 v8, v8, v8
	v_max_f32_e32 v7, v7, v8
	v_cndmask_b32_e32 v8, v2, v9, vcc
	v_lshlrev_b32_e32 v9, 2, v8
	ds_bpermute_b32 v8, v9, v7
	v_cmp_lt_i32_e32 vcc, v10, v3
	s_waitcnt lgkmcnt(0)
	v_max_f32_e32 v8, v8, v8
	v_max_f32_e32 v8, v7, v8
	v_cndmask_b32_e32 v7, v2, v10, vcc
	v_lshlrev_b32_e32 v10, 2, v7
	ds_bpermute_b32 v11, v10, v8
	v_cmp_eq_u32_e32 vcc, 0, v90
	v_lshlrev_b32_e32 v7, 2, v88
	s_and_saveexec_b64 s[2:3], vcc
	s_cbranch_execz .LBB25_21
; %bb.20:
	s_waitcnt lgkmcnt(0)
	v_max_f32_e32 v11, v11, v11
	v_max_f32_e32 v8, v8, v8
	;; [unrolled: 1-line block ×3, first 2 shown]
	ds_write_b32 v7, v8 offset:768
.LBB25_21:
	s_or_b64 exec, exec, s[2:3]
	v_cmp_gt_u32_e64 s[2:3], 2, v90
	s_waitcnt lgkmcnt(0)
	v_mov_b32_e32 v11, 0xff7fffff
	v_lshlrev_b32_e32 v8, 2, v90
	s_barrier
	s_and_saveexec_b64 s[6:7], s[2:3]
	s_cbranch_execz .LBB25_23
; %bb.22:
	ds_read_b32 v11, v8 offset:768
.LBB25_23:
	s_or_b64 exec, exec, s[6:7]
	v_xor_b32_e32 v12, 1, v2
	v_cmp_lt_i32_e64 s[6:7], v12, v3
	v_lshlrev_b32_e32 v13, 2, v2
	s_nop 0
	v_cndmask_b32_e64 v12, v2, v12, s[6:7]
	v_lshlrev_b32_e32 v91, 2, v12
	s_waitcnt lgkmcnt(0)
	ds_bpermute_b32 v12, v91, v11
	v_max_f32_e32 v11, v11, v11
	s_lshl_b32 s6, s16, 4
	s_min_i32 s15, s6, s33
	v_cmp_gt_i32_e64 s[6:7], s15, v0
	s_waitcnt lgkmcnt(0)
	v_max_f32_e32 v12, v12, v12
	v_max_f32_e32 v12, v11, v12
	v_and_b32_e32 v11, 0x100, v13
	ds_bpermute_b32 v13, v11, v12
	v_mov_b32_e32 v12, 0
	s_and_saveexec_b64 s[30:31], s[6:7]
	s_cbranch_execz .LBB25_27
; %bb.24:
	v_mov_b32_e32 v12, 0x310
	v_lshl_add_u32 v14, v0, 2, v12
	s_mov_b64 s[34:35], 0
	v_mov_b32_e32 v12, 0
	v_mov_b32_e32 v15, v0
.LBB25_25:                              ; =>This Inner Loop Header: Depth=1
	ds_read_b32 v16, v14
	v_add_u32_e32 v15, 0x80, v15
	v_cmp_le_i32_e64 s[8:9], s15, v15
	s_or_b64 s[34:35], s[8:9], s[34:35]
	s_waitcnt lgkmcnt(0)
	v_sub_f32_e32 v16, v16, v13
	v_mul_f32_e32 v16, 0x3fb8aa3b, v16
	v_exp_f32_e32 v16, v16
	ds_write_b32 v14, v16
	v_add_f32_e32 v12, v12, v16
	v_add_u32_e32 v14, 0x200, v14
	s_andn2_b64 exec, exec, s[34:35]
	s_cbranch_execnz .LBB25_25
; %bb.26:
	s_or_b64 exec, exec, s[34:35]
.LBB25_27:
	s_or_b64 exec, exec, s[30:31]
	ds_bpermute_b32 v4, v4, v12
	s_waitcnt lgkmcnt(0)
	v_add_f32_e32 v4, v12, v4
	ds_bpermute_b32 v5, v5, v4
	s_waitcnt lgkmcnt(0)
	v_add_f32_e32 v4, v4, v5
	ds_bpermute_b32 v5, v9, v4
	v_xor_b32_e32 v9, 2, v2
	v_cmp_lt_i32_e64 s[8:9], v9, v3
	s_waitcnt lgkmcnt(0)
	v_add_f32_e32 v4, v4, v5
	ds_bpermute_b32 v5, v10, v4
	v_cndmask_b32_e64 v2, v2, v9, s[8:9]
	v_lshlrev_b32_e32 v92, 2, v2
	s_waitcnt lgkmcnt(0)
	v_add_f32_e32 v3, v4, v5
	ds_bpermute_b32 v2, v92, v3
	s_waitcnt lgkmcnt(0)
	v_add_f32_e32 v2, v3, v2
	ds_bpermute_b32 v3, v91, v2
	s_waitcnt lgkmcnt(0)
	v_add_f32_e32 v2, v2, v3
	s_and_saveexec_b64 s[8:9], vcc
	s_cbranch_execz .LBB25_29
; %bb.28:
	ds_write_b32 v7, v2 offset:776
.LBB25_29:
	s_or_b64 exec, exec, s[8:9]
	s_waitcnt lgkmcnt(0)
	s_barrier
	s_and_saveexec_b64 s[8:9], s[2:3]
	s_cbranch_execz .LBB25_31
; %bb.30:
	ds_read_b32 v2, v8 offset:776
.LBB25_31:
	s_or_b64 exec, exec, s[8:9]
	s_waitcnt lgkmcnt(0)
	ds_bpermute_b32 v3, v91, v2
	s_waitcnt lgkmcnt(0)
	v_add_f32_e32 v2, v2, v3
	ds_bpermute_b32 v2, v11, v2
	s_and_saveexec_b64 s[2:3], s[6:7]
	s_cbranch_execz .LBB25_44
; %bb.32:
	s_waitcnt lgkmcnt(0)
	v_add_f32_e32 v2, 0x358637bd, v2
	v_div_scale_f32 v3, s[6:7], v2, v2, 1.0
	v_rcp_f32_e32 v4, v3
	v_div_scale_f32 v5, vcc, 1.0, v2, 1.0
	s_movk_i32 s6, 0x7f
	v_fma_f32 v7, -v3, v4, 1.0
	v_fmac_f32_e32 v4, v7, v4
	v_mul_f32_e32 v7, v5, v4
	v_fma_f32 v8, -v3, v7, v5
	v_fmac_f32_e32 v7, v8, v4
	v_fma_f32 v3, -v3, v7, v5
	v_div_fmas_f32 v3, v3, v4, v7
	v_xad_u32 v4, v0, -1, s15
	v_div_fixup_f32 v2, v3, v2, 1.0
	v_cmp_lt_u32_e32 vcc, s6, v4
	s_mov_b64 s[8:9], -1
	v_mov_b32_e32 v3, v0
	s_and_saveexec_b64 s[6:7], vcc
	s_cbranch_execz .LBB25_41
; %bb.33:
	v_lshrrev_b32_e32 v4, 7, v4
	v_add_u32_e32 v7, -1, v4
	v_lshrrev_b32_e32 v5, 1, v7
	v_mov_b32_e32 v3, v2
	v_add_u32_e32 v5, 1, v5
	v_cmp_lt_u32_e32 vcc, 13, v7
	v_mov_b32_e32 v9, 0
	s_and_saveexec_b64 s[8:9], vcc
	s_cbranch_execz .LBB25_37
; %bb.34:
	v_mov_b32_e32 v8, 0x310
	v_and_b32_e32 v7, -8, v5
	v_lshl_add_u32 v8, v0, 2, v8
	s_mov_b32 s34, 0
	s_mov_b64 s[30:31], 0
.LBB25_35:                              ; =>This Inner Loop Header: Depth=1
	ds_read2st64_b32 v[10:11], v8 offset1:2
	ds_read2st64_b32 v[12:13], v8 offset0:4 offset1:6
	ds_read2st64_b32 v[14:15], v8 offset0:8 offset1:10
	ds_read2st64_b32 v[16:17], v8 offset0:12 offset1:14
	v_add_u32_e32 v7, -8, v7
	s_waitcnt lgkmcnt(3)
	v_pk_mul_f32 v[10:11], v[2:3], v[10:11]
	s_waitcnt lgkmcnt(2)
	v_pk_mul_f32 v[12:13], v[2:3], v[12:13]
	ds_write2st64_b32 v8, v10, v11 offset1:2
	ds_write2st64_b32 v8, v12, v13 offset0:4 offset1:6
	ds_read2st64_b32 v[12:13], v8 offset0:16 offset1:18
	s_waitcnt lgkmcnt(4)
	v_pk_mul_f32 v[10:11], v[2:3], v[14:15]
	ds_write2st64_b32 v8, v10, v11 offset0:8 offset1:10
	s_waitcnt lgkmcnt(4)
	v_pk_mul_f32 v[10:11], v[2:3], v[16:17]
	ds_write2st64_b32 v8, v10, v11 offset0:12 offset1:14
	ds_read2st64_b32 v[10:11], v8 offset0:20 offset1:22
	s_waitcnt lgkmcnt(3)
	v_pk_mul_f32 v[12:13], v[2:3], v[12:13]
	ds_read2st64_b32 v[14:15], v8 offset0:24 offset1:26
	ds_write2st64_b32 v8, v12, v13 offset0:16 offset1:18
	ds_read2st64_b32 v[12:13], v8 offset0:28 offset1:30
	s_waitcnt lgkmcnt(3)
	v_pk_mul_f32 v[10:11], v[2:3], v[10:11]
	ds_write2st64_b32 v8, v10, v11 offset0:20 offset1:22
	s_waitcnt lgkmcnt(3)
	v_pk_mul_f32 v[10:11], v[2:3], v[14:15]
	ds_write2st64_b32 v8, v10, v11 offset0:24 offset1:26
	s_waitcnt lgkmcnt(2)
	v_pk_mul_f32 v[10:11], v[2:3], v[12:13]
	s_add_i32 s34, s34, 16
	v_cmp_eq_u32_e32 vcc, 0, v7
	ds_write2st64_b32 v8, v10, v11 offset0:28 offset1:30
	v_add_u32_e32 v8, 0x2000, v8
	s_or_b64 s[30:31], vcc, s[30:31]
	v_mov_b32_e32 v9, s34
	s_andn2_b64 exec, exec, s[30:31]
	s_cbranch_execnz .LBB25_35
; %bb.36:
	s_or_b64 exec, exec, s[30:31]
.LBB25_37:
	s_or_b64 exec, exec, s[8:9]
	v_and_b32_e32 v5, 7, v5
	v_cmp_ne_u32_e32 vcc, 0, v5
	s_and_saveexec_b64 s[8:9], vcc
	s_cbranch_execz .LBB25_40
; %bb.38:
	v_lshlrev_b32_e32 v7, 9, v9
	v_lshlrev_b32_e32 v8, 2, v0
	s_movk_i32 s30, 0x310
	v_add3_u32 v7, v7, v8, s30
	s_mov_b64 s[30:31], 0
.LBB25_39:                              ; =>This Inner Loop Header: Depth=1
	ds_read2st64_b32 v[8:9], v7 offset1:2
	v_add_u32_e32 v5, -1, v5
	v_cmp_eq_u32_e32 vcc, 0, v5
	s_or_b64 s[30:31], vcc, s[30:31]
	s_waitcnt lgkmcnt(0)
	v_pk_mul_f32 v[8:9], v[2:3], v[8:9]
	ds_write2st64_b32 v7, v8, v9 offset1:2
	v_add_u32_e32 v7, 0x400, v7
	s_andn2_b64 exec, exec, s[30:31]
	s_cbranch_execnz .LBB25_39
.LBB25_40:
	s_or_b64 exec, exec, s[8:9]
	v_add_u32_e32 v4, 1, v4
	v_and_b32_e32 v5, 0x3fffffe, v4
	v_cmp_ne_u32_e32 vcc, v4, v5
	v_lshl_add_u32 v3, v5, 7, v0
	s_orn2_b64 s[8:9], vcc, exec
.LBB25_41:
	s_or_b64 exec, exec, s[6:7]
	s_and_b64 exec, exec, s[8:9]
	s_cbranch_execz .LBB25_44
; %bb.42:
	v_mov_b32_e32 v4, 0x310
	v_lshl_add_u32 v4, v3, 2, v4
	s_mov_b64 s[6:7], 0
.LBB25_43:                              ; =>This Inner Loop Header: Depth=1
	ds_read_b32 v5, v4
	v_add_u32_e32 v3, 0x80, v3
	v_cmp_le_i32_e32 vcc, s15, v3
	s_or_b64 s[6:7], vcc, s[6:7]
	s_waitcnt lgkmcnt(0)
	v_mul_f32_e32 v5, v2, v5
	ds_write_b32 v4, v5
	v_add_u32_e32 v4, 0x200, v4
	s_andn2_b64 exec, exec, s[6:7]
	s_cbranch_execnz .LBB25_43
.LBB25_44:
	s_or_b64 exec, exec, s[2:3]
	v_mov_b32_e32 v55, 0
	v_mov_b32_e32 v54, 0
	;; [unrolled: 1-line block ×12, first 2 shown]
	s_waitcnt lgkmcnt(0)
	s_barrier
	s_and_saveexec_b64 s[2:3], s[0:1]
	s_cbranch_execz .LBB25_74
; %bb.45:
	s_ashr_i32 s15, s14, 31
	s_sub_i32 s17, s12, s17
	s_lshl_b64 s[0:1], s[14:15], 2
	s_add_u32 s6, s10, s0
	s_addc_u32 s7, s11, s1
	s_abs_i32 s15, s18
	v_cvt_f32_u32_e32 v3, s15
	s_sub_i32 s0, 0, s15
	v_lshlrev_b32_e32 v2, 2, v0
	s_add_i32 s14, s16, -1
	v_rcp_iflag_f32_e32 v3, v3
	v_and_b32_e32 v93, 12, v2
	v_and_b32_e32 v2, 0xfc, v2
	v_mov_b32_e32 v65, 0
	v_mul_f32_e32 v3, 0x4f7ffffe, v3
	v_cvt_u32_f32_e32 v3, v3
	v_or_b32_e32 v4, 0x400, v2
	v_or_b32_e32 v8, 0x500, v2
	;; [unrolled: 1-line block ×3, first 2 shown]
	v_mul_lo_u32 v5, s0, v3
	v_mul_hi_u32 v5, v3, v5
	s_lshl_b64 s[0:1], s[28:29], 2
	v_add_u32_e32 v94, v3, v5
	s_add_u32 s0, s26, s0
	v_lshlrev_b32_e32 v3, 4, v87
	v_or_b32_e32 v12, 0x700, v2
	v_or_b32_e32 v14, 0x800, v2
	;; [unrolled: 1-line block ×5, first 2 shown]
	v_and_b32_e32 v64, 60, v6
	s_addc_u32 s1, s27, s1
	v_lshl_or_b32 v3, v88, 6, v3
	s_mov_b32 s30, s13
	v_lshl_add_u64 v[68:69], s[0:1], 0, v[64:65]
	v_add_u32_e32 v95, 0x310, v3
	s_mov_b64 s[8:9], 0
	v_lshlrev_b32_e32 v70, 2, v2
	v_lshlrev_b32_e32 v64, 2, v4
	;; [unrolled: 1-line block ×9, first 2 shown]
	v_mov_b32_e32 v55, v65
	v_mov_b32_e32 v54, v65
	;; [unrolled: 1-line block ×12, first 2 shown]
	s_branch .LBB25_48
.LBB25_46:                              ;   in Loop: Header=BB25_48 Depth=1
	s_or_b64 exec, exec, s[0:1]
	s_waitcnt vmcnt(1) lgkmcnt(0)
	v_mul_f32_e32 v51, v3, v51
	v_mul_f32_e32 v47, v3, v47
	;; [unrolled: 1-line block ×11, first 2 shown]
	s_waitcnt vmcnt(0)
	v_mul_f32_e32 v3, v3, v43
	v_fmac_f32_e32 v51, v2, v50
	v_fmac_f32_e32 v47, v2, v46
	;; [unrolled: 1-line block ×36, first 2 shown]
	v_add_f32_e32 v54, v54, v51
	v_add_f32_e32 v57, v57, v47
	;; [unrolled: 1-line block ×12, first 2 shown]
.LBB25_47:                              ;   in Loop: Header=BB25_48 Depth=1
	s_or_b64 exec, exec, s[10:11]
	v_add_u32_e32 v88, 2, v88
	v_cmp_le_i32_e32 vcc, s16, v88
	v_lshl_add_u64 v[68:69], v[68:69], 0, 8
	v_add_u32_e32 v89, 32, v89
	s_or_b64 s[8:9], vcc, s[8:9]
	v_add_u32_e32 v95, 0x80, v95
	s_andn2_b64 exec, exec, s[8:9]
	s_cbranch_execz .LBB25_73
.LBB25_48:                              ; =>This Inner Loop Header: Depth=1
	v_mul_hi_u32 v2, v89, s40
	v_mul_lo_u32 v3, v2, s25
	v_sub_u32_e32 v3, v89, v3
	v_add_u32_e32 v4, 1, v2
	v_cmp_le_u32_e32 vcc, s25, v3
	s_nop 1
	v_cndmask_b32_e32 v2, v2, v4, vcc
	v_subrev_u32_e32 v4, s25, v3
	v_cndmask_b32_e32 v3, v3, v4, vcc
	v_add_u32_e32 v4, 1, v2
	v_cmp_le_u32_e32 vcc, s25, v3
	s_nop 1
	v_cndmask_b32_e32 v2, v2, v4, vcc
	v_xor_b32_e32 v2, s19, v2
	v_subrev_u32_e32 v2, s19, v2
	v_add_u32_e32 v3, s41, v2
	v_sub_u32_e32 v5, 0, v3
	v_ashrrev_i32_e32 v4, 31, v3
	v_max_i32_e32 v3, v3, v5
	v_mul_hi_u32 v5, v3, v94
	v_mul_lo_u32 v5, v5, s15
	v_sub_u32_e32 v3, v3, v5
	v_subrev_u32_e32 v5, s15, v3
	v_cmp_le_u32_e32 vcc, s15, v3
	v_cmp_lt_i32_e64 s[0:1], s17, v2
	s_nop 0
	v_cndmask_b32_e32 v3, v3, v5, vcc
	v_subrev_u32_e32 v5, s15, v3
	v_cmp_le_u32_e32 vcc, s15, v3
	s_nop 1
	v_cndmask_b32_e32 v3, v3, v5, vcc
	v_xor_b32_e32 v3, v3, v4
	v_sub_u32_e32 v3, v3, v4
	v_cmp_eq_u32_e32 vcc, 0, v3
	s_or_b64 s[0:1], vcc, s[0:1]
	s_and_saveexec_b64 s[10:11], s[0:1]
	s_cbranch_execz .LBB25_47
; %bb.49:                               ;   in Loop: Header=BB25_48 Depth=1
	global_load_dword v2, v[68:69], off
	v_mov_b32_e32 v71, v65
	v_cmp_eq_u32_e32 vcc, s14, v88
	s_waitcnt vmcnt(0)
	v_mad_i64_i32 v[2:3], s[0:1], v2, s30, 0
	v_lshl_add_u64 v[42:43], v[2:3], 2, s[6:7]
	v_lshl_add_u64 v[18:19], v[42:43], 0, v[70:71]
	global_load_dwordx4 v[6:9], v[18:19], off
	ds_read_b128 v[2:5], v95
	v_add_u32_e32 v71, v93, v89
	v_add_u32_e32 v98, 1, v71
	;; [unrolled: 1-line block ×4, first 2 shown]
	s_and_saveexec_b64 s[12:13], vcc
	s_cbranch_execnz .LBB25_70
; %bb.50:                               ;   in Loop: Header=BB25_48 Depth=1
	s_or_b64 exec, exec, s[12:13]
	global_load_dwordx4 v[10:13], v[18:19], off offset:1024
	s_and_saveexec_b64 s[12:13], vcc
	s_cbranch_execnz .LBB25_71
.LBB25_51:                              ;   in Loop: Header=BB25_48 Depth=1
	s_or_b64 exec, exec, s[12:13]
	global_load_dwordx4 v[14:17], v[18:19], off offset:2048
	s_and_saveexec_b64 s[12:13], vcc
	s_cbranch_execnz .LBB25_72
.LBB25_52:                              ;   in Loop: Header=BB25_48 Depth=1
	s_or_b64 exec, exec, s[12:13]
	global_load_dwordx4 v[18:21], v[18:19], off offset:3072
	s_and_saveexec_b64 s[12:13], vcc
	s_cbranch_execz .LBB25_54
.LBB25_53:                              ;   in Loop: Header=BB25_48 Depth=1
	v_cmp_gt_i32_e64 s[0:1], s33, v71
	s_waitcnt vmcnt(0)
	s_nop 0
	v_cndmask_b32_e64 v18, 0, v18, s[0:1]
	v_cmp_gt_i32_e64 s[0:1], s33, v98
	s_nop 1
	v_cndmask_b32_e64 v19, 0, v19, s[0:1]
	v_cmp_gt_i32_e64 s[0:1], s33, v97
	s_nop 1
	v_cndmask_b32_e64 v20, 0, v20, s[0:1]
	v_cmp_gt_i32_e64 s[0:1], s33, v96
	s_nop 1
	v_cndmask_b32_e64 v21, 0, v21, s[0:1]
.LBB25_54:                              ;   in Loop: Header=BB25_48 Depth=1
	s_or_b64 exec, exec, s[12:13]
	v_lshl_add_u64 v[22:23], v[42:43], 0, v[64:65]
	global_load_dwordx4 v[22:25], v[22:23], off
	s_and_saveexec_b64 s[12:13], vcc
	s_cbranch_execz .LBB25_56
; %bb.55:                               ;   in Loop: Header=BB25_48 Depth=1
	v_cmp_gt_i32_e64 s[0:1], s33, v71
	s_waitcnt vmcnt(0)
	s_nop 0
	v_cndmask_b32_e64 v22, 0, v22, s[0:1]
	v_cmp_gt_i32_e64 s[0:1], s33, v98
	s_nop 1
	v_cndmask_b32_e64 v23, 0, v23, s[0:1]
	v_cmp_gt_i32_e64 s[0:1], s33, v97
	s_nop 1
	v_cndmask_b32_e64 v24, 0, v24, s[0:1]
	v_cmp_gt_i32_e64 s[0:1], s33, v96
	s_nop 1
	v_cndmask_b32_e64 v25, 0, v25, s[0:1]
.LBB25_56:                              ;   in Loop: Header=BB25_48 Depth=1
	s_or_b64 exec, exec, s[12:13]
	v_mov_b32_e32 v73, v65
	v_lshl_add_u64 v[26:27], v[42:43], 0, v[72:73]
	global_load_dwordx4 v[26:29], v[26:27], off
	s_and_saveexec_b64 s[12:13], vcc
	s_cbranch_execz .LBB25_58
; %bb.57:                               ;   in Loop: Header=BB25_48 Depth=1
	v_cmp_gt_i32_e64 s[0:1], s33, v71
	s_waitcnt vmcnt(0)
	s_nop 0
	v_cndmask_b32_e64 v26, 0, v26, s[0:1]
	v_cmp_gt_i32_e64 s[0:1], s33, v98
	s_nop 1
	v_cndmask_b32_e64 v27, 0, v27, s[0:1]
	v_cmp_gt_i32_e64 s[0:1], s33, v97
	s_nop 1
	v_cndmask_b32_e64 v28, 0, v28, s[0:1]
	v_cmp_gt_i32_e64 s[0:1], s33, v96
	s_nop 1
	v_cndmask_b32_e64 v29, 0, v29, s[0:1]
.LBB25_58:                              ;   in Loop: Header=BB25_48 Depth=1
	s_or_b64 exec, exec, s[12:13]
	v_mov_b32_e32 v75, v65
	;; [unrolled: 21-line block ×7, first 2 shown]
	v_lshl_add_u64 v[42:43], v[42:43], 0, v[84:85]
	global_load_dwordx4 v[42:45], v[42:43], off
	s_and_saveexec_b64 s[0:1], vcc
	s_cbranch_execz .LBB25_46
; %bb.69:                               ;   in Loop: Header=BB25_48 Depth=1
	v_cmp_gt_i32_e32 vcc, s33, v71
	s_waitcnt vmcnt(0)
	s_nop 0
	v_cndmask_b32_e32 v42, 0, v42, vcc
	v_cmp_gt_i32_e32 vcc, s33, v98
	s_nop 1
	v_cndmask_b32_e32 v43, 0, v43, vcc
	v_cmp_gt_i32_e32 vcc, s33, v97
	;; [unrolled: 3-line block ×3, first 2 shown]
	s_nop 1
	v_cndmask_b32_e32 v45, 0, v45, vcc
	s_branch .LBB25_46
.LBB25_70:                              ;   in Loop: Header=BB25_48 Depth=1
	v_cmp_gt_i32_e64 s[0:1], s33, v71
	s_waitcnt vmcnt(0)
	s_nop 0
	v_cndmask_b32_e64 v6, 0, v6, s[0:1]
	v_cmp_gt_i32_e64 s[0:1], s33, v98
	s_nop 1
	v_cndmask_b32_e64 v7, 0, v7, s[0:1]
	v_cmp_gt_i32_e64 s[0:1], s33, v97
	;; [unrolled: 3-line block ×3, first 2 shown]
	s_nop 1
	v_cndmask_b32_e64 v9, 0, v9, s[0:1]
	s_or_b64 exec, exec, s[12:13]
	global_load_dwordx4 v[10:13], v[18:19], off offset:1024
	s_and_saveexec_b64 s[12:13], vcc
	s_cbranch_execz .LBB25_51
.LBB25_71:                              ;   in Loop: Header=BB25_48 Depth=1
	v_cmp_gt_i32_e64 s[0:1], s33, v71
	s_waitcnt vmcnt(0)
	s_nop 0
	v_cndmask_b32_e64 v10, 0, v10, s[0:1]
	v_cmp_gt_i32_e64 s[0:1], s33, v98
	s_nop 1
	v_cndmask_b32_e64 v11, 0, v11, s[0:1]
	v_cmp_gt_i32_e64 s[0:1], s33, v97
	;; [unrolled: 3-line block ×3, first 2 shown]
	s_nop 1
	v_cndmask_b32_e64 v13, 0, v13, s[0:1]
	s_or_b64 exec, exec, s[12:13]
	global_load_dwordx4 v[14:17], v[18:19], off offset:2048
	s_and_saveexec_b64 s[12:13], vcc
	s_cbranch_execz .LBB25_52
.LBB25_72:                              ;   in Loop: Header=BB25_48 Depth=1
	v_cmp_gt_i32_e64 s[0:1], s33, v71
	s_waitcnt vmcnt(0)
	s_nop 0
	v_cndmask_b32_e64 v14, 0, v14, s[0:1]
	v_cmp_gt_i32_e64 s[0:1], s33, v98
	s_nop 1
	v_cndmask_b32_e64 v15, 0, v15, s[0:1]
	v_cmp_gt_i32_e64 s[0:1], s33, v97
	;; [unrolled: 3-line block ×3, first 2 shown]
	s_nop 1
	v_cndmask_b32_e64 v17, 0, v17, s[0:1]
	s_or_b64 exec, exec, s[12:13]
	global_load_dwordx4 v[18:21], v[18:19], off offset:3072
	s_and_saveexec_b64 s[12:13], vcc
	s_cbranch_execnz .LBB25_53
	s_branch .LBB25_54
.LBB25_73:
	s_or_b64 exec, exec, s[8:9]
.LBB25_74:
	s_or_b64 exec, exec, s[2:3]
	ds_bpermute_b32 v2, v92, v66
	ds_bpermute_b32 v3, v92, v67
	;; [unrolled: 1-line block ×6, first 2 shown]
	s_waitcnt lgkmcnt(4)
	v_pk_add_f32 v[2:3], v[66:67], v[2:3]
	ds_bpermute_b32 v6, v91, v2
	ds_bpermute_b32 v7, v91, v3
	;; [unrolled: 1-line block ×4, first 2 shown]
	s_waitcnt lgkmcnt(4)
	v_pk_add_f32 v[4:5], v[62:63], v[4:5]
	ds_bpermute_b32 v22, v92, v54
	s_waitcnt lgkmcnt(3)
	v_pk_add_f32 v[2:3], v[2:3], v[6:7]
	v_pk_add_f32 v[6:7], v[60:61], v[8:9]
	ds_bpermute_b32 v8, v92, v58
	ds_bpermute_b32 v9, v92, v59
	;; [unrolled: 1-line block ×4, first 2 shown]
	s_waitcnt lgkmcnt(5)
	v_pk_add_f32 v[14:15], v[56:57], v[14:15]
	ds_bpermute_b32 v23, v92, v55
	ds_bpermute_b32 v10, v91, v4
	;; [unrolled: 1-line block ×5, first 2 shown]
	s_waitcnt lgkmcnt(7)
	v_pk_add_f32 v[16:17], v[58:59], v[8:9]
	ds_bpermute_b32 v18, v91, v16
	ds_bpermute_b32 v19, v91, v17
	s_waitcnt lgkmcnt(7)
	v_pk_add_f32 v[8:9], v[6:7], v[12:13]
	s_waitcnt lgkmcnt(6)
	v_pk_add_f32 v[12:13], v[54:55], v[22:23]
	;; [unrolled: 2-line block ×4, first 2 shown]
	ds_bpermute_b32 v14, v91, v12
	ds_bpermute_b32 v15, v91, v13
	s_waitcnt lgkmcnt(2)
	v_pk_add_f32 v[6:7], v[16:17], v[18:19]
	v_and_b32_e32 v16, 0x3c3, v0
	v_cmp_ne_u32_e32 vcc, 64, v16
	s_waitcnt lgkmcnt(0)
	s_barrier
	s_and_saveexec_b64 s[0:1], vcc
	s_xor_b64 s[0:1], exec, s[0:1]
; %bb.75:
                                        ; implicit-def: $vgpr90
; %bb.76:
	s_or_saveexec_b64 s[0:1], s[0:1]
	v_pk_add_f32 v[12:13], v[12:13], v[14:15]
	s_xor_b64 exec, exec, s[0:1]
	s_cbranch_execz .LBB25_78
; %bb.77:
	v_add_u32_e32 v14, 0x310, v90
	ds_write2_b32 v14, v2, v3 offset1:16
	ds_write2_b32 v14, v10, v11 offset0:32 offset1:48
	ds_write2_b32 v14, v8, v9 offset0:64 offset1:80
	;; [unrolled: 1-line block ×5, first 2 shown]
.LBB25_78:
	s_or_b64 exec, exec, s[0:1]
	v_cmp_gt_u32_e32 vcc, 64, v0
	s_waitcnt lgkmcnt(0)
	s_barrier
	s_and_saveexec_b64 s[0:1], vcc
	s_cbranch_execz .LBB25_93
; %bb.79:
	v_cmp_eq_u32_e32 vcc, 0, v87
	s_and_saveexec_b64 s[2:3], vcc
	s_cbranch_execnz .LBB25_96
; %bb.80:
	s_or_b64 exec, exec, s[2:3]
	s_and_saveexec_b64 s[2:3], vcc
	s_cbranch_execnz .LBB25_97
.LBB25_81:
	s_or_b64 exec, exec, s[2:3]
	s_and_saveexec_b64 s[2:3], vcc
	s_cbranch_execnz .LBB25_98
.LBB25_82:
	s_or_b64 exec, exec, s[2:3]
	s_and_saveexec_b64 s[2:3], vcc
	s_cbranch_execnz .LBB25_99
.LBB25_83:
	s_or_b64 exec, exec, s[2:3]
	s_and_saveexec_b64 s[2:3], vcc
	s_cbranch_execnz .LBB25_100
.LBB25_84:
	s_or_b64 exec, exec, s[2:3]
	s_and_saveexec_b64 s[2:3], vcc
	s_cbranch_execnz .LBB25_101
.LBB25_85:
	s_or_b64 exec, exec, s[2:3]
	s_and_saveexec_b64 s[2:3], vcc
	s_cbranch_execnz .LBB25_102
.LBB25_86:
	s_or_b64 exec, exec, s[2:3]
	s_and_saveexec_b64 s[2:3], vcc
	s_cbranch_execnz .LBB25_103
.LBB25_87:
	s_or_b64 exec, exec, s[2:3]
	s_and_saveexec_b64 s[2:3], vcc
	s_cbranch_execnz .LBB25_104
.LBB25_88:
	s_or_b64 exec, exec, s[2:3]
	s_and_saveexec_b64 s[2:3], vcc
	s_cbranch_execnz .LBB25_105
.LBB25_89:
	s_or_b64 exec, exec, s[2:3]
	s_and_saveexec_b64 s[2:3], vcc
	s_cbranch_execnz .LBB25_106
.LBB25_90:
	s_or_b64 exec, exec, s[2:3]
	s_and_saveexec_b64 s[2:3], vcc
	s_cbranch_execz .LBB25_92
.LBB25_91:
	v_mov_b32_e32 v0, 0x310
	v_lshl_add_u32 v0, v86, 2, v0
	ds_read_b32 v0, v0 offset:704
	s_waitcnt lgkmcnt(0)
	v_add_f32_e32 v13, v13, v0
.LBB25_92:
	s_or_b64 exec, exec, s[2:3]
.LBB25_93:
	s_or_b64 exec, exec, s[0:1]
	v_cmp_eq_u32_e32 vcc, 0, v16
	s_barrier
	s_and_saveexec_b64 s[0:1], vcc
	s_cbranch_execz .LBB25_95
; %bb.94:
	s_mul_i32 s0, s20, s21
	s_mul_i32 s0, s0, s5
	s_mulk_i32 s0, 0xc0
	s_ashr_i32 s1, s0, 31
	s_lshl_b64 s[0:1], s[0:1], 2
	s_add_u32 s2, s22, s0
	s_mul_i32 s0, s21, s24
	s_addc_u32 s3, s23, s1
	s_ashr_i32 s1, s0, 31
	s_lshl_b64 s[0:1], s[0:1], 2
	s_add_u32 s2, s2, s0
	s_mul_i32 s0, s4, 0xc0
	s_addc_u32 s3, s3, s1
	s_ashr_i32 s1, s0, 31
	s_lshl_b64 s[0:1], s[0:1], 2
	s_add_u32 s0, s2, s0
	s_addc_u32 s1, s3, s1
	global_store_dword v1, v2, s[0:1]
	global_store_dword v1, v3, s[0:1] offset:64
	global_store_dword v1, v10, s[0:1] offset:128
	;; [unrolled: 1-line block ×11, first 2 shown]
.LBB25_95:
	s_endpgm
.LBB25_96:
	v_mov_b32_e32 v0, 0x310
	v_lshl_add_u32 v0, v86, 2, v0
	ds_read_b32 v0, v0
	s_waitcnt lgkmcnt(0)
	v_add_f32_e32 v2, v2, v0
	s_or_b64 exec, exec, s[2:3]
	s_and_saveexec_b64 s[2:3], vcc
	s_cbranch_execz .LBB25_81
.LBB25_97:
	v_mov_b32_e32 v0, 0x310
	v_lshl_add_u32 v0, v86, 2, v0
	ds_read_b32 v0, v0 offset:64
	s_waitcnt lgkmcnt(0)
	v_add_f32_e32 v3, v3, v0
	s_or_b64 exec, exec, s[2:3]
	s_and_saveexec_b64 s[2:3], vcc
	s_cbranch_execz .LBB25_82
.LBB25_98:
	v_mov_b32_e32 v0, 0x310
	v_lshl_add_u32 v0, v86, 2, v0
	ds_read_b32 v0, v0 offset:128
	s_waitcnt lgkmcnt(0)
	v_add_f32_e32 v10, v10, v0
	s_or_b64 exec, exec, s[2:3]
	s_and_saveexec_b64 s[2:3], vcc
	s_cbranch_execz .LBB25_83
.LBB25_99:
	v_mov_b32_e32 v0, 0x310
	v_lshl_add_u32 v0, v86, 2, v0
	ds_read_b32 v0, v0 offset:192
	s_waitcnt lgkmcnt(0)
	v_add_f32_e32 v11, v11, v0
	s_or_b64 exec, exec, s[2:3]
	s_and_saveexec_b64 s[2:3], vcc
	s_cbranch_execz .LBB25_84
.LBB25_100:
	v_mov_b32_e32 v0, 0x310
	v_lshl_add_u32 v0, v86, 2, v0
	ds_read_b32 v0, v0 offset:256
	s_waitcnt lgkmcnt(0)
	v_add_f32_e32 v8, v8, v0
	s_or_b64 exec, exec, s[2:3]
	s_and_saveexec_b64 s[2:3], vcc
	s_cbranch_execz .LBB25_85
.LBB25_101:
	v_mov_b32_e32 v0, 0x310
	v_lshl_add_u32 v0, v86, 2, v0
	ds_read_b32 v0, v0 offset:320
	s_waitcnt lgkmcnt(0)
	v_add_f32_e32 v9, v9, v0
	s_or_b64 exec, exec, s[2:3]
	s_and_saveexec_b64 s[2:3], vcc
	s_cbranch_execz .LBB25_86
.LBB25_102:
	v_mov_b32_e32 v0, 0x310
	v_lshl_add_u32 v0, v86, 2, v0
	ds_read_b32 v0, v0 offset:384
	s_waitcnt lgkmcnt(0)
	v_add_f32_e32 v6, v6, v0
	s_or_b64 exec, exec, s[2:3]
	s_and_saveexec_b64 s[2:3], vcc
	s_cbranch_execz .LBB25_87
.LBB25_103:
	v_mov_b32_e32 v0, 0x310
	v_lshl_add_u32 v0, v86, 2, v0
	ds_read_b32 v0, v0 offset:448
	s_waitcnt lgkmcnt(0)
	v_add_f32_e32 v7, v7, v0
	s_or_b64 exec, exec, s[2:3]
	s_and_saveexec_b64 s[2:3], vcc
	s_cbranch_execz .LBB25_88
.LBB25_104:
	v_mov_b32_e32 v0, 0x310
	v_lshl_add_u32 v0, v86, 2, v0
	ds_read_b32 v0, v0 offset:512
	s_waitcnt lgkmcnt(0)
	v_add_f32_e32 v4, v4, v0
	s_or_b64 exec, exec, s[2:3]
	s_and_saveexec_b64 s[2:3], vcc
	s_cbranch_execz .LBB25_89
.LBB25_105:
	v_mov_b32_e32 v0, 0x310
	v_lshl_add_u32 v0, v86, 2, v0
	ds_read_b32 v0, v0 offset:576
	s_waitcnt lgkmcnt(0)
	v_add_f32_e32 v5, v5, v0
	s_or_b64 exec, exec, s[2:3]
	s_and_saveexec_b64 s[2:3], vcc
	s_cbranch_execz .LBB25_90
.LBB25_106:
	v_mov_b32_e32 v0, 0x310
	v_lshl_add_u32 v0, v86, 2, v0
	ds_read_b32 v0, v0 offset:640
	s_waitcnt lgkmcnt(0)
	v_add_f32_e32 v12, v12, v0
	s_or_b64 exec, exec, s[2:3]
	s_and_saveexec_b64 s[2:3], vcc
	s_cbranch_execnz .LBB25_91
	s_branch .LBB25_92
	.section	.rodata,"a",@progbits
	.p2align	6, 0x0
	.amdhsa_kernel _ZN4vllm25paged_attention_v1_kernelIffLi192ELi16ELi128ELNS_18Fp8KVCacheDataTypeE0ELb1EEEvPT_PKS2_PKT0_S8_ifPKiSA_iPKfiiiSC_SC_iiiii
		.amdhsa_group_segment_fixed_size 784
		.amdhsa_private_segment_fixed_size 0
		.amdhsa_kernarg_size 384
		.amdhsa_user_sgpr_count 2
		.amdhsa_user_sgpr_dispatch_ptr 0
		.amdhsa_user_sgpr_queue_ptr 0
		.amdhsa_user_sgpr_kernarg_segment_ptr 1
		.amdhsa_user_sgpr_dispatch_id 0
		.amdhsa_user_sgpr_kernarg_preload_length 0
		.amdhsa_user_sgpr_kernarg_preload_offset 0
		.amdhsa_user_sgpr_private_segment_size 0
		.amdhsa_uses_dynamic_stack 0
		.amdhsa_enable_private_segment 0
		.amdhsa_system_sgpr_workgroup_id_x 1
		.amdhsa_system_sgpr_workgroup_id_y 1
		.amdhsa_system_sgpr_workgroup_id_z 1
		.amdhsa_system_sgpr_workgroup_info 0
		.amdhsa_system_vgpr_workitem_id 0
		.amdhsa_next_free_vgpr 107
		.amdhsa_next_free_sgpr 46
		.amdhsa_accum_offset 108
		.amdhsa_reserve_vcc 1
		.amdhsa_float_round_mode_32 0
		.amdhsa_float_round_mode_16_64 0
		.amdhsa_float_denorm_mode_32 3
		.amdhsa_float_denorm_mode_16_64 3
		.amdhsa_dx10_clamp 1
		.amdhsa_ieee_mode 1
		.amdhsa_fp16_overflow 0
		.amdhsa_tg_split 0
		.amdhsa_exception_fp_ieee_invalid_op 0
		.amdhsa_exception_fp_denorm_src 0
		.amdhsa_exception_fp_ieee_div_zero 0
		.amdhsa_exception_fp_ieee_overflow 0
		.amdhsa_exception_fp_ieee_underflow 0
		.amdhsa_exception_fp_ieee_inexact 0
		.amdhsa_exception_int_div_zero 0
	.end_amdhsa_kernel
	.section	.text._ZN4vllm25paged_attention_v1_kernelIffLi192ELi16ELi128ELNS_18Fp8KVCacheDataTypeE0ELb1EEEvPT_PKS2_PKT0_S8_ifPKiSA_iPKfiiiSC_SC_iiiii,"axG",@progbits,_ZN4vllm25paged_attention_v1_kernelIffLi192ELi16ELi128ELNS_18Fp8KVCacheDataTypeE0ELb1EEEvPT_PKS2_PKT0_S8_ifPKiSA_iPKfiiiSC_SC_iiiii,comdat
.Lfunc_end25:
	.size	_ZN4vllm25paged_attention_v1_kernelIffLi192ELi16ELi128ELNS_18Fp8KVCacheDataTypeE0ELb1EEEvPT_PKS2_PKT0_S8_ifPKiSA_iPKfiiiSC_SC_iiiii, .Lfunc_end25-_ZN4vllm25paged_attention_v1_kernelIffLi192ELi16ELi128ELNS_18Fp8KVCacheDataTypeE0ELb1EEEvPT_PKS2_PKT0_S8_ifPKiSA_iPKfiiiSC_SC_iiiii
                                        ; -- End function
	.section	.AMDGPU.csdata,"",@progbits
; Kernel info:
; codeLenInByte = 7380
; NumSgprs: 52
; NumVgprs: 107
; NumAgprs: 0
; TotalNumVgprs: 107
; ScratchSize: 0
; MemoryBound: 0
; FloatMode: 240
; IeeeMode: 1
; LDSByteSize: 784 bytes/workgroup (compile time only)
; SGPRBlocks: 6
; VGPRBlocks: 13
; NumSGPRsForWavesPerEU: 52
; NumVGPRsForWavesPerEU: 107
; AccumOffset: 108
; Occupancy: 4
; WaveLimiterHint : 1
; COMPUTE_PGM_RSRC2:SCRATCH_EN: 0
; COMPUTE_PGM_RSRC2:USER_SGPR: 2
; COMPUTE_PGM_RSRC2:TRAP_HANDLER: 0
; COMPUTE_PGM_RSRC2:TGID_X_EN: 1
; COMPUTE_PGM_RSRC2:TGID_Y_EN: 1
; COMPUTE_PGM_RSRC2:TGID_Z_EN: 1
; COMPUTE_PGM_RSRC2:TIDIG_COMP_CNT: 0
; COMPUTE_PGM_RSRC3_GFX90A:ACCUM_OFFSET: 26
; COMPUTE_PGM_RSRC3_GFX90A:TG_SPLIT: 0
	.section	.text._ZN4vllm25paged_attention_v1_kernelIffLi256ELi16ELi128ELNS_18Fp8KVCacheDataTypeE0ELb1EEEvPT_PKS2_PKT0_S8_ifPKiSA_iPKfiiiSC_SC_iiiii,"axG",@progbits,_ZN4vllm25paged_attention_v1_kernelIffLi256ELi16ELi128ELNS_18Fp8KVCacheDataTypeE0ELb1EEEvPT_PKS2_PKT0_S8_ifPKiSA_iPKfiiiSC_SC_iiiii,comdat
	.protected	_ZN4vllm25paged_attention_v1_kernelIffLi256ELi16ELi128ELNS_18Fp8KVCacheDataTypeE0ELb1EEEvPT_PKS2_PKT0_S8_ifPKiSA_iPKfiiiSC_SC_iiiii ; -- Begin function _ZN4vllm25paged_attention_v1_kernelIffLi256ELi16ELi128ELNS_18Fp8KVCacheDataTypeE0ELb1EEEvPT_PKS2_PKT0_S8_ifPKiSA_iPKfiiiSC_SC_iiiii
	.globl	_ZN4vllm25paged_attention_v1_kernelIffLi256ELi16ELi128ELNS_18Fp8KVCacheDataTypeE0ELb1EEEvPT_PKS2_PKT0_S8_ifPKiSA_iPKfiiiSC_SC_iiiii
	.p2align	8
	.type	_ZN4vllm25paged_attention_v1_kernelIffLi256ELi16ELi128ELNS_18Fp8KVCacheDataTypeE0ELb1EEEvPT_PKS2_PKT0_S8_ifPKiSA_iPKfiiiSC_SC_iiiii,@function
_ZN4vllm25paged_attention_v1_kernelIffLi256ELi16ELi128ELNS_18Fp8KVCacheDataTypeE0ELb1EEEvPT_PKS2_PKT0_S8_ifPKiSA_iPKfiiiSC_SC_iiiii: ; @_ZN4vllm25paged_attention_v1_kernelIffLi256ELi16ELi128ELNS_18Fp8KVCacheDataTypeE0ELb1EEEvPT_PKS2_PKT0_S8_ifPKiSA_iPKfiiiSC_SC_iiiii
; %bb.0:
	s_load_dword s5, s[0:1], 0x80
	s_load_dwordx2 s[6:7], s[0:1], 0x30
	s_load_dwordx2 s[30:31], s[0:1], 0x20
	s_mov_b32 s20, s3
	s_ashr_i32 s21, s3, 31
	s_lshl_b64 s[8:9], s[20:21], 2
	s_waitcnt lgkmcnt(0)
	s_add_u32 s6, s6, s8
	s_addc_u32 s7, s7, s9
	s_abs_i32 s3, s30
	v_cvt_f32_u32_e32 v1, s3
	s_sub_i32 s10, 0, s3
	s_abs_i32 s9, s5
	s_xor_b32 s8, s5, s30
	v_rcp_iflag_f32_e32 v1, v1
	s_ashr_i32 s8, s8, 31
	s_mov_b32 s42, 0
	v_mul_f32_e32 v1, 0x4f7ffffe, v1
	v_cvt_u32_f32_e32 v1, v1
	s_nop 0
	v_readfirstlane_b32 s11, v1
	s_mul_i32 s10, s10, s11
	s_mul_hi_u32 s10, s11, s10
	s_add_i32 s11, s11, s10
	s_mul_hi_u32 s10, s9, s11
	s_mul_i32 s11, s10, s3
	s_sub_i32 s9, s9, s11
	s_add_i32 s11, s10, 1
	s_sub_i32 s12, s9, s3
	s_cmp_ge_u32 s9, s3
	s_cselect_b32 s10, s11, s10
	s_cselect_b32 s9, s12, s9
	s_add_i32 s11, s10, 1
	s_cmp_ge_u32 s9, s3
	s_cselect_b32 s3, s11, s10
	s_xor_b32 s3, s3, s8
	s_sub_i32 s34, s3, s8
	s_abs_i32 s28, s34
	v_cvt_f32_u32_e32 v1, s28
	s_load_dwordx2 s[8:9], s[0:1], 0x40
	s_sub_i32 s3, 0, s28
	s_abs_i32 s29, s2
	v_rcp_iflag_f32_e32 v1, v1
	s_nop 0
	v_mul_f32_e32 v1, 0x4f7ffffe, v1
	v_cvt_u32_f32_e32 v1, v1
	s_nop 0
	v_readfirstlane_b32 s12, v1
	s_mul_i32 s3, s3, s12
	s_mul_hi_u32 s3, s12, s3
	s_add_i32 s12, s12, s3
	s_waitcnt lgkmcnt(0)
	s_cmp_eq_u64 s[8:9], 0
	s_cbranch_scc1 .LBB26_2
; %bb.1:
	s_ashr_i32 s3, s2, 31
	s_lshl_b64 s[10:11], s[2:3], 2
	s_add_u32 s8, s8, s10
	s_addc_u32 s9, s9, s11
	s_load_dword s42, s[8:9], 0x0
.LBB26_2:
	s_load_dwordx2 s[22:23], s[0:1], 0x0
	s_nop 0
	s_load_dwordx4 s[8:11], s[0:1], 0x10
	s_mul_hi_u32 s3, s29, s12
	s_load_dword s21, s[0:1], 0x88
	s_load_dword s33, s[6:7], 0x0
	s_load_dwordx2 s[26:27], s[0:1], 0x28
	s_load_dwordx4 s[12:15], s[0:1], 0x48
	v_lshrrev_b32_e32 v114, 2, v0
	s_lshl_b32 s24, s2, 8
	s_movk_i32 s6, 0x100
	v_and_b32_e32 v115, 3, v0
	s_ashr_i32 s25, s24, 31
	v_cmp_gt_u32_e32 vcc, s6, v0
	v_lshlrev_b32_e32 v1, 2, v114
	s_and_saveexec_b64 s[6:7], vcc
	s_cbranch_execz .LBB26_5
; %bb.3:
	s_load_dwordx2 s[16:17], s[0:1], 0x8
	s_waitcnt lgkmcnt(0)
	s_mul_i32 s18, s20, s12
	s_ashr_i32 s19, s18, 31
	s_lshl_b64 s[18:19], s[18:19], 2
	s_lshl_b64 s[36:37], s[24:25], 2
	s_add_u32 s12, s18, s36
	s_addc_u32 s15, s19, s37
	v_or_b32_e32 v2, v1, v115
	s_add_u32 s16, s16, s12
	v_lshlrev_b32_e32 v2, 2, v2
	v_mov_b32_e32 v3, 0
	s_addc_u32 s17, s17, s15
	v_subrev_u32_e32 v4, 32, v114
	v_lshl_add_u32 v5, v115, 8, v1
	v_lshl_add_u64 v[2:3], s[16:17], 0, v[2:3]
	s_mov_b64 s[16:17], 0
	s_mov_b64 s[18:19], 0x200
.LBB26_4:                               ; =>This Inner Loop Header: Depth=1
	global_load_dword v6, v[2:3], off
	v_add_co_u32_e32 v4, vcc, 32, v4
	s_xor_b64 s[36:37], vcc, -1
	s_and_b64 s[36:37], exec, s[36:37]
	v_lshl_add_u64 v[2:3], v[2:3], 0, s[18:19]
	s_or_b64 s[16:17], s[36:37], s[16:17]
	s_waitcnt vmcnt(0)
	ds_write_b32 v5, v6
	v_add_u32_e32 v5, 0x80, v5
	s_andn2_b64 exec, exec, s[16:17]
	s_cbranch_execnz .LBB26_4
.LBB26_5:
	s_or_b64 exec, exec, s[6:7]
	s_ashr_i32 s6, s2, 31
	s_ashr_i32 s7, s34, 31
	s_xor_b32 s6, s6, s7
	s_mul_i32 s7, s3, s28
	s_sub_i32 s7, s29, s7
	s_waitcnt lgkmcnt(0)
	s_add_i32 s15, s3, 1
	s_sub_i32 s25, s7, s28
	s_load_dwordx4 s[16:19], s[0:1], 0x68
	s_load_dword s12, s[0:1], 0x78
	s_cmp_ge_u32 s7, s28
	s_cselect_b32 s3, s15, s3
	s_cselect_b32 s7, s25, s7
	s_add_i32 s15, s3, 1
	s_cmp_ge_u32 s7, s28
	s_cselect_b32 s3, s15, s3
	s_waitcnt lgkmcnt(0)
	s_abs_i32 s25, s19
	v_cvt_f32_u32_e32 v2, s25
	s_xor_b32 s3, s3, s6
	s_sub_i32 s3, s3, s6
	s_sub_i32 s6, 0, s25
	v_rcp_iflag_f32_e32 v2, v2
	s_add_i32 s28, s33, -1
	s_abs_i32 s15, s28
	v_mul_f32_e32 v2, 0x4f7ffffe, v2
	v_cvt_u32_f32_e32 v2, v2
	s_barrier
	v_readfirstlane_b32 s40, v2
	s_mul_i32 s6, s6, s40
	s_mul_hi_u32 s6, s40, s6
	s_add_i32 s40, s40, s6
	s_cmp_lt_i32 s12, 0
	s_mul_hi_u32 s34, s15, s40
	s_cbranch_scc0 .LBB26_7
; %bb.6:
	s_mul_i32 s6, s16, s30
	s_add_i32 s6, s3, s6
	s_mul_i32 s6, s6, s12
	s_sub_i32 s41, 1, s6
	s_ashr_i32 s28, s28, 31
	s_ashr_i32 s19, s19, 31
	s_cbranch_execz .LBB26_8
	s_branch .LBB26_9
.LBB26_7:
                                        ; implicit-def: $sgpr41
	s_ashr_i32 s28, s28, 31
	s_ashr_i32 s19, s19, 31
.LBB26_8:
	s_mul_i32 s6, s5, s16
	s_add_i32 s2, s6, s2
	s_mul_i32 s2, s2, s12
	s_add_i32 s41, s2, 1
.LBB26_9:
	s_load_dword s0, s[0:1], 0x38
	s_mul_i32 s2, s34, s25
	s_xor_b32 s1, s28, s19
	s_sub_i32 s2, s15, s2
	s_add_i32 s6, s34, 1
	s_waitcnt lgkmcnt(0)
	s_mul_i32 s28, s20, s0
	s_ashr_i32 s29, s28, 31
	s_sub_i32 s0, s2, s25
	s_cmp_ge_u32 s2, s25
	s_cselect_b32 s6, s6, s34
	s_cselect_b32 s0, s0, s2
	s_add_i32 s2, s6, 1
	s_cmp_ge_u32 s0, s25
	s_cselect_b32 s0, s2, s6
	s_xor_b32 s0, s0, s1
	s_sub_i32 s12, s0, s1
	s_add_i32 s0, s33, 15
	s_ashr_i32 s1, s0, 31
	s_lshr_b32 s1, s1, 28
	s_add_i32 s0, s0, s1
	s_ashr_i32 s16, s0, 4
	v_lshrrev_b32_e32 v116, 6, v0
	v_cmp_gt_i32_e64 s[0:1], s16, v116
	v_mov_b32_e32 v12, 0xff7fffff
	s_mul_i32 s14, s3, s14
	v_lshrrev_b32_e32 v8, 4, v0
	v_lshlrev_b32_e32 v117, 4, v116
	v_mbcnt_lo_u32_b32 v9, -1, 0
	s_and_saveexec_b64 s[34:35], s[0:1]
	s_cbranch_execz .LBB26_19
; %bb.10:
	s_ashr_i32 s15, s14, 31
	s_sub_i32 s30, s12, s17
	s_lshl_b64 s[2:3], s[14:15], 2
	s_add_u32 s2, s8, s2
	s_addc_u32 s3, s9, s3
	s_abs_i32 s15, s18
	v_cvt_f32_u32_e32 v2, s15
	v_bfe_u32 v10, v0, 2, 4
	v_lshlrev_b32_e32 v4, 4, v10
	v_mov_b32_e32 v5, 0
	v_rcp_iflag_f32_e32 v7, v2
	v_lshl_add_u64 v[2:3], s[2:3], 0, v[4:5]
	v_lshlrev_b32_e32 v4, 2, v115
	v_lshl_add_u64 v[2:3], v[2:3], 0, v[4:5]
	v_mul_f32_e32 v4, 0x4f7ffffe, v7
	v_cvt_u32_f32_e32 v4, v4
	v_lshlrev_b32_e32 v6, 2, v10
	s_sub_i32 s6, 0, s15
	v_lshl_or_b32 v6, v116, 6, v6
	v_mul_lo_u32 v7, s6, v4
	s_lshl_b64 s[6:7], s[28:29], 2
	v_mul_hi_u32 v7, v4, v7
	s_add_u32 s6, s26, s6
	v_add_u32_e32 v15, 0x410, v6
	v_subrev_u32_e32 v6, s33, v10
	v_mbcnt_hi_u32_b32 v18, -1, v9
	v_add_u32_e32 v13, v4, v7
	v_and_b32_e32 v4, 60, v8
	s_addc_u32 s7, s27, s7
	v_add_u32_e32 v16, 1, v6
	v_and_b32_e32 v6, 64, v18
	v_cmp_eq_u32_e32 vcc, 0, v115
	s_mov_b32 s43, s13
	v_lshlrev_b32_e32 v11, 8, v115
	v_cmp_neq_f32_e64 s[2:3], s42, 0
	v_lshl_add_u64 v[4:5], s[6:7], 0, v[4:5]
	v_lshlrev_b32_e32 v14, 4, v116
	s_mov_b64 s[36:37], 0
	v_mov_b32_e32 v17, 0xff7fffff
	s_movk_i32 s44, 0x1000
	s_movk_i32 s45, 0x2000
	s_movk_i32 s46, 0x3000
	v_add_u32_e32 v19, 64, v6
	v_xor_b32_e32 v20, 2, v18
	v_xor_b32_e32 v21, 1, v18
	v_mov_b32_e32 v12, 0xff7fffff
	v_mov_b32_e32 v22, v116
	s_branch .LBB26_13
.LBB26_11:                              ;   in Loop: Header=BB26_13 Depth=1
	s_or_b64 exec, exec, s[38:39]
.LBB26_12:                              ;   in Loop: Header=BB26_13 Depth=1
	s_or_b64 exec, exec, s[8:9]
	v_add_u32_e32 v22, 2, v22
	v_cmp_le_i32_e64 s[6:7], s16, v22
	v_lshl_add_u64 v[4:5], v[4:5], 0, 8
	v_add_u32_e32 v14, 32, v14
	s_or_b64 s[36:37], s[6:7], s[36:37]
	v_add_u32_e32 v15, 0x80, v15
	s_andn2_b64 exec, exec, s[36:37]
	s_cbranch_execz .LBB26_18
.LBB26_13:                              ; =>This Inner Loop Header: Depth=1
	v_mul_hi_u32 v6, v14, s40
	s_waitcnt lgkmcnt(0)
	v_mul_lo_u32 v7, v6, s25
	v_sub_u32_e32 v7, v14, v7
	v_add_u32_e32 v23, 1, v6
	v_cmp_le_u32_e64 s[6:7], s25, v7
	s_nop 1
	v_cndmask_b32_e64 v6, v6, v23, s[6:7]
	v_subrev_u32_e32 v23, s25, v7
	v_cndmask_b32_e64 v7, v7, v23, s[6:7]
	v_add_u32_e32 v23, 1, v6
	v_cmp_le_u32_e64 s[6:7], s25, v7
	s_nop 1
	v_cndmask_b32_e64 v6, v6, v23, s[6:7]
	v_xor_b32_e32 v6, s19, v6
	v_subrev_u32_e32 v6, s19, v6
	v_add_u32_e32 v7, s41, v6
	v_sub_u32_e32 v24, 0, v7
	v_ashrrev_i32_e32 v23, 31, v7
	v_max_i32_e32 v7, v7, v24
	v_mul_hi_u32 v24, v7, v13
	v_mul_lo_u32 v24, v24, s15
	v_sub_u32_e32 v7, v7, v24
	v_subrev_u32_e32 v24, s15, v7
	v_cmp_le_u32_e64 s[6:7], s15, v7
	v_cmp_ge_i32_e64 s[8:9], s30, v6
	s_nop 0
	v_cndmask_b32_e64 v7, v7, v24, s[6:7]
	v_subrev_u32_e32 v24, s15, v7
	v_cmp_le_u32_e64 s[6:7], s15, v7
	s_nop 1
	v_cndmask_b32_e64 v7, v7, v24, s[6:7]
	v_xor_b32_e32 v7, v7, v23
	v_sub_u32_e32 v7, v7, v23
	v_cmp_ne_u32_e64 s[6:7], 0, v7
	s_and_b64 s[6:7], s[6:7], s[8:9]
	s_and_b64 s[38:39], vcc, s[6:7]
	s_and_saveexec_b64 s[8:9], s[38:39]
	s_cbranch_execz .LBB26_15
; %bb.14:                               ;   in Loop: Header=BB26_13 Depth=1
	ds_write_b32 v15, v17
.LBB26_15:                              ;   in Loop: Header=BB26_13 Depth=1
	s_or_b64 exec, exec, s[8:9]
	s_xor_b64 s[6:7], s[6:7], -1
	s_and_saveexec_b64 s[8:9], s[6:7]
	s_cbranch_execz .LBB26_12
; %bb.16:                               ;   in Loop: Header=BB26_13 Depth=1
	global_load_dword v6, v[4:5], off
	s_waitcnt vmcnt(0)
	v_mad_i64_i32 v[6:7], s[6:7], v6, s43, 0
	v_lshl_add_u64 v[6:7], v[6:7], 2, v[2:3]
	global_load_dword v23, v[6:7], off offset:256
	global_load_dword v40, v[6:7], off
	global_load_dword v41, v[6:7], off offset:512
	global_load_dword v42, v[6:7], off offset:768
	;; [unrolled: 1-line block ×14, first 2 shown]
	v_add_co_u32_e64 v36, s[6:7], s44, v6
	s_nop 1
	v_addc_co_u32_e64 v37, s[6:7], 0, v7, s[6:7]
	v_add_co_u32_e64 v38, s[6:7], s45, v6
	s_nop 1
	v_addc_co_u32_e64 v39, s[6:7], 0, v7, s[6:7]
	global_load_dword v55, v[38:39], off offset:-4096
	global_load_dword v56, v[36:37], off offset:256
	global_load_dword v57, v[36:37], off offset:512
	;; [unrolled: 1-line block ×3, first 2 shown]
	ds_read_b128 v[24:27], v11
	ds_read_b128 v[28:31], v11 offset:16
	ds_read_b128 v[32:35], v11 offset:32
	global_load_dword v59, v[36:37], off offset:1024
	global_load_dword v60, v[36:37], off offset:1280
	;; [unrolled: 1-line block ×11, first 2 shown]
	s_nop 0
	global_load_dword v36, v[36:37], off offset:3840
	v_add_co_u32_e64 v6, s[6:7], s46, v6
	s_waitcnt vmcnt(31) lgkmcnt(2)
	v_mul_f32_e32 v23, v25, v23
	s_waitcnt vmcnt(30)
	v_fmac_f32_e32 v23, v24, v40
	s_waitcnt vmcnt(29)
	v_fmac_f32_e32 v23, v26, v41
	;; [unrolled: 2-line block ×3, first 2 shown]
	global_load_dword v40, v[38:39], off
	global_load_dword v41, v[38:39], off offset:256
	global_load_dword v42, v[38:39], off offset:512
	global_load_dword v70, v[38:39], off offset:768
	global_load_dword v71, v[38:39], off offset:1024
	global_load_dword v72, v[38:39], off offset:1280
	global_load_dword v73, v[38:39], off offset:1536
	global_load_dword v74, v[38:39], off offset:1792
	s_waitcnt vmcnt(35) lgkmcnt(1)
	v_fmac_f32_e32 v23, v28, v43
	s_waitcnt vmcnt(34)
	v_fmac_f32_e32 v23, v29, v44
	s_waitcnt vmcnt(33)
	;; [unrolled: 2-line block ×3, first 2 shown]
	v_fmac_f32_e32 v23, v31, v46
	s_waitcnt vmcnt(31) lgkmcnt(0)
	v_fmac_f32_e32 v23, v32, v47
	global_load_dword v44, v[38:39], off offset:2048
	global_load_dword v45, v[38:39], off offset:2304
	global_load_dword v46, v[38:39], off offset:2560
	global_load_dword v75, v[38:39], off offset:2816
	global_load_dword v76, v[38:39], off offset:3072
	global_load_dword v77, v[38:39], off offset:3328
	global_load_dword v78, v[38:39], off offset:3584
	global_load_dword v79, v[38:39], off offset:3840
	ds_read_b128 v[24:27], v11 offset:48
	s_waitcnt vmcnt(38)
	v_fmac_f32_e32 v23, v33, v48
	v_addc_co_u32_e64 v7, s[6:7], 0, v7, s[6:7]
	s_waitcnt vmcnt(37)
	v_fmac_f32_e32 v23, v34, v49
	s_waitcnt vmcnt(36)
	v_fmac_f32_e32 v23, v35, v50
	ds_read_b128 v[28:31], v11 offset:64
	ds_read_b128 v[32:35], v11 offset:80
	global_load_dword v47, v[6:7], off
	global_load_dword v48, v[6:7], off offset:3840
	s_waitcnt vmcnt(37) lgkmcnt(2)
	v_fmac_f32_e32 v23, v24, v51
	s_waitcnt vmcnt(36)
	v_fmac_f32_e32 v23, v25, v52
	s_waitcnt vmcnt(35)
	;; [unrolled: 2-line block ×3, first 2 shown]
	v_fmac_f32_e32 v23, v27, v54
	s_waitcnt vmcnt(33) lgkmcnt(1)
	v_fmac_f32_e32 v23, v28, v55
	s_waitcnt vmcnt(32)
	v_fmac_f32_e32 v23, v29, v56
	global_load_dword v49, v[6:7], off offset:256
	global_load_dword v50, v[6:7], off offset:512
	;; [unrolled: 1-line block ×8, first 2 shown]
	s_waitcnt vmcnt(39)
	v_fmac_f32_e32 v23, v30, v57
	s_waitcnt vmcnt(38)
	v_fmac_f32_e32 v23, v31, v58
	global_load_dword v57, v[6:7], off offset:2304
	global_load_dword v58, v[6:7], off offset:2560
	;; [unrolled: 1-line block ×5, first 2 shown]
	s_nop 0
	global_load_dword v6, v[6:7], off offset:3584
	ds_read_b128 v[24:27], v11 offset:96
	ds_read_b128 v[28:31], v11 offset:112
	s_waitcnt vmcnt(43) lgkmcnt(2)
	v_fmac_f32_e32 v23, v32, v59
	s_waitcnt vmcnt(42)
	v_fmac_f32_e32 v23, v33, v60
	s_waitcnt vmcnt(41)
	v_fmac_f32_e32 v23, v34, v61
	s_waitcnt vmcnt(40)
	v_fmac_f32_e32 v23, v35, v62
	s_waitcnt vmcnt(39) lgkmcnt(1)
	v_fmac_f32_e32 v23, v24, v63
	s_waitcnt vmcnt(38)
	v_fmac_f32_e32 v23, v25, v64
	s_waitcnt vmcnt(37)
	;; [unrolled: 2-line block ×3, first 2 shown]
	v_fmac_f32_e32 v23, v27, v66
	ds_read_b128 v[24:27], v11 offset:128
	ds_read_b128 v[32:35], v11 offset:144
	s_waitcnt vmcnt(35) lgkmcnt(2)
	v_fmac_f32_e32 v23, v28, v67
	s_waitcnt vmcnt(34)
	v_fmac_f32_e32 v23, v29, v68
	s_waitcnt vmcnt(33)
	;; [unrolled: 2-line block ×3, first 2 shown]
	v_fmac_f32_e32 v23, v31, v36
	ds_read_b128 v[28:31], v11 offset:160
	ds_read_b128 v[36:39], v11 offset:176
	v_cmp_lt_i32_e64 s[6:7], v20, v19
	s_waitcnt vmcnt(31) lgkmcnt(3)
	v_fmac_f32_e32 v23, v24, v40
	s_waitcnt vmcnt(30)
	v_fmac_f32_e32 v23, v25, v41
	s_waitcnt vmcnt(29)
	v_fmac_f32_e32 v23, v26, v42
	s_waitcnt vmcnt(28)
	v_fmac_f32_e32 v23, v27, v70
	s_waitcnt vmcnt(27) lgkmcnt(2)
	v_fmac_f32_e32 v23, v32, v71
	s_waitcnt vmcnt(26)
	v_fmac_f32_e32 v23, v33, v72
	s_waitcnt vmcnt(25)
	v_fmac_f32_e32 v23, v34, v73
	s_waitcnt vmcnt(24)
	v_fmac_f32_e32 v23, v35, v74
	;; [unrolled: 8-line block ×3, first 2 shown]
	ds_read_b128 v[24:27], v11 offset:192
	ds_read_b128 v[40:43], v11 offset:208
	s_waitcnt vmcnt(19) lgkmcnt(2)
	v_fmac_f32_e32 v23, v36, v76
	s_waitcnt vmcnt(18)
	v_fmac_f32_e32 v23, v37, v77
	s_waitcnt vmcnt(17)
	;; [unrolled: 2-line block ×3, first 2 shown]
	v_fmac_f32_e32 v23, v39, v79
	ds_read_b128 v[28:31], v11 offset:240
	v_cndmask_b32_e64 v7, v18, v20, s[6:7]
	v_lshlrev_b32_e32 v7, 2, v7
	v_cmp_lt_i32_e64 s[6:7], v21, v19
	s_waitcnt vmcnt(15) lgkmcnt(2)
	v_fmac_f32_e32 v23, v24, v47
	s_waitcnt vmcnt(13)
	v_fmac_f32_e32 v23, v25, v49
	s_waitcnt vmcnt(12)
	v_fmac_f32_e32 v23, v50, v26
	s_waitcnt vmcnt(11)
	v_fmac_f32_e32 v23, v51, v27
	ds_read_b128 v[24:27], v11 offset:224
	s_waitcnt vmcnt(10) lgkmcnt(2)
	v_fmac_f32_e32 v23, v52, v40
	s_waitcnt vmcnt(9)
	v_fmac_f32_e32 v23, v53, v41
	s_waitcnt vmcnt(8)
	;; [unrolled: 2-line block ×3, first 2 shown]
	v_fmac_f32_e32 v23, v55, v43
	s_waitcnt vmcnt(6) lgkmcnt(0)
	v_fmac_f32_e32 v23, v56, v24
	s_waitcnt vmcnt(5)
	v_fmac_f32_e32 v23, v57, v25
	s_waitcnt vmcnt(4)
	;; [unrolled: 2-line block ×6, first 2 shown]
	v_fmac_f32_e32 v23, v6, v30
	v_fmac_f32_e32 v23, v48, v31
	ds_bpermute_b32 v6, v7, v23
	v_cndmask_b32_e64 v7, v18, v21, s[6:7]
	v_lshlrev_b32_e32 v7, 2, v7
	s_waitcnt lgkmcnt(0)
	v_add_f32_e32 v6, v23, v6
	ds_bpermute_b32 v7, v7, v6
	s_and_saveexec_b64 s[38:39], vcc
	s_cbranch_execz .LBB26_11
; %bb.17:                               ;   in Loop: Header=BB26_13 Depth=1
	v_add_u32_e32 v23, v16, v14
	v_cvt_f32_i32_e32 v23, v23
	s_waitcnt lgkmcnt(0)
	v_add_f32_e32 v6, v6, v7
	v_add_u32_e32 v24, v10, v14
	v_cmp_gt_i32_e64 s[6:7], s33, v24
	v_mul_f32_e32 v7, s42, v23
	v_cndmask_b32_e64 v7, 0, v7, s[2:3]
	v_fmac_f32_e32 v7, s31, v6
	v_cndmask_b32_e64 v6, 0, v7, s[6:7]
	ds_write_b32 v15, v6
	v_max_f32_e32 v6, v12, v12
	v_max_f32_e32 v6, v6, v7
	v_cndmask_b32_e64 v12, v12, v6, s[6:7]
	s_branch .LBB26_11
.LBB26_18:
	s_or_b64 exec, exec, s[36:37]
.LBB26_19:
	s_or_b64 exec, exec, s[34:35]
	v_mbcnt_hi_u32_b32 v2, -1, v9
	v_and_b32_e32 v3, 64, v2
	v_add_u32_e32 v3, 64, v3
	v_xor_b32_e32 v4, 32, v2
	v_cmp_lt_i32_e32 vcc, v4, v3
	s_waitcnt lgkmcnt(0)
	v_xor_b32_e32 v7, 16, v2
	v_max_f32_e32 v6, v12, v12
	v_cndmask_b32_e32 v4, v2, v4, vcc
	v_lshlrev_b32_e32 v4, 2, v4
	ds_bpermute_b32 v5, v4, v12
	v_cmp_lt_i32_e32 vcc, v7, v3
	v_xor_b32_e32 v9, 8, v2
	v_xor_b32_e32 v10, 4, v2
	v_and_b32_e32 v118, 63, v0
	s_waitcnt lgkmcnt(0)
	v_max_f32_e32 v5, v5, v5
	v_max_f32_e32 v6, v6, v5
	v_cndmask_b32_e32 v5, v2, v7, vcc
	v_lshlrev_b32_e32 v5, 2, v5
	ds_bpermute_b32 v7, v5, v6
	v_cmp_lt_i32_e32 vcc, v9, v3
	s_waitcnt lgkmcnt(0)
	v_max_f32_e32 v7, v7, v7
	v_max_f32_e32 v6, v6, v7
	v_cndmask_b32_e32 v7, v2, v9, vcc
	v_lshlrev_b32_e32 v9, 2, v7
	ds_bpermute_b32 v7, v9, v6
	v_cmp_lt_i32_e32 vcc, v10, v3
	s_waitcnt lgkmcnt(0)
	v_max_f32_e32 v7, v7, v7
	v_max_f32_e32 v7, v6, v7
	v_cndmask_b32_e32 v6, v2, v10, vcc
	v_lshlrev_b32_e32 v10, 2, v6
	ds_bpermute_b32 v11, v10, v7
	v_cmp_eq_u32_e32 vcc, 0, v118
	v_lshlrev_b32_e32 v6, 2, v116
	s_and_saveexec_b64 s[2:3], vcc
	s_cbranch_execz .LBB26_21
; %bb.20:
	s_waitcnt lgkmcnt(0)
	v_max_f32_e32 v11, v11, v11
	v_max_f32_e32 v7, v7, v7
	;; [unrolled: 1-line block ×3, first 2 shown]
	ds_write_b32 v6, v7 offset:1024
.LBB26_21:
	s_or_b64 exec, exec, s[2:3]
	v_cmp_gt_u32_e64 s[2:3], 2, v118
	s_waitcnt lgkmcnt(0)
	v_mov_b32_e32 v11, 0xff7fffff
	v_lshlrev_b32_e32 v7, 2, v118
	s_barrier
	s_and_saveexec_b64 s[6:7], s[2:3]
	s_cbranch_execz .LBB26_23
; %bb.22:
	ds_read_b32 v11, v7 offset:1024
.LBB26_23:
	s_or_b64 exec, exec, s[6:7]
	v_xor_b32_e32 v12, 1, v2
	v_cmp_lt_i32_e64 s[6:7], v12, v3
	v_lshlrev_b32_e32 v13, 2, v2
	s_nop 0
	v_cndmask_b32_e64 v12, v2, v12, s[6:7]
	v_lshlrev_b32_e32 v119, 2, v12
	s_waitcnt lgkmcnt(0)
	ds_bpermute_b32 v12, v119, v11
	v_max_f32_e32 v11, v11, v11
	s_lshl_b32 s6, s16, 4
	s_min_i32 s15, s6, s33
	v_cmp_gt_i32_e64 s[6:7], s15, v0
	s_waitcnt lgkmcnt(0)
	v_max_f32_e32 v12, v12, v12
	v_max_f32_e32 v12, v11, v12
	v_and_b32_e32 v11, 0x100, v13
	ds_bpermute_b32 v13, v11, v12
	v_mov_b32_e32 v12, 0
	s_and_saveexec_b64 s[30:31], s[6:7]
	s_cbranch_execz .LBB26_27
; %bb.24:
	v_mov_b32_e32 v12, 0x410
	v_lshl_add_u32 v14, v0, 2, v12
	s_mov_b64 s[34:35], 0
	v_mov_b32_e32 v12, 0
	v_mov_b32_e32 v15, v0
.LBB26_25:                              ; =>This Inner Loop Header: Depth=1
	ds_read_b32 v16, v14
	v_add_u32_e32 v15, 0x80, v15
	v_cmp_le_i32_e64 s[8:9], s15, v15
	s_or_b64 s[34:35], s[8:9], s[34:35]
	s_waitcnt lgkmcnt(0)
	v_sub_f32_e32 v16, v16, v13
	v_mul_f32_e32 v16, 0x3fb8aa3b, v16
	v_exp_f32_e32 v16, v16
	ds_write_b32 v14, v16
	v_add_f32_e32 v12, v12, v16
	v_add_u32_e32 v14, 0x200, v14
	s_andn2_b64 exec, exec, s[34:35]
	s_cbranch_execnz .LBB26_25
; %bb.26:
	s_or_b64 exec, exec, s[34:35]
.LBB26_27:
	s_or_b64 exec, exec, s[30:31]
	ds_bpermute_b32 v4, v4, v12
	s_waitcnt lgkmcnt(0)
	v_add_f32_e32 v4, v12, v4
	ds_bpermute_b32 v5, v5, v4
	s_waitcnt lgkmcnt(0)
	v_add_f32_e32 v4, v4, v5
	ds_bpermute_b32 v5, v9, v4
	v_xor_b32_e32 v9, 2, v2
	v_cmp_lt_i32_e64 s[8:9], v9, v3
	s_waitcnt lgkmcnt(0)
	v_add_f32_e32 v4, v4, v5
	ds_bpermute_b32 v5, v10, v4
	v_cndmask_b32_e64 v2, v2, v9, s[8:9]
	v_lshlrev_b32_e32 v120, 2, v2
	s_waitcnt lgkmcnt(0)
	v_add_f32_e32 v3, v4, v5
	ds_bpermute_b32 v2, v120, v3
	s_waitcnt lgkmcnt(0)
	v_add_f32_e32 v2, v3, v2
	ds_bpermute_b32 v3, v119, v2
	s_waitcnt lgkmcnt(0)
	v_add_f32_e32 v2, v2, v3
	s_and_saveexec_b64 s[8:9], vcc
	s_cbranch_execz .LBB26_29
; %bb.28:
	ds_write_b32 v6, v2 offset:1032
.LBB26_29:
	s_or_b64 exec, exec, s[8:9]
	s_waitcnt lgkmcnt(0)
	s_barrier
	s_and_saveexec_b64 s[8:9], s[2:3]
	s_cbranch_execz .LBB26_31
; %bb.30:
	ds_read_b32 v2, v7 offset:1032
.LBB26_31:
	s_or_b64 exec, exec, s[8:9]
	s_waitcnt lgkmcnt(0)
	ds_bpermute_b32 v3, v119, v2
	s_waitcnt lgkmcnt(0)
	v_add_f32_e32 v2, v2, v3
	ds_bpermute_b32 v2, v11, v2
	s_and_saveexec_b64 s[2:3], s[6:7]
	s_cbranch_execz .LBB26_44
; %bb.32:
	s_waitcnt lgkmcnt(0)
	v_add_f32_e32 v2, 0x358637bd, v2
	v_div_scale_f32 v3, s[6:7], v2, v2, 1.0
	v_rcp_f32_e32 v4, v3
	v_div_scale_f32 v5, vcc, 1.0, v2, 1.0
	s_movk_i32 s6, 0x7f
	v_fma_f32 v6, -v3, v4, 1.0
	v_fmac_f32_e32 v4, v6, v4
	v_mul_f32_e32 v6, v5, v4
	v_fma_f32 v7, -v3, v6, v5
	v_fmac_f32_e32 v6, v7, v4
	v_fma_f32 v3, -v3, v6, v5
	v_div_fmas_f32 v3, v3, v4, v6
	v_xad_u32 v4, v0, -1, s15
	v_div_fixup_f32 v2, v3, v2, 1.0
	v_cmp_lt_u32_e32 vcc, s6, v4
	s_mov_b64 s[8:9], -1
	v_mov_b32_e32 v3, v0
	s_and_saveexec_b64 s[6:7], vcc
	s_cbranch_execz .LBB26_41
; %bb.33:
	v_lshrrev_b32_e32 v4, 7, v4
	v_add_u32_e32 v6, -1, v4
	v_lshrrev_b32_e32 v5, 1, v6
	v_mov_b32_e32 v3, v2
	v_add_u32_e32 v5, 1, v5
	v_cmp_lt_u32_e32 vcc, 13, v6
	v_mov_b32_e32 v9, 0
	s_and_saveexec_b64 s[8:9], vcc
	s_cbranch_execz .LBB26_37
; %bb.34:
	v_mov_b32_e32 v7, 0x410
	v_and_b32_e32 v6, -8, v5
	v_lshl_add_u32 v7, v0, 2, v7
	s_mov_b32 s34, 0
	s_mov_b64 s[30:31], 0
.LBB26_35:                              ; =>This Inner Loop Header: Depth=1
	ds_read2st64_b32 v[10:11], v7 offset1:2
	ds_read2st64_b32 v[12:13], v7 offset0:4 offset1:6
	ds_read2st64_b32 v[14:15], v7 offset0:8 offset1:10
	;; [unrolled: 1-line block ×3, first 2 shown]
	v_add_u32_e32 v6, -8, v6
	s_waitcnt lgkmcnt(3)
	v_pk_mul_f32 v[10:11], v[2:3], v[10:11]
	s_waitcnt lgkmcnt(2)
	v_pk_mul_f32 v[12:13], v[2:3], v[12:13]
	ds_write2st64_b32 v7, v10, v11 offset1:2
	ds_write2st64_b32 v7, v12, v13 offset0:4 offset1:6
	ds_read2st64_b32 v[12:13], v7 offset0:16 offset1:18
	s_waitcnt lgkmcnt(4)
	v_pk_mul_f32 v[10:11], v[2:3], v[14:15]
	ds_write2st64_b32 v7, v10, v11 offset0:8 offset1:10
	s_waitcnt lgkmcnt(4)
	v_pk_mul_f32 v[10:11], v[2:3], v[16:17]
	ds_write2st64_b32 v7, v10, v11 offset0:12 offset1:14
	ds_read2st64_b32 v[10:11], v7 offset0:20 offset1:22
	s_waitcnt lgkmcnt(3)
	v_pk_mul_f32 v[12:13], v[2:3], v[12:13]
	ds_read2st64_b32 v[14:15], v7 offset0:24 offset1:26
	ds_write2st64_b32 v7, v12, v13 offset0:16 offset1:18
	ds_read2st64_b32 v[12:13], v7 offset0:28 offset1:30
	s_waitcnt lgkmcnt(3)
	v_pk_mul_f32 v[10:11], v[2:3], v[10:11]
	ds_write2st64_b32 v7, v10, v11 offset0:20 offset1:22
	s_waitcnt lgkmcnt(3)
	v_pk_mul_f32 v[10:11], v[2:3], v[14:15]
	ds_write2st64_b32 v7, v10, v11 offset0:24 offset1:26
	s_waitcnt lgkmcnt(2)
	v_pk_mul_f32 v[10:11], v[2:3], v[12:13]
	s_add_i32 s34, s34, 16
	v_cmp_eq_u32_e32 vcc, 0, v6
	ds_write2st64_b32 v7, v10, v11 offset0:28 offset1:30
	v_add_u32_e32 v7, 0x2000, v7
	s_or_b64 s[30:31], vcc, s[30:31]
	v_mov_b32_e32 v9, s34
	s_andn2_b64 exec, exec, s[30:31]
	s_cbranch_execnz .LBB26_35
; %bb.36:
	s_or_b64 exec, exec, s[30:31]
.LBB26_37:
	s_or_b64 exec, exec, s[8:9]
	v_and_b32_e32 v5, 7, v5
	v_cmp_ne_u32_e32 vcc, 0, v5
	s_and_saveexec_b64 s[8:9], vcc
	s_cbranch_execz .LBB26_40
; %bb.38:
	v_lshlrev_b32_e32 v6, 9, v9
	v_lshlrev_b32_e32 v7, 2, v0
	s_movk_i32 s30, 0x410
	v_add3_u32 v6, v6, v7, s30
	s_mov_b64 s[30:31], 0
.LBB26_39:                              ; =>This Inner Loop Header: Depth=1
	ds_read2st64_b32 v[10:11], v6 offset1:2
	v_add_u32_e32 v5, -1, v5
	v_cmp_eq_u32_e32 vcc, 0, v5
	s_or_b64 s[30:31], vcc, s[30:31]
	s_waitcnt lgkmcnt(0)
	v_pk_mul_f32 v[10:11], v[2:3], v[10:11]
	ds_write2st64_b32 v6, v10, v11 offset1:2
	v_add_u32_e32 v6, 0x400, v6
	s_andn2_b64 exec, exec, s[30:31]
	s_cbranch_execnz .LBB26_39
.LBB26_40:
	s_or_b64 exec, exec, s[8:9]
	v_add_u32_e32 v4, 1, v4
	v_and_b32_e32 v5, 0x3fffffe, v4
	v_cmp_ne_u32_e32 vcc, v4, v5
	v_lshl_add_u32 v3, v5, 7, v0
	s_orn2_b64 s[8:9], vcc, exec
.LBB26_41:
	s_or_b64 exec, exec, s[6:7]
	s_and_b64 exec, exec, s[8:9]
	s_cbranch_execz .LBB26_44
; %bb.42:
	v_mov_b32_e32 v4, 0x410
	v_lshl_add_u32 v4, v3, 2, v4
	s_mov_b64 s[6:7], 0
.LBB26_43:                              ; =>This Inner Loop Header: Depth=1
	ds_read_b32 v5, v4
	v_add_u32_e32 v3, 0x80, v3
	v_cmp_le_i32_e32 vcc, s15, v3
	s_or_b64 s[6:7], vcc, s[6:7]
	s_waitcnt lgkmcnt(0)
	v_mul_f32_e32 v5, v2, v5
	ds_write_b32 v4, v5
	v_add_u32_e32 v4, 0x200, v4
	s_andn2_b64 exec, exec, s[6:7]
	s_cbranch_execnz .LBB26_43
.LBB26_44:
	s_or_b64 exec, exec, s[2:3]
	v_mov_b32_e32 v86, 0
	v_mov_b32_e32 v87, 0
	;; [unrolled: 1-line block ×16, first 2 shown]
	s_waitcnt lgkmcnt(0)
	s_barrier
	s_and_saveexec_b64 s[2:3], s[0:1]
	s_cbranch_execz .LBB26_82
; %bb.45:
	s_ashr_i32 s15, s14, 31
	s_sub_i32 s17, s12, s17
	s_lshl_b64 s[0:1], s[14:15], 2
	s_add_u32 s6, s10, s0
	s_addc_u32 s7, s11, s1
	s_abs_i32 s15, s18
	v_cvt_f32_u32_e32 v5, s15
	v_lshlrev_b32_e32 v3, 2, v0
	s_sub_i32 s0, 0, s15
	v_and_b32_e32 v121, 12, v3
	v_rcp_iflag_f32_e32 v5, v5
	v_and_b32_e32 v2, 0xfc, v3
	v_or_b32_e32 v28, 0xf00, v3
	s_add_i32 s14, s16, -1
	v_mul_f32_e32 v5, 0x4f7ffffe, v5
	v_cvt_u32_f32_e32 v5, v5
	v_mov_b32_e32 v85, 0
	v_or_b32_e32 v4, 0x400, v2
	v_or_b32_e32 v6, 0x500, v2
	v_mul_lo_u32 v3, s0, v5
	v_mul_hi_u32 v3, v5, v3
	s_lshl_b64 s[0:1], s[28:29], 2
	v_add_u32_e32 v122, v5, v3
	s_add_u32 s0, s26, s0
	v_lshlrev_b32_e32 v3, 4, v115
	v_or_b32_e32 v10, 0x600, v2
	v_or_b32_e32 v12, 0x700, v2
	;; [unrolled: 1-line block ×9, first 2 shown]
	v_and_b32_e32 v84, 60, v8
	s_addc_u32 s1, s27, s1
	v_lshl_or_b32 v3, v116, 6, v3
	s_mov_b32 s30, s13
	v_lshl_add_u64 v[88:89], s[0:1], 0, v[84:85]
	v_add_u32_e32 v123, 0x410, v3
	s_mov_b64 s[8:9], 0
	v_lshlrev_b32_e32 v90, 2, v2
	v_lshlrev_b32_e32 v84, 2, v4
	;; [unrolled: 1-line block ×13, first 2 shown]
	v_mov_b32_e32 v71, v85
	v_mov_b32_e32 v70, v85
	;; [unrolled: 1-line block ×16, first 2 shown]
	s_branch .LBB26_48
.LBB26_46:                              ;   in Loop: Header=BB26_48 Depth=1
	s_or_b64 exec, exec, s[0:1]
	s_waitcnt vmcnt(1) lgkmcnt(0)
	v_mul_f32_e32 v67, v3, v67
	v_mul_f32_e32 v63, v3, v63
	;; [unrolled: 1-line block ×15, first 2 shown]
	s_waitcnt vmcnt(0)
	v_mul_f32_e32 v3, v3, v59
	v_fmac_f32_e32 v67, v2, v66
	v_fmac_f32_e32 v63, v2, v62
	;; [unrolled: 1-line block ×48, first 2 shown]
	v_add_f32_e32 v70, v70, v67
	v_add_f32_e32 v73, v73, v63
	;; [unrolled: 1-line block ×16, first 2 shown]
.LBB26_47:                              ;   in Loop: Header=BB26_48 Depth=1
	s_or_b64 exec, exec, s[10:11]
	v_add_u32_e32 v116, 2, v116
	v_cmp_le_i32_e32 vcc, s16, v116
	v_lshl_add_u64 v[88:89], v[88:89], 0, 8
	v_add_u32_e32 v117, 32, v117
	s_or_b64 s[8:9], vcc, s[8:9]
	v_add_u32_e32 v123, 0x80, v123
	s_andn2_b64 exec, exec, s[8:9]
	s_cbranch_execz .LBB26_81
.LBB26_48:                              ; =>This Inner Loop Header: Depth=1
	v_mul_hi_u32 v2, v117, s40
	v_mul_lo_u32 v3, v2, s25
	v_sub_u32_e32 v3, v117, v3
	v_add_u32_e32 v4, 1, v2
	v_cmp_le_u32_e32 vcc, s25, v3
	s_nop 1
	v_cndmask_b32_e32 v2, v2, v4, vcc
	v_subrev_u32_e32 v4, s25, v3
	v_cndmask_b32_e32 v3, v3, v4, vcc
	v_add_u32_e32 v4, 1, v2
	v_cmp_le_u32_e32 vcc, s25, v3
	s_nop 1
	v_cndmask_b32_e32 v2, v2, v4, vcc
	v_xor_b32_e32 v2, s19, v2
	v_subrev_u32_e32 v2, s19, v2
	v_add_u32_e32 v3, s41, v2
	v_sub_u32_e32 v5, 0, v3
	v_ashrrev_i32_e32 v4, 31, v3
	v_max_i32_e32 v3, v3, v5
	v_mul_hi_u32 v5, v3, v122
	v_mul_lo_u32 v5, v5, s15
	v_sub_u32_e32 v3, v3, v5
	v_subrev_u32_e32 v5, s15, v3
	v_cmp_le_u32_e32 vcc, s15, v3
	v_cmp_lt_i32_e64 s[0:1], s17, v2
	s_nop 0
	v_cndmask_b32_e32 v3, v3, v5, vcc
	v_subrev_u32_e32 v5, s15, v3
	v_cmp_le_u32_e32 vcc, s15, v3
	s_nop 1
	v_cndmask_b32_e32 v3, v3, v5, vcc
	v_xor_b32_e32 v3, v3, v4
	v_sub_u32_e32 v3, v3, v4
	v_cmp_eq_u32_e32 vcc, 0, v3
	s_or_b64 s[0:1], vcc, s[0:1]
	s_and_saveexec_b64 s[10:11], s[0:1]
	s_cbranch_execz .LBB26_47
; %bb.49:                               ;   in Loop: Header=BB26_48 Depth=1
	global_load_dword v2, v[88:89], off
	v_mov_b32_e32 v91, v85
	v_cmp_eq_u32_e32 vcc, s14, v116
	s_waitcnt vmcnt(0)
	v_mad_i64_i32 v[2:3], s[0:1], v2, s30, 0
	v_lshl_add_u64 v[58:59], v[2:3], 2, s[6:7]
	v_lshl_add_u64 v[18:19], v[58:59], 0, v[90:91]
	global_load_dwordx4 v[6:9], v[18:19], off
	ds_read_b128 v[2:5], v123
	v_add_u32_e32 v91, v121, v117
	v_add_u32_e32 v126, 1, v91
	;; [unrolled: 1-line block ×4, first 2 shown]
	s_and_saveexec_b64 s[12:13], vcc
	s_cbranch_execnz .LBB26_78
; %bb.50:                               ;   in Loop: Header=BB26_48 Depth=1
	s_or_b64 exec, exec, s[12:13]
	global_load_dwordx4 v[10:13], v[18:19], off offset:1024
	s_and_saveexec_b64 s[12:13], vcc
	s_cbranch_execnz .LBB26_79
.LBB26_51:                              ;   in Loop: Header=BB26_48 Depth=1
	s_or_b64 exec, exec, s[12:13]
	global_load_dwordx4 v[14:17], v[18:19], off offset:2048
	s_and_saveexec_b64 s[12:13], vcc
	s_cbranch_execnz .LBB26_80
.LBB26_52:                              ;   in Loop: Header=BB26_48 Depth=1
	s_or_b64 exec, exec, s[12:13]
	global_load_dwordx4 v[18:21], v[18:19], off offset:3072
	s_and_saveexec_b64 s[12:13], vcc
	s_cbranch_execz .LBB26_54
.LBB26_53:                              ;   in Loop: Header=BB26_48 Depth=1
	v_cmp_gt_i32_e64 s[0:1], s33, v91
	s_waitcnt vmcnt(0)
	s_nop 0
	v_cndmask_b32_e64 v18, 0, v18, s[0:1]
	v_cmp_gt_i32_e64 s[0:1], s33, v126
	s_nop 1
	v_cndmask_b32_e64 v19, 0, v19, s[0:1]
	v_cmp_gt_i32_e64 s[0:1], s33, v125
	;; [unrolled: 3-line block ×3, first 2 shown]
	s_nop 1
	v_cndmask_b32_e64 v21, 0, v21, s[0:1]
.LBB26_54:                              ;   in Loop: Header=BB26_48 Depth=1
	s_or_b64 exec, exec, s[12:13]
	v_lshl_add_u64 v[22:23], v[58:59], 0, v[84:85]
	global_load_dwordx4 v[22:25], v[22:23], off
	s_and_saveexec_b64 s[12:13], vcc
	s_cbranch_execz .LBB26_56
; %bb.55:                               ;   in Loop: Header=BB26_48 Depth=1
	v_cmp_gt_i32_e64 s[0:1], s33, v91
	s_waitcnt vmcnt(0)
	s_nop 0
	v_cndmask_b32_e64 v22, 0, v22, s[0:1]
	v_cmp_gt_i32_e64 s[0:1], s33, v126
	s_nop 1
	v_cndmask_b32_e64 v23, 0, v23, s[0:1]
	v_cmp_gt_i32_e64 s[0:1], s33, v125
	s_nop 1
	v_cndmask_b32_e64 v24, 0, v24, s[0:1]
	v_cmp_gt_i32_e64 s[0:1], s33, v124
	s_nop 1
	v_cndmask_b32_e64 v25, 0, v25, s[0:1]
.LBB26_56:                              ;   in Loop: Header=BB26_48 Depth=1
	s_or_b64 exec, exec, s[12:13]
	v_mov_b32_e32 v93, v85
	v_lshl_add_u64 v[26:27], v[58:59], 0, v[92:93]
	global_load_dwordx4 v[26:29], v[26:27], off
	s_and_saveexec_b64 s[12:13], vcc
	s_cbranch_execz .LBB26_58
; %bb.57:                               ;   in Loop: Header=BB26_48 Depth=1
	v_cmp_gt_i32_e64 s[0:1], s33, v91
	s_waitcnt vmcnt(0)
	s_nop 0
	v_cndmask_b32_e64 v26, 0, v26, s[0:1]
	v_cmp_gt_i32_e64 s[0:1], s33, v126
	s_nop 1
	v_cndmask_b32_e64 v27, 0, v27, s[0:1]
	v_cmp_gt_i32_e64 s[0:1], s33, v125
	s_nop 1
	v_cndmask_b32_e64 v28, 0, v28, s[0:1]
	v_cmp_gt_i32_e64 s[0:1], s33, v124
	s_nop 1
	v_cndmask_b32_e64 v29, 0, v29, s[0:1]
.LBB26_58:                              ;   in Loop: Header=BB26_48 Depth=1
	s_or_b64 exec, exec, s[12:13]
	v_mov_b32_e32 v95, v85
	;; [unrolled: 21-line block ×11, first 2 shown]
	v_lshl_add_u64 v[58:59], v[58:59], 0, v[112:113]
	global_load_dwordx4 v[58:61], v[58:59], off
	s_and_saveexec_b64 s[0:1], vcc
	s_cbranch_execz .LBB26_46
; %bb.77:                               ;   in Loop: Header=BB26_48 Depth=1
	v_cmp_gt_i32_e32 vcc, s33, v91
	s_waitcnt vmcnt(0)
	s_nop 0
	v_cndmask_b32_e32 v58, 0, v58, vcc
	v_cmp_gt_i32_e32 vcc, s33, v126
	s_nop 1
	v_cndmask_b32_e32 v59, 0, v59, vcc
	v_cmp_gt_i32_e32 vcc, s33, v125
	;; [unrolled: 3-line block ×3, first 2 shown]
	s_nop 1
	v_cndmask_b32_e32 v61, 0, v61, vcc
	s_branch .LBB26_46
.LBB26_78:                              ;   in Loop: Header=BB26_48 Depth=1
	v_cmp_gt_i32_e64 s[0:1], s33, v91
	s_waitcnt vmcnt(0)
	s_nop 0
	v_cndmask_b32_e64 v6, 0, v6, s[0:1]
	v_cmp_gt_i32_e64 s[0:1], s33, v126
	s_nop 1
	v_cndmask_b32_e64 v7, 0, v7, s[0:1]
	v_cmp_gt_i32_e64 s[0:1], s33, v125
	;; [unrolled: 3-line block ×3, first 2 shown]
	s_nop 1
	v_cndmask_b32_e64 v9, 0, v9, s[0:1]
	s_or_b64 exec, exec, s[12:13]
	global_load_dwordx4 v[10:13], v[18:19], off offset:1024
	s_and_saveexec_b64 s[12:13], vcc
	s_cbranch_execz .LBB26_51
.LBB26_79:                              ;   in Loop: Header=BB26_48 Depth=1
	v_cmp_gt_i32_e64 s[0:1], s33, v91
	s_waitcnt vmcnt(0)
	s_nop 0
	v_cndmask_b32_e64 v10, 0, v10, s[0:1]
	v_cmp_gt_i32_e64 s[0:1], s33, v126
	s_nop 1
	v_cndmask_b32_e64 v11, 0, v11, s[0:1]
	v_cmp_gt_i32_e64 s[0:1], s33, v125
	;; [unrolled: 3-line block ×3, first 2 shown]
	s_nop 1
	v_cndmask_b32_e64 v13, 0, v13, s[0:1]
	s_or_b64 exec, exec, s[12:13]
	global_load_dwordx4 v[14:17], v[18:19], off offset:2048
	s_and_saveexec_b64 s[12:13], vcc
	s_cbranch_execz .LBB26_52
.LBB26_80:                              ;   in Loop: Header=BB26_48 Depth=1
	v_cmp_gt_i32_e64 s[0:1], s33, v91
	s_waitcnt vmcnt(0)
	s_nop 0
	v_cndmask_b32_e64 v14, 0, v14, s[0:1]
	v_cmp_gt_i32_e64 s[0:1], s33, v126
	s_nop 1
	v_cndmask_b32_e64 v15, 0, v15, s[0:1]
	v_cmp_gt_i32_e64 s[0:1], s33, v125
	s_nop 1
	v_cndmask_b32_e64 v16, 0, v16, s[0:1]
	v_cmp_gt_i32_e64 s[0:1], s33, v124
	s_nop 1
	v_cndmask_b32_e64 v17, 0, v17, s[0:1]
	s_or_b64 exec, exec, s[12:13]
	global_load_dwordx4 v[18:21], v[18:19], off offset:3072
	s_and_saveexec_b64 s[12:13], vcc
	s_cbranch_execnz .LBB26_53
	s_branch .LBB26_54
.LBB26_81:
	s_or_b64 exec, exec, s[8:9]
.LBB26_82:
	s_or_b64 exec, exec, s[2:3]
	ds_bpermute_b32 v2, v120, v86
	ds_bpermute_b32 v3, v120, v87
	ds_bpermute_b32 v4, v120, v82
	ds_bpermute_b32 v5, v120, v83
	ds_bpermute_b32 v8, v120, v80
	ds_bpermute_b32 v9, v120, v81
	s_waitcnt lgkmcnt(4)
	v_pk_add_f32 v[2:3], v[86:87], v[2:3]
	ds_bpermute_b32 v6, v119, v2
	ds_bpermute_b32 v7, v119, v3
	s_waitcnt lgkmcnt(4)
	v_pk_add_f32 v[4:5], v[82:83], v[4:5]
	ds_bpermute_b32 v10, v119, v4
	ds_bpermute_b32 v11, v119, v5
	;; [unrolled: 1-line block ×3, first 2 shown]
	s_waitcnt lgkmcnt(3)
	v_pk_add_f32 v[2:3], v[2:3], v[6:7]
	v_pk_add_f32 v[6:7], v[80:81], v[8:9]
	ds_bpermute_b32 v8, v119, v6
	ds_bpermute_b32 v9, v119, v7
	;; [unrolled: 1-line block ×3, first 2 shown]
	s_waitcnt lgkmcnt(4)
	v_pk_add_f32 v[4:5], v[4:5], v[10:11]
	ds_bpermute_b32 v10, v120, v76
	ds_bpermute_b32 v11, v120, v77
	;; [unrolled: 1-line block ×6, first 2 shown]
	s_waitcnt lgkmcnt(7)
	v_pk_add_f32 v[6:7], v[6:7], v[8:9]
	s_waitcnt lgkmcnt(6)
	v_pk_add_f32 v[8:9], v[78:79], v[12:13]
	;; [unrolled: 2-line block ×3, first 2 shown]
	ds_bpermute_b32 v12, v119, v8
	ds_bpermute_b32 v13, v119, v9
	;; [unrolled: 1-line block ×4, first 2 shown]
	s_waitcnt lgkmcnt(6)
	v_pk_add_f32 v[18:19], v[72:73], v[18:19]
	ds_bpermute_b32 v26, v120, v70
	ds_bpermute_b32 v27, v120, v71
	;; [unrolled: 1-line block ×4, first 2 shown]
	s_waitcnt lgkmcnt(8)
	v_pk_add_f32 v[20:21], v[74:75], v[14:15]
	ds_bpermute_b32 v22, v119, v20
	ds_bpermute_b32 v23, v119, v21
	s_waitcnt lgkmcnt(8)
	v_pk_add_f32 v[14:15], v[8:9], v[12:13]
	s_waitcnt lgkmcnt(6)
	v_pk_add_f32 v[12:13], v[10:11], v[16:17]
	;; [unrolled: 2-line block ×4, first 2 shown]
	ds_bpermute_b32 v18, v119, v16
	ds_bpermute_b32 v19, v119, v17
	s_waitcnt lgkmcnt(2)
	v_pk_add_f32 v[10:11], v[20:21], v[22:23]
	v_and_b32_e32 v20, 0x3c3, v0
	v_cmp_ne_u32_e32 vcc, 64, v20
	s_waitcnt lgkmcnt(0)
	s_barrier
	s_and_saveexec_b64 s[0:1], vcc
	s_xor_b64 s[0:1], exec, s[0:1]
; %bb.83:
                                        ; implicit-def: $vgpr118
; %bb.84:
	s_or_saveexec_b64 s[0:1], s[0:1]
	v_pk_add_f32 v[16:17], v[16:17], v[18:19]
	s_xor_b64 exec, exec, s[0:1]
	s_cbranch_execz .LBB26_86
; %bb.85:
	v_add_u32_e32 v18, 0x410, v118
	ds_write2_b32 v18, v2, v3 offset1:16
	ds_write2_b32 v18, v4, v5 offset0:32 offset1:48
	ds_write2_b32 v18, v6, v7 offset0:64 offset1:80
	;; [unrolled: 1-line block ×7, first 2 shown]
.LBB26_86:
	s_or_b64 exec, exec, s[0:1]
	v_cmp_gt_u32_e32 vcc, 64, v0
	s_waitcnt lgkmcnt(0)
	s_barrier
	s_and_saveexec_b64 s[0:1], vcc
	s_cbranch_execz .LBB26_105
; %bb.87:
	v_cmp_eq_u32_e32 vcc, 0, v115
	s_and_saveexec_b64 s[2:3], vcc
	s_cbranch_execnz .LBB26_108
; %bb.88:
	s_or_b64 exec, exec, s[2:3]
	s_and_saveexec_b64 s[2:3], vcc
	s_cbranch_execnz .LBB26_109
.LBB26_89:
	s_or_b64 exec, exec, s[2:3]
	s_and_saveexec_b64 s[2:3], vcc
	s_cbranch_execnz .LBB26_110
.LBB26_90:
	s_or_b64 exec, exec, s[2:3]
	s_and_saveexec_b64 s[2:3], vcc
	s_cbranch_execnz .LBB26_111
.LBB26_91:
	s_or_b64 exec, exec, s[2:3]
	s_and_saveexec_b64 s[2:3], vcc
	s_cbranch_execnz .LBB26_112
.LBB26_92:
	s_or_b64 exec, exec, s[2:3]
	s_and_saveexec_b64 s[2:3], vcc
	s_cbranch_execnz .LBB26_113
.LBB26_93:
	s_or_b64 exec, exec, s[2:3]
	s_and_saveexec_b64 s[2:3], vcc
	s_cbranch_execnz .LBB26_114
.LBB26_94:
	s_or_b64 exec, exec, s[2:3]
	s_and_saveexec_b64 s[2:3], vcc
	s_cbranch_execnz .LBB26_115
.LBB26_95:
	s_or_b64 exec, exec, s[2:3]
	s_and_saveexec_b64 s[2:3], vcc
	s_cbranch_execnz .LBB26_116
.LBB26_96:
	s_or_b64 exec, exec, s[2:3]
	s_and_saveexec_b64 s[2:3], vcc
	s_cbranch_execnz .LBB26_117
.LBB26_97:
	s_or_b64 exec, exec, s[2:3]
	s_and_saveexec_b64 s[2:3], vcc
	s_cbranch_execnz .LBB26_118
.LBB26_98:
	s_or_b64 exec, exec, s[2:3]
	s_and_saveexec_b64 s[2:3], vcc
	s_cbranch_execnz .LBB26_119
.LBB26_99:
	s_or_b64 exec, exec, s[2:3]
	s_and_saveexec_b64 s[2:3], vcc
	s_cbranch_execnz .LBB26_120
.LBB26_100:
	s_or_b64 exec, exec, s[2:3]
	s_and_saveexec_b64 s[2:3], vcc
	s_cbranch_execnz .LBB26_121
.LBB26_101:
	s_or_b64 exec, exec, s[2:3]
	s_and_saveexec_b64 s[2:3], vcc
	s_cbranch_execnz .LBB26_122
.LBB26_102:
	s_or_b64 exec, exec, s[2:3]
	s_and_saveexec_b64 s[2:3], vcc
	s_cbranch_execz .LBB26_104
.LBB26_103:
	v_mov_b32_e32 v0, 0x410
	v_lshl_add_u32 v0, v114, 2, v0
	ds_read_b32 v0, v0 offset:960
	s_waitcnt lgkmcnt(0)
	v_add_f32_e32 v17, v17, v0
.LBB26_104:
	s_or_b64 exec, exec, s[2:3]
.LBB26_105:
	s_or_b64 exec, exec, s[0:1]
	v_cmp_eq_u32_e32 vcc, 0, v20
	s_barrier
	s_and_saveexec_b64 s[0:1], vcc
	s_cbranch_execz .LBB26_107
; %bb.106:
	s_mul_i32 s0, s20, s21
	s_mul_i32 s0, s0, s5
	s_lshl_b32 s0, s0, 8
	s_ashr_i32 s1, s0, 31
	s_lshl_b64 s[0:1], s[0:1], 2
	s_add_u32 s2, s22, s0
	s_mul_i32 s0, s21, s24
	s_addc_u32 s3, s23, s1
	s_ashr_i32 s1, s0, 31
	s_lshl_b64 s[0:1], s[0:1], 2
	s_add_u32 s2, s2, s0
	s_addc_u32 s3, s3, s1
	s_lshl_b32 s0, s4, 8
	s_ashr_i32 s1, s0, 31
	s_lshl_b64 s[0:1], s[0:1], 2
	s_add_u32 s0, s2, s0
	s_addc_u32 s1, s3, s1
	global_store_dword v1, v2, s[0:1]
	global_store_dword v1, v3, s[0:1] offset:64
	global_store_dword v1, v4, s[0:1] offset:128
	;; [unrolled: 1-line block ×15, first 2 shown]
.LBB26_107:
	s_endpgm
.LBB26_108:
	v_mov_b32_e32 v0, 0x410
	v_lshl_add_u32 v0, v114, 2, v0
	ds_read_b32 v0, v0
	s_waitcnt lgkmcnt(0)
	v_add_f32_e32 v2, v2, v0
	s_or_b64 exec, exec, s[2:3]
	s_and_saveexec_b64 s[2:3], vcc
	s_cbranch_execz .LBB26_89
.LBB26_109:
	v_mov_b32_e32 v0, 0x410
	v_lshl_add_u32 v0, v114, 2, v0
	ds_read_b32 v0, v0 offset:64
	s_waitcnt lgkmcnt(0)
	v_add_f32_e32 v3, v3, v0
	s_or_b64 exec, exec, s[2:3]
	s_and_saveexec_b64 s[2:3], vcc
	s_cbranch_execz .LBB26_90
.LBB26_110:
	v_mov_b32_e32 v0, 0x410
	v_lshl_add_u32 v0, v114, 2, v0
	ds_read_b32 v0, v0 offset:128
	s_waitcnt lgkmcnt(0)
	v_add_f32_e32 v4, v4, v0
	s_or_b64 exec, exec, s[2:3]
	s_and_saveexec_b64 s[2:3], vcc
	s_cbranch_execz .LBB26_91
.LBB26_111:
	v_mov_b32_e32 v0, 0x410
	v_lshl_add_u32 v0, v114, 2, v0
	ds_read_b32 v0, v0 offset:192
	s_waitcnt lgkmcnt(0)
	v_add_f32_e32 v5, v5, v0
	s_or_b64 exec, exec, s[2:3]
	s_and_saveexec_b64 s[2:3], vcc
	s_cbranch_execz .LBB26_92
.LBB26_112:
	v_mov_b32_e32 v0, 0x410
	v_lshl_add_u32 v0, v114, 2, v0
	ds_read_b32 v0, v0 offset:256
	s_waitcnt lgkmcnt(0)
	v_add_f32_e32 v6, v6, v0
	s_or_b64 exec, exec, s[2:3]
	s_and_saveexec_b64 s[2:3], vcc
	s_cbranch_execz .LBB26_93
.LBB26_113:
	v_mov_b32_e32 v0, 0x410
	v_lshl_add_u32 v0, v114, 2, v0
	ds_read_b32 v0, v0 offset:320
	s_waitcnt lgkmcnt(0)
	v_add_f32_e32 v7, v7, v0
	s_or_b64 exec, exec, s[2:3]
	s_and_saveexec_b64 s[2:3], vcc
	s_cbranch_execz .LBB26_94
.LBB26_114:
	v_mov_b32_e32 v0, 0x410
	v_lshl_add_u32 v0, v114, 2, v0
	ds_read_b32 v0, v0 offset:384
	s_waitcnt lgkmcnt(0)
	v_add_f32_e32 v14, v14, v0
	s_or_b64 exec, exec, s[2:3]
	s_and_saveexec_b64 s[2:3], vcc
	s_cbranch_execz .LBB26_95
.LBB26_115:
	v_mov_b32_e32 v0, 0x410
	v_lshl_add_u32 v0, v114, 2, v0
	ds_read_b32 v0, v0 offset:448
	s_waitcnt lgkmcnt(0)
	v_add_f32_e32 v15, v15, v0
	s_or_b64 exec, exec, s[2:3]
	s_and_saveexec_b64 s[2:3], vcc
	s_cbranch_execz .LBB26_96
.LBB26_116:
	v_mov_b32_e32 v0, 0x410
	v_lshl_add_u32 v0, v114, 2, v0
	ds_read_b32 v0, v0 offset:512
	s_waitcnt lgkmcnt(0)
	v_add_f32_e32 v12, v12, v0
	s_or_b64 exec, exec, s[2:3]
	s_and_saveexec_b64 s[2:3], vcc
	s_cbranch_execz .LBB26_97
.LBB26_117:
	v_mov_b32_e32 v0, 0x410
	v_lshl_add_u32 v0, v114, 2, v0
	ds_read_b32 v0, v0 offset:576
	s_waitcnt lgkmcnt(0)
	v_add_f32_e32 v13, v13, v0
	s_or_b64 exec, exec, s[2:3]
	s_and_saveexec_b64 s[2:3], vcc
	s_cbranch_execz .LBB26_98
.LBB26_118:
	v_mov_b32_e32 v0, 0x410
	v_lshl_add_u32 v0, v114, 2, v0
	ds_read_b32 v0, v0 offset:640
	s_waitcnt lgkmcnt(0)
	v_add_f32_e32 v10, v10, v0
	s_or_b64 exec, exec, s[2:3]
	s_and_saveexec_b64 s[2:3], vcc
	s_cbranch_execz .LBB26_99
.LBB26_119:
	v_mov_b32_e32 v0, 0x410
	v_lshl_add_u32 v0, v114, 2, v0
	ds_read_b32 v0, v0 offset:704
	s_waitcnt lgkmcnt(0)
	v_add_f32_e32 v11, v11, v0
	s_or_b64 exec, exec, s[2:3]
	s_and_saveexec_b64 s[2:3], vcc
	s_cbranch_execz .LBB26_100
.LBB26_120:
	v_mov_b32_e32 v0, 0x410
	v_lshl_add_u32 v0, v114, 2, v0
	ds_read_b32 v0, v0 offset:768
	s_waitcnt lgkmcnt(0)
	v_add_f32_e32 v8, v8, v0
	s_or_b64 exec, exec, s[2:3]
	s_and_saveexec_b64 s[2:3], vcc
	s_cbranch_execz .LBB26_101
.LBB26_121:
	v_mov_b32_e32 v0, 0x410
	v_lshl_add_u32 v0, v114, 2, v0
	ds_read_b32 v0, v0 offset:832
	s_waitcnt lgkmcnt(0)
	v_add_f32_e32 v9, v9, v0
	s_or_b64 exec, exec, s[2:3]
	s_and_saveexec_b64 s[2:3], vcc
	s_cbranch_execz .LBB26_102
.LBB26_122:
	v_mov_b32_e32 v0, 0x410
	v_lshl_add_u32 v0, v114, 2, v0
	ds_read_b32 v0, v0 offset:896
	s_waitcnt lgkmcnt(0)
	v_add_f32_e32 v16, v16, v0
	s_or_b64 exec, exec, s[2:3]
	s_and_saveexec_b64 s[2:3], vcc
	s_cbranch_execnz .LBB26_103
	s_branch .LBB26_104
	.section	.rodata,"a",@progbits
	.p2align	6, 0x0
	.amdhsa_kernel _ZN4vllm25paged_attention_v1_kernelIffLi256ELi16ELi128ELNS_18Fp8KVCacheDataTypeE0ELb1EEEvPT_PKS2_PKT0_S8_ifPKiSA_iPKfiiiSC_SC_iiiii
		.amdhsa_group_segment_fixed_size 1040
		.amdhsa_private_segment_fixed_size 0
		.amdhsa_kernarg_size 384
		.amdhsa_user_sgpr_count 2
		.amdhsa_user_sgpr_dispatch_ptr 0
		.amdhsa_user_sgpr_queue_ptr 0
		.amdhsa_user_sgpr_kernarg_segment_ptr 1
		.amdhsa_user_sgpr_dispatch_id 0
		.amdhsa_user_sgpr_kernarg_preload_length 0
		.amdhsa_user_sgpr_kernarg_preload_offset 0
		.amdhsa_user_sgpr_private_segment_size 0
		.amdhsa_uses_dynamic_stack 0
		.amdhsa_enable_private_segment 0
		.amdhsa_system_sgpr_workgroup_id_x 1
		.amdhsa_system_sgpr_workgroup_id_y 1
		.amdhsa_system_sgpr_workgroup_id_z 1
		.amdhsa_system_sgpr_workgroup_info 0
		.amdhsa_system_vgpr_workitem_id 0
		.amdhsa_next_free_vgpr 127
		.amdhsa_next_free_sgpr 47
		.amdhsa_accum_offset 128
		.amdhsa_reserve_vcc 1
		.amdhsa_float_round_mode_32 0
		.amdhsa_float_round_mode_16_64 0
		.amdhsa_float_denorm_mode_32 3
		.amdhsa_float_denorm_mode_16_64 3
		.amdhsa_dx10_clamp 1
		.amdhsa_ieee_mode 1
		.amdhsa_fp16_overflow 0
		.amdhsa_tg_split 0
		.amdhsa_exception_fp_ieee_invalid_op 0
		.amdhsa_exception_fp_denorm_src 0
		.amdhsa_exception_fp_ieee_div_zero 0
		.amdhsa_exception_fp_ieee_overflow 0
		.amdhsa_exception_fp_ieee_underflow 0
		.amdhsa_exception_fp_ieee_inexact 0
		.amdhsa_exception_int_div_zero 0
	.end_amdhsa_kernel
	.section	.text._ZN4vllm25paged_attention_v1_kernelIffLi256ELi16ELi128ELNS_18Fp8KVCacheDataTypeE0ELb1EEEvPT_PKS2_PKT0_S8_ifPKiSA_iPKfiiiSC_SC_iiiii,"axG",@progbits,_ZN4vllm25paged_attention_v1_kernelIffLi256ELi16ELi128ELNS_18Fp8KVCacheDataTypeE0ELb1EEEvPT_PKS2_PKT0_S8_ifPKiSA_iPKfiiiSC_SC_iiiii,comdat
.Lfunc_end26:
	.size	_ZN4vllm25paged_attention_v1_kernelIffLi256ELi16ELi128ELNS_18Fp8KVCacheDataTypeE0ELb1EEEvPT_PKS2_PKT0_S8_ifPKiSA_iPKfiiiSC_SC_iiiii, .Lfunc_end26-_ZN4vllm25paged_attention_v1_kernelIffLi256ELi16ELi128ELNS_18Fp8KVCacheDataTypeE0ELb1EEEvPT_PKS2_PKT0_S8_ifPKiSA_iPKfiiiSC_SC_iiiii
                                        ; -- End function
	.section	.AMDGPU.csdata,"",@progbits
; Kernel info:
; codeLenInByte = 8716
; NumSgprs: 53
; NumVgprs: 127
; NumAgprs: 0
; TotalNumVgprs: 127
; ScratchSize: 0
; MemoryBound: 0
; FloatMode: 240
; IeeeMode: 1
; LDSByteSize: 1040 bytes/workgroup (compile time only)
; SGPRBlocks: 6
; VGPRBlocks: 15
; NumSGPRsForWavesPerEU: 53
; NumVGPRsForWavesPerEU: 127
; AccumOffset: 128
; Occupancy: 4
; WaveLimiterHint : 1
; COMPUTE_PGM_RSRC2:SCRATCH_EN: 0
; COMPUTE_PGM_RSRC2:USER_SGPR: 2
; COMPUTE_PGM_RSRC2:TRAP_HANDLER: 0
; COMPUTE_PGM_RSRC2:TGID_X_EN: 1
; COMPUTE_PGM_RSRC2:TGID_Y_EN: 1
; COMPUTE_PGM_RSRC2:TGID_Z_EN: 1
; COMPUTE_PGM_RSRC2:TIDIG_COMP_CNT: 0
; COMPUTE_PGM_RSRC3_GFX90A:ACCUM_OFFSET: 31
; COMPUTE_PGM_RSRC3_GFX90A:TG_SPLIT: 0
	.section	.text._ZN4vllm25paged_attention_v1_kernelIffLi32ELi16ELi128ELNS_18Fp8KVCacheDataTypeE0ELb0EEEvPT_PKS2_PKT0_S8_ifPKiSA_iPKfiiiSC_SC_iiiii,"axG",@progbits,_ZN4vllm25paged_attention_v1_kernelIffLi32ELi16ELi128ELNS_18Fp8KVCacheDataTypeE0ELb0EEEvPT_PKS2_PKT0_S8_ifPKiSA_iPKfiiiSC_SC_iiiii,comdat
	.protected	_ZN4vllm25paged_attention_v1_kernelIffLi32ELi16ELi128ELNS_18Fp8KVCacheDataTypeE0ELb0EEEvPT_PKS2_PKT0_S8_ifPKiSA_iPKfiiiSC_SC_iiiii ; -- Begin function _ZN4vllm25paged_attention_v1_kernelIffLi32ELi16ELi128ELNS_18Fp8KVCacheDataTypeE0ELb0EEEvPT_PKS2_PKT0_S8_ifPKiSA_iPKfiiiSC_SC_iiiii
	.globl	_ZN4vllm25paged_attention_v1_kernelIffLi32ELi16ELi128ELNS_18Fp8KVCacheDataTypeE0ELb0EEEvPT_PKS2_PKT0_S8_ifPKiSA_iPKfiiiSC_SC_iiiii
	.p2align	8
	.type	_ZN4vllm25paged_attention_v1_kernelIffLi32ELi16ELi128ELNS_18Fp8KVCacheDataTypeE0ELb0EEEvPT_PKS2_PKT0_S8_ifPKiSA_iPKfiiiSC_SC_iiiii,@function
_ZN4vllm25paged_attention_v1_kernelIffLi32ELi16ELi128ELNS_18Fp8KVCacheDataTypeE0ELb0EEEvPT_PKS2_PKT0_S8_ifPKiSA_iPKfiiiSC_SC_iiiii: ; @_ZN4vllm25paged_attention_v1_kernelIffLi32ELi16ELi128ELNS_18Fp8KVCacheDataTypeE0ELb0EEEvPT_PKS2_PKT0_S8_ifPKiSA_iPKfiiiSC_SC_iiiii
; %bb.0:
	s_load_dword s5, s[0:1], 0x80
	s_load_dwordx2 s[6:7], s[0:1], 0x30
	s_load_dwordx2 s[8:9], s[0:1], 0x20
	s_mov_b32 s10, s3
	s_ashr_i32 s11, s3, 31
	s_lshl_b64 s[12:13], s[10:11], 2
	s_waitcnt lgkmcnt(0)
	s_add_u32 s6, s6, s12
	s_addc_u32 s7, s7, s13
	s_abs_i32 s3, s8
	v_cvt_f32_u32_e32 v1, s3
	s_sub_i32 s12, 0, s3
	s_abs_i32 s11, s5
	s_xor_b32 s8, s5, s8
	v_rcp_iflag_f32_e32 v1, v1
	s_ashr_i32 s8, s8, 31
	v_mul_f32_e32 v1, 0x4f7ffffe, v1
	v_cvt_u32_f32_e32 v1, v1
	s_nop 0
	v_readfirstlane_b32 s13, v1
	s_mul_i32 s12, s12, s13
	s_mul_hi_u32 s12, s13, s12
	s_add_i32 s13, s13, s12
	s_mul_hi_u32 s12, s11, s13
	s_mul_i32 s13, s12, s3
	s_sub_i32 s11, s11, s13
	s_add_i32 s13, s12, 1
	s_sub_i32 s14, s11, s3
	s_cmp_ge_u32 s11, s3
	s_cselect_b32 s12, s13, s12
	s_cselect_b32 s11, s14, s11
	s_add_i32 s13, s12, 1
	s_cmp_ge_u32 s11, s3
	s_cselect_b32 s3, s13, s12
	s_xor_b32 s3, s3, s8
	s_sub_i32 s14, s3, s8
	s_abs_i32 s11, s14
	v_cvt_f32_u32_e32 v1, s11
	s_load_dwordx2 s[12:13], s[0:1], 0x40
	s_sub_i32 s3, 0, s11
	s_abs_i32 s18, s2
	v_rcp_iflag_f32_e32 v1, v1
	s_mov_b32 s8, 0
	v_mul_f32_e32 v1, 0x4f7ffffe, v1
	v_cvt_u32_f32_e32 v1, v1
	s_nop 0
	v_readfirstlane_b32 s15, v1
	s_mul_i32 s3, s3, s15
	s_mul_hi_u32 s3, s15, s3
	s_add_i32 s15, s15, s3
	s_waitcnt lgkmcnt(0)
	s_cmp_eq_u64 s[12:13], 0
	s_mul_hi_u32 s19, s18, s15
	s_cbranch_scc1 .LBB27_2
; %bb.1:
	s_ashr_i32 s3, s2, 31
	s_lshl_b64 s[16:17], s[2:3], 2
	s_add_u32 s12, s12, s16
	s_addc_u32 s13, s13, s17
	s_load_dword s8, s[12:13], 0x0
.LBB27_2:
	s_load_dword s33, s[6:7], 0x0
	s_ashr_i32 s7, s14, 31
	s_load_dwordx4 s[12:15], s[0:1], 0x48
	v_lshrrev_b32_e32 v20, 2, v0
	s_ashr_i32 s6, s2, 31
	v_and_b32_e32 v21, 3, v0
	s_lshl_b32 s16, s2, 5
	v_cmp_gt_u32_e32 vcc, 32, v0
	v_lshlrev_b32_e32 v16, 2, v0
	v_lshlrev_b32_e32 v1, 2, v20
	s_and_saveexec_b64 s[2:3], vcc
	s_cbranch_execz .LBB27_4
; %bb.3:
	s_load_dwordx2 s[20:21], s[0:1], 0x8
	s_waitcnt lgkmcnt(0)
	s_mul_i32 s22, s10, s12
	s_ashr_i32 s23, s22, 31
	s_lshl_b64 s[22:23], s[22:23], 2
	v_lshl_add_u32 v3, v21, 5, v1
	s_add_u32 s12, s20, s22
	s_addc_u32 s15, s21, s23
	s_ashr_i32 s17, s16, 31
	s_lshl_b64 s[20:21], s[16:17], 2
	s_add_u32 s20, s12, s20
	s_addc_u32 s21, s15, s21
	global_load_dword v2, v16, s[20:21]
	s_waitcnt vmcnt(0)
	ds_write_b32 v3, v2
.LBB27_4:
	s_or_b64 exec, exec, s[2:3]
	s_waitcnt lgkmcnt(0)
	s_add_i32 s3, s33, 15
	s_ashr_i32 s12, s3, 31
	s_lshr_b32 s12, s12, 28
	s_add_i32 s3, s3, s12
	s_ashr_i32 s12, s3, 4
	s_xor_b32 s3, s6, s7
	s_mul_i32 s6, s19, s11
	s_sub_i32 s6, s18, s6
	s_add_i32 s7, s19, 1
	s_sub_i32 s15, s6, s11
	s_load_dwordx2 s[20:21], s[0:1], 0x28
	s_load_dword s2, s[0:1], 0x38
	s_cmp_ge_u32 s6, s11
	s_cselect_b32 s7, s7, s19
	s_cselect_b32 s6, s15, s6
	s_add_i32 s15, s7, 1
	s_cmp_ge_u32 s6, s11
	s_cselect_b32 s6, s15, s7
	v_lshrrev_b32_e32 v22, 6, v0
	s_xor_b32 s6, s6, s3
	s_waitcnt lgkmcnt(0)
	s_mul_i32 s22, s10, s2
	s_sub_i32 s15, s6, s3
	s_ashr_i32 s23, s22, 31
	v_cmp_gt_i32_e64 s[2:3], s12, v22
	v_cmp_le_i32_e32 vcc, s12, v22
	v_mbcnt_lo_u32_b32 v12, -1, 0
	s_barrier
	s_waitcnt lgkmcnt(0)
                                        ; implicit-def: $sgpr17
                                        ; implicit-def: $vgpr14
                                        ; implicit-def: $vgpr15
	s_and_saveexec_b64 s[6:7], vcc
	s_xor_b64 s[6:7], exec, s[6:7]
; %bb.5:
	v_mbcnt_hi_u32_b32 v14, -1, v12
	v_and_b32_e32 v2, 64, v14
	v_add_u32_e32 v15, 64, v2
	s_mov_b32 s17, 0xff7fffff
                                        ; implicit-def: $vgpr12
; %bb.6:
	s_or_saveexec_b64 s[26:27], s[6:7]
	s_load_dwordx2 s[18:19], s[0:1], 0x0
	s_load_dwordx2 s[24:25], s[0:1], 0x18
	s_load_dword s11, s[0:1], 0x88
	v_mov_b32_e32 v17, s17
	s_mul_i32 s14, s15, s14
	v_lshrrev_b32_e32 v18, 4, v0
	s_xor_b64 exec, exec, s[26:27]
	s_cbranch_execz .LBB27_12
; %bb.7:
	s_load_dwordx2 s[0:1], s[0:1], 0x10
	s_ashr_i32 s15, s14, 31
	v_mbcnt_hi_u32_b32 v14, -1, v12
	s_lshl_b64 s[6:7], s[14:15], 2
	v_and_b32_e32 v12, 64, v14
	v_bfe_u32 v13, v0, 2, 4
	s_waitcnt lgkmcnt(0)
	s_add_u32 s0, s0, s6
	v_add_u32_e32 v15, 64, v12
	v_xor_b32_e32 v12, 2, v14
	s_addc_u32 s1, s1, s7
	v_lshlrev_b32_e32 v26, 4, v13
	v_mov_b32_e32 v27, 0
	v_cmp_lt_i32_e32 vcc, v12, v15
	v_lshl_add_u64 v[2:3], s[0:1], 0, v[26:27]
	v_lshlrev_b32_e32 v26, 2, v21
	v_lshlrev_b32_e32 v6, 5, v21
	v_cndmask_b32_e32 v12, v14, v12, vcc
	v_lshl_add_u64 v[10:11], v[2:3], 0, v[26:27]
	ds_read_b128 v[2:5], v6
	ds_read_b128 v[6:9], v6 offset:16
	v_lshlrev_b32_e32 v19, 2, v12
	v_xor_b32_e32 v12, 1, v14
	v_cmp_lt_i32_e32 vcc, v12, v15
	s_sub_i32 s15, 1, s33
	s_lshl_b64 s[6:7], s[22:23], 2
	v_lshlrev_b32_e32 v17, 2, v13
	v_cndmask_b32_e32 v12, v14, v12, vcc
	s_add_u32 s6, s20, s6
	v_lshlrev_b32_e32 v23, 2, v12
	v_lshl_or_b32 v12, v22, 6, v17
	v_and_b32_e32 v26, 60, v18
	s_addc_u32 s7, s21, s7
	s_mov_b32 s17, s13
	v_cmp_eq_u32_e32 vcc, 0, v21
	v_cmp_neq_f32_e64 s[0:1], s8, 0
	v_lshl_or_b32 v24, v22, 4, v13
	v_add_u32_e32 v25, 0x90, v12
	v_lshl_add_u64 v[12:13], s[6:7], 0, v[26:27]
	s_mov_b64 s[28:29], 0
	v_mov_b32_e32 v17, 0xff7fffff
	v_mov_b32_e32 v26, v22
	s_branch .LBB27_9
.LBB27_8:                               ;   in Loop: Header=BB27_9 Depth=1
	s_or_b64 exec, exec, s[30:31]
	v_add_u32_e32 v26, 2, v26
	v_cmp_le_i32_e64 s[6:7], s12, v26
	v_add_u32_e32 v24, 32, v24
	v_add_u32_e32 v25, 0x80, v25
	s_or_b64 s[28:29], s[6:7], s[28:29]
	v_lshl_add_u64 v[12:13], v[12:13], 0, 8
	s_andn2_b64 exec, exec, s[28:29]
	s_cbranch_execz .LBB27_11
.LBB27_9:                               ; =>This Inner Loop Header: Depth=1
	global_load_dword v27, v[12:13], off
	s_waitcnt vmcnt(0) lgkmcnt(0)
	v_mad_i64_i32 v[28:29], s[6:7], v27, s17, 0
	v_lshl_add_u64 v[28:29], v[28:29], 2, v[10:11]
	global_load_dword v27, v[28:29], off offset:256
	global_load_dword v30, v[28:29], off
	global_load_dword v31, v[28:29], off offset:512
	global_load_dword v32, v[28:29], off offset:768
	global_load_dword v33, v[28:29], off offset:1024
	global_load_dword v34, v[28:29], off offset:1280
	global_load_dword v35, v[28:29], off offset:1536
	global_load_dword v36, v[28:29], off offset:1792
	s_waitcnt vmcnt(7) lgkmcnt(1)
	v_mul_f32_e32 v27, v3, v27
	s_waitcnt vmcnt(6)
	v_fmac_f32_e32 v27, v2, v30
	s_waitcnt vmcnt(5)
	v_fmac_f32_e32 v27, v4, v31
	;; [unrolled: 2-line block ×3, first 2 shown]
	s_waitcnt vmcnt(3) lgkmcnt(0)
	v_fmac_f32_e32 v27, v6, v33
	s_waitcnt vmcnt(2)
	v_fmac_f32_e32 v27, v7, v34
	s_waitcnt vmcnt(1)
	;; [unrolled: 2-line block ×3, first 2 shown]
	v_fmac_f32_e32 v27, v9, v36
	ds_bpermute_b32 v28, v19, v27
	s_waitcnt lgkmcnt(0)
	v_add_f32_e32 v27, v27, v28
	ds_bpermute_b32 v28, v23, v27
	s_and_saveexec_b64 s[30:31], vcc
	s_cbranch_execz .LBB27_8
; %bb.10:                               ;   in Loop: Header=BB27_9 Depth=1
	v_add_u32_e32 v29, s15, v24
	v_cvt_f32_i32_e32 v29, v29
	s_waitcnt lgkmcnt(0)
	v_add_f32_e32 v27, v27, v28
	v_cmp_gt_i32_e64 s[6:7], s33, v24
	v_max_f32_e32 v28, v17, v17
	v_mul_f32_e32 v29, s8, v29
	v_cndmask_b32_e64 v29, 0, v29, s[0:1]
	v_fmac_f32_e32 v29, s9, v27
	v_cndmask_b32_e64 v27, 0, v29, s[6:7]
	ds_write_b32 v25, v27
	v_max_f32_e32 v27, v28, v29
	v_cndmask_b32_e64 v17, v17, v27, s[6:7]
	s_branch .LBB27_8
.LBB27_11:
	s_or_b64 exec, exec, s[28:29]
.LBB27_12:
	s_or_b64 exec, exec, s[26:27]
	v_xor_b32_e32 v2, 32, v14
	v_cmp_lt_i32_e32 vcc, v2, v15
	v_xor_b32_e32 v5, 16, v14
	v_max_f32_e32 v4, v17, v17
	v_cndmask_b32_e32 v2, v14, v2, vcc
	v_lshlrev_b32_e32 v2, 2, v2
	ds_bpermute_b32 v3, v2, v17
	v_cmp_lt_i32_e32 vcc, v5, v15
	v_xor_b32_e32 v6, 8, v14
	v_xor_b32_e32 v7, 4, v14
	v_and_b32_e32 v23, 63, v0
	s_waitcnt lgkmcnt(0)
	v_max_f32_e32 v3, v3, v3
	v_max_f32_e32 v4, v4, v3
	v_cndmask_b32_e32 v3, v14, v5, vcc
	v_lshlrev_b32_e32 v3, 2, v3
	ds_bpermute_b32 v5, v3, v4
	v_cmp_lt_i32_e32 vcc, v6, v15
	s_waitcnt lgkmcnt(0)
	v_max_f32_e32 v5, v5, v5
	v_max_f32_e32 v4, v4, v5
	v_cndmask_b32_e32 v5, v14, v6, vcc
	v_lshlrev_b32_e32 v6, 2, v5
	ds_bpermute_b32 v5, v6, v4
	v_cmp_lt_i32_e32 vcc, v7, v15
	s_waitcnt lgkmcnt(0)
	v_max_f32_e32 v5, v5, v5
	v_max_f32_e32 v5, v4, v5
	v_cndmask_b32_e32 v4, v14, v7, vcc
	v_lshlrev_b32_e32 v7, 2, v4
	ds_bpermute_b32 v8, v7, v5
	v_cmp_eq_u32_e32 vcc, 0, v23
	v_lshlrev_b32_e32 v4, 2, v22
	s_and_saveexec_b64 s[0:1], vcc
	s_cbranch_execz .LBB27_14
; %bb.13:
	s_waitcnt lgkmcnt(0)
	v_max_f32_e32 v8, v8, v8
	v_max_f32_e32 v5, v5, v5
	;; [unrolled: 1-line block ×3, first 2 shown]
	ds_write_b32 v4, v5 offset:128
.LBB27_14:
	s_or_b64 exec, exec, s[0:1]
	v_cmp_gt_u32_e64 s[0:1], 2, v23
	s_waitcnt lgkmcnt(0)
	v_mov_b32_e32 v8, 0xff7fffff
	v_lshlrev_b32_e32 v5, 2, v23
	s_barrier
	s_and_saveexec_b64 s[6:7], s[0:1]
	s_cbranch_execz .LBB27_16
; %bb.15:
	ds_read_b32 v8, v5 offset:128
.LBB27_16:
	s_or_b64 exec, exec, s[6:7]
	v_xor_b32_e32 v9, 1, v14
	v_cmp_lt_i32_e64 s[6:7], v9, v15
	v_lshlrev_b32_e32 v10, 2, v14
	s_nop 0
	v_cndmask_b32_e64 v9, v14, v9, s[6:7]
	v_lshlrev_b32_e32 v24, 2, v9
	s_waitcnt lgkmcnt(0)
	ds_bpermute_b32 v9, v24, v8
	v_max_f32_e32 v8, v8, v8
	s_lshl_b32 s6, s12, 4
	s_min_i32 s15, s6, s33
	v_cmp_gt_i32_e64 s[6:7], s15, v0
	s_waitcnt lgkmcnt(0)
	v_max_f32_e32 v9, v9, v9
	v_max_f32_e32 v9, v8, v9
	v_and_b32_e32 v8, 0xffffff00, v10
	ds_bpermute_b32 v10, v8, v9
	v_mov_b32_e32 v9, 0
	s_and_saveexec_b64 s[26:27], s[6:7]
	s_cbranch_execz .LBB27_20
; %bb.17:
	v_mov_b32_e32 v9, 0x90
	v_lshl_add_u32 v11, v0, 2, v9
	s_mov_b64 s[28:29], 0
	v_mov_b32_e32 v9, 0
	v_mov_b32_e32 v12, v0
.LBB27_18:                              ; =>This Inner Loop Header: Depth=1
	ds_read_b32 v13, v11
	v_add_u32_e32 v12, 0x80, v12
	v_cmp_le_i32_e64 s[8:9], s15, v12
	s_or_b64 s[28:29], s[8:9], s[28:29]
	s_waitcnt lgkmcnt(0)
	v_sub_f32_e32 v13, v13, v10
	v_mul_f32_e32 v13, 0x3fb8aa3b, v13
	v_exp_f32_e32 v13, v13
	ds_write_b32 v11, v13
	v_add_f32_e32 v9, v9, v13
	v_add_u32_e32 v11, 0x200, v11
	s_andn2_b64 exec, exec, s[28:29]
	s_cbranch_execnz .LBB27_18
; %bb.19:
	s_or_b64 exec, exec, s[28:29]
.LBB27_20:
	s_or_b64 exec, exec, s[26:27]
	ds_bpermute_b32 v2, v2, v9
	s_waitcnt lgkmcnt(0)
	v_add_f32_e32 v2, v9, v2
	ds_bpermute_b32 v3, v3, v2
	s_waitcnt lgkmcnt(0)
	v_add_f32_e32 v2, v2, v3
	ds_bpermute_b32 v3, v6, v2
	v_xor_b32_e32 v6, 2, v14
	v_cmp_lt_i32_e64 s[8:9], v6, v15
	s_waitcnt lgkmcnt(0)
	v_add_f32_e32 v2, v2, v3
	ds_bpermute_b32 v3, v7, v2
	v_cndmask_b32_e64 v6, v14, v6, s[8:9]
	v_lshlrev_b32_e32 v25, 2, v6
	s_waitcnt lgkmcnt(0)
	v_add_f32_e32 v2, v2, v3
	ds_bpermute_b32 v3, v25, v2
	s_waitcnt lgkmcnt(0)
	v_add_f32_e32 v2, v2, v3
	ds_bpermute_b32 v3, v24, v2
	s_waitcnt lgkmcnt(0)
	v_add_f32_e32 v2, v2, v3
	s_and_saveexec_b64 s[8:9], vcc
	s_cbranch_execz .LBB27_22
; %bb.21:
	ds_write_b32 v4, v2 offset:136
.LBB27_22:
	s_or_b64 exec, exec, s[8:9]
	s_waitcnt lgkmcnt(0)
	s_barrier
	s_and_saveexec_b64 s[8:9], s[0:1]
	s_cbranch_execz .LBB27_24
; %bb.23:
	ds_read_b32 v2, v5 offset:136
.LBB27_24:
	s_or_b64 exec, exec, s[8:9]
	s_waitcnt lgkmcnt(0)
	ds_bpermute_b32 v3, v24, v2
	s_waitcnt lgkmcnt(0)
	v_add_f32_e32 v2, v2, v3
	ds_bpermute_b32 v2, v8, v2
	s_and_saveexec_b64 s[0:1], s[6:7]
	s_cbranch_execz .LBB27_37
; %bb.25:
	s_waitcnt lgkmcnt(0)
	v_add_f32_e32 v2, 0x358637bd, v2
	v_div_scale_f32 v3, s[6:7], v2, v2, 1.0
	v_rcp_f32_e32 v4, v3
	v_div_scale_f32 v5, vcc, 1.0, v2, 1.0
	s_movk_i32 s6, 0x7f
	v_fma_f32 v6, -v3, v4, 1.0
	v_fmac_f32_e32 v4, v6, v4
	v_mul_f32_e32 v6, v5, v4
	v_fma_f32 v7, -v3, v6, v5
	v_fmac_f32_e32 v6, v7, v4
	v_fma_f32 v3, -v3, v6, v5
	v_div_fmas_f32 v3, v3, v4, v6
	v_xad_u32 v4, v0, -1, s15
	v_div_fixup_f32 v2, v3, v2, 1.0
	v_cmp_lt_u32_e32 vcc, s6, v4
	s_mov_b64 s[8:9], -1
	v_mov_b32_e32 v3, v0
	s_and_saveexec_b64 s[6:7], vcc
	s_cbranch_execz .LBB27_34
; %bb.26:
	v_lshrrev_b32_e32 v4, 7, v4
	v_add_u32_e32 v6, -1, v4
	v_lshrrev_b32_e32 v5, 1, v6
	v_mov_b32_e32 v3, v2
	v_add_u32_e32 v5, 1, v5
	v_cmp_lt_u32_e32 vcc, 13, v6
	v_mov_b32_e32 v8, 0
	s_and_saveexec_b64 s[8:9], vcc
	s_cbranch_execz .LBB27_30
; %bb.27:
	v_mov_b32_e32 v7, 0x90
	v_and_b32_e32 v6, -8, v5
	v_lshl_add_u32 v7, v0, 2, v7
	s_mov_b32 s17, 0
	s_mov_b64 s[26:27], 0
.LBB27_28:                              ; =>This Inner Loop Header: Depth=1
	ds_read2st64_b32 v[8:9], v7 offset1:2
	ds_read2st64_b32 v[10:11], v7 offset0:4 offset1:6
	ds_read2st64_b32 v[12:13], v7 offset0:8 offset1:10
	;; [unrolled: 1-line block ×3, first 2 shown]
	v_add_u32_e32 v6, -8, v6
	s_waitcnt lgkmcnt(3)
	v_pk_mul_f32 v[8:9], v[2:3], v[8:9]
	s_waitcnt lgkmcnt(2)
	v_pk_mul_f32 v[10:11], v[2:3], v[10:11]
	ds_write2st64_b32 v7, v8, v9 offset1:2
	ds_write2st64_b32 v7, v10, v11 offset0:4 offset1:6
	ds_read2st64_b32 v[10:11], v7 offset0:16 offset1:18
	s_waitcnt lgkmcnt(4)
	v_pk_mul_f32 v[8:9], v[2:3], v[12:13]
	ds_write2st64_b32 v7, v8, v9 offset0:8 offset1:10
	s_waitcnt lgkmcnt(4)
	v_pk_mul_f32 v[8:9], v[2:3], v[14:15]
	ds_write2st64_b32 v7, v8, v9 offset0:12 offset1:14
	ds_read2st64_b32 v[8:9], v7 offset0:20 offset1:22
	s_waitcnt lgkmcnt(3)
	v_pk_mul_f32 v[10:11], v[2:3], v[10:11]
	ds_read2st64_b32 v[12:13], v7 offset0:24 offset1:26
	ds_write2st64_b32 v7, v10, v11 offset0:16 offset1:18
	ds_read2st64_b32 v[10:11], v7 offset0:28 offset1:30
	s_waitcnt lgkmcnt(3)
	v_pk_mul_f32 v[8:9], v[2:3], v[8:9]
	ds_write2st64_b32 v7, v8, v9 offset0:20 offset1:22
	s_waitcnt lgkmcnt(3)
	v_pk_mul_f32 v[8:9], v[2:3], v[12:13]
	ds_write2st64_b32 v7, v8, v9 offset0:24 offset1:26
	s_waitcnt lgkmcnt(2)
	v_pk_mul_f32 v[8:9], v[2:3], v[10:11]
	s_add_i32 s17, s17, 16
	v_cmp_eq_u32_e32 vcc, 0, v6
	ds_write2st64_b32 v7, v8, v9 offset0:28 offset1:30
	v_add_u32_e32 v7, 0x2000, v7
	s_or_b64 s[26:27], vcc, s[26:27]
	v_mov_b32_e32 v8, s17
	s_andn2_b64 exec, exec, s[26:27]
	s_cbranch_execnz .LBB27_28
; %bb.29:
	s_or_b64 exec, exec, s[26:27]
.LBB27_30:
	s_or_b64 exec, exec, s[8:9]
	v_and_b32_e32 v5, 7, v5
	v_cmp_ne_u32_e32 vcc, 0, v5
	s_and_saveexec_b64 s[8:9], vcc
	s_cbranch_execz .LBB27_33
; %bb.31:
	v_lshlrev_b32_e32 v6, 9, v8
	s_movk_i32 s17, 0x90
	v_add3_u32 v6, v6, v16, s17
	s_mov_b64 s[26:27], 0
.LBB27_32:                              ; =>This Inner Loop Header: Depth=1
	ds_read2st64_b32 v[8:9], v6 offset1:2
	v_add_u32_e32 v5, -1, v5
	v_cmp_eq_u32_e32 vcc, 0, v5
	s_or_b64 s[26:27], vcc, s[26:27]
	s_waitcnt lgkmcnt(0)
	v_pk_mul_f32 v[8:9], v[2:3], v[8:9]
	ds_write2st64_b32 v6, v8, v9 offset1:2
	v_add_u32_e32 v6, 0x400, v6
	s_andn2_b64 exec, exec, s[26:27]
	s_cbranch_execnz .LBB27_32
.LBB27_33:
	s_or_b64 exec, exec, s[8:9]
	v_add_u32_e32 v4, 1, v4
	v_and_b32_e32 v5, 0x3fffffe, v4
	v_cmp_ne_u32_e32 vcc, v4, v5
	v_lshl_add_u32 v3, v5, 7, v0
	s_orn2_b64 s[8:9], vcc, exec
.LBB27_34:
	s_or_b64 exec, exec, s[6:7]
	s_and_b64 exec, exec, s[8:9]
	s_cbranch_execz .LBB27_37
; %bb.35:
	v_mov_b32_e32 v4, 0x90
	v_lshl_add_u32 v4, v3, 2, v4
	s_mov_b64 s[6:7], 0
.LBB27_36:                              ; =>This Inner Loop Header: Depth=1
	ds_read_b32 v5, v4
	v_add_u32_e32 v3, 0x80, v3
	v_cmp_le_i32_e32 vcc, s15, v3
	s_or_b64 s[6:7], vcc, s[6:7]
	s_waitcnt lgkmcnt(0)
	v_mul_f32_e32 v5, v2, v5
	ds_write_b32 v4, v5
	v_add_u32_e32 v4, 0x200, v4
	s_andn2_b64 exec, exec, s[6:7]
	s_cbranch_execnz .LBB27_36
.LBB27_37:
	s_or_b64 exec, exec, s[0:1]
	v_mov_b32_e32 v15, 0
	v_mov_b32_e32 v14, 0
	s_waitcnt lgkmcnt(0)
	s_barrier
	s_and_saveexec_b64 s[6:7], s[2:3]
	s_cbranch_execz .LBB27_45
; %bb.38:
	s_ashr_i32 s15, s14, 31
	s_lshl_b64 s[0:1], s[14:15], 2
	s_add_u32 s0, s24, s0
	v_lshlrev_b32_e32 v3, 4, v0
	s_addc_u32 s1, s25, s1
	v_and_b32_e32 v14, 0x3f0, v3
	v_mov_b32_e32 v15, 0
	v_and_b32_e32 v2, 12, v16
	s_add_i32 s14, s12, -1
	v_lshl_add_u64 v[16:17], s[0:1], 0, v[14:15]
	v_lshlrev_b32_e32 v3, 4, v22
	s_lshl_b64 s[0:1], s[22:23], 2
	v_or3_b32 v26, v3, v2, 3
	v_lshlrev_b32_e32 v2, 4, v21
	s_add_u32 s0, s20, s0
	v_lshl_or_b32 v2, v22, 6, v2
	v_and_b32_e32 v14, 60, v18
	s_addc_u32 s1, s21, s1
	v_add_u32_e32 v27, 0x90, v2
	v_lshl_add_u64 v[18:19], s[0:1], 0, v[14:15]
	s_mov_b64 s[2:3], 0
	v_mov_b32_e32 v14, v15
	s_branch .LBB27_40
.LBB27_39:                              ;   in Loop: Header=BB27_40 Depth=1
	s_or_b64 exec, exec, s[0:1]
	s_waitcnt vmcnt(1) lgkmcnt(0)
	v_mul_f32_e32 v7, v3, v7
	s_waitcnt vmcnt(0)
	v_mul_f32_e32 v3, v3, v11
	v_fmac_f32_e32 v7, v2, v6
	v_fmac_f32_e32 v3, v2, v10
	;; [unrolled: 1-line block ×4, first 2 shown]
	v_add_u32_e32 v22, 2, v22
	v_fmac_f32_e32 v7, v5, v9
	v_fmac_f32_e32 v3, v5, v13
	v_cmp_le_i32_e32 vcc, s12, v22
	v_add_f32_e32 v14, v14, v7
	v_add_f32_e32 v15, v15, v3
	v_add_u32_e32 v26, 32, v26
	v_add_u32_e32 v27, 0x80, v27
	s_or_b64 s[2:3], vcc, s[2:3]
	v_lshl_add_u64 v[18:19], v[18:19], 0, 8
	s_andn2_b64 exec, exec, s[2:3]
	s_cbranch_execz .LBB27_44
.LBB27_40:                              ; =>This Inner Loop Header: Depth=1
	global_load_dword v2, v[18:19], off
	v_add_u32_e32 v28, -3, v26
	v_cmp_eq_u32_e32 vcc, s14, v22
	v_add_u32_e32 v30, -2, v26
	v_add_u32_e32 v29, -1, v26
	s_waitcnt vmcnt(0)
	v_mad_i64_i32 v[2:3], s[0:1], v2, s13, 0
	v_lshl_add_u64 v[10:11], v[2:3], 2, v[16:17]
	global_load_dwordx4 v[6:9], v[10:11], off
	ds_read_b128 v[2:5], v27
	s_and_saveexec_b64 s[8:9], vcc
	s_cbranch_execz .LBB27_42
; %bb.41:                               ;   in Loop: Header=BB27_40 Depth=1
	v_cmp_gt_i32_e64 s[0:1], s33, v28
	s_waitcnt vmcnt(0)
	s_nop 0
	v_cndmask_b32_e64 v6, 0, v6, s[0:1]
	v_cmp_gt_i32_e64 s[0:1], s33, v30
	s_nop 1
	v_cndmask_b32_e64 v7, 0, v7, s[0:1]
	v_cmp_gt_i32_e64 s[0:1], s33, v29
	;; [unrolled: 3-line block ×3, first 2 shown]
	s_nop 1
	v_cndmask_b32_e64 v9, 0, v9, s[0:1]
.LBB27_42:                              ;   in Loop: Header=BB27_40 Depth=1
	s_or_b64 exec, exec, s[8:9]
	global_load_dwordx4 v[10:13], v[10:11], off offset:1024
	s_and_saveexec_b64 s[0:1], vcc
	s_cbranch_execz .LBB27_39
; %bb.43:                               ;   in Loop: Header=BB27_40 Depth=1
	v_cmp_gt_i32_e32 vcc, s33, v28
	s_waitcnt vmcnt(0)
	s_nop 0
	v_cndmask_b32_e32 v10, 0, v10, vcc
	v_cmp_gt_i32_e32 vcc, s33, v30
	s_nop 1
	v_cndmask_b32_e32 v11, 0, v11, vcc
	v_cmp_gt_i32_e32 vcc, s33, v29
	;; [unrolled: 3-line block ×3, first 2 shown]
	s_nop 1
	v_cndmask_b32_e32 v13, 0, v13, vcc
	s_branch .LBB27_39
.LBB27_44:
	s_or_b64 exec, exec, s[2:3]
.LBB27_45:
	s_or_b64 exec, exec, s[6:7]
	ds_bpermute_b32 v2, v25, v14
	ds_bpermute_b32 v3, v25, v15
	v_and_b32_e32 v4, 0x3c3, v0
	v_cmp_eq_u32_e32 vcc, 64, v4
	s_waitcnt lgkmcnt(0)
	s_barrier
	v_pk_add_f32 v[2:3], v[14:15], v[2:3]
	ds_bpermute_b32 v6, v24, v2
	ds_bpermute_b32 v7, v24, v3
	s_waitcnt lgkmcnt(0)
	v_pk_add_f32 v[2:3], v[2:3], v[6:7]
	s_and_saveexec_b64 s[0:1], vcc
	s_cbranch_execz .LBB27_47
; %bb.46:
	v_add_u32_e32 v6, 0x90, v23
	v_add_u32_e32 v5, 0x90, v0
	ds_write_b32 v6, v2
	ds_write_b32 v5, v3
.LBB27_47:
	s_or_b64 exec, exec, s[0:1]
	v_cmp_gt_u32_e32 vcc, 64, v0
	s_waitcnt lgkmcnt(0)
	s_barrier
	s_and_saveexec_b64 s[0:1], vcc
	s_cbranch_execz .LBB27_53
; %bb.48:
	v_cmp_eq_u32_e32 vcc, 0, v21
	s_and_saveexec_b64 s[2:3], vcc
	s_cbranch_execz .LBB27_50
; %bb.49:
	v_mov_b32_e32 v0, 0x90
	v_lshl_add_u32 v0, v20, 2, v0
	ds_read_b32 v0, v0
	s_waitcnt lgkmcnt(0)
	v_add_f32_e32 v2, v2, v0
.LBB27_50:
	s_or_b64 exec, exec, s[2:3]
	s_and_saveexec_b64 s[2:3], vcc
	s_cbranch_execz .LBB27_52
; %bb.51:
	v_mov_b32_e32 v0, 0x90
	v_lshl_add_u32 v0, v20, 2, v0
	ds_read_b32 v0, v0 offset:64
	s_waitcnt lgkmcnt(0)
	v_add_f32_e32 v3, v3, v0
.LBB27_52:
	s_or_b64 exec, exec, s[2:3]
.LBB27_53:
	s_or_b64 exec, exec, s[0:1]
	v_cmp_eq_u32_e32 vcc, 0, v4
	s_barrier
	s_and_saveexec_b64 s[0:1], vcc
	s_cbranch_execz .LBB27_55
; %bb.54:
	s_mul_i32 s0, s10, s11
	s_mul_i32 s0, s0, s5
	s_lshl_b32 s0, s0, 5
	s_ashr_i32 s1, s0, 31
	s_lshl_b64 s[0:1], s[0:1], 2
	s_add_u32 s2, s18, s0
	s_mul_i32 s0, s11, s16
	s_addc_u32 s3, s19, s1
	s_ashr_i32 s1, s0, 31
	s_lshl_b64 s[0:1], s[0:1], 2
	s_add_u32 s2, s2, s0
	s_addc_u32 s3, s3, s1
	s_lshl_b32 s0, s4, 5
	s_ashr_i32 s1, s0, 31
	s_lshl_b64 s[0:1], s[0:1], 2
	s_add_u32 s0, s2, s0
	s_addc_u32 s1, s3, s1
	global_store_dword v1, v2, s[0:1]
	global_store_dword v1, v3, s[0:1] offset:64
.LBB27_55:
	s_endpgm
	.section	.rodata,"a",@progbits
	.p2align	6, 0x0
	.amdhsa_kernel _ZN4vllm25paged_attention_v1_kernelIffLi32ELi16ELi128ELNS_18Fp8KVCacheDataTypeE0ELb0EEEvPT_PKS2_PKT0_S8_ifPKiSA_iPKfiiiSC_SC_iiiii
		.amdhsa_group_segment_fixed_size 144
		.amdhsa_private_segment_fixed_size 0
		.amdhsa_kernarg_size 384
		.amdhsa_user_sgpr_count 2
		.amdhsa_user_sgpr_dispatch_ptr 0
		.amdhsa_user_sgpr_queue_ptr 0
		.amdhsa_user_sgpr_kernarg_segment_ptr 1
		.amdhsa_user_sgpr_dispatch_id 0
		.amdhsa_user_sgpr_kernarg_preload_length 0
		.amdhsa_user_sgpr_kernarg_preload_offset 0
		.amdhsa_user_sgpr_private_segment_size 0
		.amdhsa_uses_dynamic_stack 0
		.amdhsa_enable_private_segment 0
		.amdhsa_system_sgpr_workgroup_id_x 1
		.amdhsa_system_sgpr_workgroup_id_y 1
		.amdhsa_system_sgpr_workgroup_id_z 1
		.amdhsa_system_sgpr_workgroup_info 0
		.amdhsa_system_vgpr_workitem_id 0
		.amdhsa_next_free_vgpr 37
		.amdhsa_next_free_sgpr 34
		.amdhsa_accum_offset 40
		.amdhsa_reserve_vcc 1
		.amdhsa_float_round_mode_32 0
		.amdhsa_float_round_mode_16_64 0
		.amdhsa_float_denorm_mode_32 3
		.amdhsa_float_denorm_mode_16_64 3
		.amdhsa_dx10_clamp 1
		.amdhsa_ieee_mode 1
		.amdhsa_fp16_overflow 0
		.amdhsa_tg_split 0
		.amdhsa_exception_fp_ieee_invalid_op 0
		.amdhsa_exception_fp_denorm_src 0
		.amdhsa_exception_fp_ieee_div_zero 0
		.amdhsa_exception_fp_ieee_overflow 0
		.amdhsa_exception_fp_ieee_underflow 0
		.amdhsa_exception_fp_ieee_inexact 0
		.amdhsa_exception_int_div_zero 0
	.end_amdhsa_kernel
	.section	.text._ZN4vllm25paged_attention_v1_kernelIffLi32ELi16ELi128ELNS_18Fp8KVCacheDataTypeE0ELb0EEEvPT_PKS2_PKT0_S8_ifPKiSA_iPKfiiiSC_SC_iiiii,"axG",@progbits,_ZN4vllm25paged_attention_v1_kernelIffLi32ELi16ELi128ELNS_18Fp8KVCacheDataTypeE0ELb0EEEvPT_PKS2_PKT0_S8_ifPKiSA_iPKfiiiSC_SC_iiiii,comdat
.Lfunc_end27:
	.size	_ZN4vllm25paged_attention_v1_kernelIffLi32ELi16ELi128ELNS_18Fp8KVCacheDataTypeE0ELb0EEEvPT_PKS2_PKT0_S8_ifPKiSA_iPKfiiiSC_SC_iiiii, .Lfunc_end27-_ZN4vllm25paged_attention_v1_kernelIffLi32ELi16ELi128ELNS_18Fp8KVCacheDataTypeE0ELb0EEEvPT_PKS2_PKT0_S8_ifPKiSA_iPKfiiiSC_SC_iiiii
                                        ; -- End function
	.section	.AMDGPU.csdata,"",@progbits
; Kernel info:
; codeLenInByte = 3280
; NumSgprs: 40
; NumVgprs: 37
; NumAgprs: 0
; TotalNumVgprs: 37
; ScratchSize: 0
; MemoryBound: 0
; FloatMode: 240
; IeeeMode: 1
; LDSByteSize: 144 bytes/workgroup (compile time only)
; SGPRBlocks: 4
; VGPRBlocks: 4
; NumSGPRsForWavesPerEU: 40
; NumVGPRsForWavesPerEU: 37
; AccumOffset: 40
; Occupancy: 8
; WaveLimiterHint : 1
; COMPUTE_PGM_RSRC2:SCRATCH_EN: 0
; COMPUTE_PGM_RSRC2:USER_SGPR: 2
; COMPUTE_PGM_RSRC2:TRAP_HANDLER: 0
; COMPUTE_PGM_RSRC2:TGID_X_EN: 1
; COMPUTE_PGM_RSRC2:TGID_Y_EN: 1
; COMPUTE_PGM_RSRC2:TGID_Z_EN: 1
; COMPUTE_PGM_RSRC2:TIDIG_COMP_CNT: 0
; COMPUTE_PGM_RSRC3_GFX90A:ACCUM_OFFSET: 9
; COMPUTE_PGM_RSRC3_GFX90A:TG_SPLIT: 0
	.section	.text._ZN4vllm25paged_attention_v1_kernelIffLi64ELi16ELi128ELNS_18Fp8KVCacheDataTypeE0ELb0EEEvPT_PKS2_PKT0_S8_ifPKiSA_iPKfiiiSC_SC_iiiii,"axG",@progbits,_ZN4vllm25paged_attention_v1_kernelIffLi64ELi16ELi128ELNS_18Fp8KVCacheDataTypeE0ELb0EEEvPT_PKS2_PKT0_S8_ifPKiSA_iPKfiiiSC_SC_iiiii,comdat
	.protected	_ZN4vllm25paged_attention_v1_kernelIffLi64ELi16ELi128ELNS_18Fp8KVCacheDataTypeE0ELb0EEEvPT_PKS2_PKT0_S8_ifPKiSA_iPKfiiiSC_SC_iiiii ; -- Begin function _ZN4vllm25paged_attention_v1_kernelIffLi64ELi16ELi128ELNS_18Fp8KVCacheDataTypeE0ELb0EEEvPT_PKS2_PKT0_S8_ifPKiSA_iPKfiiiSC_SC_iiiii
	.globl	_ZN4vllm25paged_attention_v1_kernelIffLi64ELi16ELi128ELNS_18Fp8KVCacheDataTypeE0ELb0EEEvPT_PKS2_PKT0_S8_ifPKiSA_iPKfiiiSC_SC_iiiii
	.p2align	8
	.type	_ZN4vllm25paged_attention_v1_kernelIffLi64ELi16ELi128ELNS_18Fp8KVCacheDataTypeE0ELb0EEEvPT_PKS2_PKT0_S8_ifPKiSA_iPKfiiiSC_SC_iiiii,@function
_ZN4vllm25paged_attention_v1_kernelIffLi64ELi16ELi128ELNS_18Fp8KVCacheDataTypeE0ELb0EEEvPT_PKS2_PKT0_S8_ifPKiSA_iPKfiiiSC_SC_iiiii: ; @_ZN4vllm25paged_attention_v1_kernelIffLi64ELi16ELi128ELNS_18Fp8KVCacheDataTypeE0ELb0EEEvPT_PKS2_PKT0_S8_ifPKiSA_iPKfiiiSC_SC_iiiii
; %bb.0:
	s_load_dword s5, s[0:1], 0x80
	s_load_dwordx2 s[6:7], s[0:1], 0x30
	s_load_dwordx2 s[10:11], s[0:1], 0x20
	s_mov_b32 s16, s3
	s_ashr_i32 s17, s3, 31
	s_lshl_b64 s[8:9], s[16:17], 2
	s_waitcnt lgkmcnt(0)
	s_add_u32 s6, s6, s8
	s_addc_u32 s7, s7, s9
	s_abs_i32 s3, s10
	v_cvt_f32_u32_e32 v1, s3
	s_xor_b32 s8, s5, s10
	s_sub_i32 s10, 0, s3
	s_abs_i32 s9, s5
	v_rcp_iflag_f32_e32 v1, v1
	s_ashr_i32 s8, s8, 31
	v_mul_f32_e32 v1, 0x4f7ffffe, v1
	v_cvt_u32_f32_e32 v1, v1
	s_nop 0
	v_readfirstlane_b32 s12, v1
	s_mul_i32 s10, s10, s12
	s_mul_hi_u32 s10, s12, s10
	s_add_i32 s12, s12, s10
	s_mul_hi_u32 s10, s9, s12
	s_mul_i32 s12, s10, s3
	s_sub_i32 s9, s9, s12
	s_add_i32 s12, s10, 1
	s_sub_i32 s13, s9, s3
	s_cmp_ge_u32 s9, s3
	s_cselect_b32 s10, s12, s10
	s_cselect_b32 s9, s13, s9
	s_add_i32 s12, s10, 1
	s_cmp_ge_u32 s9, s3
	s_cselect_b32 s3, s12, s10
	s_xor_b32 s3, s3, s8
	s_sub_i32 s12, s3, s8
	s_abs_i32 s20, s12
	v_cvt_f32_u32_e32 v1, s20
	s_load_dwordx2 s[8:9], s[0:1], 0x40
	s_sub_i32 s3, 0, s20
	s_abs_i32 s21, s2
	v_rcp_iflag_f32_e32 v1, v1
	s_mov_b32 s10, 0
	v_mul_f32_e32 v1, 0x4f7ffffe, v1
	v_cvt_u32_f32_e32 v1, v1
	s_nop 0
	v_readfirstlane_b32 s13, v1
	s_mul_i32 s3, s3, s13
	s_mul_hi_u32 s3, s13, s3
	s_add_i32 s13, s13, s3
	s_waitcnt lgkmcnt(0)
	s_cmp_eq_u64 s[8:9], 0
	s_mul_hi_u32 s24, s21, s13
	s_cbranch_scc1 .LBB28_2
; %bb.1:
	s_ashr_i32 s3, s2, 31
	s_lshl_b64 s[14:15], s[2:3], 2
	s_add_u32 s8, s8, s14
	s_addc_u32 s9, s9, s15
	s_load_dword s10, s[8:9], 0x0
.LBB28_2:
	s_load_dword s17, s[6:7], 0x0
	s_ashr_i32 s7, s12, 31
	s_load_dwordx4 s[12:15], s[0:1], 0x48
	v_lshrrev_b32_e32 v30, 2, v0
	s_ashr_i32 s6, s2, 31
	v_and_b32_e32 v31, 3, v0
	s_lshl_b32 s18, s2, 6
	v_cmp_gt_u32_e64 s[8:9], 64, v0
	v_lshlrev_b32_e32 v26, 2, v0
	v_lshlrev_b32_e32 v1, 2, v30
	s_and_saveexec_b64 s[2:3], s[8:9]
	s_cbranch_execz .LBB28_4
; %bb.3:
	s_load_dwordx2 s[22:23], s[0:1], 0x8
	s_waitcnt lgkmcnt(0)
	s_mul_i32 s26, s16, s12
	s_ashr_i32 s27, s26, 31
	s_lshl_b64 s[26:27], s[26:27], 2
	v_lshl_add_u32 v3, v31, 6, v1
	s_add_u32 s12, s22, s26
	s_addc_u32 s15, s23, s27
	s_ashr_i32 s19, s18, 31
	s_lshl_b64 s[22:23], s[18:19], 2
	s_add_u32 s22, s12, s22
	s_addc_u32 s23, s15, s23
	global_load_dword v2, v26, s[22:23]
	s_waitcnt vmcnt(0)
	ds_write_b32 v3, v2
.LBB28_4:
	s_or_b64 exec, exec, s[2:3]
	s_waitcnt lgkmcnt(0)
	s_add_i32 s3, s17, 15
	s_ashr_i32 s12, s3, 31
	s_lshr_b32 s12, s12, 28
	s_add_i32 s3, s3, s12
	s_ashr_i32 s19, s3, 4
	s_xor_b32 s3, s6, s7
	s_mul_i32 s6, s24, s20
	s_sub_i32 s6, s21, s6
	s_add_i32 s7, s24, 1
	s_sub_i32 s12, s6, s20
	s_load_dwordx2 s[22:23], s[0:1], 0x28
	s_load_dword s2, s[0:1], 0x38
	s_cmp_ge_u32 s6, s20
	s_cselect_b32 s7, s7, s24
	s_cselect_b32 s6, s12, s6
	s_add_i32 s12, s7, 1
	s_cmp_ge_u32 s6, s20
	s_cselect_b32 s6, s12, s7
	v_lshrrev_b32_e32 v32, 6, v0
	s_xor_b32 s6, s6, s3
	s_waitcnt lgkmcnt(0)
	s_mul_i32 s24, s16, s2
	s_sub_i32 s15, s6, s3
	s_ashr_i32 s25, s24, 31
	v_cmp_gt_i32_e64 s[2:3], s19, v32
	v_cmp_le_i32_e32 vcc, s19, v32
	v_mbcnt_lo_u32_b32 v20, -1, 0
	s_barrier
	s_waitcnt lgkmcnt(0)
                                        ; implicit-def: $sgpr30
                                        ; implicit-def: $vgpr22
                                        ; implicit-def: $vgpr23
	s_and_saveexec_b64 s[6:7], vcc
	s_xor_b64 s[6:7], exec, s[6:7]
; %bb.5:
	v_mbcnt_hi_u32_b32 v22, -1, v20
	v_and_b32_e32 v2, 64, v22
	v_add_u32_e32 v23, 64, v2
	s_mov_b32 s30, 0xff7fffff
                                        ; implicit-def: $vgpr20
; %bb.6:
	s_or_saveexec_b64 s[28:29], s[6:7]
	s_load_dwordx2 s[20:21], s[0:1], 0x0
	s_load_dwordx2 s[26:27], s[0:1], 0x18
	s_load_dword s12, s[0:1], 0x88
	v_mov_b32_e32 v24, s30
	s_mul_i32 s14, s15, s14
	v_lshrrev_b32_e32 v28, 4, v0
	s_xor_b64 exec, exec, s[28:29]
	s_cbranch_execz .LBB28_12
; %bb.7:
	s_load_dwordx2 s[0:1], s[0:1], 0x10
	s_ashr_i32 s15, s14, 31
	s_lshl_b64 s[6:7], s[14:15], 2
	v_bfe_u32 v21, v0, 2, 4
	v_mbcnt_hi_u32_b32 v22, -1, v20
	s_waitcnt lgkmcnt(0)
	s_add_u32 s0, s0, s6
	s_addc_u32 s1, s1, s7
	v_lshlrev_b32_e32 v34, 4, v21
	v_mov_b32_e32 v35, 0
	v_and_b32_e32 v20, 64, v22
	v_lshl_add_u64 v[2:3], s[0:1], 0, v[34:35]
	v_lshlrev_b32_e32 v34, 2, v31
	v_lshlrev_b32_e32 v14, 6, v31
	v_add_u32_e32 v23, 64, v20
	v_xor_b32_e32 v20, 2, v22
	v_lshl_add_u64 v[18:19], v[2:3], 0, v[34:35]
	ds_read_b128 v[2:5], v14
	ds_read_b128 v[6:9], v14 offset:16
	ds_read_b128 v[10:13], v14 offset:32
	;; [unrolled: 1-line block ×3, first 2 shown]
	v_cmp_lt_i32_e32 vcc, v20, v23
	s_sub_i32 s15, 1, s17
	s_lshl_b64 s[6:7], s[24:25], 2
	v_cndmask_b32_e32 v20, v22, v20, vcc
	v_lshlrev_b32_e32 v25, 2, v20
	v_xor_b32_e32 v20, 1, v22
	v_cmp_lt_i32_e32 vcc, v20, v23
	v_lshlrev_b32_e32 v24, 2, v21
	s_add_u32 s6, s22, s6
	v_cndmask_b32_e32 v20, v22, v20, vcc
	v_lshlrev_b32_e32 v27, 2, v20
	v_lshl_or_b32 v20, v32, 6, v24
	v_and_b32_e32 v34, 60, v28
	s_addc_u32 s7, s23, s7
	s_mov_b32 s33, s13
	v_cmp_eq_u32_e32 vcc, 0, v31
	v_cmp_neq_f32_e64 s[0:1], s10, 0
	v_lshl_or_b32 v29, v32, 4, v21
	v_add_u32_e32 v33, 0x110, v20
	v_lshl_add_u64 v[20:21], s[6:7], 0, v[34:35]
	s_mov_b64 s[30:31], 0
	v_mov_b32_e32 v24, 0xff7fffff
	v_mov_b32_e32 v34, v32
	s_branch .LBB28_9
.LBB28_8:                               ;   in Loop: Header=BB28_9 Depth=1
	s_or_b64 exec, exec, s[34:35]
	v_add_u32_e32 v34, 2, v34
	v_cmp_le_i32_e64 s[6:7], s19, v34
	v_add_u32_e32 v29, 32, v29
	v_add_u32_e32 v33, 0x80, v33
	s_or_b64 s[30:31], s[6:7], s[30:31]
	v_lshl_add_u64 v[20:21], v[20:21], 0, 8
	s_andn2_b64 exec, exec, s[30:31]
	s_cbranch_execz .LBB28_11
.LBB28_9:                               ; =>This Inner Loop Header: Depth=1
	global_load_dword v35, v[20:21], off
	s_waitcnt vmcnt(0) lgkmcnt(0)
	v_mad_i64_i32 v[36:37], s[6:7], v35, s33, 0
	v_lshl_add_u64 v[36:37], v[36:37], 2, v[18:19]
	global_load_dword v35, v[36:37], off offset:256
	global_load_dword v38, v[36:37], off
	global_load_dword v39, v[36:37], off offset:512
	global_load_dword v40, v[36:37], off offset:768
	;; [unrolled: 1-line block ×13, first 2 shown]
	s_nop 0
	global_load_dword v36, v[36:37], off offset:3840
	s_waitcnt vmcnt(15) lgkmcnt(3)
	v_mul_f32_e32 v35, v3, v35
	s_waitcnt vmcnt(14)
	v_fmac_f32_e32 v35, v2, v38
	s_waitcnt vmcnt(13)
	v_fmac_f32_e32 v35, v4, v39
	s_waitcnt vmcnt(12)
	v_fmac_f32_e32 v35, v5, v40
	s_waitcnt vmcnt(11) lgkmcnt(2)
	v_fmac_f32_e32 v35, v6, v41
	s_waitcnt vmcnt(10)
	v_fmac_f32_e32 v35, v7, v42
	s_waitcnt vmcnt(9)
	v_fmac_f32_e32 v35, v8, v43
	s_waitcnt vmcnt(8)
	v_fmac_f32_e32 v35, v9, v44
	s_waitcnt vmcnt(7) lgkmcnt(1)
	v_fmac_f32_e32 v35, v10, v45
	;; [unrolled: 8-line block ×3, first 2 shown]
	s_waitcnt vmcnt(2)
	v_fmac_f32_e32 v35, v15, v50
	s_waitcnt vmcnt(1)
	v_fmac_f32_e32 v35, v16, v51
	;; [unrolled: 2-line block ×3, first 2 shown]
	ds_bpermute_b32 v36, v25, v35
	s_waitcnt lgkmcnt(0)
	v_add_f32_e32 v35, v35, v36
	ds_bpermute_b32 v36, v27, v35
	s_and_saveexec_b64 s[34:35], vcc
	s_cbranch_execz .LBB28_8
; %bb.10:                               ;   in Loop: Header=BB28_9 Depth=1
	v_add_u32_e32 v37, s15, v29
	v_cvt_f32_i32_e32 v37, v37
	s_waitcnt lgkmcnt(0)
	v_add_f32_e32 v35, v35, v36
	v_cmp_gt_i32_e64 s[6:7], s17, v29
	v_max_f32_e32 v36, v24, v24
	v_mul_f32_e32 v37, s10, v37
	v_cndmask_b32_e64 v37, 0, v37, s[0:1]
	v_fmac_f32_e32 v37, s11, v35
	v_cndmask_b32_e64 v35, 0, v37, s[6:7]
	ds_write_b32 v33, v35
	v_max_f32_e32 v35, v36, v37
	v_cndmask_b32_e64 v24, v24, v35, s[6:7]
	s_branch .LBB28_8
.LBB28_11:
	s_or_b64 exec, exec, s[30:31]
.LBB28_12:
	s_or_b64 exec, exec, s[28:29]
	v_xor_b32_e32 v2, 32, v22
	v_cmp_lt_i32_e32 vcc, v2, v23
	v_xor_b32_e32 v5, 16, v22
	v_max_f32_e32 v4, v24, v24
	v_cndmask_b32_e32 v2, v22, v2, vcc
	v_lshlrev_b32_e32 v2, 2, v2
	ds_bpermute_b32 v3, v2, v24
	v_cmp_lt_i32_e32 vcc, v5, v23
	v_xor_b32_e32 v6, 8, v22
	v_xor_b32_e32 v7, 4, v22
	v_and_b32_e32 v33, 63, v0
	s_waitcnt lgkmcnt(0)
	v_max_f32_e32 v3, v3, v3
	v_max_f32_e32 v4, v4, v3
	v_cndmask_b32_e32 v3, v22, v5, vcc
	v_lshlrev_b32_e32 v3, 2, v3
	ds_bpermute_b32 v5, v3, v4
	v_cmp_lt_i32_e32 vcc, v6, v23
	s_waitcnt lgkmcnt(0)
	v_max_f32_e32 v5, v5, v5
	v_max_f32_e32 v4, v4, v5
	v_cndmask_b32_e32 v5, v22, v6, vcc
	v_lshlrev_b32_e32 v6, 2, v5
	ds_bpermute_b32 v5, v6, v4
	v_cmp_lt_i32_e32 vcc, v7, v23
	s_waitcnt lgkmcnt(0)
	v_max_f32_e32 v5, v5, v5
	v_max_f32_e32 v5, v4, v5
	v_cndmask_b32_e32 v4, v22, v7, vcc
	v_lshlrev_b32_e32 v7, 2, v4
	ds_bpermute_b32 v8, v7, v5
	v_cmp_eq_u32_e32 vcc, 0, v33
	v_lshlrev_b32_e32 v4, 2, v32
	s_and_saveexec_b64 s[0:1], vcc
	s_cbranch_execz .LBB28_14
; %bb.13:
	s_waitcnt lgkmcnt(0)
	v_max_f32_e32 v8, v8, v8
	v_max_f32_e32 v5, v5, v5
	;; [unrolled: 1-line block ×3, first 2 shown]
	ds_write_b32 v4, v5 offset:256
.LBB28_14:
	s_or_b64 exec, exec, s[0:1]
	v_cmp_gt_u32_e64 s[0:1], 2, v33
	s_waitcnt lgkmcnt(0)
	v_mov_b32_e32 v8, 0xff7fffff
	v_lshlrev_b32_e32 v5, 2, v33
	s_barrier
	s_and_saveexec_b64 s[6:7], s[0:1]
	s_cbranch_execz .LBB28_16
; %bb.15:
	ds_read_b32 v8, v5 offset:256
.LBB28_16:
	s_or_b64 exec, exec, s[6:7]
	v_xor_b32_e32 v9, 1, v22
	v_cmp_lt_i32_e64 s[6:7], v9, v23
	v_lshlrev_b32_e32 v10, 2, v22
	s_nop 0
	v_cndmask_b32_e64 v9, v22, v9, s[6:7]
	v_lshlrev_b32_e32 v34, 2, v9
	s_waitcnt lgkmcnt(0)
	ds_bpermute_b32 v9, v34, v8
	v_max_f32_e32 v8, v8, v8
	s_lshl_b32 s6, s19, 4
	s_min_i32 s15, s6, s17
	v_cmp_gt_i32_e64 s[6:7], s15, v0
	s_waitcnt lgkmcnt(0)
	v_max_f32_e32 v9, v9, v9
	v_max_f32_e32 v9, v8, v9
	v_and_b32_e32 v8, 0xffffff00, v10
	ds_bpermute_b32 v10, v8, v9
	v_mov_b32_e32 v9, 0
	s_and_saveexec_b64 s[28:29], s[6:7]
	s_cbranch_execz .LBB28_20
; %bb.17:
	v_mov_b32_e32 v9, 0x110
	v_lshl_add_u32 v11, v0, 2, v9
	s_mov_b64 s[30:31], 0
	v_mov_b32_e32 v9, 0
	v_mov_b32_e32 v12, v0
.LBB28_18:                              ; =>This Inner Loop Header: Depth=1
	ds_read_b32 v13, v11
	v_add_u32_e32 v12, 0x80, v12
	v_cmp_le_i32_e64 s[10:11], s15, v12
	s_or_b64 s[30:31], s[10:11], s[30:31]
	s_waitcnt lgkmcnt(0)
	v_sub_f32_e32 v13, v13, v10
	v_mul_f32_e32 v13, 0x3fb8aa3b, v13
	v_exp_f32_e32 v13, v13
	ds_write_b32 v11, v13
	v_add_f32_e32 v9, v9, v13
	v_add_u32_e32 v11, 0x200, v11
	s_andn2_b64 exec, exec, s[30:31]
	s_cbranch_execnz .LBB28_18
; %bb.19:
	s_or_b64 exec, exec, s[30:31]
.LBB28_20:
	s_or_b64 exec, exec, s[28:29]
	ds_bpermute_b32 v2, v2, v9
	s_waitcnt lgkmcnt(0)
	v_add_f32_e32 v2, v9, v2
	ds_bpermute_b32 v3, v3, v2
	s_waitcnt lgkmcnt(0)
	v_add_f32_e32 v2, v2, v3
	ds_bpermute_b32 v3, v6, v2
	v_xor_b32_e32 v6, 2, v22
	v_cmp_lt_i32_e64 s[10:11], v6, v23
	s_waitcnt lgkmcnt(0)
	v_add_f32_e32 v2, v2, v3
	ds_bpermute_b32 v3, v7, v2
	v_cndmask_b32_e64 v6, v22, v6, s[10:11]
	v_lshlrev_b32_e32 v35, 2, v6
	s_waitcnt lgkmcnt(0)
	v_add_f32_e32 v2, v2, v3
	ds_bpermute_b32 v3, v35, v2
	s_waitcnt lgkmcnt(0)
	v_add_f32_e32 v2, v2, v3
	ds_bpermute_b32 v3, v34, v2
	s_waitcnt lgkmcnt(0)
	v_add_f32_e32 v2, v2, v3
	s_and_saveexec_b64 s[10:11], vcc
	s_cbranch_execz .LBB28_22
; %bb.21:
	ds_write_b32 v4, v2 offset:264
.LBB28_22:
	s_or_b64 exec, exec, s[10:11]
	s_waitcnt lgkmcnt(0)
	s_barrier
	s_and_saveexec_b64 s[10:11], s[0:1]
	s_cbranch_execz .LBB28_24
; %bb.23:
	ds_read_b32 v2, v5 offset:264
.LBB28_24:
	s_or_b64 exec, exec, s[10:11]
	s_waitcnt lgkmcnt(0)
	ds_bpermute_b32 v3, v34, v2
	s_waitcnt lgkmcnt(0)
	v_add_f32_e32 v2, v2, v3
	ds_bpermute_b32 v2, v8, v2
	s_and_saveexec_b64 s[0:1], s[6:7]
	s_cbranch_execz .LBB28_37
; %bb.25:
	s_waitcnt lgkmcnt(0)
	v_add_f32_e32 v2, 0x358637bd, v2
	v_div_scale_f32 v3, s[6:7], v2, v2, 1.0
	v_rcp_f32_e32 v4, v3
	v_div_scale_f32 v5, vcc, 1.0, v2, 1.0
	s_movk_i32 s6, 0x7f
	v_fma_f32 v6, -v3, v4, 1.0
	v_fmac_f32_e32 v4, v6, v4
	v_mul_f32_e32 v6, v5, v4
	v_fma_f32 v7, -v3, v6, v5
	v_fmac_f32_e32 v6, v7, v4
	v_fma_f32 v3, -v3, v6, v5
	v_div_fmas_f32 v3, v3, v4, v6
	v_xad_u32 v4, v0, -1, s15
	v_div_fixup_f32 v2, v3, v2, 1.0
	v_cmp_lt_u32_e32 vcc, s6, v4
	s_mov_b64 s[10:11], -1
	v_mov_b32_e32 v3, v0
	s_and_saveexec_b64 s[6:7], vcc
	s_cbranch_execz .LBB28_34
; %bb.26:
	v_lshrrev_b32_e32 v4, 7, v4
	v_add_u32_e32 v6, -1, v4
	v_lshrrev_b32_e32 v5, 1, v6
	v_mov_b32_e32 v3, v2
	v_add_u32_e32 v5, 1, v5
	v_cmp_lt_u32_e32 vcc, 13, v6
	v_mov_b32_e32 v8, 0
	s_and_saveexec_b64 s[10:11], vcc
	s_cbranch_execz .LBB28_30
; %bb.27:
	v_mov_b32_e32 v7, 0x110
	v_and_b32_e32 v6, -8, v5
	v_lshl_add_u32 v7, v0, 2, v7
	s_mov_b32 s30, 0
	s_mov_b64 s[28:29], 0
.LBB28_28:                              ; =>This Inner Loop Header: Depth=1
	ds_read2st64_b32 v[8:9], v7 offset1:2
	ds_read2st64_b32 v[10:11], v7 offset0:4 offset1:6
	ds_read2st64_b32 v[12:13], v7 offset0:8 offset1:10
	ds_read2st64_b32 v[14:15], v7 offset0:12 offset1:14
	v_add_u32_e32 v6, -8, v6
	s_waitcnt lgkmcnt(3)
	v_pk_mul_f32 v[8:9], v[2:3], v[8:9]
	s_waitcnt lgkmcnt(2)
	v_pk_mul_f32 v[10:11], v[2:3], v[10:11]
	ds_write2st64_b32 v7, v8, v9 offset1:2
	ds_write2st64_b32 v7, v10, v11 offset0:4 offset1:6
	ds_read2st64_b32 v[10:11], v7 offset0:16 offset1:18
	s_waitcnt lgkmcnt(4)
	v_pk_mul_f32 v[8:9], v[2:3], v[12:13]
	ds_write2st64_b32 v7, v8, v9 offset0:8 offset1:10
	s_waitcnt lgkmcnt(4)
	v_pk_mul_f32 v[8:9], v[2:3], v[14:15]
	ds_write2st64_b32 v7, v8, v9 offset0:12 offset1:14
	ds_read2st64_b32 v[8:9], v7 offset0:20 offset1:22
	s_waitcnt lgkmcnt(3)
	v_pk_mul_f32 v[10:11], v[2:3], v[10:11]
	ds_read2st64_b32 v[12:13], v7 offset0:24 offset1:26
	ds_write2st64_b32 v7, v10, v11 offset0:16 offset1:18
	ds_read2st64_b32 v[10:11], v7 offset0:28 offset1:30
	s_waitcnt lgkmcnt(3)
	v_pk_mul_f32 v[8:9], v[2:3], v[8:9]
	ds_write2st64_b32 v7, v8, v9 offset0:20 offset1:22
	s_waitcnt lgkmcnt(3)
	v_pk_mul_f32 v[8:9], v[2:3], v[12:13]
	ds_write2st64_b32 v7, v8, v9 offset0:24 offset1:26
	s_waitcnt lgkmcnt(2)
	v_pk_mul_f32 v[8:9], v[2:3], v[10:11]
	s_add_i32 s30, s30, 16
	v_cmp_eq_u32_e32 vcc, 0, v6
	ds_write2st64_b32 v7, v8, v9 offset0:28 offset1:30
	v_add_u32_e32 v7, 0x2000, v7
	s_or_b64 s[28:29], vcc, s[28:29]
	v_mov_b32_e32 v8, s30
	s_andn2_b64 exec, exec, s[28:29]
	s_cbranch_execnz .LBB28_28
; %bb.29:
	s_or_b64 exec, exec, s[28:29]
.LBB28_30:
	s_or_b64 exec, exec, s[10:11]
	v_and_b32_e32 v5, 7, v5
	v_cmp_ne_u32_e32 vcc, 0, v5
	s_and_saveexec_b64 s[10:11], vcc
	s_cbranch_execz .LBB28_33
; %bb.31:
	v_lshlrev_b32_e32 v6, 9, v8
	s_movk_i32 s28, 0x110
	v_add3_u32 v6, v6, v26, s28
	s_mov_b64 s[28:29], 0
.LBB28_32:                              ; =>This Inner Loop Header: Depth=1
	ds_read2st64_b32 v[8:9], v6 offset1:2
	v_add_u32_e32 v5, -1, v5
	v_cmp_eq_u32_e32 vcc, 0, v5
	s_or_b64 s[28:29], vcc, s[28:29]
	s_waitcnt lgkmcnt(0)
	v_pk_mul_f32 v[8:9], v[2:3], v[8:9]
	ds_write2st64_b32 v6, v8, v9 offset1:2
	v_add_u32_e32 v6, 0x400, v6
	s_andn2_b64 exec, exec, s[28:29]
	s_cbranch_execnz .LBB28_32
.LBB28_33:
	s_or_b64 exec, exec, s[10:11]
	v_add_u32_e32 v4, 1, v4
	v_and_b32_e32 v5, 0x3fffffe, v4
	v_cmp_ne_u32_e32 vcc, v4, v5
	v_lshl_add_u32 v3, v5, 7, v0
	s_orn2_b64 s[10:11], vcc, exec
.LBB28_34:
	s_or_b64 exec, exec, s[6:7]
	s_and_b64 exec, exec, s[10:11]
	s_cbranch_execz .LBB28_37
; %bb.35:
	v_mov_b32_e32 v4, 0x110
	v_lshl_add_u32 v4, v3, 2, v4
	s_mov_b64 s[6:7], 0
.LBB28_36:                              ; =>This Inner Loop Header: Depth=1
	ds_read_b32 v5, v4
	v_add_u32_e32 v3, 0x80, v3
	v_cmp_le_i32_e32 vcc, s15, v3
	s_or_b64 s[6:7], vcc, s[6:7]
	s_waitcnt lgkmcnt(0)
	v_mul_f32_e32 v5, v2, v5
	ds_write_b32 v4, v5
	v_add_u32_e32 v4, 0x200, v4
	s_andn2_b64 exec, exec, s[6:7]
	s_cbranch_execnz .LBB28_36
.LBB28_37:
	s_or_b64 exec, exec, s[0:1]
	v_mov_b32_e32 v25, 0
	v_mov_b32_e32 v24, 0
	;; [unrolled: 1-line block ×4, first 2 shown]
	s_waitcnt lgkmcnt(0)
	s_barrier
	s_and_saveexec_b64 s[6:7], s[2:3]
	s_cbranch_execz .LBB28_49
; %bb.38:
	s_ashr_i32 s15, s14, 31
	s_lshl_b64 s[0:1], s[14:15], 2
	s_add_u32 s0, s26, s0
	v_lshlrev_b32_e32 v3, 4, v0
	s_addc_u32 s1, s27, s1
	v_and_b32_e32 v22, 0x3f0, v3
	v_mov_b32_e32 v23, 0
	v_and_b32_e32 v2, 12, v26
	s_add_i32 s14, s19, -1
	v_lshl_add_u64 v[26:27], s[0:1], 0, v[22:23]
	v_lshlrev_b32_e32 v3, 4, v32
	s_lshl_b64 s[0:1], s[24:25], 2
	v_or3_b32 v36, v3, v2, 3
	v_lshlrev_b32_e32 v2, 4, v31
	s_add_u32 s0, s22, s0
	v_lshl_or_b32 v2, v32, 6, v2
	v_and_b32_e32 v22, 60, v28
	s_addc_u32 s1, s23, s1
	v_add_u32_e32 v37, 0x110, v2
	v_lshl_add_u64 v[28:29], s[0:1], 0, v[22:23]
	s_mov_b64 s[2:3], 0
	v_mov_b32_e32 v22, v23
	v_mov_b32_e32 v24, v23
	;; [unrolled: 1-line block ×3, first 2 shown]
	s_branch .LBB28_40
.LBB28_39:                              ;   in Loop: Header=BB28_40 Depth=1
	s_or_b64 exec, exec, s[0:1]
	s_waitcnt vmcnt(3) lgkmcnt(0)
	v_mul_f32_e32 v7, v3, v7
	v_fmac_f32_e32 v7, v2, v6
	s_waitcnt vmcnt(2)
	v_mul_f32_e32 v6, v3, v11
	v_fmac_f32_e32 v6, v2, v10
	v_fmac_f32_e32 v6, v4, v12
	v_fmac_f32_e32 v6, v5, v13
	v_add_f32_e32 v23, v23, v6
	s_waitcnt vmcnt(1)
	v_mul_f32_e32 v6, v3, v15
	s_waitcnt vmcnt(0)
	v_mul_f32_e32 v3, v3, v19
	v_fmac_f32_e32 v6, v2, v14
	v_fmac_f32_e32 v3, v2, v18
	;; [unrolled: 1-line block ×5, first 2 shown]
	v_add_u32_e32 v32, 2, v32
	v_fmac_f32_e32 v7, v5, v9
	v_fmac_f32_e32 v6, v5, v17
	;; [unrolled: 1-line block ×3, first 2 shown]
	v_cmp_le_i32_e32 vcc, s19, v32
	v_add_f32_e32 v22, v22, v7
	v_add_f32_e32 v24, v24, v6
	;; [unrolled: 1-line block ×3, first 2 shown]
	v_add_u32_e32 v36, 32, v36
	v_add_u32_e32 v37, 0x80, v37
	s_or_b64 s[2:3], vcc, s[2:3]
	v_lshl_add_u64 v[28:29], v[28:29], 0, 8
	s_andn2_b64 exec, exec, s[2:3]
	s_cbranch_execz .LBB28_48
.LBB28_40:                              ; =>This Inner Loop Header: Depth=1
	global_load_dword v2, v[28:29], off
	v_add_u32_e32 v38, -3, v36
	v_cmp_eq_u32_e32 vcc, s14, v32
	v_add_u32_e32 v40, -2, v36
	v_add_u32_e32 v39, -1, v36
	s_waitcnt vmcnt(0)
	v_mad_i64_i32 v[2:3], s[0:1], v2, s13, 0
	v_lshl_add_u64 v[18:19], v[2:3], 2, v[26:27]
	global_load_dwordx4 v[6:9], v[18:19], off
	ds_read_b128 v[2:5], v37
	s_and_saveexec_b64 s[10:11], vcc
	s_cbranch_execnz .LBB28_44
; %bb.41:                               ;   in Loop: Header=BB28_40 Depth=1
	s_or_b64 exec, exec, s[10:11]
	global_load_dwordx4 v[10:13], v[18:19], off offset:1024
	s_and_saveexec_b64 s[10:11], vcc
	s_cbranch_execnz .LBB28_45
.LBB28_42:                              ;   in Loop: Header=BB28_40 Depth=1
	s_or_b64 exec, exec, s[10:11]
	global_load_dwordx4 v[14:17], v[18:19], off offset:2048
	s_and_saveexec_b64 s[10:11], vcc
	s_cbranch_execnz .LBB28_46
.LBB28_43:                              ;   in Loop: Header=BB28_40 Depth=1
	s_or_b64 exec, exec, s[10:11]
	global_load_dwordx4 v[18:21], v[18:19], off offset:3072
	s_and_saveexec_b64 s[0:1], vcc
	s_cbranch_execz .LBB28_39
	s_branch .LBB28_47
.LBB28_44:                              ;   in Loop: Header=BB28_40 Depth=1
	v_cmp_gt_i32_e64 s[0:1], s17, v38
	s_waitcnt vmcnt(0)
	s_nop 0
	v_cndmask_b32_e64 v6, 0, v6, s[0:1]
	v_cmp_gt_i32_e64 s[0:1], s17, v40
	s_nop 1
	v_cndmask_b32_e64 v7, 0, v7, s[0:1]
	v_cmp_gt_i32_e64 s[0:1], s17, v39
	s_nop 1
	v_cndmask_b32_e64 v8, 0, v8, s[0:1]
	v_cmp_gt_i32_e64 s[0:1], s17, v36
	s_nop 1
	v_cndmask_b32_e64 v9, 0, v9, s[0:1]
	s_or_b64 exec, exec, s[10:11]
	global_load_dwordx4 v[10:13], v[18:19], off offset:1024
	s_and_saveexec_b64 s[10:11], vcc
	s_cbranch_execz .LBB28_42
.LBB28_45:                              ;   in Loop: Header=BB28_40 Depth=1
	v_cmp_gt_i32_e64 s[0:1], s17, v38
	s_waitcnt vmcnt(0)
	s_nop 0
	v_cndmask_b32_e64 v10, 0, v10, s[0:1]
	v_cmp_gt_i32_e64 s[0:1], s17, v40
	s_nop 1
	v_cndmask_b32_e64 v11, 0, v11, s[0:1]
	v_cmp_gt_i32_e64 s[0:1], s17, v39
	;; [unrolled: 3-line block ×3, first 2 shown]
	s_nop 1
	v_cndmask_b32_e64 v13, 0, v13, s[0:1]
	s_or_b64 exec, exec, s[10:11]
	global_load_dwordx4 v[14:17], v[18:19], off offset:2048
	s_and_saveexec_b64 s[10:11], vcc
	s_cbranch_execz .LBB28_43
.LBB28_46:                              ;   in Loop: Header=BB28_40 Depth=1
	v_cmp_gt_i32_e64 s[0:1], s17, v38
	s_waitcnt vmcnt(0)
	s_nop 0
	v_cndmask_b32_e64 v14, 0, v14, s[0:1]
	v_cmp_gt_i32_e64 s[0:1], s17, v40
	s_nop 1
	v_cndmask_b32_e64 v15, 0, v15, s[0:1]
	v_cmp_gt_i32_e64 s[0:1], s17, v39
	s_nop 1
	v_cndmask_b32_e64 v16, 0, v16, s[0:1]
	v_cmp_gt_i32_e64 s[0:1], s17, v36
	s_nop 1
	v_cndmask_b32_e64 v17, 0, v17, s[0:1]
	s_or_b64 exec, exec, s[10:11]
	global_load_dwordx4 v[18:21], v[18:19], off offset:3072
	s_and_saveexec_b64 s[0:1], vcc
	s_cbranch_execz .LBB28_39
.LBB28_47:                              ;   in Loop: Header=BB28_40 Depth=1
	v_cmp_gt_i32_e32 vcc, s17, v38
	s_waitcnt vmcnt(0)
	s_nop 0
	v_cndmask_b32_e32 v18, 0, v18, vcc
	v_cmp_gt_i32_e32 vcc, s17, v40
	s_nop 1
	v_cndmask_b32_e32 v19, 0, v19, vcc
	v_cmp_gt_i32_e32 vcc, s17, v39
	;; [unrolled: 3-line block ×3, first 2 shown]
	s_nop 1
	v_cndmask_b32_e32 v21, 0, v21, vcc
	s_branch .LBB28_39
.LBB28_48:
	s_or_b64 exec, exec, s[2:3]
.LBB28_49:
	s_or_b64 exec, exec, s[6:7]
	ds_bpermute_b32 v2, v35, v22
	ds_bpermute_b32 v3, v35, v23
	;; [unrolled: 1-line block ×4, first 2 shown]
	v_and_b32_e32 v0, 0x3c3, v0
	v_cmp_eq_u32_e32 vcc, 64, v0
	s_waitcnt lgkmcnt(2)
	v_pk_add_f32 v[2:3], v[22:23], v[2:3]
	ds_bpermute_b32 v6, v34, v2
	s_waitcnt lgkmcnt(1)
	v_pk_add_f32 v[4:5], v[24:25], v[4:5]
	ds_bpermute_b32 v7, v34, v3
	ds_bpermute_b32 v8, v34, v4
	;; [unrolled: 1-line block ×3, first 2 shown]
	s_waitcnt lgkmcnt(0)
	s_barrier
	v_pk_add_f32 v[2:3], v[2:3], v[6:7]
	v_pk_add_f32 v[4:5], v[4:5], v[8:9]
	s_and_saveexec_b64 s[0:1], vcc
	s_cbranch_execz .LBB28_51
; %bb.50:
	v_add_u32_e32 v6, 0x110, v33
	ds_write2_b32 v6, v2, v3 offset1:16
	ds_write2_b32 v6, v4, v5 offset0:32 offset1:48
.LBB28_51:
	s_or_b64 exec, exec, s[0:1]
	s_waitcnt lgkmcnt(0)
	s_barrier
	s_and_saveexec_b64 s[0:1], s[8:9]
	s_cbranch_execz .LBB28_58
; %bb.52:
	v_cmp_eq_u32_e32 vcc, 0, v31
	s_and_saveexec_b64 s[2:3], vcc
	s_cbranch_execnz .LBB28_61
; %bb.53:
	s_or_b64 exec, exec, s[2:3]
	s_and_saveexec_b64 s[2:3], vcc
	s_cbranch_execnz .LBB28_62
.LBB28_54:
	s_or_b64 exec, exec, s[2:3]
	s_and_saveexec_b64 s[2:3], vcc
	s_cbranch_execnz .LBB28_63
.LBB28_55:
	s_or_b64 exec, exec, s[2:3]
	s_and_saveexec_b64 s[2:3], vcc
	s_cbranch_execz .LBB28_57
.LBB28_56:
	v_mov_b32_e32 v6, 0x110
	v_lshl_add_u32 v6, v30, 2, v6
	ds_read_b32 v6, v6 offset:192
	s_waitcnt lgkmcnt(0)
	v_add_f32_e32 v5, v5, v6
.LBB28_57:
	s_or_b64 exec, exec, s[2:3]
.LBB28_58:
	s_or_b64 exec, exec, s[0:1]
	v_cmp_eq_u32_e32 vcc, 0, v0
	s_barrier
	s_and_saveexec_b64 s[0:1], vcc
	s_cbranch_execz .LBB28_60
; %bb.59:
	s_mul_i32 s0, s16, s12
	s_mul_i32 s0, s0, s5
	s_lshl_b32 s0, s0, 6
	s_ashr_i32 s1, s0, 31
	s_lshl_b64 s[0:1], s[0:1], 2
	s_add_u32 s2, s20, s0
	s_mul_i32 s0, s12, s18
	s_addc_u32 s3, s21, s1
	s_ashr_i32 s1, s0, 31
	s_lshl_b64 s[0:1], s[0:1], 2
	s_add_u32 s2, s2, s0
	s_addc_u32 s3, s3, s1
	s_lshl_b32 s0, s4, 6
	s_ashr_i32 s1, s0, 31
	s_lshl_b64 s[0:1], s[0:1], 2
	s_add_u32 s0, s2, s0
	s_addc_u32 s1, s3, s1
	global_store_dword v1, v2, s[0:1]
	global_store_dword v1, v3, s[0:1] offset:64
	global_store_dword v1, v4, s[0:1] offset:128
	;; [unrolled: 1-line block ×3, first 2 shown]
.LBB28_60:
	s_endpgm
.LBB28_61:
	v_mov_b32_e32 v6, 0x110
	v_lshl_add_u32 v6, v30, 2, v6
	ds_read_b32 v6, v6
	s_waitcnt lgkmcnt(0)
	v_add_f32_e32 v2, v2, v6
	s_or_b64 exec, exec, s[2:3]
	s_and_saveexec_b64 s[2:3], vcc
	s_cbranch_execz .LBB28_54
.LBB28_62:
	v_mov_b32_e32 v6, 0x110
	v_lshl_add_u32 v6, v30, 2, v6
	ds_read_b32 v6, v6 offset:64
	s_waitcnt lgkmcnt(0)
	v_add_f32_e32 v3, v3, v6
	s_or_b64 exec, exec, s[2:3]
	s_and_saveexec_b64 s[2:3], vcc
	s_cbranch_execz .LBB28_55
.LBB28_63:
	v_mov_b32_e32 v6, 0x110
	v_lshl_add_u32 v6, v30, 2, v6
	ds_read_b32 v6, v6 offset:128
	s_waitcnt lgkmcnt(0)
	v_add_f32_e32 v4, v4, v6
	s_or_b64 exec, exec, s[2:3]
	s_and_saveexec_b64 s[2:3], vcc
	s_cbranch_execnz .LBB28_56
	s_branch .LBB28_57
	.section	.rodata,"a",@progbits
	.p2align	6, 0x0
	.amdhsa_kernel _ZN4vllm25paged_attention_v1_kernelIffLi64ELi16ELi128ELNS_18Fp8KVCacheDataTypeE0ELb0EEEvPT_PKS2_PKT0_S8_ifPKiSA_iPKfiiiSC_SC_iiiii
		.amdhsa_group_segment_fixed_size 272
		.amdhsa_private_segment_fixed_size 0
		.amdhsa_kernarg_size 384
		.amdhsa_user_sgpr_count 2
		.amdhsa_user_sgpr_dispatch_ptr 0
		.amdhsa_user_sgpr_queue_ptr 0
		.amdhsa_user_sgpr_kernarg_segment_ptr 1
		.amdhsa_user_sgpr_dispatch_id 0
		.amdhsa_user_sgpr_kernarg_preload_length 0
		.amdhsa_user_sgpr_kernarg_preload_offset 0
		.amdhsa_user_sgpr_private_segment_size 0
		.amdhsa_uses_dynamic_stack 0
		.amdhsa_enable_private_segment 0
		.amdhsa_system_sgpr_workgroup_id_x 1
		.amdhsa_system_sgpr_workgroup_id_y 1
		.amdhsa_system_sgpr_workgroup_id_z 1
		.amdhsa_system_sgpr_workgroup_info 0
		.amdhsa_system_vgpr_workitem_id 0
		.amdhsa_next_free_vgpr 52
		.amdhsa_next_free_sgpr 36
		.amdhsa_accum_offset 52
		.amdhsa_reserve_vcc 1
		.amdhsa_float_round_mode_32 0
		.amdhsa_float_round_mode_16_64 0
		.amdhsa_float_denorm_mode_32 3
		.amdhsa_float_denorm_mode_16_64 3
		.amdhsa_dx10_clamp 1
		.amdhsa_ieee_mode 1
		.amdhsa_fp16_overflow 0
		.amdhsa_tg_split 0
		.amdhsa_exception_fp_ieee_invalid_op 0
		.amdhsa_exception_fp_denorm_src 0
		.amdhsa_exception_fp_ieee_div_zero 0
		.amdhsa_exception_fp_ieee_overflow 0
		.amdhsa_exception_fp_ieee_underflow 0
		.amdhsa_exception_fp_ieee_inexact 0
		.amdhsa_exception_int_div_zero 0
	.end_amdhsa_kernel
	.section	.text._ZN4vllm25paged_attention_v1_kernelIffLi64ELi16ELi128ELNS_18Fp8KVCacheDataTypeE0ELb0EEEvPT_PKS2_PKT0_S8_ifPKiSA_iPKfiiiSC_SC_iiiii,"axG",@progbits,_ZN4vllm25paged_attention_v1_kernelIffLi64ELi16ELi128ELNS_18Fp8KVCacheDataTypeE0ELb0EEEvPT_PKS2_PKT0_S8_ifPKiSA_iPKfiiiSC_SC_iiiii,comdat
.Lfunc_end28:
	.size	_ZN4vllm25paged_attention_v1_kernelIffLi64ELi16ELi128ELNS_18Fp8KVCacheDataTypeE0ELb0EEEvPT_PKS2_PKT0_S8_ifPKiSA_iPKfiiiSC_SC_iiiii, .Lfunc_end28-_ZN4vllm25paged_attention_v1_kernelIffLi64ELi16ELi128ELNS_18Fp8KVCacheDataTypeE0ELb0EEEvPT_PKS2_PKT0_S8_ifPKiSA_iPKfiiiSC_SC_iiiii
                                        ; -- End function
	.section	.AMDGPU.csdata,"",@progbits
; Kernel info:
; codeLenInByte = 3952
; NumSgprs: 42
; NumVgprs: 52
; NumAgprs: 0
; TotalNumVgprs: 52
; ScratchSize: 0
; MemoryBound: 0
; FloatMode: 240
; IeeeMode: 1
; LDSByteSize: 272 bytes/workgroup (compile time only)
; SGPRBlocks: 5
; VGPRBlocks: 6
; NumSGPRsForWavesPerEU: 42
; NumVGPRsForWavesPerEU: 52
; AccumOffset: 52
; Occupancy: 8
; WaveLimiterHint : 1
; COMPUTE_PGM_RSRC2:SCRATCH_EN: 0
; COMPUTE_PGM_RSRC2:USER_SGPR: 2
; COMPUTE_PGM_RSRC2:TRAP_HANDLER: 0
; COMPUTE_PGM_RSRC2:TGID_X_EN: 1
; COMPUTE_PGM_RSRC2:TGID_Y_EN: 1
; COMPUTE_PGM_RSRC2:TGID_Z_EN: 1
; COMPUTE_PGM_RSRC2:TIDIG_COMP_CNT: 0
; COMPUTE_PGM_RSRC3_GFX90A:ACCUM_OFFSET: 12
; COMPUTE_PGM_RSRC3_GFX90A:TG_SPLIT: 0
	.section	.text._ZN4vllm25paged_attention_v1_kernelIffLi80ELi16ELi128ELNS_18Fp8KVCacheDataTypeE0ELb0EEEvPT_PKS2_PKT0_S8_ifPKiSA_iPKfiiiSC_SC_iiiii,"axG",@progbits,_ZN4vllm25paged_attention_v1_kernelIffLi80ELi16ELi128ELNS_18Fp8KVCacheDataTypeE0ELb0EEEvPT_PKS2_PKT0_S8_ifPKiSA_iPKfiiiSC_SC_iiiii,comdat
	.protected	_ZN4vllm25paged_attention_v1_kernelIffLi80ELi16ELi128ELNS_18Fp8KVCacheDataTypeE0ELb0EEEvPT_PKS2_PKT0_S8_ifPKiSA_iPKfiiiSC_SC_iiiii ; -- Begin function _ZN4vllm25paged_attention_v1_kernelIffLi80ELi16ELi128ELNS_18Fp8KVCacheDataTypeE0ELb0EEEvPT_PKS2_PKT0_S8_ifPKiSA_iPKfiiiSC_SC_iiiii
	.globl	_ZN4vllm25paged_attention_v1_kernelIffLi80ELi16ELi128ELNS_18Fp8KVCacheDataTypeE0ELb0EEEvPT_PKS2_PKT0_S8_ifPKiSA_iPKfiiiSC_SC_iiiii
	.p2align	8
	.type	_ZN4vllm25paged_attention_v1_kernelIffLi80ELi16ELi128ELNS_18Fp8KVCacheDataTypeE0ELb0EEEvPT_PKS2_PKT0_S8_ifPKiSA_iPKfiiiSC_SC_iiiii,@function
_ZN4vllm25paged_attention_v1_kernelIffLi80ELi16ELi128ELNS_18Fp8KVCacheDataTypeE0ELb0EEEvPT_PKS2_PKT0_S8_ifPKiSA_iPKfiiiSC_SC_iiiii: ; @_ZN4vllm25paged_attention_v1_kernelIffLi80ELi16ELi128ELNS_18Fp8KVCacheDataTypeE0ELb0EEEvPT_PKS2_PKT0_S8_ifPKiSA_iPKfiiiSC_SC_iiiii
; %bb.0:
	s_load_dword s5, s[0:1], 0x80
	s_load_dwordx2 s[6:7], s[0:1], 0x30
	s_load_dwordx2 s[8:9], s[0:1], 0x20
	s_mov_b32 s10, s3
	s_ashr_i32 s11, s3, 31
	s_lshl_b64 s[12:13], s[10:11], 2
	s_waitcnt lgkmcnt(0)
	s_add_u32 s6, s6, s12
	s_addc_u32 s7, s7, s13
	s_abs_i32 s3, s8
	v_cvt_f32_u32_e32 v1, s3
	s_sub_i32 s12, 0, s3
	s_abs_i32 s11, s5
	s_xor_b32 s8, s5, s8
	v_rcp_iflag_f32_e32 v1, v1
	s_ashr_i32 s8, s8, 31
	v_mul_f32_e32 v1, 0x4f7ffffe, v1
	v_cvt_u32_f32_e32 v1, v1
	s_nop 0
	v_readfirstlane_b32 s13, v1
	s_mul_i32 s12, s12, s13
	s_mul_hi_u32 s12, s13, s12
	s_add_i32 s13, s13, s12
	s_mul_hi_u32 s12, s11, s13
	s_mul_i32 s13, s12, s3
	s_sub_i32 s11, s11, s13
	s_add_i32 s13, s12, 1
	s_sub_i32 s14, s11, s3
	s_cmp_ge_u32 s11, s3
	s_cselect_b32 s12, s13, s12
	s_cselect_b32 s11, s14, s11
	s_add_i32 s13, s12, 1
	s_cmp_ge_u32 s11, s3
	s_cselect_b32 s3, s13, s12
	s_xor_b32 s3, s3, s8
	s_sub_i32 s14, s3, s8
	s_abs_i32 s11, s14
	v_cvt_f32_u32_e32 v1, s11
	s_load_dwordx2 s[12:13], s[0:1], 0x40
	s_sub_i32 s3, 0, s11
	s_abs_i32 s18, s2
	v_rcp_iflag_f32_e32 v1, v1
	s_mov_b32 s8, 0
	v_mul_f32_e32 v1, 0x4f7ffffe, v1
	v_cvt_u32_f32_e32 v1, v1
	s_nop 0
	v_readfirstlane_b32 s15, v1
	s_mul_i32 s3, s3, s15
	s_mul_hi_u32 s3, s15, s3
	s_add_i32 s15, s15, s3
	s_waitcnt lgkmcnt(0)
	s_cmp_eq_u64 s[12:13], 0
	s_mul_hi_u32 s19, s18, s15
	s_cbranch_scc1 .LBB29_2
; %bb.1:
	s_ashr_i32 s3, s2, 31
	s_lshl_b64 s[16:17], s[2:3], 2
	s_add_u32 s12, s12, s16
	s_addc_u32 s13, s13, s17
	s_load_dword s8, s[12:13], 0x0
.LBB29_2:
	s_load_dword s33, s[6:7], 0x0
	s_ashr_i32 s7, s14, 31
	s_load_dwordx4 s[12:15], s[0:1], 0x48
	v_lshrrev_b32_e32 v36, 2, v0
	s_waitcnt lgkmcnt(0)
	s_movk_i32 s15, 0x50
	s_ashr_i32 s6, s2, 31
	v_and_b32_e32 v37, 3, v0
	s_mul_i32 s16, s2, 0x50
	v_cmp_gt_u32_e32 vcc, s15, v0
	v_lshlrev_b32_e32 v30, 2, v0
	v_lshlrev_b32_e32 v1, 2, v36
	s_and_saveexec_b64 s[2:3], vcc
	s_cbranch_execz .LBB29_4
; %bb.3:
	s_load_dwordx2 s[20:21], s[0:1], 0x8
	s_mul_i32 s22, s10, s12
	s_ashr_i32 s23, s22, 31
	s_lshl_b64 s[22:23], s[22:23], 2
	v_mad_u32_u24 v3, v37, s15, v1
	s_waitcnt lgkmcnt(0)
	s_add_u32 s12, s20, s22
	s_addc_u32 s22, s21, s23
	s_ashr_i32 s17, s16, 31
	s_lshl_b64 s[20:21], s[16:17], 2
	s_add_u32 s20, s12, s20
	s_addc_u32 s21, s22, s21
	global_load_dword v2, v30, s[20:21]
	s_waitcnt vmcnt(0)
	ds_write_b32 v3, v2
.LBB29_4:
	s_or_b64 exec, exec, s[2:3]
	s_add_i32 s3, s33, 15
	s_ashr_i32 s12, s3, 31
	s_lshr_b32 s12, s12, 28
	s_add_i32 s3, s3, s12
	s_ashr_i32 s17, s3, 4
	s_xor_b32 s3, s6, s7
	s_mul_i32 s6, s19, s11
	s_sub_i32 s6, s18, s6
	s_add_i32 s7, s19, 1
	s_sub_i32 s12, s6, s11
	s_load_dwordx2 s[20:21], s[0:1], 0x28
	s_load_dword s2, s[0:1], 0x38
	s_cmp_ge_u32 s6, s11
	s_cselect_b32 s7, s7, s19
	s_cselect_b32 s6, s12, s6
	s_add_i32 s12, s7, 1
	s_cmp_ge_u32 s6, s11
	s_cselect_b32 s6, s12, s7
	v_lshrrev_b32_e32 v38, 6, v0
	s_xor_b32 s6, s6, s3
	s_waitcnt lgkmcnt(0)
	s_mul_i32 s22, s10, s2
	s_sub_i32 s12, s6, s3
	s_ashr_i32 s23, s22, 31
	v_cmp_gt_i32_e64 s[2:3], s17, v38
	v_cmp_le_i32_e32 vcc, s17, v38
	v_mbcnt_lo_u32_b32 v24, -1, 0
	s_barrier
	s_waitcnt lgkmcnt(0)
                                        ; implicit-def: $sgpr15
                                        ; implicit-def: $vgpr26
                                        ; implicit-def: $vgpr27
	s_and_saveexec_b64 s[6:7], vcc
	s_xor_b64 s[6:7], exec, s[6:7]
; %bb.5:
	v_mbcnt_hi_u32_b32 v26, -1, v24
	v_and_b32_e32 v2, 64, v26
	v_add_u32_e32 v27, 64, v2
	s_mov_b32 s15, 0xff7fffff
                                        ; implicit-def: $vgpr24
; %bb.6:
	s_or_saveexec_b64 s[26:27], s[6:7]
	s_load_dwordx2 s[18:19], s[0:1], 0x0
	s_load_dwordx2 s[24:25], s[0:1], 0x18
	s_load_dword s11, s[0:1], 0x88
	v_mov_b32_e32 v28, s15
	s_mul_i32 s14, s12, s14
	v_lshrrev_b32_e32 v32, 4, v0
	s_xor_b64 exec, exec, s[26:27]
	s_cbranch_execz .LBB29_12
; %bb.7:
	s_load_dwordx2 s[0:1], s[0:1], 0x10
	s_ashr_i32 s15, s14, 31
	s_lshl_b64 s[6:7], s[14:15], 2
	v_bfe_u32 v25, v0, 2, 4
	v_lshlrev_b32_e32 v40, 4, v25
	s_waitcnt lgkmcnt(0)
	s_add_u32 s0, s0, s6
	s_addc_u32 s1, s1, s7
	v_mov_b32_e32 v41, 0
	v_mbcnt_hi_u32_b32 v26, -1, v24
	v_lshl_add_u64 v[2:3], s[0:1], 0, v[40:41]
	v_lshlrev_b32_e32 v40, 2, v37
	v_mul_u32_u24_e32 v18, 0x50, v37
	v_and_b32_e32 v24, 64, v26
	v_lshl_add_u64 v[22:23], v[2:3], 0, v[40:41]
	ds_read_b128 v[2:5], v18
	ds_read_b128 v[6:9], v18 offset:16
	ds_read_b128 v[10:13], v18 offset:32
	;; [unrolled: 1-line block ×4, first 2 shown]
	v_add_u32_e32 v27, 64, v24
	v_xor_b32_e32 v24, 2, v26
	v_cmp_lt_i32_e32 vcc, v24, v27
	s_sub_i32 s15, 1, s33
	s_lshl_b64 s[6:7], s[22:23], 2
	v_cndmask_b32_e32 v24, v26, v24, vcc
	v_lshlrev_b32_e32 v29, 2, v24
	v_xor_b32_e32 v24, 1, v26
	v_cmp_lt_i32_e32 vcc, v24, v27
	v_lshlrev_b32_e32 v28, 2, v25
	s_add_u32 s6, s20, s6
	v_cndmask_b32_e32 v24, v26, v24, vcc
	v_lshlrev_b32_e32 v31, 2, v24
	v_lshl_or_b32 v24, v38, 6, v28
	v_and_b32_e32 v40, 60, v32
	s_addc_u32 s7, s21, s7
	s_mov_b32 s12, s13
	v_cmp_eq_u32_e32 vcc, 0, v37
	v_cmp_neq_f32_e64 s[0:1], s8, 0
	v_lshl_or_b32 v33, v38, 4, v25
	v_add_u32_e32 v34, 0x150, v24
	v_lshl_add_u64 v[24:25], s[6:7], 0, v[40:41]
	s_mov_b64 s[28:29], 0
	v_mov_b32_e32 v28, 0xff7fffff
	s_movk_i32 s34, 0x1000
	v_mov_b32_e32 v35, v38
	s_branch .LBB29_9
.LBB29_8:                               ;   in Loop: Header=BB29_9 Depth=1
	s_or_b64 exec, exec, s[30:31]
	v_add_u32_e32 v35, 2, v35
	v_cmp_le_i32_e64 s[6:7], s17, v35
	v_add_u32_e32 v33, 32, v33
	v_add_u32_e32 v34, 0x80, v34
	s_or_b64 s[28:29], s[6:7], s[28:29]
	v_lshl_add_u64 v[24:25], v[24:25], 0, 8
	s_andn2_b64 exec, exec, s[28:29]
	s_cbranch_execz .LBB29_11
.LBB29_9:                               ; =>This Inner Loop Header: Depth=1
	global_load_dword v39, v[24:25], off
	s_waitcnt vmcnt(0) lgkmcnt(0)
	v_mad_i64_i32 v[40:41], s[6:7], v39, s12, 0
	v_lshl_add_u64 v[40:41], v[40:41], 2, v[22:23]
	global_load_dword v39, v[40:41], off
	global_load_dword v42, v[40:41], off offset:256
	global_load_dword v43, v[40:41], off offset:512
	;; [unrolled: 1-line block ×15, first 2 shown]
	v_add_co_u32_e64 v40, s[6:7], s34, v40
	s_nop 1
	v_addc_co_u32_e64 v41, s[6:7], 0, v41, s[6:7]
	global_load_dword v57, v[40:41], off
	global_load_dword v58, v[40:41], off offset:256
	global_load_dword v59, v[40:41], off offset:512
	;; [unrolled: 1-line block ×3, first 2 shown]
	s_waitcnt vmcnt(18) lgkmcnt(4)
	v_mul_f32_e32 v40, v3, v42
	v_fmac_f32_e32 v40, v2, v39
	s_waitcnt vmcnt(17)
	v_fmac_f32_e32 v40, v4, v43
	s_waitcnt vmcnt(16)
	v_fmac_f32_e32 v40, v5, v44
	s_waitcnt vmcnt(15) lgkmcnt(3)
	v_fmac_f32_e32 v40, v6, v45
	s_waitcnt vmcnt(14)
	v_fmac_f32_e32 v40, v7, v46
	s_waitcnt vmcnt(13)
	v_fmac_f32_e32 v40, v8, v47
	s_waitcnt vmcnt(12)
	v_fmac_f32_e32 v40, v9, v48
	s_waitcnt vmcnt(11) lgkmcnt(2)
	v_fmac_f32_e32 v40, v10, v49
	s_waitcnt vmcnt(10)
	;; [unrolled: 8-line block ×4, first 2 shown]
	v_fmac_f32_e32 v40, v19, v58
	s_waitcnt vmcnt(1)
	v_fmac_f32_e32 v40, v20, v59
	s_waitcnt vmcnt(0)
	v_fmac_f32_e32 v40, v21, v60
	ds_bpermute_b32 v39, v29, v40
	s_waitcnt lgkmcnt(0)
	v_add_f32_e32 v39, v40, v39
	ds_bpermute_b32 v40, v31, v39
	s_and_saveexec_b64 s[30:31], vcc
	s_cbranch_execz .LBB29_8
; %bb.10:                               ;   in Loop: Header=BB29_9 Depth=1
	v_add_u32_e32 v41, s15, v33
	v_cvt_f32_i32_e32 v41, v41
	s_waitcnt lgkmcnt(0)
	v_add_f32_e32 v39, v39, v40
	v_cmp_gt_i32_e64 s[6:7], s33, v33
	v_max_f32_e32 v40, v28, v28
	v_mul_f32_e32 v41, s8, v41
	v_cndmask_b32_e64 v41, 0, v41, s[0:1]
	v_fmac_f32_e32 v41, s9, v39
	v_cndmask_b32_e64 v39, 0, v41, s[6:7]
	ds_write_b32 v34, v39
	v_max_f32_e32 v39, v40, v41
	v_cndmask_b32_e64 v28, v28, v39, s[6:7]
	s_branch .LBB29_8
.LBB29_11:
	s_or_b64 exec, exec, s[28:29]
.LBB29_12:
	s_or_b64 exec, exec, s[26:27]
	v_xor_b32_e32 v2, 32, v26
	v_cmp_lt_i32_e32 vcc, v2, v27
	v_xor_b32_e32 v5, 16, v26
	v_max_f32_e32 v4, v28, v28
	v_cndmask_b32_e32 v2, v26, v2, vcc
	v_lshlrev_b32_e32 v2, 2, v2
	ds_bpermute_b32 v3, v2, v28
	v_cmp_lt_i32_e32 vcc, v5, v27
	v_xor_b32_e32 v6, 8, v26
	v_xor_b32_e32 v7, 4, v26
	v_and_b32_e32 v39, 63, v0
	s_waitcnt lgkmcnt(0)
	v_max_f32_e32 v3, v3, v3
	v_max_f32_e32 v4, v4, v3
	v_cndmask_b32_e32 v3, v26, v5, vcc
	v_lshlrev_b32_e32 v3, 2, v3
	ds_bpermute_b32 v5, v3, v4
	v_cmp_lt_i32_e32 vcc, v6, v27
	s_waitcnt lgkmcnt(0)
	v_max_f32_e32 v5, v5, v5
	v_max_f32_e32 v4, v4, v5
	v_cndmask_b32_e32 v5, v26, v6, vcc
	v_lshlrev_b32_e32 v6, 2, v5
	ds_bpermute_b32 v5, v6, v4
	v_cmp_lt_i32_e32 vcc, v7, v27
	s_waitcnt lgkmcnt(0)
	v_max_f32_e32 v5, v5, v5
	v_max_f32_e32 v5, v4, v5
	v_cndmask_b32_e32 v4, v26, v7, vcc
	v_lshlrev_b32_e32 v7, 2, v4
	ds_bpermute_b32 v8, v7, v5
	v_cmp_eq_u32_e32 vcc, 0, v39
	v_lshlrev_b32_e32 v4, 2, v38
	s_and_saveexec_b64 s[0:1], vcc
	s_cbranch_execz .LBB29_14
; %bb.13:
	s_waitcnt lgkmcnt(0)
	v_max_f32_e32 v8, v8, v8
	v_max_f32_e32 v5, v5, v5
	;; [unrolled: 1-line block ×3, first 2 shown]
	ds_write_b32 v4, v5 offset:320
.LBB29_14:
	s_or_b64 exec, exec, s[0:1]
	v_cmp_gt_u32_e64 s[0:1], 2, v39
	s_waitcnt lgkmcnt(0)
	v_mov_b32_e32 v8, 0xff7fffff
	v_lshlrev_b32_e32 v5, 2, v39
	s_barrier
	s_and_saveexec_b64 s[6:7], s[0:1]
	s_cbranch_execz .LBB29_16
; %bb.15:
	ds_read_b32 v8, v5 offset:320
.LBB29_16:
	s_or_b64 exec, exec, s[6:7]
	v_xor_b32_e32 v9, 1, v26
	v_cmp_lt_i32_e64 s[6:7], v9, v27
	v_lshlrev_b32_e32 v10, 2, v26
	s_nop 0
	v_cndmask_b32_e64 v9, v26, v9, s[6:7]
	v_lshlrev_b32_e32 v40, 2, v9
	s_waitcnt lgkmcnt(0)
	ds_bpermute_b32 v9, v40, v8
	v_max_f32_e32 v8, v8, v8
	s_lshl_b32 s6, s17, 4
	s_min_i32 s12, s6, s33
	v_cmp_gt_i32_e64 s[6:7], s12, v0
	s_waitcnt lgkmcnt(0)
	v_max_f32_e32 v9, v9, v9
	v_max_f32_e32 v9, v8, v9
	v_and_b32_e32 v8, 0xffffff00, v10
	ds_bpermute_b32 v10, v8, v9
	v_mov_b32_e32 v9, 0
	s_and_saveexec_b64 s[26:27], s[6:7]
	s_cbranch_execz .LBB29_20
; %bb.17:
	v_mov_b32_e32 v9, 0x150
	v_lshl_add_u32 v11, v0, 2, v9
	s_mov_b64 s[28:29], 0
	v_mov_b32_e32 v9, 0
	v_mov_b32_e32 v12, v0
.LBB29_18:                              ; =>This Inner Loop Header: Depth=1
	ds_read_b32 v13, v11
	v_add_u32_e32 v12, 0x80, v12
	v_cmp_le_i32_e64 s[8:9], s12, v12
	s_or_b64 s[28:29], s[8:9], s[28:29]
	s_waitcnt lgkmcnt(0)
	v_sub_f32_e32 v13, v13, v10
	v_mul_f32_e32 v13, 0x3fb8aa3b, v13
	v_exp_f32_e32 v13, v13
	ds_write_b32 v11, v13
	v_add_f32_e32 v9, v9, v13
	v_add_u32_e32 v11, 0x200, v11
	s_andn2_b64 exec, exec, s[28:29]
	s_cbranch_execnz .LBB29_18
; %bb.19:
	s_or_b64 exec, exec, s[28:29]
.LBB29_20:
	s_or_b64 exec, exec, s[26:27]
	ds_bpermute_b32 v2, v2, v9
	s_waitcnt lgkmcnt(0)
	v_add_f32_e32 v2, v9, v2
	ds_bpermute_b32 v3, v3, v2
	s_waitcnt lgkmcnt(0)
	v_add_f32_e32 v2, v2, v3
	ds_bpermute_b32 v3, v6, v2
	v_xor_b32_e32 v6, 2, v26
	v_cmp_lt_i32_e64 s[8:9], v6, v27
	s_waitcnt lgkmcnt(0)
	v_add_f32_e32 v2, v2, v3
	ds_bpermute_b32 v3, v7, v2
	v_cndmask_b32_e64 v6, v26, v6, s[8:9]
	v_lshlrev_b32_e32 v41, 2, v6
	s_waitcnt lgkmcnt(0)
	v_add_f32_e32 v2, v2, v3
	ds_bpermute_b32 v3, v41, v2
	s_waitcnt lgkmcnt(0)
	v_add_f32_e32 v2, v2, v3
	ds_bpermute_b32 v3, v40, v2
	s_waitcnt lgkmcnt(0)
	v_add_f32_e32 v2, v2, v3
	s_and_saveexec_b64 s[8:9], vcc
	s_cbranch_execz .LBB29_22
; %bb.21:
	ds_write_b32 v4, v2 offset:328
.LBB29_22:
	s_or_b64 exec, exec, s[8:9]
	s_waitcnt lgkmcnt(0)
	s_barrier
	s_and_saveexec_b64 s[8:9], s[0:1]
	s_cbranch_execz .LBB29_24
; %bb.23:
	ds_read_b32 v2, v5 offset:328
.LBB29_24:
	s_or_b64 exec, exec, s[8:9]
	s_waitcnt lgkmcnt(0)
	ds_bpermute_b32 v3, v40, v2
	s_waitcnt lgkmcnt(0)
	v_add_f32_e32 v2, v2, v3
	ds_bpermute_b32 v2, v8, v2
	s_and_saveexec_b64 s[0:1], s[6:7]
	s_cbranch_execz .LBB29_37
; %bb.25:
	s_waitcnt lgkmcnt(0)
	v_add_f32_e32 v2, 0x358637bd, v2
	v_div_scale_f32 v3, s[6:7], v2, v2, 1.0
	v_rcp_f32_e32 v4, v3
	v_div_scale_f32 v5, vcc, 1.0, v2, 1.0
	s_movk_i32 s6, 0x7f
	v_fma_f32 v6, -v3, v4, 1.0
	v_fmac_f32_e32 v4, v6, v4
	v_mul_f32_e32 v6, v5, v4
	v_fma_f32 v7, -v3, v6, v5
	v_fmac_f32_e32 v6, v7, v4
	v_fma_f32 v3, -v3, v6, v5
	v_div_fmas_f32 v3, v3, v4, v6
	v_xad_u32 v4, v0, -1, s12
	v_div_fixup_f32 v2, v3, v2, 1.0
	v_cmp_lt_u32_e32 vcc, s6, v4
	s_mov_b64 s[8:9], -1
	v_mov_b32_e32 v3, v0
	s_and_saveexec_b64 s[6:7], vcc
	s_cbranch_execz .LBB29_34
; %bb.26:
	v_lshrrev_b32_e32 v4, 7, v4
	v_add_u32_e32 v6, -1, v4
	v_lshrrev_b32_e32 v5, 1, v6
	v_mov_b32_e32 v3, v2
	v_add_u32_e32 v5, 1, v5
	v_cmp_lt_u32_e32 vcc, 13, v6
	v_mov_b32_e32 v8, 0
	s_and_saveexec_b64 s[8:9], vcc
	s_cbranch_execz .LBB29_30
; %bb.27:
	v_mov_b32_e32 v7, 0x150
	v_and_b32_e32 v6, -8, v5
	v_lshl_add_u32 v7, v0, 2, v7
	s_mov_b32 s15, 0
	s_mov_b64 s[26:27], 0
.LBB29_28:                              ; =>This Inner Loop Header: Depth=1
	ds_read2st64_b32 v[8:9], v7 offset1:2
	ds_read2st64_b32 v[10:11], v7 offset0:4 offset1:6
	ds_read2st64_b32 v[12:13], v7 offset0:8 offset1:10
	;; [unrolled: 1-line block ×3, first 2 shown]
	v_add_u32_e32 v6, -8, v6
	s_waitcnt lgkmcnt(3)
	v_pk_mul_f32 v[8:9], v[2:3], v[8:9]
	s_waitcnt lgkmcnt(2)
	v_pk_mul_f32 v[10:11], v[2:3], v[10:11]
	ds_write2st64_b32 v7, v8, v9 offset1:2
	ds_write2st64_b32 v7, v10, v11 offset0:4 offset1:6
	ds_read2st64_b32 v[10:11], v7 offset0:16 offset1:18
	s_waitcnt lgkmcnt(4)
	v_pk_mul_f32 v[8:9], v[2:3], v[12:13]
	ds_write2st64_b32 v7, v8, v9 offset0:8 offset1:10
	s_waitcnt lgkmcnt(4)
	v_pk_mul_f32 v[8:9], v[2:3], v[14:15]
	ds_write2st64_b32 v7, v8, v9 offset0:12 offset1:14
	ds_read2st64_b32 v[8:9], v7 offset0:20 offset1:22
	s_waitcnt lgkmcnt(3)
	v_pk_mul_f32 v[10:11], v[2:3], v[10:11]
	ds_read2st64_b32 v[12:13], v7 offset0:24 offset1:26
	ds_write2st64_b32 v7, v10, v11 offset0:16 offset1:18
	ds_read2st64_b32 v[10:11], v7 offset0:28 offset1:30
	s_waitcnt lgkmcnt(3)
	v_pk_mul_f32 v[8:9], v[2:3], v[8:9]
	ds_write2st64_b32 v7, v8, v9 offset0:20 offset1:22
	s_waitcnt lgkmcnt(3)
	v_pk_mul_f32 v[8:9], v[2:3], v[12:13]
	ds_write2st64_b32 v7, v8, v9 offset0:24 offset1:26
	s_waitcnt lgkmcnt(2)
	v_pk_mul_f32 v[8:9], v[2:3], v[10:11]
	s_add_i32 s15, s15, 16
	v_cmp_eq_u32_e32 vcc, 0, v6
	ds_write2st64_b32 v7, v8, v9 offset0:28 offset1:30
	v_add_u32_e32 v7, 0x2000, v7
	s_or_b64 s[26:27], vcc, s[26:27]
	v_mov_b32_e32 v8, s15
	s_andn2_b64 exec, exec, s[26:27]
	s_cbranch_execnz .LBB29_28
; %bb.29:
	s_or_b64 exec, exec, s[26:27]
.LBB29_30:
	s_or_b64 exec, exec, s[8:9]
	v_and_b32_e32 v5, 7, v5
	v_cmp_ne_u32_e32 vcc, 0, v5
	s_and_saveexec_b64 s[8:9], vcc
	s_cbranch_execz .LBB29_33
; %bb.31:
	v_lshlrev_b32_e32 v6, 9, v8
	s_movk_i32 s15, 0x150
	v_add3_u32 v6, v6, v30, s15
	s_mov_b64 s[26:27], 0
.LBB29_32:                              ; =>This Inner Loop Header: Depth=1
	ds_read2st64_b32 v[8:9], v6 offset1:2
	v_add_u32_e32 v5, -1, v5
	v_cmp_eq_u32_e32 vcc, 0, v5
	s_or_b64 s[26:27], vcc, s[26:27]
	s_waitcnt lgkmcnt(0)
	v_pk_mul_f32 v[8:9], v[2:3], v[8:9]
	ds_write2st64_b32 v6, v8, v9 offset1:2
	v_add_u32_e32 v6, 0x400, v6
	s_andn2_b64 exec, exec, s[26:27]
	s_cbranch_execnz .LBB29_32
.LBB29_33:
	s_or_b64 exec, exec, s[8:9]
	v_add_u32_e32 v4, 1, v4
	v_and_b32_e32 v5, 0x3fffffe, v4
	v_cmp_ne_u32_e32 vcc, v4, v5
	v_lshl_add_u32 v3, v5, 7, v0
	s_orn2_b64 s[8:9], vcc, exec
.LBB29_34:
	s_or_b64 exec, exec, s[6:7]
	s_and_b64 exec, exec, s[8:9]
	s_cbranch_execz .LBB29_37
; %bb.35:
	v_mov_b32_e32 v4, 0x150
	v_lshl_add_u32 v4, v3, 2, v4
	s_mov_b64 s[6:7], 0
.LBB29_36:                              ; =>This Inner Loop Header: Depth=1
	ds_read_b32 v5, v4
	v_add_u32_e32 v3, 0x80, v3
	v_cmp_le_i32_e32 vcc, s12, v3
	s_or_b64 s[6:7], vcc, s[6:7]
	s_waitcnt lgkmcnt(0)
	v_mul_f32_e32 v5, v2, v5
	ds_write_b32 v4, v5
	v_add_u32_e32 v4, 0x200, v4
	s_andn2_b64 exec, exec, s[6:7]
	s_cbranch_execnz .LBB29_36
.LBB29_37:
	s_or_b64 exec, exec, s[0:1]
	v_mov_b32_e32 v42, 0
	v_mov_b32_e32 v27, 0
	;; [unrolled: 1-line block ×5, first 2 shown]
	s_waitcnt lgkmcnt(0)
	s_barrier
	s_and_saveexec_b64 s[6:7], s[2:3]
	s_cbranch_execz .LBB29_51
; %bb.38:
	s_ashr_i32 s15, s14, 31
	s_lshl_b64 s[0:1], s[14:15], 2
	s_add_u32 s2, s24, s0
	v_and_b32_e32 v3, 12, v30
	s_addc_u32 s3, s25, s1
	s_add_i32 s14, s17, -1
	v_lshlrev_b32_e32 v5, 4, v38
	s_lshl_b64 s[0:1], s[22:23], 2
	v_and_b32_e32 v2, 0xfc, v30
	v_or3_b32 v43, v5, v3, 3
	v_lshlrev_b32_e32 v3, 4, v37
	s_add_u32 s0, s20, s0
	v_mov_b32_e32 v31, 0
	v_or_b32_e32 v4, 0x400, v2
	v_lshl_or_b32 v3, v38, 6, v3
	v_and_b32_e32 v30, 60, v32
	s_addc_u32 s1, s21, s1
	s_mov_b32 s26, s13
	v_add_u32_e32 v44, 0x150, v3
	v_lshl_add_u64 v[32:33], s[0:1], 0, v[30:31]
	s_mov_b64 s[8:9], 0
	v_lshlrev_b32_e32 v34, 2, v2
	v_mov_b32_e32 v35, v31
	v_lshlrev_b32_e32 v30, 2, v4
	v_mov_b32_e32 v28, v31
	v_mov_b32_e32 v29, v31
	;; [unrolled: 1-line block ×5, first 2 shown]
	s_branch .LBB29_40
.LBB29_39:                              ;   in Loop: Header=BB29_40 Depth=1
	s_or_b64 exec, exec, s[0:1]
	s_waitcnt vmcnt(4) lgkmcnt(0)
	v_mul_f32_e32 v7, v3, v7
	v_fmac_f32_e32 v7, v2, v6
	s_waitcnt vmcnt(3)
	v_mul_f32_e32 v6, v3, v11
	v_fmac_f32_e32 v6, v2, v10
	v_fmac_f32_e32 v6, v4, v12
	;; [unrolled: 1-line block ×3, first 2 shown]
	v_add_f32_e32 v29, v29, v6
	s_waitcnt vmcnt(2)
	v_mul_f32_e32 v6, v3, v15
	v_fmac_f32_e32 v6, v2, v14
	v_fmac_f32_e32 v6, v4, v16
	;; [unrolled: 1-line block ×3, first 2 shown]
	v_add_f32_e32 v26, v26, v6
	s_waitcnt vmcnt(1)
	v_mul_f32_e32 v6, v3, v19
	s_waitcnt vmcnt(0)
	v_mul_f32_e32 v3, v3, v23
	v_fmac_f32_e32 v6, v2, v18
	v_fmac_f32_e32 v3, v2, v22
	;; [unrolled: 1-line block ×5, first 2 shown]
	v_add_u32_e32 v38, 2, v38
	v_fmac_f32_e32 v7, v5, v9
	v_fmac_f32_e32 v6, v5, v21
	;; [unrolled: 1-line block ×3, first 2 shown]
	v_cmp_le_i32_e32 vcc, s17, v38
	v_add_f32_e32 v28, v28, v7
	v_add_f32_e32 v27, v27, v6
	;; [unrolled: 1-line block ×3, first 2 shown]
	v_add_u32_e32 v43, 32, v43
	v_add_u32_e32 v44, 0x80, v44
	s_or_b64 s[8:9], vcc, s[8:9]
	v_lshl_add_u64 v[32:33], v[32:33], 0, 8
	s_andn2_b64 exec, exec, s[8:9]
	s_cbranch_execz .LBB29_50
.LBB29_40:                              ; =>This Inner Loop Header: Depth=1
	global_load_dword v2, v[32:33], off
	v_add_u32_e32 v45, -3, v43
	v_cmp_eq_u32_e32 vcc, s14, v38
	v_add_u32_e32 v47, -2, v43
	v_add_u32_e32 v46, -1, v43
	s_waitcnt vmcnt(0)
	v_mad_i64_i32 v[2:3], s[0:1], v2, s26, 0
	v_lshl_add_u64 v[22:23], v[2:3], 2, s[2:3]
	v_lshl_add_u64 v[18:19], v[22:23], 0, v[34:35]
	global_load_dwordx4 v[6:9], v[18:19], off
	ds_read_b128 v[2:5], v44
	s_and_saveexec_b64 s[12:13], vcc
	s_cbranch_execnz .LBB29_47
; %bb.41:                               ;   in Loop: Header=BB29_40 Depth=1
	s_or_b64 exec, exec, s[12:13]
	global_load_dwordx4 v[10:13], v[18:19], off offset:1024
	s_and_saveexec_b64 s[12:13], vcc
	s_cbranch_execnz .LBB29_48
.LBB29_42:                              ;   in Loop: Header=BB29_40 Depth=1
	s_or_b64 exec, exec, s[12:13]
	global_load_dwordx4 v[14:17], v[18:19], off offset:2048
	s_and_saveexec_b64 s[12:13], vcc
	s_cbranch_execnz .LBB29_49
.LBB29_43:                              ;   in Loop: Header=BB29_40 Depth=1
	s_or_b64 exec, exec, s[12:13]
	global_load_dwordx4 v[18:21], v[18:19], off offset:3072
	s_and_saveexec_b64 s[12:13], vcc
	s_cbranch_execz .LBB29_45
.LBB29_44:                              ;   in Loop: Header=BB29_40 Depth=1
	v_cmp_gt_i32_e64 s[0:1], s33, v45
	s_waitcnt vmcnt(0)
	s_nop 0
	v_cndmask_b32_e64 v18, 0, v18, s[0:1]
	v_cmp_gt_i32_e64 s[0:1], s33, v47
	s_nop 1
	v_cndmask_b32_e64 v19, 0, v19, s[0:1]
	v_cmp_gt_i32_e64 s[0:1], s33, v46
	;; [unrolled: 3-line block ×3, first 2 shown]
	s_nop 1
	v_cndmask_b32_e64 v21, 0, v21, s[0:1]
.LBB29_45:                              ;   in Loop: Header=BB29_40 Depth=1
	s_or_b64 exec, exec, s[12:13]
	v_lshl_add_u64 v[22:23], v[22:23], 0, v[30:31]
	global_load_dwordx4 v[22:25], v[22:23], off
	s_and_saveexec_b64 s[0:1], vcc
	s_cbranch_execz .LBB29_39
; %bb.46:                               ;   in Loop: Header=BB29_40 Depth=1
	v_cmp_gt_i32_e32 vcc, s33, v45
	s_waitcnt vmcnt(0)
	s_nop 0
	v_cndmask_b32_e32 v22, 0, v22, vcc
	v_cmp_gt_i32_e32 vcc, s33, v47
	s_nop 1
	v_cndmask_b32_e32 v23, 0, v23, vcc
	v_cmp_gt_i32_e32 vcc, s33, v46
	;; [unrolled: 3-line block ×3, first 2 shown]
	s_nop 1
	v_cndmask_b32_e32 v25, 0, v25, vcc
	s_branch .LBB29_39
.LBB29_47:                              ;   in Loop: Header=BB29_40 Depth=1
	v_cmp_gt_i32_e64 s[0:1], s33, v45
	s_waitcnt vmcnt(0)
	s_nop 0
	v_cndmask_b32_e64 v6, 0, v6, s[0:1]
	v_cmp_gt_i32_e64 s[0:1], s33, v47
	s_nop 1
	v_cndmask_b32_e64 v7, 0, v7, s[0:1]
	v_cmp_gt_i32_e64 s[0:1], s33, v46
	;; [unrolled: 3-line block ×3, first 2 shown]
	s_nop 1
	v_cndmask_b32_e64 v9, 0, v9, s[0:1]
	s_or_b64 exec, exec, s[12:13]
	global_load_dwordx4 v[10:13], v[18:19], off offset:1024
	s_and_saveexec_b64 s[12:13], vcc
	s_cbranch_execz .LBB29_42
.LBB29_48:                              ;   in Loop: Header=BB29_40 Depth=1
	v_cmp_gt_i32_e64 s[0:1], s33, v45
	s_waitcnt vmcnt(0)
	s_nop 0
	v_cndmask_b32_e64 v10, 0, v10, s[0:1]
	v_cmp_gt_i32_e64 s[0:1], s33, v47
	s_nop 1
	v_cndmask_b32_e64 v11, 0, v11, s[0:1]
	v_cmp_gt_i32_e64 s[0:1], s33, v46
	;; [unrolled: 3-line block ×3, first 2 shown]
	s_nop 1
	v_cndmask_b32_e64 v13, 0, v13, s[0:1]
	s_or_b64 exec, exec, s[12:13]
	global_load_dwordx4 v[14:17], v[18:19], off offset:2048
	s_and_saveexec_b64 s[12:13], vcc
	s_cbranch_execz .LBB29_43
.LBB29_49:                              ;   in Loop: Header=BB29_40 Depth=1
	v_cmp_gt_i32_e64 s[0:1], s33, v45
	s_waitcnt vmcnt(0)
	s_nop 0
	v_cndmask_b32_e64 v14, 0, v14, s[0:1]
	v_cmp_gt_i32_e64 s[0:1], s33, v47
	s_nop 1
	v_cndmask_b32_e64 v15, 0, v15, s[0:1]
	v_cmp_gt_i32_e64 s[0:1], s33, v46
	;; [unrolled: 3-line block ×3, first 2 shown]
	s_nop 1
	v_cndmask_b32_e64 v17, 0, v17, s[0:1]
	s_or_b64 exec, exec, s[12:13]
	global_load_dwordx4 v[18:21], v[18:19], off offset:3072
	s_and_saveexec_b64 s[12:13], vcc
	s_cbranch_execnz .LBB29_44
	s_branch .LBB29_45
.LBB29_50:
	s_or_b64 exec, exec, s[8:9]
.LBB29_51:
	s_or_b64 exec, exec, s[6:7]
	ds_bpermute_b32 v2, v41, v28
	ds_bpermute_b32 v3, v41, v29
	;; [unrolled: 1-line block ×5, first 2 shown]
	s_waitcnt lgkmcnt(0)
	v_pk_add_f32 v[2:3], v[28:29], v[2:3]
	ds_bpermute_b32 v6, v40, v2
	v_pk_add_f32 v[4:5], v[26:27], v[4:5]
	ds_bpermute_b32 v7, v40, v3
	ds_bpermute_b32 v8, v40, v4
	;; [unrolled: 1-line block ×3, first 2 shown]
	v_add_f32_e32 v10, v42, v10
	ds_bpermute_b32 v11, v40, v10
	s_waitcnt lgkmcnt(3)
	v_pk_add_f32 v[6:7], v[2:3], v[6:7]
	s_barrier
	s_waitcnt lgkmcnt(1)
	v_pk_add_f32 v[2:3], v[4:5], v[8:9]
	v_and_b32_e32 v5, 0x3c3, v0
	s_waitcnt lgkmcnt(0)
	v_add_f32_e32 v4, v10, v11
	v_cmp_eq_u32_e32 vcc, 64, v5
	s_and_saveexec_b64 s[0:1], vcc
	s_cbranch_execz .LBB29_53
; %bb.52:
	v_add_u32_e32 v8, 0x150, v39
	ds_write2_b32 v8, v6, v7 offset1:16
	ds_write2_b32 v8, v2, v3 offset0:32 offset1:48
	ds_write_b32 v8, v4 offset:256
.LBB29_53:
	s_or_b64 exec, exec, s[0:1]
	v_cmp_gt_u32_e32 vcc, 64, v0
	s_waitcnt lgkmcnt(0)
	s_barrier
	s_and_saveexec_b64 s[0:1], vcc
	s_cbranch_execz .LBB29_61
; %bb.54:
	v_cmp_eq_u32_e32 vcc, 0, v37
	s_and_saveexec_b64 s[2:3], vcc
	s_cbranch_execnz .LBB29_64
; %bb.55:
	s_or_b64 exec, exec, s[2:3]
	s_and_saveexec_b64 s[2:3], vcc
	s_cbranch_execnz .LBB29_65
.LBB29_56:
	s_or_b64 exec, exec, s[2:3]
	s_and_saveexec_b64 s[2:3], vcc
	s_cbranch_execnz .LBB29_66
.LBB29_57:
	s_or_b64 exec, exec, s[2:3]
	s_and_saveexec_b64 s[2:3], vcc
	s_cbranch_execnz .LBB29_67
.LBB29_58:
	s_or_b64 exec, exec, s[2:3]
	s_and_saveexec_b64 s[2:3], vcc
	s_cbranch_execz .LBB29_60
.LBB29_59:
	v_mov_b32_e32 v0, 0x150
	v_lshl_add_u32 v0, v36, 2, v0
	ds_read_b32 v0, v0 offset:256
	s_waitcnt lgkmcnt(0)
	v_add_f32_e32 v4, v4, v0
.LBB29_60:
	s_or_b64 exec, exec, s[2:3]
.LBB29_61:
	s_or_b64 exec, exec, s[0:1]
	v_cmp_eq_u32_e32 vcc, 0, v5
	s_barrier
	s_and_saveexec_b64 s[0:1], vcc
	s_cbranch_execz .LBB29_63
; %bb.62:
	s_mul_i32 s0, s10, s11
	s_mul_i32 s0, s0, s5
	s_mulk_i32 s0, 0x50
	s_ashr_i32 s1, s0, 31
	s_lshl_b64 s[0:1], s[0:1], 2
	s_add_u32 s2, s18, s0
	s_mul_i32 s0, s11, s16
	s_addc_u32 s3, s19, s1
	s_ashr_i32 s1, s0, 31
	s_lshl_b64 s[0:1], s[0:1], 2
	s_add_u32 s2, s2, s0
	s_mul_i32 s0, s4, 0x50
	s_addc_u32 s3, s3, s1
	s_ashr_i32 s1, s0, 31
	s_lshl_b64 s[0:1], s[0:1], 2
	s_add_u32 s0, s2, s0
	s_addc_u32 s1, s3, s1
	global_store_dword v1, v6, s[0:1]
	global_store_dword v1, v7, s[0:1] offset:64
	global_store_dword v1, v2, s[0:1] offset:128
	;; [unrolled: 1-line block ×4, first 2 shown]
.LBB29_63:
	s_endpgm
.LBB29_64:
	v_mov_b32_e32 v0, 0x150
	v_lshl_add_u32 v0, v36, 2, v0
	ds_read_b32 v0, v0
	s_waitcnt lgkmcnt(0)
	v_add_f32_e32 v6, v6, v0
	s_or_b64 exec, exec, s[2:3]
	s_and_saveexec_b64 s[2:3], vcc
	s_cbranch_execz .LBB29_56
.LBB29_65:
	v_mov_b32_e32 v0, 0x150
	v_lshl_add_u32 v0, v36, 2, v0
	ds_read_b32 v0, v0 offset:64
	s_waitcnt lgkmcnt(0)
	v_add_f32_e32 v7, v7, v0
	s_or_b64 exec, exec, s[2:3]
	s_and_saveexec_b64 s[2:3], vcc
	s_cbranch_execz .LBB29_57
.LBB29_66:
	v_mov_b32_e32 v0, 0x150
	v_lshl_add_u32 v0, v36, 2, v0
	ds_read_b32 v0, v0 offset:128
	s_waitcnt lgkmcnt(0)
	v_add_f32_e32 v2, v2, v0
	s_or_b64 exec, exec, s[2:3]
	s_and_saveexec_b64 s[2:3], vcc
	s_cbranch_execz .LBB29_58
.LBB29_67:
	v_mov_b32_e32 v0, 0x150
	v_lshl_add_u32 v0, v36, 2, v0
	ds_read_b32 v0, v0 offset:192
	s_waitcnt lgkmcnt(0)
	v_add_f32_e32 v3, v3, v0
	s_or_b64 exec, exec, s[2:3]
	s_and_saveexec_b64 s[2:3], vcc
	s_cbranch_execnz .LBB29_59
	s_branch .LBB29_60
	.section	.rodata,"a",@progbits
	.p2align	6, 0x0
	.amdhsa_kernel _ZN4vllm25paged_attention_v1_kernelIffLi80ELi16ELi128ELNS_18Fp8KVCacheDataTypeE0ELb0EEEvPT_PKS2_PKT0_S8_ifPKiSA_iPKfiiiSC_SC_iiiii
		.amdhsa_group_segment_fixed_size 336
		.amdhsa_private_segment_fixed_size 0
		.amdhsa_kernarg_size 384
		.amdhsa_user_sgpr_count 2
		.amdhsa_user_sgpr_dispatch_ptr 0
		.amdhsa_user_sgpr_queue_ptr 0
		.amdhsa_user_sgpr_kernarg_segment_ptr 1
		.amdhsa_user_sgpr_dispatch_id 0
		.amdhsa_user_sgpr_kernarg_preload_length 0
		.amdhsa_user_sgpr_kernarg_preload_offset 0
		.amdhsa_user_sgpr_private_segment_size 0
		.amdhsa_uses_dynamic_stack 0
		.amdhsa_enable_private_segment 0
		.amdhsa_system_sgpr_workgroup_id_x 1
		.amdhsa_system_sgpr_workgroup_id_y 1
		.amdhsa_system_sgpr_workgroup_id_z 1
		.amdhsa_system_sgpr_workgroup_info 0
		.amdhsa_system_vgpr_workitem_id 0
		.amdhsa_next_free_vgpr 61
		.amdhsa_next_free_sgpr 35
		.amdhsa_accum_offset 64
		.amdhsa_reserve_vcc 1
		.amdhsa_float_round_mode_32 0
		.amdhsa_float_round_mode_16_64 0
		.amdhsa_float_denorm_mode_32 3
		.amdhsa_float_denorm_mode_16_64 3
		.amdhsa_dx10_clamp 1
		.amdhsa_ieee_mode 1
		.amdhsa_fp16_overflow 0
		.amdhsa_tg_split 0
		.amdhsa_exception_fp_ieee_invalid_op 0
		.amdhsa_exception_fp_denorm_src 0
		.amdhsa_exception_fp_ieee_div_zero 0
		.amdhsa_exception_fp_ieee_overflow 0
		.amdhsa_exception_fp_ieee_underflow 0
		.amdhsa_exception_fp_ieee_inexact 0
		.amdhsa_exception_int_div_zero 0
	.end_amdhsa_kernel
	.section	.text._ZN4vllm25paged_attention_v1_kernelIffLi80ELi16ELi128ELNS_18Fp8KVCacheDataTypeE0ELb0EEEvPT_PKS2_PKT0_S8_ifPKiSA_iPKfiiiSC_SC_iiiii,"axG",@progbits,_ZN4vllm25paged_attention_v1_kernelIffLi80ELi16ELi128ELNS_18Fp8KVCacheDataTypeE0ELb0EEEvPT_PKS2_PKT0_S8_ifPKiSA_iPKfiiiSC_SC_iiiii,comdat
.Lfunc_end29:
	.size	_ZN4vllm25paged_attention_v1_kernelIffLi80ELi16ELi128ELNS_18Fp8KVCacheDataTypeE0ELb0EEEvPT_PKS2_PKT0_S8_ifPKiSA_iPKfiiiSC_SC_iiiii, .Lfunc_end29-_ZN4vllm25paged_attention_v1_kernelIffLi80ELi16ELi128ELNS_18Fp8KVCacheDataTypeE0ELb0EEEvPT_PKS2_PKT0_S8_ifPKiSA_iPKfiiiSC_SC_iiiii
                                        ; -- End function
	.section	.AMDGPU.csdata,"",@progbits
; Kernel info:
; codeLenInByte = 4324
; NumSgprs: 41
; NumVgprs: 61
; NumAgprs: 0
; TotalNumVgprs: 61
; ScratchSize: 0
; MemoryBound: 0
; FloatMode: 240
; IeeeMode: 1
; LDSByteSize: 336 bytes/workgroup (compile time only)
; SGPRBlocks: 5
; VGPRBlocks: 7
; NumSGPRsForWavesPerEU: 41
; NumVGPRsForWavesPerEU: 61
; AccumOffset: 64
; Occupancy: 8
; WaveLimiterHint : 1
; COMPUTE_PGM_RSRC2:SCRATCH_EN: 0
; COMPUTE_PGM_RSRC2:USER_SGPR: 2
; COMPUTE_PGM_RSRC2:TRAP_HANDLER: 0
; COMPUTE_PGM_RSRC2:TGID_X_EN: 1
; COMPUTE_PGM_RSRC2:TGID_Y_EN: 1
; COMPUTE_PGM_RSRC2:TGID_Z_EN: 1
; COMPUTE_PGM_RSRC2:TIDIG_COMP_CNT: 0
; COMPUTE_PGM_RSRC3_GFX90A:ACCUM_OFFSET: 15
; COMPUTE_PGM_RSRC3_GFX90A:TG_SPLIT: 0
	.section	.text._ZN4vllm25paged_attention_v1_kernelIffLi96ELi16ELi128ELNS_18Fp8KVCacheDataTypeE0ELb0EEEvPT_PKS2_PKT0_S8_ifPKiSA_iPKfiiiSC_SC_iiiii,"axG",@progbits,_ZN4vllm25paged_attention_v1_kernelIffLi96ELi16ELi128ELNS_18Fp8KVCacheDataTypeE0ELb0EEEvPT_PKS2_PKT0_S8_ifPKiSA_iPKfiiiSC_SC_iiiii,comdat
	.protected	_ZN4vllm25paged_attention_v1_kernelIffLi96ELi16ELi128ELNS_18Fp8KVCacheDataTypeE0ELb0EEEvPT_PKS2_PKT0_S8_ifPKiSA_iPKfiiiSC_SC_iiiii ; -- Begin function _ZN4vllm25paged_attention_v1_kernelIffLi96ELi16ELi128ELNS_18Fp8KVCacheDataTypeE0ELb0EEEvPT_PKS2_PKT0_S8_ifPKiSA_iPKfiiiSC_SC_iiiii
	.globl	_ZN4vllm25paged_attention_v1_kernelIffLi96ELi16ELi128ELNS_18Fp8KVCacheDataTypeE0ELb0EEEvPT_PKS2_PKT0_S8_ifPKiSA_iPKfiiiSC_SC_iiiii
	.p2align	8
	.type	_ZN4vllm25paged_attention_v1_kernelIffLi96ELi16ELi128ELNS_18Fp8KVCacheDataTypeE0ELb0EEEvPT_PKS2_PKT0_S8_ifPKiSA_iPKfiiiSC_SC_iiiii,@function
_ZN4vllm25paged_attention_v1_kernelIffLi96ELi16ELi128ELNS_18Fp8KVCacheDataTypeE0ELb0EEEvPT_PKS2_PKT0_S8_ifPKiSA_iPKfiiiSC_SC_iiiii: ; @_ZN4vllm25paged_attention_v1_kernelIffLi96ELi16ELi128ELNS_18Fp8KVCacheDataTypeE0ELb0EEEvPT_PKS2_PKT0_S8_ifPKiSA_iPKfiiiSC_SC_iiiii
; %bb.0:
	s_load_dword s5, s[0:1], 0x80
	s_load_dwordx2 s[6:7], s[0:1], 0x30
	s_load_dwordx2 s[8:9], s[0:1], 0x20
	s_mov_b32 s10, s3
	s_ashr_i32 s11, s3, 31
	s_lshl_b64 s[12:13], s[10:11], 2
	s_waitcnt lgkmcnt(0)
	s_add_u32 s6, s6, s12
	s_addc_u32 s7, s7, s13
	s_abs_i32 s3, s8
	v_cvt_f32_u32_e32 v1, s3
	s_sub_i32 s12, 0, s3
	s_abs_i32 s11, s5
	s_xor_b32 s8, s5, s8
	v_rcp_iflag_f32_e32 v1, v1
	s_ashr_i32 s8, s8, 31
	v_mul_f32_e32 v1, 0x4f7ffffe, v1
	v_cvt_u32_f32_e32 v1, v1
	s_nop 0
	v_readfirstlane_b32 s13, v1
	s_mul_i32 s12, s12, s13
	s_mul_hi_u32 s12, s13, s12
	s_add_i32 s13, s13, s12
	s_mul_hi_u32 s12, s11, s13
	s_mul_i32 s13, s12, s3
	s_sub_i32 s11, s11, s13
	s_add_i32 s13, s12, 1
	s_sub_i32 s14, s11, s3
	s_cmp_ge_u32 s11, s3
	s_cselect_b32 s12, s13, s12
	s_cselect_b32 s11, s14, s11
	s_add_i32 s13, s12, 1
	s_cmp_ge_u32 s11, s3
	s_cselect_b32 s3, s13, s12
	s_xor_b32 s3, s3, s8
	s_sub_i32 s14, s3, s8
	s_abs_i32 s11, s14
	v_cvt_f32_u32_e32 v1, s11
	s_load_dwordx2 s[12:13], s[0:1], 0x40
	s_sub_i32 s3, 0, s11
	s_abs_i32 s18, s2
	v_rcp_iflag_f32_e32 v1, v1
	s_mov_b32 s8, 0
	v_mul_f32_e32 v1, 0x4f7ffffe, v1
	v_cvt_u32_f32_e32 v1, v1
	s_nop 0
	v_readfirstlane_b32 s15, v1
	s_mul_i32 s3, s3, s15
	s_mul_hi_u32 s3, s15, s3
	s_add_i32 s15, s15, s3
	s_waitcnt lgkmcnt(0)
	s_cmp_eq_u64 s[12:13], 0
	s_mul_hi_u32 s19, s18, s15
	s_cbranch_scc1 .LBB30_2
; %bb.1:
	s_ashr_i32 s3, s2, 31
	s_lshl_b64 s[16:17], s[2:3], 2
	s_add_u32 s12, s12, s16
	s_addc_u32 s13, s13, s17
	s_load_dword s8, s[12:13], 0x0
.LBB30_2:
	s_load_dword s33, s[6:7], 0x0
	s_ashr_i32 s7, s14, 31
	s_load_dwordx4 s[12:15], s[0:1], 0x48
	v_lshrrev_b32_e32 v44, 2, v0
	s_waitcnt lgkmcnt(0)
	s_movk_i32 s15, 0x60
	s_ashr_i32 s6, s2, 31
	v_and_b32_e32 v45, 3, v0
	s_mul_i32 s16, s2, 0x60
	v_cmp_gt_u32_e32 vcc, s15, v0
	v_lshlrev_b32_e32 v36, 2, v0
	v_lshlrev_b32_e32 v1, 2, v44
	s_and_saveexec_b64 s[2:3], vcc
	s_cbranch_execz .LBB30_4
; %bb.3:
	s_load_dwordx2 s[20:21], s[0:1], 0x8
	s_mul_i32 s22, s10, s12
	s_ashr_i32 s23, s22, 31
	s_lshl_b64 s[22:23], s[22:23], 2
	v_mad_u32_u24 v3, v45, s15, v1
	s_waitcnt lgkmcnt(0)
	s_add_u32 s12, s20, s22
	s_addc_u32 s22, s21, s23
	s_ashr_i32 s17, s16, 31
	s_lshl_b64 s[20:21], s[16:17], 2
	s_add_u32 s20, s12, s20
	s_addc_u32 s21, s22, s21
	global_load_dword v2, v36, s[20:21]
	s_waitcnt vmcnt(0)
	ds_write_b32 v3, v2
.LBB30_4:
	s_or_b64 exec, exec, s[2:3]
	s_add_i32 s3, s33, 15
	s_ashr_i32 s12, s3, 31
	s_lshr_b32 s12, s12, 28
	s_add_i32 s3, s3, s12
	s_ashr_i32 s17, s3, 4
	s_xor_b32 s3, s6, s7
	s_mul_i32 s6, s19, s11
	s_sub_i32 s6, s18, s6
	s_add_i32 s7, s19, 1
	s_sub_i32 s12, s6, s11
	s_load_dwordx2 s[20:21], s[0:1], 0x28
	s_load_dword s2, s[0:1], 0x38
	s_cmp_ge_u32 s6, s11
	s_cselect_b32 s7, s7, s19
	s_cselect_b32 s6, s12, s6
	s_add_i32 s12, s7, 1
	s_cmp_ge_u32 s6, s11
	s_cselect_b32 s6, s12, s7
	v_lshrrev_b32_e32 v46, 6, v0
	s_xor_b32 s6, s6, s3
	s_waitcnt lgkmcnt(0)
	s_mul_i32 s22, s10, s2
	s_sub_i32 s12, s6, s3
	s_ashr_i32 s23, s22, 31
	v_cmp_gt_i32_e64 s[2:3], s17, v46
	v_cmp_le_i32_e32 vcc, s17, v46
	v_mbcnt_lo_u32_b32 v28, -1, 0
	s_barrier
	s_waitcnt lgkmcnt(0)
                                        ; implicit-def: $sgpr15
                                        ; implicit-def: $vgpr30
                                        ; implicit-def: $vgpr31
	s_and_saveexec_b64 s[6:7], vcc
	s_xor_b64 s[6:7], exec, s[6:7]
; %bb.5:
	v_mbcnt_hi_u32_b32 v30, -1, v28
	v_and_b32_e32 v2, 64, v30
	v_add_u32_e32 v31, 64, v2
	s_mov_b32 s15, 0xff7fffff
                                        ; implicit-def: $vgpr28
; %bb.6:
	s_or_saveexec_b64 s[26:27], s[6:7]
	s_load_dwordx2 s[18:19], s[0:1], 0x0
	s_load_dwordx2 s[24:25], s[0:1], 0x18
	s_load_dword s11, s[0:1], 0x88
	v_mov_b32_e32 v32, s15
	s_mul_i32 s14, s12, s14
	v_lshrrev_b32_e32 v38, 4, v0
	s_xor_b64 exec, exec, s[26:27]
	s_cbranch_execz .LBB30_12
; %bb.7:
	s_load_dwordx2 s[0:1], s[0:1], 0x10
	s_ashr_i32 s15, s14, 31
	s_lshl_b64 s[6:7], s[14:15], 2
	v_bfe_u32 v29, v0, 2, 4
	v_lshlrev_b32_e32 v40, 4, v29
	s_waitcnt lgkmcnt(0)
	s_add_u32 s0, s0, s6
	s_addc_u32 s1, s1, s7
	v_mov_b32_e32 v41, 0
	v_lshl_add_u64 v[2:3], s[0:1], 0, v[40:41]
	v_lshlrev_b32_e32 v40, 2, v45
	v_mul_u32_u24_e32 v22, 0x60, v45
	v_mbcnt_hi_u32_b32 v30, -1, v28
	v_lshl_add_u64 v[26:27], v[2:3], 0, v[40:41]
	ds_read_b128 v[2:5], v22
	ds_read_b128 v[6:9], v22 offset:16
	ds_read_b128 v[10:13], v22 offset:32
	;; [unrolled: 1-line block ×5, first 2 shown]
	v_and_b32_e32 v28, 64, v30
	v_add_u32_e32 v31, 64, v28
	v_xor_b32_e32 v28, 2, v30
	v_cmp_lt_i32_e32 vcc, v28, v31
	s_sub_i32 s15, 1, s33
	s_lshl_b64 s[6:7], s[22:23], 2
	v_cndmask_b32_e32 v28, v30, v28, vcc
	v_lshlrev_b32_e32 v33, 2, v28
	v_xor_b32_e32 v28, 1, v30
	v_cmp_lt_i32_e32 vcc, v28, v31
	v_lshlrev_b32_e32 v32, 2, v29
	s_add_u32 s6, s20, s6
	v_cndmask_b32_e32 v28, v30, v28, vcc
	v_lshlrev_b32_e32 v34, 2, v28
	v_lshl_or_b32 v28, v46, 6, v32
	v_and_b32_e32 v40, 60, v38
	s_addc_u32 s7, s21, s7
	s_mov_b32 s12, s13
	v_cmp_eq_u32_e32 vcc, 0, v45
	v_cmp_neq_f32_e64 s[0:1], s8, 0
	v_lshl_or_b32 v35, v46, 4, v29
	v_add_u32_e32 v37, 0x190, v28
	v_lshl_add_u64 v[28:29], s[6:7], 0, v[40:41]
	s_mov_b64 s[28:29], 0
	v_mov_b32_e32 v32, 0xff7fffff
	s_movk_i32 s34, 0x1000
	v_mov_b32_e32 v39, v46
	s_branch .LBB30_9
.LBB30_8:                               ;   in Loop: Header=BB30_9 Depth=1
	s_or_b64 exec, exec, s[30:31]
	v_add_u32_e32 v39, 2, v39
	v_cmp_le_i32_e64 s[6:7], s17, v39
	v_add_u32_e32 v35, 32, v35
	v_add_u32_e32 v37, 0x80, v37
	s_or_b64 s[28:29], s[6:7], s[28:29]
	v_lshl_add_u64 v[28:29], v[28:29], 0, 8
	s_andn2_b64 exec, exec, s[28:29]
	s_cbranch_execz .LBB30_11
.LBB30_9:                               ; =>This Inner Loop Header: Depth=1
	global_load_dword v40, v[28:29], off
	s_waitcnt vmcnt(0) lgkmcnt(0)
	v_mad_i64_i32 v[40:41], s[6:7], v40, s12, 0
	v_lshl_add_u64 v[40:41], v[40:41], 2, v[26:27]
	global_load_dword v42, v[40:41], off
	global_load_dword v43, v[40:41], off offset:256
	global_load_dword v47, v[40:41], off offset:512
	;; [unrolled: 1-line block ×15, first 2 shown]
	v_add_co_u32_e64 v40, s[6:7], s34, v40
	s_nop 1
	v_addc_co_u32_e64 v41, s[6:7], 0, v41, s[6:7]
	global_load_dword v61, v[40:41], off
	global_load_dword v62, v[40:41], off offset:256
	global_load_dword v63, v[40:41], off offset:512
	;; [unrolled: 1-line block ×6, first 2 shown]
	s_nop 0
	global_load_dword v40, v[40:41], off offset:1792
	s_waitcnt vmcnt(22) lgkmcnt(5)
	v_mul_f32_e32 v41, v3, v43
	v_fmac_f32_e32 v41, v2, v42
	s_waitcnt vmcnt(21)
	v_fmac_f32_e32 v41, v4, v47
	s_waitcnt vmcnt(20)
	v_fmac_f32_e32 v41, v5, v48
	s_waitcnt vmcnt(19) lgkmcnt(4)
	v_fmac_f32_e32 v41, v6, v49
	s_waitcnt vmcnt(18)
	v_fmac_f32_e32 v41, v7, v50
	s_waitcnt vmcnt(17)
	v_fmac_f32_e32 v41, v8, v51
	s_waitcnt vmcnt(16)
	v_fmac_f32_e32 v41, v9, v52
	s_waitcnt vmcnt(15) lgkmcnt(3)
	v_fmac_f32_e32 v41, v10, v53
	s_waitcnt vmcnt(14)
	;; [unrolled: 8-line block ×5, first 2 shown]
	v_fmac_f32_e32 v41, v23, v66
	s_waitcnt vmcnt(1)
	v_fmac_f32_e32 v41, v24, v67
	s_waitcnt vmcnt(0)
	v_fmac_f32_e32 v41, v25, v40
	ds_bpermute_b32 v40, v33, v41
	s_waitcnt lgkmcnt(0)
	v_add_f32_e32 v40, v41, v40
	ds_bpermute_b32 v41, v34, v40
	s_and_saveexec_b64 s[30:31], vcc
	s_cbranch_execz .LBB30_8
; %bb.10:                               ;   in Loop: Header=BB30_9 Depth=1
	v_add_u32_e32 v42, s15, v35
	v_cvt_f32_i32_e32 v42, v42
	s_waitcnt lgkmcnt(0)
	v_add_f32_e32 v40, v40, v41
	v_cmp_gt_i32_e64 s[6:7], s33, v35
	v_max_f32_e32 v41, v32, v32
	v_mul_f32_e32 v42, s8, v42
	v_cndmask_b32_e64 v42, 0, v42, s[0:1]
	v_fmac_f32_e32 v42, s9, v40
	v_cndmask_b32_e64 v40, 0, v42, s[6:7]
	ds_write_b32 v37, v40
	v_max_f32_e32 v40, v41, v42
	v_cndmask_b32_e64 v32, v32, v40, s[6:7]
	s_branch .LBB30_8
.LBB30_11:
	s_or_b64 exec, exec, s[28:29]
.LBB30_12:
	s_or_b64 exec, exec, s[26:27]
	v_xor_b32_e32 v2, 32, v30
	v_cmp_lt_i32_e32 vcc, v2, v31
	v_xor_b32_e32 v5, 16, v30
	v_max_f32_e32 v4, v32, v32
	v_cndmask_b32_e32 v2, v30, v2, vcc
	v_lshlrev_b32_e32 v2, 2, v2
	ds_bpermute_b32 v3, v2, v32
	v_cmp_lt_i32_e32 vcc, v5, v31
	v_xor_b32_e32 v6, 8, v30
	v_xor_b32_e32 v7, 4, v30
	v_and_b32_e32 v47, 63, v0
	s_waitcnt lgkmcnt(0)
	v_max_f32_e32 v3, v3, v3
	v_max_f32_e32 v4, v4, v3
	v_cndmask_b32_e32 v3, v30, v5, vcc
	v_lshlrev_b32_e32 v3, 2, v3
	ds_bpermute_b32 v5, v3, v4
	v_cmp_lt_i32_e32 vcc, v6, v31
	s_waitcnt lgkmcnt(0)
	v_max_f32_e32 v5, v5, v5
	v_max_f32_e32 v4, v4, v5
	v_cndmask_b32_e32 v5, v30, v6, vcc
	v_lshlrev_b32_e32 v6, 2, v5
	ds_bpermute_b32 v5, v6, v4
	v_cmp_lt_i32_e32 vcc, v7, v31
	s_waitcnt lgkmcnt(0)
	v_max_f32_e32 v5, v5, v5
	v_max_f32_e32 v5, v4, v5
	v_cndmask_b32_e32 v4, v30, v7, vcc
	v_lshlrev_b32_e32 v7, 2, v4
	ds_bpermute_b32 v8, v7, v5
	v_cmp_eq_u32_e32 vcc, 0, v47
	v_lshlrev_b32_e32 v4, 2, v46
	s_and_saveexec_b64 s[0:1], vcc
	s_cbranch_execz .LBB30_14
; %bb.13:
	s_waitcnt lgkmcnt(0)
	v_max_f32_e32 v8, v8, v8
	v_max_f32_e32 v5, v5, v5
	;; [unrolled: 1-line block ×3, first 2 shown]
	ds_write_b32 v4, v5 offset:384
.LBB30_14:
	s_or_b64 exec, exec, s[0:1]
	v_cmp_gt_u32_e64 s[0:1], 2, v47
	s_waitcnt lgkmcnt(0)
	v_mov_b32_e32 v8, 0xff7fffff
	v_lshlrev_b32_e32 v5, 2, v47
	s_barrier
	s_and_saveexec_b64 s[6:7], s[0:1]
	s_cbranch_execz .LBB30_16
; %bb.15:
	ds_read_b32 v8, v5 offset:384
.LBB30_16:
	s_or_b64 exec, exec, s[6:7]
	v_xor_b32_e32 v9, 1, v30
	v_cmp_lt_i32_e64 s[6:7], v9, v31
	v_lshlrev_b32_e32 v10, 2, v30
	s_nop 0
	v_cndmask_b32_e64 v9, v30, v9, s[6:7]
	v_lshlrev_b32_e32 v48, 2, v9
	s_waitcnt lgkmcnt(0)
	ds_bpermute_b32 v9, v48, v8
	v_max_f32_e32 v8, v8, v8
	s_lshl_b32 s6, s17, 4
	s_min_i32 s12, s6, s33
	v_cmp_gt_i32_e64 s[6:7], s12, v0
	s_waitcnt lgkmcnt(0)
	v_max_f32_e32 v9, v9, v9
	v_max_f32_e32 v9, v8, v9
	v_and_b32_e32 v8, 0xffffff00, v10
	ds_bpermute_b32 v10, v8, v9
	v_mov_b32_e32 v9, 0
	s_and_saveexec_b64 s[26:27], s[6:7]
	s_cbranch_execz .LBB30_20
; %bb.17:
	v_mov_b32_e32 v9, 0x190
	v_lshl_add_u32 v11, v0, 2, v9
	s_mov_b64 s[28:29], 0
	v_mov_b32_e32 v9, 0
	v_mov_b32_e32 v12, v0
.LBB30_18:                              ; =>This Inner Loop Header: Depth=1
	ds_read_b32 v13, v11
	v_add_u32_e32 v12, 0x80, v12
	v_cmp_le_i32_e64 s[8:9], s12, v12
	s_or_b64 s[28:29], s[8:9], s[28:29]
	s_waitcnt lgkmcnt(0)
	v_sub_f32_e32 v13, v13, v10
	v_mul_f32_e32 v13, 0x3fb8aa3b, v13
	v_exp_f32_e32 v13, v13
	ds_write_b32 v11, v13
	v_add_f32_e32 v9, v9, v13
	v_add_u32_e32 v11, 0x200, v11
	s_andn2_b64 exec, exec, s[28:29]
	s_cbranch_execnz .LBB30_18
; %bb.19:
	s_or_b64 exec, exec, s[28:29]
.LBB30_20:
	s_or_b64 exec, exec, s[26:27]
	ds_bpermute_b32 v2, v2, v9
	s_waitcnt lgkmcnt(0)
	v_add_f32_e32 v2, v9, v2
	ds_bpermute_b32 v3, v3, v2
	s_waitcnt lgkmcnt(0)
	v_add_f32_e32 v2, v2, v3
	ds_bpermute_b32 v3, v6, v2
	v_xor_b32_e32 v6, 2, v30
	v_cmp_lt_i32_e64 s[8:9], v6, v31
	s_waitcnt lgkmcnt(0)
	v_add_f32_e32 v2, v2, v3
	ds_bpermute_b32 v3, v7, v2
	v_cndmask_b32_e64 v6, v30, v6, s[8:9]
	v_lshlrev_b32_e32 v49, 2, v6
	s_waitcnt lgkmcnt(0)
	v_add_f32_e32 v2, v2, v3
	ds_bpermute_b32 v3, v49, v2
	s_waitcnt lgkmcnt(0)
	v_add_f32_e32 v2, v2, v3
	ds_bpermute_b32 v3, v48, v2
	s_waitcnt lgkmcnt(0)
	v_add_f32_e32 v2, v2, v3
	s_and_saveexec_b64 s[8:9], vcc
	s_cbranch_execz .LBB30_22
; %bb.21:
	ds_write_b32 v4, v2 offset:392
.LBB30_22:
	s_or_b64 exec, exec, s[8:9]
	s_waitcnt lgkmcnt(0)
	s_barrier
	s_and_saveexec_b64 s[8:9], s[0:1]
	s_cbranch_execz .LBB30_24
; %bb.23:
	ds_read_b32 v2, v5 offset:392
.LBB30_24:
	s_or_b64 exec, exec, s[8:9]
	s_waitcnt lgkmcnt(0)
	ds_bpermute_b32 v3, v48, v2
	s_waitcnt lgkmcnt(0)
	v_add_f32_e32 v2, v2, v3
	ds_bpermute_b32 v2, v8, v2
	s_and_saveexec_b64 s[0:1], s[6:7]
	s_cbranch_execz .LBB30_37
; %bb.25:
	s_waitcnt lgkmcnt(0)
	v_add_f32_e32 v2, 0x358637bd, v2
	v_div_scale_f32 v3, s[6:7], v2, v2, 1.0
	v_rcp_f32_e32 v4, v3
	v_div_scale_f32 v5, vcc, 1.0, v2, 1.0
	s_movk_i32 s6, 0x7f
	v_fma_f32 v6, -v3, v4, 1.0
	v_fmac_f32_e32 v4, v6, v4
	v_mul_f32_e32 v6, v5, v4
	v_fma_f32 v7, -v3, v6, v5
	v_fmac_f32_e32 v6, v7, v4
	v_fma_f32 v3, -v3, v6, v5
	v_div_fmas_f32 v3, v3, v4, v6
	v_xad_u32 v4, v0, -1, s12
	v_div_fixup_f32 v2, v3, v2, 1.0
	v_cmp_lt_u32_e32 vcc, s6, v4
	s_mov_b64 s[8:9], -1
	v_mov_b32_e32 v3, v0
	s_and_saveexec_b64 s[6:7], vcc
	s_cbranch_execz .LBB30_34
; %bb.26:
	v_lshrrev_b32_e32 v4, 7, v4
	v_add_u32_e32 v6, -1, v4
	v_lshrrev_b32_e32 v5, 1, v6
	v_mov_b32_e32 v3, v2
	v_add_u32_e32 v5, 1, v5
	v_cmp_lt_u32_e32 vcc, 13, v6
	v_mov_b32_e32 v8, 0
	s_and_saveexec_b64 s[8:9], vcc
	s_cbranch_execz .LBB30_30
; %bb.27:
	v_mov_b32_e32 v7, 0x190
	v_and_b32_e32 v6, -8, v5
	v_lshl_add_u32 v7, v0, 2, v7
	s_mov_b32 s15, 0
	s_mov_b64 s[26:27], 0
.LBB30_28:                              ; =>This Inner Loop Header: Depth=1
	ds_read2st64_b32 v[8:9], v7 offset1:2
	ds_read2st64_b32 v[10:11], v7 offset0:4 offset1:6
	ds_read2st64_b32 v[12:13], v7 offset0:8 offset1:10
	ds_read2st64_b32 v[14:15], v7 offset0:12 offset1:14
	v_add_u32_e32 v6, -8, v6
	s_waitcnt lgkmcnt(3)
	v_pk_mul_f32 v[8:9], v[2:3], v[8:9]
	s_waitcnt lgkmcnt(2)
	v_pk_mul_f32 v[10:11], v[2:3], v[10:11]
	ds_write2st64_b32 v7, v8, v9 offset1:2
	ds_write2st64_b32 v7, v10, v11 offset0:4 offset1:6
	ds_read2st64_b32 v[10:11], v7 offset0:16 offset1:18
	s_waitcnt lgkmcnt(4)
	v_pk_mul_f32 v[8:9], v[2:3], v[12:13]
	ds_write2st64_b32 v7, v8, v9 offset0:8 offset1:10
	s_waitcnt lgkmcnt(4)
	v_pk_mul_f32 v[8:9], v[2:3], v[14:15]
	ds_write2st64_b32 v7, v8, v9 offset0:12 offset1:14
	ds_read2st64_b32 v[8:9], v7 offset0:20 offset1:22
	s_waitcnt lgkmcnt(3)
	v_pk_mul_f32 v[10:11], v[2:3], v[10:11]
	ds_read2st64_b32 v[12:13], v7 offset0:24 offset1:26
	ds_write2st64_b32 v7, v10, v11 offset0:16 offset1:18
	ds_read2st64_b32 v[10:11], v7 offset0:28 offset1:30
	s_waitcnt lgkmcnt(3)
	v_pk_mul_f32 v[8:9], v[2:3], v[8:9]
	ds_write2st64_b32 v7, v8, v9 offset0:20 offset1:22
	s_waitcnt lgkmcnt(3)
	v_pk_mul_f32 v[8:9], v[2:3], v[12:13]
	ds_write2st64_b32 v7, v8, v9 offset0:24 offset1:26
	s_waitcnt lgkmcnt(2)
	v_pk_mul_f32 v[8:9], v[2:3], v[10:11]
	s_add_i32 s15, s15, 16
	v_cmp_eq_u32_e32 vcc, 0, v6
	ds_write2st64_b32 v7, v8, v9 offset0:28 offset1:30
	v_add_u32_e32 v7, 0x2000, v7
	s_or_b64 s[26:27], vcc, s[26:27]
	v_mov_b32_e32 v8, s15
	s_andn2_b64 exec, exec, s[26:27]
	s_cbranch_execnz .LBB30_28
; %bb.29:
	s_or_b64 exec, exec, s[26:27]
.LBB30_30:
	s_or_b64 exec, exec, s[8:9]
	v_and_b32_e32 v5, 7, v5
	v_cmp_ne_u32_e32 vcc, 0, v5
	s_and_saveexec_b64 s[8:9], vcc
	s_cbranch_execz .LBB30_33
; %bb.31:
	v_lshlrev_b32_e32 v6, 9, v8
	s_movk_i32 s15, 0x190
	v_add3_u32 v6, v6, v36, s15
	s_mov_b64 s[26:27], 0
.LBB30_32:                              ; =>This Inner Loop Header: Depth=1
	ds_read2st64_b32 v[8:9], v6 offset1:2
	v_add_u32_e32 v5, -1, v5
	v_cmp_eq_u32_e32 vcc, 0, v5
	s_or_b64 s[26:27], vcc, s[26:27]
	s_waitcnt lgkmcnt(0)
	v_pk_mul_f32 v[8:9], v[2:3], v[8:9]
	ds_write2st64_b32 v6, v8, v9 offset1:2
	v_add_u32_e32 v6, 0x400, v6
	s_andn2_b64 exec, exec, s[26:27]
	s_cbranch_execnz .LBB30_32
.LBB30_33:
	s_or_b64 exec, exec, s[8:9]
	v_add_u32_e32 v4, 1, v4
	v_and_b32_e32 v5, 0x3fffffe, v4
	v_cmp_ne_u32_e32 vcc, v4, v5
	v_lshl_add_u32 v3, v5, 7, v0
	s_orn2_b64 s[8:9], vcc, exec
.LBB30_34:
	s_or_b64 exec, exec, s[6:7]
	s_and_b64 exec, exec, s[8:9]
	s_cbranch_execz .LBB30_37
; %bb.35:
	v_mov_b32_e32 v4, 0x190
	v_lshl_add_u32 v4, v3, 2, v4
	s_mov_b64 s[6:7], 0
.LBB30_36:                              ; =>This Inner Loop Header: Depth=1
	ds_read_b32 v5, v4
	v_add_u32_e32 v3, 0x80, v3
	v_cmp_le_i32_e32 vcc, s12, v3
	s_or_b64 s[6:7], vcc, s[6:7]
	s_waitcnt lgkmcnt(0)
	v_mul_f32_e32 v5, v2, v5
	ds_write_b32 v4, v5
	v_add_u32_e32 v4, 0x200, v4
	s_andn2_b64 exec, exec, s[6:7]
	s_cbranch_execnz .LBB30_36
.LBB30_37:
	s_or_b64 exec, exec, s[0:1]
	v_mov_b32_e32 v31, 0
	v_mov_b32_e32 v30, 0
	;; [unrolled: 1-line block ×6, first 2 shown]
	s_waitcnt lgkmcnt(0)
	s_barrier
	s_and_saveexec_b64 s[6:7], s[2:3]
	s_cbranch_execz .LBB30_53
; %bb.38:
	s_ashr_i32 s15, s14, 31
	s_lshl_b64 s[0:1], s[14:15], 2
	s_add_u32 s2, s24, s0
	v_and_b32_e32 v3, 12, v36
	s_addc_u32 s3, s25, s1
	s_add_i32 s14, s17, -1
	v_lshlrev_b32_e32 v5, 4, v46
	s_lshl_b64 s[0:1], s[22:23], 2
	v_and_b32_e32 v2, 0xfc, v36
	v_or3_b32 v50, v5, v3, 3
	v_lshlrev_b32_e32 v3, 4, v45
	s_add_u32 s0, s20, s0
	v_mov_b32_e32 v37, 0
	v_or_b32_e32 v4, 0x400, v2
	v_or_b32_e32 v6, 0x500, v2
	v_lshl_or_b32 v3, v46, 6, v3
	v_and_b32_e32 v36, 60, v38
	s_addc_u32 s1, s21, s1
	s_mov_b32 s26, s13
	v_add_u32_e32 v51, 0x190, v3
	v_lshl_add_u64 v[38:39], s[0:1], 0, v[36:37]
	s_mov_b64 s[8:9], 0
	v_lshlrev_b32_e32 v40, 2, v2
	v_mov_b32_e32 v41, v37
	v_lshlrev_b32_e32 v36, 2, v4
	v_lshlrev_b32_e32 v42, 2, v6
	v_mov_b32_e32 v34, v37
	v_mov_b32_e32 v35, v37
	;; [unrolled: 1-line block ×6, first 2 shown]
	s_branch .LBB30_40
.LBB30_39:                              ;   in Loop: Header=BB30_40 Depth=1
	s_or_b64 exec, exec, s[0:1]
	s_waitcnt vmcnt(5) lgkmcnt(0)
	v_mul_f32_e32 v7, v3, v7
	v_fmac_f32_e32 v7, v2, v6
	s_waitcnt vmcnt(4)
	v_mul_f32_e32 v6, v3, v11
	v_fmac_f32_e32 v6, v2, v10
	v_fmac_f32_e32 v6, v4, v12
	v_fmac_f32_e32 v6, v5, v13
	v_add_f32_e32 v35, v35, v6
	s_waitcnt vmcnt(3)
	v_mul_f32_e32 v6, v3, v15
	v_fmac_f32_e32 v6, v2, v14
	v_fmac_f32_e32 v6, v4, v16
	v_fmac_f32_e32 v6, v5, v17
	v_add_f32_e32 v32, v32, v6
	;; [unrolled: 6-line block ×3, first 2 shown]
	s_waitcnt vmcnt(1)
	v_mul_f32_e32 v6, v3, v23
	s_waitcnt vmcnt(0)
	v_mul_f32_e32 v3, v3, v27
	v_fmac_f32_e32 v6, v2, v22
	v_fmac_f32_e32 v3, v2, v26
	v_fmac_f32_e32 v7, v4, v8
	v_fmac_f32_e32 v6, v4, v24
	v_fmac_f32_e32 v3, v4, v28
	v_add_u32_e32 v46, 2, v46
	v_fmac_f32_e32 v7, v5, v9
	v_fmac_f32_e32 v6, v5, v25
	;; [unrolled: 1-line block ×3, first 2 shown]
	v_cmp_le_i32_e32 vcc, s17, v46
	v_add_f32_e32 v34, v34, v7
	v_add_f32_e32 v30, v30, v6
	;; [unrolled: 1-line block ×3, first 2 shown]
	v_add_u32_e32 v50, 32, v50
	v_add_u32_e32 v51, 0x80, v51
	s_or_b64 s[8:9], vcc, s[8:9]
	v_lshl_add_u64 v[38:39], v[38:39], 0, 8
	s_andn2_b64 exec, exec, s[8:9]
	s_cbranch_execz .LBB30_52
.LBB30_40:                              ; =>This Inner Loop Header: Depth=1
	global_load_dword v2, v[38:39], off
	v_add_u32_e32 v52, -3, v50
	v_cmp_eq_u32_e32 vcc, s14, v46
	v_add_u32_e32 v54, -2, v50
	v_add_u32_e32 v53, -1, v50
	s_waitcnt vmcnt(0)
	v_mad_i64_i32 v[2:3], s[0:1], v2, s26, 0
	v_lshl_add_u64 v[26:27], v[2:3], 2, s[2:3]
	v_lshl_add_u64 v[18:19], v[26:27], 0, v[40:41]
	global_load_dwordx4 v[6:9], v[18:19], off
	ds_read_b128 v[2:5], v51
	s_and_saveexec_b64 s[12:13], vcc
	s_cbranch_execnz .LBB30_49
; %bb.41:                               ;   in Loop: Header=BB30_40 Depth=1
	s_or_b64 exec, exec, s[12:13]
	global_load_dwordx4 v[10:13], v[18:19], off offset:1024
	s_and_saveexec_b64 s[12:13], vcc
	s_cbranch_execnz .LBB30_50
.LBB30_42:                              ;   in Loop: Header=BB30_40 Depth=1
	s_or_b64 exec, exec, s[12:13]
	global_load_dwordx4 v[14:17], v[18:19], off offset:2048
	s_and_saveexec_b64 s[12:13], vcc
	s_cbranch_execnz .LBB30_51
.LBB30_43:                              ;   in Loop: Header=BB30_40 Depth=1
	s_or_b64 exec, exec, s[12:13]
	global_load_dwordx4 v[18:21], v[18:19], off offset:3072
	s_and_saveexec_b64 s[12:13], vcc
	s_cbranch_execz .LBB30_45
.LBB30_44:                              ;   in Loop: Header=BB30_40 Depth=1
	v_cmp_gt_i32_e64 s[0:1], s33, v52
	s_waitcnt vmcnt(0)
	s_nop 0
	v_cndmask_b32_e64 v18, 0, v18, s[0:1]
	v_cmp_gt_i32_e64 s[0:1], s33, v54
	s_nop 1
	v_cndmask_b32_e64 v19, 0, v19, s[0:1]
	v_cmp_gt_i32_e64 s[0:1], s33, v53
	;; [unrolled: 3-line block ×3, first 2 shown]
	s_nop 1
	v_cndmask_b32_e64 v21, 0, v21, s[0:1]
.LBB30_45:                              ;   in Loop: Header=BB30_40 Depth=1
	s_or_b64 exec, exec, s[12:13]
	v_lshl_add_u64 v[22:23], v[26:27], 0, v[36:37]
	global_load_dwordx4 v[22:25], v[22:23], off
	s_and_saveexec_b64 s[12:13], vcc
	s_cbranch_execz .LBB30_47
; %bb.46:                               ;   in Loop: Header=BB30_40 Depth=1
	v_cmp_gt_i32_e64 s[0:1], s33, v52
	s_waitcnt vmcnt(0)
	s_nop 0
	v_cndmask_b32_e64 v22, 0, v22, s[0:1]
	v_cmp_gt_i32_e64 s[0:1], s33, v54
	s_nop 1
	v_cndmask_b32_e64 v23, 0, v23, s[0:1]
	v_cmp_gt_i32_e64 s[0:1], s33, v53
	s_nop 1
	v_cndmask_b32_e64 v24, 0, v24, s[0:1]
	v_cmp_gt_i32_e64 s[0:1], s33, v50
	s_nop 1
	v_cndmask_b32_e64 v25, 0, v25, s[0:1]
.LBB30_47:                              ;   in Loop: Header=BB30_40 Depth=1
	s_or_b64 exec, exec, s[12:13]
	v_mov_b32_e32 v43, v37
	v_lshl_add_u64 v[26:27], v[26:27], 0, v[42:43]
	global_load_dwordx4 v[26:29], v[26:27], off
	s_and_saveexec_b64 s[0:1], vcc
	s_cbranch_execz .LBB30_39
; %bb.48:                               ;   in Loop: Header=BB30_40 Depth=1
	v_cmp_gt_i32_e32 vcc, s33, v52
	s_waitcnt vmcnt(0)
	s_nop 0
	v_cndmask_b32_e32 v26, 0, v26, vcc
	v_cmp_gt_i32_e32 vcc, s33, v54
	s_nop 1
	v_cndmask_b32_e32 v27, 0, v27, vcc
	v_cmp_gt_i32_e32 vcc, s33, v53
	;; [unrolled: 3-line block ×3, first 2 shown]
	s_nop 1
	v_cndmask_b32_e32 v29, 0, v29, vcc
	s_branch .LBB30_39
.LBB30_49:                              ;   in Loop: Header=BB30_40 Depth=1
	v_cmp_gt_i32_e64 s[0:1], s33, v52
	s_waitcnt vmcnt(0)
	s_nop 0
	v_cndmask_b32_e64 v6, 0, v6, s[0:1]
	v_cmp_gt_i32_e64 s[0:1], s33, v54
	s_nop 1
	v_cndmask_b32_e64 v7, 0, v7, s[0:1]
	v_cmp_gt_i32_e64 s[0:1], s33, v53
	;; [unrolled: 3-line block ×3, first 2 shown]
	s_nop 1
	v_cndmask_b32_e64 v9, 0, v9, s[0:1]
	s_or_b64 exec, exec, s[12:13]
	global_load_dwordx4 v[10:13], v[18:19], off offset:1024
	s_and_saveexec_b64 s[12:13], vcc
	s_cbranch_execz .LBB30_42
.LBB30_50:                              ;   in Loop: Header=BB30_40 Depth=1
	v_cmp_gt_i32_e64 s[0:1], s33, v52
	s_waitcnt vmcnt(0)
	s_nop 0
	v_cndmask_b32_e64 v10, 0, v10, s[0:1]
	v_cmp_gt_i32_e64 s[0:1], s33, v54
	s_nop 1
	v_cndmask_b32_e64 v11, 0, v11, s[0:1]
	v_cmp_gt_i32_e64 s[0:1], s33, v53
	s_nop 1
	v_cndmask_b32_e64 v12, 0, v12, s[0:1]
	v_cmp_gt_i32_e64 s[0:1], s33, v50
	s_nop 1
	v_cndmask_b32_e64 v13, 0, v13, s[0:1]
	s_or_b64 exec, exec, s[12:13]
	global_load_dwordx4 v[14:17], v[18:19], off offset:2048
	s_and_saveexec_b64 s[12:13], vcc
	s_cbranch_execz .LBB30_43
.LBB30_51:                              ;   in Loop: Header=BB30_40 Depth=1
	v_cmp_gt_i32_e64 s[0:1], s33, v52
	s_waitcnt vmcnt(0)
	s_nop 0
	v_cndmask_b32_e64 v14, 0, v14, s[0:1]
	v_cmp_gt_i32_e64 s[0:1], s33, v54
	s_nop 1
	v_cndmask_b32_e64 v15, 0, v15, s[0:1]
	v_cmp_gt_i32_e64 s[0:1], s33, v53
	s_nop 1
	v_cndmask_b32_e64 v16, 0, v16, s[0:1]
	v_cmp_gt_i32_e64 s[0:1], s33, v50
	s_nop 1
	v_cndmask_b32_e64 v17, 0, v17, s[0:1]
	s_or_b64 exec, exec, s[12:13]
	global_load_dwordx4 v[18:21], v[18:19], off offset:3072
	s_and_saveexec_b64 s[12:13], vcc
	s_cbranch_execnz .LBB30_44
	s_branch .LBB30_45
.LBB30_52:
	s_or_b64 exec, exec, s[8:9]
.LBB30_53:
	s_or_b64 exec, exec, s[6:7]
	ds_bpermute_b32 v2, v49, v34
	ds_bpermute_b32 v3, v49, v35
	;; [unrolled: 1-line block ×6, first 2 shown]
	s_waitcnt lgkmcnt(4)
	v_pk_add_f32 v[2:3], v[34:35], v[2:3]
	ds_bpermute_b32 v8, v48, v2
	ds_bpermute_b32 v9, v48, v3
	s_waitcnt lgkmcnt(4)
	v_pk_add_f32 v[4:5], v[32:33], v[4:5]
	s_waitcnt lgkmcnt(2)
	v_pk_add_f32 v[12:13], v[30:31], v[6:7]
	ds_bpermute_b32 v10, v48, v4
	ds_bpermute_b32 v11, v48, v5
	;; [unrolled: 1-line block ×4, first 2 shown]
	s_waitcnt lgkmcnt(4)
	v_pk_add_f32 v[6:7], v[2:3], v[8:9]
	v_and_b32_e32 v8, 0x3c3, v0
	s_waitcnt lgkmcnt(2)
	v_pk_add_f32 v[2:3], v[4:5], v[10:11]
	v_cmp_eq_u32_e32 vcc, 64, v8
	s_waitcnt lgkmcnt(0)
	v_pk_add_f32 v[4:5], v[12:13], v[14:15]
	s_barrier
	s_and_saveexec_b64 s[0:1], vcc
	s_cbranch_execz .LBB30_55
; %bb.54:
	v_add_u32_e32 v9, 0x190, v47
	ds_write2_b32 v9, v6, v7 offset1:16
	ds_write2_b32 v9, v2, v3 offset0:32 offset1:48
	ds_write2_b32 v9, v4, v5 offset0:64 offset1:80
.LBB30_55:
	s_or_b64 exec, exec, s[0:1]
	v_cmp_gt_u32_e32 vcc, 64, v0
	s_waitcnt lgkmcnt(0)
	s_barrier
	s_and_saveexec_b64 s[0:1], vcc
	s_cbranch_execz .LBB30_64
; %bb.56:
	v_cmp_eq_u32_e32 vcc, 0, v45
	s_and_saveexec_b64 s[2:3], vcc
	s_cbranch_execnz .LBB30_67
; %bb.57:
	s_or_b64 exec, exec, s[2:3]
	s_and_saveexec_b64 s[2:3], vcc
	s_cbranch_execnz .LBB30_68
.LBB30_58:
	s_or_b64 exec, exec, s[2:3]
	s_and_saveexec_b64 s[2:3], vcc
	s_cbranch_execnz .LBB30_69
.LBB30_59:
	s_or_b64 exec, exec, s[2:3]
	s_and_saveexec_b64 s[2:3], vcc
	s_cbranch_execnz .LBB30_70
.LBB30_60:
	s_or_b64 exec, exec, s[2:3]
	s_and_saveexec_b64 s[2:3], vcc
	s_cbranch_execnz .LBB30_71
.LBB30_61:
	s_or_b64 exec, exec, s[2:3]
	s_and_saveexec_b64 s[2:3], vcc
	s_cbranch_execz .LBB30_63
.LBB30_62:
	v_mov_b32_e32 v0, 0x190
	v_lshl_add_u32 v0, v44, 2, v0
	ds_read_b32 v0, v0 offset:320
	s_waitcnt lgkmcnt(0)
	v_add_f32_e32 v5, v5, v0
.LBB30_63:
	s_or_b64 exec, exec, s[2:3]
.LBB30_64:
	s_or_b64 exec, exec, s[0:1]
	v_cmp_eq_u32_e32 vcc, 0, v8
	s_barrier
	s_and_saveexec_b64 s[0:1], vcc
	s_cbranch_execz .LBB30_66
; %bb.65:
	s_mul_i32 s0, s10, s11
	s_mul_i32 s0, s0, s5
	s_mulk_i32 s0, 0x60
	s_ashr_i32 s1, s0, 31
	s_lshl_b64 s[0:1], s[0:1], 2
	s_add_u32 s2, s18, s0
	s_mul_i32 s0, s11, s16
	s_addc_u32 s3, s19, s1
	s_ashr_i32 s1, s0, 31
	s_lshl_b64 s[0:1], s[0:1], 2
	s_add_u32 s2, s2, s0
	s_mul_i32 s0, s4, 0x60
	s_addc_u32 s3, s3, s1
	s_ashr_i32 s1, s0, 31
	s_lshl_b64 s[0:1], s[0:1], 2
	s_add_u32 s0, s2, s0
	s_addc_u32 s1, s3, s1
	global_store_dword v1, v6, s[0:1]
	global_store_dword v1, v7, s[0:1] offset:64
	global_store_dword v1, v2, s[0:1] offset:128
	;; [unrolled: 1-line block ×5, first 2 shown]
.LBB30_66:
	s_endpgm
.LBB30_67:
	v_mov_b32_e32 v0, 0x190
	v_lshl_add_u32 v0, v44, 2, v0
	ds_read_b32 v0, v0
	s_waitcnt lgkmcnt(0)
	v_add_f32_e32 v6, v6, v0
	s_or_b64 exec, exec, s[2:3]
	s_and_saveexec_b64 s[2:3], vcc
	s_cbranch_execz .LBB30_58
.LBB30_68:
	v_mov_b32_e32 v0, 0x190
	v_lshl_add_u32 v0, v44, 2, v0
	ds_read_b32 v0, v0 offset:64
	s_waitcnt lgkmcnt(0)
	v_add_f32_e32 v7, v7, v0
	s_or_b64 exec, exec, s[2:3]
	s_and_saveexec_b64 s[2:3], vcc
	s_cbranch_execz .LBB30_59
.LBB30_69:
	v_mov_b32_e32 v0, 0x190
	v_lshl_add_u32 v0, v44, 2, v0
	ds_read_b32 v0, v0 offset:128
	s_waitcnt lgkmcnt(0)
	v_add_f32_e32 v2, v2, v0
	s_or_b64 exec, exec, s[2:3]
	s_and_saveexec_b64 s[2:3], vcc
	s_cbranch_execz .LBB30_60
.LBB30_70:
	v_mov_b32_e32 v0, 0x190
	v_lshl_add_u32 v0, v44, 2, v0
	ds_read_b32 v0, v0 offset:192
	s_waitcnt lgkmcnt(0)
	v_add_f32_e32 v3, v3, v0
	s_or_b64 exec, exec, s[2:3]
	s_and_saveexec_b64 s[2:3], vcc
	s_cbranch_execz .LBB30_61
.LBB30_71:
	v_mov_b32_e32 v0, 0x190
	v_lshl_add_u32 v0, v44, 2, v0
	ds_read_b32 v0, v0 offset:256
	s_waitcnt lgkmcnt(0)
	v_add_f32_e32 v4, v4, v0
	s_or_b64 exec, exec, s[2:3]
	s_and_saveexec_b64 s[2:3], vcc
	s_cbranch_execnz .LBB30_62
	s_branch .LBB30_63
	.section	.rodata,"a",@progbits
	.p2align	6, 0x0
	.amdhsa_kernel _ZN4vllm25paged_attention_v1_kernelIffLi96ELi16ELi128ELNS_18Fp8KVCacheDataTypeE0ELb0EEEvPT_PKS2_PKT0_S8_ifPKiSA_iPKfiiiSC_SC_iiiii
		.amdhsa_group_segment_fixed_size 400
		.amdhsa_private_segment_fixed_size 0
		.amdhsa_kernarg_size 384
		.amdhsa_user_sgpr_count 2
		.amdhsa_user_sgpr_dispatch_ptr 0
		.amdhsa_user_sgpr_queue_ptr 0
		.amdhsa_user_sgpr_kernarg_segment_ptr 1
		.amdhsa_user_sgpr_dispatch_id 0
		.amdhsa_user_sgpr_kernarg_preload_length 0
		.amdhsa_user_sgpr_kernarg_preload_offset 0
		.amdhsa_user_sgpr_private_segment_size 0
		.amdhsa_uses_dynamic_stack 0
		.amdhsa_enable_private_segment 0
		.amdhsa_system_sgpr_workgroup_id_x 1
		.amdhsa_system_sgpr_workgroup_id_y 1
		.amdhsa_system_sgpr_workgroup_id_z 1
		.amdhsa_system_sgpr_workgroup_info 0
		.amdhsa_system_vgpr_workitem_id 0
		.amdhsa_next_free_vgpr 68
		.amdhsa_next_free_sgpr 35
		.amdhsa_accum_offset 68
		.amdhsa_reserve_vcc 1
		.amdhsa_float_round_mode_32 0
		.amdhsa_float_round_mode_16_64 0
		.amdhsa_float_denorm_mode_32 3
		.amdhsa_float_denorm_mode_16_64 3
		.amdhsa_dx10_clamp 1
		.amdhsa_ieee_mode 1
		.amdhsa_fp16_overflow 0
		.amdhsa_tg_split 0
		.amdhsa_exception_fp_ieee_invalid_op 0
		.amdhsa_exception_fp_denorm_src 0
		.amdhsa_exception_fp_ieee_div_zero 0
		.amdhsa_exception_fp_ieee_overflow 0
		.amdhsa_exception_fp_ieee_underflow 0
		.amdhsa_exception_fp_ieee_inexact 0
		.amdhsa_exception_int_div_zero 0
	.end_amdhsa_kernel
	.section	.text._ZN4vllm25paged_attention_v1_kernelIffLi96ELi16ELi128ELNS_18Fp8KVCacheDataTypeE0ELb0EEEvPT_PKS2_PKT0_S8_ifPKiSA_iPKfiiiSC_SC_iiiii,"axG",@progbits,_ZN4vllm25paged_attention_v1_kernelIffLi96ELi16ELi128ELNS_18Fp8KVCacheDataTypeE0ELb0EEEvPT_PKS2_PKT0_S8_ifPKiSA_iPKfiiiSC_SC_iiiii,comdat
.Lfunc_end30:
	.size	_ZN4vllm25paged_attention_v1_kernelIffLi96ELi16ELi128ELNS_18Fp8KVCacheDataTypeE0ELb0EEEvPT_PKS2_PKT0_S8_ifPKiSA_iPKfiiiSC_SC_iiiii, .Lfunc_end30-_ZN4vllm25paged_attention_v1_kernelIffLi96ELi16ELi128ELNS_18Fp8KVCacheDataTypeE0ELb0EEEvPT_PKS2_PKT0_S8_ifPKiSA_iPKfiiiSC_SC_iiiii
                                        ; -- End function
	.section	.AMDGPU.csdata,"",@progbits
; Kernel info:
; codeLenInByte = 4656
; NumSgprs: 41
; NumVgprs: 68
; NumAgprs: 0
; TotalNumVgprs: 68
; ScratchSize: 0
; MemoryBound: 0
; FloatMode: 240
; IeeeMode: 1
; LDSByteSize: 400 bytes/workgroup (compile time only)
; SGPRBlocks: 5
; VGPRBlocks: 8
; NumSGPRsForWavesPerEU: 41
; NumVGPRsForWavesPerEU: 68
; AccumOffset: 68
; Occupancy: 7
; WaveLimiterHint : 1
; COMPUTE_PGM_RSRC2:SCRATCH_EN: 0
; COMPUTE_PGM_RSRC2:USER_SGPR: 2
; COMPUTE_PGM_RSRC2:TRAP_HANDLER: 0
; COMPUTE_PGM_RSRC2:TGID_X_EN: 1
; COMPUTE_PGM_RSRC2:TGID_Y_EN: 1
; COMPUTE_PGM_RSRC2:TGID_Z_EN: 1
; COMPUTE_PGM_RSRC2:TIDIG_COMP_CNT: 0
; COMPUTE_PGM_RSRC3_GFX90A:ACCUM_OFFSET: 16
; COMPUTE_PGM_RSRC3_GFX90A:TG_SPLIT: 0
	.section	.text._ZN4vllm25paged_attention_v1_kernelIffLi112ELi16ELi128ELNS_18Fp8KVCacheDataTypeE0ELb0EEEvPT_PKS2_PKT0_S8_ifPKiSA_iPKfiiiSC_SC_iiiii,"axG",@progbits,_ZN4vllm25paged_attention_v1_kernelIffLi112ELi16ELi128ELNS_18Fp8KVCacheDataTypeE0ELb0EEEvPT_PKS2_PKT0_S8_ifPKiSA_iPKfiiiSC_SC_iiiii,comdat
	.protected	_ZN4vllm25paged_attention_v1_kernelIffLi112ELi16ELi128ELNS_18Fp8KVCacheDataTypeE0ELb0EEEvPT_PKS2_PKT0_S8_ifPKiSA_iPKfiiiSC_SC_iiiii ; -- Begin function _ZN4vllm25paged_attention_v1_kernelIffLi112ELi16ELi128ELNS_18Fp8KVCacheDataTypeE0ELb0EEEvPT_PKS2_PKT0_S8_ifPKiSA_iPKfiiiSC_SC_iiiii
	.globl	_ZN4vllm25paged_attention_v1_kernelIffLi112ELi16ELi128ELNS_18Fp8KVCacheDataTypeE0ELb0EEEvPT_PKS2_PKT0_S8_ifPKiSA_iPKfiiiSC_SC_iiiii
	.p2align	8
	.type	_ZN4vllm25paged_attention_v1_kernelIffLi112ELi16ELi128ELNS_18Fp8KVCacheDataTypeE0ELb0EEEvPT_PKS2_PKT0_S8_ifPKiSA_iPKfiiiSC_SC_iiiii,@function
_ZN4vllm25paged_attention_v1_kernelIffLi112ELi16ELi128ELNS_18Fp8KVCacheDataTypeE0ELb0EEEvPT_PKS2_PKT0_S8_ifPKiSA_iPKfiiiSC_SC_iiiii: ; @_ZN4vllm25paged_attention_v1_kernelIffLi112ELi16ELi128ELNS_18Fp8KVCacheDataTypeE0ELb0EEEvPT_PKS2_PKT0_S8_ifPKiSA_iPKfiiiSC_SC_iiiii
; %bb.0:
	s_load_dword s5, s[0:1], 0x80
	s_load_dwordx2 s[6:7], s[0:1], 0x30
	s_load_dwordx2 s[8:9], s[0:1], 0x20
	s_mov_b32 s10, s3
	s_ashr_i32 s11, s3, 31
	s_lshl_b64 s[12:13], s[10:11], 2
	s_waitcnt lgkmcnt(0)
	s_add_u32 s6, s6, s12
	s_addc_u32 s7, s7, s13
	s_abs_i32 s3, s8
	v_cvt_f32_u32_e32 v1, s3
	s_sub_i32 s12, 0, s3
	s_abs_i32 s11, s5
	s_xor_b32 s8, s5, s8
	v_rcp_iflag_f32_e32 v1, v1
	s_ashr_i32 s8, s8, 31
	v_mul_f32_e32 v1, 0x4f7ffffe, v1
	v_cvt_u32_f32_e32 v1, v1
	s_nop 0
	v_readfirstlane_b32 s13, v1
	s_mul_i32 s12, s12, s13
	s_mul_hi_u32 s12, s13, s12
	s_add_i32 s13, s13, s12
	s_mul_hi_u32 s12, s11, s13
	s_mul_i32 s13, s12, s3
	s_sub_i32 s11, s11, s13
	s_add_i32 s13, s12, 1
	s_sub_i32 s14, s11, s3
	s_cmp_ge_u32 s11, s3
	s_cselect_b32 s12, s13, s12
	s_cselect_b32 s11, s14, s11
	s_add_i32 s13, s12, 1
	s_cmp_ge_u32 s11, s3
	s_cselect_b32 s3, s13, s12
	s_xor_b32 s3, s3, s8
	s_sub_i32 s14, s3, s8
	s_abs_i32 s11, s14
	v_cvt_f32_u32_e32 v1, s11
	s_load_dwordx2 s[12:13], s[0:1], 0x40
	s_sub_i32 s3, 0, s11
	s_abs_i32 s18, s2
	v_rcp_iflag_f32_e32 v1, v1
	s_mov_b32 s8, 0
	v_mul_f32_e32 v1, 0x4f7ffffe, v1
	v_cvt_u32_f32_e32 v1, v1
	s_nop 0
	v_readfirstlane_b32 s15, v1
	s_mul_i32 s3, s3, s15
	s_mul_hi_u32 s3, s15, s3
	s_add_i32 s15, s15, s3
	s_waitcnt lgkmcnt(0)
	s_cmp_eq_u64 s[12:13], 0
	s_mul_hi_u32 s19, s18, s15
	s_cbranch_scc1 .LBB31_2
; %bb.1:
	s_ashr_i32 s3, s2, 31
	s_lshl_b64 s[16:17], s[2:3], 2
	s_add_u32 s12, s12, s16
	s_addc_u32 s13, s13, s17
	s_load_dword s8, s[12:13], 0x0
.LBB31_2:
	s_load_dword s33, s[6:7], 0x0
	s_ashr_i32 s7, s14, 31
	s_load_dwordx4 s[12:15], s[0:1], 0x48
	v_lshrrev_b32_e32 v50, 2, v0
	s_waitcnt lgkmcnt(0)
	s_movk_i32 s15, 0x70
	s_ashr_i32 s6, s2, 31
	v_and_b32_e32 v51, 3, v0
	s_mul_i32 s16, s2, 0x70
	v_cmp_gt_u32_e32 vcc, s15, v0
	v_lshlrev_b32_e32 v40, 2, v0
	v_lshlrev_b32_e32 v1, 2, v50
	s_and_saveexec_b64 s[2:3], vcc
	s_cbranch_execz .LBB31_4
; %bb.3:
	s_load_dwordx2 s[20:21], s[0:1], 0x8
	s_mul_i32 s22, s10, s12
	s_ashr_i32 s23, s22, 31
	s_lshl_b64 s[22:23], s[22:23], 2
	v_mad_u32_u24 v3, v51, s15, v1
	s_waitcnt lgkmcnt(0)
	s_add_u32 s12, s20, s22
	s_addc_u32 s22, s21, s23
	s_ashr_i32 s17, s16, 31
	s_lshl_b64 s[20:21], s[16:17], 2
	s_add_u32 s20, s12, s20
	s_addc_u32 s21, s22, s21
	global_load_dword v2, v40, s[20:21]
	s_waitcnt vmcnt(0)
	ds_write_b32 v3, v2
.LBB31_4:
	s_or_b64 exec, exec, s[2:3]
	s_add_i32 s3, s33, 15
	s_ashr_i32 s12, s3, 31
	s_lshr_b32 s12, s12, 28
	s_add_i32 s3, s3, s12
	s_ashr_i32 s17, s3, 4
	s_xor_b32 s3, s6, s7
	s_mul_i32 s6, s19, s11
	s_sub_i32 s6, s18, s6
	s_add_i32 s7, s19, 1
	s_sub_i32 s12, s6, s11
	s_load_dwordx2 s[20:21], s[0:1], 0x28
	s_load_dword s2, s[0:1], 0x38
	s_cmp_ge_u32 s6, s11
	s_cselect_b32 s7, s7, s19
	s_cselect_b32 s6, s12, s6
	s_add_i32 s12, s7, 1
	s_cmp_ge_u32 s6, s11
	s_cselect_b32 s6, s12, s7
	v_lshrrev_b32_e32 v52, 6, v0
	s_xor_b32 s6, s6, s3
	s_waitcnt lgkmcnt(0)
	s_mul_i32 s22, s10, s2
	s_sub_i32 s12, s6, s3
	s_ashr_i32 s23, s22, 31
	v_cmp_gt_i32_e64 s[2:3], s17, v52
	v_cmp_le_i32_e32 vcc, s17, v52
	v_mbcnt_lo_u32_b32 v32, -1, 0
	s_barrier
	s_waitcnt lgkmcnt(0)
                                        ; implicit-def: $sgpr15
                                        ; implicit-def: $vgpr34
                                        ; implicit-def: $vgpr35
	s_and_saveexec_b64 s[6:7], vcc
	s_xor_b64 s[6:7], exec, s[6:7]
; %bb.5:
	v_mbcnt_hi_u32_b32 v34, -1, v32
	v_and_b32_e32 v2, 64, v34
	v_add_u32_e32 v35, 64, v2
	s_mov_b32 s15, 0xff7fffff
                                        ; implicit-def: $vgpr32
; %bb.6:
	s_or_saveexec_b64 s[26:27], s[6:7]
	s_load_dwordx2 s[18:19], s[0:1], 0x0
	s_load_dwordx2 s[24:25], s[0:1], 0x18
	s_load_dword s11, s[0:1], 0x88
	v_mov_b32_e32 v36, s15
	s_mul_i32 s14, s12, s14
	v_lshrrev_b32_e32 v42, 4, v0
	s_xor_b64 exec, exec, s[26:27]
	s_cbranch_execz .LBB31_12
; %bb.7:
	s_load_dwordx2 s[0:1], s[0:1], 0x10
	s_ashr_i32 s15, s14, 31
	s_lshl_b64 s[6:7], s[14:15], 2
	v_bfe_u32 v33, v0, 2, 4
	v_lshlrev_b32_e32 v44, 4, v33
	s_waitcnt lgkmcnt(0)
	s_add_u32 s0, s0, s6
	s_addc_u32 s1, s1, s7
	v_mov_b32_e32 v45, 0
	v_lshl_add_u64 v[2:3], s[0:1], 0, v[44:45]
	v_lshlrev_b32_e32 v44, 2, v51
	v_mul_u32_u24_e32 v26, 0x70, v51
	v_lshl_add_u64 v[30:31], v[2:3], 0, v[44:45]
	ds_read_b128 v[2:5], v26
	ds_read_b128 v[6:9], v26 offset:16
	ds_read_b128 v[10:13], v26 offset:32
	;; [unrolled: 1-line block ×6, first 2 shown]
	v_mbcnt_hi_u32_b32 v34, -1, v32
	v_and_b32_e32 v32, 64, v34
	v_add_u32_e32 v35, 64, v32
	v_xor_b32_e32 v32, 2, v34
	v_cmp_lt_i32_e32 vcc, v32, v35
	s_sub_i32 s15, 1, s33
	s_lshl_b64 s[6:7], s[22:23], 2
	v_cndmask_b32_e32 v32, v34, v32, vcc
	v_lshlrev_b32_e32 v37, 2, v32
	v_xor_b32_e32 v32, 1, v34
	v_cmp_lt_i32_e32 vcc, v32, v35
	v_lshlrev_b32_e32 v36, 2, v33
	s_add_u32 s6, s20, s6
	v_cndmask_b32_e32 v32, v34, v32, vcc
	v_lshlrev_b32_e32 v38, 2, v32
	v_lshl_or_b32 v32, v52, 6, v36
	v_and_b32_e32 v44, 60, v42
	s_addc_u32 s7, s21, s7
	s_mov_b32 s12, s13
	v_cmp_eq_u32_e32 vcc, 0, v51
	v_cmp_neq_f32_e64 s[0:1], s8, 0
	v_lshl_or_b32 v39, v52, 4, v33
	v_add_u32_e32 v41, 0x1d0, v32
	v_lshl_add_u64 v[32:33], s[6:7], 0, v[44:45]
	s_mov_b64 s[28:29], 0
	v_mov_b32_e32 v36, 0xff7fffff
	s_movk_i32 s34, 0x1000
	v_mov_b32_e32 v43, v52
	s_branch .LBB31_9
.LBB31_8:                               ;   in Loop: Header=BB31_9 Depth=1
	s_or_b64 exec, exec, s[30:31]
	v_add_u32_e32 v43, 2, v43
	v_cmp_le_i32_e64 s[6:7], s17, v43
	v_add_u32_e32 v39, 32, v39
	v_add_u32_e32 v41, 0x80, v41
	s_or_b64 s[28:29], s[6:7], s[28:29]
	v_lshl_add_u64 v[32:33], v[32:33], 0, 8
	s_andn2_b64 exec, exec, s[28:29]
	s_cbranch_execz .LBB31_11
.LBB31_9:                               ; =>This Inner Loop Header: Depth=1
	global_load_dword v44, v[32:33], off
	s_waitcnt vmcnt(0) lgkmcnt(0)
	v_mad_i64_i32 v[44:45], s[6:7], v44, s12, 0
	v_lshl_add_u64 v[44:45], v[44:45], 2, v[30:31]
	global_load_dword v46, v[44:45], off
	global_load_dword v47, v[44:45], off offset:256
	global_load_dword v48, v[44:45], off offset:512
	;; [unrolled: 1-line block ×15, first 2 shown]
	v_add_co_u32_e64 v44, s[6:7], s34, v44
	s_nop 1
	v_addc_co_u32_e64 v45, s[6:7], 0, v45, s[6:7]
	global_load_dword v65, v[44:45], off
	global_load_dword v66, v[44:45], off offset:256
	global_load_dword v67, v[44:45], off offset:512
	;; [unrolled: 1-line block ×10, first 2 shown]
	s_nop 0
	global_load_dword v44, v[44:45], off offset:2816
	s_waitcnt vmcnt(26) lgkmcnt(6)
	v_mul_f32_e32 v45, v3, v47
	v_fmac_f32_e32 v45, v2, v46
	s_waitcnt vmcnt(25)
	v_fmac_f32_e32 v45, v4, v48
	s_waitcnt vmcnt(24)
	v_fmac_f32_e32 v45, v5, v49
	s_waitcnt vmcnt(23) lgkmcnt(5)
	v_fmac_f32_e32 v45, v6, v53
	s_waitcnt vmcnt(22)
	v_fmac_f32_e32 v45, v7, v54
	s_waitcnt vmcnt(21)
	v_fmac_f32_e32 v45, v8, v55
	s_waitcnt vmcnt(20)
	v_fmac_f32_e32 v45, v9, v56
	s_waitcnt vmcnt(19) lgkmcnt(4)
	v_fmac_f32_e32 v45, v10, v57
	s_waitcnt vmcnt(18)
	v_fmac_f32_e32 v45, v11, v58
	s_waitcnt vmcnt(17)
	v_fmac_f32_e32 v45, v12, v59
	s_waitcnt vmcnt(16)
	v_fmac_f32_e32 v45, v13, v60
	s_waitcnt vmcnt(15) lgkmcnt(3)
	v_fmac_f32_e32 v45, v14, v61
	s_waitcnt vmcnt(14)
	v_fmac_f32_e32 v45, v15, v62
	s_waitcnt vmcnt(13)
	v_fmac_f32_e32 v45, v16, v63
	s_waitcnt vmcnt(12)
	v_fmac_f32_e32 v45, v17, v64
	s_waitcnt vmcnt(11) lgkmcnt(2)
	v_fmac_f32_e32 v45, v18, v65
	s_waitcnt vmcnt(10)
	v_fmac_f32_e32 v45, v19, v66
	s_waitcnt vmcnt(9)
	v_fmac_f32_e32 v45, v20, v67
	s_waitcnt vmcnt(8)
	v_fmac_f32_e32 v45, v21, v68
	s_waitcnt vmcnt(7) lgkmcnt(1)
	v_fmac_f32_e32 v45, v22, v69
	s_waitcnt vmcnt(6)
	v_fmac_f32_e32 v45, v23, v70
	s_waitcnt vmcnt(5)
	v_fmac_f32_e32 v45, v24, v71
	s_waitcnt vmcnt(4)
	v_fmac_f32_e32 v45, v25, v72
	s_waitcnt vmcnt(3) lgkmcnt(0)
	v_fmac_f32_e32 v45, v26, v73
	s_waitcnt vmcnt(2)
	v_fmac_f32_e32 v45, v27, v74
	s_waitcnt vmcnt(1)
	v_fmac_f32_e32 v45, v28, v75
	s_waitcnt vmcnt(0)
	v_fmac_f32_e32 v45, v29, v44
	ds_bpermute_b32 v44, v37, v45
	s_waitcnt lgkmcnt(0)
	v_add_f32_e32 v44, v45, v44
	ds_bpermute_b32 v45, v38, v44
	s_and_saveexec_b64 s[30:31], vcc
	s_cbranch_execz .LBB31_8
; %bb.10:                               ;   in Loop: Header=BB31_9 Depth=1
	v_add_u32_e32 v46, s15, v39
	v_cvt_f32_i32_e32 v46, v46
	s_waitcnt lgkmcnt(0)
	v_add_f32_e32 v44, v44, v45
	v_cmp_gt_i32_e64 s[6:7], s33, v39
	v_max_f32_e32 v45, v36, v36
	v_mul_f32_e32 v46, s8, v46
	v_cndmask_b32_e64 v46, 0, v46, s[0:1]
	v_fmac_f32_e32 v46, s9, v44
	v_cndmask_b32_e64 v44, 0, v46, s[6:7]
	ds_write_b32 v41, v44
	v_max_f32_e32 v44, v45, v46
	v_cndmask_b32_e64 v36, v36, v44, s[6:7]
	s_branch .LBB31_8
.LBB31_11:
	s_or_b64 exec, exec, s[28:29]
.LBB31_12:
	s_or_b64 exec, exec, s[26:27]
	v_xor_b32_e32 v2, 32, v34
	v_cmp_lt_i32_e32 vcc, v2, v35
	v_xor_b32_e32 v5, 16, v34
	v_max_f32_e32 v4, v36, v36
	v_cndmask_b32_e32 v2, v34, v2, vcc
	v_lshlrev_b32_e32 v2, 2, v2
	ds_bpermute_b32 v3, v2, v36
	v_cmp_lt_i32_e32 vcc, v5, v35
	v_xor_b32_e32 v6, 8, v34
	v_xor_b32_e32 v7, 4, v34
	v_and_b32_e32 v53, 63, v0
	s_waitcnt lgkmcnt(0)
	v_max_f32_e32 v3, v3, v3
	v_max_f32_e32 v4, v4, v3
	v_cndmask_b32_e32 v3, v34, v5, vcc
	v_lshlrev_b32_e32 v3, 2, v3
	ds_bpermute_b32 v5, v3, v4
	v_cmp_lt_i32_e32 vcc, v6, v35
	s_waitcnt lgkmcnt(0)
	v_max_f32_e32 v5, v5, v5
	v_max_f32_e32 v4, v4, v5
	v_cndmask_b32_e32 v5, v34, v6, vcc
	v_lshlrev_b32_e32 v6, 2, v5
	ds_bpermute_b32 v5, v6, v4
	v_cmp_lt_i32_e32 vcc, v7, v35
	s_waitcnt lgkmcnt(0)
	v_max_f32_e32 v5, v5, v5
	v_max_f32_e32 v5, v4, v5
	v_cndmask_b32_e32 v4, v34, v7, vcc
	v_lshlrev_b32_e32 v7, 2, v4
	ds_bpermute_b32 v8, v7, v5
	v_cmp_eq_u32_e32 vcc, 0, v53
	v_lshlrev_b32_e32 v4, 2, v52
	s_and_saveexec_b64 s[0:1], vcc
	s_cbranch_execz .LBB31_14
; %bb.13:
	s_waitcnt lgkmcnt(0)
	v_max_f32_e32 v8, v8, v8
	v_max_f32_e32 v5, v5, v5
	;; [unrolled: 1-line block ×3, first 2 shown]
	ds_write_b32 v4, v5 offset:448
.LBB31_14:
	s_or_b64 exec, exec, s[0:1]
	v_cmp_gt_u32_e64 s[0:1], 2, v53
	s_waitcnt lgkmcnt(0)
	v_mov_b32_e32 v8, 0xff7fffff
	v_lshlrev_b32_e32 v5, 2, v53
	s_barrier
	s_and_saveexec_b64 s[6:7], s[0:1]
	s_cbranch_execz .LBB31_16
; %bb.15:
	ds_read_b32 v8, v5 offset:448
.LBB31_16:
	s_or_b64 exec, exec, s[6:7]
	v_xor_b32_e32 v9, 1, v34
	v_cmp_lt_i32_e64 s[6:7], v9, v35
	v_lshlrev_b32_e32 v10, 2, v34
	s_nop 0
	v_cndmask_b32_e64 v9, v34, v9, s[6:7]
	v_lshlrev_b32_e32 v54, 2, v9
	s_waitcnt lgkmcnt(0)
	ds_bpermute_b32 v9, v54, v8
	v_max_f32_e32 v8, v8, v8
	s_lshl_b32 s6, s17, 4
	s_min_i32 s12, s6, s33
	v_cmp_gt_i32_e64 s[6:7], s12, v0
	s_waitcnt lgkmcnt(0)
	v_max_f32_e32 v9, v9, v9
	v_max_f32_e32 v9, v8, v9
	v_and_b32_e32 v8, 0xffffff00, v10
	ds_bpermute_b32 v10, v8, v9
	v_mov_b32_e32 v9, 0
	s_and_saveexec_b64 s[26:27], s[6:7]
	s_cbranch_execz .LBB31_20
; %bb.17:
	v_mov_b32_e32 v9, 0x1d0
	v_lshl_add_u32 v11, v0, 2, v9
	s_mov_b64 s[28:29], 0
	v_mov_b32_e32 v9, 0
	v_mov_b32_e32 v12, v0
.LBB31_18:                              ; =>This Inner Loop Header: Depth=1
	ds_read_b32 v13, v11
	v_add_u32_e32 v12, 0x80, v12
	v_cmp_le_i32_e64 s[8:9], s12, v12
	s_or_b64 s[28:29], s[8:9], s[28:29]
	s_waitcnt lgkmcnt(0)
	v_sub_f32_e32 v13, v13, v10
	v_mul_f32_e32 v13, 0x3fb8aa3b, v13
	v_exp_f32_e32 v13, v13
	ds_write_b32 v11, v13
	v_add_f32_e32 v9, v9, v13
	v_add_u32_e32 v11, 0x200, v11
	s_andn2_b64 exec, exec, s[28:29]
	s_cbranch_execnz .LBB31_18
; %bb.19:
	s_or_b64 exec, exec, s[28:29]
.LBB31_20:
	s_or_b64 exec, exec, s[26:27]
	ds_bpermute_b32 v2, v2, v9
	s_waitcnt lgkmcnt(0)
	v_add_f32_e32 v2, v9, v2
	ds_bpermute_b32 v3, v3, v2
	s_waitcnt lgkmcnt(0)
	v_add_f32_e32 v2, v2, v3
	ds_bpermute_b32 v3, v6, v2
	v_xor_b32_e32 v6, 2, v34
	v_cmp_lt_i32_e64 s[8:9], v6, v35
	s_waitcnt lgkmcnt(0)
	v_add_f32_e32 v2, v2, v3
	ds_bpermute_b32 v3, v7, v2
	v_cndmask_b32_e64 v6, v34, v6, s[8:9]
	v_lshlrev_b32_e32 v55, 2, v6
	s_waitcnt lgkmcnt(0)
	v_add_f32_e32 v2, v2, v3
	ds_bpermute_b32 v3, v55, v2
	s_waitcnt lgkmcnt(0)
	v_add_f32_e32 v2, v2, v3
	ds_bpermute_b32 v3, v54, v2
	s_waitcnt lgkmcnt(0)
	v_add_f32_e32 v2, v2, v3
	s_and_saveexec_b64 s[8:9], vcc
	s_cbranch_execz .LBB31_22
; %bb.21:
	ds_write_b32 v4, v2 offset:456
.LBB31_22:
	s_or_b64 exec, exec, s[8:9]
	s_waitcnt lgkmcnt(0)
	s_barrier
	s_and_saveexec_b64 s[8:9], s[0:1]
	s_cbranch_execz .LBB31_24
; %bb.23:
	ds_read_b32 v2, v5 offset:456
.LBB31_24:
	s_or_b64 exec, exec, s[8:9]
	s_waitcnt lgkmcnt(0)
	ds_bpermute_b32 v3, v54, v2
	s_waitcnt lgkmcnt(0)
	v_add_f32_e32 v2, v2, v3
	ds_bpermute_b32 v2, v8, v2
	s_and_saveexec_b64 s[0:1], s[6:7]
	s_cbranch_execz .LBB31_37
; %bb.25:
	s_waitcnt lgkmcnt(0)
	v_add_f32_e32 v2, 0x358637bd, v2
	v_div_scale_f32 v3, s[6:7], v2, v2, 1.0
	v_rcp_f32_e32 v4, v3
	v_div_scale_f32 v5, vcc, 1.0, v2, 1.0
	s_movk_i32 s6, 0x7f
	v_fma_f32 v6, -v3, v4, 1.0
	v_fmac_f32_e32 v4, v6, v4
	v_mul_f32_e32 v6, v5, v4
	v_fma_f32 v7, -v3, v6, v5
	v_fmac_f32_e32 v6, v7, v4
	v_fma_f32 v3, -v3, v6, v5
	v_div_fmas_f32 v3, v3, v4, v6
	v_xad_u32 v4, v0, -1, s12
	v_div_fixup_f32 v2, v3, v2, 1.0
	v_cmp_lt_u32_e32 vcc, s6, v4
	s_mov_b64 s[8:9], -1
	v_mov_b32_e32 v3, v0
	s_and_saveexec_b64 s[6:7], vcc
	s_cbranch_execz .LBB31_34
; %bb.26:
	v_lshrrev_b32_e32 v4, 7, v4
	v_add_u32_e32 v6, -1, v4
	v_lshrrev_b32_e32 v5, 1, v6
	v_mov_b32_e32 v3, v2
	v_add_u32_e32 v5, 1, v5
	v_cmp_lt_u32_e32 vcc, 13, v6
	v_mov_b32_e32 v8, 0
	s_and_saveexec_b64 s[8:9], vcc
	s_cbranch_execz .LBB31_30
; %bb.27:
	v_mov_b32_e32 v7, 0x1d0
	v_and_b32_e32 v6, -8, v5
	v_lshl_add_u32 v7, v0, 2, v7
	s_mov_b32 s15, 0
	s_mov_b64 s[26:27], 0
.LBB31_28:                              ; =>This Inner Loop Header: Depth=1
	ds_read2st64_b32 v[8:9], v7 offset1:2
	ds_read2st64_b32 v[10:11], v7 offset0:4 offset1:6
	ds_read2st64_b32 v[12:13], v7 offset0:8 offset1:10
	;; [unrolled: 1-line block ×3, first 2 shown]
	v_add_u32_e32 v6, -8, v6
	s_waitcnt lgkmcnt(3)
	v_pk_mul_f32 v[8:9], v[2:3], v[8:9]
	s_waitcnt lgkmcnt(2)
	v_pk_mul_f32 v[10:11], v[2:3], v[10:11]
	ds_write2st64_b32 v7, v8, v9 offset1:2
	ds_write2st64_b32 v7, v10, v11 offset0:4 offset1:6
	ds_read2st64_b32 v[10:11], v7 offset0:16 offset1:18
	s_waitcnt lgkmcnt(4)
	v_pk_mul_f32 v[8:9], v[2:3], v[12:13]
	ds_write2st64_b32 v7, v8, v9 offset0:8 offset1:10
	s_waitcnt lgkmcnt(4)
	v_pk_mul_f32 v[8:9], v[2:3], v[14:15]
	ds_write2st64_b32 v7, v8, v9 offset0:12 offset1:14
	ds_read2st64_b32 v[8:9], v7 offset0:20 offset1:22
	s_waitcnt lgkmcnt(3)
	v_pk_mul_f32 v[10:11], v[2:3], v[10:11]
	ds_read2st64_b32 v[12:13], v7 offset0:24 offset1:26
	ds_write2st64_b32 v7, v10, v11 offset0:16 offset1:18
	ds_read2st64_b32 v[10:11], v7 offset0:28 offset1:30
	s_waitcnt lgkmcnt(3)
	v_pk_mul_f32 v[8:9], v[2:3], v[8:9]
	ds_write2st64_b32 v7, v8, v9 offset0:20 offset1:22
	s_waitcnt lgkmcnt(3)
	v_pk_mul_f32 v[8:9], v[2:3], v[12:13]
	ds_write2st64_b32 v7, v8, v9 offset0:24 offset1:26
	s_waitcnt lgkmcnt(2)
	v_pk_mul_f32 v[8:9], v[2:3], v[10:11]
	s_add_i32 s15, s15, 16
	v_cmp_eq_u32_e32 vcc, 0, v6
	ds_write2st64_b32 v7, v8, v9 offset0:28 offset1:30
	v_add_u32_e32 v7, 0x2000, v7
	s_or_b64 s[26:27], vcc, s[26:27]
	v_mov_b32_e32 v8, s15
	s_andn2_b64 exec, exec, s[26:27]
	s_cbranch_execnz .LBB31_28
; %bb.29:
	s_or_b64 exec, exec, s[26:27]
.LBB31_30:
	s_or_b64 exec, exec, s[8:9]
	v_and_b32_e32 v5, 7, v5
	v_cmp_ne_u32_e32 vcc, 0, v5
	s_and_saveexec_b64 s[8:9], vcc
	s_cbranch_execz .LBB31_33
; %bb.31:
	v_lshlrev_b32_e32 v6, 9, v8
	s_movk_i32 s15, 0x1d0
	v_add3_u32 v6, v6, v40, s15
	s_mov_b64 s[26:27], 0
.LBB31_32:                              ; =>This Inner Loop Header: Depth=1
	ds_read2st64_b32 v[8:9], v6 offset1:2
	v_add_u32_e32 v5, -1, v5
	v_cmp_eq_u32_e32 vcc, 0, v5
	s_or_b64 s[26:27], vcc, s[26:27]
	s_waitcnt lgkmcnt(0)
	v_pk_mul_f32 v[8:9], v[2:3], v[8:9]
	ds_write2st64_b32 v6, v8, v9 offset1:2
	v_add_u32_e32 v6, 0x400, v6
	s_andn2_b64 exec, exec, s[26:27]
	s_cbranch_execnz .LBB31_32
.LBB31_33:
	s_or_b64 exec, exec, s[8:9]
	v_add_u32_e32 v4, 1, v4
	v_and_b32_e32 v5, 0x3fffffe, v4
	v_cmp_ne_u32_e32 vcc, v4, v5
	v_lshl_add_u32 v3, v5, 7, v0
	s_orn2_b64 s[8:9], vcc, exec
.LBB31_34:
	s_or_b64 exec, exec, s[6:7]
	s_and_b64 exec, exec, s[8:9]
	s_cbranch_execz .LBB31_37
; %bb.35:
	v_mov_b32_e32 v4, 0x1d0
	v_lshl_add_u32 v4, v3, 2, v4
	s_mov_b64 s[6:7], 0
.LBB31_36:                              ; =>This Inner Loop Header: Depth=1
	ds_read_b32 v5, v4
	v_add_u32_e32 v3, 0x80, v3
	v_cmp_le_i32_e32 vcc, s12, v3
	s_or_b64 s[6:7], vcc, s[6:7]
	s_waitcnt lgkmcnt(0)
	v_mul_f32_e32 v5, v2, v5
	ds_write_b32 v4, v5
	v_add_u32_e32 v4, 0x200, v4
	s_andn2_b64 exec, exec, s[6:7]
	s_cbranch_execnz .LBB31_36
.LBB31_37:
	s_or_b64 exec, exec, s[0:1]
	v_mov_b32_e32 v56, 0
	v_mov_b32_e32 v35, 0
	;; [unrolled: 1-line block ×7, first 2 shown]
	s_waitcnt lgkmcnt(0)
	s_barrier
	s_and_saveexec_b64 s[6:7], s[2:3]
	s_cbranch_execz .LBB31_55
; %bb.38:
	s_ashr_i32 s15, s14, 31
	s_lshl_b64 s[0:1], s[14:15], 2
	s_add_u32 s2, s24, s0
	v_and_b32_e32 v3, 12, v40
	s_addc_u32 s3, s25, s1
	s_add_i32 s14, s17, -1
	v_lshlrev_b32_e32 v5, 4, v52
	s_lshl_b64 s[0:1], s[22:23], 2
	v_and_b32_e32 v2, 0xfc, v40
	v_or3_b32 v57, v5, v3, 3
	v_lshlrev_b32_e32 v3, 4, v51
	s_add_u32 s0, s20, s0
	v_mov_b32_e32 v41, 0
	v_or_b32_e32 v4, 0x400, v2
	v_or_b32_e32 v6, 0x500, v2
	;; [unrolled: 1-line block ×3, first 2 shown]
	v_lshl_or_b32 v3, v52, 6, v3
	v_and_b32_e32 v40, 60, v42
	s_addc_u32 s1, s21, s1
	s_mov_b32 s26, s13
	v_add_u32_e32 v58, 0x1d0, v3
	v_lshl_add_u64 v[42:43], s[0:1], 0, v[40:41]
	s_mov_b64 s[8:9], 0
	v_lshlrev_b32_e32 v44, 2, v2
	v_mov_b32_e32 v45, v41
	v_lshlrev_b32_e32 v40, 2, v4
	v_lshlrev_b32_e32 v46, 2, v6
	;; [unrolled: 1-line block ×3, first 2 shown]
	v_mov_b32_e32 v38, v41
	v_mov_b32_e32 v39, v41
	v_mov_b32_e32 v36, v41
	v_mov_b32_e32 v37, v41
	v_mov_b32_e32 v34, v41
	v_mov_b32_e32 v35, v41
	v_mov_b32_e32 v56, v41
	s_branch .LBB31_40
.LBB31_39:                              ;   in Loop: Header=BB31_40 Depth=1
	s_or_b64 exec, exec, s[0:1]
	s_waitcnt vmcnt(6) lgkmcnt(0)
	v_mul_f32_e32 v7, v3, v7
	v_fmac_f32_e32 v7, v2, v6
	s_waitcnt vmcnt(5)
	v_mul_f32_e32 v6, v3, v11
	v_fmac_f32_e32 v6, v2, v10
	v_fmac_f32_e32 v6, v4, v12
	v_fmac_f32_e32 v6, v5, v13
	v_add_f32_e32 v39, v39, v6
	s_waitcnt vmcnt(4)
	v_mul_f32_e32 v6, v3, v15
	v_fmac_f32_e32 v6, v2, v14
	v_fmac_f32_e32 v6, v4, v16
	v_fmac_f32_e32 v6, v5, v17
	v_add_f32_e32 v36, v36, v6
	;; [unrolled: 6-line block ×4, first 2 shown]
	s_waitcnt vmcnt(1)
	v_mul_f32_e32 v6, v3, v27
	s_waitcnt vmcnt(0)
	v_mul_f32_e32 v3, v3, v31
	v_fmac_f32_e32 v6, v2, v26
	v_fmac_f32_e32 v3, v2, v30
	v_fmac_f32_e32 v7, v4, v8
	v_fmac_f32_e32 v6, v4, v28
	v_fmac_f32_e32 v3, v4, v32
	v_add_u32_e32 v52, 2, v52
	v_fmac_f32_e32 v7, v5, v9
	v_fmac_f32_e32 v6, v5, v29
	;; [unrolled: 1-line block ×3, first 2 shown]
	v_cmp_le_i32_e32 vcc, s17, v52
	v_add_f32_e32 v38, v38, v7
	v_add_f32_e32 v35, v35, v6
	v_add_f32_e32 v56, v56, v3
	v_add_u32_e32 v57, 32, v57
	v_add_u32_e32 v58, 0x80, v58
	s_or_b64 s[8:9], vcc, s[8:9]
	v_lshl_add_u64 v[42:43], v[42:43], 0, 8
	s_andn2_b64 exec, exec, s[8:9]
	s_cbranch_execz .LBB31_54
.LBB31_40:                              ; =>This Inner Loop Header: Depth=1
	global_load_dword v2, v[42:43], off
	v_add_u32_e32 v59, -3, v57
	v_cmp_eq_u32_e32 vcc, s14, v52
	v_add_u32_e32 v61, -2, v57
	v_add_u32_e32 v60, -1, v57
	s_waitcnt vmcnt(0)
	v_mad_i64_i32 v[2:3], s[0:1], v2, s26, 0
	v_lshl_add_u64 v[30:31], v[2:3], 2, s[2:3]
	v_lshl_add_u64 v[18:19], v[30:31], 0, v[44:45]
	global_load_dwordx4 v[6:9], v[18:19], off
	ds_read_b128 v[2:5], v58
	s_and_saveexec_b64 s[12:13], vcc
	s_cbranch_execnz .LBB31_51
; %bb.41:                               ;   in Loop: Header=BB31_40 Depth=1
	s_or_b64 exec, exec, s[12:13]
	global_load_dwordx4 v[10:13], v[18:19], off offset:1024
	s_and_saveexec_b64 s[12:13], vcc
	s_cbranch_execnz .LBB31_52
.LBB31_42:                              ;   in Loop: Header=BB31_40 Depth=1
	s_or_b64 exec, exec, s[12:13]
	global_load_dwordx4 v[14:17], v[18:19], off offset:2048
	s_and_saveexec_b64 s[12:13], vcc
	s_cbranch_execnz .LBB31_53
.LBB31_43:                              ;   in Loop: Header=BB31_40 Depth=1
	s_or_b64 exec, exec, s[12:13]
	global_load_dwordx4 v[18:21], v[18:19], off offset:3072
	s_and_saveexec_b64 s[12:13], vcc
	s_cbranch_execz .LBB31_45
.LBB31_44:                              ;   in Loop: Header=BB31_40 Depth=1
	v_cmp_gt_i32_e64 s[0:1], s33, v59
	s_waitcnt vmcnt(0)
	s_nop 0
	v_cndmask_b32_e64 v18, 0, v18, s[0:1]
	v_cmp_gt_i32_e64 s[0:1], s33, v61
	s_nop 1
	v_cndmask_b32_e64 v19, 0, v19, s[0:1]
	v_cmp_gt_i32_e64 s[0:1], s33, v60
	;; [unrolled: 3-line block ×3, first 2 shown]
	s_nop 1
	v_cndmask_b32_e64 v21, 0, v21, s[0:1]
.LBB31_45:                              ;   in Loop: Header=BB31_40 Depth=1
	s_or_b64 exec, exec, s[12:13]
	v_lshl_add_u64 v[22:23], v[30:31], 0, v[40:41]
	global_load_dwordx4 v[22:25], v[22:23], off
	s_and_saveexec_b64 s[12:13], vcc
	s_cbranch_execz .LBB31_47
; %bb.46:                               ;   in Loop: Header=BB31_40 Depth=1
	v_cmp_gt_i32_e64 s[0:1], s33, v59
	s_waitcnt vmcnt(0)
	s_nop 0
	v_cndmask_b32_e64 v22, 0, v22, s[0:1]
	v_cmp_gt_i32_e64 s[0:1], s33, v61
	s_nop 1
	v_cndmask_b32_e64 v23, 0, v23, s[0:1]
	v_cmp_gt_i32_e64 s[0:1], s33, v60
	;; [unrolled: 3-line block ×3, first 2 shown]
	s_nop 1
	v_cndmask_b32_e64 v25, 0, v25, s[0:1]
.LBB31_47:                              ;   in Loop: Header=BB31_40 Depth=1
	s_or_b64 exec, exec, s[12:13]
	v_mov_b32_e32 v47, v41
	v_lshl_add_u64 v[26:27], v[30:31], 0, v[46:47]
	global_load_dwordx4 v[26:29], v[26:27], off
	s_and_saveexec_b64 s[12:13], vcc
	s_cbranch_execz .LBB31_49
; %bb.48:                               ;   in Loop: Header=BB31_40 Depth=1
	v_cmp_gt_i32_e64 s[0:1], s33, v59
	s_waitcnt vmcnt(0)
	s_nop 0
	v_cndmask_b32_e64 v26, 0, v26, s[0:1]
	v_cmp_gt_i32_e64 s[0:1], s33, v61
	s_nop 1
	v_cndmask_b32_e64 v27, 0, v27, s[0:1]
	v_cmp_gt_i32_e64 s[0:1], s33, v60
	;; [unrolled: 3-line block ×3, first 2 shown]
	s_nop 1
	v_cndmask_b32_e64 v29, 0, v29, s[0:1]
.LBB31_49:                              ;   in Loop: Header=BB31_40 Depth=1
	s_or_b64 exec, exec, s[12:13]
	v_mov_b32_e32 v49, v41
	v_lshl_add_u64 v[30:31], v[30:31], 0, v[48:49]
	global_load_dwordx4 v[30:33], v[30:31], off
	s_and_saveexec_b64 s[0:1], vcc
	s_cbranch_execz .LBB31_39
; %bb.50:                               ;   in Loop: Header=BB31_40 Depth=1
	v_cmp_gt_i32_e32 vcc, s33, v59
	s_waitcnt vmcnt(0)
	s_nop 0
	v_cndmask_b32_e32 v30, 0, v30, vcc
	v_cmp_gt_i32_e32 vcc, s33, v61
	s_nop 1
	v_cndmask_b32_e32 v31, 0, v31, vcc
	v_cmp_gt_i32_e32 vcc, s33, v60
	;; [unrolled: 3-line block ×3, first 2 shown]
	s_nop 1
	v_cndmask_b32_e32 v33, 0, v33, vcc
	s_branch .LBB31_39
.LBB31_51:                              ;   in Loop: Header=BB31_40 Depth=1
	v_cmp_gt_i32_e64 s[0:1], s33, v59
	s_waitcnt vmcnt(0)
	s_nop 0
	v_cndmask_b32_e64 v6, 0, v6, s[0:1]
	v_cmp_gt_i32_e64 s[0:1], s33, v61
	s_nop 1
	v_cndmask_b32_e64 v7, 0, v7, s[0:1]
	v_cmp_gt_i32_e64 s[0:1], s33, v60
	;; [unrolled: 3-line block ×3, first 2 shown]
	s_nop 1
	v_cndmask_b32_e64 v9, 0, v9, s[0:1]
	s_or_b64 exec, exec, s[12:13]
	global_load_dwordx4 v[10:13], v[18:19], off offset:1024
	s_and_saveexec_b64 s[12:13], vcc
	s_cbranch_execz .LBB31_42
.LBB31_52:                              ;   in Loop: Header=BB31_40 Depth=1
	v_cmp_gt_i32_e64 s[0:1], s33, v59
	s_waitcnt vmcnt(0)
	s_nop 0
	v_cndmask_b32_e64 v10, 0, v10, s[0:1]
	v_cmp_gt_i32_e64 s[0:1], s33, v61
	s_nop 1
	v_cndmask_b32_e64 v11, 0, v11, s[0:1]
	v_cmp_gt_i32_e64 s[0:1], s33, v60
	s_nop 1
	v_cndmask_b32_e64 v12, 0, v12, s[0:1]
	v_cmp_gt_i32_e64 s[0:1], s33, v57
	s_nop 1
	v_cndmask_b32_e64 v13, 0, v13, s[0:1]
	s_or_b64 exec, exec, s[12:13]
	global_load_dwordx4 v[14:17], v[18:19], off offset:2048
	s_and_saveexec_b64 s[12:13], vcc
	s_cbranch_execz .LBB31_43
.LBB31_53:                              ;   in Loop: Header=BB31_40 Depth=1
	v_cmp_gt_i32_e64 s[0:1], s33, v59
	s_waitcnt vmcnt(0)
	s_nop 0
	v_cndmask_b32_e64 v14, 0, v14, s[0:1]
	v_cmp_gt_i32_e64 s[0:1], s33, v61
	s_nop 1
	v_cndmask_b32_e64 v15, 0, v15, s[0:1]
	v_cmp_gt_i32_e64 s[0:1], s33, v60
	;; [unrolled: 3-line block ×3, first 2 shown]
	s_nop 1
	v_cndmask_b32_e64 v17, 0, v17, s[0:1]
	s_or_b64 exec, exec, s[12:13]
	global_load_dwordx4 v[18:21], v[18:19], off offset:3072
	s_and_saveexec_b64 s[12:13], vcc
	s_cbranch_execnz .LBB31_44
	s_branch .LBB31_45
.LBB31_54:
	s_or_b64 exec, exec, s[8:9]
.LBB31_55:
	s_or_b64 exec, exec, s[6:7]
	ds_bpermute_b32 v2, v55, v38
	ds_bpermute_b32 v3, v55, v39
	;; [unrolled: 1-line block ×7, first 2 shown]
	s_waitcnt lgkmcnt(5)
	v_pk_add_f32 v[2:3], v[38:39], v[2:3]
	ds_bpermute_b32 v6, v54, v2
	ds_bpermute_b32 v7, v54, v3
	s_waitcnt lgkmcnt(5)
	v_pk_add_f32 v[4:5], v[36:37], v[4:5]
	s_waitcnt lgkmcnt(3)
	v_pk_add_f32 v[12:13], v[34:35], v[8:9]
	s_waitcnt lgkmcnt(2)
	v_add_f32_e32 v16, v56, v16
	ds_bpermute_b32 v10, v54, v4
	ds_bpermute_b32 v11, v54, v5
	;; [unrolled: 1-line block ×5, first 2 shown]
	s_waitcnt lgkmcnt(5)
	v_pk_add_f32 v[8:9], v[2:3], v[6:7]
	v_and_b32_e32 v7, 0x3c3, v0
	s_waitcnt lgkmcnt(3)
	v_pk_add_f32 v[4:5], v[4:5], v[10:11]
	s_waitcnt lgkmcnt(1)
	v_pk_add_f32 v[2:3], v[12:13], v[14:15]
	s_waitcnt lgkmcnt(0)
	v_add_f32_e32 v6, v16, v17
	v_cmp_eq_u32_e32 vcc, 64, v7
	s_barrier
	s_and_saveexec_b64 s[0:1], vcc
	s_cbranch_execz .LBB31_57
; %bb.56:
	v_add_u32_e32 v10, 0x1d0, v53
	ds_write2_b32 v10, v8, v9 offset1:16
	ds_write2_b32 v10, v4, v5 offset0:32 offset1:48
	ds_write2_b32 v10, v2, v3 offset0:64 offset1:80
	ds_write_b32 v10, v6 offset:384
.LBB31_57:
	s_or_b64 exec, exec, s[0:1]
	v_cmp_gt_u32_e32 vcc, 64, v0
	s_waitcnt lgkmcnt(0)
	s_barrier
	s_and_saveexec_b64 s[0:1], vcc
	s_cbranch_execz .LBB31_67
; %bb.58:
	v_cmp_eq_u32_e32 vcc, 0, v51
	s_and_saveexec_b64 s[2:3], vcc
	s_cbranch_execnz .LBB31_70
; %bb.59:
	s_or_b64 exec, exec, s[2:3]
	s_and_saveexec_b64 s[2:3], vcc
	s_cbranch_execnz .LBB31_71
.LBB31_60:
	s_or_b64 exec, exec, s[2:3]
	s_and_saveexec_b64 s[2:3], vcc
	s_cbranch_execnz .LBB31_72
.LBB31_61:
	s_or_b64 exec, exec, s[2:3]
	s_and_saveexec_b64 s[2:3], vcc
	s_cbranch_execnz .LBB31_73
.LBB31_62:
	s_or_b64 exec, exec, s[2:3]
	s_and_saveexec_b64 s[2:3], vcc
	s_cbranch_execnz .LBB31_74
.LBB31_63:
	s_or_b64 exec, exec, s[2:3]
	s_and_saveexec_b64 s[2:3], vcc
	s_cbranch_execnz .LBB31_75
.LBB31_64:
	s_or_b64 exec, exec, s[2:3]
	s_and_saveexec_b64 s[2:3], vcc
	s_cbranch_execz .LBB31_66
.LBB31_65:
	v_mov_b32_e32 v0, 0x1d0
	v_lshl_add_u32 v0, v50, 2, v0
	ds_read_b32 v0, v0 offset:384
	s_waitcnt lgkmcnt(0)
	v_add_f32_e32 v6, v6, v0
.LBB31_66:
	s_or_b64 exec, exec, s[2:3]
.LBB31_67:
	s_or_b64 exec, exec, s[0:1]
	v_cmp_eq_u32_e32 vcc, 0, v7
	s_barrier
	s_and_saveexec_b64 s[0:1], vcc
	s_cbranch_execz .LBB31_69
; %bb.68:
	s_mul_i32 s0, s10, s11
	s_mul_i32 s0, s0, s5
	s_mulk_i32 s0, 0x70
	s_ashr_i32 s1, s0, 31
	s_lshl_b64 s[0:1], s[0:1], 2
	s_add_u32 s2, s18, s0
	s_mul_i32 s0, s11, s16
	s_addc_u32 s3, s19, s1
	s_ashr_i32 s1, s0, 31
	s_lshl_b64 s[0:1], s[0:1], 2
	s_add_u32 s2, s2, s0
	s_mul_i32 s0, s4, 0x70
	s_addc_u32 s3, s3, s1
	s_ashr_i32 s1, s0, 31
	s_lshl_b64 s[0:1], s[0:1], 2
	s_add_u32 s0, s2, s0
	s_addc_u32 s1, s3, s1
	global_store_dword v1, v8, s[0:1]
	global_store_dword v1, v9, s[0:1] offset:64
	global_store_dword v1, v4, s[0:1] offset:128
	;; [unrolled: 1-line block ×6, first 2 shown]
.LBB31_69:
	s_endpgm
.LBB31_70:
	v_mov_b32_e32 v0, 0x1d0
	v_lshl_add_u32 v0, v50, 2, v0
	ds_read_b32 v0, v0
	s_waitcnt lgkmcnt(0)
	v_add_f32_e32 v8, v8, v0
	s_or_b64 exec, exec, s[2:3]
	s_and_saveexec_b64 s[2:3], vcc
	s_cbranch_execz .LBB31_60
.LBB31_71:
	v_mov_b32_e32 v0, 0x1d0
	v_lshl_add_u32 v0, v50, 2, v0
	ds_read_b32 v0, v0 offset:64
	s_waitcnt lgkmcnt(0)
	v_add_f32_e32 v9, v9, v0
	s_or_b64 exec, exec, s[2:3]
	s_and_saveexec_b64 s[2:3], vcc
	s_cbranch_execz .LBB31_61
.LBB31_72:
	v_mov_b32_e32 v0, 0x1d0
	v_lshl_add_u32 v0, v50, 2, v0
	ds_read_b32 v0, v0 offset:128
	s_waitcnt lgkmcnt(0)
	v_add_f32_e32 v4, v4, v0
	s_or_b64 exec, exec, s[2:3]
	s_and_saveexec_b64 s[2:3], vcc
	s_cbranch_execz .LBB31_62
.LBB31_73:
	v_mov_b32_e32 v0, 0x1d0
	v_lshl_add_u32 v0, v50, 2, v0
	ds_read_b32 v0, v0 offset:192
	s_waitcnt lgkmcnt(0)
	v_add_f32_e32 v5, v5, v0
	s_or_b64 exec, exec, s[2:3]
	s_and_saveexec_b64 s[2:3], vcc
	s_cbranch_execz .LBB31_63
.LBB31_74:
	v_mov_b32_e32 v0, 0x1d0
	v_lshl_add_u32 v0, v50, 2, v0
	ds_read_b32 v0, v0 offset:256
	s_waitcnt lgkmcnt(0)
	v_add_f32_e32 v2, v2, v0
	s_or_b64 exec, exec, s[2:3]
	s_and_saveexec_b64 s[2:3], vcc
	s_cbranch_execz .LBB31_64
.LBB31_75:
	v_mov_b32_e32 v0, 0x1d0
	v_lshl_add_u32 v0, v50, 2, v0
	ds_read_b32 v0, v0 offset:320
	s_waitcnt lgkmcnt(0)
	v_add_f32_e32 v3, v3, v0
	s_or_b64 exec, exec, s[2:3]
	s_and_saveexec_b64 s[2:3], vcc
	s_cbranch_execnz .LBB31_65
	s_branch .LBB31_66
	.section	.rodata,"a",@progbits
	.p2align	6, 0x0
	.amdhsa_kernel _ZN4vllm25paged_attention_v1_kernelIffLi112ELi16ELi128ELNS_18Fp8KVCacheDataTypeE0ELb0EEEvPT_PKS2_PKT0_S8_ifPKiSA_iPKfiiiSC_SC_iiiii
		.amdhsa_group_segment_fixed_size 464
		.amdhsa_private_segment_fixed_size 0
		.amdhsa_kernarg_size 384
		.amdhsa_user_sgpr_count 2
		.amdhsa_user_sgpr_dispatch_ptr 0
		.amdhsa_user_sgpr_queue_ptr 0
		.amdhsa_user_sgpr_kernarg_segment_ptr 1
		.amdhsa_user_sgpr_dispatch_id 0
		.amdhsa_user_sgpr_kernarg_preload_length 0
		.amdhsa_user_sgpr_kernarg_preload_offset 0
		.amdhsa_user_sgpr_private_segment_size 0
		.amdhsa_uses_dynamic_stack 0
		.amdhsa_enable_private_segment 0
		.amdhsa_system_sgpr_workgroup_id_x 1
		.amdhsa_system_sgpr_workgroup_id_y 1
		.amdhsa_system_sgpr_workgroup_id_z 1
		.amdhsa_system_sgpr_workgroup_info 0
		.amdhsa_system_vgpr_workitem_id 0
		.amdhsa_next_free_vgpr 76
		.amdhsa_next_free_sgpr 35
		.amdhsa_accum_offset 76
		.amdhsa_reserve_vcc 1
		.amdhsa_float_round_mode_32 0
		.amdhsa_float_round_mode_16_64 0
		.amdhsa_float_denorm_mode_32 3
		.amdhsa_float_denorm_mode_16_64 3
		.amdhsa_dx10_clamp 1
		.amdhsa_ieee_mode 1
		.amdhsa_fp16_overflow 0
		.amdhsa_tg_split 0
		.amdhsa_exception_fp_ieee_invalid_op 0
		.amdhsa_exception_fp_denorm_src 0
		.amdhsa_exception_fp_ieee_div_zero 0
		.amdhsa_exception_fp_ieee_overflow 0
		.amdhsa_exception_fp_ieee_underflow 0
		.amdhsa_exception_fp_ieee_inexact 0
		.amdhsa_exception_int_div_zero 0
	.end_amdhsa_kernel
	.section	.text._ZN4vllm25paged_attention_v1_kernelIffLi112ELi16ELi128ELNS_18Fp8KVCacheDataTypeE0ELb0EEEvPT_PKS2_PKT0_S8_ifPKiSA_iPKfiiiSC_SC_iiiii,"axG",@progbits,_ZN4vllm25paged_attention_v1_kernelIffLi112ELi16ELi128ELNS_18Fp8KVCacheDataTypeE0ELb0EEEvPT_PKS2_PKT0_S8_ifPKiSA_iPKfiiiSC_SC_iiiii,comdat
.Lfunc_end31:
	.size	_ZN4vllm25paged_attention_v1_kernelIffLi112ELi16ELi128ELNS_18Fp8KVCacheDataTypeE0ELb0EEEvPT_PKS2_PKT0_S8_ifPKiSA_iPKfiiiSC_SC_iiiii, .Lfunc_end31-_ZN4vllm25paged_attention_v1_kernelIffLi112ELi16ELi128ELNS_18Fp8KVCacheDataTypeE0ELb0EEEvPT_PKS2_PKT0_S8_ifPKiSA_iPKfiiiSC_SC_iiiii
                                        ; -- End function
	.section	.AMDGPU.csdata,"",@progbits
; Kernel info:
; codeLenInByte = 4992
; NumSgprs: 41
; NumVgprs: 76
; NumAgprs: 0
; TotalNumVgprs: 76
; ScratchSize: 0
; MemoryBound: 0
; FloatMode: 240
; IeeeMode: 1
; LDSByteSize: 464 bytes/workgroup (compile time only)
; SGPRBlocks: 5
; VGPRBlocks: 9
; NumSGPRsForWavesPerEU: 41
; NumVGPRsForWavesPerEU: 76
; AccumOffset: 76
; Occupancy: 6
; WaveLimiterHint : 1
; COMPUTE_PGM_RSRC2:SCRATCH_EN: 0
; COMPUTE_PGM_RSRC2:USER_SGPR: 2
; COMPUTE_PGM_RSRC2:TRAP_HANDLER: 0
; COMPUTE_PGM_RSRC2:TGID_X_EN: 1
; COMPUTE_PGM_RSRC2:TGID_Y_EN: 1
; COMPUTE_PGM_RSRC2:TGID_Z_EN: 1
; COMPUTE_PGM_RSRC2:TIDIG_COMP_CNT: 0
; COMPUTE_PGM_RSRC3_GFX90A:ACCUM_OFFSET: 18
; COMPUTE_PGM_RSRC3_GFX90A:TG_SPLIT: 0
	.section	.text._ZN4vllm25paged_attention_v1_kernelIffLi120ELi16ELi128ELNS_18Fp8KVCacheDataTypeE0ELb0EEEvPT_PKS2_PKT0_S8_ifPKiSA_iPKfiiiSC_SC_iiiii,"axG",@progbits,_ZN4vllm25paged_attention_v1_kernelIffLi120ELi16ELi128ELNS_18Fp8KVCacheDataTypeE0ELb0EEEvPT_PKS2_PKT0_S8_ifPKiSA_iPKfiiiSC_SC_iiiii,comdat
	.protected	_ZN4vllm25paged_attention_v1_kernelIffLi120ELi16ELi128ELNS_18Fp8KVCacheDataTypeE0ELb0EEEvPT_PKS2_PKT0_S8_ifPKiSA_iPKfiiiSC_SC_iiiii ; -- Begin function _ZN4vllm25paged_attention_v1_kernelIffLi120ELi16ELi128ELNS_18Fp8KVCacheDataTypeE0ELb0EEEvPT_PKS2_PKT0_S8_ifPKiSA_iPKfiiiSC_SC_iiiii
	.globl	_ZN4vllm25paged_attention_v1_kernelIffLi120ELi16ELi128ELNS_18Fp8KVCacheDataTypeE0ELb0EEEvPT_PKS2_PKT0_S8_ifPKiSA_iPKfiiiSC_SC_iiiii
	.p2align	8
	.type	_ZN4vllm25paged_attention_v1_kernelIffLi120ELi16ELi128ELNS_18Fp8KVCacheDataTypeE0ELb0EEEvPT_PKS2_PKT0_S8_ifPKiSA_iPKfiiiSC_SC_iiiii,@function
_ZN4vllm25paged_attention_v1_kernelIffLi120ELi16ELi128ELNS_18Fp8KVCacheDataTypeE0ELb0EEEvPT_PKS2_PKT0_S8_ifPKiSA_iPKfiiiSC_SC_iiiii: ; @_ZN4vllm25paged_attention_v1_kernelIffLi120ELi16ELi128ELNS_18Fp8KVCacheDataTypeE0ELb0EEEvPT_PKS2_PKT0_S8_ifPKiSA_iPKfiiiSC_SC_iiiii
; %bb.0:
	s_load_dword s5, s[0:1], 0x80
	s_load_dwordx2 s[6:7], s[0:1], 0x30
	s_load_dwordx2 s[8:9], s[0:1], 0x20
	s_mov_b32 s10, s3
	s_ashr_i32 s11, s3, 31
	s_lshl_b64 s[12:13], s[10:11], 2
	s_waitcnt lgkmcnt(0)
	s_add_u32 s6, s6, s12
	s_addc_u32 s7, s7, s13
	s_abs_i32 s3, s8
	v_cvt_f32_u32_e32 v1, s3
	s_sub_i32 s12, 0, s3
	s_abs_i32 s11, s5
	s_xor_b32 s8, s5, s8
	v_rcp_iflag_f32_e32 v1, v1
	s_ashr_i32 s8, s8, 31
	v_mul_f32_e32 v1, 0x4f7ffffe, v1
	v_cvt_u32_f32_e32 v1, v1
	s_nop 0
	v_readfirstlane_b32 s13, v1
	s_mul_i32 s12, s12, s13
	s_mul_hi_u32 s12, s13, s12
	s_add_i32 s13, s13, s12
	s_mul_hi_u32 s12, s11, s13
	s_mul_i32 s13, s12, s3
	s_sub_i32 s11, s11, s13
	s_add_i32 s13, s12, 1
	s_sub_i32 s14, s11, s3
	s_cmp_ge_u32 s11, s3
	s_cselect_b32 s12, s13, s12
	s_cselect_b32 s11, s14, s11
	s_add_i32 s13, s12, 1
	s_cmp_ge_u32 s11, s3
	s_cselect_b32 s3, s13, s12
	s_xor_b32 s3, s3, s8
	s_sub_i32 s14, s3, s8
	s_abs_i32 s11, s14
	v_cvt_f32_u32_e32 v1, s11
	s_load_dwordx2 s[12:13], s[0:1], 0x40
	s_sub_i32 s3, 0, s11
	s_abs_i32 s18, s2
	v_rcp_iflag_f32_e32 v1, v1
	s_mov_b32 s8, 0
	v_mul_f32_e32 v1, 0x4f7ffffe, v1
	v_cvt_u32_f32_e32 v1, v1
	s_nop 0
	v_readfirstlane_b32 s15, v1
	s_mul_i32 s3, s3, s15
	s_mul_hi_u32 s3, s15, s3
	s_add_i32 s15, s15, s3
	s_waitcnt lgkmcnt(0)
	s_cmp_eq_u64 s[12:13], 0
	s_mul_hi_u32 s19, s18, s15
	s_cbranch_scc1 .LBB32_2
; %bb.1:
	s_ashr_i32 s3, s2, 31
	s_lshl_b64 s[16:17], s[2:3], 2
	s_add_u32 s12, s12, s16
	s_addc_u32 s13, s13, s17
	s_load_dword s8, s[12:13], 0x0
.LBB32_2:
	s_load_dword s33, s[6:7], 0x0
	s_ashr_i32 s7, s14, 31
	s_load_dwordx4 s[12:15], s[0:1], 0x48
	v_lshrrev_b32_e32 v58, 2, v0
	s_waitcnt lgkmcnt(0)
	s_movk_i32 s15, 0x78
	s_ashr_i32 s6, s2, 31
	v_and_b32_e32 v59, 3, v0
	s_mul_i32 s16, s2, 0x78
	v_cmp_gt_u32_e32 vcc, s15, v0
	v_lshlrev_b32_e32 v36, 2, v0
	v_lshlrev_b32_e32 v1, 2, v58
	s_and_saveexec_b64 s[2:3], vcc
	s_cbranch_execz .LBB32_4
; %bb.3:
	s_load_dwordx2 s[20:21], s[0:1], 0x8
	s_mul_i32 s22, s10, s12
	s_ashr_i32 s23, s22, 31
	s_lshl_b64 s[22:23], s[22:23], 2
	v_mad_u32_u24 v3, v59, s15, v1
	s_waitcnt lgkmcnt(0)
	s_add_u32 s12, s20, s22
	s_addc_u32 s22, s21, s23
	s_ashr_i32 s17, s16, 31
	s_lshl_b64 s[20:21], s[16:17], 2
	s_add_u32 s20, s12, s20
	s_addc_u32 s21, s22, s21
	global_load_dword v2, v36, s[20:21]
	s_waitcnt vmcnt(0)
	ds_write_b32 v3, v2
.LBB32_4:
	s_or_b64 exec, exec, s[2:3]
	s_add_i32 s3, s33, 15
	s_ashr_i32 s12, s3, 31
	s_lshr_b32 s12, s12, 28
	s_add_i32 s3, s3, s12
	s_ashr_i32 s17, s3, 4
	s_xor_b32 s3, s6, s7
	s_mul_i32 s6, s19, s11
	s_sub_i32 s6, s18, s6
	s_add_i32 s7, s19, 1
	s_sub_i32 s12, s6, s11
	s_load_dwordx2 s[20:21], s[0:1], 0x28
	s_load_dword s2, s[0:1], 0x38
	s_cmp_ge_u32 s6, s11
	s_cselect_b32 s7, s7, s19
	s_cselect_b32 s6, s12, s6
	s_add_i32 s12, s7, 1
	s_cmp_ge_u32 s6, s11
	s_cselect_b32 s6, s12, s7
	v_lshrrev_b32_e32 v60, 6, v0
	s_xor_b32 s6, s6, s3
	s_waitcnt lgkmcnt(0)
	s_mul_i32 s22, s10, s2
	s_sub_i32 s12, s6, s3
	s_ashr_i32 s23, s22, 31
	v_cmp_gt_i32_e64 s[2:3], s17, v60
	v_cmp_le_i32_e32 vcc, s17, v60
	v_mbcnt_lo_u32_b32 v34, -1, 0
	s_barrier
	s_waitcnt lgkmcnt(0)
                                        ; implicit-def: $sgpr15
                                        ; implicit-def: $vgpr38
                                        ; implicit-def: $vgpr39
	s_and_saveexec_b64 s[6:7], vcc
	s_xor_b64 s[6:7], exec, s[6:7]
; %bb.5:
	v_mbcnt_hi_u32_b32 v38, -1, v34
	v_and_b32_e32 v2, 64, v38
	v_add_u32_e32 v39, 64, v2
	s_mov_b32 s15, 0xff7fffff
                                        ; implicit-def: $vgpr34
; %bb.6:
	s_or_saveexec_b64 s[26:27], s[6:7]
	s_load_dwordx2 s[18:19], s[0:1], 0x0
	s_load_dwordx2 s[24:25], s[0:1], 0x18
	s_load_dword s11, s[0:1], 0x88
	v_mov_b32_e32 v40, s15
	s_mul_i32 s14, s12, s14
	v_lshrrev_b32_e32 v37, 4, v0
	s_xor_b64 exec, exec, s[26:27]
	s_cbranch_execz .LBB32_12
; %bb.7:
	s_load_dwordx2 s[0:1], s[0:1], 0x10
	s_ashr_i32 s15, s14, 31
	s_lshl_b64 s[6:7], s[14:15], 2
	v_bfe_u32 v35, v0, 2, 4
	v_lshlrev_b32_e32 v46, 4, v35
	s_waitcnt lgkmcnt(0)
	s_add_u32 s0, s0, s6
	s_addc_u32 s1, s1, s7
	v_mov_b32_e32 v47, 0
	v_lshl_add_u64 v[2:3], s[0:1], 0, v[46:47]
	v_lshlrev_b32_e32 v46, 2, v59
	v_mul_u32_u24_e32 v32, 0x78, v59
	v_lshl_add_u64 v[30:31], v[2:3], 0, v[46:47]
	ds_read2_b64 v[2:5], v32 offset1:1
	ds_read2_b64 v[6:9], v32 offset0:2 offset1:3
	ds_read2_b64 v[10:13], v32 offset0:4 offset1:5
	ds_read2_b64 v[14:17], v32 offset0:6 offset1:7
	ds_read2_b64 v[18:21], v32 offset0:8 offset1:9
	ds_read2_b64 v[22:25], v32 offset0:10 offset1:11
	ds_read2_b64 v[26:29], v32 offset0:12 offset1:13
	ds_read_b64 v[32:33], v32 offset:112
	v_mbcnt_hi_u32_b32 v38, -1, v34
	v_and_b32_e32 v34, 64, v38
	v_add_u32_e32 v39, 64, v34
	v_xor_b32_e32 v34, 2, v38
	v_cmp_lt_i32_e32 vcc, v34, v39
	s_sub_i32 s15, 1, s33
	s_lshl_b64 s[6:7], s[22:23], 2
	v_cndmask_b32_e32 v34, v38, v34, vcc
	v_lshlrev_b32_e32 v41, 2, v34
	v_xor_b32_e32 v34, 1, v38
	v_cmp_lt_i32_e32 vcc, v34, v39
	v_lshlrev_b32_e32 v40, 2, v35
	s_add_u32 s6, s20, s6
	v_cndmask_b32_e32 v34, v38, v34, vcc
	v_lshlrev_b32_e32 v42, 2, v34
	v_lshl_or_b32 v34, v60, 6, v40
	v_and_b32_e32 v46, 60, v37
	s_addc_u32 s7, s21, s7
	s_mov_b32 s12, s13
	v_cmp_eq_u32_e32 vcc, 0, v59
	v_cmp_neq_f32_e64 s[0:1], s8, 0
	v_lshl_or_b32 v43, v60, 4, v35
	v_add_u32_e32 v44, 0x1f0, v34
	v_lshl_add_u64 v[34:35], s[6:7], 0, v[46:47]
	s_mov_b64 s[28:29], 0
	v_mov_b32_e32 v40, 0xff7fffff
	s_movk_i32 s34, 0x1000
	v_mov_b32_e32 v45, v60
	s_branch .LBB32_9
.LBB32_8:                               ;   in Loop: Header=BB32_9 Depth=1
	s_or_b64 exec, exec, s[30:31]
	v_add_u32_e32 v45, 2, v45
	v_cmp_le_i32_e64 s[6:7], s17, v45
	v_add_u32_e32 v43, 32, v43
	v_add_u32_e32 v44, 0x80, v44
	s_or_b64 s[28:29], s[6:7], s[28:29]
	v_lshl_add_u64 v[34:35], v[34:35], 0, 8
	s_andn2_b64 exec, exec, s[28:29]
	s_cbranch_execz .LBB32_11
.LBB32_9:                               ; =>This Inner Loop Header: Depth=1
	global_load_dword v46, v[34:35], off
	s_waitcnt vmcnt(0) lgkmcnt(0)
	v_mad_i64_i32 v[46:47], s[6:7], v46, s12, 0
	v_lshl_add_u64 v[46:47], v[46:47], 2, v[30:31]
	global_load_dword v48, v[46:47], off
	global_load_dword v49, v[46:47], off offset:256
	global_load_dword v50, v[46:47], off offset:512
	;; [unrolled: 1-line block ×15, first 2 shown]
	v_add_co_u32_e64 v46, s[6:7], s34, v46
	s_nop 1
	v_addc_co_u32_e64 v47, s[6:7], 0, v47, s[6:7]
	global_load_dword v67, v[46:47], off
	global_load_dword v68, v[46:47], off offset:256
	global_load_dword v69, v[46:47], off offset:512
	global_load_dword v70, v[46:47], off offset:768
	global_load_dword v71, v[46:47], off offset:1024
	global_load_dword v72, v[46:47], off offset:1280
	global_load_dword v73, v[46:47], off offset:1536
	global_load_dword v74, v[46:47], off offset:1792
	global_load_dword v75, v[46:47], off offset:2048
	global_load_dword v76, v[46:47], off offset:2304
	global_load_dword v77, v[46:47], off offset:2560
	global_load_dword v78, v[46:47], off offset:2816
	global_load_dword v79, v[46:47], off offset:3072
	s_nop 0
	global_load_dword v46, v[46:47], off offset:3328
	s_waitcnt vmcnt(28) lgkmcnt(7)
	v_mul_f32_e32 v47, v3, v49
	v_fmac_f32_e32 v47, v2, v48
	s_waitcnt vmcnt(27)
	v_fmac_f32_e32 v47, v4, v50
	s_waitcnt vmcnt(26)
	v_fmac_f32_e32 v47, v5, v51
	s_waitcnt vmcnt(25) lgkmcnt(6)
	v_fmac_f32_e32 v47, v6, v52
	s_waitcnt vmcnt(24)
	v_fmac_f32_e32 v47, v7, v53
	s_waitcnt vmcnt(23)
	v_fmac_f32_e32 v47, v8, v54
	s_waitcnt vmcnt(22)
	v_fmac_f32_e32 v47, v9, v55
	s_waitcnt vmcnt(21) lgkmcnt(5)
	v_fmac_f32_e32 v47, v10, v56
	s_waitcnt vmcnt(20)
	;; [unrolled: 8-line block ×7, first 2 shown]
	v_fmac_f32_e32 v47, v33, v46
	ds_bpermute_b32 v46, v41, v47
	s_waitcnt lgkmcnt(0)
	v_add_f32_e32 v46, v47, v46
	ds_bpermute_b32 v47, v42, v46
	s_and_saveexec_b64 s[30:31], vcc
	s_cbranch_execz .LBB32_8
; %bb.10:                               ;   in Loop: Header=BB32_9 Depth=1
	v_add_u32_e32 v48, s15, v43
	v_cvt_f32_i32_e32 v48, v48
	s_waitcnt lgkmcnt(0)
	v_add_f32_e32 v46, v46, v47
	v_cmp_gt_i32_e64 s[6:7], s33, v43
	v_max_f32_e32 v47, v40, v40
	v_mul_f32_e32 v48, s8, v48
	v_cndmask_b32_e64 v48, 0, v48, s[0:1]
	v_fmac_f32_e32 v48, s9, v46
	v_cndmask_b32_e64 v46, 0, v48, s[6:7]
	ds_write_b32 v44, v46
	v_max_f32_e32 v46, v47, v48
	v_cndmask_b32_e64 v40, v40, v46, s[6:7]
	s_branch .LBB32_8
.LBB32_11:
	s_or_b64 exec, exec, s[28:29]
.LBB32_12:
	s_or_b64 exec, exec, s[26:27]
	v_xor_b32_e32 v2, 32, v38
	v_cmp_lt_i32_e32 vcc, v2, v39
	v_xor_b32_e32 v5, 16, v38
	v_max_f32_e32 v4, v40, v40
	v_cndmask_b32_e32 v2, v38, v2, vcc
	v_lshlrev_b32_e32 v2, 2, v2
	ds_bpermute_b32 v3, v2, v40
	v_cmp_lt_i32_e32 vcc, v5, v39
	v_xor_b32_e32 v6, 8, v38
	v_xor_b32_e32 v8, 4, v38
	s_waitcnt lgkmcnt(0)
	v_max_f32_e32 v3, v3, v3
	v_max_f32_e32 v4, v4, v3
	v_cndmask_b32_e32 v3, v38, v5, vcc
	v_lshlrev_b32_e32 v3, 2, v3
	ds_bpermute_b32 v5, v3, v4
	v_cmp_lt_i32_e32 vcc, v6, v39
	s_waitcnt lgkmcnt(0)
	v_max_f32_e32 v5, v5, v5
	v_max_f32_e32 v4, v4, v5
	v_cndmask_b32_e32 v5, v38, v6, vcc
	v_lshlrev_b32_e32 v7, 2, v5
	ds_bpermute_b32 v5, v7, v4
	v_cmp_lt_i32_e32 vcc, v8, v39
	s_waitcnt lgkmcnt(0)
	v_max_f32_e32 v5, v5, v5
	v_max_f32_e32 v6, v4, v5
	v_cndmask_b32_e32 v4, v38, v8, vcc
	v_lshlrev_b32_e32 v8, 2, v4
	ds_bpermute_b32 v9, v8, v6
	v_and_b32_e32 v4, 63, v0
	v_cmp_eq_u32_e32 vcc, 0, v4
	v_lshlrev_b32_e32 v5, 2, v60
	s_and_saveexec_b64 s[0:1], vcc
	s_cbranch_execz .LBB32_14
; %bb.13:
	s_waitcnt lgkmcnt(0)
	v_max_f32_e32 v9, v9, v9
	v_max_f32_e32 v6, v6, v6
	;; [unrolled: 1-line block ×3, first 2 shown]
	ds_write_b32 v5, v6 offset:480
.LBB32_14:
	s_or_b64 exec, exec, s[0:1]
	v_cmp_gt_u32_e64 s[0:1], 2, v4
	s_waitcnt lgkmcnt(0)
	v_mov_b32_e32 v9, 0xff7fffff
	v_lshlrev_b32_e32 v6, 2, v4
	s_barrier
	s_and_saveexec_b64 s[6:7], s[0:1]
	s_cbranch_execz .LBB32_16
; %bb.15:
	ds_read_b32 v9, v6 offset:480
.LBB32_16:
	s_or_b64 exec, exec, s[6:7]
	v_xor_b32_e32 v10, 1, v38
	v_cmp_lt_i32_e64 s[6:7], v10, v39
	v_lshlrev_b32_e32 v11, 2, v38
	s_nop 0
	v_cndmask_b32_e64 v10, v38, v10, s[6:7]
	v_lshlrev_b32_e32 v61, 2, v10
	s_waitcnt lgkmcnt(0)
	ds_bpermute_b32 v10, v61, v9
	v_max_f32_e32 v9, v9, v9
	s_lshl_b32 s6, s17, 4
	s_min_i32 s12, s6, s33
	v_cmp_gt_i32_e64 s[6:7], s12, v0
	s_waitcnt lgkmcnt(0)
	v_max_f32_e32 v10, v10, v10
	v_max_f32_e32 v10, v9, v10
	v_and_b32_e32 v9, 0xffffff00, v11
	ds_bpermute_b32 v11, v9, v10
	v_mov_b32_e32 v10, 0
	s_and_saveexec_b64 s[26:27], s[6:7]
	s_cbranch_execz .LBB32_20
; %bb.17:
	v_mov_b32_e32 v10, 0x1f0
	v_lshl_add_u32 v12, v0, 2, v10
	s_mov_b64 s[28:29], 0
	v_mov_b32_e32 v10, 0
	v_mov_b32_e32 v13, v0
.LBB32_18:                              ; =>This Inner Loop Header: Depth=1
	ds_read_b32 v14, v12
	v_add_u32_e32 v13, 0x80, v13
	v_cmp_le_i32_e64 s[8:9], s12, v13
	s_or_b64 s[28:29], s[8:9], s[28:29]
	s_waitcnt lgkmcnt(0)
	v_sub_f32_e32 v14, v14, v11
	v_mul_f32_e32 v14, 0x3fb8aa3b, v14
	v_exp_f32_e32 v14, v14
	ds_write_b32 v12, v14
	v_add_f32_e32 v10, v10, v14
	v_add_u32_e32 v12, 0x200, v12
	s_andn2_b64 exec, exec, s[28:29]
	s_cbranch_execnz .LBB32_18
; %bb.19:
	s_or_b64 exec, exec, s[28:29]
.LBB32_20:
	s_or_b64 exec, exec, s[26:27]
	ds_bpermute_b32 v2, v2, v10
	s_waitcnt lgkmcnt(0)
	v_add_f32_e32 v2, v10, v2
	ds_bpermute_b32 v3, v3, v2
	s_waitcnt lgkmcnt(0)
	v_add_f32_e32 v2, v2, v3
	ds_bpermute_b32 v3, v7, v2
	v_xor_b32_e32 v7, 2, v38
	v_cmp_lt_i32_e64 s[8:9], v7, v39
	s_waitcnt lgkmcnt(0)
	v_add_f32_e32 v2, v2, v3
	ds_bpermute_b32 v3, v8, v2
	v_cndmask_b32_e64 v7, v38, v7, s[8:9]
	v_lshlrev_b32_e32 v62, 2, v7
	s_waitcnt lgkmcnt(0)
	v_add_f32_e32 v2, v2, v3
	ds_bpermute_b32 v3, v62, v2
	s_waitcnt lgkmcnt(0)
	v_add_f32_e32 v2, v2, v3
	ds_bpermute_b32 v3, v61, v2
	s_waitcnt lgkmcnt(0)
	v_add_f32_e32 v2, v2, v3
	s_and_saveexec_b64 s[8:9], vcc
	s_cbranch_execz .LBB32_22
; %bb.21:
	ds_write_b32 v5, v2 offset:488
.LBB32_22:
	s_or_b64 exec, exec, s[8:9]
	s_waitcnt lgkmcnt(0)
	s_barrier
	s_and_saveexec_b64 s[8:9], s[0:1]
	s_cbranch_execz .LBB32_24
; %bb.23:
	ds_read_b32 v2, v6 offset:488
.LBB32_24:
	s_or_b64 exec, exec, s[8:9]
	s_waitcnt lgkmcnt(0)
	ds_bpermute_b32 v3, v61, v2
	s_waitcnt lgkmcnt(0)
	v_add_f32_e32 v2, v2, v3
	ds_bpermute_b32 v2, v9, v2
	s_and_saveexec_b64 s[0:1], s[6:7]
	s_cbranch_execz .LBB32_37
; %bb.25:
	s_waitcnt lgkmcnt(0)
	v_add_f32_e32 v2, 0x358637bd, v2
	v_div_scale_f32 v3, s[6:7], v2, v2, 1.0
	v_rcp_f32_e32 v5, v3
	v_div_scale_f32 v6, vcc, 1.0, v2, 1.0
	s_movk_i32 s6, 0x7f
	v_fma_f32 v7, -v3, v5, 1.0
	v_fmac_f32_e32 v5, v7, v5
	v_mul_f32_e32 v7, v6, v5
	v_fma_f32 v8, -v3, v7, v6
	v_fmac_f32_e32 v7, v8, v5
	v_fma_f32 v3, -v3, v7, v6
	v_div_fmas_f32 v3, v3, v5, v7
	v_xad_u32 v5, v0, -1, s12
	v_div_fixup_f32 v2, v3, v2, 1.0
	v_cmp_lt_u32_e32 vcc, s6, v5
	s_mov_b64 s[8:9], -1
	v_mov_b32_e32 v3, v0
	s_and_saveexec_b64 s[6:7], vcc
	s_cbranch_execz .LBB32_34
; %bb.26:
	v_lshrrev_b32_e32 v5, 7, v5
	v_add_u32_e32 v7, -1, v5
	v_lshrrev_b32_e32 v6, 1, v7
	v_mov_b32_e32 v3, v2
	v_add_u32_e32 v6, 1, v6
	v_cmp_lt_u32_e32 vcc, 13, v7
	v_mov_b32_e32 v9, 0
	s_and_saveexec_b64 s[8:9], vcc
	s_cbranch_execz .LBB32_30
; %bb.27:
	v_mov_b32_e32 v8, 0x1f0
	v_and_b32_e32 v7, -8, v6
	v_lshl_add_u32 v8, v0, 2, v8
	s_mov_b32 s15, 0
	s_mov_b64 s[26:27], 0
.LBB32_28:                              ; =>This Inner Loop Header: Depth=1
	ds_read2st64_b32 v[10:11], v8 offset1:2
	ds_read2st64_b32 v[12:13], v8 offset0:4 offset1:6
	ds_read2st64_b32 v[14:15], v8 offset0:8 offset1:10
	;; [unrolled: 1-line block ×3, first 2 shown]
	v_add_u32_e32 v7, -8, v7
	s_waitcnt lgkmcnt(3)
	v_pk_mul_f32 v[10:11], v[2:3], v[10:11]
	s_waitcnt lgkmcnt(2)
	v_pk_mul_f32 v[12:13], v[2:3], v[12:13]
	ds_write2st64_b32 v8, v10, v11 offset1:2
	ds_write2st64_b32 v8, v12, v13 offset0:4 offset1:6
	ds_read2st64_b32 v[12:13], v8 offset0:16 offset1:18
	s_waitcnt lgkmcnt(4)
	v_pk_mul_f32 v[10:11], v[2:3], v[14:15]
	ds_write2st64_b32 v8, v10, v11 offset0:8 offset1:10
	s_waitcnt lgkmcnt(4)
	v_pk_mul_f32 v[10:11], v[2:3], v[16:17]
	ds_write2st64_b32 v8, v10, v11 offset0:12 offset1:14
	ds_read2st64_b32 v[10:11], v8 offset0:20 offset1:22
	s_waitcnt lgkmcnt(3)
	v_pk_mul_f32 v[12:13], v[2:3], v[12:13]
	ds_read2st64_b32 v[14:15], v8 offset0:24 offset1:26
	ds_write2st64_b32 v8, v12, v13 offset0:16 offset1:18
	ds_read2st64_b32 v[12:13], v8 offset0:28 offset1:30
	s_waitcnt lgkmcnt(3)
	v_pk_mul_f32 v[10:11], v[2:3], v[10:11]
	ds_write2st64_b32 v8, v10, v11 offset0:20 offset1:22
	s_waitcnt lgkmcnt(3)
	v_pk_mul_f32 v[10:11], v[2:3], v[14:15]
	ds_write2st64_b32 v8, v10, v11 offset0:24 offset1:26
	s_waitcnt lgkmcnt(2)
	v_pk_mul_f32 v[10:11], v[2:3], v[12:13]
	s_add_i32 s15, s15, 16
	v_cmp_eq_u32_e32 vcc, 0, v7
	ds_write2st64_b32 v8, v10, v11 offset0:28 offset1:30
	v_add_u32_e32 v8, 0x2000, v8
	s_or_b64 s[26:27], vcc, s[26:27]
	v_mov_b32_e32 v9, s15
	s_andn2_b64 exec, exec, s[26:27]
	s_cbranch_execnz .LBB32_28
; %bb.29:
	s_or_b64 exec, exec, s[26:27]
.LBB32_30:
	s_or_b64 exec, exec, s[8:9]
	v_and_b32_e32 v6, 7, v6
	v_cmp_ne_u32_e32 vcc, 0, v6
	s_and_saveexec_b64 s[8:9], vcc
	s_cbranch_execz .LBB32_33
; %bb.31:
	v_lshlrev_b32_e32 v7, 9, v9
	s_movk_i32 s15, 0x1f0
	v_add3_u32 v7, v7, v36, s15
	s_mov_b64 s[26:27], 0
.LBB32_32:                              ; =>This Inner Loop Header: Depth=1
	ds_read2st64_b32 v[8:9], v7 offset1:2
	v_add_u32_e32 v6, -1, v6
	v_cmp_eq_u32_e32 vcc, 0, v6
	s_or_b64 s[26:27], vcc, s[26:27]
	s_waitcnt lgkmcnt(0)
	v_pk_mul_f32 v[8:9], v[2:3], v[8:9]
	ds_write2st64_b32 v7, v8, v9 offset1:2
	v_add_u32_e32 v7, 0x400, v7
	s_andn2_b64 exec, exec, s[26:27]
	s_cbranch_execnz .LBB32_32
.LBB32_33:
	s_or_b64 exec, exec, s[8:9]
	v_add_u32_e32 v5, 1, v5
	v_and_b32_e32 v6, 0x3fffffe, v5
	v_cmp_ne_u32_e32 vcc, v5, v6
	v_lshl_add_u32 v3, v6, 7, v0
	s_orn2_b64 s[8:9], vcc, exec
.LBB32_34:
	s_or_b64 exec, exec, s[6:7]
	s_and_b64 exec, exec, s[8:9]
	s_cbranch_execz .LBB32_37
; %bb.35:
	v_mov_b32_e32 v5, 0x1f0
	v_lshl_add_u32 v5, v3, 2, v5
	s_mov_b64 s[6:7], 0
.LBB32_36:                              ; =>This Inner Loop Header: Depth=1
	ds_read_b32 v6, v5
	v_add_u32_e32 v3, 0x80, v3
	v_cmp_le_i32_e32 vcc, s12, v3
	s_or_b64 s[6:7], vcc, s[6:7]
	s_waitcnt lgkmcnt(0)
	v_mul_f32_e32 v6, v2, v6
	ds_write_b32 v5, v6
	v_add_u32_e32 v5, 0x200, v5
	s_andn2_b64 exec, exec, s[6:7]
	s_cbranch_execnz .LBB32_36
.LBB32_37:
	s_or_b64 exec, exec, s[0:1]
	v_mov_b32_e32 v39, 0
	v_lshrrev_b32_e32 v63, 2, v4
	v_mov_b32_e32 v38, 0
	v_mov_b32_e32 v41, 0
	;; [unrolled: 1-line block ×7, first 2 shown]
	s_waitcnt lgkmcnt(0)
	s_barrier
	s_and_saveexec_b64 s[6:7], s[2:3]
	s_cbranch_execz .LBB32_59
; %bb.38:
	s_ashr_i32 s15, s14, 31
	s_lshl_b64 s[0:1], s[14:15], 2
	v_and_b32_e32 v3, 12, v36
	s_add_u32 s8, s24, s0
	v_or_b32_e32 v5, 0x70, v63
	s_movk_i32 s0, 0x78
	s_addc_u32 s9, s25, s1
	s_add_i32 s24, s17, -1
	v_cmp_gt_u32_e32 vcc, s0, v5
	v_lshl_or_b32 v10, v5, 4, v3
	v_lshlrev_b32_e32 v5, 4, v60
	s_lshl_b64 s[0:1], s[22:23], 2
	v_lshl_or_b32 v2, v63, 4, v3
	v_or3_b32 v64, v5, v3, 3
	v_lshlrev_b32_e32 v3, 4, v59
	s_add_u32 s0, s20, s0
	v_mov_b32_e32 v47, 0
	v_or_b32_e32 v4, 0x400, v2
	v_or_b32_e32 v6, 0x500, v2
	;; [unrolled: 1-line block ×3, first 2 shown]
	v_lshl_or_b32 v3, v60, 6, v3
	v_and_b32_e32 v46, 60, v37
	s_addc_u32 s1, s21, s1
	s_mov_b32 s26, s13
	v_add_u32_e32 v65, 0x1f0, v3
	v_lshl_add_u64 v[48:49], s[0:1], 0, v[46:47]
	s_mov_b64 s[12:13], 0
	v_lshlrev_b32_e32 v50, 2, v2
	v_mov_b32_e32 v51, v47
	v_lshlrev_b32_e32 v46, 2, v4
	v_lshlrev_b32_e32 v52, 2, v6
	;; [unrolled: 1-line block ×4, first 2 shown]
	v_mov_b32_e32 v44, v47
	v_mov_b32_e32 v45, v47
	;; [unrolled: 1-line block ×8, first 2 shown]
	s_branch .LBB32_41
.LBB32_39:                              ;   in Loop: Header=BB32_41 Depth=1
	s_or_b64 exec, exec, s[14:15]
	s_waitcnt vmcnt(0) lgkmcnt(0)
	v_mul_f32_e32 v35, v3, v35
	v_fmac_f32_e32 v35, v2, v34
	v_fmac_f32_e32 v35, v4, v36
	;; [unrolled: 1-line block ×3, first 2 shown]
	v_add_f32_e32 v39, v39, v35
.LBB32_40:                              ;   in Loop: Header=BB32_41 Depth=1
	s_or_b64 exec, exec, s[2:3]
	s_waitcnt vmcnt(6) lgkmcnt(0)
	v_mul_f32_e32 v7, v3, v7
	v_fmac_f32_e32 v7, v2, v6
	s_waitcnt vmcnt(5)
	v_mul_f32_e32 v6, v3, v11
	v_fmac_f32_e32 v6, v2, v10
	v_fmac_f32_e32 v6, v4, v12
	v_fmac_f32_e32 v6, v5, v13
	v_add_f32_e32 v45, v45, v6
	s_waitcnt vmcnt(4)
	v_mul_f32_e32 v6, v3, v15
	v_fmac_f32_e32 v6, v2, v14
	v_fmac_f32_e32 v6, v4, v16
	v_fmac_f32_e32 v6, v5, v17
	v_add_f32_e32 v42, v42, v6
	;; [unrolled: 6-line block ×4, first 2 shown]
	s_waitcnt vmcnt(1)
	v_mul_f32_e32 v6, v3, v27
	s_waitcnt vmcnt(0)
	v_mul_f32_e32 v3, v3, v31
	v_fmac_f32_e32 v6, v2, v26
	v_fmac_f32_e32 v3, v2, v30
	;; [unrolled: 1-line block ×5, first 2 shown]
	v_add_u32_e32 v60, 2, v60
	v_fmac_f32_e32 v7, v5, v9
	v_fmac_f32_e32 v6, v5, v29
	;; [unrolled: 1-line block ×3, first 2 shown]
	v_cmp_le_i32_e64 s[0:1], s17, v60
	v_add_f32_e32 v44, v44, v7
	v_add_f32_e32 v41, v41, v6
	;; [unrolled: 1-line block ×3, first 2 shown]
	v_add_u32_e32 v64, 32, v64
	v_add_u32_e32 v65, 0x80, v65
	s_or_b64 s[12:13], s[0:1], s[12:13]
	v_lshl_add_u64 v[48:49], v[48:49], 0, 8
	s_andn2_b64 exec, exec, s[12:13]
	s_cbranch_execz .LBB32_58
.LBB32_41:                              ; =>This Inner Loop Header: Depth=1
	global_load_dword v2, v[48:49], off
	v_add_u32_e32 v66, -3, v64
	s_waitcnt vmcnt(0)
	v_mad_i64_i32 v[2:3], s[0:1], v2, s26, 0
	v_lshl_add_u64 v[34:35], v[2:3], 2, s[8:9]
	v_lshl_add_u64 v[18:19], v[34:35], 0, v[50:51]
	global_load_dwordx4 v[6:9], v[18:19], off
	ds_read_b128 v[2:5], v65
	v_cmp_eq_u32_e64 s[0:1], s24, v60
	s_and_saveexec_b64 s[14:15], s[0:1]
	s_cbranch_execnz .LBB32_55
; %bb.42:                               ;   in Loop: Header=BB32_41 Depth=1
	s_or_b64 exec, exec, s[14:15]
	global_load_dwordx4 v[10:13], v[18:19], off offset:1024
	s_and_saveexec_b64 s[14:15], s[0:1]
	s_cbranch_execnz .LBB32_56
.LBB32_43:                              ;   in Loop: Header=BB32_41 Depth=1
	s_or_b64 exec, exec, s[14:15]
	global_load_dwordx4 v[14:17], v[18:19], off offset:2048
	s_and_saveexec_b64 s[14:15], s[0:1]
	s_cbranch_execnz .LBB32_57
.LBB32_44:                              ;   in Loop: Header=BB32_41 Depth=1
	s_or_b64 exec, exec, s[14:15]
	global_load_dwordx4 v[18:21], v[18:19], off offset:3072
	s_and_saveexec_b64 s[14:15], s[0:1]
	s_cbranch_execz .LBB32_46
.LBB32_45:                              ;   in Loop: Header=BB32_41 Depth=1
	v_cmp_gt_i32_e64 s[2:3], s33, v66
	v_add_u32_e32 v22, -2, v64
	s_waitcnt vmcnt(0)
	v_cndmask_b32_e64 v18, 0, v18, s[2:3]
	v_cmp_gt_i32_e64 s[2:3], s33, v22
	v_add_u32_e32 v22, -1, v64
	s_nop 0
	v_cndmask_b32_e64 v19, 0, v19, s[2:3]
	v_cmp_gt_i32_e64 s[2:3], s33, v22
	s_nop 1
	v_cndmask_b32_e64 v20, 0, v20, s[2:3]
	v_cmp_gt_i32_e64 s[2:3], s33, v64
	s_nop 1
	v_cndmask_b32_e64 v21, 0, v21, s[2:3]
.LBB32_46:                              ;   in Loop: Header=BB32_41 Depth=1
	s_or_b64 exec, exec, s[14:15]
	v_lshl_add_u64 v[22:23], v[34:35], 0, v[46:47]
	global_load_dwordx4 v[22:25], v[22:23], off
	s_and_saveexec_b64 s[14:15], s[0:1]
	s_cbranch_execz .LBB32_48
; %bb.47:                               ;   in Loop: Header=BB32_41 Depth=1
	v_cmp_gt_i32_e64 s[2:3], s33, v66
	v_add_u32_e32 v26, -2, v64
	s_waitcnt vmcnt(0)
	v_cndmask_b32_e64 v22, 0, v22, s[2:3]
	v_cmp_gt_i32_e64 s[2:3], s33, v26
	v_add_u32_e32 v26, -1, v64
	s_nop 0
	v_cndmask_b32_e64 v23, 0, v23, s[2:3]
	v_cmp_gt_i32_e64 s[2:3], s33, v26
	s_nop 1
	v_cndmask_b32_e64 v24, 0, v24, s[2:3]
	v_cmp_gt_i32_e64 s[2:3], s33, v64
	s_nop 1
	v_cndmask_b32_e64 v25, 0, v25, s[2:3]
.LBB32_48:                              ;   in Loop: Header=BB32_41 Depth=1
	s_or_b64 exec, exec, s[14:15]
	v_mov_b32_e32 v53, v47
	v_lshl_add_u64 v[26:27], v[34:35], 0, v[52:53]
	global_load_dwordx4 v[26:29], v[26:27], off
	s_and_saveexec_b64 s[14:15], s[0:1]
	s_cbranch_execz .LBB32_50
; %bb.49:                               ;   in Loop: Header=BB32_41 Depth=1
	v_cmp_gt_i32_e64 s[2:3], s33, v66
	v_add_u32_e32 v30, -2, v64
	s_waitcnt vmcnt(0)
	v_cndmask_b32_e64 v26, 0, v26, s[2:3]
	v_cmp_gt_i32_e64 s[2:3], s33, v30
	v_add_u32_e32 v30, -1, v64
	s_nop 0
	v_cndmask_b32_e64 v27, 0, v27, s[2:3]
	v_cmp_gt_i32_e64 s[2:3], s33, v30
	s_nop 1
	v_cndmask_b32_e64 v28, 0, v28, s[2:3]
	v_cmp_gt_i32_e64 s[2:3], s33, v64
	s_nop 1
	v_cndmask_b32_e64 v29, 0, v29, s[2:3]
.LBB32_50:                              ;   in Loop: Header=BB32_41 Depth=1
	s_or_b64 exec, exec, s[14:15]
	v_mov_b32_e32 v55, v47
	v_lshl_add_u64 v[30:31], v[34:35], 0, v[54:55]
	global_load_dwordx4 v[30:33], v[30:31], off
	s_and_saveexec_b64 s[14:15], s[0:1]
	s_cbranch_execz .LBB32_52
; %bb.51:                               ;   in Loop: Header=BB32_41 Depth=1
	v_cmp_gt_i32_e64 s[2:3], s33, v66
	v_add_u32_e32 v36, -2, v64
	s_waitcnt vmcnt(0)
	v_cndmask_b32_e64 v30, 0, v30, s[2:3]
	v_cmp_gt_i32_e64 s[2:3], s33, v36
	v_add_u32_e32 v36, -1, v64
	s_nop 0
	v_cndmask_b32_e64 v31, 0, v31, s[2:3]
	v_cmp_gt_i32_e64 s[2:3], s33, v36
	s_nop 1
	v_cndmask_b32_e64 v32, 0, v32, s[2:3]
	v_cmp_gt_i32_e64 s[2:3], s33, v64
	s_nop 1
	v_cndmask_b32_e64 v33, 0, v33, s[2:3]
.LBB32_52:                              ;   in Loop: Header=BB32_41 Depth=1
	s_or_b64 exec, exec, s[14:15]
	s_and_saveexec_b64 s[2:3], vcc
	s_cbranch_execz .LBB32_40
; %bb.53:                               ;   in Loop: Header=BB32_41 Depth=1
	v_mov_b32_e32 v57, v47
	v_lshl_add_u64 v[34:35], v[34:35], 0, v[56:57]
	global_load_dwordx4 v[34:37], v[34:35], off
	s_and_saveexec_b64 s[14:15], s[0:1]
	s_cbranch_execz .LBB32_39
; %bb.54:                               ;   in Loop: Header=BB32_41 Depth=1
	v_cmp_gt_i32_e64 s[0:1], s33, v66
	v_add_u32_e32 v53, -2, v64
	s_waitcnt vmcnt(0)
	v_cndmask_b32_e64 v34, 0, v34, s[0:1]
	v_cmp_gt_i32_e64 s[0:1], s33, v53
	v_add_u32_e32 v53, -1, v64
	s_nop 0
	v_cndmask_b32_e64 v35, 0, v35, s[0:1]
	v_cmp_gt_i32_e64 s[0:1], s33, v53
	s_nop 1
	v_cndmask_b32_e64 v36, 0, v36, s[0:1]
	v_cmp_gt_i32_e64 s[0:1], s33, v64
	s_nop 1
	v_cndmask_b32_e64 v37, 0, v37, s[0:1]
	s_branch .LBB32_39
.LBB32_55:                              ;   in Loop: Header=BB32_41 Depth=1
	v_cmp_gt_i32_e64 s[2:3], s33, v66
	v_add_u32_e32 v10, -2, v64
	s_waitcnt vmcnt(0)
	v_cndmask_b32_e64 v6, 0, v6, s[2:3]
	v_cmp_gt_i32_e64 s[2:3], s33, v10
	v_add_u32_e32 v10, -1, v64
	s_nop 0
	v_cndmask_b32_e64 v7, 0, v7, s[2:3]
	v_cmp_gt_i32_e64 s[2:3], s33, v10
	s_nop 1
	v_cndmask_b32_e64 v8, 0, v8, s[2:3]
	v_cmp_gt_i32_e64 s[2:3], s33, v64
	s_nop 1
	v_cndmask_b32_e64 v9, 0, v9, s[2:3]
	s_or_b64 exec, exec, s[14:15]
	global_load_dwordx4 v[10:13], v[18:19], off offset:1024
	s_and_saveexec_b64 s[14:15], s[0:1]
	s_cbranch_execz .LBB32_43
.LBB32_56:                              ;   in Loop: Header=BB32_41 Depth=1
	v_cmp_gt_i32_e64 s[2:3], s33, v66
	v_add_u32_e32 v14, -2, v64
	s_waitcnt vmcnt(0)
	v_cndmask_b32_e64 v10, 0, v10, s[2:3]
	v_cmp_gt_i32_e64 s[2:3], s33, v14
	v_add_u32_e32 v14, -1, v64
	s_nop 0
	v_cndmask_b32_e64 v11, 0, v11, s[2:3]
	v_cmp_gt_i32_e64 s[2:3], s33, v14
	s_nop 1
	v_cndmask_b32_e64 v12, 0, v12, s[2:3]
	v_cmp_gt_i32_e64 s[2:3], s33, v64
	s_nop 1
	v_cndmask_b32_e64 v13, 0, v13, s[2:3]
	s_or_b64 exec, exec, s[14:15]
	global_load_dwordx4 v[14:17], v[18:19], off offset:2048
	s_and_saveexec_b64 s[14:15], s[0:1]
	s_cbranch_execz .LBB32_44
.LBB32_57:                              ;   in Loop: Header=BB32_41 Depth=1
	v_cmp_gt_i32_e64 s[2:3], s33, v66
	v_add_u32_e32 v20, -2, v64
	s_waitcnt vmcnt(0)
	v_cndmask_b32_e64 v14, 0, v14, s[2:3]
	v_cmp_gt_i32_e64 s[2:3], s33, v20
	v_add_u32_e32 v20, -1, v64
	s_nop 0
	v_cndmask_b32_e64 v15, 0, v15, s[2:3]
	v_cmp_gt_i32_e64 s[2:3], s33, v20
	s_nop 1
	v_cndmask_b32_e64 v16, 0, v16, s[2:3]
	v_cmp_gt_i32_e64 s[2:3], s33, v64
	s_nop 1
	v_cndmask_b32_e64 v17, 0, v17, s[2:3]
	s_or_b64 exec, exec, s[14:15]
	global_load_dwordx4 v[18:21], v[18:19], off offset:3072
	s_and_saveexec_b64 s[14:15], s[0:1]
	s_cbranch_execnz .LBB32_45
	s_branch .LBB32_46
.LBB32_58:
	s_or_b64 exec, exec, s[12:13]
.LBB32_59:
	s_or_b64 exec, exec, s[6:7]
	ds_bpermute_b32 v2, v62, v44
	ds_bpermute_b32 v3, v62, v45
	;; [unrolled: 1-line block ×8, first 2 shown]
	s_waitcnt lgkmcnt(6)
	v_pk_add_f32 v[2:3], v[44:45], v[2:3]
	s_waitcnt lgkmcnt(4)
	v_pk_add_f32 v[4:5], v[42:43], v[4:5]
	ds_bpermute_b32 v6, v61, v2
	ds_bpermute_b32 v7, v61, v3
	;; [unrolled: 1-line block ×4, first 2 shown]
	s_waitcnt lgkmcnt(6)
	v_pk_add_f32 v[14:15], v[40:41], v[8:9]
	s_waitcnt lgkmcnt(4)
	v_pk_add_f32 v[12:13], v[38:39], v[12:13]
	ds_bpermute_b32 v16, v61, v14
	ds_bpermute_b32 v17, v61, v15
	;; [unrolled: 1-line block ×4, first 2 shown]
	s_waitcnt lgkmcnt(6)
	v_pk_add_f32 v[8:9], v[2:3], v[6:7]
	s_waitcnt lgkmcnt(4)
	v_pk_add_f32 v[6:7], v[4:5], v[10:11]
	v_and_b32_e32 v10, 0x3c0, v0
	s_waitcnt lgkmcnt(2)
	v_pk_add_f32 v[4:5], v[14:15], v[16:17]
	s_waitcnt lgkmcnt(0)
	v_pk_add_f32 v[2:3], v[12:13], v[18:19]
	v_cmp_eq_u32_e32 vcc, 64, v10
	s_barrier
	s_and_saveexec_b64 s[2:3], vcc
	s_cbranch_execz .LBB32_64
; %bb.60:
	v_cmp_eq_u32_e32 vcc, 0, v59
	s_and_saveexec_b64 s[0:1], vcc
	s_cbranch_execz .LBB32_62
; %bb.61:
	v_mov_b32_e32 v10, 0x1f0
	v_lshl_add_u32 v10, v63, 2, v10
	ds_write2_b32 v10, v8, v9 offset1:16
	ds_write2_b32 v10, v6, v7 offset0:32 offset1:48
	ds_write2_b32 v10, v4, v5 offset0:64 offset1:80
	ds_write_b32 v10, v2 offset:384
.LBB32_62:
	s_or_b64 exec, exec, s[0:1]
	v_or_b32_e32 v10, 0x70, v63
	s_movk_i32 s0, 0x78
	v_cmp_gt_u32_e64 s[0:1], s0, v10
	s_and_b64 s[0:1], vcc, s[0:1]
	s_and_b64 exec, exec, s[0:1]
	s_cbranch_execz .LBB32_64
; %bb.63:
	v_mov_b32_e32 v10, 0x1f0
	v_lshl_add_u32 v10, v63, 2, v10
	ds_write_b32 v10, v3 offset:448
.LBB32_64:
	s_or_b64 exec, exec, s[2:3]
	v_cmp_gt_u32_e32 vcc, 64, v0
	s_waitcnt lgkmcnt(0)
	s_barrier
	s_and_saveexec_b64 s[6:7], vcc
	s_cbranch_execz .LBB32_82
; %bb.65:
	v_cmp_eq_u32_e64 s[0:1], 0, v59
	s_and_saveexec_b64 s[2:3], s[0:1]
	s_cbranch_execz .LBB32_67
; %bb.66:
	v_mov_b32_e32 v0, 0x1f0
	v_lshl_add_u32 v0, v58, 2, v0
	ds_read_b32 v0, v0
	s_waitcnt lgkmcnt(0)
	v_add_f32_e32 v8, v8, v0
.LBB32_67:
	s_or_b64 exec, exec, s[2:3]
	v_or_b32_e32 v0, 16, v58
	s_movk_i32 s8, 0x78
	v_cmp_gt_u32_e64 s[2:3], s8, v0
	s_and_b64 s[12:13], s[0:1], s[2:3]
	s_and_saveexec_b64 s[2:3], s[12:13]
	s_cbranch_execz .LBB32_69
; %bb.68:
	v_mov_b32_e32 v0, 0x1f0
	v_lshl_add_u32 v0, v58, 2, v0
	ds_read_b32 v0, v0 offset:64
	s_waitcnt lgkmcnt(0)
	v_add_f32_e32 v9, v9, v0
.LBB32_69:
	s_or_b64 exec, exec, s[2:3]
	v_or_b32_e32 v0, 32, v58
	v_cmp_gt_u32_e64 s[2:3], s8, v0
	s_and_b64 s[8:9], s[0:1], s[2:3]
	s_and_saveexec_b64 s[2:3], s[8:9]
	s_cbranch_execz .LBB32_71
; %bb.70:
	v_mov_b32_e32 v0, 0x1f0
	v_lshl_add_u32 v0, v58, 2, v0
	ds_read_b32 v0, v0 offset:128
	s_waitcnt lgkmcnt(0)
	v_add_f32_e32 v6, v6, v0
.LBB32_71:
	s_or_b64 exec, exec, s[2:3]
	v_or_b32_e32 v0, 48, v58
	s_movk_i32 s8, 0x78
	v_cmp_gt_u32_e64 s[2:3], s8, v0
	s_and_b64 s[12:13], s[0:1], s[2:3]
	s_and_saveexec_b64 s[2:3], s[12:13]
	s_cbranch_execz .LBB32_73
; %bb.72:
	v_mov_b32_e32 v0, 0x1f0
	v_lshl_add_u32 v0, v58, 2, v0
	ds_read_b32 v0, v0 offset:192
	s_waitcnt lgkmcnt(0)
	v_add_f32_e32 v7, v7, v0
.LBB32_73:
	s_or_b64 exec, exec, s[2:3]
	v_or_b32_e32 v0, 64, v58
	v_cmp_gt_u32_e64 s[2:3], s8, v0
	s_and_b64 s[8:9], s[0:1], s[2:3]
	s_and_saveexec_b64 s[2:3], s[8:9]
	s_cbranch_execz .LBB32_75
; %bb.74:
	v_mov_b32_e32 v0, 0x1f0
	v_lshl_add_u32 v0, v58, 2, v0
	ds_read_b32 v0, v0 offset:256
	s_waitcnt lgkmcnt(0)
	v_add_f32_e32 v4, v4, v0
.LBB32_75:
	;; [unrolled: 27-line block ×3, first 2 shown]
	s_or_b64 exec, exec, s[2:3]
	v_or_b32_e32 v0, 0x70, v58
	s_movk_i32 s2, 0x78
	v_cmp_gt_u32_e64 s[2:3], s2, v0
	s_and_b64 s[2:3], s[0:1], s[2:3]
	s_and_saveexec_b64 s[0:1], s[2:3]
	s_cbranch_execz .LBB32_81
; %bb.80:
	v_mov_b32_e32 v0, 0x1f0
	v_lshl_add_u32 v0, v58, 2, v0
	ds_read_b32 v0, v0 offset:448
	s_waitcnt lgkmcnt(0)
	v_add_f32_e32 v3, v3, v0
.LBB32_81:
	s_or_b64 exec, exec, s[0:1]
.LBB32_82:
	s_or_b64 exec, exec, s[6:7]
	s_barrier
	s_and_saveexec_b64 s[0:1], vcc
	s_cbranch_execz .LBB32_99
; %bb.83:
	s_mul_i32 s0, s10, s11
	s_mul_i32 s0, s0, s5
	s_mulk_i32 s0, 0x78
	s_ashr_i32 s1, s0, 31
	s_lshl_b64 s[0:1], s[0:1], 2
	s_add_u32 s2, s18, s0
	s_mul_i32 s0, s11, s16
	s_addc_u32 s3, s19, s1
	s_ashr_i32 s1, s0, 31
	s_lshl_b64 s[0:1], s[0:1], 2
	s_add_u32 s2, s2, s0
	s_mul_i32 s0, s4, 0x78
	s_addc_u32 s3, s3, s1
	s_ashr_i32 s1, s0, 31
	s_lshl_b64 s[0:1], s[0:1], 2
	s_add_u32 s2, s2, s0
	s_movk_i32 s5, 0x78
	s_addc_u32 s3, s3, s1
	v_cmp_eq_u32_e32 vcc, 0, v59
	s_and_saveexec_b64 s[0:1], vcc
	s_cbranch_execz .LBB32_85
; %bb.84:
	global_store_dword v1, v8, s[2:3]
.LBB32_85:
	s_or_b64 exec, exec, s[0:1]
	v_or_b32_e32 v0, 16, v58
	v_cmp_gt_u32_e64 s[0:1], s5, v0
	s_and_b64 s[4:5], vcc, s[0:1]
	s_and_saveexec_b64 s[0:1], s[4:5]
	s_cbranch_execz .LBB32_87
; %bb.86:
	global_store_dword v1, v9, s[2:3] offset:64
.LBB32_87:
	s_or_b64 exec, exec, s[0:1]
	v_or_b32_e32 v0, 32, v58
	s_movk_i32 s4, 0x78
	v_cmp_gt_u32_e64 s[0:1], s4, v0
	s_and_b64 s[6:7], vcc, s[0:1]
	s_and_saveexec_b64 s[0:1], s[6:7]
	s_cbranch_execz .LBB32_89
; %bb.88:
	global_store_dword v1, v6, s[2:3] offset:128
.LBB32_89:
	s_or_b64 exec, exec, s[0:1]
	v_or_b32_e32 v0, 48, v58
	v_cmp_gt_u32_e64 s[0:1], s4, v0
	s_and_b64 s[4:5], vcc, s[0:1]
	s_and_saveexec_b64 s[0:1], s[4:5]
	s_cbranch_execz .LBB32_91
; %bb.90:
	global_store_dword v1, v7, s[2:3] offset:192
.LBB32_91:
	s_or_b64 exec, exec, s[0:1]
	v_or_b32_e32 v0, 64, v58
	s_movk_i32 s4, 0x78
	v_cmp_gt_u32_e64 s[0:1], s4, v0
	s_and_b64 s[6:7], vcc, s[0:1]
	s_and_saveexec_b64 s[0:1], s[6:7]
	s_cbranch_execz .LBB32_93
; %bb.92:
	global_store_dword v1, v4, s[2:3] offset:256
.LBB32_93:
	;; [unrolled: 19-line block ×3, first 2 shown]
	s_or_b64 exec, exec, s[0:1]
	v_or_b32_e32 v0, 0x70, v58
	v_cmp_gt_u32_e64 s[0:1], s4, v0
	s_and_b64 s[0:1], vcc, s[0:1]
	s_and_b64 exec, exec, s[0:1]
	s_cbranch_execz .LBB32_99
; %bb.98:
	global_store_dword v1, v3, s[2:3] offset:448
.LBB32_99:
	s_endpgm
	.section	.rodata,"a",@progbits
	.p2align	6, 0x0
	.amdhsa_kernel _ZN4vllm25paged_attention_v1_kernelIffLi120ELi16ELi128ELNS_18Fp8KVCacheDataTypeE0ELb0EEEvPT_PKS2_PKT0_S8_ifPKiSA_iPKfiiiSC_SC_iiiii
		.amdhsa_group_segment_fixed_size 496
		.amdhsa_private_segment_fixed_size 0
		.amdhsa_kernarg_size 384
		.amdhsa_user_sgpr_count 2
		.amdhsa_user_sgpr_dispatch_ptr 0
		.amdhsa_user_sgpr_queue_ptr 0
		.amdhsa_user_sgpr_kernarg_segment_ptr 1
		.amdhsa_user_sgpr_dispatch_id 0
		.amdhsa_user_sgpr_kernarg_preload_length 0
		.amdhsa_user_sgpr_kernarg_preload_offset 0
		.amdhsa_user_sgpr_private_segment_size 0
		.amdhsa_uses_dynamic_stack 0
		.amdhsa_enable_private_segment 0
		.amdhsa_system_sgpr_workgroup_id_x 1
		.amdhsa_system_sgpr_workgroup_id_y 1
		.amdhsa_system_sgpr_workgroup_id_z 1
		.amdhsa_system_sgpr_workgroup_info 0
		.amdhsa_system_vgpr_workitem_id 0
		.amdhsa_next_free_vgpr 80
		.amdhsa_next_free_sgpr 35
		.amdhsa_accum_offset 80
		.amdhsa_reserve_vcc 1
		.amdhsa_float_round_mode_32 0
		.amdhsa_float_round_mode_16_64 0
		.amdhsa_float_denorm_mode_32 3
		.amdhsa_float_denorm_mode_16_64 3
		.amdhsa_dx10_clamp 1
		.amdhsa_ieee_mode 1
		.amdhsa_fp16_overflow 0
		.amdhsa_tg_split 0
		.amdhsa_exception_fp_ieee_invalid_op 0
		.amdhsa_exception_fp_denorm_src 0
		.amdhsa_exception_fp_ieee_div_zero 0
		.amdhsa_exception_fp_ieee_overflow 0
		.amdhsa_exception_fp_ieee_underflow 0
		.amdhsa_exception_fp_ieee_inexact 0
		.amdhsa_exception_int_div_zero 0
	.end_amdhsa_kernel
	.section	.text._ZN4vllm25paged_attention_v1_kernelIffLi120ELi16ELi128ELNS_18Fp8KVCacheDataTypeE0ELb0EEEvPT_PKS2_PKT0_S8_ifPKiSA_iPKfiiiSC_SC_iiiii,"axG",@progbits,_ZN4vllm25paged_attention_v1_kernelIffLi120ELi16ELi128ELNS_18Fp8KVCacheDataTypeE0ELb0EEEvPT_PKS2_PKT0_S8_ifPKiSA_iPKfiiiSC_SC_iiiii,comdat
.Lfunc_end32:
	.size	_ZN4vllm25paged_attention_v1_kernelIffLi120ELi16ELi128ELNS_18Fp8KVCacheDataTypeE0ELb0EEEvPT_PKS2_PKT0_S8_ifPKiSA_iPKfiiiSC_SC_iiiii, .Lfunc_end32-_ZN4vllm25paged_attention_v1_kernelIffLi120ELi16ELi128ELNS_18Fp8KVCacheDataTypeE0ELb0EEEvPT_PKS2_PKT0_S8_ifPKiSA_iPKfiiiSC_SC_iiiii
                                        ; -- End function
	.section	.AMDGPU.csdata,"",@progbits
; Kernel info:
; codeLenInByte = 5744
; NumSgprs: 41
; NumVgprs: 80
; NumAgprs: 0
; TotalNumVgprs: 80
; ScratchSize: 0
; MemoryBound: 0
; FloatMode: 240
; IeeeMode: 1
; LDSByteSize: 496 bytes/workgroup (compile time only)
; SGPRBlocks: 5
; VGPRBlocks: 9
; NumSGPRsForWavesPerEU: 41
; NumVGPRsForWavesPerEU: 80
; AccumOffset: 80
; Occupancy: 6
; WaveLimiterHint : 1
; COMPUTE_PGM_RSRC2:SCRATCH_EN: 0
; COMPUTE_PGM_RSRC2:USER_SGPR: 2
; COMPUTE_PGM_RSRC2:TRAP_HANDLER: 0
; COMPUTE_PGM_RSRC2:TGID_X_EN: 1
; COMPUTE_PGM_RSRC2:TGID_Y_EN: 1
; COMPUTE_PGM_RSRC2:TGID_Z_EN: 1
; COMPUTE_PGM_RSRC2:TIDIG_COMP_CNT: 0
; COMPUTE_PGM_RSRC3_GFX90A:ACCUM_OFFSET: 19
; COMPUTE_PGM_RSRC3_GFX90A:TG_SPLIT: 0
	.section	.text._ZN4vllm25paged_attention_v1_kernelIffLi128ELi16ELi128ELNS_18Fp8KVCacheDataTypeE0ELb0EEEvPT_PKS2_PKT0_S8_ifPKiSA_iPKfiiiSC_SC_iiiii,"axG",@progbits,_ZN4vllm25paged_attention_v1_kernelIffLi128ELi16ELi128ELNS_18Fp8KVCacheDataTypeE0ELb0EEEvPT_PKS2_PKT0_S8_ifPKiSA_iPKfiiiSC_SC_iiiii,comdat
	.protected	_ZN4vllm25paged_attention_v1_kernelIffLi128ELi16ELi128ELNS_18Fp8KVCacheDataTypeE0ELb0EEEvPT_PKS2_PKT0_S8_ifPKiSA_iPKfiiiSC_SC_iiiii ; -- Begin function _ZN4vllm25paged_attention_v1_kernelIffLi128ELi16ELi128ELNS_18Fp8KVCacheDataTypeE0ELb0EEEvPT_PKS2_PKT0_S8_ifPKiSA_iPKfiiiSC_SC_iiiii
	.globl	_ZN4vllm25paged_attention_v1_kernelIffLi128ELi16ELi128ELNS_18Fp8KVCacheDataTypeE0ELb0EEEvPT_PKS2_PKT0_S8_ifPKiSA_iPKfiiiSC_SC_iiiii
	.p2align	8
	.type	_ZN4vllm25paged_attention_v1_kernelIffLi128ELi16ELi128ELNS_18Fp8KVCacheDataTypeE0ELb0EEEvPT_PKS2_PKT0_S8_ifPKiSA_iPKfiiiSC_SC_iiiii,@function
_ZN4vllm25paged_attention_v1_kernelIffLi128ELi16ELi128ELNS_18Fp8KVCacheDataTypeE0ELb0EEEvPT_PKS2_PKT0_S8_ifPKiSA_iPKfiiiSC_SC_iiiii: ; @_ZN4vllm25paged_attention_v1_kernelIffLi128ELi16ELi128ELNS_18Fp8KVCacheDataTypeE0ELb0EEEvPT_PKS2_PKT0_S8_ifPKiSA_iPKfiiiSC_SC_iiiii
; %bb.0:
	s_load_dword s5, s[0:1], 0x80
	s_load_dwordx2 s[6:7], s[0:1], 0x30
	s_load_dwordx2 s[8:9], s[0:1], 0x20
	s_mov_b32 s10, s3
	s_ashr_i32 s11, s3, 31
	s_lshl_b64 s[12:13], s[10:11], 2
	s_waitcnt lgkmcnt(0)
	s_add_u32 s6, s6, s12
	s_addc_u32 s7, s7, s13
	s_abs_i32 s3, s8
	v_cvt_f32_u32_e32 v1, s3
	s_sub_i32 s12, 0, s3
	s_abs_i32 s11, s5
	s_xor_b32 s8, s5, s8
	v_rcp_iflag_f32_e32 v1, v1
	s_ashr_i32 s8, s8, 31
	v_mul_f32_e32 v1, 0x4f7ffffe, v1
	v_cvt_u32_f32_e32 v1, v1
	s_nop 0
	v_readfirstlane_b32 s13, v1
	s_mul_i32 s12, s12, s13
	s_mul_hi_u32 s12, s13, s12
	s_add_i32 s13, s13, s12
	s_mul_hi_u32 s12, s11, s13
	s_mul_i32 s13, s12, s3
	s_sub_i32 s11, s11, s13
	s_add_i32 s13, s12, 1
	s_sub_i32 s14, s11, s3
	s_cmp_ge_u32 s11, s3
	s_cselect_b32 s12, s13, s12
	s_cselect_b32 s11, s14, s11
	s_add_i32 s13, s12, 1
	s_cmp_ge_u32 s11, s3
	s_cselect_b32 s3, s13, s12
	s_xor_b32 s3, s3, s8
	s_sub_i32 s14, s3, s8
	s_abs_i32 s11, s14
	v_cvt_f32_u32_e32 v1, s11
	s_load_dwordx2 s[12:13], s[0:1], 0x40
	s_sub_i32 s3, 0, s11
	s_abs_i32 s18, s2
	v_rcp_iflag_f32_e32 v1, v1
	s_mov_b32 s8, 0
	v_mul_f32_e32 v1, 0x4f7ffffe, v1
	v_cvt_u32_f32_e32 v1, v1
	s_nop 0
	v_readfirstlane_b32 s15, v1
	s_mul_i32 s3, s3, s15
	s_mul_hi_u32 s3, s15, s3
	s_add_i32 s15, s15, s3
	s_waitcnt lgkmcnt(0)
	s_cmp_eq_u64 s[12:13], 0
	s_mul_hi_u32 s19, s18, s15
	s_cbranch_scc1 .LBB33_2
; %bb.1:
	s_ashr_i32 s3, s2, 31
	s_lshl_b64 s[16:17], s[2:3], 2
	s_add_u32 s12, s12, s16
	s_addc_u32 s13, s13, s17
	s_load_dword s8, s[12:13], 0x0
.LBB33_2:
	s_load_dword s33, s[6:7], 0x0
	s_ashr_i32 s7, s14, 31
	s_load_dwordx4 s[12:15], s[0:1], 0x48
	s_ashr_i32 s6, s2, 31
	v_lshrrev_b32_e32 v58, 2, v0
	s_lshl_b32 s16, s2, 7
	s_movk_i32 s2, 0x80
	v_and_b32_e32 v59, 3, v0
	v_cmp_gt_u32_e32 vcc, s2, v0
	v_lshlrev_b32_e32 v46, 2, v0
	v_lshlrev_b32_e32 v1, 2, v58
	s_and_saveexec_b64 s[2:3], vcc
	s_cbranch_execz .LBB33_4
; %bb.3:
	s_load_dwordx2 s[20:21], s[0:1], 0x8
	s_waitcnt lgkmcnt(0)
	s_mul_i32 s22, s10, s12
	s_ashr_i32 s23, s22, 31
	s_lshl_b64 s[22:23], s[22:23], 2
	v_lshl_add_u32 v3, v59, 7, v1
	s_add_u32 s12, s20, s22
	s_addc_u32 s15, s21, s23
	s_ashr_i32 s17, s16, 31
	s_lshl_b64 s[20:21], s[16:17], 2
	s_add_u32 s20, s12, s20
	s_addc_u32 s21, s15, s21
	global_load_dword v2, v46, s[20:21]
	s_waitcnt vmcnt(0)
	ds_write_b32 v3, v2
.LBB33_4:
	s_or_b64 exec, exec, s[2:3]
	s_waitcnt lgkmcnt(0)
	s_add_i32 s3, s33, 15
	s_ashr_i32 s12, s3, 31
	s_lshr_b32 s12, s12, 28
	s_add_i32 s3, s3, s12
	s_ashr_i32 s17, s3, 4
	s_xor_b32 s3, s6, s7
	s_mul_i32 s6, s19, s11
	s_sub_i32 s6, s18, s6
	s_add_i32 s7, s19, 1
	s_sub_i32 s12, s6, s11
	s_load_dwordx2 s[20:21], s[0:1], 0x28
	s_load_dword s2, s[0:1], 0x38
	s_cmp_ge_u32 s6, s11
	s_cselect_b32 s7, s7, s19
	s_cselect_b32 s6, s12, s6
	s_add_i32 s12, s7, 1
	s_cmp_ge_u32 s6, s11
	s_cselect_b32 s6, s12, s7
	v_lshrrev_b32_e32 v60, 6, v0
	s_xor_b32 s6, s6, s3
	s_waitcnt lgkmcnt(0)
	s_mul_i32 s22, s10, s2
	s_sub_i32 s12, s6, s3
	s_ashr_i32 s23, s22, 31
	v_cmp_gt_i32_e64 s[2:3], s17, v60
	v_cmp_le_i32_e32 vcc, s17, v60
	v_mbcnt_lo_u32_b32 v36, -1, 0
	s_barrier
	s_waitcnt lgkmcnt(0)
                                        ; implicit-def: $sgpr15
                                        ; implicit-def: $vgpr38
                                        ; implicit-def: $vgpr39
	s_and_saveexec_b64 s[6:7], vcc
	s_xor_b64 s[6:7], exec, s[6:7]
; %bb.5:
	v_mbcnt_hi_u32_b32 v38, -1, v36
	v_and_b32_e32 v2, 64, v38
	v_add_u32_e32 v39, 64, v2
	s_mov_b32 s15, 0xff7fffff
                                        ; implicit-def: $vgpr36
; %bb.6:
	s_or_saveexec_b64 s[26:27], s[6:7]
	s_load_dwordx2 s[18:19], s[0:1], 0x0
	s_load_dwordx2 s[24:25], s[0:1], 0x18
	s_load_dword s11, s[0:1], 0x88
	v_mov_b32_e32 v40, s15
	s_mul_i32 s14, s12, s14
	v_lshrrev_b32_e32 v48, 4, v0
	s_xor_b64 exec, exec, s[26:27]
	s_cbranch_execz .LBB33_12
; %bb.7:
	s_load_dwordx2 s[0:1], s[0:1], 0x10
	s_ashr_i32 s15, s14, 31
	s_lshl_b64 s[6:7], s[14:15], 2
	v_bfe_u32 v37, v0, 2, 4
	v_lshlrev_b32_e32 v50, 4, v37
	s_waitcnt lgkmcnt(0)
	s_add_u32 s0, s0, s6
	s_addc_u32 s1, s1, s7
	v_mov_b32_e32 v51, 0
	v_lshl_add_u64 v[2:3], s[0:1], 0, v[50:51]
	v_lshlrev_b32_e32 v50, 2, v59
	v_lshlrev_b32_e32 v30, 7, v59
	v_lshl_add_u64 v[34:35], v[2:3], 0, v[50:51]
	ds_read_b128 v[2:5], v30
	ds_read_b128 v[6:9], v30 offset:16
	ds_read_b128 v[10:13], v30 offset:32
	;; [unrolled: 1-line block ×7, first 2 shown]
	v_mbcnt_hi_u32_b32 v38, -1, v36
	v_and_b32_e32 v36, 64, v38
	v_add_u32_e32 v39, 64, v36
	v_xor_b32_e32 v36, 2, v38
	v_cmp_lt_i32_e32 vcc, v36, v39
	s_sub_i32 s15, 1, s33
	s_lshl_b64 s[6:7], s[22:23], 2
	v_cndmask_b32_e32 v36, v38, v36, vcc
	v_lshlrev_b32_e32 v41, 2, v36
	v_xor_b32_e32 v36, 1, v38
	v_cmp_lt_i32_e32 vcc, v36, v39
	v_lshlrev_b32_e32 v40, 2, v37
	s_add_u32 s6, s20, s6
	v_cndmask_b32_e32 v36, v38, v36, vcc
	v_lshlrev_b32_e32 v42, 2, v36
	v_lshl_or_b32 v36, v60, 6, v40
	v_and_b32_e32 v50, 60, v48
	s_addc_u32 s7, s21, s7
	s_mov_b32 s12, s13
	v_cmp_eq_u32_e32 vcc, 0, v59
	v_cmp_neq_f32_e64 s[0:1], s8, 0
	v_lshl_or_b32 v43, v60, 4, v37
	v_add_u32_e32 v44, 0x210, v36
	v_lshl_add_u64 v[36:37], s[6:7], 0, v[50:51]
	s_mov_b64 s[28:29], 0
	v_mov_b32_e32 v40, 0xff7fffff
	s_movk_i32 s34, 0x1000
	v_mov_b32_e32 v45, v60
	s_branch .LBB33_9
.LBB33_8:                               ;   in Loop: Header=BB33_9 Depth=1
	s_or_b64 exec, exec, s[30:31]
	v_add_u32_e32 v45, 2, v45
	v_cmp_le_i32_e64 s[6:7], s17, v45
	v_add_u32_e32 v43, 32, v43
	v_add_u32_e32 v44, 0x80, v44
	s_or_b64 s[28:29], s[6:7], s[28:29]
	v_lshl_add_u64 v[36:37], v[36:37], 0, 8
	s_andn2_b64 exec, exec, s[28:29]
	s_cbranch_execz .LBB33_11
.LBB33_9:                               ; =>This Inner Loop Header: Depth=1
	global_load_dword v47, v[36:37], off
	s_waitcnt vmcnt(0)
	v_mad_i64_i32 v[50:51], s[6:7], v47, s12, 0
	v_lshl_add_u64 v[50:51], v[50:51], 2, v[34:35]
	global_load_dword v47, v[50:51], off
	s_waitcnt lgkmcnt(0)
	global_load_dword v49, v[50:51], off offset:256
	global_load_dword v52, v[50:51], off offset:512
	global_load_dword v53, v[50:51], off offset:768
	global_load_dword v54, v[50:51], off offset:1024
	global_load_dword v55, v[50:51], off offset:1280
	global_load_dword v56, v[50:51], off offset:1536
	global_load_dword v57, v[50:51], off offset:1792
	global_load_dword v61, v[50:51], off offset:2048
	global_load_dword v62, v[50:51], off offset:2304
	global_load_dword v63, v[50:51], off offset:2560
	global_load_dword v64, v[50:51], off offset:2816
	global_load_dword v65, v[50:51], off offset:3072
	global_load_dword v66, v[50:51], off offset:3328
	global_load_dword v67, v[50:51], off offset:3584
	global_load_dword v68, v[50:51], off offset:3840
	v_add_co_u32_e64 v50, s[6:7], s34, v50
	s_waitcnt vmcnt(14) lgkmcnt(7)
	v_mul_f32_e32 v49, v3, v49
	v_addc_co_u32_e64 v51, s[6:7], 0, v51, s[6:7]
	global_load_dword v69, v[50:51], off
	global_load_dword v70, v[50:51], off offset:256
	global_load_dword v71, v[50:51], off offset:512
	;; [unrolled: 1-line block ×14, first 2 shown]
	s_nop 0
	global_load_dword v50, v[50:51], off offset:3840
	v_fmac_f32_e32 v49, v2, v47
	s_waitcnt vmcnt(29)
	v_fmac_f32_e32 v49, v4, v52
	s_waitcnt vmcnt(28)
	v_fmac_f32_e32 v49, v5, v53
	s_waitcnt vmcnt(27) lgkmcnt(6)
	v_fmac_f32_e32 v49, v6, v54
	s_waitcnt vmcnt(26)
	v_fmac_f32_e32 v49, v7, v55
	s_waitcnt vmcnt(25)
	v_fmac_f32_e32 v49, v8, v56
	s_waitcnt vmcnt(24)
	v_fmac_f32_e32 v49, v9, v57
	s_waitcnt vmcnt(23) lgkmcnt(5)
	v_fmac_f32_e32 v49, v10, v61
	s_waitcnt vmcnt(22)
	;; [unrolled: 8-line block ×7, first 2 shown]
	v_fmac_f32_e32 v49, v31, v82
	s_waitcnt vmcnt(1)
	v_fmac_f32_e32 v49, v32, v83
	s_waitcnt vmcnt(0)
	v_fmac_f32_e32 v49, v33, v50
	ds_bpermute_b32 v47, v41, v49
	s_waitcnt lgkmcnt(0)
	v_add_f32_e32 v47, v49, v47
	ds_bpermute_b32 v49, v42, v47
	s_and_saveexec_b64 s[30:31], vcc
	s_cbranch_execz .LBB33_8
; %bb.10:                               ;   in Loop: Header=BB33_9 Depth=1
	v_add_u32_e32 v50, s15, v43
	v_cvt_f32_i32_e32 v50, v50
	s_waitcnt lgkmcnt(0)
	v_add_f32_e32 v47, v47, v49
	v_cmp_gt_i32_e64 s[6:7], s33, v43
	v_max_f32_e32 v49, v40, v40
	v_mul_f32_e32 v50, s8, v50
	v_cndmask_b32_e64 v50, 0, v50, s[0:1]
	v_fmac_f32_e32 v50, s9, v47
	v_cndmask_b32_e64 v47, 0, v50, s[6:7]
	ds_write_b32 v44, v47
	v_max_f32_e32 v47, v49, v50
	v_cndmask_b32_e64 v40, v40, v47, s[6:7]
	s_branch .LBB33_8
.LBB33_11:
	s_or_b64 exec, exec, s[28:29]
.LBB33_12:
	s_or_b64 exec, exec, s[26:27]
	v_xor_b32_e32 v2, 32, v38
	v_cmp_lt_i32_e32 vcc, v2, v39
	v_xor_b32_e32 v5, 16, v38
	v_max_f32_e32 v4, v40, v40
	v_cndmask_b32_e32 v2, v38, v2, vcc
	v_lshlrev_b32_e32 v2, 2, v2
	ds_bpermute_b32 v3, v2, v40
	v_cmp_lt_i32_e32 vcc, v5, v39
	v_xor_b32_e32 v6, 8, v38
	v_xor_b32_e32 v7, 4, v38
	v_and_b32_e32 v61, 63, v0
	s_waitcnt lgkmcnt(0)
	v_max_f32_e32 v3, v3, v3
	v_max_f32_e32 v4, v4, v3
	v_cndmask_b32_e32 v3, v38, v5, vcc
	v_lshlrev_b32_e32 v3, 2, v3
	ds_bpermute_b32 v5, v3, v4
	v_cmp_lt_i32_e32 vcc, v6, v39
	s_waitcnt lgkmcnt(0)
	v_max_f32_e32 v5, v5, v5
	v_max_f32_e32 v4, v4, v5
	v_cndmask_b32_e32 v5, v38, v6, vcc
	v_lshlrev_b32_e32 v6, 2, v5
	ds_bpermute_b32 v5, v6, v4
	v_cmp_lt_i32_e32 vcc, v7, v39
	s_waitcnt lgkmcnt(0)
	v_max_f32_e32 v5, v5, v5
	v_max_f32_e32 v5, v4, v5
	v_cndmask_b32_e32 v4, v38, v7, vcc
	v_lshlrev_b32_e32 v7, 2, v4
	ds_bpermute_b32 v8, v7, v5
	v_cmp_eq_u32_e32 vcc, 0, v61
	v_lshlrev_b32_e32 v4, 2, v60
	s_and_saveexec_b64 s[0:1], vcc
	s_cbranch_execz .LBB33_14
; %bb.13:
	s_waitcnt lgkmcnt(0)
	v_max_f32_e32 v8, v8, v8
	v_max_f32_e32 v5, v5, v5
	;; [unrolled: 1-line block ×3, first 2 shown]
	ds_write_b32 v4, v5 offset:512
.LBB33_14:
	s_or_b64 exec, exec, s[0:1]
	v_cmp_gt_u32_e64 s[0:1], 2, v61
	s_waitcnt lgkmcnt(0)
	v_mov_b32_e32 v8, 0xff7fffff
	v_lshlrev_b32_e32 v5, 2, v61
	s_barrier
	s_and_saveexec_b64 s[6:7], s[0:1]
	s_cbranch_execz .LBB33_16
; %bb.15:
	ds_read_b32 v8, v5 offset:512
.LBB33_16:
	s_or_b64 exec, exec, s[6:7]
	v_xor_b32_e32 v9, 1, v38
	v_cmp_lt_i32_e64 s[6:7], v9, v39
	v_lshlrev_b32_e32 v10, 2, v38
	s_nop 0
	v_cndmask_b32_e64 v9, v38, v9, s[6:7]
	v_lshlrev_b32_e32 v62, 2, v9
	s_waitcnt lgkmcnt(0)
	ds_bpermute_b32 v9, v62, v8
	v_max_f32_e32 v8, v8, v8
	s_lshl_b32 s6, s17, 4
	s_min_i32 s12, s6, s33
	v_cmp_gt_i32_e64 s[6:7], s12, v0
	s_waitcnt lgkmcnt(0)
	v_max_f32_e32 v9, v9, v9
	v_max_f32_e32 v9, v8, v9
	v_and_b32_e32 v8, 0xffffff00, v10
	ds_bpermute_b32 v10, v8, v9
	v_mov_b32_e32 v9, 0
	s_and_saveexec_b64 s[26:27], s[6:7]
	s_cbranch_execz .LBB33_20
; %bb.17:
	v_mov_b32_e32 v9, 0x210
	v_lshl_add_u32 v11, v0, 2, v9
	s_mov_b64 s[28:29], 0
	v_mov_b32_e32 v9, 0
	v_mov_b32_e32 v12, v0
.LBB33_18:                              ; =>This Inner Loop Header: Depth=1
	ds_read_b32 v13, v11
	v_add_u32_e32 v12, 0x80, v12
	v_cmp_le_i32_e64 s[8:9], s12, v12
	s_or_b64 s[28:29], s[8:9], s[28:29]
	s_waitcnt lgkmcnt(0)
	v_sub_f32_e32 v13, v13, v10
	v_mul_f32_e32 v13, 0x3fb8aa3b, v13
	v_exp_f32_e32 v13, v13
	ds_write_b32 v11, v13
	v_add_f32_e32 v9, v9, v13
	v_add_u32_e32 v11, 0x200, v11
	s_andn2_b64 exec, exec, s[28:29]
	s_cbranch_execnz .LBB33_18
; %bb.19:
	s_or_b64 exec, exec, s[28:29]
.LBB33_20:
	s_or_b64 exec, exec, s[26:27]
	ds_bpermute_b32 v2, v2, v9
	s_waitcnt lgkmcnt(0)
	v_add_f32_e32 v2, v9, v2
	ds_bpermute_b32 v3, v3, v2
	s_waitcnt lgkmcnt(0)
	v_add_f32_e32 v2, v2, v3
	ds_bpermute_b32 v3, v6, v2
	v_xor_b32_e32 v6, 2, v38
	v_cmp_lt_i32_e64 s[8:9], v6, v39
	s_waitcnt lgkmcnt(0)
	v_add_f32_e32 v2, v2, v3
	ds_bpermute_b32 v3, v7, v2
	v_cndmask_b32_e64 v6, v38, v6, s[8:9]
	v_lshlrev_b32_e32 v63, 2, v6
	s_waitcnt lgkmcnt(0)
	v_add_f32_e32 v2, v2, v3
	ds_bpermute_b32 v3, v63, v2
	s_waitcnt lgkmcnt(0)
	v_add_f32_e32 v2, v2, v3
	ds_bpermute_b32 v3, v62, v2
	s_waitcnt lgkmcnt(0)
	v_add_f32_e32 v2, v2, v3
	s_and_saveexec_b64 s[8:9], vcc
	s_cbranch_execz .LBB33_22
; %bb.21:
	ds_write_b32 v4, v2 offset:520
.LBB33_22:
	s_or_b64 exec, exec, s[8:9]
	s_waitcnt lgkmcnt(0)
	s_barrier
	s_and_saveexec_b64 s[8:9], s[0:1]
	s_cbranch_execz .LBB33_24
; %bb.23:
	ds_read_b32 v2, v5 offset:520
.LBB33_24:
	s_or_b64 exec, exec, s[8:9]
	s_waitcnt lgkmcnt(0)
	ds_bpermute_b32 v3, v62, v2
	s_waitcnt lgkmcnt(0)
	v_add_f32_e32 v2, v2, v3
	ds_bpermute_b32 v2, v8, v2
	s_and_saveexec_b64 s[0:1], s[6:7]
	s_cbranch_execz .LBB33_37
; %bb.25:
	s_waitcnt lgkmcnt(0)
	v_add_f32_e32 v2, 0x358637bd, v2
	v_div_scale_f32 v3, s[6:7], v2, v2, 1.0
	v_rcp_f32_e32 v4, v3
	v_div_scale_f32 v5, vcc, 1.0, v2, 1.0
	s_movk_i32 s6, 0x7f
	v_fma_f32 v6, -v3, v4, 1.0
	v_fmac_f32_e32 v4, v6, v4
	v_mul_f32_e32 v6, v5, v4
	v_fma_f32 v7, -v3, v6, v5
	v_fmac_f32_e32 v6, v7, v4
	v_fma_f32 v3, -v3, v6, v5
	v_div_fmas_f32 v3, v3, v4, v6
	v_xad_u32 v4, v0, -1, s12
	v_div_fixup_f32 v2, v3, v2, 1.0
	v_cmp_lt_u32_e32 vcc, s6, v4
	s_mov_b64 s[8:9], -1
	v_mov_b32_e32 v3, v0
	s_and_saveexec_b64 s[6:7], vcc
	s_cbranch_execz .LBB33_34
; %bb.26:
	v_lshrrev_b32_e32 v4, 7, v4
	v_add_u32_e32 v6, -1, v4
	v_lshrrev_b32_e32 v5, 1, v6
	v_mov_b32_e32 v3, v2
	v_add_u32_e32 v5, 1, v5
	v_cmp_lt_u32_e32 vcc, 13, v6
	v_mov_b32_e32 v8, 0
	s_and_saveexec_b64 s[8:9], vcc
	s_cbranch_execz .LBB33_30
; %bb.27:
	v_mov_b32_e32 v7, 0x210
	v_and_b32_e32 v6, -8, v5
	v_lshl_add_u32 v7, v0, 2, v7
	s_mov_b32 s15, 0
	s_mov_b64 s[26:27], 0
.LBB33_28:                              ; =>This Inner Loop Header: Depth=1
	ds_read2st64_b32 v[8:9], v7 offset1:2
	ds_read2st64_b32 v[10:11], v7 offset0:4 offset1:6
	ds_read2st64_b32 v[12:13], v7 offset0:8 offset1:10
	;; [unrolled: 1-line block ×3, first 2 shown]
	v_add_u32_e32 v6, -8, v6
	s_waitcnt lgkmcnt(3)
	v_pk_mul_f32 v[8:9], v[2:3], v[8:9]
	s_waitcnt lgkmcnt(2)
	v_pk_mul_f32 v[10:11], v[2:3], v[10:11]
	ds_write2st64_b32 v7, v8, v9 offset1:2
	ds_write2st64_b32 v7, v10, v11 offset0:4 offset1:6
	ds_read2st64_b32 v[10:11], v7 offset0:16 offset1:18
	s_waitcnt lgkmcnt(4)
	v_pk_mul_f32 v[8:9], v[2:3], v[12:13]
	ds_write2st64_b32 v7, v8, v9 offset0:8 offset1:10
	s_waitcnt lgkmcnt(4)
	v_pk_mul_f32 v[8:9], v[2:3], v[14:15]
	ds_write2st64_b32 v7, v8, v9 offset0:12 offset1:14
	ds_read2st64_b32 v[8:9], v7 offset0:20 offset1:22
	s_waitcnt lgkmcnt(3)
	v_pk_mul_f32 v[10:11], v[2:3], v[10:11]
	ds_read2st64_b32 v[12:13], v7 offset0:24 offset1:26
	ds_write2st64_b32 v7, v10, v11 offset0:16 offset1:18
	ds_read2st64_b32 v[10:11], v7 offset0:28 offset1:30
	s_waitcnt lgkmcnt(3)
	v_pk_mul_f32 v[8:9], v[2:3], v[8:9]
	ds_write2st64_b32 v7, v8, v9 offset0:20 offset1:22
	s_waitcnt lgkmcnt(3)
	v_pk_mul_f32 v[8:9], v[2:3], v[12:13]
	ds_write2st64_b32 v7, v8, v9 offset0:24 offset1:26
	s_waitcnt lgkmcnt(2)
	v_pk_mul_f32 v[8:9], v[2:3], v[10:11]
	s_add_i32 s15, s15, 16
	v_cmp_eq_u32_e32 vcc, 0, v6
	ds_write2st64_b32 v7, v8, v9 offset0:28 offset1:30
	v_add_u32_e32 v7, 0x2000, v7
	s_or_b64 s[26:27], vcc, s[26:27]
	v_mov_b32_e32 v8, s15
	s_andn2_b64 exec, exec, s[26:27]
	s_cbranch_execnz .LBB33_28
; %bb.29:
	s_or_b64 exec, exec, s[26:27]
.LBB33_30:
	s_or_b64 exec, exec, s[8:9]
	v_and_b32_e32 v5, 7, v5
	v_cmp_ne_u32_e32 vcc, 0, v5
	s_and_saveexec_b64 s[8:9], vcc
	s_cbranch_execz .LBB33_33
; %bb.31:
	v_lshlrev_b32_e32 v6, 9, v8
	s_movk_i32 s15, 0x210
	v_add3_u32 v6, v6, v46, s15
	s_mov_b64 s[26:27], 0
.LBB33_32:                              ; =>This Inner Loop Header: Depth=1
	ds_read2st64_b32 v[8:9], v6 offset1:2
	v_add_u32_e32 v5, -1, v5
	v_cmp_eq_u32_e32 vcc, 0, v5
	s_or_b64 s[26:27], vcc, s[26:27]
	s_waitcnt lgkmcnt(0)
	v_pk_mul_f32 v[8:9], v[2:3], v[8:9]
	ds_write2st64_b32 v6, v8, v9 offset1:2
	v_add_u32_e32 v6, 0x400, v6
	s_andn2_b64 exec, exec, s[26:27]
	s_cbranch_execnz .LBB33_32
.LBB33_33:
	s_or_b64 exec, exec, s[8:9]
	v_add_u32_e32 v4, 1, v4
	v_and_b32_e32 v5, 0x3fffffe, v4
	v_cmp_ne_u32_e32 vcc, v4, v5
	v_lshl_add_u32 v3, v5, 7, v0
	s_orn2_b64 s[8:9], vcc, exec
.LBB33_34:
	s_or_b64 exec, exec, s[6:7]
	s_and_b64 exec, exec, s[8:9]
	s_cbranch_execz .LBB33_37
; %bb.35:
	v_mov_b32_e32 v4, 0x210
	v_lshl_add_u32 v4, v3, 2, v4
	s_mov_b64 s[6:7], 0
.LBB33_36:                              ; =>This Inner Loop Header: Depth=1
	ds_read_b32 v5, v4
	v_add_u32_e32 v3, 0x80, v3
	v_cmp_le_i32_e32 vcc, s12, v3
	s_or_b64 s[6:7], vcc, s[6:7]
	s_waitcnt lgkmcnt(0)
	v_mul_f32_e32 v5, v2, v5
	ds_write_b32 v4, v5
	v_add_u32_e32 v4, 0x200, v4
	s_andn2_b64 exec, exec, s[6:7]
	s_cbranch_execnz .LBB33_36
.LBB33_37:
	s_or_b64 exec, exec, s[0:1]
	v_mov_b32_e32 v39, 0
	v_mov_b32_e32 v38, 0
	;; [unrolled: 1-line block ×8, first 2 shown]
	s_waitcnt lgkmcnt(0)
	s_barrier
	s_and_saveexec_b64 s[6:7], s[2:3]
	s_cbranch_execz .LBB33_57
; %bb.38:
	s_ashr_i32 s15, s14, 31
	s_lshl_b64 s[0:1], s[14:15], 2
	s_add_u32 s2, s24, s0
	v_and_b32_e32 v3, 12, v46
	s_addc_u32 s3, s25, s1
	s_add_i32 s14, s17, -1
	v_lshlrev_b32_e32 v5, 4, v60
	s_lshl_b64 s[0:1], s[22:23], 2
	v_and_b32_e32 v2, 0xfc, v46
	v_or3_b32 v64, v5, v3, 3
	v_lshlrev_b32_e32 v3, 4, v59
	s_add_u32 s0, s20, s0
	v_mov_b32_e32 v47, 0
	v_or_b32_e32 v4, 0x400, v2
	v_or_b32_e32 v6, 0x500, v2
	;; [unrolled: 1-line block ×4, first 2 shown]
	v_lshl_or_b32 v3, v60, 6, v3
	v_and_b32_e32 v46, 60, v48
	s_addc_u32 s1, s21, s1
	s_mov_b32 s26, s13
	v_add_u32_e32 v65, 0x210, v3
	v_lshl_add_u64 v[48:49], s[0:1], 0, v[46:47]
	s_mov_b64 s[8:9], 0
	v_lshlrev_b32_e32 v50, 2, v2
	v_mov_b32_e32 v51, v47
	v_lshlrev_b32_e32 v46, 2, v4
	v_lshlrev_b32_e32 v52, 2, v6
	;; [unrolled: 1-line block ×4, first 2 shown]
	v_mov_b32_e32 v44, v47
	v_mov_b32_e32 v45, v47
	v_mov_b32_e32 v42, v47
	v_mov_b32_e32 v43, v47
	v_mov_b32_e32 v40, v47
	v_mov_b32_e32 v41, v47
	v_mov_b32_e32 v38, v47
	v_mov_b32_e32 v39, v47
	s_branch .LBB33_40
.LBB33_39:                              ;   in Loop: Header=BB33_40 Depth=1
	s_or_b64 exec, exec, s[0:1]
	s_waitcnt vmcnt(7) lgkmcnt(0)
	v_mul_f32_e32 v7, v3, v7
	v_fmac_f32_e32 v7, v2, v6
	s_waitcnt vmcnt(6)
	v_mul_f32_e32 v6, v3, v11
	v_fmac_f32_e32 v6, v2, v10
	v_fmac_f32_e32 v6, v4, v12
	v_fmac_f32_e32 v6, v5, v13
	v_add_f32_e32 v45, v45, v6
	s_waitcnt vmcnt(5)
	v_mul_f32_e32 v6, v3, v15
	v_fmac_f32_e32 v6, v2, v14
	v_fmac_f32_e32 v6, v4, v16
	v_fmac_f32_e32 v6, v5, v17
	v_add_f32_e32 v42, v42, v6
	;; [unrolled: 6-line block ×5, first 2 shown]
	s_waitcnt vmcnt(1)
	v_mul_f32_e32 v6, v3, v31
	s_waitcnt vmcnt(0)
	v_mul_f32_e32 v3, v3, v35
	v_fmac_f32_e32 v6, v2, v30
	v_fmac_f32_e32 v3, v2, v34
	v_fmac_f32_e32 v7, v4, v8
	v_fmac_f32_e32 v6, v4, v32
	v_fmac_f32_e32 v3, v4, v36
	v_add_u32_e32 v60, 2, v60
	v_fmac_f32_e32 v7, v5, v9
	v_fmac_f32_e32 v6, v5, v33
	;; [unrolled: 1-line block ×3, first 2 shown]
	v_cmp_le_i32_e32 vcc, s17, v60
	v_add_f32_e32 v44, v44, v7
	v_add_f32_e32 v38, v38, v6
	;; [unrolled: 1-line block ×3, first 2 shown]
	v_add_u32_e32 v64, 32, v64
	v_add_u32_e32 v65, 0x80, v65
	s_or_b64 s[8:9], vcc, s[8:9]
	v_lshl_add_u64 v[48:49], v[48:49], 0, 8
	s_andn2_b64 exec, exec, s[8:9]
	s_cbranch_execz .LBB33_56
.LBB33_40:                              ; =>This Inner Loop Header: Depth=1
	global_load_dword v2, v[48:49], off
	v_add_u32_e32 v66, -3, v64
	v_cmp_eq_u32_e32 vcc, s14, v60
	v_add_u32_e32 v68, -2, v64
	v_add_u32_e32 v67, -1, v64
	s_waitcnt vmcnt(0)
	v_mad_i64_i32 v[2:3], s[0:1], v2, s26, 0
	v_lshl_add_u64 v[34:35], v[2:3], 2, s[2:3]
	v_lshl_add_u64 v[18:19], v[34:35], 0, v[50:51]
	global_load_dwordx4 v[6:9], v[18:19], off
	ds_read_b128 v[2:5], v65
	s_and_saveexec_b64 s[12:13], vcc
	s_cbranch_execnz .LBB33_53
; %bb.41:                               ;   in Loop: Header=BB33_40 Depth=1
	s_or_b64 exec, exec, s[12:13]
	global_load_dwordx4 v[10:13], v[18:19], off offset:1024
	s_and_saveexec_b64 s[12:13], vcc
	s_cbranch_execnz .LBB33_54
.LBB33_42:                              ;   in Loop: Header=BB33_40 Depth=1
	s_or_b64 exec, exec, s[12:13]
	global_load_dwordx4 v[14:17], v[18:19], off offset:2048
	s_and_saveexec_b64 s[12:13], vcc
	s_cbranch_execnz .LBB33_55
.LBB33_43:                              ;   in Loop: Header=BB33_40 Depth=1
	s_or_b64 exec, exec, s[12:13]
	global_load_dwordx4 v[18:21], v[18:19], off offset:3072
	s_and_saveexec_b64 s[12:13], vcc
	s_cbranch_execz .LBB33_45
.LBB33_44:                              ;   in Loop: Header=BB33_40 Depth=1
	v_cmp_gt_i32_e64 s[0:1], s33, v66
	s_waitcnt vmcnt(0)
	s_nop 0
	v_cndmask_b32_e64 v18, 0, v18, s[0:1]
	v_cmp_gt_i32_e64 s[0:1], s33, v68
	s_nop 1
	v_cndmask_b32_e64 v19, 0, v19, s[0:1]
	v_cmp_gt_i32_e64 s[0:1], s33, v67
	;; [unrolled: 3-line block ×3, first 2 shown]
	s_nop 1
	v_cndmask_b32_e64 v21, 0, v21, s[0:1]
.LBB33_45:                              ;   in Loop: Header=BB33_40 Depth=1
	s_or_b64 exec, exec, s[12:13]
	v_lshl_add_u64 v[22:23], v[34:35], 0, v[46:47]
	global_load_dwordx4 v[22:25], v[22:23], off
	s_and_saveexec_b64 s[12:13], vcc
	s_cbranch_execz .LBB33_47
; %bb.46:                               ;   in Loop: Header=BB33_40 Depth=1
	v_cmp_gt_i32_e64 s[0:1], s33, v66
	s_waitcnt vmcnt(0)
	s_nop 0
	v_cndmask_b32_e64 v22, 0, v22, s[0:1]
	v_cmp_gt_i32_e64 s[0:1], s33, v68
	s_nop 1
	v_cndmask_b32_e64 v23, 0, v23, s[0:1]
	v_cmp_gt_i32_e64 s[0:1], s33, v67
	s_nop 1
	v_cndmask_b32_e64 v24, 0, v24, s[0:1]
	v_cmp_gt_i32_e64 s[0:1], s33, v64
	s_nop 1
	v_cndmask_b32_e64 v25, 0, v25, s[0:1]
.LBB33_47:                              ;   in Loop: Header=BB33_40 Depth=1
	s_or_b64 exec, exec, s[12:13]
	v_mov_b32_e32 v53, v47
	v_lshl_add_u64 v[26:27], v[34:35], 0, v[52:53]
	global_load_dwordx4 v[26:29], v[26:27], off
	s_and_saveexec_b64 s[12:13], vcc
	s_cbranch_execz .LBB33_49
; %bb.48:                               ;   in Loop: Header=BB33_40 Depth=1
	v_cmp_gt_i32_e64 s[0:1], s33, v66
	s_waitcnt vmcnt(0)
	s_nop 0
	v_cndmask_b32_e64 v26, 0, v26, s[0:1]
	v_cmp_gt_i32_e64 s[0:1], s33, v68
	s_nop 1
	v_cndmask_b32_e64 v27, 0, v27, s[0:1]
	v_cmp_gt_i32_e64 s[0:1], s33, v67
	s_nop 1
	v_cndmask_b32_e64 v28, 0, v28, s[0:1]
	v_cmp_gt_i32_e64 s[0:1], s33, v64
	s_nop 1
	v_cndmask_b32_e64 v29, 0, v29, s[0:1]
.LBB33_49:                              ;   in Loop: Header=BB33_40 Depth=1
	s_or_b64 exec, exec, s[12:13]
	v_mov_b32_e32 v55, v47
	;; [unrolled: 21-line block ×3, first 2 shown]
	v_lshl_add_u64 v[34:35], v[34:35], 0, v[56:57]
	global_load_dwordx4 v[34:37], v[34:35], off
	s_and_saveexec_b64 s[0:1], vcc
	s_cbranch_execz .LBB33_39
; %bb.52:                               ;   in Loop: Header=BB33_40 Depth=1
	v_cmp_gt_i32_e32 vcc, s33, v66
	s_waitcnt vmcnt(0)
	s_nop 0
	v_cndmask_b32_e32 v34, 0, v34, vcc
	v_cmp_gt_i32_e32 vcc, s33, v68
	s_nop 1
	v_cndmask_b32_e32 v35, 0, v35, vcc
	v_cmp_gt_i32_e32 vcc, s33, v67
	;; [unrolled: 3-line block ×3, first 2 shown]
	s_nop 1
	v_cndmask_b32_e32 v37, 0, v37, vcc
	s_branch .LBB33_39
.LBB33_53:                              ;   in Loop: Header=BB33_40 Depth=1
	v_cmp_gt_i32_e64 s[0:1], s33, v66
	s_waitcnt vmcnt(0)
	s_nop 0
	v_cndmask_b32_e64 v6, 0, v6, s[0:1]
	v_cmp_gt_i32_e64 s[0:1], s33, v68
	s_nop 1
	v_cndmask_b32_e64 v7, 0, v7, s[0:1]
	v_cmp_gt_i32_e64 s[0:1], s33, v67
	;; [unrolled: 3-line block ×3, first 2 shown]
	s_nop 1
	v_cndmask_b32_e64 v9, 0, v9, s[0:1]
	s_or_b64 exec, exec, s[12:13]
	global_load_dwordx4 v[10:13], v[18:19], off offset:1024
	s_and_saveexec_b64 s[12:13], vcc
	s_cbranch_execz .LBB33_42
.LBB33_54:                              ;   in Loop: Header=BB33_40 Depth=1
	v_cmp_gt_i32_e64 s[0:1], s33, v66
	s_waitcnt vmcnt(0)
	s_nop 0
	v_cndmask_b32_e64 v10, 0, v10, s[0:1]
	v_cmp_gt_i32_e64 s[0:1], s33, v68
	s_nop 1
	v_cndmask_b32_e64 v11, 0, v11, s[0:1]
	v_cmp_gt_i32_e64 s[0:1], s33, v67
	;; [unrolled: 3-line block ×3, first 2 shown]
	s_nop 1
	v_cndmask_b32_e64 v13, 0, v13, s[0:1]
	s_or_b64 exec, exec, s[12:13]
	global_load_dwordx4 v[14:17], v[18:19], off offset:2048
	s_and_saveexec_b64 s[12:13], vcc
	s_cbranch_execz .LBB33_43
.LBB33_55:                              ;   in Loop: Header=BB33_40 Depth=1
	v_cmp_gt_i32_e64 s[0:1], s33, v66
	s_waitcnt vmcnt(0)
	s_nop 0
	v_cndmask_b32_e64 v14, 0, v14, s[0:1]
	v_cmp_gt_i32_e64 s[0:1], s33, v68
	s_nop 1
	v_cndmask_b32_e64 v15, 0, v15, s[0:1]
	v_cmp_gt_i32_e64 s[0:1], s33, v67
	s_nop 1
	v_cndmask_b32_e64 v16, 0, v16, s[0:1]
	v_cmp_gt_i32_e64 s[0:1], s33, v64
	s_nop 1
	v_cndmask_b32_e64 v17, 0, v17, s[0:1]
	s_or_b64 exec, exec, s[12:13]
	global_load_dwordx4 v[18:21], v[18:19], off offset:3072
	s_and_saveexec_b64 s[12:13], vcc
	s_cbranch_execnz .LBB33_44
	s_branch .LBB33_45
.LBB33_56:
	s_or_b64 exec, exec, s[8:9]
.LBB33_57:
	s_or_b64 exec, exec, s[6:7]
	ds_bpermute_b32 v2, v63, v44
	ds_bpermute_b32 v3, v63, v45
	;; [unrolled: 1-line block ×8, first 2 shown]
	s_waitcnt lgkmcnt(6)
	v_pk_add_f32 v[2:3], v[44:45], v[2:3]
	s_waitcnt lgkmcnt(4)
	v_pk_add_f32 v[4:5], v[42:43], v[4:5]
	ds_bpermute_b32 v6, v62, v2
	ds_bpermute_b32 v7, v62, v3
	;; [unrolled: 1-line block ×4, first 2 shown]
	s_waitcnt lgkmcnt(6)
	v_pk_add_f32 v[14:15], v[40:41], v[8:9]
	s_waitcnt lgkmcnt(4)
	v_pk_add_f32 v[12:13], v[38:39], v[12:13]
	ds_bpermute_b32 v16, v62, v14
	ds_bpermute_b32 v17, v62, v15
	;; [unrolled: 1-line block ×4, first 2 shown]
	s_waitcnt lgkmcnt(6)
	v_pk_add_f32 v[8:9], v[2:3], v[6:7]
	s_waitcnt lgkmcnt(4)
	v_pk_add_f32 v[6:7], v[4:5], v[10:11]
	v_and_b32_e32 v10, 0x3c3, v0
	s_waitcnt lgkmcnt(2)
	v_pk_add_f32 v[2:3], v[14:15], v[16:17]
	s_waitcnt lgkmcnt(0)
	v_pk_add_f32 v[4:5], v[12:13], v[18:19]
	v_cmp_eq_u32_e32 vcc, 64, v10
	s_barrier
	s_and_saveexec_b64 s[0:1], vcc
	s_cbranch_execz .LBB33_59
; %bb.58:
	v_add_u32_e32 v11, 0x210, v61
	ds_write2_b32 v11, v8, v9 offset1:16
	ds_write2_b32 v11, v6, v7 offset0:32 offset1:48
	ds_write2_b32 v11, v2, v3 offset0:64 offset1:80
	;; [unrolled: 1-line block ×3, first 2 shown]
.LBB33_59:
	s_or_b64 exec, exec, s[0:1]
	v_cmp_gt_u32_e32 vcc, 64, v0
	s_waitcnt lgkmcnt(0)
	s_barrier
	s_and_saveexec_b64 s[0:1], vcc
	s_cbranch_execz .LBB33_70
; %bb.60:
	v_cmp_eq_u32_e32 vcc, 0, v59
	s_and_saveexec_b64 s[2:3], vcc
	s_cbranch_execnz .LBB33_73
; %bb.61:
	s_or_b64 exec, exec, s[2:3]
	s_and_saveexec_b64 s[2:3], vcc
	s_cbranch_execnz .LBB33_74
.LBB33_62:
	s_or_b64 exec, exec, s[2:3]
	s_and_saveexec_b64 s[2:3], vcc
	s_cbranch_execnz .LBB33_75
.LBB33_63:
	s_or_b64 exec, exec, s[2:3]
	s_and_saveexec_b64 s[2:3], vcc
	s_cbranch_execnz .LBB33_76
.LBB33_64:
	s_or_b64 exec, exec, s[2:3]
	s_and_saveexec_b64 s[2:3], vcc
	s_cbranch_execnz .LBB33_77
.LBB33_65:
	s_or_b64 exec, exec, s[2:3]
	s_and_saveexec_b64 s[2:3], vcc
	s_cbranch_execnz .LBB33_78
.LBB33_66:
	s_or_b64 exec, exec, s[2:3]
	s_and_saveexec_b64 s[2:3], vcc
	s_cbranch_execnz .LBB33_79
.LBB33_67:
	s_or_b64 exec, exec, s[2:3]
	s_and_saveexec_b64 s[2:3], vcc
	s_cbranch_execz .LBB33_69
.LBB33_68:
	v_mov_b32_e32 v0, 0x210
	v_lshl_add_u32 v0, v58, 2, v0
	ds_read_b32 v0, v0 offset:448
	s_waitcnt lgkmcnt(0)
	v_add_f32_e32 v5, v5, v0
.LBB33_69:
	s_or_b64 exec, exec, s[2:3]
.LBB33_70:
	s_or_b64 exec, exec, s[0:1]
	v_cmp_eq_u32_e32 vcc, 0, v10
	s_barrier
	s_and_saveexec_b64 s[0:1], vcc
	s_cbranch_execz .LBB33_72
; %bb.71:
	s_mul_i32 s0, s10, s11
	s_mul_i32 s0, s0, s5
	s_lshl_b32 s0, s0, 7
	s_ashr_i32 s1, s0, 31
	s_lshl_b64 s[0:1], s[0:1], 2
	s_add_u32 s2, s18, s0
	s_mul_i32 s0, s11, s16
	s_addc_u32 s3, s19, s1
	s_ashr_i32 s1, s0, 31
	s_lshl_b64 s[0:1], s[0:1], 2
	s_add_u32 s2, s2, s0
	s_addc_u32 s3, s3, s1
	s_lshl_b32 s0, s4, 7
	s_ashr_i32 s1, s0, 31
	s_lshl_b64 s[0:1], s[0:1], 2
	s_add_u32 s0, s2, s0
	s_addc_u32 s1, s3, s1
	global_store_dword v1, v8, s[0:1]
	global_store_dword v1, v9, s[0:1] offset:64
	global_store_dword v1, v6, s[0:1] offset:128
	;; [unrolled: 1-line block ×7, first 2 shown]
.LBB33_72:
	s_endpgm
.LBB33_73:
	v_mov_b32_e32 v0, 0x210
	v_lshl_add_u32 v0, v58, 2, v0
	ds_read_b32 v0, v0
	s_waitcnt lgkmcnt(0)
	v_add_f32_e32 v8, v8, v0
	s_or_b64 exec, exec, s[2:3]
	s_and_saveexec_b64 s[2:3], vcc
	s_cbranch_execz .LBB33_62
.LBB33_74:
	v_mov_b32_e32 v0, 0x210
	v_lshl_add_u32 v0, v58, 2, v0
	ds_read_b32 v0, v0 offset:64
	s_waitcnt lgkmcnt(0)
	v_add_f32_e32 v9, v9, v0
	s_or_b64 exec, exec, s[2:3]
	s_and_saveexec_b64 s[2:3], vcc
	s_cbranch_execz .LBB33_63
.LBB33_75:
	v_mov_b32_e32 v0, 0x210
	v_lshl_add_u32 v0, v58, 2, v0
	ds_read_b32 v0, v0 offset:128
	s_waitcnt lgkmcnt(0)
	v_add_f32_e32 v6, v6, v0
	s_or_b64 exec, exec, s[2:3]
	s_and_saveexec_b64 s[2:3], vcc
	s_cbranch_execz .LBB33_64
.LBB33_76:
	v_mov_b32_e32 v0, 0x210
	v_lshl_add_u32 v0, v58, 2, v0
	ds_read_b32 v0, v0 offset:192
	s_waitcnt lgkmcnt(0)
	v_add_f32_e32 v7, v7, v0
	s_or_b64 exec, exec, s[2:3]
	s_and_saveexec_b64 s[2:3], vcc
	s_cbranch_execz .LBB33_65
.LBB33_77:
	v_mov_b32_e32 v0, 0x210
	v_lshl_add_u32 v0, v58, 2, v0
	ds_read_b32 v0, v0 offset:256
	s_waitcnt lgkmcnt(0)
	v_add_f32_e32 v2, v2, v0
	s_or_b64 exec, exec, s[2:3]
	s_and_saveexec_b64 s[2:3], vcc
	s_cbranch_execz .LBB33_66
.LBB33_78:
	v_mov_b32_e32 v0, 0x210
	v_lshl_add_u32 v0, v58, 2, v0
	ds_read_b32 v0, v0 offset:320
	s_waitcnt lgkmcnt(0)
	v_add_f32_e32 v3, v3, v0
	s_or_b64 exec, exec, s[2:3]
	s_and_saveexec_b64 s[2:3], vcc
	s_cbranch_execz .LBB33_67
.LBB33_79:
	v_mov_b32_e32 v0, 0x210
	v_lshl_add_u32 v0, v58, 2, v0
	ds_read_b32 v0, v0 offset:384
	s_waitcnt lgkmcnt(0)
	v_add_f32_e32 v4, v4, v0
	s_or_b64 exec, exec, s[2:3]
	s_and_saveexec_b64 s[2:3], vcc
	s_cbranch_execnz .LBB33_68
	s_branch .LBB33_69
	.section	.rodata,"a",@progbits
	.p2align	6, 0x0
	.amdhsa_kernel _ZN4vllm25paged_attention_v1_kernelIffLi128ELi16ELi128ELNS_18Fp8KVCacheDataTypeE0ELb0EEEvPT_PKS2_PKT0_S8_ifPKiSA_iPKfiiiSC_SC_iiiii
		.amdhsa_group_segment_fixed_size 528
		.amdhsa_private_segment_fixed_size 0
		.amdhsa_kernarg_size 384
		.amdhsa_user_sgpr_count 2
		.amdhsa_user_sgpr_dispatch_ptr 0
		.amdhsa_user_sgpr_queue_ptr 0
		.amdhsa_user_sgpr_kernarg_segment_ptr 1
		.amdhsa_user_sgpr_dispatch_id 0
		.amdhsa_user_sgpr_kernarg_preload_length 0
		.amdhsa_user_sgpr_kernarg_preload_offset 0
		.amdhsa_user_sgpr_private_segment_size 0
		.amdhsa_uses_dynamic_stack 0
		.amdhsa_enable_private_segment 0
		.amdhsa_system_sgpr_workgroup_id_x 1
		.amdhsa_system_sgpr_workgroup_id_y 1
		.amdhsa_system_sgpr_workgroup_id_z 1
		.amdhsa_system_sgpr_workgroup_info 0
		.amdhsa_system_vgpr_workitem_id 0
		.amdhsa_next_free_vgpr 84
		.amdhsa_next_free_sgpr 35
		.amdhsa_accum_offset 84
		.amdhsa_reserve_vcc 1
		.amdhsa_float_round_mode_32 0
		.amdhsa_float_round_mode_16_64 0
		.amdhsa_float_denorm_mode_32 3
		.amdhsa_float_denorm_mode_16_64 3
		.amdhsa_dx10_clamp 1
		.amdhsa_ieee_mode 1
		.amdhsa_fp16_overflow 0
		.amdhsa_tg_split 0
		.amdhsa_exception_fp_ieee_invalid_op 0
		.amdhsa_exception_fp_denorm_src 0
		.amdhsa_exception_fp_ieee_div_zero 0
		.amdhsa_exception_fp_ieee_overflow 0
		.amdhsa_exception_fp_ieee_underflow 0
		.amdhsa_exception_fp_ieee_inexact 0
		.amdhsa_exception_int_div_zero 0
	.end_amdhsa_kernel
	.section	.text._ZN4vllm25paged_attention_v1_kernelIffLi128ELi16ELi128ELNS_18Fp8KVCacheDataTypeE0ELb0EEEvPT_PKS2_PKT0_S8_ifPKiSA_iPKfiiiSC_SC_iiiii,"axG",@progbits,_ZN4vllm25paged_attention_v1_kernelIffLi128ELi16ELi128ELNS_18Fp8KVCacheDataTypeE0ELb0EEEvPT_PKS2_PKT0_S8_ifPKiSA_iPKfiiiSC_SC_iiiii,comdat
.Lfunc_end33:
	.size	_ZN4vllm25paged_attention_v1_kernelIffLi128ELi16ELi128ELNS_18Fp8KVCacheDataTypeE0ELb0EEEvPT_PKS2_PKT0_S8_ifPKiSA_iPKfiiiSC_SC_iiiii, .Lfunc_end33-_ZN4vllm25paged_attention_v1_kernelIffLi128ELi16ELi128ELNS_18Fp8KVCacheDataTypeE0ELb0EEEvPT_PKS2_PKT0_S8_ifPKiSA_iPKfiiiSC_SC_iiiii
                                        ; -- End function
	.section	.AMDGPU.csdata,"",@progbits
; Kernel info:
; codeLenInByte = 5300
; NumSgprs: 41
; NumVgprs: 84
; NumAgprs: 0
; TotalNumVgprs: 84
; ScratchSize: 0
; MemoryBound: 0
; FloatMode: 240
; IeeeMode: 1
; LDSByteSize: 528 bytes/workgroup (compile time only)
; SGPRBlocks: 5
; VGPRBlocks: 10
; NumSGPRsForWavesPerEU: 41
; NumVGPRsForWavesPerEU: 84
; AccumOffset: 84
; Occupancy: 5
; WaveLimiterHint : 1
; COMPUTE_PGM_RSRC2:SCRATCH_EN: 0
; COMPUTE_PGM_RSRC2:USER_SGPR: 2
; COMPUTE_PGM_RSRC2:TRAP_HANDLER: 0
; COMPUTE_PGM_RSRC2:TGID_X_EN: 1
; COMPUTE_PGM_RSRC2:TGID_Y_EN: 1
; COMPUTE_PGM_RSRC2:TGID_Z_EN: 1
; COMPUTE_PGM_RSRC2:TIDIG_COMP_CNT: 0
; COMPUTE_PGM_RSRC3_GFX90A:ACCUM_OFFSET: 20
; COMPUTE_PGM_RSRC3_GFX90A:TG_SPLIT: 0
	.section	.text._ZN4vllm25paged_attention_v1_kernelIffLi192ELi16ELi128ELNS_18Fp8KVCacheDataTypeE0ELb0EEEvPT_PKS2_PKT0_S8_ifPKiSA_iPKfiiiSC_SC_iiiii,"axG",@progbits,_ZN4vllm25paged_attention_v1_kernelIffLi192ELi16ELi128ELNS_18Fp8KVCacheDataTypeE0ELb0EEEvPT_PKS2_PKT0_S8_ifPKiSA_iPKfiiiSC_SC_iiiii,comdat
	.protected	_ZN4vllm25paged_attention_v1_kernelIffLi192ELi16ELi128ELNS_18Fp8KVCacheDataTypeE0ELb0EEEvPT_PKS2_PKT0_S8_ifPKiSA_iPKfiiiSC_SC_iiiii ; -- Begin function _ZN4vllm25paged_attention_v1_kernelIffLi192ELi16ELi128ELNS_18Fp8KVCacheDataTypeE0ELb0EEEvPT_PKS2_PKT0_S8_ifPKiSA_iPKfiiiSC_SC_iiiii
	.globl	_ZN4vllm25paged_attention_v1_kernelIffLi192ELi16ELi128ELNS_18Fp8KVCacheDataTypeE0ELb0EEEvPT_PKS2_PKT0_S8_ifPKiSA_iPKfiiiSC_SC_iiiii
	.p2align	8
	.type	_ZN4vllm25paged_attention_v1_kernelIffLi192ELi16ELi128ELNS_18Fp8KVCacheDataTypeE0ELb0EEEvPT_PKS2_PKT0_S8_ifPKiSA_iPKfiiiSC_SC_iiiii,@function
_ZN4vllm25paged_attention_v1_kernelIffLi192ELi16ELi128ELNS_18Fp8KVCacheDataTypeE0ELb0EEEvPT_PKS2_PKT0_S8_ifPKiSA_iPKfiiiSC_SC_iiiii: ; @_ZN4vllm25paged_attention_v1_kernelIffLi192ELi16ELi128ELNS_18Fp8KVCacheDataTypeE0ELb0EEEvPT_PKS2_PKT0_S8_ifPKiSA_iPKfiiiSC_SC_iiiii
; %bb.0:
	s_load_dword s5, s[0:1], 0x80
	s_load_dwordx2 s[6:7], s[0:1], 0x30
	s_load_dwordx2 s[26:27], s[0:1], 0x20
	s_mov_b32 s16, s3
	s_ashr_i32 s17, s3, 31
	s_lshl_b64 s[8:9], s[16:17], 2
	s_waitcnt lgkmcnt(0)
	s_add_u32 s6, s6, s8
	s_addc_u32 s7, s7, s9
	s_abs_i32 s3, s26
	v_cvt_f32_u32_e32 v1, s3
	s_sub_i32 s10, 0, s3
	s_abs_i32 s9, s5
	s_xor_b32 s8, s5, s26
	v_rcp_iflag_f32_e32 v1, v1
	s_ashr_i32 s8, s8, 31
	s_mov_b32 s26, 0
	v_mul_f32_e32 v1, 0x4f7ffffe, v1
	v_cvt_u32_f32_e32 v1, v1
	s_nop 0
	v_readfirstlane_b32 s11, v1
	s_mul_i32 s10, s10, s11
	s_mul_hi_u32 s10, s11, s10
	s_add_i32 s11, s11, s10
	s_mul_hi_u32 s10, s9, s11
	s_mul_i32 s11, s10, s3
	s_sub_i32 s9, s9, s11
	s_add_i32 s11, s10, 1
	s_sub_i32 s12, s9, s3
	s_cmp_ge_u32 s9, s3
	s_cselect_b32 s10, s11, s10
	s_cselect_b32 s9, s12, s9
	s_add_i32 s11, s10, 1
	s_cmp_ge_u32 s9, s3
	s_cselect_b32 s3, s11, s10
	s_xor_b32 s3, s3, s8
	s_sub_i32 s34, s3, s8
	s_abs_i32 s30, s34
	v_cvt_f32_u32_e32 v1, s30
	s_load_dwordx2 s[8:9], s[0:1], 0x40
	s_sub_i32 s3, 0, s30
	s_abs_i32 s31, s2
	v_rcp_iflag_f32_e32 v1, v1
	s_nop 0
	v_mul_f32_e32 v1, 0x4f7ffffe, v1
	v_cvt_u32_f32_e32 v1, v1
	s_nop 0
	v_readfirstlane_b32 s12, v1
	s_mul_i32 s3, s3, s12
	s_mul_hi_u32 s3, s12, s3
	s_add_i32 s12, s12, s3
	s_waitcnt lgkmcnt(0)
	s_cmp_eq_u64 s[8:9], 0
	s_cbranch_scc1 .LBB34_2
; %bb.1:
	s_ashr_i32 s3, s2, 31
	s_lshl_b64 s[10:11], s[2:3], 2
	s_add_u32 s8, s8, s10
	s_addc_u32 s9, s9, s11
	s_load_dword s26, s[8:9], 0x0
.LBB34_2:
	s_load_dwordx2 s[18:19], s[0:1], 0x0
	s_nop 0
	s_load_dwordx4 s[8:11], s[0:1], 0x10
	s_mul_hi_u32 s3, s31, s12
	s_load_dword s17, s[0:1], 0x88
	s_load_dword s33, s[6:7], 0x0
	s_load_dwordx2 s[22:23], s[0:1], 0x28
	s_load_dwordx4 s[12:15], s[0:1], 0x48
	v_lshrrev_b32_e32 v86, 2, v0
	s_waitcnt lgkmcnt(0)
	s_movk_i32 s15, 0xc0
	s_mul_i32 s20, s2, 0xc0
	v_and_b32_e32 v87, 3, v0
	s_ashr_i32 s21, s20, 31
	v_cmp_gt_u32_e32 vcc, s15, v0
	v_lshlrev_b32_e32 v1, 2, v86
	s_and_saveexec_b64 s[6:7], vcc
	s_cbranch_execz .LBB34_5
; %bb.3:
	s_load_dwordx2 s[24:25], s[0:1], 0x8
	s_mul_i32 s28, s16, s12
	s_ashr_i32 s29, s28, 31
	s_lshl_b64 s[28:29], s[28:29], 2
	s_lshl_b64 s[36:37], s[20:21], 2
	s_add_u32 s12, s28, s36
	v_mad_u32_u24 v5, v87, s15, v1
	s_addc_u32 s15, s29, s37
	v_or_b32_e32 v2, v1, v87
	s_waitcnt lgkmcnt(0)
	s_add_u32 s24, s24, s12
	v_lshlrev_b32_e32 v2, 2, v2
	v_mov_b32_e32 v3, 0
	s_addc_u32 s25, s25, s15
	v_subrev_u32_e32 v4, 32, v86
	v_lshl_add_u64 v[2:3], s[24:25], 0, v[2:3]
	s_mov_b64 s[24:25], 0
	s_mov_b64 s[28:29], 0x200
.LBB34_4:                               ; =>This Inner Loop Header: Depth=1
	global_load_dword v6, v[2:3], off
	v_add_u32_e32 v4, 32, v4
	v_cmp_lt_u32_e32 vcc, 15, v4
	v_lshl_add_u64 v[2:3], v[2:3], 0, s[28:29]
	s_or_b64 s[24:25], vcc, s[24:25]
	s_waitcnt vmcnt(0)
	ds_write_b32 v5, v6
	v_add_u32_e32 v5, 0x80, v5
	s_andn2_b64 exec, exec, s[24:25]
	s_cbranch_execnz .LBB34_4
.LBB34_5:
	s_or_b64 exec, exec, s[6:7]
	s_load_dword s0, s[0:1], 0x38
	s_add_i32 s1, s33, 15
	s_ashr_i32 s7, s1, 31
	s_lshr_b32 s7, s7, 28
	s_ashr_i32 s2, s2, 31
	s_ashr_i32 s6, s34, 31
	s_add_i32 s1, s1, s7
	s_ashr_i32 s12, s1, 4
	s_xor_b32 s1, s2, s6
	s_mul_i32 s2, s3, s30
	s_sub_i32 s2, s31, s2
	s_add_i32 s6, s3, 1
	s_sub_i32 s7, s2, s30
	s_cmp_ge_u32 s2, s30
	s_cselect_b32 s3, s6, s3
	s_cselect_b32 s2, s7, s2
	s_add_i32 s6, s3, 1
	s_cmp_ge_u32 s2, s30
	s_cselect_b32 s2, s6, s3
	v_lshrrev_b32_e32 v88, 6, v0
	s_xor_b32 s2, s2, s1
	s_waitcnt lgkmcnt(0)
	s_mul_i32 s24, s16, s0
	s_sub_i32 s6, s2, s1
	s_ashr_i32 s25, s24, 31
	v_cmp_gt_i32_e64 s[0:1], s12, v88
	v_cmp_le_i32_e32 vcc, s12, v88
	v_mbcnt_lo_u32_b32 v42, -1, 0
	s_barrier
	s_waitcnt lgkmcnt(0)
                                        ; implicit-def: $sgpr7
                                        ; implicit-def: $vgpr54
                                        ; implicit-def: $vgpr55
	s_and_saveexec_b64 s[2:3], vcc
	s_xor_b64 s[2:3], exec, s[2:3]
; %bb.6:
	v_mbcnt_hi_u32_b32 v54, -1, v42
	v_and_b32_e32 v2, 64, v54
	v_add_u32_e32 v55, 64, v2
	s_mov_b32 s7, 0xff7fffff
                                        ; implicit-def: $vgpr42
; %bb.7:
	s_or_saveexec_b64 s[28:29], s[2:3]
	v_mov_b32_e32 v57, s7
	s_mul_i32 s14, s6, s14
	v_lshrrev_b32_e32 v66, 4, v0
	s_xor_b64 exec, exec, s[28:29]
	s_cbranch_execz .LBB34_13
; %bb.8:
	s_ashr_i32 s15, s14, 31
	s_lshl_b64 s[2:3], s[14:15], 2
	v_bfe_u32 v43, v0, 2, 4
	s_add_u32 s2, s8, s2
	s_addc_u32 s3, s9, s3
	v_lshlrev_b32_e32 v44, 4, v43
	v_mov_b32_e32 v45, 0
	v_lshl_add_u64 v[2:3], s[2:3], 0, v[44:45]
	v_lshlrev_b32_e32 v44, 2, v87
	v_mul_u32_u24_e32 v47, 0xc0, v87
	v_mbcnt_hi_u32_b32 v54, -1, v42
	v_lshl_add_u64 v[50:51], v[2:3], 0, v[44:45]
	ds_read_b128 v[2:5], v47
	ds_read_b128 v[6:9], v47 offset:16
	ds_read_b128 v[10:13], v47 offset:32
	;; [unrolled: 1-line block ×9, first 2 shown]
	v_and_b32_e32 v42, 64, v54
	v_add_u32_e32 v55, 64, v42
	v_xor_b32_e32 v42, 2, v54
	v_cmp_lt_i32_e32 vcc, v42, v55
	s_sub_i32 s15, 1, s33
	s_lshl_b64 s[6:7], s[24:25], 2
	v_cndmask_b32_e32 v42, v54, v42, vcc
	v_lshlrev_b32_e32 v56, 2, v42
	v_xor_b32_e32 v42, 1, v54
	v_cmp_lt_i32_e32 vcc, v42, v55
	v_lshlrev_b32_e32 v46, 2, v43
	s_add_u32 s6, s22, s6
	v_cndmask_b32_e32 v42, v54, v42, vcc
	v_lshlrev_b32_e32 v58, 2, v42
	v_lshl_or_b32 v42, v88, 6, v46
	v_and_b32_e32 v44, 60, v66
	s_addc_u32 s7, s23, s7
	v_lshl_or_b32 v59, v88, 4, v43
	v_add_u32_e32 v60, 0x310, v42
	v_lshl_add_u64 v[52:53], s[6:7], 0, v[44:45]
	ds_read_b128 v[42:45], v47 offset:160
	ds_read_b128 v[46:49], v47 offset:176
	s_mov_b32 s21, s13
	v_cmp_eq_u32_e32 vcc, 0, v87
	v_cmp_neq_f32_e64 s[2:3], s26, 0
	s_mov_b64 s[8:9], 0
	v_mov_b32_e32 v57, 0xff7fffff
	s_movk_i32 s34, 0x1000
	s_movk_i32 s35, 0x2000
	v_mov_b32_e32 v61, v88
	s_branch .LBB34_10
.LBB34_9:                               ;   in Loop: Header=BB34_10 Depth=1
	s_or_b64 exec, exec, s[30:31]
	v_add_u32_e32 v61, 2, v61
	v_cmp_le_i32_e64 s[6:7], s12, v61
	v_add_u32_e32 v59, 32, v59
	v_add_u32_e32 v60, 0x80, v60
	s_or_b64 s[8:9], s[6:7], s[8:9]
	v_lshl_add_u64 v[52:53], v[52:53], 0, 8
	s_andn2_b64 exec, exec, s[8:9]
	s_cbranch_execz .LBB34_12
.LBB34_10:                              ; =>This Inner Loop Header: Depth=1
	global_load_dword v62, v[52:53], off
	s_waitcnt vmcnt(0) lgkmcnt(0)
	v_mad_i64_i32 v[62:63], s[6:7], v62, s21, 0
	v_lshl_add_u64 v[62:63], v[62:63], 2, v[50:51]
	global_load_dword v67, v[62:63], off
	global_load_dword v68, v[62:63], off offset:256
	global_load_dword v69, v[62:63], off offset:512
	;; [unrolled: 1-line block ×15, first 2 shown]
	v_add_co_u32_e64 v64, s[6:7], s34, v62
	s_nop 1
	v_addc_co_u32_e64 v65, s[6:7], 0, v63, s[6:7]
	v_add_co_u32_e64 v62, s[6:7], s35, v62
	s_nop 1
	v_addc_co_u32_e64 v63, s[6:7], 0, v63, s[6:7]
	global_load_dword v83, v[62:63], off offset:-4096
	global_load_dword v84, v[64:65], off offset:256
	global_load_dword v85, v[64:65], off offset:512
	;; [unrolled: 1-line block ×14, first 2 shown]
	s_nop 0
	global_load_dword v64, v[64:65], off offset:3840
	s_nop 0
	global_load_dword v65, v[62:63], off
	global_load_dword v101, v[62:63], off offset:256
	global_load_dword v102, v[62:63], off offset:512
	;; [unrolled: 1-line block ×14, first 2 shown]
	s_nop 0
	global_load_dword v62, v[62:63], off offset:3840
	s_waitcnt vmcnt(46) lgkmcnt(11)
	v_mul_f32_e32 v63, v3, v68
	v_fmac_f32_e32 v63, v2, v67
	s_waitcnt vmcnt(45)
	v_fmac_f32_e32 v63, v4, v69
	s_waitcnt vmcnt(44)
	v_fmac_f32_e32 v63, v5, v70
	s_waitcnt vmcnt(43) lgkmcnt(10)
	v_fmac_f32_e32 v63, v6, v71
	s_waitcnt vmcnt(42)
	v_fmac_f32_e32 v63, v7, v72
	s_waitcnt vmcnt(41)
	v_fmac_f32_e32 v63, v8, v73
	s_waitcnt vmcnt(40)
	v_fmac_f32_e32 v63, v9, v74
	s_waitcnt vmcnt(39) lgkmcnt(9)
	v_fmac_f32_e32 v63, v10, v75
	s_waitcnt vmcnt(38)
	;; [unrolled: 8-line block ×11, first 2 shown]
	v_fmac_f32_e32 v63, v47, v113
	s_waitcnt vmcnt(1)
	v_fmac_f32_e32 v63, v48, v114
	s_waitcnt vmcnt(0)
	v_fmac_f32_e32 v63, v49, v62
	ds_bpermute_b32 v62, v56, v63
	s_waitcnt lgkmcnt(0)
	v_add_f32_e32 v62, v63, v62
	ds_bpermute_b32 v63, v58, v62
	s_and_saveexec_b64 s[30:31], vcc
	s_cbranch_execz .LBB34_9
; %bb.11:                               ;   in Loop: Header=BB34_10 Depth=1
	v_add_u32_e32 v64, s15, v59
	v_cvt_f32_i32_e32 v64, v64
	s_waitcnt lgkmcnt(0)
	v_add_f32_e32 v62, v62, v63
	v_cmp_gt_i32_e64 s[6:7], s33, v59
	v_max_f32_e32 v63, v57, v57
	v_mul_f32_e32 v64, s26, v64
	v_cndmask_b32_e64 v64, 0, v64, s[2:3]
	v_fmac_f32_e32 v64, s27, v62
	v_cndmask_b32_e64 v62, 0, v64, s[6:7]
	ds_write_b32 v60, v62
	v_max_f32_e32 v62, v63, v64
	v_cndmask_b32_e64 v57, v57, v62, s[6:7]
	s_branch .LBB34_9
.LBB34_12:
	s_or_b64 exec, exec, s[8:9]
.LBB34_13:
	s_or_b64 exec, exec, s[28:29]
	v_xor_b32_e32 v2, 32, v54
	v_cmp_lt_i32_e32 vcc, v2, v55
	v_xor_b32_e32 v5, 16, v54
	v_max_f32_e32 v4, v57, v57
	v_cndmask_b32_e32 v2, v54, v2, vcc
	v_lshlrev_b32_e32 v2, 2, v2
	ds_bpermute_b32 v3, v2, v57
	v_cmp_lt_i32_e32 vcc, v5, v55
	v_xor_b32_e32 v6, 8, v54
	v_xor_b32_e32 v7, 4, v54
	v_and_b32_e32 v89, 63, v0
	s_waitcnt lgkmcnt(0)
	v_max_f32_e32 v3, v3, v3
	v_max_f32_e32 v4, v4, v3
	v_cndmask_b32_e32 v3, v54, v5, vcc
	v_lshlrev_b32_e32 v3, 2, v3
	ds_bpermute_b32 v5, v3, v4
	v_cmp_lt_i32_e32 vcc, v6, v55
	s_waitcnt lgkmcnt(0)
	v_max_f32_e32 v5, v5, v5
	v_max_f32_e32 v4, v4, v5
	v_cndmask_b32_e32 v5, v54, v6, vcc
	v_lshlrev_b32_e32 v6, 2, v5
	ds_bpermute_b32 v5, v6, v4
	v_cmp_lt_i32_e32 vcc, v7, v55
	s_waitcnt lgkmcnt(0)
	v_max_f32_e32 v5, v5, v5
	v_max_f32_e32 v5, v4, v5
	v_cndmask_b32_e32 v4, v54, v7, vcc
	v_lshlrev_b32_e32 v7, 2, v4
	ds_bpermute_b32 v8, v7, v5
	v_cmp_eq_u32_e32 vcc, 0, v89
	v_lshlrev_b32_e32 v4, 2, v88
	s_and_saveexec_b64 s[2:3], vcc
	s_cbranch_execz .LBB34_15
; %bb.14:
	s_waitcnt lgkmcnt(0)
	v_max_f32_e32 v8, v8, v8
	v_max_f32_e32 v5, v5, v5
	;; [unrolled: 1-line block ×3, first 2 shown]
	ds_write_b32 v4, v5 offset:768
.LBB34_15:
	s_or_b64 exec, exec, s[2:3]
	v_cmp_gt_u32_e64 s[2:3], 2, v89
	s_waitcnt lgkmcnt(0)
	v_mov_b32_e32 v8, 0xff7fffff
	v_lshlrev_b32_e32 v5, 2, v89
	s_barrier
	s_and_saveexec_b64 s[6:7], s[2:3]
	s_cbranch_execz .LBB34_17
; %bb.16:
	ds_read_b32 v8, v5 offset:768
.LBB34_17:
	s_or_b64 exec, exec, s[6:7]
	v_xor_b32_e32 v9, 1, v54
	v_cmp_lt_i32_e64 s[6:7], v9, v55
	v_lshlrev_b32_e32 v10, 2, v54
	s_nop 0
	v_cndmask_b32_e64 v9, v54, v9, s[6:7]
	v_lshlrev_b32_e32 v90, 2, v9
	s_waitcnt lgkmcnt(0)
	ds_bpermute_b32 v9, v90, v8
	v_max_f32_e32 v8, v8, v8
	s_lshl_b32 s6, s12, 4
	s_min_i32 s15, s6, s33
	v_cmp_gt_i32_e64 s[6:7], s15, v0
	s_waitcnt lgkmcnt(0)
	v_max_f32_e32 v9, v9, v9
	v_max_f32_e32 v9, v8, v9
	v_and_b32_e32 v8, 0xffffff00, v10
	ds_bpermute_b32 v10, v8, v9
	v_mov_b32_e32 v9, 0
	s_and_saveexec_b64 s[26:27], s[6:7]
	s_cbranch_execz .LBB34_21
; %bb.18:
	v_mov_b32_e32 v9, 0x310
	v_lshl_add_u32 v11, v0, 2, v9
	s_mov_b64 s[28:29], 0
	v_mov_b32_e32 v9, 0
	v_mov_b32_e32 v12, v0
.LBB34_19:                              ; =>This Inner Loop Header: Depth=1
	ds_read_b32 v13, v11
	v_add_u32_e32 v12, 0x80, v12
	v_cmp_le_i32_e64 s[8:9], s15, v12
	s_or_b64 s[28:29], s[8:9], s[28:29]
	s_waitcnt lgkmcnt(0)
	v_sub_f32_e32 v13, v13, v10
	v_mul_f32_e32 v13, 0x3fb8aa3b, v13
	v_exp_f32_e32 v13, v13
	ds_write_b32 v11, v13
	v_add_f32_e32 v9, v9, v13
	v_add_u32_e32 v11, 0x200, v11
	s_andn2_b64 exec, exec, s[28:29]
	s_cbranch_execnz .LBB34_19
; %bb.20:
	s_or_b64 exec, exec, s[28:29]
.LBB34_21:
	s_or_b64 exec, exec, s[26:27]
	ds_bpermute_b32 v2, v2, v9
	s_waitcnt lgkmcnt(0)
	v_add_f32_e32 v2, v9, v2
	ds_bpermute_b32 v3, v3, v2
	s_waitcnt lgkmcnt(0)
	v_add_f32_e32 v2, v2, v3
	ds_bpermute_b32 v3, v6, v2
	v_xor_b32_e32 v6, 2, v54
	v_cmp_lt_i32_e64 s[8:9], v6, v55
	s_waitcnt lgkmcnt(0)
	v_add_f32_e32 v2, v2, v3
	ds_bpermute_b32 v3, v7, v2
	v_cndmask_b32_e64 v6, v54, v6, s[8:9]
	v_lshlrev_b32_e32 v91, 2, v6
	s_waitcnt lgkmcnt(0)
	v_add_f32_e32 v2, v2, v3
	ds_bpermute_b32 v3, v91, v2
	s_waitcnt lgkmcnt(0)
	v_add_f32_e32 v2, v2, v3
	ds_bpermute_b32 v3, v90, v2
	s_waitcnt lgkmcnt(0)
	v_add_f32_e32 v2, v2, v3
	s_and_saveexec_b64 s[8:9], vcc
	s_cbranch_execz .LBB34_23
; %bb.22:
	ds_write_b32 v4, v2 offset:776
.LBB34_23:
	s_or_b64 exec, exec, s[8:9]
	s_waitcnt lgkmcnt(0)
	s_barrier
	s_and_saveexec_b64 s[8:9], s[2:3]
	s_cbranch_execz .LBB34_25
; %bb.24:
	ds_read_b32 v2, v5 offset:776
.LBB34_25:
	s_or_b64 exec, exec, s[8:9]
	s_waitcnt lgkmcnt(0)
	ds_bpermute_b32 v3, v90, v2
	s_waitcnt lgkmcnt(0)
	v_add_f32_e32 v2, v2, v3
	ds_bpermute_b32 v2, v8, v2
	s_and_saveexec_b64 s[2:3], s[6:7]
	s_cbranch_execz .LBB34_38
; %bb.26:
	s_waitcnt lgkmcnt(0)
	v_add_f32_e32 v2, 0x358637bd, v2
	v_div_scale_f32 v3, s[6:7], v2, v2, 1.0
	v_rcp_f32_e32 v4, v3
	v_div_scale_f32 v5, vcc, 1.0, v2, 1.0
	s_movk_i32 s6, 0x7f
	v_fma_f32 v6, -v3, v4, 1.0
	v_fmac_f32_e32 v4, v6, v4
	v_mul_f32_e32 v6, v5, v4
	v_fma_f32 v7, -v3, v6, v5
	v_fmac_f32_e32 v6, v7, v4
	v_fma_f32 v3, -v3, v6, v5
	v_div_fmas_f32 v3, v3, v4, v6
	v_xad_u32 v4, v0, -1, s15
	v_div_fixup_f32 v2, v3, v2, 1.0
	v_cmp_lt_u32_e32 vcc, s6, v4
	s_mov_b64 s[8:9], -1
	v_mov_b32_e32 v3, v0
	s_and_saveexec_b64 s[6:7], vcc
	s_cbranch_execz .LBB34_35
; %bb.27:
	v_lshrrev_b32_e32 v4, 7, v4
	v_add_u32_e32 v6, -1, v4
	v_lshrrev_b32_e32 v5, 1, v6
	v_mov_b32_e32 v3, v2
	v_add_u32_e32 v5, 1, v5
	v_cmp_lt_u32_e32 vcc, 13, v6
	v_mov_b32_e32 v8, 0
	s_and_saveexec_b64 s[8:9], vcc
	s_cbranch_execz .LBB34_31
; %bb.28:
	v_mov_b32_e32 v7, 0x310
	v_and_b32_e32 v6, -8, v5
	v_lshl_add_u32 v7, v0, 2, v7
	s_mov_b32 s21, 0
	s_mov_b64 s[26:27], 0
.LBB34_29:                              ; =>This Inner Loop Header: Depth=1
	ds_read2st64_b32 v[8:9], v7 offset1:2
	ds_read2st64_b32 v[10:11], v7 offset0:4 offset1:6
	ds_read2st64_b32 v[12:13], v7 offset0:8 offset1:10
	;; [unrolled: 1-line block ×3, first 2 shown]
	v_add_u32_e32 v6, -8, v6
	s_waitcnt lgkmcnt(3)
	v_pk_mul_f32 v[8:9], v[2:3], v[8:9]
	s_waitcnt lgkmcnt(2)
	v_pk_mul_f32 v[10:11], v[2:3], v[10:11]
	ds_write2st64_b32 v7, v8, v9 offset1:2
	ds_write2st64_b32 v7, v10, v11 offset0:4 offset1:6
	ds_read2st64_b32 v[10:11], v7 offset0:16 offset1:18
	s_waitcnt lgkmcnt(4)
	v_pk_mul_f32 v[8:9], v[2:3], v[12:13]
	ds_write2st64_b32 v7, v8, v9 offset0:8 offset1:10
	s_waitcnt lgkmcnt(4)
	v_pk_mul_f32 v[8:9], v[2:3], v[14:15]
	ds_write2st64_b32 v7, v8, v9 offset0:12 offset1:14
	ds_read2st64_b32 v[8:9], v7 offset0:20 offset1:22
	s_waitcnt lgkmcnt(3)
	v_pk_mul_f32 v[10:11], v[2:3], v[10:11]
	ds_read2st64_b32 v[12:13], v7 offset0:24 offset1:26
	ds_write2st64_b32 v7, v10, v11 offset0:16 offset1:18
	ds_read2st64_b32 v[10:11], v7 offset0:28 offset1:30
	s_waitcnt lgkmcnt(3)
	v_pk_mul_f32 v[8:9], v[2:3], v[8:9]
	ds_write2st64_b32 v7, v8, v9 offset0:20 offset1:22
	s_waitcnt lgkmcnt(3)
	v_pk_mul_f32 v[8:9], v[2:3], v[12:13]
	ds_write2st64_b32 v7, v8, v9 offset0:24 offset1:26
	s_waitcnt lgkmcnt(2)
	v_pk_mul_f32 v[8:9], v[2:3], v[10:11]
	s_add_i32 s21, s21, 16
	v_cmp_eq_u32_e32 vcc, 0, v6
	ds_write2st64_b32 v7, v8, v9 offset0:28 offset1:30
	v_add_u32_e32 v7, 0x2000, v7
	s_or_b64 s[26:27], vcc, s[26:27]
	v_mov_b32_e32 v8, s21
	s_andn2_b64 exec, exec, s[26:27]
	s_cbranch_execnz .LBB34_29
; %bb.30:
	s_or_b64 exec, exec, s[26:27]
.LBB34_31:
	s_or_b64 exec, exec, s[8:9]
	v_and_b32_e32 v5, 7, v5
	v_cmp_ne_u32_e32 vcc, 0, v5
	s_and_saveexec_b64 s[8:9], vcc
	s_cbranch_execz .LBB34_34
; %bb.32:
	v_lshlrev_b32_e32 v6, 9, v8
	v_lshlrev_b32_e32 v7, 2, v0
	s_movk_i32 s21, 0x310
	v_add3_u32 v6, v6, v7, s21
	s_mov_b64 s[26:27], 0
.LBB34_33:                              ; =>This Inner Loop Header: Depth=1
	ds_read2st64_b32 v[8:9], v6 offset1:2
	v_add_u32_e32 v5, -1, v5
	v_cmp_eq_u32_e32 vcc, 0, v5
	s_or_b64 s[26:27], vcc, s[26:27]
	s_waitcnt lgkmcnt(0)
	v_pk_mul_f32 v[8:9], v[2:3], v[8:9]
	ds_write2st64_b32 v6, v8, v9 offset1:2
	v_add_u32_e32 v6, 0x400, v6
	s_andn2_b64 exec, exec, s[26:27]
	s_cbranch_execnz .LBB34_33
.LBB34_34:
	s_or_b64 exec, exec, s[8:9]
	v_add_u32_e32 v4, 1, v4
	v_and_b32_e32 v5, 0x3fffffe, v4
	v_cmp_ne_u32_e32 vcc, v4, v5
	v_lshl_add_u32 v3, v5, 7, v0
	s_orn2_b64 s[8:9], vcc, exec
.LBB34_35:
	s_or_b64 exec, exec, s[6:7]
	s_and_b64 exec, exec, s[8:9]
	s_cbranch_execz .LBB34_38
; %bb.36:
	v_mov_b32_e32 v4, 0x310
	v_lshl_add_u32 v4, v3, 2, v4
	s_mov_b64 s[6:7], 0
.LBB34_37:                              ; =>This Inner Loop Header: Depth=1
	ds_read_b32 v5, v4
	v_add_u32_e32 v3, 0x80, v3
	v_cmp_le_i32_e32 vcc, s15, v3
	s_or_b64 s[6:7], vcc, s[6:7]
	s_waitcnt lgkmcnt(0)
	v_mul_f32_e32 v5, v2, v5
	ds_write_b32 v4, v5
	v_add_u32_e32 v4, 0x200, v4
	s_andn2_b64 exec, exec, s[6:7]
	s_cbranch_execnz .LBB34_37
.LBB34_38:
	s_or_b64 exec, exec, s[2:3]
	v_mov_b32_e32 v55, 0
	v_mov_b32_e32 v54, 0
	;; [unrolled: 1-line block ×12, first 2 shown]
	s_waitcnt lgkmcnt(0)
	s_barrier
	s_and_saveexec_b64 s[2:3], s[0:1]
	s_cbranch_execz .LBB34_66
; %bb.39:
	s_ashr_i32 s15, s14, 31
	s_lshl_b64 s[0:1], s[14:15], 2
	v_lshlrev_b32_e32 v2, 2, v0
	s_add_u32 s6, s10, s0
	v_and_b32_e32 v3, 12, v2
	s_addc_u32 s7, s11, s1
	s_add_i32 s14, s12, -1
	v_lshlrev_b32_e32 v5, 4, v88
	s_lshl_b64 s[0:1], s[24:25], 2
	v_and_b32_e32 v2, 0xfc, v2
	v_or3_b32 v92, v5, v3, 3
	v_lshlrev_b32_e32 v3, 4, v87
	s_add_u32 s0, s22, s0
	v_mov_b32_e32 v67, 0
	v_or_b32_e32 v4, 0x400, v2
	v_or_b32_e32 v6, 0x500, v2
	;; [unrolled: 1-line block ×8, first 2 shown]
	v_lshl_or_b32 v3, v88, 6, v3
	v_and_b32_e32 v66, 60, v66
	s_addc_u32 s1, s23, s1
	v_add_u32_e32 v93, 0x310, v3
	v_lshl_add_u64 v[68:69], s[0:1], 0, v[66:67]
	s_mov_b64 s[8:9], 0
	v_lshlrev_b32_e32 v70, 2, v2
	v_mov_b32_e32 v71, v67
	v_lshlrev_b32_e32 v66, 2, v4
	v_lshlrev_b32_e32 v72, 2, v6
	;; [unrolled: 1-line block ×8, first 2 shown]
	v_mov_b32_e32 v55, v67
	v_mov_b32_e32 v54, v67
	;; [unrolled: 1-line block ×12, first 2 shown]
	s_branch .LBB34_41
.LBB34_40:                              ;   in Loop: Header=BB34_41 Depth=1
	s_or_b64 exec, exec, s[0:1]
	s_waitcnt vmcnt(1) lgkmcnt(0)
	v_mul_f32_e32 v51, v3, v51
	v_mul_f32_e32 v47, v3, v47
	;; [unrolled: 1-line block ×11, first 2 shown]
	s_waitcnt vmcnt(0)
	v_mul_f32_e32 v3, v3, v43
	v_fmac_f32_e32 v51, v2, v50
	v_fmac_f32_e32 v47, v2, v46
	;; [unrolled: 1-line block ×24, first 2 shown]
	v_add_u32_e32 v88, 2, v88
	v_fmac_f32_e32 v51, v5, v53
	v_fmac_f32_e32 v47, v5, v49
	;; [unrolled: 1-line block ×12, first 2 shown]
	v_cmp_le_i32_e32 vcc, s12, v88
	v_add_f32_e32 v54, v54, v51
	v_add_f32_e32 v57, v57, v47
	;; [unrolled: 1-line block ×12, first 2 shown]
	v_add_u32_e32 v92, 32, v92
	v_add_u32_e32 v93, 0x80, v93
	s_or_b64 s[8:9], vcc, s[8:9]
	v_lshl_add_u64 v[68:69], v[68:69], 0, 8
	s_andn2_b64 exec, exec, s[8:9]
	s_cbranch_execz .LBB34_65
.LBB34_41:                              ; =>This Inner Loop Header: Depth=1
	global_load_dword v2, v[68:69], off
	v_add_u32_e32 v94, -3, v92
	v_cmp_eq_u32_e32 vcc, s14, v88
	v_add_u32_e32 v96, -2, v92
	v_add_u32_e32 v95, -1, v92
	s_waitcnt vmcnt(0)
	v_mad_i64_i32 v[2:3], s[0:1], v2, s13, 0
	v_lshl_add_u64 v[42:43], v[2:3], 2, s[6:7]
	v_lshl_add_u64 v[18:19], v[42:43], 0, v[70:71]
	global_load_dwordx4 v[6:9], v[18:19], off
	ds_read_b128 v[2:5], v93
	s_and_saveexec_b64 s[10:11], vcc
	s_cbranch_execnz .LBB34_62
; %bb.42:                               ;   in Loop: Header=BB34_41 Depth=1
	s_or_b64 exec, exec, s[10:11]
	global_load_dwordx4 v[10:13], v[18:19], off offset:1024
	s_and_saveexec_b64 s[10:11], vcc
	s_cbranch_execnz .LBB34_63
.LBB34_43:                              ;   in Loop: Header=BB34_41 Depth=1
	s_or_b64 exec, exec, s[10:11]
	global_load_dwordx4 v[14:17], v[18:19], off offset:2048
	s_and_saveexec_b64 s[10:11], vcc
	s_cbranch_execnz .LBB34_64
.LBB34_44:                              ;   in Loop: Header=BB34_41 Depth=1
	s_or_b64 exec, exec, s[10:11]
	global_load_dwordx4 v[18:21], v[18:19], off offset:3072
	s_and_saveexec_b64 s[10:11], vcc
	s_cbranch_execz .LBB34_46
.LBB34_45:                              ;   in Loop: Header=BB34_41 Depth=1
	v_cmp_gt_i32_e64 s[0:1], s33, v94
	s_waitcnt vmcnt(0)
	s_nop 0
	v_cndmask_b32_e64 v18, 0, v18, s[0:1]
	v_cmp_gt_i32_e64 s[0:1], s33, v96
	s_nop 1
	v_cndmask_b32_e64 v19, 0, v19, s[0:1]
	v_cmp_gt_i32_e64 s[0:1], s33, v95
	s_nop 1
	v_cndmask_b32_e64 v20, 0, v20, s[0:1]
	v_cmp_gt_i32_e64 s[0:1], s33, v92
	s_nop 1
	v_cndmask_b32_e64 v21, 0, v21, s[0:1]
.LBB34_46:                              ;   in Loop: Header=BB34_41 Depth=1
	s_or_b64 exec, exec, s[10:11]
	v_lshl_add_u64 v[22:23], v[42:43], 0, v[66:67]
	global_load_dwordx4 v[22:25], v[22:23], off
	s_and_saveexec_b64 s[10:11], vcc
	s_cbranch_execz .LBB34_48
; %bb.47:                               ;   in Loop: Header=BB34_41 Depth=1
	v_cmp_gt_i32_e64 s[0:1], s33, v94
	s_waitcnt vmcnt(0)
	s_nop 0
	v_cndmask_b32_e64 v22, 0, v22, s[0:1]
	v_cmp_gt_i32_e64 s[0:1], s33, v96
	s_nop 1
	v_cndmask_b32_e64 v23, 0, v23, s[0:1]
	v_cmp_gt_i32_e64 s[0:1], s33, v95
	s_nop 1
	v_cndmask_b32_e64 v24, 0, v24, s[0:1]
	v_cmp_gt_i32_e64 s[0:1], s33, v92
	s_nop 1
	v_cndmask_b32_e64 v25, 0, v25, s[0:1]
.LBB34_48:                              ;   in Loop: Header=BB34_41 Depth=1
	s_or_b64 exec, exec, s[10:11]
	v_mov_b32_e32 v73, v67
	v_lshl_add_u64 v[26:27], v[42:43], 0, v[72:73]
	global_load_dwordx4 v[26:29], v[26:27], off
	s_and_saveexec_b64 s[10:11], vcc
	s_cbranch_execz .LBB34_50
; %bb.49:                               ;   in Loop: Header=BB34_41 Depth=1
	v_cmp_gt_i32_e64 s[0:1], s33, v94
	s_waitcnt vmcnt(0)
	s_nop 0
	v_cndmask_b32_e64 v26, 0, v26, s[0:1]
	v_cmp_gt_i32_e64 s[0:1], s33, v96
	s_nop 1
	v_cndmask_b32_e64 v27, 0, v27, s[0:1]
	v_cmp_gt_i32_e64 s[0:1], s33, v95
	s_nop 1
	v_cndmask_b32_e64 v28, 0, v28, s[0:1]
	v_cmp_gt_i32_e64 s[0:1], s33, v92
	s_nop 1
	v_cndmask_b32_e64 v29, 0, v29, s[0:1]
.LBB34_50:                              ;   in Loop: Header=BB34_41 Depth=1
	s_or_b64 exec, exec, s[10:11]
	v_mov_b32_e32 v75, v67
	;; [unrolled: 21-line block ×7, first 2 shown]
	v_lshl_add_u64 v[42:43], v[42:43], 0, v[84:85]
	global_load_dwordx4 v[42:45], v[42:43], off
	s_and_saveexec_b64 s[0:1], vcc
	s_cbranch_execz .LBB34_40
; %bb.61:                               ;   in Loop: Header=BB34_41 Depth=1
	v_cmp_gt_i32_e32 vcc, s33, v94
	s_waitcnt vmcnt(0)
	s_nop 0
	v_cndmask_b32_e32 v42, 0, v42, vcc
	v_cmp_gt_i32_e32 vcc, s33, v96
	s_nop 1
	v_cndmask_b32_e32 v43, 0, v43, vcc
	v_cmp_gt_i32_e32 vcc, s33, v95
	;; [unrolled: 3-line block ×3, first 2 shown]
	s_nop 1
	v_cndmask_b32_e32 v45, 0, v45, vcc
	s_branch .LBB34_40
.LBB34_62:                              ;   in Loop: Header=BB34_41 Depth=1
	v_cmp_gt_i32_e64 s[0:1], s33, v94
	s_waitcnt vmcnt(0)
	s_nop 0
	v_cndmask_b32_e64 v6, 0, v6, s[0:1]
	v_cmp_gt_i32_e64 s[0:1], s33, v96
	s_nop 1
	v_cndmask_b32_e64 v7, 0, v7, s[0:1]
	v_cmp_gt_i32_e64 s[0:1], s33, v95
	;; [unrolled: 3-line block ×3, first 2 shown]
	s_nop 1
	v_cndmask_b32_e64 v9, 0, v9, s[0:1]
	s_or_b64 exec, exec, s[10:11]
	global_load_dwordx4 v[10:13], v[18:19], off offset:1024
	s_and_saveexec_b64 s[10:11], vcc
	s_cbranch_execz .LBB34_43
.LBB34_63:                              ;   in Loop: Header=BB34_41 Depth=1
	v_cmp_gt_i32_e64 s[0:1], s33, v94
	s_waitcnt vmcnt(0)
	s_nop 0
	v_cndmask_b32_e64 v10, 0, v10, s[0:1]
	v_cmp_gt_i32_e64 s[0:1], s33, v96
	s_nop 1
	v_cndmask_b32_e64 v11, 0, v11, s[0:1]
	v_cmp_gt_i32_e64 s[0:1], s33, v95
	;; [unrolled: 3-line block ×3, first 2 shown]
	s_nop 1
	v_cndmask_b32_e64 v13, 0, v13, s[0:1]
	s_or_b64 exec, exec, s[10:11]
	global_load_dwordx4 v[14:17], v[18:19], off offset:2048
	s_and_saveexec_b64 s[10:11], vcc
	s_cbranch_execz .LBB34_44
.LBB34_64:                              ;   in Loop: Header=BB34_41 Depth=1
	v_cmp_gt_i32_e64 s[0:1], s33, v94
	s_waitcnt vmcnt(0)
	s_nop 0
	v_cndmask_b32_e64 v14, 0, v14, s[0:1]
	v_cmp_gt_i32_e64 s[0:1], s33, v96
	s_nop 1
	v_cndmask_b32_e64 v15, 0, v15, s[0:1]
	v_cmp_gt_i32_e64 s[0:1], s33, v95
	;; [unrolled: 3-line block ×3, first 2 shown]
	s_nop 1
	v_cndmask_b32_e64 v17, 0, v17, s[0:1]
	s_or_b64 exec, exec, s[10:11]
	global_load_dwordx4 v[18:21], v[18:19], off offset:3072
	s_and_saveexec_b64 s[10:11], vcc
	s_cbranch_execnz .LBB34_45
	s_branch .LBB34_46
.LBB34_65:
	s_or_b64 exec, exec, s[8:9]
.LBB34_66:
	s_or_b64 exec, exec, s[2:3]
	ds_bpermute_b32 v2, v91, v64
	ds_bpermute_b32 v3, v91, v65
	;; [unrolled: 1-line block ×6, first 2 shown]
	s_waitcnt lgkmcnt(4)
	v_pk_add_f32 v[2:3], v[64:65], v[2:3]
	ds_bpermute_b32 v6, v90, v2
	ds_bpermute_b32 v7, v90, v3
	;; [unrolled: 1-line block ×4, first 2 shown]
	s_waitcnt lgkmcnt(4)
	v_pk_add_f32 v[4:5], v[62:63], v[4:5]
	ds_bpermute_b32 v22, v91, v54
	s_waitcnt lgkmcnt(3)
	v_pk_add_f32 v[2:3], v[2:3], v[6:7]
	v_pk_add_f32 v[6:7], v[60:61], v[8:9]
	ds_bpermute_b32 v8, v91, v58
	ds_bpermute_b32 v9, v91, v59
	;; [unrolled: 1-line block ×4, first 2 shown]
	s_waitcnt lgkmcnt(5)
	v_pk_add_f32 v[14:15], v[56:57], v[14:15]
	ds_bpermute_b32 v23, v91, v55
	ds_bpermute_b32 v10, v90, v4
	;; [unrolled: 1-line block ×5, first 2 shown]
	s_waitcnt lgkmcnt(7)
	v_pk_add_f32 v[16:17], v[58:59], v[8:9]
	ds_bpermute_b32 v18, v90, v16
	ds_bpermute_b32 v19, v90, v17
	s_waitcnt lgkmcnt(7)
	v_pk_add_f32 v[8:9], v[6:7], v[12:13]
	s_waitcnt lgkmcnt(6)
	v_pk_add_f32 v[12:13], v[54:55], v[22:23]
	;; [unrolled: 2-line block ×4, first 2 shown]
	ds_bpermute_b32 v14, v90, v12
	ds_bpermute_b32 v15, v90, v13
	s_waitcnt lgkmcnt(2)
	v_pk_add_f32 v[6:7], v[16:17], v[18:19]
	v_and_b32_e32 v16, 0x3c3, v0
	v_cmp_ne_u32_e32 vcc, 64, v16
	s_waitcnt lgkmcnt(0)
	s_barrier
	s_and_saveexec_b64 s[0:1], vcc
	s_xor_b64 s[0:1], exec, s[0:1]
; %bb.67:
                                        ; implicit-def: $vgpr89
; %bb.68:
	s_or_saveexec_b64 s[0:1], s[0:1]
	v_pk_add_f32 v[12:13], v[12:13], v[14:15]
	s_xor_b64 exec, exec, s[0:1]
	s_cbranch_execz .LBB34_70
; %bb.69:
	v_add_u32_e32 v14, 0x310, v89
	ds_write2_b32 v14, v2, v3 offset1:16
	ds_write2_b32 v14, v10, v11 offset0:32 offset1:48
	ds_write2_b32 v14, v8, v9 offset0:64 offset1:80
	;; [unrolled: 1-line block ×5, first 2 shown]
.LBB34_70:
	s_or_b64 exec, exec, s[0:1]
	v_cmp_gt_u32_e32 vcc, 64, v0
	s_waitcnt lgkmcnt(0)
	s_barrier
	s_and_saveexec_b64 s[0:1], vcc
	s_cbranch_execz .LBB34_85
; %bb.71:
	v_cmp_eq_u32_e32 vcc, 0, v87
	s_and_saveexec_b64 s[2:3], vcc
	s_cbranch_execnz .LBB34_88
; %bb.72:
	s_or_b64 exec, exec, s[2:3]
	s_and_saveexec_b64 s[2:3], vcc
	s_cbranch_execnz .LBB34_89
.LBB34_73:
	s_or_b64 exec, exec, s[2:3]
	s_and_saveexec_b64 s[2:3], vcc
	s_cbranch_execnz .LBB34_90
.LBB34_74:
	s_or_b64 exec, exec, s[2:3]
	s_and_saveexec_b64 s[2:3], vcc
	s_cbranch_execnz .LBB34_91
.LBB34_75:
	s_or_b64 exec, exec, s[2:3]
	s_and_saveexec_b64 s[2:3], vcc
	s_cbranch_execnz .LBB34_92
.LBB34_76:
	s_or_b64 exec, exec, s[2:3]
	s_and_saveexec_b64 s[2:3], vcc
	s_cbranch_execnz .LBB34_93
.LBB34_77:
	s_or_b64 exec, exec, s[2:3]
	s_and_saveexec_b64 s[2:3], vcc
	s_cbranch_execnz .LBB34_94
.LBB34_78:
	s_or_b64 exec, exec, s[2:3]
	s_and_saveexec_b64 s[2:3], vcc
	s_cbranch_execnz .LBB34_95
.LBB34_79:
	s_or_b64 exec, exec, s[2:3]
	s_and_saveexec_b64 s[2:3], vcc
	s_cbranch_execnz .LBB34_96
.LBB34_80:
	s_or_b64 exec, exec, s[2:3]
	s_and_saveexec_b64 s[2:3], vcc
	s_cbranch_execnz .LBB34_97
.LBB34_81:
	s_or_b64 exec, exec, s[2:3]
	s_and_saveexec_b64 s[2:3], vcc
	s_cbranch_execnz .LBB34_98
.LBB34_82:
	s_or_b64 exec, exec, s[2:3]
	s_and_saveexec_b64 s[2:3], vcc
	s_cbranch_execz .LBB34_84
.LBB34_83:
	v_mov_b32_e32 v0, 0x310
	v_lshl_add_u32 v0, v86, 2, v0
	ds_read_b32 v0, v0 offset:704
	s_waitcnt lgkmcnt(0)
	v_add_f32_e32 v13, v13, v0
.LBB34_84:
	s_or_b64 exec, exec, s[2:3]
.LBB34_85:
	s_or_b64 exec, exec, s[0:1]
	v_cmp_eq_u32_e32 vcc, 0, v16
	s_barrier
	s_and_saveexec_b64 s[0:1], vcc
	s_cbranch_execz .LBB34_87
; %bb.86:
	s_mul_i32 s0, s16, s17
	s_mul_i32 s0, s0, s5
	s_mulk_i32 s0, 0xc0
	s_ashr_i32 s1, s0, 31
	s_lshl_b64 s[0:1], s[0:1], 2
	s_add_u32 s2, s18, s0
	s_mul_i32 s0, s17, s20
	s_addc_u32 s3, s19, s1
	s_ashr_i32 s1, s0, 31
	s_lshl_b64 s[0:1], s[0:1], 2
	s_add_u32 s2, s2, s0
	s_mul_i32 s0, s4, 0xc0
	s_addc_u32 s3, s3, s1
	s_ashr_i32 s1, s0, 31
	s_lshl_b64 s[0:1], s[0:1], 2
	s_add_u32 s0, s2, s0
	s_addc_u32 s1, s3, s1
	global_store_dword v1, v2, s[0:1]
	global_store_dword v1, v3, s[0:1] offset:64
	global_store_dword v1, v10, s[0:1] offset:128
	;; [unrolled: 1-line block ×11, first 2 shown]
.LBB34_87:
	s_endpgm
.LBB34_88:
	v_mov_b32_e32 v0, 0x310
	v_lshl_add_u32 v0, v86, 2, v0
	ds_read_b32 v0, v0
	s_waitcnt lgkmcnt(0)
	v_add_f32_e32 v2, v2, v0
	s_or_b64 exec, exec, s[2:3]
	s_and_saveexec_b64 s[2:3], vcc
	s_cbranch_execz .LBB34_73
.LBB34_89:
	v_mov_b32_e32 v0, 0x310
	v_lshl_add_u32 v0, v86, 2, v0
	ds_read_b32 v0, v0 offset:64
	s_waitcnt lgkmcnt(0)
	v_add_f32_e32 v3, v3, v0
	s_or_b64 exec, exec, s[2:3]
	s_and_saveexec_b64 s[2:3], vcc
	s_cbranch_execz .LBB34_74
.LBB34_90:
	v_mov_b32_e32 v0, 0x310
	v_lshl_add_u32 v0, v86, 2, v0
	ds_read_b32 v0, v0 offset:128
	s_waitcnt lgkmcnt(0)
	v_add_f32_e32 v10, v10, v0
	s_or_b64 exec, exec, s[2:3]
	s_and_saveexec_b64 s[2:3], vcc
	s_cbranch_execz .LBB34_75
.LBB34_91:
	v_mov_b32_e32 v0, 0x310
	v_lshl_add_u32 v0, v86, 2, v0
	ds_read_b32 v0, v0 offset:192
	s_waitcnt lgkmcnt(0)
	v_add_f32_e32 v11, v11, v0
	s_or_b64 exec, exec, s[2:3]
	s_and_saveexec_b64 s[2:3], vcc
	s_cbranch_execz .LBB34_76
.LBB34_92:
	v_mov_b32_e32 v0, 0x310
	v_lshl_add_u32 v0, v86, 2, v0
	ds_read_b32 v0, v0 offset:256
	s_waitcnt lgkmcnt(0)
	v_add_f32_e32 v8, v8, v0
	s_or_b64 exec, exec, s[2:3]
	s_and_saveexec_b64 s[2:3], vcc
	s_cbranch_execz .LBB34_77
.LBB34_93:
	v_mov_b32_e32 v0, 0x310
	v_lshl_add_u32 v0, v86, 2, v0
	ds_read_b32 v0, v0 offset:320
	s_waitcnt lgkmcnt(0)
	v_add_f32_e32 v9, v9, v0
	s_or_b64 exec, exec, s[2:3]
	s_and_saveexec_b64 s[2:3], vcc
	s_cbranch_execz .LBB34_78
.LBB34_94:
	v_mov_b32_e32 v0, 0x310
	v_lshl_add_u32 v0, v86, 2, v0
	ds_read_b32 v0, v0 offset:384
	s_waitcnt lgkmcnt(0)
	v_add_f32_e32 v6, v6, v0
	s_or_b64 exec, exec, s[2:3]
	s_and_saveexec_b64 s[2:3], vcc
	s_cbranch_execz .LBB34_79
.LBB34_95:
	v_mov_b32_e32 v0, 0x310
	v_lshl_add_u32 v0, v86, 2, v0
	ds_read_b32 v0, v0 offset:448
	s_waitcnt lgkmcnt(0)
	v_add_f32_e32 v7, v7, v0
	s_or_b64 exec, exec, s[2:3]
	s_and_saveexec_b64 s[2:3], vcc
	s_cbranch_execz .LBB34_80
.LBB34_96:
	v_mov_b32_e32 v0, 0x310
	v_lshl_add_u32 v0, v86, 2, v0
	ds_read_b32 v0, v0 offset:512
	s_waitcnt lgkmcnt(0)
	v_add_f32_e32 v4, v4, v0
	s_or_b64 exec, exec, s[2:3]
	s_and_saveexec_b64 s[2:3], vcc
	s_cbranch_execz .LBB34_81
.LBB34_97:
	v_mov_b32_e32 v0, 0x310
	v_lshl_add_u32 v0, v86, 2, v0
	ds_read_b32 v0, v0 offset:576
	s_waitcnt lgkmcnt(0)
	v_add_f32_e32 v5, v5, v0
	s_or_b64 exec, exec, s[2:3]
	s_and_saveexec_b64 s[2:3], vcc
	s_cbranch_execz .LBB34_82
.LBB34_98:
	v_mov_b32_e32 v0, 0x310
	v_lshl_add_u32 v0, v86, 2, v0
	ds_read_b32 v0, v0 offset:640
	s_waitcnt lgkmcnt(0)
	v_add_f32_e32 v12, v12, v0
	s_or_b64 exec, exec, s[2:3]
	s_and_saveexec_b64 s[2:3], vcc
	s_cbranch_execnz .LBB34_83
	s_branch .LBB34_84
	.section	.rodata,"a",@progbits
	.p2align	6, 0x0
	.amdhsa_kernel _ZN4vllm25paged_attention_v1_kernelIffLi192ELi16ELi128ELNS_18Fp8KVCacheDataTypeE0ELb0EEEvPT_PKS2_PKT0_S8_ifPKiSA_iPKfiiiSC_SC_iiiii
		.amdhsa_group_segment_fixed_size 784
		.amdhsa_private_segment_fixed_size 0
		.amdhsa_kernarg_size 384
		.amdhsa_user_sgpr_count 2
		.amdhsa_user_sgpr_dispatch_ptr 0
		.amdhsa_user_sgpr_queue_ptr 0
		.amdhsa_user_sgpr_kernarg_segment_ptr 1
		.amdhsa_user_sgpr_dispatch_id 0
		.amdhsa_user_sgpr_kernarg_preload_length 0
		.amdhsa_user_sgpr_kernarg_preload_offset 0
		.amdhsa_user_sgpr_private_segment_size 0
		.amdhsa_uses_dynamic_stack 0
		.amdhsa_enable_private_segment 0
		.amdhsa_system_sgpr_workgroup_id_x 1
		.amdhsa_system_sgpr_workgroup_id_y 1
		.amdhsa_system_sgpr_workgroup_id_z 1
		.amdhsa_system_sgpr_workgroup_info 0
		.amdhsa_system_vgpr_workitem_id 0
		.amdhsa_next_free_vgpr 115
		.amdhsa_next_free_sgpr 38
		.amdhsa_accum_offset 116
		.amdhsa_reserve_vcc 1
		.amdhsa_float_round_mode_32 0
		.amdhsa_float_round_mode_16_64 0
		.amdhsa_float_denorm_mode_32 3
		.amdhsa_float_denorm_mode_16_64 3
		.amdhsa_dx10_clamp 1
		.amdhsa_ieee_mode 1
		.amdhsa_fp16_overflow 0
		.amdhsa_tg_split 0
		.amdhsa_exception_fp_ieee_invalid_op 0
		.amdhsa_exception_fp_denorm_src 0
		.amdhsa_exception_fp_ieee_div_zero 0
		.amdhsa_exception_fp_ieee_overflow 0
		.amdhsa_exception_fp_ieee_underflow 0
		.amdhsa_exception_fp_ieee_inexact 0
		.amdhsa_exception_int_div_zero 0
	.end_amdhsa_kernel
	.section	.text._ZN4vllm25paged_attention_v1_kernelIffLi192ELi16ELi128ELNS_18Fp8KVCacheDataTypeE0ELb0EEEvPT_PKS2_PKT0_S8_ifPKiSA_iPKfiiiSC_SC_iiiii,"axG",@progbits,_ZN4vllm25paged_attention_v1_kernelIffLi192ELi16ELi128ELNS_18Fp8KVCacheDataTypeE0ELb0EEEvPT_PKS2_PKT0_S8_ifPKiSA_iPKfiiiSC_SC_iiiii,comdat
.Lfunc_end34:
	.size	_ZN4vllm25paged_attention_v1_kernelIffLi192ELi16ELi128ELNS_18Fp8KVCacheDataTypeE0ELb0EEEvPT_PKS2_PKT0_S8_ifPKiSA_iPKfiiiSC_SC_iiiii, .Lfunc_end34-_ZN4vllm25paged_attention_v1_kernelIffLi192ELi16ELi128ELNS_18Fp8KVCacheDataTypeE0ELb0EEEvPT_PKS2_PKT0_S8_ifPKiSA_iPKfiiiSC_SC_iiiii
                                        ; -- End function
	.section	.AMDGPU.csdata,"",@progbits
; Kernel info:
; codeLenInByte = 6692
; NumSgprs: 44
; NumVgprs: 115
; NumAgprs: 0
; TotalNumVgprs: 115
; ScratchSize: 0
; MemoryBound: 0
; FloatMode: 240
; IeeeMode: 1
; LDSByteSize: 784 bytes/workgroup (compile time only)
; SGPRBlocks: 5
; VGPRBlocks: 14
; NumSGPRsForWavesPerEU: 44
; NumVGPRsForWavesPerEU: 115
; AccumOffset: 116
; Occupancy: 4
; WaveLimiterHint : 1
; COMPUTE_PGM_RSRC2:SCRATCH_EN: 0
; COMPUTE_PGM_RSRC2:USER_SGPR: 2
; COMPUTE_PGM_RSRC2:TRAP_HANDLER: 0
; COMPUTE_PGM_RSRC2:TGID_X_EN: 1
; COMPUTE_PGM_RSRC2:TGID_Y_EN: 1
; COMPUTE_PGM_RSRC2:TGID_Z_EN: 1
; COMPUTE_PGM_RSRC2:TIDIG_COMP_CNT: 0
; COMPUTE_PGM_RSRC3_GFX90A:ACCUM_OFFSET: 28
; COMPUTE_PGM_RSRC3_GFX90A:TG_SPLIT: 0
	.section	.text._ZN4vllm25paged_attention_v1_kernelIffLi256ELi16ELi128ELNS_18Fp8KVCacheDataTypeE0ELb0EEEvPT_PKS2_PKT0_S8_ifPKiSA_iPKfiiiSC_SC_iiiii,"axG",@progbits,_ZN4vllm25paged_attention_v1_kernelIffLi256ELi16ELi128ELNS_18Fp8KVCacheDataTypeE0ELb0EEEvPT_PKS2_PKT0_S8_ifPKiSA_iPKfiiiSC_SC_iiiii,comdat
	.protected	_ZN4vllm25paged_attention_v1_kernelIffLi256ELi16ELi128ELNS_18Fp8KVCacheDataTypeE0ELb0EEEvPT_PKS2_PKT0_S8_ifPKiSA_iPKfiiiSC_SC_iiiii ; -- Begin function _ZN4vllm25paged_attention_v1_kernelIffLi256ELi16ELi128ELNS_18Fp8KVCacheDataTypeE0ELb0EEEvPT_PKS2_PKT0_S8_ifPKiSA_iPKfiiiSC_SC_iiiii
	.globl	_ZN4vllm25paged_attention_v1_kernelIffLi256ELi16ELi128ELNS_18Fp8KVCacheDataTypeE0ELb0EEEvPT_PKS2_PKT0_S8_ifPKiSA_iPKfiiiSC_SC_iiiii
	.p2align	8
	.type	_ZN4vllm25paged_attention_v1_kernelIffLi256ELi16ELi128ELNS_18Fp8KVCacheDataTypeE0ELb0EEEvPT_PKS2_PKT0_S8_ifPKiSA_iPKfiiiSC_SC_iiiii,@function
_ZN4vllm25paged_attention_v1_kernelIffLi256ELi16ELi128ELNS_18Fp8KVCacheDataTypeE0ELb0EEEvPT_PKS2_PKT0_S8_ifPKiSA_iPKfiiiSC_SC_iiiii: ; @_ZN4vllm25paged_attention_v1_kernelIffLi256ELi16ELi128ELNS_18Fp8KVCacheDataTypeE0ELb0EEEvPT_PKS2_PKT0_S8_ifPKiSA_iPKfiiiSC_SC_iiiii
; %bb.0:
	s_load_dword s5, s[0:1], 0x80
	s_load_dwordx2 s[6:7], s[0:1], 0x30
	s_load_dwordx2 s[26:27], s[0:1], 0x20
	s_mov_b32 s16, s3
	s_ashr_i32 s17, s3, 31
	s_lshl_b64 s[8:9], s[16:17], 2
	s_waitcnt lgkmcnt(0)
	s_add_u32 s6, s6, s8
	s_addc_u32 s7, s7, s9
	s_abs_i32 s3, s26
	v_cvt_f32_u32_e32 v1, s3
	s_sub_i32 s10, 0, s3
	s_abs_i32 s9, s5
	s_xor_b32 s8, s5, s26
	v_rcp_iflag_f32_e32 v1, v1
	s_ashr_i32 s8, s8, 31
	v_mov_b32_e32 v116, v0
	s_mov_b32 s26, 0
	v_mul_f32_e32 v1, 0x4f7ffffe, v1
	v_cvt_u32_f32_e32 v1, v1
	s_nop 0
	v_readfirstlane_b32 s11, v1
	s_mul_i32 s10, s10, s11
	s_mul_hi_u32 s10, s11, s10
	s_add_i32 s11, s11, s10
	s_mul_hi_u32 s10, s9, s11
	s_mul_i32 s11, s10, s3
	s_sub_i32 s9, s9, s11
	s_add_i32 s11, s10, 1
	s_sub_i32 s12, s9, s3
	s_cmp_ge_u32 s9, s3
	s_cselect_b32 s10, s11, s10
	s_cselect_b32 s9, s12, s9
	s_add_i32 s11, s10, 1
	s_cmp_ge_u32 s9, s3
	s_cselect_b32 s3, s11, s10
	s_xor_b32 s3, s3, s8
	s_sub_i32 s34, s3, s8
	s_abs_i32 s30, s34
	v_cvt_f32_u32_e32 v1, s30
	s_load_dwordx2 s[8:9], s[0:1], 0x40
	s_sub_i32 s3, 0, s30
	s_abs_i32 s31, s2
	v_rcp_iflag_f32_e32 v1, v1
	s_nop 0
	v_mul_f32_e32 v1, 0x4f7ffffe, v1
	v_cvt_u32_f32_e32 v1, v1
	s_nop 0
	v_readfirstlane_b32 s12, v1
	s_mul_i32 s3, s3, s12
	s_mul_hi_u32 s3, s12, s3
	s_add_i32 s12, s12, s3
	s_waitcnt lgkmcnt(0)
	s_cmp_eq_u64 s[8:9], 0
	s_cbranch_scc1 .LBB35_2
; %bb.1:
	s_ashr_i32 s3, s2, 31
	s_lshl_b64 s[10:11], s[2:3], 2
	s_add_u32 s8, s8, s10
	s_addc_u32 s9, s9, s11
	s_load_dword s26, s[8:9], 0x0
.LBB35_2:
	s_load_dwordx2 s[18:19], s[0:1], 0x0
	s_nop 0
	s_load_dwordx4 s[8:11], s[0:1], 0x10
	s_mul_hi_u32 s3, s31, s12
	s_load_dword s17, s[0:1], 0x88
	s_load_dword s33, s[6:7], 0x0
	s_load_dwordx2 s[22:23], s[0:1], 0x28
	s_load_dwordx4 s[12:15], s[0:1], 0x48
	v_lshrrev_b32_e32 v115, 2, v116
	s_lshl_b32 s20, s2, 8
	s_movk_i32 s6, 0x100
	v_and_b32_e32 v125, 3, v116
	s_ashr_i32 s21, s20, 31
	v_cmp_gt_u32_e32 vcc, s6, v116
	v_lshlrev_b32_e32 v114, 2, v115
	s_and_saveexec_b64 s[6:7], vcc
	s_cbranch_execz .LBB35_5
; %bb.3:
	s_load_dwordx2 s[24:25], s[0:1], 0x8
	s_waitcnt lgkmcnt(0)
	s_mul_i32 s28, s16, s12
	s_ashr_i32 s29, s28, 31
	s_lshl_b64 s[28:29], s[28:29], 2
	s_lshl_b64 s[36:37], s[20:21], 2
	s_add_u32 s12, s28, s36
	s_addc_u32 s15, s29, s37
	v_or_b32_e32 v2, v114, v125
	s_add_u32 s24, s24, s12
	v_lshlrev_b32_e32 v2, 2, v2
	v_mov_b32_e32 v3, 0
	s_addc_u32 s25, s25, s15
	v_subrev_u32_e32 v4, 32, v115
	v_lshl_add_u32 v5, v125, 8, v114
	v_lshl_add_u64 v[2:3], s[24:25], 0, v[2:3]
	s_mov_b64 s[24:25], 0
	s_mov_b64 s[28:29], 0x200
.LBB35_4:                               ; =>This Inner Loop Header: Depth=1
	global_load_dword v6, v[2:3], off
	v_add_co_u32_e32 v4, vcc, 32, v4
	s_xor_b64 s[36:37], vcc, -1
	s_and_b64 s[36:37], exec, s[36:37]
	v_lshl_add_u64 v[2:3], v[2:3], 0, s[28:29]
	s_or_b64 s[24:25], s[36:37], s[24:25]
	s_waitcnt vmcnt(0)
	ds_write_b32 v5, v6
	v_add_u32_e32 v5, 0x80, v5
	s_andn2_b64 exec, exec, s[24:25]
	s_cbranch_execnz .LBB35_4
.LBB35_5:
	s_or_b64 exec, exec, s[6:7]
	s_load_dword s0, s[0:1], 0x38
	s_waitcnt lgkmcnt(0)
	s_add_i32 s1, s33, 15
	s_ashr_i32 s7, s1, 31
	s_lshr_b32 s7, s7, 28
	s_ashr_i32 s2, s2, 31
	s_ashr_i32 s6, s34, 31
	s_add_i32 s1, s1, s7
	s_ashr_i32 s12, s1, 4
	s_xor_b32 s1, s2, s6
	s_mul_i32 s2, s3, s30
	s_sub_i32 s2, s31, s2
	s_add_i32 s6, s3, 1
	s_sub_i32 s7, s2, s30
	s_cmp_ge_u32 s2, s30
	s_cselect_b32 s3, s6, s3
	s_cselect_b32 s2, s7, s2
	s_add_i32 s6, s3, 1
	s_cmp_ge_u32 s2, s30
	s_cselect_b32 s2, s6, s3
	v_lshrrev_b32_e32 v126, 6, v116
	s_xor_b32 s2, s2, s1
	s_mul_i32 s24, s16, s0
	s_sub_i32 s6, s2, s1
	s_ashr_i32 s25, s24, 31
	v_cmp_gt_i32_e64 s[0:1], s12, v126
	v_cmp_le_i32_e32 vcc, s12, v126
	v_mbcnt_lo_u32_b32 v42, -1, 0
	s_barrier
	s_waitcnt lgkmcnt(0)
                                        ; implicit-def: $sgpr7
                                        ; implicit-def: $vgpr13
                                        ; implicit-def: $vgpr14
	s_and_saveexec_b64 s[2:3], vcc
	s_xor_b64 s[2:3], exec, s[2:3]
; %bb.6:
	v_mbcnt_hi_u32_b32 v13, -1, v42
	v_and_b32_e32 v2, 64, v13
	v_add_u32_e32 v14, 64, v2
	s_mov_b32 s7, 0xff7fffff
                                        ; implicit-def: $vgpr42
; %bb.7:
	s_or_saveexec_b64 s[28:29], s[2:3]
	v_mov_b32_e32 v9, s7
	s_mul_i32 s14, s6, s14
	v_lshrrev_b32_e32 v47, 4, v116
	s_xor_b64 exec, exec, s[28:29]
	s_cbranch_execz .LBB35_13
; %bb.8:
	s_ashr_i32 s15, s14, 31
	s_lshl_b64 s[2:3], s[14:15], 2
	v_bfe_u32 v43, v116, 2, 4
	s_add_u32 s2, s8, s2
	s_addc_u32 s3, s9, s3
	v_lshlrev_b32_e32 v44, 4, v43
	v_mov_b32_e32 v45, 0
	v_lshl_add_u64 v[2:3], s[2:3], 0, v[44:45]
	v_lshlrev_b32_e32 v44, 2, v125
	scratch_store_dword off, v114, off offset:68 ; 4-byte Folded Spill
	scratch_store_dword off, v116, off offset:92 ; 4-byte Folded Spill
	v_lshl_add_u64 v[0:1], v[2:3], 0, v[44:45]
	v_lshlrev_b32_e32 v62, 8, v125
	scratch_store_dwordx2 off, v[0:1], off offset:4 ; 8-byte Folded Spill
	ds_read_b128 v[0:3], v62
	s_sub_i32 s15, 1, s33
	s_lshl_b64 s[6:7], s[24:25], 2
	v_lshlrev_b32_e32 v46, 2, v43
	s_add_u32 s6, s22, s6
	s_waitcnt lgkmcnt(0)
	scratch_store_dwordx4 off, v[0:3], off offset:12 ; 16-byte Folded Spill
	ds_read_b128 v[0:3], v62 offset:16
	v_and_b32_e32 v44, 60, v47
	s_addc_u32 s7, s23, s7
	v_lshl_or_b32 v75, v126, 4, v43
	v_lshl_add_u64 v[68:69], s[6:7], 0, v[44:45]
	s_waitcnt lgkmcnt(0)
	scratch_store_dwordx4 off, v[0:3], off offset:28 ; 16-byte Folded Spill
	ds_read_b128 v[0:3], v62 offset:32
	s_mov_b32 s21, s13
	v_cmp_neq_f32_e64 s[2:3], s26, 0
	s_mov_b64 s[8:9], 0
	v_mov_b32_e32 v9, 0xff7fffff
	s_waitcnt lgkmcnt(0)
	scratch_store_dwordx4 off, v[0:3], off offset:44 ; 16-byte Folded Spill
	ds_read_b128 v[14:17], v62 offset:48
	ds_read_b128 v[18:21], v62 offset:64
	;; [unrolled: 1-line block ×7, first 2 shown]
	v_mbcnt_hi_u32_b32 v0, -1, v42
	v_and_b32_e32 v42, 64, v0
	v_add_u32_e32 v1, 64, v42
	v_xor_b32_e32 v42, 2, v0
	v_cmp_lt_i32_e32 vcc, v42, v1
	scratch_store_dword off, v0, off offset:84 ; 4-byte Folded Spill
	scratch_store_dword off, v1, off offset:88 ; 4-byte Folded Spill
	v_cndmask_b32_e32 v42, v0, v42, vcc
	v_lshlrev_b32_e32 v2, 2, v42
	v_xor_b32_e32 v42, 1, v0
	v_cmp_lt_i32_e32 vcc, v42, v1
	scratch_store_dword off, v2, off offset:60 ; 4-byte Folded Spill
	s_movk_i32 s34, 0x1000
	v_cndmask_b32_e32 v42, v0, v42, vcc
	v_lshlrev_b32_e32 v0, 2, v42
	scratch_store_dword off, v0, off offset:64 ; 4-byte Folded Spill
	scratch_store_dword off, v125, off offset:72 ; 4-byte Folded Spill
	v_lshl_or_b32 v42, v126, 6, v46
	scratch_store_dword off, v47, off offset:80 ; 4-byte Folded Spill
	v_add_u32_e32 v76, 0x410, v42
	ds_read_b128 v[42:45], v62 offset:160
	ds_read_b128 v[46:49], v62 offset:176
	;; [unrolled: 1-line block ×6, first 2 shown]
	v_cmp_eq_u32_e32 vcc, 0, v125
	s_movk_i32 s35, 0x2000
	s_movk_i32 s36, 0x3000
	v_mov_b32_e32 v77, v126
	scratch_store_dword off, v126, off offset:76 ; 4-byte Folded Spill
	s_branch .LBB35_10
.LBB35_9:                               ;   in Loop: Header=BB35_10 Depth=1
	s_or_b64 exec, exec, s[30:31]
	v_add_u32_e32 v77, 2, v77
	v_cmp_le_i32_e64 s[6:7], s12, v77
	v_add_u32_e32 v75, 32, v75
	v_add_u32_e32 v76, 0x80, v76
	s_or_b64 s[8:9], s[6:7], s[8:9]
	v_lshl_add_u64 v[68:69], v[68:69], 0, 8
	s_andn2_b64 exec, exec, s[8:9]
	s_cbranch_execz .LBB35_12
.LBB35_10:                              ; =>This Inner Loop Header: Depth=1
	global_load_dword v78, v[68:69], off
	scratch_load_dwordx2 v[0:1], off, off offset:4 ; 8-byte Folded Reload
	s_waitcnt vmcnt(1) lgkmcnt(0)
	v_mad_i64_i32 v[78:79], s[6:7], v78, s21, 0
	s_waitcnt vmcnt(0)
	v_lshl_add_u64 v[78:79], v[78:79], 2, v[0:1]
	v_add_co_u32_e64 v80, s[6:7], s34, v78
	global_load_dword v84, v[78:79], off
	global_load_dword v85, v[78:79], off offset:256
	global_load_dword v87, v[78:79], off offset:512
	;; [unrolled: 1-line block ×15, first 2 shown]
	v_addc_co_u32_e64 v81, s[6:7], 0, v79, s[6:7]
	v_add_co_u32_e64 v82, s[6:7], s35, v78
	s_nop 1
	v_addc_co_u32_e64 v83, s[6:7], 0, v79, s[6:7]
	global_load_dword v101, v[82:83], off offset:-4096
	global_load_dword v102, v[80:81], off offset:256
	global_load_dword v103, v[80:81], off offset:512
	;; [unrolled: 1-line block ×14, first 2 shown]
	s_nop 0
	global_load_dword v80, v[80:81], off offset:3840
	s_nop 0
	global_load_dword v81, v[82:83], off
	global_load_dword v119, v[82:83], off offset:256
	global_load_dword v120, v[82:83], off offset:512
	;; [unrolled: 1-line block ×14, first 2 shown]
	v_add_co_u32_e64 v78, s[6:7], s36, v78
	global_load_dword v82, v[82:83], off offset:3840
	s_nop 0
	v_addc_co_u32_e64 v79, s[6:7], 0, v79, s[6:7]
	s_waitcnt vmcnt(1)
	scratch_store_dword off, v0, off        ; 4-byte Folded Spill
	global_load_dword v83, v[78:79], off
	s_nop 0
	global_load_dword v0, v[78:79], off offset:256
	global_load_dword v73, v[78:79], off offset:512
	;; [unrolled: 1-line block ×15, first 2 shown]
	scratch_load_dwordx4 v[10:13], off, off offset:12 ; 16-byte Folded Reload
	s_waitcnt vmcnt(0)
	v_mul_f32_e32 v8, v11, v85
	v_fmac_f32_e32 v8, v10, v84
	v_fmac_f32_e32 v8, v12, v87
	;; [unrolled: 1-line block ×3, first 2 shown]
	scratch_load_dwordx4 v[10:13], off, off offset:28 ; 16-byte Folded Reload
	s_waitcnt vmcnt(0)
	v_fmac_f32_e32 v8, v10, v89
	v_fmac_f32_e32 v8, v11, v90
	;; [unrolled: 1-line block ×4, first 2 shown]
	scratch_load_dwordx4 v[10:13], off, off offset:44 ; 16-byte Folded Reload
	s_waitcnt vmcnt(0)
	v_fmac_f32_e32 v8, v10, v93
	scratch_load_dword v10, off, off        ; 4-byte Folded Reload
	v_fmac_f32_e32 v8, v11, v94
	v_fmac_f32_e32 v8, v12, v95
	v_fmac_f32_e32 v8, v13, v96
	s_waitcnt lgkmcnt(12)
	v_fmac_f32_e32 v8, v14, v97
	v_fmac_f32_e32 v8, v15, v98
	v_fmac_f32_e32 v8, v16, v99
	v_fmac_f32_e32 v8, v17, v100
	s_waitcnt lgkmcnt(11)
	v_fmac_f32_e32 v8, v18, v101
	;; [unrolled: 5-line block ×9, first 2 shown]
	v_fmac_f32_e32 v8, v47, v71
	s_waitcnt vmcnt(0)
	v_fmac_f32_e32 v8, v48, v10
	v_fmac_f32_e32 v8, v49, v82
	s_waitcnt lgkmcnt(3)
	v_fmac_f32_e32 v8, v50, v83
	v_fmac_f32_e32 v8, v51, v0
	scratch_load_dword v0, off, off offset:60 ; 4-byte Folded Reload
	v_fmac_f32_e32 v8, v52, v73
	v_fmac_f32_e32 v8, v53, v74
	s_waitcnt lgkmcnt(2)
	v_fmac_f32_e32 v8, v54, v70
	v_fmac_f32_e32 v8, v55, v66
	v_fmac_f32_e32 v8, v56, v67
	v_fmac_f32_e32 v8, v57, v72
	s_waitcnt lgkmcnt(1)
	v_fmac_f32_e32 v8, v58, v116
	v_fmac_f32_e32 v8, v59, v1
	;; [unrolled: 5-line block ×3, first 2 shown]
	v_fmac_f32_e32 v8, v64, v6
	v_fmac_f32_e32 v8, v65, v7
	s_waitcnt vmcnt(0)
	ds_bpermute_b32 v0, v0, v8
	s_waitcnt lgkmcnt(0)
	v_add_f32_e32 v78, v8, v0
	scratch_load_dword v0, off, off offset:64 ; 4-byte Folded Reload
	s_waitcnt vmcnt(0)
	ds_bpermute_b32 v79, v0, v78
	s_and_saveexec_b64 s[30:31], vcc
	s_cbranch_execz .LBB35_9
; %bb.11:                               ;   in Loop: Header=BB35_10 Depth=1
	v_add_u32_e32 v0, s15, v75
	v_cvt_f32_i32_e32 v0, v0
	s_waitcnt lgkmcnt(0)
	v_add_f32_e32 v1, v78, v79
	v_max_f32_e32 v2, v9, v9
	v_cmp_gt_i32_e64 s[6:7], s33, v75
	v_mul_f32_e32 v0, s26, v0
	v_cndmask_b32_e64 v0, 0, v0, s[2:3]
	v_fmac_f32_e32 v0, s27, v1
	v_cndmask_b32_e64 v1, 0, v0, s[6:7]
	v_max_f32_e32 v0, v2, v0
	v_cndmask_b32_e64 v9, v9, v0, s[6:7]
	ds_write_b32 v76, v1
	s_branch .LBB35_9
.LBB35_12:
	s_or_b64 exec, exec, s[8:9]
	scratch_load_dword v114, off, off offset:68 ; 4-byte Folded Reload
	scratch_load_dword v116, off, off offset:92 ; 4-byte Folded Reload
	;; [unrolled: 1-line block ×7, first 2 shown]
	s_waitcnt vmcnt(5)
	v_lshrrev_b32_e32 v115, 2, v116
.LBB35_13:
	s_or_b64 exec, exec, s[28:29]
	s_waitcnt vmcnt(1)
	v_xor_b32_e32 v2, 32, v13
	s_waitcnt vmcnt(0)
	v_cmp_lt_i32_e32 vcc, v2, v14
	v_xor_b32_e32 v5, 16, v13
	v_max_f32_e32 v4, v9, v9
	v_cndmask_b32_e32 v2, v13, v2, vcc
	v_lshlrev_b32_e32 v2, 2, v2
	ds_bpermute_b32 v3, v2, v9
	v_cmp_lt_i32_e32 vcc, v5, v14
	v_xor_b32_e32 v6, 8, v13
	v_xor_b32_e32 v7, 4, v13
	v_and_b32_e32 v117, 63, v116
	s_waitcnt lgkmcnt(0)
	v_max_f32_e32 v3, v3, v3
	v_max_f32_e32 v4, v4, v3
	v_cndmask_b32_e32 v3, v13, v5, vcc
	v_lshlrev_b32_e32 v3, 2, v3
	ds_bpermute_b32 v5, v3, v4
	v_cmp_lt_i32_e32 vcc, v6, v14
	s_waitcnt lgkmcnt(0)
	v_max_f32_e32 v5, v5, v5
	v_max_f32_e32 v4, v4, v5
	v_cndmask_b32_e32 v5, v13, v6, vcc
	v_lshlrev_b32_e32 v6, 2, v5
	ds_bpermute_b32 v5, v6, v4
	v_cmp_lt_i32_e32 vcc, v7, v14
	s_waitcnt lgkmcnt(0)
	v_max_f32_e32 v5, v5, v5
	v_max_f32_e32 v5, v4, v5
	v_cndmask_b32_e32 v4, v13, v7, vcc
	v_lshlrev_b32_e32 v7, 2, v4
	ds_bpermute_b32 v8, v7, v5
	v_cmp_eq_u32_e32 vcc, 0, v117
	v_lshlrev_b32_e32 v4, 2, v126
	s_and_saveexec_b64 s[2:3], vcc
	s_cbranch_execz .LBB35_15
; %bb.14:
	s_waitcnt lgkmcnt(0)
	v_max_f32_e32 v0, v8, v8
	v_max_f32_e32 v1, v5, v5
	;; [unrolled: 1-line block ×3, first 2 shown]
	ds_write_b32 v4, v0 offset:1024
.LBB35_15:
	s_or_b64 exec, exec, s[2:3]
	v_cmp_gt_u32_e64 s[2:3], 2, v117
	s_waitcnt lgkmcnt(0)
	v_mov_b32_e32 v8, 0xff7fffff
	v_lshlrev_b32_e32 v5, 2, v117
	s_barrier
	s_and_saveexec_b64 s[6:7], s[2:3]
	s_cbranch_execz .LBB35_17
; %bb.16:
	ds_read_b32 v8, v5 offset:1024
.LBB35_17:
	s_or_b64 exec, exec, s[6:7]
	v_xor_b32_e32 v0, 1, v13
	v_cmp_lt_i32_e64 s[6:7], v0, v14
	s_waitcnt lgkmcnt(0)
	v_max_f32_e32 v1, v8, v8
	v_mov_b32_e32 v9, 0
	v_cndmask_b32_e64 v0, v13, v0, s[6:7]
	v_lshlrev_b32_e32 v118, 2, v0
	ds_bpermute_b32 v0, v118, v8
	v_lshlrev_b32_e32 v8, 2, v13
	v_and_b32_e32 v8, 0xffffff00, v8
	s_lshl_b32 s6, s12, 4
	s_min_i32 s15, s6, s33
	s_waitcnt lgkmcnt(0)
	v_max_f32_e32 v0, v0, v0
	v_max_f32_e32 v0, v1, v0
	ds_bpermute_b32 v10, v8, v0
	v_cmp_gt_i32_e64 s[6:7], s15, v116
	s_and_saveexec_b64 s[26:27], s[6:7]
	s_cbranch_execz .LBB35_21
; %bb.18:
	v_mov_b32_e32 v0, 0x410
	v_lshl_add_u32 v11, v116, 2, v0
	s_mov_b64 s[28:29], 0
	v_mov_b32_e32 v9, 0
	v_mov_b32_e32 v12, v116
.LBB35_19:                              ; =>This Inner Loop Header: Depth=1
	ds_read_b32 v0, v11
	v_add_u32_e32 v12, 0x80, v12
	v_cmp_le_i32_e64 s[8:9], s15, v12
	s_or_b64 s[28:29], s[8:9], s[28:29]
	s_waitcnt lgkmcnt(0)
	v_sub_f32_e32 v0, v0, v10
	v_mul_f32_e32 v0, 0x3fb8aa3b, v0
	v_exp_f32_e32 v0, v0
	ds_write_b32 v11, v0
	v_add_f32_e32 v9, v9, v0
	v_add_u32_e32 v11, 0x200, v11
	s_andn2_b64 exec, exec, s[28:29]
	s_cbranch_execnz .LBB35_19
; %bb.20:
	s_or_b64 exec, exec, s[28:29]
.LBB35_21:
	s_or_b64 exec, exec, s[26:27]
	ds_bpermute_b32 v0, v2, v9
	v_xor_b32_e32 v2, 2, v13
	v_cmp_lt_i32_e64 s[8:9], v2, v14
	s_waitcnt lgkmcnt(0)
	v_add_f32_e32 v0, v9, v0
	ds_bpermute_b32 v1, v3, v0
	v_cndmask_b32_e64 v2, v13, v2, s[8:9]
	v_lshlrev_b32_e32 v119, 2, v2
	s_waitcnt lgkmcnt(0)
	v_add_f32_e32 v0, v0, v1
	ds_bpermute_b32 v1, v6, v0
	s_waitcnt lgkmcnt(0)
	v_add_f32_e32 v0, v0, v1
	ds_bpermute_b32 v1, v7, v0
	;; [unrolled: 3-line block ×4, first 2 shown]
	s_waitcnt lgkmcnt(0)
	v_add_f32_e32 v2, v0, v1
	s_and_saveexec_b64 s[8:9], vcc
	s_cbranch_execz .LBB35_23
; %bb.22:
	ds_write_b32 v4, v2 offset:1032
.LBB35_23:
	s_or_b64 exec, exec, s[8:9]
	s_waitcnt lgkmcnt(0)
	s_barrier
	s_and_saveexec_b64 s[8:9], s[2:3]
	s_cbranch_execz .LBB35_25
; %bb.24:
	ds_read_b32 v2, v5 offset:1032
.LBB35_25:
	s_or_b64 exec, exec, s[8:9]
	s_waitcnt lgkmcnt(0)
	ds_bpermute_b32 v0, v118, v2
	s_waitcnt lgkmcnt(0)
	v_add_f32_e32 v0, v2, v0
	ds_bpermute_b32 v2, v8, v0
	s_and_saveexec_b64 s[2:3], s[6:7]
	s_cbranch_execz .LBB35_38
; %bb.26:
	s_waitcnt lgkmcnt(0)
	v_add_f32_e32 v0, 0x358637bd, v2
	v_div_scale_f32 v1, s[6:7], v0, v0, 1.0
	v_rcp_f32_e32 v2, v1
	v_div_scale_f32 v3, vcc, 1.0, v0, 1.0
	s_movk_i32 s6, 0x7f
	v_fma_f32 v4, -v1, v2, 1.0
	v_fmac_f32_e32 v2, v4, v2
	v_mul_f32_e32 v4, v3, v2
	v_fma_f32 v5, -v1, v4, v3
	v_fmac_f32_e32 v4, v5, v2
	v_fma_f32 v1, -v1, v4, v3
	v_div_fmas_f32 v1, v1, v2, v4
	v_xad_u32 v4, v116, -1, s15
	v_div_fixup_f32 v2, v1, v0, 1.0
	v_cmp_lt_u32_e32 vcc, s6, v4
	s_mov_b64 s[8:9], -1
	v_mov_b32_e32 v3, v116
	s_and_saveexec_b64 s[6:7], vcc
	s_cbranch_execz .LBB35_35
; %bb.27:
	v_lshrrev_b32_e32 v4, 7, v4
	v_add_u32_e32 v0, -1, v4
	v_lshrrev_b32_e32 v1, 1, v0
	v_mov_b32_e32 v3, v2
	v_add_u32_e32 v5, 1, v1
	v_cmp_lt_u32_e32 vcc, 13, v0
	v_mov_b32_e32 v8, 0
	s_and_saveexec_b64 s[8:9], vcc
	s_cbranch_execz .LBB35_31
; %bb.28:
	v_mov_b32_e32 v0, 0x410
	v_and_b32_e32 v6, -8, v5
	v_lshl_add_u32 v7, v116, 2, v0
	s_mov_b32 s21, 0
	s_mov_b64 s[26:27], 0
.LBB35_29:                              ; =>This Inner Loop Header: Depth=1
	ds_read2st64_b32 v[8:9], v7 offset1:2
	ds_read2st64_b32 v[10:11], v7 offset0:4 offset1:6
	ds_read2st64_b32 v[12:13], v7 offset0:8 offset1:10
	;; [unrolled: 1-line block ×3, first 2 shown]
	v_add_u32_e32 v6, -8, v6
	s_waitcnt lgkmcnt(3)
	v_pk_mul_f32 v[8:9], v[2:3], v[8:9]
	s_waitcnt lgkmcnt(2)
	v_pk_mul_f32 v[10:11], v[2:3], v[10:11]
	ds_write2st64_b32 v7, v8, v9 offset1:2
	ds_write2st64_b32 v7, v10, v11 offset0:4 offset1:6
	ds_read2st64_b32 v[10:11], v7 offset0:16 offset1:18
	s_waitcnt lgkmcnt(4)
	v_pk_mul_f32 v[8:9], v[2:3], v[12:13]
	ds_write2st64_b32 v7, v8, v9 offset0:8 offset1:10
	s_waitcnt lgkmcnt(4)
	v_pk_mul_f32 v[8:9], v[2:3], v[14:15]
	ds_write2st64_b32 v7, v8, v9 offset0:12 offset1:14
	ds_read2st64_b32 v[8:9], v7 offset0:20 offset1:22
	s_waitcnt lgkmcnt(3)
	v_pk_mul_f32 v[10:11], v[2:3], v[10:11]
	ds_read2st64_b32 v[12:13], v7 offset0:24 offset1:26
	ds_write2st64_b32 v7, v10, v11 offset0:16 offset1:18
	ds_read2st64_b32 v[10:11], v7 offset0:28 offset1:30
	s_waitcnt lgkmcnt(3)
	v_pk_mul_f32 v[8:9], v[2:3], v[8:9]
	ds_write2st64_b32 v7, v8, v9 offset0:20 offset1:22
	s_waitcnt lgkmcnt(3)
	v_pk_mul_f32 v[8:9], v[2:3], v[12:13]
	ds_write2st64_b32 v7, v8, v9 offset0:24 offset1:26
	s_waitcnt lgkmcnt(2)
	v_pk_mul_f32 v[8:9], v[2:3], v[10:11]
	s_add_i32 s21, s21, 16
	v_cmp_eq_u32_e32 vcc, 0, v6
	ds_write2st64_b32 v7, v8, v9 offset0:28 offset1:30
	v_add_u32_e32 v7, 0x2000, v7
	s_or_b64 s[26:27], vcc, s[26:27]
	v_mov_b32_e32 v8, s21
	s_andn2_b64 exec, exec, s[26:27]
	s_cbranch_execnz .LBB35_29
; %bb.30:
	s_or_b64 exec, exec, s[26:27]
.LBB35_31:
	s_or_b64 exec, exec, s[8:9]
	v_and_b32_e32 v5, 7, v5
	v_cmp_ne_u32_e32 vcc, 0, v5
	s_and_saveexec_b64 s[8:9], vcc
	s_cbranch_execz .LBB35_34
; %bb.32:
	v_lshlrev_b32_e32 v0, 9, v8
	v_lshlrev_b32_e32 v1, 2, v116
	s_movk_i32 s21, 0x410
	v_add3_u32 v6, v0, v1, s21
	s_mov_b64 s[26:27], 0
.LBB35_33:                              ; =>This Inner Loop Header: Depth=1
	ds_read2st64_b32 v[8:9], v6 offset1:2
	v_add_u32_e32 v5, -1, v5
	v_cmp_eq_u32_e32 vcc, 0, v5
	s_or_b64 s[26:27], vcc, s[26:27]
	s_waitcnt lgkmcnt(0)
	v_pk_mul_f32 v[8:9], v[2:3], v[8:9]
	ds_write2st64_b32 v6, v8, v9 offset1:2
	v_add_u32_e32 v6, 0x400, v6
	s_andn2_b64 exec, exec, s[26:27]
	s_cbranch_execnz .LBB35_33
.LBB35_34:
	s_or_b64 exec, exec, s[8:9]
	v_add_u32_e32 v0, 1, v4
	v_and_b32_e32 v1, 0x3fffffe, v0
	v_cmp_ne_u32_e32 vcc, v0, v1
	v_lshl_add_u32 v3, v1, 7, v116
	s_orn2_b64 s[8:9], vcc, exec
.LBB35_35:
	s_or_b64 exec, exec, s[6:7]
	s_and_b64 exec, exec, s[8:9]
	s_cbranch_execz .LBB35_38
; %bb.36:
	v_mov_b32_e32 v0, 0x410
	v_lshl_add_u32 v4, v3, 2, v0
	s_mov_b64 s[6:7], 0
.LBB35_37:                              ; =>This Inner Loop Header: Depth=1
	ds_read_b32 v0, v4
	v_add_u32_e32 v3, 0x80, v3
	v_cmp_le_i32_e32 vcc, s15, v3
	s_or_b64 s[6:7], vcc, s[6:7]
	s_waitcnt lgkmcnt(0)
	v_mul_f32_e32 v0, v2, v0
	ds_write_b32 v4, v0
	v_add_u32_e32 v4, 0x200, v4
	s_andn2_b64 exec, exec, s[6:7]
	s_cbranch_execnz .LBB35_37
.LBB35_38:
	s_or_b64 exec, exec, s[2:3]
	v_mov_b32_e32 v84, 0
	v_mov_b32_e32 v85, 0
	;; [unrolled: 1-line block ×16, first 2 shown]
	s_waitcnt lgkmcnt(0)
	s_barrier
	s_and_saveexec_b64 s[2:3], s[0:1]
	s_cbranch_execz .LBB35_74
; %bb.39:
	s_ashr_i32 s15, s14, 31
	s_lshl_b64 s[0:1], s[14:15], 2
	v_lshlrev_b32_e32 v0, 2, v116
	s_add_u32 s6, s10, s0
	v_and_b32_e32 v1, 12, v0
	s_addc_u32 s7, s11, s1
	s_add_i32 s14, s12, -1
	v_and_b32_e32 v2, 0xfc, v0
	v_or_b32_e32 v26, 0xf00, v0
	v_lshlrev_b32_e32 v0, 4, v126
	s_lshl_b64 s[0:1], s[24:25], 2
	v_or3_b32 v120, v0, v1, 3
	v_lshlrev_b32_e32 v0, 4, v125
	s_add_u32 s0, s22, s0
	v_mov_b32_e32 v87, 0
	v_or_b32_e32 v4, 0x400, v2
	v_or_b32_e32 v6, 0x500, v2
	;; [unrolled: 1-line block ×11, first 2 shown]
	v_lshl_or_b32 v0, v126, 6, v0
	v_and_b32_e32 v86, 60, v47
	s_addc_u32 s1, s23, s1
	v_add_u32_e32 v121, 0x410, v0
	v_lshl_add_u64 v[88:89], s[0:1], 0, v[86:87]
	s_mov_b64 s[8:9], 0
	v_lshlrev_b32_e32 v90, 2, v2
	v_lshlrev_b32_e32 v86, 2, v4
	;; [unrolled: 1-line block ×13, first 2 shown]
	v_mov_b32_e32 v91, v87
	v_mov_b32_e32 v71, v87
	;; [unrolled: 1-line block ×17, first 2 shown]
	s_branch .LBB35_41
.LBB35_40:                              ;   in Loop: Header=BB35_41 Depth=1
	s_or_b64 exec, exec, s[0:1]
	s_waitcnt vmcnt(1) lgkmcnt(0)
	v_mul_f32_e32 v0, v3, v67
	v_fmac_f32_e32 v0, v2, v66
	v_fmac_f32_e32 v0, v4, v68
	v_fmac_f32_e32 v0, v5, v69
	v_add_f32_e32 v70, v70, v0
	v_mul_f32_e32 v0, v3, v63
	v_fmac_f32_e32 v0, v2, v62
	v_fmac_f32_e32 v0, v4, v64
	v_fmac_f32_e32 v0, v5, v65
	v_add_f32_e32 v73, v73, v0
	v_mul_f32_e32 v0, v3, v55
	v_fmac_f32_e32 v0, v2, v54
	v_fmac_f32_e32 v0, v4, v56
	v_fmac_f32_e32 v0, v5, v57
	v_add_f32_e32 v72, v72, v0
	v_mul_f32_e32 v0, v3, v51
	v_fmac_f32_e32 v0, v2, v50
	v_fmac_f32_e32 v0, v4, v52
	v_fmac_f32_e32 v0, v5, v53
	v_add_f32_e32 v75, v75, v0
	v_mul_f32_e32 v0, v3, v47
	v_fmac_f32_e32 v0, v2, v46
	v_fmac_f32_e32 v0, v4, v48
	v_fmac_f32_e32 v0, v5, v49
	v_add_f32_e32 v74, v74, v0
	v_mul_f32_e32 v0, v3, v43
	v_fmac_f32_e32 v0, v2, v42
	v_fmac_f32_e32 v0, v4, v44
	v_fmac_f32_e32 v0, v5, v45
	v_add_f32_e32 v77, v77, v0
	v_mul_f32_e32 v0, v3, v39
	v_fmac_f32_e32 v0, v2, v38
	v_fmac_f32_e32 v0, v4, v40
	v_fmac_f32_e32 v0, v5, v41
	v_add_f32_e32 v76, v76, v0
	v_mul_f32_e32 v0, v3, v35
	v_fmac_f32_e32 v0, v2, v34
	v_fmac_f32_e32 v0, v4, v36
	v_fmac_f32_e32 v0, v5, v37
	v_add_f32_e32 v79, v79, v0
	v_mul_f32_e32 v0, v3, v31
	v_fmac_f32_e32 v0, v2, v30
	v_fmac_f32_e32 v0, v4, v32
	v_fmac_f32_e32 v0, v5, v33
	v_add_f32_e32 v78, v78, v0
	v_mul_f32_e32 v0, v3, v27
	v_fmac_f32_e32 v0, v2, v26
	v_fmac_f32_e32 v0, v4, v28
	v_fmac_f32_e32 v0, v5, v29
	v_add_f32_e32 v81, v81, v0
	v_mul_f32_e32 v0, v3, v23
	v_fmac_f32_e32 v0, v2, v22
	v_fmac_f32_e32 v0, v4, v24
	v_fmac_f32_e32 v0, v5, v25
	v_add_f32_e32 v80, v80, v0
	v_mul_f32_e32 v0, v3, v19
	v_fmac_f32_e32 v0, v2, v18
	v_fmac_f32_e32 v0, v4, v20
	v_fmac_f32_e32 v0, v5, v21
	v_add_f32_e32 v83, v83, v0
	v_mul_f32_e32 v0, v3, v15
	v_fmac_f32_e32 v0, v2, v14
	v_fmac_f32_e32 v0, v4, v16
	v_fmac_f32_e32 v0, v5, v17
	v_add_f32_e32 v82, v82, v0
	v_mul_f32_e32 v0, v3, v11
	v_fmac_f32_e32 v0, v2, v10
	v_fmac_f32_e32 v0, v4, v12
	v_fmac_f32_e32 v0, v5, v13
	v_add_f32_e32 v85, v85, v0
	v_mul_f32_e32 v0, v3, v7
	v_fmac_f32_e32 v0, v2, v6
	v_fmac_f32_e32 v0, v4, v8
	v_fmac_f32_e32 v0, v5, v9
	v_add_f32_e32 v84, v84, v0
	s_waitcnt vmcnt(0)
	v_mul_f32_e32 v0, v3, v59
	v_fmac_f32_e32 v0, v2, v58
	v_fmac_f32_e32 v0, v4, v60
	v_add_u32_e32 v126, 2, v126
	v_fmac_f32_e32 v0, v5, v61
	v_cmp_le_i32_e32 vcc, s12, v126
	v_add_f32_e32 v71, v71, v0
	v_add_u32_e32 v120, 32, v120
	v_add_u32_e32 v121, 0x80, v121
	s_or_b64 s[8:9], vcc, s[8:9]
	v_lshl_add_u64 v[88:89], v[88:89], 0, 8
	s_andn2_b64 exec, exec, s[8:9]
	s_cbranch_execz .LBB35_73
.LBB35_41:                              ; =>This Inner Loop Header: Depth=1
	global_load_dword v0, v[88:89], off
	v_add_u32_e32 v122, -3, v120
	v_cmp_eq_u32_e32 vcc, s14, v126
	v_add_u32_e32 v124, -2, v120
	v_add_u32_e32 v123, -1, v120
	s_waitcnt vmcnt(0)
	v_mad_i64_i32 v[2:3], s[0:1], v0, s13, 0
	v_lshl_add_u64 v[58:59], v[2:3], 2, s[6:7]
	v_lshl_add_u64 v[18:19], v[58:59], 0, v[90:91]
	global_load_dwordx4 v[6:9], v[18:19], off
	ds_read_b128 v[2:5], v121
	s_and_saveexec_b64 s[10:11], vcc
	s_cbranch_execnz .LBB35_70
; %bb.42:                               ;   in Loop: Header=BB35_41 Depth=1
	s_or_b64 exec, exec, s[10:11]
	global_load_dwordx4 v[10:13], v[18:19], off offset:1024
	s_and_saveexec_b64 s[10:11], vcc
	s_cbranch_execnz .LBB35_71
.LBB35_43:                              ;   in Loop: Header=BB35_41 Depth=1
	s_or_b64 exec, exec, s[10:11]
	global_load_dwordx4 v[14:17], v[18:19], off offset:2048
	s_and_saveexec_b64 s[10:11], vcc
	s_cbranch_execnz .LBB35_72
.LBB35_44:                              ;   in Loop: Header=BB35_41 Depth=1
	s_or_b64 exec, exec, s[10:11]
	global_load_dwordx4 v[18:21], v[18:19], off offset:3072
	s_and_saveexec_b64 s[10:11], vcc
	s_cbranch_execz .LBB35_46
.LBB35_45:                              ;   in Loop: Header=BB35_41 Depth=1
	v_cmp_gt_i32_e64 s[0:1], s33, v122
	s_waitcnt vmcnt(0)
	s_nop 0
	v_cndmask_b32_e64 v18, 0, v18, s[0:1]
	v_cmp_gt_i32_e64 s[0:1], s33, v124
	s_nop 1
	v_cndmask_b32_e64 v19, 0, v19, s[0:1]
	v_cmp_gt_i32_e64 s[0:1], s33, v123
	;; [unrolled: 3-line block ×3, first 2 shown]
	s_nop 1
	v_cndmask_b32_e64 v21, 0, v21, s[0:1]
.LBB35_46:                              ;   in Loop: Header=BB35_41 Depth=1
	s_or_b64 exec, exec, s[10:11]
	v_lshl_add_u64 v[22:23], v[58:59], 0, v[86:87]
	global_load_dwordx4 v[22:25], v[22:23], off
	s_and_saveexec_b64 s[10:11], vcc
	s_cbranch_execz .LBB35_48
; %bb.47:                               ;   in Loop: Header=BB35_41 Depth=1
	v_cmp_gt_i32_e64 s[0:1], s33, v122
	s_waitcnt vmcnt(0)
	s_nop 0
	v_cndmask_b32_e64 v22, 0, v22, s[0:1]
	v_cmp_gt_i32_e64 s[0:1], s33, v124
	s_nop 1
	v_cndmask_b32_e64 v23, 0, v23, s[0:1]
	v_cmp_gt_i32_e64 s[0:1], s33, v123
	s_nop 1
	v_cndmask_b32_e64 v24, 0, v24, s[0:1]
	v_cmp_gt_i32_e64 s[0:1], s33, v120
	s_nop 1
	v_cndmask_b32_e64 v25, 0, v25, s[0:1]
.LBB35_48:                              ;   in Loop: Header=BB35_41 Depth=1
	s_or_b64 exec, exec, s[10:11]
	v_mov_b32_e32 v93, v87
	v_lshl_add_u64 v[26:27], v[58:59], 0, v[92:93]
	global_load_dwordx4 v[26:29], v[26:27], off
	s_and_saveexec_b64 s[10:11], vcc
	s_cbranch_execz .LBB35_50
; %bb.49:                               ;   in Loop: Header=BB35_41 Depth=1
	v_cmp_gt_i32_e64 s[0:1], s33, v122
	s_waitcnt vmcnt(0)
	s_nop 0
	v_cndmask_b32_e64 v26, 0, v26, s[0:1]
	v_cmp_gt_i32_e64 s[0:1], s33, v124
	s_nop 1
	v_cndmask_b32_e64 v27, 0, v27, s[0:1]
	v_cmp_gt_i32_e64 s[0:1], s33, v123
	s_nop 1
	v_cndmask_b32_e64 v28, 0, v28, s[0:1]
	v_cmp_gt_i32_e64 s[0:1], s33, v120
	s_nop 1
	v_cndmask_b32_e64 v29, 0, v29, s[0:1]
.LBB35_50:                              ;   in Loop: Header=BB35_41 Depth=1
	s_or_b64 exec, exec, s[10:11]
	v_mov_b32_e32 v95, v87
	;; [unrolled: 21-line block ×11, first 2 shown]
	v_lshl_add_u64 v[58:59], v[58:59], 0, v[112:113]
	global_load_dwordx4 v[58:61], v[58:59], off
	s_and_saveexec_b64 s[0:1], vcc
	s_cbranch_execz .LBB35_40
; %bb.69:                               ;   in Loop: Header=BB35_41 Depth=1
	v_cmp_gt_i32_e32 vcc, s33, v122
	s_waitcnt vmcnt(0)
	s_nop 0
	v_cndmask_b32_e32 v58, 0, v58, vcc
	v_cmp_gt_i32_e32 vcc, s33, v124
	s_nop 1
	v_cndmask_b32_e32 v59, 0, v59, vcc
	v_cmp_gt_i32_e32 vcc, s33, v123
	;; [unrolled: 3-line block ×3, first 2 shown]
	s_nop 1
	v_cndmask_b32_e32 v61, 0, v61, vcc
	s_branch .LBB35_40
.LBB35_70:                              ;   in Loop: Header=BB35_41 Depth=1
	v_cmp_gt_i32_e64 s[0:1], s33, v122
	s_waitcnt vmcnt(0)
	s_nop 0
	v_cndmask_b32_e64 v6, 0, v6, s[0:1]
	v_cmp_gt_i32_e64 s[0:1], s33, v124
	s_nop 1
	v_cndmask_b32_e64 v7, 0, v7, s[0:1]
	v_cmp_gt_i32_e64 s[0:1], s33, v123
	;; [unrolled: 3-line block ×3, first 2 shown]
	s_nop 1
	v_cndmask_b32_e64 v9, 0, v9, s[0:1]
	s_or_b64 exec, exec, s[10:11]
	global_load_dwordx4 v[10:13], v[18:19], off offset:1024
	s_and_saveexec_b64 s[10:11], vcc
	s_cbranch_execz .LBB35_43
.LBB35_71:                              ;   in Loop: Header=BB35_41 Depth=1
	v_cmp_gt_i32_e64 s[0:1], s33, v122
	s_waitcnt vmcnt(0)
	s_nop 0
	v_cndmask_b32_e64 v10, 0, v10, s[0:1]
	v_cmp_gt_i32_e64 s[0:1], s33, v124
	s_nop 1
	v_cndmask_b32_e64 v11, 0, v11, s[0:1]
	v_cmp_gt_i32_e64 s[0:1], s33, v123
	;; [unrolled: 3-line block ×3, first 2 shown]
	s_nop 1
	v_cndmask_b32_e64 v13, 0, v13, s[0:1]
	s_or_b64 exec, exec, s[10:11]
	global_load_dwordx4 v[14:17], v[18:19], off offset:2048
	s_and_saveexec_b64 s[10:11], vcc
	s_cbranch_execz .LBB35_44
.LBB35_72:                              ;   in Loop: Header=BB35_41 Depth=1
	v_cmp_gt_i32_e64 s[0:1], s33, v122
	s_waitcnt vmcnt(0)
	s_nop 0
	v_cndmask_b32_e64 v14, 0, v14, s[0:1]
	v_cmp_gt_i32_e64 s[0:1], s33, v124
	s_nop 1
	v_cndmask_b32_e64 v15, 0, v15, s[0:1]
	v_cmp_gt_i32_e64 s[0:1], s33, v123
	;; [unrolled: 3-line block ×3, first 2 shown]
	s_nop 1
	v_cndmask_b32_e64 v17, 0, v17, s[0:1]
	s_or_b64 exec, exec, s[10:11]
	global_load_dwordx4 v[18:21], v[18:19], off offset:3072
	s_and_saveexec_b64 s[10:11], vcc
	s_cbranch_execnz .LBB35_45
	s_branch .LBB35_46
.LBB35_73:
	s_or_b64 exec, exec, s[8:9]
.LBB35_74:
	s_or_b64 exec, exec, s[2:3]
	ds_bpermute_b32 v2, v119, v84
	ds_bpermute_b32 v3, v119, v85
	;; [unrolled: 1-line block ×6, first 2 shown]
	s_waitcnt lgkmcnt(4)
	v_pk_add_f32 v[2:3], v[84:85], v[2:3]
	ds_bpermute_b32 v6, v118, v2
	ds_bpermute_b32 v7, v118, v3
	s_waitcnt lgkmcnt(4)
	v_pk_add_f32 v[4:5], v[82:83], v[4:5]
	ds_bpermute_b32 v10, v118, v4
	ds_bpermute_b32 v11, v118, v5
	;; [unrolled: 1-line block ×3, first 2 shown]
	s_waitcnt lgkmcnt(3)
	v_pk_add_f32 v[2:3], v[2:3], v[6:7]
	v_pk_add_f32 v[6:7], v[80:81], v[8:9]
	ds_bpermute_b32 v8, v118, v6
	ds_bpermute_b32 v9, v118, v7
	;; [unrolled: 1-line block ×3, first 2 shown]
	s_waitcnt lgkmcnt(4)
	v_pk_add_f32 v[4:5], v[4:5], v[10:11]
	ds_bpermute_b32 v10, v119, v76
	ds_bpermute_b32 v11, v119, v77
	;; [unrolled: 1-line block ×6, first 2 shown]
	s_waitcnt lgkmcnt(7)
	v_pk_add_f32 v[6:7], v[6:7], v[8:9]
	s_waitcnt lgkmcnt(6)
	v_pk_add_f32 v[8:9], v[78:79], v[12:13]
	;; [unrolled: 2-line block ×3, first 2 shown]
	ds_bpermute_b32 v12, v118, v8
	ds_bpermute_b32 v13, v118, v9
	;; [unrolled: 1-line block ×4, first 2 shown]
	s_waitcnt lgkmcnt(6)
	v_pk_add_f32 v[18:19], v[72:73], v[18:19]
	ds_bpermute_b32 v26, v119, v70
	ds_bpermute_b32 v27, v119, v71
	;; [unrolled: 1-line block ×4, first 2 shown]
	s_waitcnt lgkmcnt(8)
	v_pk_add_f32 v[20:21], v[74:75], v[14:15]
	ds_bpermute_b32 v22, v118, v20
	ds_bpermute_b32 v23, v118, v21
	s_waitcnt lgkmcnt(8)
	v_pk_add_f32 v[14:15], v[8:9], v[12:13]
	s_waitcnt lgkmcnt(6)
	v_pk_add_f32 v[12:13], v[10:11], v[16:17]
	;; [unrolled: 2-line block ×4, first 2 shown]
	ds_bpermute_b32 v18, v118, v16
	ds_bpermute_b32 v19, v118, v17
	s_waitcnt lgkmcnt(2)
	v_pk_add_f32 v[10:11], v[20:21], v[22:23]
	v_and_b32_e32 v20, 0x3c3, v116
	v_cmp_ne_u32_e32 vcc, 64, v20
	s_waitcnt lgkmcnt(0)
	s_barrier
	s_and_saveexec_b64 s[0:1], vcc
	s_xor_b64 s[0:1], exec, s[0:1]
; %bb.75:
                                        ; implicit-def: $vgpr117
; %bb.76:
	s_or_saveexec_b64 s[0:1], s[0:1]
	v_pk_add_f32 v[16:17], v[16:17], v[18:19]
	s_xor_b64 exec, exec, s[0:1]
	s_cbranch_execz .LBB35_78
; %bb.77:
	v_add_u32_e32 v0, 0x410, v117
	ds_write2_b32 v0, v2, v3 offset1:16
	ds_write2_b32 v0, v4, v5 offset0:32 offset1:48
	ds_write2_b32 v0, v6, v7 offset0:64 offset1:80
	;; [unrolled: 1-line block ×7, first 2 shown]
.LBB35_78:
	s_or_b64 exec, exec, s[0:1]
	v_cmp_gt_u32_e32 vcc, 64, v116
	s_waitcnt lgkmcnt(0)
	s_barrier
	s_and_saveexec_b64 s[0:1], vcc
	s_cbranch_execz .LBB35_97
; %bb.79:
	v_cmp_eq_u32_e32 vcc, 0, v125
	s_and_saveexec_b64 s[2:3], vcc
	s_cbranch_execnz .LBB35_100
; %bb.80:
	s_or_b64 exec, exec, s[2:3]
	s_and_saveexec_b64 s[2:3], vcc
	s_cbranch_execnz .LBB35_101
.LBB35_81:
	s_or_b64 exec, exec, s[2:3]
	s_and_saveexec_b64 s[2:3], vcc
	s_cbranch_execnz .LBB35_102
.LBB35_82:
	s_or_b64 exec, exec, s[2:3]
	s_and_saveexec_b64 s[2:3], vcc
	s_cbranch_execnz .LBB35_103
.LBB35_83:
	s_or_b64 exec, exec, s[2:3]
	s_and_saveexec_b64 s[2:3], vcc
	s_cbranch_execnz .LBB35_104
.LBB35_84:
	s_or_b64 exec, exec, s[2:3]
	s_and_saveexec_b64 s[2:3], vcc
	s_cbranch_execnz .LBB35_105
.LBB35_85:
	s_or_b64 exec, exec, s[2:3]
	s_and_saveexec_b64 s[2:3], vcc
	s_cbranch_execnz .LBB35_106
.LBB35_86:
	s_or_b64 exec, exec, s[2:3]
	s_and_saveexec_b64 s[2:3], vcc
	s_cbranch_execnz .LBB35_107
.LBB35_87:
	s_or_b64 exec, exec, s[2:3]
	s_and_saveexec_b64 s[2:3], vcc
	s_cbranch_execnz .LBB35_108
.LBB35_88:
	s_or_b64 exec, exec, s[2:3]
	s_and_saveexec_b64 s[2:3], vcc
	s_cbranch_execnz .LBB35_109
.LBB35_89:
	s_or_b64 exec, exec, s[2:3]
	s_and_saveexec_b64 s[2:3], vcc
	s_cbranch_execnz .LBB35_110
.LBB35_90:
	s_or_b64 exec, exec, s[2:3]
	s_and_saveexec_b64 s[2:3], vcc
	s_cbranch_execnz .LBB35_111
.LBB35_91:
	s_or_b64 exec, exec, s[2:3]
	s_and_saveexec_b64 s[2:3], vcc
	s_cbranch_execnz .LBB35_112
.LBB35_92:
	s_or_b64 exec, exec, s[2:3]
	s_and_saveexec_b64 s[2:3], vcc
	s_cbranch_execnz .LBB35_113
.LBB35_93:
	s_or_b64 exec, exec, s[2:3]
	s_and_saveexec_b64 s[2:3], vcc
	s_cbranch_execnz .LBB35_114
.LBB35_94:
	s_or_b64 exec, exec, s[2:3]
	s_and_saveexec_b64 s[2:3], vcc
	s_cbranch_execz .LBB35_96
.LBB35_95:
	v_mov_b32_e32 v0, 0x410
	v_lshl_add_u32 v0, v115, 2, v0
	ds_read_b32 v0, v0 offset:960
	s_waitcnt lgkmcnt(0)
	v_add_f32_e32 v17, v17, v0
.LBB35_96:
	s_or_b64 exec, exec, s[2:3]
.LBB35_97:
	s_or_b64 exec, exec, s[0:1]
	v_cmp_eq_u32_e32 vcc, 0, v20
	s_barrier
	s_and_saveexec_b64 s[0:1], vcc
	s_cbranch_execz .LBB35_99
; %bb.98:
	s_mul_i32 s0, s16, s17
	s_mul_i32 s0, s0, s5
	s_lshl_b32 s0, s0, 8
	s_ashr_i32 s1, s0, 31
	s_lshl_b64 s[0:1], s[0:1], 2
	s_add_u32 s2, s18, s0
	s_mul_i32 s0, s17, s20
	s_addc_u32 s3, s19, s1
	s_ashr_i32 s1, s0, 31
	s_lshl_b64 s[0:1], s[0:1], 2
	s_add_u32 s2, s2, s0
	s_addc_u32 s3, s3, s1
	s_lshl_b32 s0, s4, 8
	s_ashr_i32 s1, s0, 31
	s_lshl_b64 s[0:1], s[0:1], 2
	s_add_u32 s0, s2, s0
	s_addc_u32 s1, s3, s1
	global_store_dword v114, v2, s[0:1]
	global_store_dword v114, v3, s[0:1] offset:64
	global_store_dword v114, v4, s[0:1] offset:128
	;; [unrolled: 1-line block ×15, first 2 shown]
.LBB35_99:
	s_endpgm
.LBB35_100:
	v_mov_b32_e32 v0, 0x410
	v_lshl_add_u32 v0, v115, 2, v0
	ds_read_b32 v0, v0
	s_waitcnt lgkmcnt(0)
	v_add_f32_e32 v2, v2, v0
	s_or_b64 exec, exec, s[2:3]
	s_and_saveexec_b64 s[2:3], vcc
	s_cbranch_execz .LBB35_81
.LBB35_101:
	v_mov_b32_e32 v0, 0x410
	v_lshl_add_u32 v0, v115, 2, v0
	ds_read_b32 v0, v0 offset:64
	s_waitcnt lgkmcnt(0)
	v_add_f32_e32 v3, v3, v0
	s_or_b64 exec, exec, s[2:3]
	s_and_saveexec_b64 s[2:3], vcc
	s_cbranch_execz .LBB35_82
.LBB35_102:
	v_mov_b32_e32 v0, 0x410
	v_lshl_add_u32 v0, v115, 2, v0
	ds_read_b32 v0, v0 offset:128
	s_waitcnt lgkmcnt(0)
	v_add_f32_e32 v4, v4, v0
	s_or_b64 exec, exec, s[2:3]
	s_and_saveexec_b64 s[2:3], vcc
	s_cbranch_execz .LBB35_83
.LBB35_103:
	v_mov_b32_e32 v0, 0x410
	v_lshl_add_u32 v0, v115, 2, v0
	ds_read_b32 v0, v0 offset:192
	s_waitcnt lgkmcnt(0)
	v_add_f32_e32 v5, v5, v0
	s_or_b64 exec, exec, s[2:3]
	s_and_saveexec_b64 s[2:3], vcc
	s_cbranch_execz .LBB35_84
.LBB35_104:
	v_mov_b32_e32 v0, 0x410
	v_lshl_add_u32 v0, v115, 2, v0
	ds_read_b32 v0, v0 offset:256
	s_waitcnt lgkmcnt(0)
	v_add_f32_e32 v6, v6, v0
	s_or_b64 exec, exec, s[2:3]
	s_and_saveexec_b64 s[2:3], vcc
	s_cbranch_execz .LBB35_85
.LBB35_105:
	v_mov_b32_e32 v0, 0x410
	v_lshl_add_u32 v0, v115, 2, v0
	ds_read_b32 v0, v0 offset:320
	s_waitcnt lgkmcnt(0)
	v_add_f32_e32 v7, v7, v0
	s_or_b64 exec, exec, s[2:3]
	s_and_saveexec_b64 s[2:3], vcc
	s_cbranch_execz .LBB35_86
.LBB35_106:
	v_mov_b32_e32 v0, 0x410
	v_lshl_add_u32 v0, v115, 2, v0
	ds_read_b32 v0, v0 offset:384
	s_waitcnt lgkmcnt(0)
	v_add_f32_e32 v14, v14, v0
	s_or_b64 exec, exec, s[2:3]
	s_and_saveexec_b64 s[2:3], vcc
	s_cbranch_execz .LBB35_87
.LBB35_107:
	v_mov_b32_e32 v0, 0x410
	v_lshl_add_u32 v0, v115, 2, v0
	ds_read_b32 v0, v0 offset:448
	s_waitcnt lgkmcnt(0)
	v_add_f32_e32 v15, v15, v0
	s_or_b64 exec, exec, s[2:3]
	s_and_saveexec_b64 s[2:3], vcc
	s_cbranch_execz .LBB35_88
.LBB35_108:
	v_mov_b32_e32 v0, 0x410
	v_lshl_add_u32 v0, v115, 2, v0
	ds_read_b32 v0, v0 offset:512
	s_waitcnt lgkmcnt(0)
	v_add_f32_e32 v12, v12, v0
	s_or_b64 exec, exec, s[2:3]
	s_and_saveexec_b64 s[2:3], vcc
	s_cbranch_execz .LBB35_89
.LBB35_109:
	v_mov_b32_e32 v0, 0x410
	v_lshl_add_u32 v0, v115, 2, v0
	ds_read_b32 v0, v0 offset:576
	s_waitcnt lgkmcnt(0)
	v_add_f32_e32 v13, v13, v0
	s_or_b64 exec, exec, s[2:3]
	s_and_saveexec_b64 s[2:3], vcc
	s_cbranch_execz .LBB35_90
.LBB35_110:
	v_mov_b32_e32 v0, 0x410
	v_lshl_add_u32 v0, v115, 2, v0
	ds_read_b32 v0, v0 offset:640
	s_waitcnt lgkmcnt(0)
	v_add_f32_e32 v10, v10, v0
	s_or_b64 exec, exec, s[2:3]
	s_and_saveexec_b64 s[2:3], vcc
	s_cbranch_execz .LBB35_91
.LBB35_111:
	v_mov_b32_e32 v0, 0x410
	v_lshl_add_u32 v0, v115, 2, v0
	ds_read_b32 v0, v0 offset:704
	s_waitcnt lgkmcnt(0)
	v_add_f32_e32 v11, v11, v0
	s_or_b64 exec, exec, s[2:3]
	s_and_saveexec_b64 s[2:3], vcc
	s_cbranch_execz .LBB35_92
.LBB35_112:
	v_mov_b32_e32 v0, 0x410
	v_lshl_add_u32 v0, v115, 2, v0
	ds_read_b32 v0, v0 offset:768
	s_waitcnt lgkmcnt(0)
	v_add_f32_e32 v8, v8, v0
	s_or_b64 exec, exec, s[2:3]
	s_and_saveexec_b64 s[2:3], vcc
	s_cbranch_execz .LBB35_93
.LBB35_113:
	v_mov_b32_e32 v0, 0x410
	v_lshl_add_u32 v0, v115, 2, v0
	ds_read_b32 v0, v0 offset:832
	s_waitcnt lgkmcnt(0)
	v_add_f32_e32 v9, v9, v0
	s_or_b64 exec, exec, s[2:3]
	s_and_saveexec_b64 s[2:3], vcc
	s_cbranch_execz .LBB35_94
.LBB35_114:
	v_mov_b32_e32 v0, 0x410
	v_lshl_add_u32 v0, v115, 2, v0
	ds_read_b32 v0, v0 offset:896
	s_waitcnt lgkmcnt(0)
	v_add_f32_e32 v16, v16, v0
	s_or_b64 exec, exec, s[2:3]
	s_and_saveexec_b64 s[2:3], vcc
	s_cbranch_execnz .LBB35_95
	s_branch .LBB35_96
	.section	.rodata,"a",@progbits
	.p2align	6, 0x0
	.amdhsa_kernel _ZN4vllm25paged_attention_v1_kernelIffLi256ELi16ELi128ELNS_18Fp8KVCacheDataTypeE0ELb0EEEvPT_PKS2_PKT0_S8_ifPKiSA_iPKfiiiSC_SC_iiiii
		.amdhsa_group_segment_fixed_size 1040
		.amdhsa_private_segment_fixed_size 100
		.amdhsa_kernarg_size 384
		.amdhsa_user_sgpr_count 2
		.amdhsa_user_sgpr_dispatch_ptr 0
		.amdhsa_user_sgpr_queue_ptr 0
		.amdhsa_user_sgpr_kernarg_segment_ptr 1
		.amdhsa_user_sgpr_dispatch_id 0
		.amdhsa_user_sgpr_kernarg_preload_length 0
		.amdhsa_user_sgpr_kernarg_preload_offset 0
		.amdhsa_user_sgpr_private_segment_size 0
		.amdhsa_uses_dynamic_stack 0
		.amdhsa_enable_private_segment 1
		.amdhsa_system_sgpr_workgroup_id_x 1
		.amdhsa_system_sgpr_workgroup_id_y 1
		.amdhsa_system_sgpr_workgroup_id_z 1
		.amdhsa_system_sgpr_workgroup_info 0
		.amdhsa_system_vgpr_workitem_id 0
		.amdhsa_next_free_vgpr 128
		.amdhsa_next_free_sgpr 38
		.amdhsa_accum_offset 128
		.amdhsa_reserve_vcc 1
		.amdhsa_float_round_mode_32 0
		.amdhsa_float_round_mode_16_64 0
		.amdhsa_float_denorm_mode_32 3
		.amdhsa_float_denorm_mode_16_64 3
		.amdhsa_dx10_clamp 1
		.amdhsa_ieee_mode 1
		.amdhsa_fp16_overflow 0
		.amdhsa_tg_split 0
		.amdhsa_exception_fp_ieee_invalid_op 0
		.amdhsa_exception_fp_denorm_src 0
		.amdhsa_exception_fp_ieee_div_zero 0
		.amdhsa_exception_fp_ieee_overflow 0
		.amdhsa_exception_fp_ieee_underflow 0
		.amdhsa_exception_fp_ieee_inexact 0
		.amdhsa_exception_int_div_zero 0
	.end_amdhsa_kernel
	.section	.text._ZN4vllm25paged_attention_v1_kernelIffLi256ELi16ELi128ELNS_18Fp8KVCacheDataTypeE0ELb0EEEvPT_PKS2_PKT0_S8_ifPKiSA_iPKfiiiSC_SC_iiiii,"axG",@progbits,_ZN4vllm25paged_attention_v1_kernelIffLi256ELi16ELi128ELNS_18Fp8KVCacheDataTypeE0ELb0EEEvPT_PKS2_PKT0_S8_ifPKiSA_iPKfiiiSC_SC_iiiii,comdat
.Lfunc_end35:
	.size	_ZN4vllm25paged_attention_v1_kernelIffLi256ELi16ELi128ELNS_18Fp8KVCacheDataTypeE0ELb0EEEvPT_PKS2_PKT0_S8_ifPKiSA_iPKfiiiSC_SC_iiiii, .Lfunc_end35-_ZN4vllm25paged_attention_v1_kernelIffLi256ELi16ELi128ELNS_18Fp8KVCacheDataTypeE0ELb0EEEvPT_PKS2_PKT0_S8_ifPKiSA_iPKfiiiSC_SC_iiiii
                                        ; -- End function
	.section	.AMDGPU.csdata,"",@progbits
; Kernel info:
; codeLenInByte = 8080
; NumSgprs: 44
; NumVgprs: 128
; NumAgprs: 0
; TotalNumVgprs: 128
; ScratchSize: 100
; MemoryBound: 0
; FloatMode: 240
; IeeeMode: 1
; LDSByteSize: 1040 bytes/workgroup (compile time only)
; SGPRBlocks: 5
; VGPRBlocks: 15
; NumSGPRsForWavesPerEU: 44
; NumVGPRsForWavesPerEU: 128
; AccumOffset: 128
; Occupancy: 4
; WaveLimiterHint : 1
; COMPUTE_PGM_RSRC2:SCRATCH_EN: 1
; COMPUTE_PGM_RSRC2:USER_SGPR: 2
; COMPUTE_PGM_RSRC2:TRAP_HANDLER: 0
; COMPUTE_PGM_RSRC2:TGID_X_EN: 1
; COMPUTE_PGM_RSRC2:TGID_Y_EN: 1
; COMPUTE_PGM_RSRC2:TGID_Z_EN: 1
; COMPUTE_PGM_RSRC2:TIDIG_COMP_CNT: 0
; COMPUTE_PGM_RSRC3_GFX90A:ACCUM_OFFSET: 31
; COMPUTE_PGM_RSRC3_GFX90A:TG_SPLIT: 0
	.section	.text._ZN4vllm25paged_attention_v1_kernelIffLi32ELi32ELi128ELNS_18Fp8KVCacheDataTypeE0ELb1EEEvPT_PKS2_PKT0_S8_ifPKiSA_iPKfiiiSC_SC_iiiii,"axG",@progbits,_ZN4vllm25paged_attention_v1_kernelIffLi32ELi32ELi128ELNS_18Fp8KVCacheDataTypeE0ELb1EEEvPT_PKS2_PKT0_S8_ifPKiSA_iPKfiiiSC_SC_iiiii,comdat
	.protected	_ZN4vllm25paged_attention_v1_kernelIffLi32ELi32ELi128ELNS_18Fp8KVCacheDataTypeE0ELb1EEEvPT_PKS2_PKT0_S8_ifPKiSA_iPKfiiiSC_SC_iiiii ; -- Begin function _ZN4vllm25paged_attention_v1_kernelIffLi32ELi32ELi128ELNS_18Fp8KVCacheDataTypeE0ELb1EEEvPT_PKS2_PKT0_S8_ifPKiSA_iPKfiiiSC_SC_iiiii
	.globl	_ZN4vllm25paged_attention_v1_kernelIffLi32ELi32ELi128ELNS_18Fp8KVCacheDataTypeE0ELb1EEEvPT_PKS2_PKT0_S8_ifPKiSA_iPKfiiiSC_SC_iiiii
	.p2align	8
	.type	_ZN4vllm25paged_attention_v1_kernelIffLi32ELi32ELi128ELNS_18Fp8KVCacheDataTypeE0ELb1EEEvPT_PKS2_PKT0_S8_ifPKiSA_iPKfiiiSC_SC_iiiii,@function
_ZN4vllm25paged_attention_v1_kernelIffLi32ELi32ELi128ELNS_18Fp8KVCacheDataTypeE0ELb1EEEvPT_PKS2_PKT0_S8_ifPKiSA_iPKfiiiSC_SC_iiiii: ; @_ZN4vllm25paged_attention_v1_kernelIffLi32ELi32ELi128ELNS_18Fp8KVCacheDataTypeE0ELb1EEEvPT_PKS2_PKT0_S8_ifPKiSA_iPKfiiiSC_SC_iiiii
; %bb.0:
	s_load_dword s5, s[0:1], 0x80
	s_load_dwordx2 s[6:7], s[0:1], 0x30
	s_load_dwordx2 s[30:31], s[0:1], 0x20
	s_mov_b32 s10, s3
	s_ashr_i32 s11, s3, 31
	s_lshl_b64 s[8:9], s[10:11], 2
	s_waitcnt lgkmcnt(0)
	s_add_u32 s6, s6, s8
	s_addc_u32 s7, s7, s9
	s_abs_i32 s3, s30
	v_cvt_f32_u32_e32 v1, s3
	s_sub_i32 s11, 0, s3
	s_abs_i32 s9, s5
	s_xor_b32 s8, s5, s30
	v_rcp_iflag_f32_e32 v1, v1
	s_ashr_i32 s8, s8, 31
	s_mov_b32 s42, 0
	v_mul_f32_e32 v1, 0x4f7ffffe, v1
	v_cvt_u32_f32_e32 v1, v1
	s_nop 0
	v_readfirstlane_b32 s12, v1
	s_mul_i32 s11, s11, s12
	s_mul_hi_u32 s11, s12, s11
	s_add_i32 s12, s12, s11
	s_mul_hi_u32 s11, s9, s12
	s_mul_i32 s12, s11, s3
	s_sub_i32 s9, s9, s12
	s_add_i32 s12, s11, 1
	s_sub_i32 s13, s9, s3
	s_cmp_ge_u32 s9, s3
	s_cselect_b32 s11, s12, s11
	s_cselect_b32 s9, s13, s9
	s_add_i32 s12, s11, 1
	s_cmp_ge_u32 s9, s3
	s_cselect_b32 s3, s12, s11
	s_xor_b32 s3, s3, s8
	s_sub_i32 s12, s3, s8
	s_abs_i32 s11, s12
	v_cvt_f32_u32_e32 v1, s11
	s_load_dwordx2 s[8:9], s[0:1], 0x40
	s_sub_i32 s3, 0, s11
	s_abs_i32 s22, s2
	v_rcp_iflag_f32_e32 v1, v1
	s_nop 0
	v_mul_f32_e32 v1, 0x4f7ffffe, v1
	v_cvt_u32_f32_e32 v1, v1
	s_nop 0
	v_readfirstlane_b32 s13, v1
	s_mul_i32 s3, s3, s13
	s_mul_hi_u32 s3, s13, s3
	s_add_i32 s13, s13, s3
	s_waitcnt lgkmcnt(0)
	s_cmp_eq_u64 s[8:9], 0
	s_mul_hi_u32 s23, s22, s13
	s_cbranch_scc1 .LBB36_2
; %bb.1:
	s_ashr_i32 s3, s2, 31
	s_lshl_b64 s[14:15], s[2:3], 2
	s_add_u32 s8, s8, s14
	s_addc_u32 s9, s9, s15
	s_load_dword s42, s[8:9], 0x0
.LBB36_2:
	s_load_dword s33, s[6:7], 0x0
	s_ashr_i32 s9, s12, 31
	s_load_dwordx4 s[12:15], s[0:1], 0x48
	s_ashr_i32 s8, s2, 31
	v_and_b32_e32 v4, 1, v0
	s_lshl_b32 s20, s2, 5
	v_cmp_gt_u32_e32 vcc, 16, v0
	v_lshlrev_b32_e32 v2, 3, v0
	v_lshlrev_b32_e32 v6, 2, v0
	s_and_saveexec_b64 s[6:7], vcc
	s_cbranch_execz .LBB36_4
; %bb.3:
	s_load_dwordx2 s[16:17], s[0:1], 0x8
	s_waitcnt lgkmcnt(0)
	s_mul_i32 s18, s10, s12
	s_ashr_i32 s19, s18, 31
	s_lshl_b64 s[18:19], s[18:19], 2
	v_and_b32_e32 v1, 0xff8, v6
	s_add_u32 s3, s16, s18
	s_addc_u32 s12, s17, s19
	s_ashr_i32 s21, s20, 31
	s_lshl_b64 s[16:17], s[20:21], 2
	s_add_u32 s16, s3, s16
	s_addc_u32 s17, s12, s17
	global_load_dwordx2 v[8:9], v2, s[16:17]
	v_lshl_add_u32 v1, v4, 6, v1
	s_waitcnt vmcnt(0)
	ds_write_b64 v1, v[8:9]
.LBB36_4:
	s_or_b64 exec, exec, s[6:7]
	s_mul_i32 s7, s23, s11
	s_sub_i32 s7, s22, s7
	s_xor_b32 s6, s8, s9
	s_add_i32 s8, s23, 1
	s_sub_i32 s9, s7, s11
	s_load_dwordx4 s[16:19], s[0:1], 0x68
	s_load_dword s3, s[0:1], 0x78
	s_cmp_ge_u32 s7, s11
	s_cselect_b32 s8, s8, s23
	s_cselect_b32 s7, s9, s7
	s_add_i32 s9, s8, 1
	s_cmp_ge_u32 s7, s11
	s_cselect_b32 s7, s9, s8
	s_waitcnt lgkmcnt(0)
	s_abs_i32 s21, s19
	v_cvt_f32_u32_e32 v1, s21
	s_xor_b32 s7, s7, s6
	s_sub_i32 s8, s7, s6
	s_sub_i32 s6, 0, s21
	v_rcp_iflag_f32_e32 v1, v1
	s_add_i32 s11, s33, -1
	s_abs_i32 s9, s11
	v_mul_f32_e32 v1, 0x4f7ffffe, v1
	v_cvt_u32_f32_e32 v1, v1
	s_barrier
	v_readfirstlane_b32 s40, v1
	s_mul_i32 s6, s6, s40
	s_mul_hi_u32 s6, s40, s6
	s_add_i32 s40, s40, s6
	s_cmp_lt_i32 s3, 0
	s_mul_hi_u32 s12, s9, s40
	s_cbranch_scc0 .LBB36_6
; %bb.5:
	s_mul_i32 s6, s16, s30
	s_add_i32 s6, s8, s6
	s_mul_i32 s6, s6, s3
	s_sub_i32 s41, 1, s6
	s_mov_b64 s[6:7], 0
	s_branch .LBB36_7
.LBB36_6:
	s_mov_b64 s[6:7], -1
                                        ; implicit-def: $sgpr41
.LBB36_7:
	s_load_dwordx2 s[24:25], s[0:1], 0x28
	s_ashr_i32 s15, s11, 31
	s_andn2_b64 vcc, exec, s[6:7]
	s_ashr_i32 s19, s19, 31
	s_cbranch_vccnz .LBB36_9
; %bb.8:
	s_mul_i32 s6, s5, s16
	s_add_i32 s2, s6, s2
	s_mul_i32 s2, s2, s3
	s_add_i32 s41, s2, 1
.LBB36_9:
	s_load_dword s2, s[0:1], 0x38
	s_load_dwordx2 s[22:23], s[0:1], 0x0
	s_load_dwordx2 s[28:29], s[0:1], 0x18
	s_load_dword s11, s[0:1], 0x88
	s_xor_b32 s3, s15, s19
	s_waitcnt lgkmcnt(0)
	s_mul_i32 s26, s10, s2
	s_mul_i32 s2, s12, s21
	s_sub_i32 s2, s9, s2
	s_ashr_i32 s27, s26, 31
	s_add_i32 s6, s12, 1
	s_sub_i32 s7, s2, s21
	s_cmp_ge_u32 s2, s21
	s_cselect_b32 s6, s6, s12
	s_cselect_b32 s2, s7, s2
	s_add_i32 s7, s6, 1
	s_cmp_ge_u32 s2, s21
	s_cselect_b32 s2, s7, s6
	s_xor_b32 s2, s2, s3
	s_sub_i32 s12, s2, s3
	s_add_i32 s2, s33, 31
	s_ashr_i32 s3, s2, 31
	s_lshr_b32 s3, s3, 27
	s_add_i32 s2, s2, s3
	s_ashr_i32 s16, s2, 5
	v_lshrrev_b32_e32 v1, 6, v0
	v_cmp_gt_i32_e64 s[2:3], s16, v1
	v_mov_b32_e32 v10, 0xff7fffff
	s_mul_i32 s14, s8, s14
	v_lshrrev_b32_e32 v7, 4, v0
	v_lshlrev_b32_e32 v30, 5, v1
	v_mbcnt_lo_u32_b32 v8, -1, 0
	s_and_saveexec_b64 s[34:35], s[2:3]
	s_cbranch_execz .LBB36_19
; %bb.10:
	s_load_dwordx2 s[0:1], s[0:1], 0x10
	s_ashr_i32 s15, s14, 31
	s_sub_i32 s30, s12, s17
	s_lshl_b64 s[6:7], s[14:15], 2
	v_bfe_u32 v9, v0, 1, 5
	s_waitcnt lgkmcnt(0)
	s_add_u32 s0, s0, s6
	s_addc_u32 s1, s1, s7
	s_abs_i32 s15, s18
	v_cvt_f32_u32_e32 v3, s15
	v_lshlrev_b32_e32 v14, 4, v9
	v_mov_b32_e32 v15, 0
	v_lshl_add_u64 v[10:11], s[0:1], 0, v[14:15]
	v_rcp_iflag_f32_e32 v5, v3
	v_and_b32_e32 v14, 8, v2
	s_sub_i32 s6, 0, s15
	v_cmp_eq_u32_e32 vcc, 0, v4
	v_mul_f32_e32 v5, 0x4f7ffffe, v5
	v_cvt_u32_f32_e32 v5, v5
	v_lshl_add_u64 v[2:3], v[10:11], 0, v[14:15]
	v_lshlrev_b32_e32 v11, 6, v4
	v_lshlrev_b32_e32 v16, 2, v9
	v_mul_lo_u32 v4, s6, v5
	s_lshl_b64 s[6:7], s[26:27], 2
	s_add_u32 s6, s24, s6
	v_mul_hi_u32 v4, v5, v4
	v_and_b32_e32 v14, 60, v7
	s_addc_u32 s7, s25, s7
	v_lshl_or_b32 v10, v1, 7, v16
	v_add_u32_e32 v12, v5, v4
	v_lshl_add_u64 v[4:5], s[6:7], 0, v[14:15]
	v_add_u32_e32 v14, 0x90, v10
	v_subrev_u32_e32 v10, s33, v9
	v_mbcnt_hi_u32_b32 v17, -1, v8
	v_add_u32_e32 v15, 1, v10
	v_and_b32_e32 v10, 64, v17
	s_mov_b32 s43, s13
	v_cmp_neq_f32_e64 s[0:1], s42, 0
	v_lshlrev_b32_e32 v13, 5, v1
	s_mov_b64 s[36:37], 0
	v_mov_b32_e32 v16, 0xff7fffff
	v_xor_b32_e32 v18, 1, v17
	v_add_u32_e32 v19, 64, v10
	v_mov_b32_e32 v10, 0xff7fffff
	v_mov_b32_e32 v20, v1
	s_branch .LBB36_13
.LBB36_11:                              ;   in Loop: Header=BB36_13 Depth=1
	s_or_b64 exec, exec, s[38:39]
.LBB36_12:                              ;   in Loop: Header=BB36_13 Depth=1
	s_or_b64 exec, exec, s[8:9]
	v_add_u32_e32 v20, 2, v20
	v_cmp_le_i32_e64 s[6:7], s16, v20
	v_lshl_add_u64 v[4:5], v[4:5], 0, 8
	v_add_u32_e32 v13, 64, v13
	s_or_b64 s[36:37], s[6:7], s[36:37]
	v_add_u32_e32 v14, 0x100, v14
	s_andn2_b64 exec, exec, s[36:37]
	s_cbranch_execz .LBB36_18
.LBB36_13:                              ; =>This Inner Loop Header: Depth=1
	v_mul_hi_u32 v21, v13, s40
	s_waitcnt lgkmcnt(0)
	v_mul_lo_u32 v22, v21, s21
	v_sub_u32_e32 v22, v13, v22
	v_add_u32_e32 v23, 1, v21
	v_cmp_le_u32_e64 s[6:7], s21, v22
	s_nop 1
	v_cndmask_b32_e64 v21, v21, v23, s[6:7]
	v_subrev_u32_e32 v23, s21, v22
	v_cndmask_b32_e64 v22, v22, v23, s[6:7]
	v_add_u32_e32 v23, 1, v21
	v_cmp_le_u32_e64 s[6:7], s21, v22
	s_nop 1
	v_cndmask_b32_e64 v21, v21, v23, s[6:7]
	v_xor_b32_e32 v21, s19, v21
	v_subrev_u32_e32 v21, s19, v21
	v_add_u32_e32 v22, s41, v21
	v_sub_u32_e32 v24, 0, v22
	v_ashrrev_i32_e32 v23, 31, v22
	v_max_i32_e32 v22, v22, v24
	v_mul_hi_u32 v24, v22, v12
	v_mul_lo_u32 v24, v24, s15
	v_sub_u32_e32 v22, v22, v24
	v_subrev_u32_e32 v24, s15, v22
	v_cmp_le_u32_e64 s[6:7], s15, v22
	v_cmp_ge_i32_e64 s[8:9], s30, v21
	s_nop 0
	v_cndmask_b32_e64 v22, v22, v24, s[6:7]
	v_subrev_u32_e32 v24, s15, v22
	v_cmp_le_u32_e64 s[6:7], s15, v22
	s_nop 1
	v_cndmask_b32_e64 v22, v22, v24, s[6:7]
	v_xor_b32_e32 v22, v22, v23
	v_sub_u32_e32 v22, v22, v23
	v_cmp_ne_u32_e64 s[6:7], 0, v22
	s_and_b64 s[6:7], s[6:7], s[8:9]
	s_and_b64 s[38:39], vcc, s[6:7]
	s_and_saveexec_b64 s[8:9], s[38:39]
	s_cbranch_execz .LBB36_15
; %bb.14:                               ;   in Loop: Header=BB36_13 Depth=1
	ds_write_b32 v14, v16
.LBB36_15:                              ;   in Loop: Header=BB36_13 Depth=1
	s_or_b64 exec, exec, s[8:9]
	s_xor_b64 s[6:7], s[6:7], -1
	s_and_saveexec_b64 s[8:9], s[6:7]
	s_cbranch_execz .LBB36_12
; %bb.16:                               ;   in Loop: Header=BB36_13 Depth=1
	global_load_dword v21, v[4:5], off
	s_waitcnt vmcnt(0)
	v_mad_i64_i32 v[22:23], s[6:7], v21, s43, 0
	v_lshl_add_u64 v[22:23], v[22:23], 2, v[2:3]
	global_load_dwordx2 v[40:41], v[22:23], off offset:512
	global_load_dwordx2 v[42:43], v[22:23], off
	global_load_dwordx2 v[44:45], v[22:23], off offset:1024
	global_load_dwordx2 v[46:47], v[22:23], off offset:1536
	;; [unrolled: 1-line block ×6, first 2 shown]
	ds_read_b128 v[22:25], v11
	ds_read_b128 v[26:29], v11 offset:16
	ds_read_b128 v[32:35], v11 offset:32
	;; [unrolled: 1-line block ×3, first 2 shown]
	v_cmp_lt_i32_e64 s[6:7], v18, v19
	s_nop 1
	v_cndmask_b32_e64 v21, v17, v18, s[6:7]
	v_lshlrev_b32_e32 v31, 2, v21
	s_waitcnt vmcnt(7) lgkmcnt(3)
	v_mul_f32_e32 v21, v24, v40
	v_mul_f32_e32 v24, v25, v41
	s_waitcnt vmcnt(6)
	v_fmac_f32_e32 v21, v22, v42
	v_fmac_f32_e32 v24, v23, v43
	s_waitcnt vmcnt(5) lgkmcnt(2)
	v_fmac_f32_e32 v21, v26, v44
	v_fmac_f32_e32 v24, v27, v45
	s_waitcnt vmcnt(4)
	v_fmac_f32_e32 v21, v28, v46
	v_fmac_f32_e32 v24, v29, v47
	s_waitcnt vmcnt(3) lgkmcnt(1)
	v_fmac_f32_e32 v21, v32, v48
	v_fmac_f32_e32 v24, v33, v49
	;; [unrolled: 6-line block ×3, first 2 shown]
	s_waitcnt vmcnt(0)
	v_fmac_f32_e32 v21, v38, v54
	v_fmac_f32_e32 v24, v39, v55
	v_add_f32_e32 v21, v21, v24
	ds_bpermute_b32 v22, v31, v21
	s_and_saveexec_b64 s[38:39], vcc
	s_cbranch_execz .LBB36_11
; %bb.17:                               ;   in Loop: Header=BB36_13 Depth=1
	v_add_u32_e32 v23, v15, v13
	v_cvt_f32_i32_e32 v23, v23
	s_waitcnt lgkmcnt(0)
	v_add_f32_e32 v21, v21, v22
	v_add_u32_e32 v24, v9, v13
	v_cmp_gt_i32_e64 s[6:7], s33, v24
	v_mul_f32_e32 v22, s42, v23
	v_cndmask_b32_e64 v22, 0, v22, s[0:1]
	v_fmac_f32_e32 v22, s31, v21
	v_cndmask_b32_e64 v21, 0, v22, s[6:7]
	ds_write_b32 v14, v21
	v_max_f32_e32 v21, v10, v10
	v_max_f32_e32 v21, v21, v22
	v_cndmask_b32_e64 v10, v10, v21, s[6:7]
	s_branch .LBB36_11
.LBB36_18:
	s_or_b64 exec, exec, s[36:37]
.LBB36_19:
	s_or_b64 exec, exec, s[34:35]
	v_mbcnt_hi_u32_b32 v9, -1, v8
	v_and_b32_e32 v2, 64, v9
	v_add_u32_e32 v11, 64, v2
	v_xor_b32_e32 v2, 32, v9
	v_cmp_lt_i32_e32 vcc, v2, v11
	v_xor_b32_e32 v5, 16, v9
	v_max_f32_e32 v4, v10, v10
	v_cndmask_b32_e32 v2, v9, v2, vcc
	v_lshlrev_b32_e32 v2, 2, v2
	ds_bpermute_b32 v3, v2, v10
	v_cmp_lt_i32_e32 vcc, v5, v11
	v_xor_b32_e32 v8, 8, v9
	v_xor_b32_e32 v10, 4, v9
	v_and_b32_e32 v31, 63, v0
	s_waitcnt lgkmcnt(0)
	v_max_f32_e32 v3, v3, v3
	v_max_f32_e32 v4, v4, v3
	v_cndmask_b32_e32 v3, v9, v5, vcc
	v_lshlrev_b32_e32 v3, 2, v3
	ds_bpermute_b32 v5, v3, v4
	v_cmp_lt_i32_e32 vcc, v8, v11
	s_waitcnt lgkmcnt(0)
	v_max_f32_e32 v5, v5, v5
	v_max_f32_e32 v5, v4, v5
	v_cndmask_b32_e32 v4, v9, v8, vcc
	v_lshlrev_b32_e32 v4, 2, v4
	ds_bpermute_b32 v8, v4, v5
	v_cmp_lt_i32_e32 vcc, v10, v11
	s_waitcnt lgkmcnt(0)
	v_max_f32_e32 v8, v8, v8
	v_max_f32_e32 v5, v5, v8
	v_cndmask_b32_e32 v8, v9, v10, vcc
	v_lshlrev_b32_e32 v33, 2, v8
	ds_bpermute_b32 v8, v33, v5
	v_xor_b32_e32 v10, 2, v9
	v_cmp_lt_i32_e32 vcc, v10, v11
	s_waitcnt lgkmcnt(0)
	v_max_f32_e32 v8, v8, v8
	v_max_f32_e32 v8, v5, v8
	v_cndmask_b32_e32 v5, v9, v10, vcc
	v_lshlrev_b32_e32 v32, 2, v5
	ds_bpermute_b32 v10, v32, v8
	v_cmp_eq_u32_e32 vcc, 0, v31
	v_lshlrev_b32_e32 v5, 2, v1
	s_and_saveexec_b64 s[0:1], vcc
	s_cbranch_execz .LBB36_21
; %bb.20:
	s_waitcnt lgkmcnt(0)
	v_max_f32_e32 v10, v10, v10
	v_max_f32_e32 v8, v8, v8
	;; [unrolled: 1-line block ×3, first 2 shown]
	ds_write_b32 v5, v8 offset:128
.LBB36_21:
	s_or_b64 exec, exec, s[0:1]
	v_cmp_gt_u32_e64 s[0:1], 2, v31
	s_waitcnt lgkmcnt(0)
	v_mov_b32_e32 v10, 0xff7fffff
	v_lshlrev_b32_e32 v8, 2, v31
	s_barrier
	s_and_saveexec_b64 s[6:7], s[0:1]
	s_cbranch_execz .LBB36_23
; %bb.22:
	ds_read_b32 v10, v8 offset:128
.LBB36_23:
	s_or_b64 exec, exec, s[6:7]
	v_xor_b32_e32 v12, 1, v9
	v_cmp_lt_i32_e64 s[6:7], v12, v11
	s_nop 1
	v_cndmask_b32_e64 v11, v9, v12, s[6:7]
	v_lshlrev_b32_e32 v34, 2, v11
	s_waitcnt lgkmcnt(0)
	ds_bpermute_b32 v11, v34, v10
	v_max_f32_e32 v10, v10, v10
	v_lshlrev_b32_e32 v9, 2, v9
	v_and_b32_e32 v9, 0x100, v9
	s_lshl_b32 s6, s16, 5
	s_waitcnt lgkmcnt(0)
	v_max_f32_e32 v11, v11, v11
	v_max_f32_e32 v10, v10, v11
	ds_bpermute_b32 v11, v9, v10
	s_min_i32 s15, s6, s33
	v_cmp_gt_i32_e64 s[6:7], s15, v0
	v_mov_b32_e32 v10, 0
	s_and_saveexec_b64 s[30:31], s[6:7]
	s_cbranch_execz .LBB36_27
; %bb.24:
	v_mov_b32_e32 v10, 0x90
	v_lshl_add_u32 v12, v0, 2, v10
	s_mov_b64 s[34:35], 0
	v_mov_b32_e32 v10, 0
	v_mov_b32_e32 v13, v0
.LBB36_25:                              ; =>This Inner Loop Header: Depth=1
	ds_read_b32 v14, v12
	v_add_u32_e32 v13, 0x80, v13
	v_cmp_le_i32_e64 s[8:9], s15, v13
	s_or_b64 s[34:35], s[8:9], s[34:35]
	s_waitcnt lgkmcnt(0)
	v_sub_f32_e32 v14, v14, v11
	v_mul_f32_e32 v14, 0x3fb8aa3b, v14
	v_exp_f32_e32 v14, v14
	ds_write_b32 v12, v14
	v_add_f32_e32 v10, v10, v14
	v_add_u32_e32 v12, 0x200, v12
	s_andn2_b64 exec, exec, s[34:35]
	s_cbranch_execnz .LBB36_25
; %bb.26:
	s_or_b64 exec, exec, s[34:35]
.LBB36_27:
	s_or_b64 exec, exec, s[30:31]
	ds_bpermute_b32 v2, v2, v10
	s_waitcnt lgkmcnt(0)
	v_add_f32_e32 v2, v10, v2
	ds_bpermute_b32 v3, v3, v2
	s_waitcnt lgkmcnt(0)
	v_add_f32_e32 v2, v2, v3
	;; [unrolled: 3-line block ×6, first 2 shown]
	s_and_saveexec_b64 s[8:9], vcc
	s_cbranch_execz .LBB36_29
; %bb.28:
	ds_write_b32 v5, v2 offset:136
.LBB36_29:
	s_or_b64 exec, exec, s[8:9]
	s_waitcnt lgkmcnt(0)
	s_barrier
	s_and_saveexec_b64 s[8:9], s[0:1]
	s_cbranch_execz .LBB36_31
; %bb.30:
	ds_read_b32 v2, v8 offset:136
.LBB36_31:
	s_or_b64 exec, exec, s[8:9]
	s_waitcnt lgkmcnt(0)
	ds_bpermute_b32 v3, v34, v2
	s_waitcnt lgkmcnt(0)
	v_add_f32_e32 v2, v2, v3
	ds_bpermute_b32 v2, v9, v2
	s_and_saveexec_b64 s[0:1], s[6:7]
	s_cbranch_execz .LBB36_44
; %bb.32:
	s_waitcnt lgkmcnt(0)
	v_add_f32_e32 v2, 0x358637bd, v2
	v_div_scale_f32 v3, s[6:7], v2, v2, 1.0
	v_rcp_f32_e32 v4, v3
	v_div_scale_f32 v5, vcc, 1.0, v2, 1.0
	s_movk_i32 s6, 0x7f
	v_fma_f32 v8, -v3, v4, 1.0
	v_fmac_f32_e32 v4, v8, v4
	v_mul_f32_e32 v8, v5, v4
	v_fma_f32 v9, -v3, v8, v5
	v_fmac_f32_e32 v8, v9, v4
	v_fma_f32 v3, -v3, v8, v5
	v_div_fmas_f32 v3, v3, v4, v8
	v_xad_u32 v4, v0, -1, s15
	v_div_fixup_f32 v2, v3, v2, 1.0
	v_cmp_lt_u32_e32 vcc, s6, v4
	s_mov_b64 s[8:9], -1
	v_mov_b32_e32 v3, v0
	s_and_saveexec_b64 s[6:7], vcc
	s_cbranch_execz .LBB36_41
; %bb.33:
	v_lshrrev_b32_e32 v4, 7, v4
	v_add_u32_e32 v8, -1, v4
	v_lshrrev_b32_e32 v5, 1, v8
	v_mov_b32_e32 v3, v2
	v_add_u32_e32 v5, 1, v5
	v_cmp_lt_u32_e32 vcc, 13, v8
	v_mov_b32_e32 v10, 0
	s_and_saveexec_b64 s[8:9], vcc
	s_cbranch_execz .LBB36_37
; %bb.34:
	v_mov_b32_e32 v9, 0x90
	v_and_b32_e32 v8, -8, v5
	v_lshl_add_u32 v9, v0, 2, v9
	s_mov_b32 s34, 0
	s_mov_b64 s[30:31], 0
.LBB36_35:                              ; =>This Inner Loop Header: Depth=1
	ds_read2st64_b32 v[10:11], v9 offset1:2
	ds_read2st64_b32 v[12:13], v9 offset0:4 offset1:6
	ds_read2st64_b32 v[14:15], v9 offset0:8 offset1:10
	;; [unrolled: 1-line block ×3, first 2 shown]
	v_add_u32_e32 v8, -8, v8
	s_waitcnt lgkmcnt(3)
	v_pk_mul_f32 v[10:11], v[2:3], v[10:11]
	s_waitcnt lgkmcnt(2)
	v_pk_mul_f32 v[12:13], v[2:3], v[12:13]
	ds_write2st64_b32 v9, v10, v11 offset1:2
	ds_write2st64_b32 v9, v12, v13 offset0:4 offset1:6
	ds_read2st64_b32 v[12:13], v9 offset0:16 offset1:18
	s_waitcnt lgkmcnt(4)
	v_pk_mul_f32 v[10:11], v[2:3], v[14:15]
	ds_write2st64_b32 v9, v10, v11 offset0:8 offset1:10
	s_waitcnt lgkmcnt(4)
	v_pk_mul_f32 v[10:11], v[2:3], v[16:17]
	ds_write2st64_b32 v9, v10, v11 offset0:12 offset1:14
	ds_read2st64_b32 v[10:11], v9 offset0:20 offset1:22
	s_waitcnt lgkmcnt(3)
	v_pk_mul_f32 v[12:13], v[2:3], v[12:13]
	ds_read2st64_b32 v[14:15], v9 offset0:24 offset1:26
	ds_write2st64_b32 v9, v12, v13 offset0:16 offset1:18
	ds_read2st64_b32 v[12:13], v9 offset0:28 offset1:30
	s_waitcnt lgkmcnt(3)
	v_pk_mul_f32 v[10:11], v[2:3], v[10:11]
	ds_write2st64_b32 v9, v10, v11 offset0:20 offset1:22
	s_waitcnt lgkmcnt(3)
	v_pk_mul_f32 v[10:11], v[2:3], v[14:15]
	ds_write2st64_b32 v9, v10, v11 offset0:24 offset1:26
	s_waitcnt lgkmcnt(2)
	v_pk_mul_f32 v[10:11], v[2:3], v[12:13]
	s_add_i32 s34, s34, 16
	v_cmp_eq_u32_e32 vcc, 0, v8
	ds_write2st64_b32 v9, v10, v11 offset0:28 offset1:30
	v_add_u32_e32 v9, 0x2000, v9
	s_or_b64 s[30:31], vcc, s[30:31]
	v_mov_b32_e32 v10, s34
	s_andn2_b64 exec, exec, s[30:31]
	s_cbranch_execnz .LBB36_35
; %bb.36:
	s_or_b64 exec, exec, s[30:31]
.LBB36_37:
	s_or_b64 exec, exec, s[8:9]
	v_and_b32_e32 v5, 7, v5
	v_cmp_ne_u32_e32 vcc, 0, v5
	s_and_saveexec_b64 s[8:9], vcc
	s_cbranch_execz .LBB36_40
; %bb.38:
	v_lshlrev_b32_e32 v8, 9, v10
	s_movk_i32 s30, 0x90
	v_add3_u32 v8, v8, v6, s30
	s_mov_b64 s[30:31], 0
.LBB36_39:                              ; =>This Inner Loop Header: Depth=1
	ds_read2st64_b32 v[10:11], v8 offset1:2
	v_add_u32_e32 v5, -1, v5
	v_cmp_eq_u32_e32 vcc, 0, v5
	s_or_b64 s[30:31], vcc, s[30:31]
	s_waitcnt lgkmcnt(0)
	v_pk_mul_f32 v[10:11], v[2:3], v[10:11]
	ds_write2st64_b32 v8, v10, v11 offset1:2
	v_add_u32_e32 v8, 0x400, v8
	s_andn2_b64 exec, exec, s[30:31]
	s_cbranch_execnz .LBB36_39
.LBB36_40:
	s_or_b64 exec, exec, s[8:9]
	v_add_u32_e32 v4, 1, v4
	v_and_b32_e32 v5, 0x3fffffe, v4
	v_cmp_ne_u32_e32 vcc, v4, v5
	v_lshl_add_u32 v3, v5, 7, v0
	s_orn2_b64 s[8:9], vcc, exec
.LBB36_41:
	s_or_b64 exec, exec, s[6:7]
	s_and_b64 exec, exec, s[8:9]
	s_cbranch_execz .LBB36_44
; %bb.42:
	v_mov_b32_e32 v4, 0x90
	v_lshl_add_u32 v4, v3, 2, v4
	s_mov_b64 s[6:7], 0
.LBB36_43:                              ; =>This Inner Loop Header: Depth=1
	ds_read_b32 v5, v4
	v_add_u32_e32 v3, 0x80, v3
	v_cmp_le_i32_e32 vcc, s15, v3
	s_or_b64 s[6:7], vcc, s[6:7]
	s_waitcnt lgkmcnt(0)
	v_mul_f32_e32 v5, v2, v5
	ds_write_b32 v4, v5
	v_add_u32_e32 v4, 0x200, v4
	s_andn2_b64 exec, exec, s[6:7]
	s_cbranch_execnz .LBB36_43
.LBB36_44:
	s_or_b64 exec, exec, s[0:1]
	v_mov_b32_e32 v5, 0
	v_and_b32_e32 v35, 7, v0
	v_mov_b32_e32 v4, 0
	v_mov_b32_e32 v3, 0
	s_waitcnt lgkmcnt(0)
	v_mov_b32_e32 v2, 0
	s_barrier
	s_and_saveexec_b64 s[6:7], s[2:3]
	s_cbranch_execz .LBB36_58
; %bb.45:
	s_ashr_i32 s15, s14, 31
	s_sub_i32 s17, s12, s17
	s_lshl_b64 s[0:1], s[14:15], 2
	s_add_u32 s0, s28, s0
	s_addc_u32 s1, s29, s1
	s_abs_i32 s14, s18
	v_cvt_f32_u32_e32 v2, s14
	s_sub_i32 s2, 0, s14
	v_lshlrev_b32_e32 v4, 4, v0
	v_mov_b32_e32 v3, 0
	v_rcp_iflag_f32_e32 v2, v2
	s_add_i32 s18, s16, -1
	s_mov_b32 s28, 0
	s_mov_b32 s29, s28
	v_mul_f32_e32 v2, 0x4f7ffffe, v2
	v_cvt_u32_f32_e32 v2, v2
	s_mov_b32 s30, s28
	s_mov_b32 s31, s28
	v_and_b32_e32 v36, 28, v6
	v_mul_lo_u32 v5, s2, v2
	v_mul_hi_u32 v5, v2, v5
	v_add_u32_e32 v37, v2, v5
	v_and_b32_e32 v2, 0x3f0, v4
	v_lshl_add_u64 v[26:27], s[0:1], 0, v[2:3]
	s_lshl_b64 s[0:1], s[26:27], 2
	s_add_u32 s0, s24, s0
	v_and_b32_e32 v2, 60, v7
	s_addc_u32 s1, s25, s1
	v_lshl_add_u64 v[28:29], s[0:1], 0, v[2:3]
	v_lshlrev_b32_e32 v2, 4, v35
	v_lshl_or_b32 v2, v1, 7, v2
	v_add_u32_e32 v38, 0x90, v2
	v_mov_b64_e32 v[2:3], s[28:29]
	s_mov_b32 s15, s13
	s_mov_b64 s[2:3], 0
	v_mov_b64_e32 v[4:5], s[30:31]
	s_branch .LBB36_48
.LBB36_46:                              ;   in Loop: Header=BB36_48 Depth=1
	s_or_b64 exec, exec, s[0:1]
	s_waitcnt vmcnt(3) lgkmcnt(0)
	v_mul_f32_e32 v11, v7, v11
	v_fmac_f32_e32 v11, v6, v10
	s_waitcnt vmcnt(2)
	v_mul_f32_e32 v10, v7, v15
	v_fmac_f32_e32 v10, v6, v14
	v_fmac_f32_e32 v10, v8, v16
	;; [unrolled: 1-line block ×3, first 2 shown]
	v_add_f32_e32 v3, v3, v10
	s_waitcnt vmcnt(1)
	v_mul_f32_e32 v10, v7, v19
	s_waitcnt vmcnt(0)
	v_mul_f32_e32 v7, v7, v23
	v_fmac_f32_e32 v10, v6, v18
	v_fmac_f32_e32 v7, v6, v22
	;; [unrolled: 1-line block ×8, first 2 shown]
	v_add_f32_e32 v2, v2, v11
	v_add_f32_e32 v4, v4, v10
	;; [unrolled: 1-line block ×3, first 2 shown]
.LBB36_47:                              ;   in Loop: Header=BB36_48 Depth=1
	s_or_b64 exec, exec, s[8:9]
	v_add_u32_e32 v1, 2, v1
	v_cmp_le_i32_e32 vcc, s16, v1
	v_lshl_add_u64 v[28:29], v[28:29], 0, 8
	v_add_u32_e32 v30, 64, v30
	s_or_b64 s[2:3], vcc, s[2:3]
	v_add_u32_e32 v38, 0x100, v38
	s_andn2_b64 exec, exec, s[2:3]
	s_cbranch_execz .LBB36_57
.LBB36_48:                              ; =>This Inner Loop Header: Depth=1
	v_mul_hi_u32 v6, v30, s40
	v_mul_lo_u32 v7, v6, s21
	v_sub_u32_e32 v7, v30, v7
	v_add_u32_e32 v8, 1, v6
	v_cmp_le_u32_e32 vcc, s21, v7
	s_nop 1
	v_cndmask_b32_e32 v6, v6, v8, vcc
	v_subrev_u32_e32 v8, s21, v7
	v_cndmask_b32_e32 v7, v7, v8, vcc
	v_add_u32_e32 v8, 1, v6
	v_cmp_le_u32_e32 vcc, s21, v7
	s_nop 1
	v_cndmask_b32_e32 v6, v6, v8, vcc
	v_xor_b32_e32 v6, s19, v6
	v_subrev_u32_e32 v6, s19, v6
	v_add_u32_e32 v7, s41, v6
	v_sub_u32_e32 v9, 0, v7
	v_ashrrev_i32_e32 v8, 31, v7
	v_max_i32_e32 v7, v7, v9
	v_mul_hi_u32 v9, v7, v37
	v_mul_lo_u32 v9, v9, s14
	v_sub_u32_e32 v7, v7, v9
	v_subrev_u32_e32 v9, s14, v7
	v_cmp_le_u32_e32 vcc, s14, v7
	v_cmp_lt_i32_e64 s[0:1], s17, v6
	s_nop 0
	v_cndmask_b32_e32 v7, v7, v9, vcc
	v_subrev_u32_e32 v9, s14, v7
	v_cmp_le_u32_e32 vcc, s14, v7
	s_nop 1
	v_cndmask_b32_e32 v7, v7, v9, vcc
	v_xor_b32_e32 v7, v7, v8
	v_sub_u32_e32 v7, v7, v8
	v_cmp_eq_u32_e32 vcc, 0, v7
	s_or_b64 s[0:1], vcc, s[0:1]
	s_and_saveexec_b64 s[8:9], s[0:1]
	s_cbranch_execz .LBB36_47
; %bb.49:                               ;   in Loop: Header=BB36_48 Depth=1
	global_load_dword v6, v[28:29], off
	v_add_u32_e32 v39, v36, v30
	v_cmp_eq_u32_e32 vcc, s18, v1
	v_add_u32_e32 v42, 1, v39
	v_add_u32_e32 v41, 2, v39
	;; [unrolled: 1-line block ×3, first 2 shown]
	s_waitcnt vmcnt(0)
	v_mad_i64_i32 v[6:7], s[0:1], v6, s15, 0
	v_lshl_add_u64 v[22:23], v[6:7], 2, v[26:27]
	global_load_dwordx4 v[10:13], v[22:23], off
	ds_read_b128 v[6:9], v38
	s_and_saveexec_b64 s[12:13], vcc
	s_cbranch_execnz .LBB36_53
; %bb.50:                               ;   in Loop: Header=BB36_48 Depth=1
	s_or_b64 exec, exec, s[12:13]
	global_load_dwordx4 v[14:17], v[22:23], off offset:1024
	s_and_saveexec_b64 s[12:13], vcc
	s_cbranch_execnz .LBB36_54
.LBB36_51:                              ;   in Loop: Header=BB36_48 Depth=1
	s_or_b64 exec, exec, s[12:13]
	global_load_dwordx4 v[18:21], v[22:23], off offset:2048
	s_and_saveexec_b64 s[12:13], vcc
	s_cbranch_execnz .LBB36_55
.LBB36_52:                              ;   in Loop: Header=BB36_48 Depth=1
	s_or_b64 exec, exec, s[12:13]
	global_load_dwordx4 v[22:25], v[22:23], off offset:3072
	s_and_saveexec_b64 s[0:1], vcc
	s_cbranch_execz .LBB36_46
	s_branch .LBB36_56
.LBB36_53:                              ;   in Loop: Header=BB36_48 Depth=1
	v_cmp_gt_i32_e64 s[0:1], s33, v39
	s_waitcnt vmcnt(0)
	s_nop 0
	v_cndmask_b32_e64 v10, 0, v10, s[0:1]
	v_cmp_gt_i32_e64 s[0:1], s33, v42
	s_nop 1
	v_cndmask_b32_e64 v11, 0, v11, s[0:1]
	v_cmp_gt_i32_e64 s[0:1], s33, v41
	;; [unrolled: 3-line block ×3, first 2 shown]
	s_nop 1
	v_cndmask_b32_e64 v13, 0, v13, s[0:1]
	s_or_b64 exec, exec, s[12:13]
	global_load_dwordx4 v[14:17], v[22:23], off offset:1024
	s_and_saveexec_b64 s[12:13], vcc
	s_cbranch_execz .LBB36_51
.LBB36_54:                              ;   in Loop: Header=BB36_48 Depth=1
	v_cmp_gt_i32_e64 s[0:1], s33, v39
	s_waitcnt vmcnt(0)
	s_nop 0
	v_cndmask_b32_e64 v14, 0, v14, s[0:1]
	v_cmp_gt_i32_e64 s[0:1], s33, v42
	s_nop 1
	v_cndmask_b32_e64 v15, 0, v15, s[0:1]
	v_cmp_gt_i32_e64 s[0:1], s33, v41
	;; [unrolled: 3-line block ×3, first 2 shown]
	s_nop 1
	v_cndmask_b32_e64 v17, 0, v17, s[0:1]
	s_or_b64 exec, exec, s[12:13]
	global_load_dwordx4 v[18:21], v[22:23], off offset:2048
	s_and_saveexec_b64 s[12:13], vcc
	s_cbranch_execz .LBB36_52
.LBB36_55:                              ;   in Loop: Header=BB36_48 Depth=1
	v_cmp_gt_i32_e64 s[0:1], s33, v39
	s_waitcnt vmcnt(0)
	s_nop 0
	v_cndmask_b32_e64 v18, 0, v18, s[0:1]
	v_cmp_gt_i32_e64 s[0:1], s33, v42
	s_nop 1
	v_cndmask_b32_e64 v19, 0, v19, s[0:1]
	v_cmp_gt_i32_e64 s[0:1], s33, v41
	s_nop 1
	v_cndmask_b32_e64 v20, 0, v20, s[0:1]
	v_cmp_gt_i32_e64 s[0:1], s33, v40
	s_nop 1
	v_cndmask_b32_e64 v21, 0, v21, s[0:1]
	s_or_b64 exec, exec, s[12:13]
	global_load_dwordx4 v[22:25], v[22:23], off offset:3072
	s_and_saveexec_b64 s[0:1], vcc
	s_cbranch_execz .LBB36_46
.LBB36_56:                              ;   in Loop: Header=BB36_48 Depth=1
	v_cmp_gt_i32_e32 vcc, s33, v39
	s_waitcnt vmcnt(0)
	s_nop 0
	v_cndmask_b32_e32 v22, 0, v22, vcc
	v_cmp_gt_i32_e32 vcc, s33, v42
	s_nop 1
	v_cndmask_b32_e32 v23, 0, v23, vcc
	v_cmp_gt_i32_e32 vcc, s33, v41
	s_nop 1
	v_cndmask_b32_e32 v24, 0, v24, vcc
	v_cmp_gt_i32_e32 vcc, s33, v40
	s_nop 1
	v_cndmask_b32_e32 v25, 0, v25, vcc
	s_branch .LBB36_46
.LBB36_57:
	s_or_b64 exec, exec, s[2:3]
.LBB36_58:
	s_or_b64 exec, exec, s[6:7]
	ds_bpermute_b32 v6, v33, v2
	ds_bpermute_b32 v7, v33, v3
	;; [unrolled: 1-line block ×4, first 2 shown]
	v_and_b32_e32 v1, 0x3c7, v0
	v_cmp_eq_u32_e32 vcc, 64, v1
	s_waitcnt lgkmcnt(2)
	v_pk_add_f32 v[2:3], v[2:3], v[6:7]
	ds_bpermute_b32 v6, v32, v2
	s_waitcnt lgkmcnt(1)
	v_pk_add_f32 v[4:5], v[4:5], v[8:9]
	ds_bpermute_b32 v7, v32, v3
	ds_bpermute_b32 v8, v32, v4
	ds_bpermute_b32 v9, v32, v5
	s_waitcnt lgkmcnt(0)
	s_barrier
	v_pk_add_f32 v[2:3], v[2:3], v[6:7]
	ds_bpermute_b32 v6, v34, v2
	v_pk_add_f32 v[4:5], v[4:5], v[8:9]
	ds_bpermute_b32 v7, v34, v3
	ds_bpermute_b32 v8, v34, v4
	;; [unrolled: 1-line block ×3, first 2 shown]
	s_waitcnt lgkmcnt(0)
	v_pk_add_f32 v[2:3], v[2:3], v[6:7]
	v_pk_add_f32 v[4:5], v[4:5], v[8:9]
	s_and_saveexec_b64 s[0:1], vcc
	s_cbranch_execz .LBB36_60
; %bb.59:
	v_lshrrev_b32_e32 v6, 1, v31
	v_add_u32_e32 v6, 0x90, v6
	ds_write2_b32 v6, v2, v3 offset1:8
	ds_write2_b32 v6, v4, v5 offset0:16 offset1:24
.LBB36_60:
	s_or_b64 exec, exec, s[0:1]
	v_cmp_gt_u32_e32 vcc, 64, v0
	s_waitcnt lgkmcnt(0)
	s_barrier
	s_and_saveexec_b64 s[0:1], vcc
	s_cbranch_execz .LBB36_67
; %bb.61:
	v_cmp_eq_u32_e32 vcc, 0, v35
	v_lshrrev_b32_e32 v6, 3, v0
	s_and_saveexec_b64 s[2:3], vcc
	s_cbranch_execnz .LBB36_70
; %bb.62:
	s_or_b64 exec, exec, s[2:3]
	s_and_saveexec_b64 s[2:3], vcc
	s_cbranch_execnz .LBB36_71
.LBB36_63:
	s_or_b64 exec, exec, s[2:3]
	s_and_saveexec_b64 s[2:3], vcc
	s_cbranch_execnz .LBB36_72
.LBB36_64:
	s_or_b64 exec, exec, s[2:3]
	s_and_saveexec_b64 s[2:3], vcc
	s_cbranch_execz .LBB36_66
.LBB36_65:
	v_mov_b32_e32 v7, 0x90
	v_lshl_add_u32 v6, v6, 2, v7
	ds_read_b32 v6, v6 offset:96
	s_waitcnt lgkmcnt(0)
	v_add_f32_e32 v5, v5, v6
.LBB36_66:
	s_or_b64 exec, exec, s[2:3]
.LBB36_67:
	s_or_b64 exec, exec, s[0:1]
	v_cmp_eq_u32_e32 vcc, 0, v1
	s_barrier
	s_and_saveexec_b64 s[0:1], vcc
	s_cbranch_execz .LBB36_69
; %bb.68:
	s_mul_i32 s0, s10, s11
	s_mul_i32 s0, s0, s5
	s_lshl_b32 s0, s0, 5
	s_ashr_i32 s1, s0, 31
	s_lshl_b64 s[0:1], s[0:1], 2
	s_add_u32 s2, s22, s0
	s_mul_i32 s0, s11, s20
	s_addc_u32 s3, s23, s1
	s_ashr_i32 s1, s0, 31
	s_lshl_b64 s[0:1], s[0:1], 2
	s_add_u32 s2, s2, s0
	s_addc_u32 s3, s3, s1
	s_lshl_b32 s0, s4, 5
	s_ashr_i32 s1, s0, 31
	s_lshl_b64 s[0:1], s[0:1], 2
	s_add_u32 s0, s2, s0
	s_addc_u32 s1, s3, s1
	v_lshrrev_b32_e32 v0, 1, v0
	global_store_dword v0, v2, s[0:1]
	global_store_dword v0, v3, s[0:1] offset:32
	global_store_dword v0, v4, s[0:1] offset:64
	;; [unrolled: 1-line block ×3, first 2 shown]
.LBB36_69:
	s_endpgm
.LBB36_70:
	v_mov_b32_e32 v7, 0x90
	v_lshl_add_u32 v7, v6, 2, v7
	ds_read_b32 v7, v7
	s_waitcnt lgkmcnt(0)
	v_add_f32_e32 v2, v2, v7
	s_or_b64 exec, exec, s[2:3]
	s_and_saveexec_b64 s[2:3], vcc
	s_cbranch_execz .LBB36_63
.LBB36_71:
	v_mov_b32_e32 v7, 0x90
	v_lshl_add_u32 v7, v6, 2, v7
	ds_read_b32 v7, v7 offset:32
	s_waitcnt lgkmcnt(0)
	v_add_f32_e32 v3, v3, v7
	s_or_b64 exec, exec, s[2:3]
	s_and_saveexec_b64 s[2:3], vcc
	s_cbranch_execz .LBB36_64
.LBB36_72:
	v_mov_b32_e32 v7, 0x90
	v_lshl_add_u32 v7, v6, 2, v7
	ds_read_b32 v7, v7 offset:64
	s_waitcnt lgkmcnt(0)
	v_add_f32_e32 v4, v4, v7
	s_or_b64 exec, exec, s[2:3]
	s_and_saveexec_b64 s[2:3], vcc
	s_cbranch_execnz .LBB36_65
	s_branch .LBB36_66
	.section	.rodata,"a",@progbits
	.p2align	6, 0x0
	.amdhsa_kernel _ZN4vllm25paged_attention_v1_kernelIffLi32ELi32ELi128ELNS_18Fp8KVCacheDataTypeE0ELb1EEEvPT_PKS2_PKT0_S8_ifPKiSA_iPKfiiiSC_SC_iiiii
		.amdhsa_group_segment_fixed_size 144
		.amdhsa_private_segment_fixed_size 0
		.amdhsa_kernarg_size 384
		.amdhsa_user_sgpr_count 2
		.amdhsa_user_sgpr_dispatch_ptr 0
		.amdhsa_user_sgpr_queue_ptr 0
		.amdhsa_user_sgpr_kernarg_segment_ptr 1
		.amdhsa_user_sgpr_dispatch_id 0
		.amdhsa_user_sgpr_kernarg_preload_length 0
		.amdhsa_user_sgpr_kernarg_preload_offset 0
		.amdhsa_user_sgpr_private_segment_size 0
		.amdhsa_uses_dynamic_stack 0
		.amdhsa_enable_private_segment 0
		.amdhsa_system_sgpr_workgroup_id_x 1
		.amdhsa_system_sgpr_workgroup_id_y 1
		.amdhsa_system_sgpr_workgroup_id_z 1
		.amdhsa_system_sgpr_workgroup_info 0
		.amdhsa_system_vgpr_workitem_id 0
		.amdhsa_next_free_vgpr 56
		.amdhsa_next_free_sgpr 44
		.amdhsa_accum_offset 56
		.amdhsa_reserve_vcc 1
		.amdhsa_float_round_mode_32 0
		.amdhsa_float_round_mode_16_64 0
		.amdhsa_float_denorm_mode_32 3
		.amdhsa_float_denorm_mode_16_64 3
		.amdhsa_dx10_clamp 1
		.amdhsa_ieee_mode 1
		.amdhsa_fp16_overflow 0
		.amdhsa_tg_split 0
		.amdhsa_exception_fp_ieee_invalid_op 0
		.amdhsa_exception_fp_denorm_src 0
		.amdhsa_exception_fp_ieee_div_zero 0
		.amdhsa_exception_fp_ieee_overflow 0
		.amdhsa_exception_fp_ieee_underflow 0
		.amdhsa_exception_fp_ieee_inexact 0
		.amdhsa_exception_int_div_zero 0
	.end_amdhsa_kernel
	.section	.text._ZN4vllm25paged_attention_v1_kernelIffLi32ELi32ELi128ELNS_18Fp8KVCacheDataTypeE0ELb1EEEvPT_PKS2_PKT0_S8_ifPKiSA_iPKfiiiSC_SC_iiiii,"axG",@progbits,_ZN4vllm25paged_attention_v1_kernelIffLi32ELi32ELi128ELNS_18Fp8KVCacheDataTypeE0ELb1EEEvPT_PKS2_PKT0_S8_ifPKiSA_iPKfiiiSC_SC_iiiii,comdat
.Lfunc_end36:
	.size	_ZN4vllm25paged_attention_v1_kernelIffLi32ELi32ELi128ELNS_18Fp8KVCacheDataTypeE0ELb1EEEvPT_PKS2_PKT0_S8_ifPKiSA_iPKfiiiSC_SC_iiiii, .Lfunc_end36-_ZN4vllm25paged_attention_v1_kernelIffLi32ELi32ELi128ELNS_18Fp8KVCacheDataTypeE0ELb1EEEvPT_PKS2_PKT0_S8_ifPKiSA_iPKfiiiSC_SC_iiiii
                                        ; -- End function
	.section	.AMDGPU.csdata,"",@progbits
; Kernel info:
; codeLenInByte = 4636
; NumSgprs: 50
; NumVgprs: 56
; NumAgprs: 0
; TotalNumVgprs: 56
; ScratchSize: 0
; MemoryBound: 0
; FloatMode: 240
; IeeeMode: 1
; LDSByteSize: 144 bytes/workgroup (compile time only)
; SGPRBlocks: 6
; VGPRBlocks: 6
; NumSGPRsForWavesPerEU: 50
; NumVGPRsForWavesPerEU: 56
; AccumOffset: 56
; Occupancy: 8
; WaveLimiterHint : 1
; COMPUTE_PGM_RSRC2:SCRATCH_EN: 0
; COMPUTE_PGM_RSRC2:USER_SGPR: 2
; COMPUTE_PGM_RSRC2:TRAP_HANDLER: 0
; COMPUTE_PGM_RSRC2:TGID_X_EN: 1
; COMPUTE_PGM_RSRC2:TGID_Y_EN: 1
; COMPUTE_PGM_RSRC2:TGID_Z_EN: 1
; COMPUTE_PGM_RSRC2:TIDIG_COMP_CNT: 0
; COMPUTE_PGM_RSRC3_GFX90A:ACCUM_OFFSET: 13
; COMPUTE_PGM_RSRC3_GFX90A:TG_SPLIT: 0
	.section	.text._ZN4vllm25paged_attention_v1_kernelIffLi64ELi32ELi128ELNS_18Fp8KVCacheDataTypeE0ELb1EEEvPT_PKS2_PKT0_S8_ifPKiSA_iPKfiiiSC_SC_iiiii,"axG",@progbits,_ZN4vllm25paged_attention_v1_kernelIffLi64ELi32ELi128ELNS_18Fp8KVCacheDataTypeE0ELb1EEEvPT_PKS2_PKT0_S8_ifPKiSA_iPKfiiiSC_SC_iiiii,comdat
	.protected	_ZN4vllm25paged_attention_v1_kernelIffLi64ELi32ELi128ELNS_18Fp8KVCacheDataTypeE0ELb1EEEvPT_PKS2_PKT0_S8_ifPKiSA_iPKfiiiSC_SC_iiiii ; -- Begin function _ZN4vllm25paged_attention_v1_kernelIffLi64ELi32ELi128ELNS_18Fp8KVCacheDataTypeE0ELb1EEEvPT_PKS2_PKT0_S8_ifPKiSA_iPKfiiiSC_SC_iiiii
	.globl	_ZN4vllm25paged_attention_v1_kernelIffLi64ELi32ELi128ELNS_18Fp8KVCacheDataTypeE0ELb1EEEvPT_PKS2_PKT0_S8_ifPKiSA_iPKfiiiSC_SC_iiiii
	.p2align	8
	.type	_ZN4vllm25paged_attention_v1_kernelIffLi64ELi32ELi128ELNS_18Fp8KVCacheDataTypeE0ELb1EEEvPT_PKS2_PKT0_S8_ifPKiSA_iPKfiiiSC_SC_iiiii,@function
_ZN4vllm25paged_attention_v1_kernelIffLi64ELi32ELi128ELNS_18Fp8KVCacheDataTypeE0ELb1EEEvPT_PKS2_PKT0_S8_ifPKiSA_iPKfiiiSC_SC_iiiii: ; @_ZN4vllm25paged_attention_v1_kernelIffLi64ELi32ELi128ELNS_18Fp8KVCacheDataTypeE0ELb1EEEvPT_PKS2_PKT0_S8_ifPKiSA_iPKfiiiSC_SC_iiiii
; %bb.0:
	s_load_dword s5, s[0:1], 0x80
	s_load_dwordx2 s[6:7], s[0:1], 0x30
	s_load_dwordx2 s[30:31], s[0:1], 0x20
	s_mov_b32 s20, s3
	s_ashr_i32 s21, s3, 31
	s_lshl_b64 s[8:9], s[20:21], 2
	s_waitcnt lgkmcnt(0)
	s_add_u32 s6, s6, s8
	s_addc_u32 s7, s7, s9
	s_abs_i32 s3, s30
	v_cvt_f32_u32_e32 v1, s3
	s_sub_i32 s10, 0, s3
	s_abs_i32 s9, s5
	s_xor_b32 s8, s5, s30
	v_rcp_iflag_f32_e32 v1, v1
	s_ashr_i32 s8, s8, 31
	s_mov_b32 s43, 0
	v_mul_f32_e32 v1, 0x4f7ffffe, v1
	v_cvt_u32_f32_e32 v1, v1
	s_nop 0
	v_readfirstlane_b32 s11, v1
	s_mul_i32 s10, s10, s11
	s_mul_hi_u32 s10, s11, s10
	s_add_i32 s11, s11, s10
	s_mul_hi_u32 s10, s9, s11
	s_mul_i32 s11, s10, s3
	s_sub_i32 s9, s9, s11
	s_add_i32 s11, s10, 1
	s_sub_i32 s12, s9, s3
	s_cmp_ge_u32 s9, s3
	s_cselect_b32 s10, s11, s10
	s_cselect_b32 s9, s12, s9
	s_add_i32 s11, s10, 1
	s_cmp_ge_u32 s9, s3
	s_cselect_b32 s3, s11, s10
	s_xor_b32 s3, s3, s8
	s_sub_i32 s12, s3, s8
	s_abs_i32 s10, s12
	v_cvt_f32_u32_e32 v1, s10
	s_load_dwordx2 s[8:9], s[0:1], 0x40
	s_sub_i32 s3, 0, s10
	s_abs_i32 s11, s2
	v_rcp_iflag_f32_e32 v1, v1
	s_nop 0
	v_mul_f32_e32 v1, 0x4f7ffffe, v1
	v_cvt_u32_f32_e32 v1, v1
	s_nop 0
	v_readfirstlane_b32 s13, v1
	s_mul_i32 s3, s3, s13
	s_mul_hi_u32 s3, s13, s3
	s_add_i32 s13, s13, s3
	s_waitcnt lgkmcnt(0)
	s_cmp_eq_u64 s[8:9], 0
	s_mul_hi_u32 s24, s11, s13
	s_cbranch_scc1 .LBB37_2
; %bb.1:
	s_ashr_i32 s3, s2, 31
	s_lshl_b64 s[14:15], s[2:3], 2
	s_add_u32 s8, s8, s14
	s_addc_u32 s9, s9, s15
	s_load_dword s43, s[8:9], 0x0
.LBB37_2:
	s_load_dword s21, s[6:7], 0x0
	s_ashr_i32 s9, s12, 31
	s_load_dwordx4 s[12:15], s[0:1], 0x48
	s_ashr_i32 s3, s2, 31
	v_and_b32_e32 v4, 1, v0
	s_lshl_b32 s22, s2, 6
	v_cmp_gt_u32_e32 vcc, 32, v0
	v_lshlrev_b32_e32 v2, 3, v0
	v_lshlrev_b32_e32 v10, 2, v0
	s_and_saveexec_b64 s[6:7], vcc
	s_cbranch_execz .LBB37_4
; %bb.3:
	s_load_dwordx2 s[16:17], s[0:1], 0x8
	s_waitcnt lgkmcnt(0)
	s_mul_i32 s18, s20, s12
	s_ashr_i32 s19, s18, 31
	s_lshl_b64 s[18:19], s[18:19], 2
	v_and_b32_e32 v1, 0xff8, v10
	s_add_u32 s8, s16, s18
	s_addc_u32 s12, s17, s19
	s_ashr_i32 s23, s22, 31
	s_lshl_b64 s[16:17], s[22:23], 2
	s_add_u32 s16, s8, s16
	s_addc_u32 s17, s12, s17
	global_load_dwordx2 v[6:7], v2, s[16:17]
	v_lshl_add_u32 v1, v4, 7, v1
	s_waitcnt vmcnt(0)
	ds_write_b64 v1, v[6:7]
.LBB37_4:
	s_or_b64 exec, exec, s[6:7]
	s_mul_i32 s6, s24, s10
	s_sub_i32 s6, s11, s6
	s_xor_b32 s3, s3, s9
	s_add_i32 s7, s24, 1
	s_sub_i32 s9, s6, s10
	s_load_dwordx4 s[16:19], s[0:1], 0x68
	s_load_dword s8, s[0:1], 0x78
	s_cmp_ge_u32 s6, s10
	s_cselect_b32 s7, s7, s24
	s_cselect_b32 s6, s9, s6
	s_add_i32 s9, s7, 1
	s_cmp_ge_u32 s6, s10
	s_cselect_b32 s6, s9, s7
	s_waitcnt lgkmcnt(0)
	s_abs_i32 s23, s19
	v_cvt_f32_u32_e32 v1, s23
	s_xor_b32 s6, s6, s3
	s_sub_i32 s3, s6, s3
	s_sub_i32 s6, 0, s23
	v_rcp_iflag_f32_e32 v1, v1
	s_add_i32 s15, s21, -1
	s_abs_i32 s9, s15
	v_mul_f32_e32 v1, 0x4f7ffffe, v1
	v_cvt_u32_f32_e32 v1, v1
	s_barrier
	v_readfirstlane_b32 s33, v1
	s_mul_i32 s6, s6, s33
	s_mul_hi_u32 s6, s33, s6
	s_add_i32 s33, s33, s6
	s_cmp_lt_i32 s8, 0
	s_mul_hi_u32 s12, s9, s33
	s_cbranch_scc0 .LBB37_6
; %bb.5:
	s_mul_i32 s6, s16, s30
	s_add_i32 s6, s3, s6
	s_mul_i32 s6, s6, s8
	s_sub_i32 s40, 1, s6
	s_mov_b64 s[6:7], 0
	s_branch .LBB37_7
.LBB37_6:
	s_mov_b64 s[6:7], -1
                                        ; implicit-def: $sgpr40
.LBB37_7:
	s_load_dwordx2 s[10:11], s[0:1], 0x28
	s_ashr_i32 s15, s15, 31
	s_andn2_b64 vcc, exec, s[6:7]
	s_ashr_i32 s41, s19, 31
	s_cbranch_vccnz .LBB37_9
; %bb.8:
	s_mul_i32 s6, s5, s16
	s_add_i32 s2, s6, s2
	s_mul_i32 s2, s2, s8
	s_add_i32 s40, s2, 1
.LBB37_9:
	s_load_dword s2, s[0:1], 0x38
	s_load_dwordx2 s[24:25], s[0:1], 0x0
	s_load_dwordx2 s[28:29], s[0:1], 0x18
	s_load_dword s19, s[0:1], 0x88
	s_xor_b32 s6, s15, s41
	s_waitcnt lgkmcnt(0)
	s_mul_i32 s26, s20, s2
	s_mul_i32 s2, s12, s23
	s_sub_i32 s2, s9, s2
	s_ashr_i32 s27, s26, 31
	s_add_i32 s7, s12, 1
	s_sub_i32 s8, s2, s23
	s_cmp_ge_u32 s2, s23
	s_cselect_b32 s7, s7, s12
	s_cselect_b32 s2, s8, s2
	s_add_i32 s8, s7, 1
	s_cmp_ge_u32 s2, s23
	s_cselect_b32 s2, s8, s7
	s_xor_b32 s2, s2, s6
	s_sub_i32 s12, s2, s6
	s_add_i32 s2, s21, 31
	s_ashr_i32 s6, s2, 31
	s_lshr_b32 s6, s6, 27
	s_add_i32 s2, s2, s6
	s_ashr_i32 s42, s2, 5
	v_lshrrev_b32_e32 v1, 6, v0
	v_cmp_gt_i32_e64 s[6:7], s42, v1
	v_mov_b32_e32 v9, 0xff7fffff
	s_mul_i32 s14, s3, s14
	v_lshrrev_b32_e32 v11, 4, v0
	v_lshlrev_b32_e32 v58, 5, v1
	v_mbcnt_lo_u32_b32 v6, -1, 0
	s_and_saveexec_b64 s[34:35], s[6:7]
	s_cbranch_execz .LBB37_19
; %bb.10:
	s_load_dwordx2 s[0:1], s[0:1], 0x10
	s_ashr_i32 s15, s14, 31
	s_sub_i32 s16, s12, s17
	s_lshl_b64 s[2:3], s[14:15], 2
	v_bfe_u32 v7, v0, 1, 5
	s_waitcnt lgkmcnt(0)
	s_add_u32 s0, s0, s2
	s_addc_u32 s1, s1, s3
	s_abs_i32 s15, s18
	v_cvt_f32_u32_e32 v3, s15
	v_lshlrev_b32_e32 v14, 4, v7
	v_mov_b32_e32 v15, 0
	v_lshl_add_u64 v[8:9], s[0:1], 0, v[14:15]
	v_rcp_iflag_f32_e32 v5, v3
	v_and_b32_e32 v14, 8, v2
	s_sub_i32 s0, 0, s15
	v_cmp_eq_u32_e32 vcc, 0, v4
	v_mul_f32_e32 v5, 0x4f7ffffe, v5
	v_cvt_u32_f32_e32 v5, v5
	v_lshl_add_u64 v[2:3], v[8:9], 0, v[14:15]
	v_lshlrev_b32_e32 v8, 7, v4
	v_lshlrev_b32_e32 v16, 2, v7
	v_mul_lo_u32 v4, s0, v5
	s_lshl_b64 s[0:1], s[26:27], 2
	s_add_u32 s0, s10, s0
	v_mul_hi_u32 v4, v5, v4
	v_and_b32_e32 v14, 60, v11
	s_addc_u32 s1, s11, s1
	v_lshl_or_b32 v9, v1, 7, v16
	v_add_u32_e32 v12, v5, v4
	v_lshl_add_u64 v[4:5], s[0:1], 0, v[14:15]
	v_add_u32_e32 v14, 0x110, v9
	v_subrev_u32_e32 v9, s21, v7
	v_mbcnt_hi_u32_b32 v17, -1, v6
	v_add_u32_e32 v15, 1, v9
	v_and_b32_e32 v9, 64, v17
	s_mov_b32 s30, s13
	v_cmp_neq_f32_e64 s[2:3], s43, 0
	v_lshlrev_b32_e32 v13, 5, v1
	s_mov_b64 s[36:37], 0
	v_mov_b32_e32 v16, 0xff7fffff
	s_movk_i32 s44, 0x1000
	v_xor_b32_e32 v18, 1, v17
	v_add_u32_e32 v19, 64, v9
	v_mov_b32_e32 v9, 0xff7fffff
	v_mov_b32_e32 v20, v1
	s_branch .LBB37_13
.LBB37_11:                              ;   in Loop: Header=BB37_13 Depth=1
	s_or_b64 exec, exec, s[38:39]
.LBB37_12:                              ;   in Loop: Header=BB37_13 Depth=1
	s_or_b64 exec, exec, s[8:9]
	v_add_u32_e32 v20, 2, v20
	v_cmp_le_i32_e64 s[0:1], s42, v20
	v_lshl_add_u64 v[4:5], v[4:5], 0, 8
	v_add_u32_e32 v13, 64, v13
	s_or_b64 s[36:37], s[0:1], s[36:37]
	v_add_u32_e32 v14, 0x100, v14
	s_andn2_b64 exec, exec, s[36:37]
	s_cbranch_execz .LBB37_18
.LBB37_13:                              ; =>This Inner Loop Header: Depth=1
	v_mul_hi_u32 v21, v13, s33
	s_waitcnt lgkmcnt(0)
	v_mul_lo_u32 v22, v21, s23
	v_sub_u32_e32 v22, v13, v22
	v_add_u32_e32 v23, 1, v21
	v_cmp_le_u32_e64 s[0:1], s23, v22
	s_nop 1
	v_cndmask_b32_e64 v21, v21, v23, s[0:1]
	v_subrev_u32_e32 v23, s23, v22
	v_cndmask_b32_e64 v22, v22, v23, s[0:1]
	v_add_u32_e32 v23, 1, v21
	v_cmp_le_u32_e64 s[0:1], s23, v22
	s_nop 1
	v_cndmask_b32_e64 v21, v21, v23, s[0:1]
	v_xor_b32_e32 v21, s41, v21
	v_subrev_u32_e32 v21, s41, v21
	v_add_u32_e32 v22, s40, v21
	v_sub_u32_e32 v24, 0, v22
	v_ashrrev_i32_e32 v23, 31, v22
	v_max_i32_e32 v22, v22, v24
	v_mul_hi_u32 v24, v22, v12
	v_mul_lo_u32 v24, v24, s15
	v_sub_u32_e32 v22, v22, v24
	v_subrev_u32_e32 v24, s15, v22
	v_cmp_le_u32_e64 s[0:1], s15, v22
	v_cmp_ge_i32_e64 s[8:9], s16, v21
	s_nop 0
	v_cndmask_b32_e64 v22, v22, v24, s[0:1]
	v_subrev_u32_e32 v24, s15, v22
	v_cmp_le_u32_e64 s[0:1], s15, v22
	s_nop 1
	v_cndmask_b32_e64 v22, v22, v24, s[0:1]
	v_xor_b32_e32 v22, v22, v23
	v_sub_u32_e32 v22, v22, v23
	v_cmp_ne_u32_e64 s[0:1], 0, v22
	s_and_b64 s[0:1], s[0:1], s[8:9]
	s_and_b64 s[38:39], vcc, s[0:1]
	s_and_saveexec_b64 s[8:9], s[38:39]
	s_cbranch_execz .LBB37_15
; %bb.14:                               ;   in Loop: Header=BB37_13 Depth=1
	ds_write_b32 v14, v16
.LBB37_15:                              ;   in Loop: Header=BB37_13 Depth=1
	s_or_b64 exec, exec, s[8:9]
	s_xor_b64 s[0:1], s[0:1], -1
	s_and_saveexec_b64 s[8:9], s[0:1]
	s_cbranch_execz .LBB37_12
; %bb.16:                               ;   in Loop: Header=BB37_13 Depth=1
	global_load_dword v21, v[4:5], off
	s_waitcnt vmcnt(0)
	v_mad_i64_i32 v[22:23], s[0:1], v21, s30, 0
	v_lshl_add_u64 v[22:23], v[22:23], 2, v[2:3]
	global_load_dwordx2 v[54:55], v[22:23], off offset:512
	global_load_dwordx2 v[56:57], v[22:23], off offset:1024
	;; [unrolled: 1-line block ×3, first 2 shown]
	global_load_dwordx2 v[62:63], v[22:23], off
	global_load_dwordx2 v[64:65], v[22:23], off offset:2048
	global_load_dwordx2 v[66:67], v[22:23], off offset:2560
	;; [unrolled: 1-line block ×4, first 2 shown]
	v_add_co_u32_e64 v22, s[0:1], s44, v22
	s_nop 1
	v_addc_co_u32_e64 v23, s[0:1], 0, v23, s[0:1]
	global_load_dwordx2 v[72:73], v[22:23], off
	global_load_dwordx2 v[74:75], v[22:23], off offset:512
	global_load_dwordx2 v[76:77], v[22:23], off offset:1024
	;; [unrolled: 1-line block ×7, first 2 shown]
	v_cmp_lt_i32_e64 s[0:1], v18, v19
	ds_read_b128 v[22:25], v8
	ds_read_b128 v[26:29], v8 offset:16
	ds_read_b128 v[30:33], v8 offset:32
	;; [unrolled: 1-line block ×7, first 2 shown]
	v_cndmask_b32_e64 v21, v17, v18, s[0:1]
	v_lshlrev_b32_e32 v59, 2, v21
	s_waitcnt vmcnt(15) lgkmcnt(7)
	v_mul_f32_e32 v21, v24, v54
	v_mul_f32_e32 v24, v25, v55
	s_waitcnt vmcnt(12)
	v_fmac_f32_e32 v21, v22, v62
	v_fmac_f32_e32 v24, v23, v63
	s_waitcnt lgkmcnt(6)
	v_fmac_f32_e32 v21, v26, v56
	v_fmac_f32_e32 v24, v27, v57
	;; [unrolled: 1-line block ×4, first 2 shown]
	s_waitcnt vmcnt(11) lgkmcnt(5)
	v_fmac_f32_e32 v21, v30, v64
	v_fmac_f32_e32 v24, v31, v65
	s_waitcnt vmcnt(10)
	v_fmac_f32_e32 v21, v32, v66
	v_fmac_f32_e32 v24, v33, v67
	s_waitcnt vmcnt(9) lgkmcnt(4)
	v_fmac_f32_e32 v21, v34, v68
	v_fmac_f32_e32 v24, v35, v69
	s_waitcnt vmcnt(8)
	v_fmac_f32_e32 v21, v36, v70
	v_fmac_f32_e32 v24, v37, v71
	;; [unrolled: 6-line block ×6, first 2 shown]
	v_add_f32_e32 v21, v21, v24
	ds_bpermute_b32 v22, v59, v21
	s_and_saveexec_b64 s[38:39], vcc
	s_cbranch_execz .LBB37_11
; %bb.17:                               ;   in Loop: Header=BB37_13 Depth=1
	v_add_u32_e32 v23, v15, v13
	v_cvt_f32_i32_e32 v23, v23
	s_waitcnt lgkmcnt(0)
	v_add_f32_e32 v21, v21, v22
	v_add_u32_e32 v24, v7, v13
	v_cmp_gt_i32_e64 s[0:1], s21, v24
	v_mul_f32_e32 v22, s43, v23
	v_cndmask_b32_e64 v22, 0, v22, s[2:3]
	v_fmac_f32_e32 v22, s31, v21
	v_cndmask_b32_e64 v21, 0, v22, s[0:1]
	ds_write_b32 v14, v21
	v_max_f32_e32 v21, v9, v9
	v_max_f32_e32 v21, v21, v22
	v_cndmask_b32_e64 v9, v9, v21, s[0:1]
	s_branch .LBB37_11
.LBB37_18:
	s_or_b64 exec, exec, s[36:37]
.LBB37_19:
	s_or_b64 exec, exec, s[34:35]
	v_mbcnt_hi_u32_b32 v7, -1, v6
	v_and_b32_e32 v2, 64, v7
	v_add_u32_e32 v8, 64, v2
	v_xor_b32_e32 v2, 32, v7
	v_cmp_lt_i32_e32 vcc, v2, v8
	v_xor_b32_e32 v5, 16, v7
	v_max_f32_e32 v4, v9, v9
	v_cndmask_b32_e32 v2, v7, v2, vcc
	v_lshlrev_b32_e32 v2, 2, v2
	ds_bpermute_b32 v3, v2, v9
	v_cmp_lt_i32_e32 vcc, v5, v8
	v_xor_b32_e32 v6, 8, v7
	v_xor_b32_e32 v9, 4, v7
	v_and_b32_e32 v59, 63, v0
	s_waitcnt lgkmcnt(0)
	v_max_f32_e32 v3, v3, v3
	v_max_f32_e32 v4, v4, v3
	v_cndmask_b32_e32 v3, v7, v5, vcc
	v_lshlrev_b32_e32 v3, 2, v3
	ds_bpermute_b32 v5, v3, v4
	v_cmp_lt_i32_e32 vcc, v6, v8
	s_waitcnt lgkmcnt(0)
	v_max_f32_e32 v5, v5, v5
	v_max_f32_e32 v5, v4, v5
	v_cndmask_b32_e32 v4, v7, v6, vcc
	v_lshlrev_b32_e32 v4, 2, v4
	ds_bpermute_b32 v6, v4, v5
	v_cmp_lt_i32_e32 vcc, v9, v8
	s_waitcnt lgkmcnt(0)
	v_max_f32_e32 v6, v6, v6
	v_max_f32_e32 v5, v5, v6
	v_cndmask_b32_e32 v6, v7, v9, vcc
	v_lshlrev_b32_e32 v61, 2, v6
	ds_bpermute_b32 v6, v61, v5
	v_xor_b32_e32 v9, 2, v7
	v_cmp_lt_i32_e32 vcc, v9, v8
	s_waitcnt lgkmcnt(0)
	v_max_f32_e32 v6, v6, v6
	v_max_f32_e32 v6, v5, v6
	v_cndmask_b32_e32 v5, v7, v9, vcc
	v_lshlrev_b32_e32 v60, 2, v5
	ds_bpermute_b32 v9, v60, v6
	v_cmp_eq_u32_e32 vcc, 0, v59
	v_lshlrev_b32_e32 v5, 2, v1
	s_and_saveexec_b64 s[0:1], vcc
	s_cbranch_execz .LBB37_21
; %bb.20:
	s_waitcnt lgkmcnt(0)
	v_max_f32_e32 v9, v9, v9
	v_max_f32_e32 v6, v6, v6
	;; [unrolled: 1-line block ×3, first 2 shown]
	ds_write_b32 v5, v6 offset:256
.LBB37_21:
	s_or_b64 exec, exec, s[0:1]
	v_cmp_gt_u32_e64 s[0:1], 2, v59
	s_waitcnt lgkmcnt(0)
	v_mov_b32_e32 v9, 0xff7fffff
	v_lshlrev_b32_e32 v6, 2, v59
	s_barrier
	s_and_saveexec_b64 s[2:3], s[0:1]
	s_cbranch_execz .LBB37_23
; %bb.22:
	ds_read_b32 v9, v6 offset:256
.LBB37_23:
	s_or_b64 exec, exec, s[2:3]
	v_xor_b32_e32 v12, 1, v7
	v_cmp_lt_i32_e64 s[2:3], v12, v8
	s_nop 1
	v_cndmask_b32_e64 v8, v7, v12, s[2:3]
	v_lshlrev_b32_e32 v62, 2, v8
	s_waitcnt lgkmcnt(0)
	ds_bpermute_b32 v8, v62, v9
	v_max_f32_e32 v9, v9, v9
	v_lshlrev_b32_e32 v7, 2, v7
	v_and_b32_e32 v7, 0x100, v7
	s_lshl_b32 s2, s42, 5
	s_waitcnt lgkmcnt(0)
	v_max_f32_e32 v8, v8, v8
	v_max_f32_e32 v8, v9, v8
	ds_bpermute_b32 v9, v7, v8
	s_min_i32 s15, s2, s21
	v_cmp_gt_i32_e64 s[2:3], s15, v0
	v_mov_b32_e32 v8, 0
	s_and_saveexec_b64 s[30:31], s[2:3]
	s_cbranch_execz .LBB37_27
; %bb.24:
	v_mov_b32_e32 v8, 0x110
	v_lshl_add_u32 v12, v0, 2, v8
	s_mov_b64 s[34:35], 0
	v_mov_b32_e32 v8, 0
	v_mov_b32_e32 v13, v0
.LBB37_25:                              ; =>This Inner Loop Header: Depth=1
	ds_read_b32 v14, v12
	v_add_u32_e32 v13, 0x80, v13
	v_cmp_le_i32_e64 s[8:9], s15, v13
	s_or_b64 s[34:35], s[8:9], s[34:35]
	s_waitcnt lgkmcnt(0)
	v_sub_f32_e32 v14, v14, v9
	v_mul_f32_e32 v14, 0x3fb8aa3b, v14
	v_exp_f32_e32 v14, v14
	ds_write_b32 v12, v14
	v_add_f32_e32 v8, v8, v14
	v_add_u32_e32 v12, 0x200, v12
	s_andn2_b64 exec, exec, s[34:35]
	s_cbranch_execnz .LBB37_25
; %bb.26:
	s_or_b64 exec, exec, s[34:35]
.LBB37_27:
	s_or_b64 exec, exec, s[30:31]
	ds_bpermute_b32 v2, v2, v8
	s_waitcnt lgkmcnt(0)
	v_add_f32_e32 v2, v8, v2
	ds_bpermute_b32 v3, v3, v2
	s_waitcnt lgkmcnt(0)
	v_add_f32_e32 v2, v2, v3
	;; [unrolled: 3-line block ×6, first 2 shown]
	s_and_saveexec_b64 s[8:9], vcc
	s_cbranch_execz .LBB37_29
; %bb.28:
	ds_write_b32 v5, v2 offset:264
.LBB37_29:
	s_or_b64 exec, exec, s[8:9]
	s_waitcnt lgkmcnt(0)
	s_barrier
	s_and_saveexec_b64 s[8:9], s[0:1]
	s_cbranch_execz .LBB37_31
; %bb.30:
	ds_read_b32 v2, v6 offset:264
.LBB37_31:
	s_or_b64 exec, exec, s[8:9]
	s_waitcnt lgkmcnt(0)
	ds_bpermute_b32 v3, v62, v2
	s_waitcnt lgkmcnt(0)
	v_add_f32_e32 v2, v2, v3
	ds_bpermute_b32 v2, v7, v2
	s_and_saveexec_b64 s[0:1], s[2:3]
	s_cbranch_execz .LBB37_44
; %bb.32:
	s_waitcnt lgkmcnt(0)
	v_add_f32_e32 v2, 0x358637bd, v2
	v_div_scale_f32 v3, s[2:3], v2, v2, 1.0
	v_rcp_f32_e32 v4, v3
	v_div_scale_f32 v5, vcc, 1.0, v2, 1.0
	s_movk_i32 s2, 0x7f
	v_fma_f32 v6, -v3, v4, 1.0
	v_fmac_f32_e32 v4, v6, v4
	v_mul_f32_e32 v6, v5, v4
	v_fma_f32 v7, -v3, v6, v5
	v_fmac_f32_e32 v6, v7, v4
	v_fma_f32 v3, -v3, v6, v5
	v_div_fmas_f32 v3, v3, v4, v6
	v_xad_u32 v4, v0, -1, s15
	v_div_fixup_f32 v2, v3, v2, 1.0
	v_cmp_lt_u32_e32 vcc, s2, v4
	s_mov_b64 s[8:9], -1
	v_mov_b32_e32 v3, v0
	s_and_saveexec_b64 s[2:3], vcc
	s_cbranch_execz .LBB37_41
; %bb.33:
	v_lshrrev_b32_e32 v4, 7, v4
	v_add_u32_e32 v6, -1, v4
	v_lshrrev_b32_e32 v5, 1, v6
	v_mov_b32_e32 v3, v2
	v_add_u32_e32 v5, 1, v5
	v_cmp_lt_u32_e32 vcc, 13, v6
	v_mov_b32_e32 v8, 0
	s_and_saveexec_b64 s[8:9], vcc
	s_cbranch_execz .LBB37_37
; %bb.34:
	v_mov_b32_e32 v7, 0x110
	v_and_b32_e32 v6, -8, v5
	v_lshl_add_u32 v7, v0, 2, v7
	s_mov_b32 s16, 0
	s_mov_b64 s[30:31], 0
.LBB37_35:                              ; =>This Inner Loop Header: Depth=1
	ds_read2st64_b32 v[8:9], v7 offset1:2
	ds_read2st64_b32 v[12:13], v7 offset0:4 offset1:6
	ds_read2st64_b32 v[14:15], v7 offset0:8 offset1:10
	;; [unrolled: 1-line block ×3, first 2 shown]
	v_add_u32_e32 v6, -8, v6
	s_waitcnt lgkmcnt(3)
	v_pk_mul_f32 v[8:9], v[2:3], v[8:9]
	s_waitcnt lgkmcnt(2)
	v_pk_mul_f32 v[12:13], v[2:3], v[12:13]
	ds_write2st64_b32 v7, v8, v9 offset1:2
	ds_write2st64_b32 v7, v12, v13 offset0:4 offset1:6
	ds_read2st64_b32 v[12:13], v7 offset0:16 offset1:18
	s_waitcnt lgkmcnt(4)
	v_pk_mul_f32 v[8:9], v[2:3], v[14:15]
	ds_write2st64_b32 v7, v8, v9 offset0:8 offset1:10
	s_waitcnt lgkmcnt(4)
	v_pk_mul_f32 v[8:9], v[2:3], v[16:17]
	ds_write2st64_b32 v7, v8, v9 offset0:12 offset1:14
	ds_read2st64_b32 v[8:9], v7 offset0:20 offset1:22
	s_waitcnt lgkmcnt(3)
	v_pk_mul_f32 v[12:13], v[2:3], v[12:13]
	ds_read2st64_b32 v[14:15], v7 offset0:24 offset1:26
	ds_write2st64_b32 v7, v12, v13 offset0:16 offset1:18
	ds_read2st64_b32 v[12:13], v7 offset0:28 offset1:30
	s_waitcnt lgkmcnt(3)
	v_pk_mul_f32 v[8:9], v[2:3], v[8:9]
	ds_write2st64_b32 v7, v8, v9 offset0:20 offset1:22
	s_waitcnt lgkmcnt(3)
	v_pk_mul_f32 v[8:9], v[2:3], v[14:15]
	ds_write2st64_b32 v7, v8, v9 offset0:24 offset1:26
	s_waitcnt lgkmcnt(2)
	v_pk_mul_f32 v[8:9], v[2:3], v[12:13]
	s_add_i32 s16, s16, 16
	v_cmp_eq_u32_e32 vcc, 0, v6
	ds_write2st64_b32 v7, v8, v9 offset0:28 offset1:30
	v_add_u32_e32 v7, 0x2000, v7
	s_or_b64 s[30:31], vcc, s[30:31]
	v_mov_b32_e32 v8, s16
	s_andn2_b64 exec, exec, s[30:31]
	s_cbranch_execnz .LBB37_35
; %bb.36:
	s_or_b64 exec, exec, s[30:31]
.LBB37_37:
	s_or_b64 exec, exec, s[8:9]
	v_and_b32_e32 v5, 7, v5
	v_cmp_ne_u32_e32 vcc, 0, v5
	s_and_saveexec_b64 s[8:9], vcc
	s_cbranch_execz .LBB37_40
; %bb.38:
	v_lshlrev_b32_e32 v6, 9, v8
	s_movk_i32 s16, 0x110
	v_add3_u32 v6, v6, v10, s16
	s_mov_b64 s[30:31], 0
.LBB37_39:                              ; =>This Inner Loop Header: Depth=1
	ds_read2st64_b32 v[8:9], v6 offset1:2
	v_add_u32_e32 v5, -1, v5
	v_cmp_eq_u32_e32 vcc, 0, v5
	s_or_b64 s[30:31], vcc, s[30:31]
	s_waitcnt lgkmcnt(0)
	v_pk_mul_f32 v[8:9], v[2:3], v[8:9]
	ds_write2st64_b32 v6, v8, v9 offset1:2
	v_add_u32_e32 v6, 0x400, v6
	s_andn2_b64 exec, exec, s[30:31]
	s_cbranch_execnz .LBB37_39
.LBB37_40:
	s_or_b64 exec, exec, s[8:9]
	v_add_u32_e32 v4, 1, v4
	v_and_b32_e32 v5, 0x3fffffe, v4
	v_cmp_ne_u32_e32 vcc, v4, v5
	v_lshl_add_u32 v3, v5, 7, v0
	s_orn2_b64 s[8:9], vcc, exec
.LBB37_41:
	s_or_b64 exec, exec, s[2:3]
	s_and_b64 exec, exec, s[8:9]
	s_cbranch_execz .LBB37_44
; %bb.42:
	v_mov_b32_e32 v4, 0x110
	v_lshl_add_u32 v4, v3, 2, v4
	s_mov_b64 s[2:3], 0
.LBB37_43:                              ; =>This Inner Loop Header: Depth=1
	ds_read_b32 v5, v4
	v_add_u32_e32 v3, 0x80, v3
	v_cmp_le_i32_e32 vcc, s15, v3
	s_or_b64 s[2:3], vcc, s[2:3]
	s_waitcnt lgkmcnt(0)
	v_mul_f32_e32 v5, v2, v5
	ds_write_b32 v4, v5
	v_add_u32_e32 v4, 0x200, v4
	s_andn2_b64 exec, exec, s[2:3]
	s_cbranch_execnz .LBB37_43
.LBB37_44:
	s_or_b64 exec, exec, s[0:1]
	s_mov_b32 s8, 0
	v_mov_b32_e32 v9, 0
	v_and_b32_e32 v63, 7, v0
	v_mov_b32_e32 v8, 0
	v_mov_b32_e32 v7, 0
	v_mov_b32_e32 v6, 0
	v_mov_b32_e32 v5, 0
	v_mov_b32_e32 v4, 0
	v_mov_b32_e32 v3, 0
	s_waitcnt lgkmcnt(0)
	v_mov_b32_e32 v2, 0
	s_barrier
	s_and_saveexec_b64 s[2:3], s[6:7]
	s_cbranch_execz .LBB37_66
; %bb.45:
	s_ashr_i32 s15, s14, 31
	s_sub_i32 s30, s12, s17
	s_lshl_b64 s[0:1], s[14:15], 2
	s_add_u32 s6, s28, s0
	s_addc_u32 s7, s29, s1
	s_abs_i32 s18, s18
	v_cvt_f32_u32_e32 v2, s18
	s_sub_i32 s0, 0, s18
	s_add_i32 s29, s42, -1
	v_and_b32_e32 v64, 28, v10
	v_rcp_iflag_f32_e32 v2, v2
	v_and_b32_e32 v10, 0xfc, v10
	s_mov_b32 s9, s8
	s_mov_b32 s28, s13
	v_mul_f32_e32 v2, 0x4f7ffffe, v2
	v_cvt_u32_f32_e32 v2, v2
	v_mov_b32_e32 v47, 0
	v_or_b32_e32 v12, 0x400, v10
	v_or_b32_e32 v14, 0x500, v10
	v_mul_lo_u32 v3, s0, v2
	v_mul_hi_u32 v3, v2, v3
	v_add_u32_e32 v65, v2, v3
	s_lshl_b64 s[0:1], s[26:27], 2
	v_lshlrev_b32_e32 v2, 4, v63
	s_add_u32 s0, s10, s0
	v_lshl_or_b32 v2, v1, 7, v2
	v_or_b32_e32 v16, 0x600, v10
	v_or_b32_e32 v18, 0x700, v10
	v_and_b32_e32 v46, 60, v11
	s_addc_u32 s1, s11, s1
	v_add_u32_e32 v66, 0x110, v2
	s_mov_b32 s10, s8
	s_mov_b32 s11, s8
	;; [unrolled: 1-line block ×6, first 2 shown]
	v_mov_b64_e32 v[2:3], s[8:9]
	v_lshl_add_u64 v[48:49], s[0:1], 0, v[46:47]
	s_mov_b64 s[16:17], 0
	v_mov_b64_e32 v[4:5], s[10:11]
	v_mov_b64_e32 v[6:7], s[12:13]
	;; [unrolled: 1-line block ×3, first 2 shown]
	v_lshlrev_b32_e32 v50, 2, v10
	v_lshlrev_b32_e32 v46, 2, v12
	;; [unrolled: 1-line block ×5, first 2 shown]
	s_branch .LBB37_48
.LBB37_46:                              ;   in Loop: Header=BB37_48 Depth=1
	s_or_b64 exec, exec, s[0:1]
	s_waitcnt vmcnt(7) lgkmcnt(0)
	v_mul_f32_e32 v15, v11, v15
	v_fmac_f32_e32 v15, v10, v14
	s_waitcnt vmcnt(6)
	v_mul_f32_e32 v14, v11, v19
	v_fmac_f32_e32 v14, v10, v18
	v_fmac_f32_e32 v14, v12, v20
	v_fmac_f32_e32 v14, v13, v21
	v_add_f32_e32 v3, v3, v14
	s_waitcnt vmcnt(5)
	v_mul_f32_e32 v14, v11, v23
	v_fmac_f32_e32 v14, v10, v22
	v_fmac_f32_e32 v14, v12, v24
	v_fmac_f32_e32 v14, v13, v25
	v_add_f32_e32 v4, v4, v14
	;; [unrolled: 6-line block ×5, first 2 shown]
	s_waitcnt vmcnt(1)
	v_mul_f32_e32 v14, v11, v39
	s_waitcnt vmcnt(0)
	v_mul_f32_e32 v11, v11, v43
	v_fmac_f32_e32 v14, v10, v38
	v_fmac_f32_e32 v11, v10, v42
	;; [unrolled: 1-line block ×8, first 2 shown]
	v_add_f32_e32 v2, v2, v15
	v_add_f32_e32 v8, v8, v14
	;; [unrolled: 1-line block ×3, first 2 shown]
.LBB37_47:                              ;   in Loop: Header=BB37_48 Depth=1
	s_or_b64 exec, exec, s[8:9]
	v_add_u32_e32 v1, 2, v1
	v_cmp_le_i32_e32 vcc, s42, v1
	v_lshl_add_u64 v[48:49], v[48:49], 0, 8
	v_add_u32_e32 v58, 64, v58
	s_or_b64 s[16:17], vcc, s[16:17]
	v_add_u32_e32 v66, 0x100, v66
	s_andn2_b64 exec, exec, s[16:17]
	s_cbranch_execz .LBB37_65
.LBB37_48:                              ; =>This Inner Loop Header: Depth=1
	v_mul_hi_u32 v10, v58, s33
	v_mul_lo_u32 v11, v10, s23
	v_sub_u32_e32 v11, v58, v11
	v_add_u32_e32 v12, 1, v10
	v_cmp_le_u32_e32 vcc, s23, v11
	s_nop 1
	v_cndmask_b32_e32 v10, v10, v12, vcc
	v_subrev_u32_e32 v12, s23, v11
	v_cndmask_b32_e32 v11, v11, v12, vcc
	v_add_u32_e32 v12, 1, v10
	v_cmp_le_u32_e32 vcc, s23, v11
	s_nop 1
	v_cndmask_b32_e32 v10, v10, v12, vcc
	v_xor_b32_e32 v10, s41, v10
	v_subrev_u32_e32 v10, s41, v10
	v_add_u32_e32 v11, s40, v10
	v_sub_u32_e32 v13, 0, v11
	v_ashrrev_i32_e32 v12, 31, v11
	v_max_i32_e32 v11, v11, v13
	v_mul_hi_u32 v13, v11, v65
	v_mul_lo_u32 v13, v13, s18
	v_sub_u32_e32 v11, v11, v13
	v_subrev_u32_e32 v13, s18, v11
	v_cmp_le_u32_e32 vcc, s18, v11
	v_cmp_lt_i32_e64 s[0:1], s30, v10
	s_nop 0
	v_cndmask_b32_e32 v11, v11, v13, vcc
	v_subrev_u32_e32 v13, s18, v11
	v_cmp_le_u32_e32 vcc, s18, v11
	s_nop 1
	v_cndmask_b32_e32 v11, v11, v13, vcc
	v_xor_b32_e32 v11, v11, v12
	v_sub_u32_e32 v11, v11, v12
	v_cmp_eq_u32_e32 vcc, 0, v11
	s_or_b64 s[0:1], vcc, s[0:1]
	s_and_saveexec_b64 s[8:9], s[0:1]
	s_cbranch_execz .LBB37_47
; %bb.49:                               ;   in Loop: Header=BB37_48 Depth=1
	global_load_dword v10, v[48:49], off
	v_mov_b32_e32 v51, v47
	v_cmp_eq_u32_e32 vcc, s29, v1
	s_waitcnt vmcnt(0)
	v_mad_i64_i32 v[10:11], s[0:1], v10, s28, 0
	v_lshl_add_u64 v[42:43], v[10:11], 2, s[6:7]
	v_lshl_add_u64 v[26:27], v[42:43], 0, v[50:51]
	global_load_dwordx4 v[14:17], v[26:27], off
	ds_read_b128 v[10:13], v66
	v_add_u32_e32 v51, v64, v58
	v_add_u32_e32 v69, 1, v51
	;; [unrolled: 1-line block ×4, first 2 shown]
	s_and_saveexec_b64 s[10:11], vcc
	s_cbranch_execnz .LBB37_62
; %bb.50:                               ;   in Loop: Header=BB37_48 Depth=1
	s_or_b64 exec, exec, s[10:11]
	global_load_dwordx4 v[18:21], v[26:27], off offset:1024
	s_and_saveexec_b64 s[10:11], vcc
	s_cbranch_execnz .LBB37_63
.LBB37_51:                              ;   in Loop: Header=BB37_48 Depth=1
	s_or_b64 exec, exec, s[10:11]
	global_load_dwordx4 v[22:25], v[26:27], off offset:2048
	s_and_saveexec_b64 s[10:11], vcc
	s_cbranch_execnz .LBB37_64
.LBB37_52:                              ;   in Loop: Header=BB37_48 Depth=1
	s_or_b64 exec, exec, s[10:11]
	global_load_dwordx4 v[26:29], v[26:27], off offset:3072
	s_and_saveexec_b64 s[10:11], vcc
	s_cbranch_execz .LBB37_54
.LBB37_53:                              ;   in Loop: Header=BB37_48 Depth=1
	v_cmp_gt_i32_e64 s[0:1], s21, v51
	s_waitcnt vmcnt(0)
	s_nop 0
	v_cndmask_b32_e64 v26, 0, v26, s[0:1]
	v_cmp_gt_i32_e64 s[0:1], s21, v69
	s_nop 1
	v_cndmask_b32_e64 v27, 0, v27, s[0:1]
	v_cmp_gt_i32_e64 s[0:1], s21, v68
	;; [unrolled: 3-line block ×3, first 2 shown]
	s_nop 1
	v_cndmask_b32_e64 v29, 0, v29, s[0:1]
.LBB37_54:                              ;   in Loop: Header=BB37_48 Depth=1
	s_or_b64 exec, exec, s[10:11]
	v_lshl_add_u64 v[30:31], v[42:43], 0, v[46:47]
	global_load_dwordx4 v[30:33], v[30:31], off
	s_and_saveexec_b64 s[10:11], vcc
	s_cbranch_execz .LBB37_56
; %bb.55:                               ;   in Loop: Header=BB37_48 Depth=1
	v_cmp_gt_i32_e64 s[0:1], s21, v51
	s_waitcnt vmcnt(0)
	s_nop 0
	v_cndmask_b32_e64 v30, 0, v30, s[0:1]
	v_cmp_gt_i32_e64 s[0:1], s21, v69
	s_nop 1
	v_cndmask_b32_e64 v31, 0, v31, s[0:1]
	v_cmp_gt_i32_e64 s[0:1], s21, v68
	s_nop 1
	v_cndmask_b32_e64 v32, 0, v32, s[0:1]
	v_cmp_gt_i32_e64 s[0:1], s21, v67
	s_nop 1
	v_cndmask_b32_e64 v33, 0, v33, s[0:1]
.LBB37_56:                              ;   in Loop: Header=BB37_48 Depth=1
	s_or_b64 exec, exec, s[10:11]
	v_mov_b32_e32 v53, v47
	v_lshl_add_u64 v[34:35], v[42:43], 0, v[52:53]
	global_load_dwordx4 v[34:37], v[34:35], off
	s_and_saveexec_b64 s[10:11], vcc
	s_cbranch_execz .LBB37_58
; %bb.57:                               ;   in Loop: Header=BB37_48 Depth=1
	v_cmp_gt_i32_e64 s[0:1], s21, v51
	s_waitcnt vmcnt(0)
	s_nop 0
	v_cndmask_b32_e64 v34, 0, v34, s[0:1]
	v_cmp_gt_i32_e64 s[0:1], s21, v69
	s_nop 1
	v_cndmask_b32_e64 v35, 0, v35, s[0:1]
	v_cmp_gt_i32_e64 s[0:1], s21, v68
	s_nop 1
	v_cndmask_b32_e64 v36, 0, v36, s[0:1]
	v_cmp_gt_i32_e64 s[0:1], s21, v67
	s_nop 1
	v_cndmask_b32_e64 v37, 0, v37, s[0:1]
.LBB37_58:                              ;   in Loop: Header=BB37_48 Depth=1
	s_or_b64 exec, exec, s[10:11]
	v_mov_b32_e32 v55, v47
	;; [unrolled: 21-line block ×3, first 2 shown]
	v_lshl_add_u64 v[42:43], v[42:43], 0, v[56:57]
	global_load_dwordx4 v[42:45], v[42:43], off
	s_and_saveexec_b64 s[0:1], vcc
	s_cbranch_execz .LBB37_46
; %bb.61:                               ;   in Loop: Header=BB37_48 Depth=1
	v_cmp_gt_i32_e32 vcc, s21, v51
	s_waitcnt vmcnt(0)
	s_nop 0
	v_cndmask_b32_e32 v42, 0, v42, vcc
	v_cmp_gt_i32_e32 vcc, s21, v69
	s_nop 1
	v_cndmask_b32_e32 v43, 0, v43, vcc
	v_cmp_gt_i32_e32 vcc, s21, v68
	;; [unrolled: 3-line block ×3, first 2 shown]
	s_nop 1
	v_cndmask_b32_e32 v45, 0, v45, vcc
	s_branch .LBB37_46
.LBB37_62:                              ;   in Loop: Header=BB37_48 Depth=1
	v_cmp_gt_i32_e64 s[0:1], s21, v51
	s_waitcnt vmcnt(0)
	s_nop 0
	v_cndmask_b32_e64 v14, 0, v14, s[0:1]
	v_cmp_gt_i32_e64 s[0:1], s21, v69
	s_nop 1
	v_cndmask_b32_e64 v15, 0, v15, s[0:1]
	v_cmp_gt_i32_e64 s[0:1], s21, v68
	s_nop 1
	v_cndmask_b32_e64 v16, 0, v16, s[0:1]
	v_cmp_gt_i32_e64 s[0:1], s21, v67
	s_nop 1
	v_cndmask_b32_e64 v17, 0, v17, s[0:1]
	s_or_b64 exec, exec, s[10:11]
	global_load_dwordx4 v[18:21], v[26:27], off offset:1024
	s_and_saveexec_b64 s[10:11], vcc
	s_cbranch_execz .LBB37_51
.LBB37_63:                              ;   in Loop: Header=BB37_48 Depth=1
	v_cmp_gt_i32_e64 s[0:1], s21, v51
	s_waitcnt vmcnt(0)
	s_nop 0
	v_cndmask_b32_e64 v18, 0, v18, s[0:1]
	v_cmp_gt_i32_e64 s[0:1], s21, v69
	s_nop 1
	v_cndmask_b32_e64 v19, 0, v19, s[0:1]
	v_cmp_gt_i32_e64 s[0:1], s21, v68
	;; [unrolled: 3-line block ×3, first 2 shown]
	s_nop 1
	v_cndmask_b32_e64 v21, 0, v21, s[0:1]
	s_or_b64 exec, exec, s[10:11]
	global_load_dwordx4 v[22:25], v[26:27], off offset:2048
	s_and_saveexec_b64 s[10:11], vcc
	s_cbranch_execz .LBB37_52
.LBB37_64:                              ;   in Loop: Header=BB37_48 Depth=1
	v_cmp_gt_i32_e64 s[0:1], s21, v51
	s_waitcnt vmcnt(0)
	s_nop 0
	v_cndmask_b32_e64 v22, 0, v22, s[0:1]
	v_cmp_gt_i32_e64 s[0:1], s21, v69
	s_nop 1
	v_cndmask_b32_e64 v23, 0, v23, s[0:1]
	v_cmp_gt_i32_e64 s[0:1], s21, v68
	;; [unrolled: 3-line block ×3, first 2 shown]
	s_nop 1
	v_cndmask_b32_e64 v25, 0, v25, s[0:1]
	s_or_b64 exec, exec, s[10:11]
	global_load_dwordx4 v[26:29], v[26:27], off offset:3072
	s_and_saveexec_b64 s[10:11], vcc
	s_cbranch_execnz .LBB37_53
	s_branch .LBB37_54
.LBB37_65:
	s_or_b64 exec, exec, s[16:17]
.LBB37_66:
	s_or_b64 exec, exec, s[2:3]
	ds_bpermute_b32 v12, v61, v4
	ds_bpermute_b32 v13, v61, v5
	;; [unrolled: 1-line block ×6, first 2 shown]
	s_waitcnt lgkmcnt(4)
	v_pk_add_f32 v[4:5], v[4:5], v[12:13]
	ds_bpermute_b32 v12, v60, v4
	ds_bpermute_b32 v13, v60, v5
	s_waitcnt lgkmcnt(4)
	v_pk_add_f32 v[2:3], v[2:3], v[10:11]
	s_waitcnt lgkmcnt(2)
	v_pk_add_f32 v[6:7], v[6:7], v[14:15]
	ds_bpermute_b32 v10, v60, v2
	ds_bpermute_b32 v11, v60, v3
	s_waitcnt lgkmcnt(2)
	v_pk_add_f32 v[4:5], v[4:5], v[12:13]
	ds_bpermute_b32 v12, v61, v8
	ds_bpermute_b32 v13, v61, v9
	;; [unrolled: 1-line block ×4, first 2 shown]
	s_waitcnt lgkmcnt(4)
	v_pk_add_f32 v[2:3], v[2:3], v[10:11]
	ds_bpermute_b32 v10, v62, v2
	s_waitcnt lgkmcnt(3)
	v_pk_add_f32 v[8:9], v[8:9], v[12:13]
	ds_bpermute_b32 v12, v60, v8
	ds_bpermute_b32 v13, v60, v9
	s_waitcnt lgkmcnt(3)
	v_pk_add_f32 v[14:15], v[6:7], v[14:15]
	ds_bpermute_b32 v11, v62, v3
	ds_bpermute_b32 v16, v62, v4
	;; [unrolled: 1-line block ×3, first 2 shown]
	s_waitcnt lgkmcnt(3)
	v_pk_add_f32 v[12:13], v[8:9], v[12:13]
	ds_bpermute_b32 v18, v62, v14
	ds_bpermute_b32 v19, v62, v15
	;; [unrolled: 1-line block ×4, first 2 shown]
	v_and_b32_e32 v1, 0x3c7, v0
	s_waitcnt lgkmcnt(6)
	v_pk_add_f32 v[8:9], v[2:3], v[10:11]
	s_waitcnt lgkmcnt(4)
	v_pk_add_f32 v[6:7], v[4:5], v[16:17]
	;; [unrolled: 2-line block ×4, first 2 shown]
	v_cmp_eq_u32_e32 vcc, 64, v1
	s_barrier
	s_and_saveexec_b64 s[0:1], vcc
	s_cbranch_execz .LBB37_68
; %bb.67:
	v_lshrrev_b32_e32 v10, 1, v59
	v_add_u32_e32 v10, 0x110, v10
	ds_write2_b32 v10, v8, v9 offset1:8
	ds_write2_b32 v10, v6, v7 offset0:16 offset1:24
	ds_write2_b32 v10, v2, v3 offset0:32 offset1:40
	;; [unrolled: 1-line block ×3, first 2 shown]
.LBB37_68:
	s_or_b64 exec, exec, s[0:1]
	v_cmp_gt_u32_e32 vcc, 64, v0
	s_waitcnt lgkmcnt(0)
	s_barrier
	s_and_saveexec_b64 s[0:1], vcc
	s_cbranch_execz .LBB37_79
; %bb.69:
	v_cmp_eq_u32_e32 vcc, 0, v63
	v_lshrrev_b32_e32 v10, 3, v0
	s_and_saveexec_b64 s[2:3], vcc
	s_cbranch_execnz .LBB37_82
; %bb.70:
	s_or_b64 exec, exec, s[2:3]
	s_and_saveexec_b64 s[2:3], vcc
	s_cbranch_execnz .LBB37_83
.LBB37_71:
	s_or_b64 exec, exec, s[2:3]
	s_and_saveexec_b64 s[2:3], vcc
	s_cbranch_execnz .LBB37_84
.LBB37_72:
	s_or_b64 exec, exec, s[2:3]
	s_and_saveexec_b64 s[2:3], vcc
	s_cbranch_execnz .LBB37_85
.LBB37_73:
	s_or_b64 exec, exec, s[2:3]
	s_and_saveexec_b64 s[2:3], vcc
	s_cbranch_execnz .LBB37_86
.LBB37_74:
	s_or_b64 exec, exec, s[2:3]
	s_and_saveexec_b64 s[2:3], vcc
	s_cbranch_execnz .LBB37_87
.LBB37_75:
	s_or_b64 exec, exec, s[2:3]
	s_and_saveexec_b64 s[2:3], vcc
	s_cbranch_execnz .LBB37_88
.LBB37_76:
	s_or_b64 exec, exec, s[2:3]
	s_and_saveexec_b64 s[2:3], vcc
	s_cbranch_execz .LBB37_78
.LBB37_77:
	v_mov_b32_e32 v11, 0x110
	v_lshl_add_u32 v10, v10, 2, v11
	ds_read_b32 v10, v10 offset:224
	s_waitcnt lgkmcnt(0)
	v_add_f32_e32 v5, v5, v10
.LBB37_78:
	s_or_b64 exec, exec, s[2:3]
.LBB37_79:
	s_or_b64 exec, exec, s[0:1]
	v_cmp_eq_u32_e32 vcc, 0, v1
	s_barrier
	s_and_saveexec_b64 s[0:1], vcc
	s_cbranch_execz .LBB37_81
; %bb.80:
	s_mul_i32 s0, s20, s19
	s_mul_i32 s0, s0, s5
	s_lshl_b32 s0, s0, 6
	s_ashr_i32 s1, s0, 31
	s_lshl_b64 s[0:1], s[0:1], 2
	s_add_u32 s2, s24, s0
	s_mul_i32 s0, s19, s22
	s_addc_u32 s3, s25, s1
	s_ashr_i32 s1, s0, 31
	s_lshl_b64 s[0:1], s[0:1], 2
	s_add_u32 s2, s2, s0
	s_addc_u32 s3, s3, s1
	s_lshl_b32 s0, s4, 6
	s_ashr_i32 s1, s0, 31
	s_lshl_b64 s[0:1], s[0:1], 2
	s_add_u32 s0, s2, s0
	s_addc_u32 s1, s3, s1
	v_lshrrev_b32_e32 v0, 1, v0
	global_store_dword v0, v8, s[0:1]
	global_store_dword v0, v9, s[0:1] offset:32
	global_store_dword v0, v6, s[0:1] offset:64
	;; [unrolled: 1-line block ×7, first 2 shown]
.LBB37_81:
	s_endpgm
.LBB37_82:
	v_mov_b32_e32 v11, 0x110
	v_lshl_add_u32 v11, v10, 2, v11
	ds_read_b32 v11, v11
	s_waitcnt lgkmcnt(0)
	v_add_f32_e32 v8, v8, v11
	s_or_b64 exec, exec, s[2:3]
	s_and_saveexec_b64 s[2:3], vcc
	s_cbranch_execz .LBB37_71
.LBB37_83:
	v_mov_b32_e32 v11, 0x110
	v_lshl_add_u32 v11, v10, 2, v11
	ds_read_b32 v11, v11 offset:32
	s_waitcnt lgkmcnt(0)
	v_add_f32_e32 v9, v9, v11
	s_or_b64 exec, exec, s[2:3]
	s_and_saveexec_b64 s[2:3], vcc
	s_cbranch_execz .LBB37_72
.LBB37_84:
	v_mov_b32_e32 v11, 0x110
	v_lshl_add_u32 v11, v10, 2, v11
	ds_read_b32 v11, v11 offset:64
	s_waitcnt lgkmcnt(0)
	v_add_f32_e32 v6, v6, v11
	s_or_b64 exec, exec, s[2:3]
	s_and_saveexec_b64 s[2:3], vcc
	s_cbranch_execz .LBB37_73
.LBB37_85:
	v_mov_b32_e32 v11, 0x110
	v_lshl_add_u32 v11, v10, 2, v11
	ds_read_b32 v11, v11 offset:96
	s_waitcnt lgkmcnt(0)
	v_add_f32_e32 v7, v7, v11
	s_or_b64 exec, exec, s[2:3]
	s_and_saveexec_b64 s[2:3], vcc
	s_cbranch_execz .LBB37_74
.LBB37_86:
	v_mov_b32_e32 v11, 0x110
	v_lshl_add_u32 v11, v10, 2, v11
	ds_read_b32 v11, v11 offset:128
	s_waitcnt lgkmcnt(0)
	v_add_f32_e32 v2, v2, v11
	s_or_b64 exec, exec, s[2:3]
	s_and_saveexec_b64 s[2:3], vcc
	s_cbranch_execz .LBB37_75
.LBB37_87:
	v_mov_b32_e32 v11, 0x110
	v_lshl_add_u32 v11, v10, 2, v11
	ds_read_b32 v11, v11 offset:160
	s_waitcnt lgkmcnt(0)
	v_add_f32_e32 v3, v3, v11
	s_or_b64 exec, exec, s[2:3]
	s_and_saveexec_b64 s[2:3], vcc
	s_cbranch_execz .LBB37_76
.LBB37_88:
	v_mov_b32_e32 v11, 0x110
	v_lshl_add_u32 v11, v10, 2, v11
	ds_read_b32 v11, v11 offset:192
	s_waitcnt lgkmcnt(0)
	v_add_f32_e32 v4, v4, v11
	s_or_b64 exec, exec, s[2:3]
	s_and_saveexec_b64 s[2:3], vcc
	s_cbranch_execnz .LBB37_77
	s_branch .LBB37_78
	.section	.rodata,"a",@progbits
	.p2align	6, 0x0
	.amdhsa_kernel _ZN4vllm25paged_attention_v1_kernelIffLi64ELi32ELi128ELNS_18Fp8KVCacheDataTypeE0ELb1EEEvPT_PKS2_PKT0_S8_ifPKiSA_iPKfiiiSC_SC_iiiii
		.amdhsa_group_segment_fixed_size 272
		.amdhsa_private_segment_fixed_size 0
		.amdhsa_kernarg_size 384
		.amdhsa_user_sgpr_count 2
		.amdhsa_user_sgpr_dispatch_ptr 0
		.amdhsa_user_sgpr_queue_ptr 0
		.amdhsa_user_sgpr_kernarg_segment_ptr 1
		.amdhsa_user_sgpr_dispatch_id 0
		.amdhsa_user_sgpr_kernarg_preload_length 0
		.amdhsa_user_sgpr_kernarg_preload_offset 0
		.amdhsa_user_sgpr_private_segment_size 0
		.amdhsa_uses_dynamic_stack 0
		.amdhsa_enable_private_segment 0
		.amdhsa_system_sgpr_workgroup_id_x 1
		.amdhsa_system_sgpr_workgroup_id_y 1
		.amdhsa_system_sgpr_workgroup_id_z 1
		.amdhsa_system_sgpr_workgroup_info 0
		.amdhsa_system_vgpr_workitem_id 0
		.amdhsa_next_free_vgpr 88
		.amdhsa_next_free_sgpr 45
		.amdhsa_accum_offset 88
		.amdhsa_reserve_vcc 1
		.amdhsa_float_round_mode_32 0
		.amdhsa_float_round_mode_16_64 0
		.amdhsa_float_denorm_mode_32 3
		.amdhsa_float_denorm_mode_16_64 3
		.amdhsa_dx10_clamp 1
		.amdhsa_ieee_mode 1
		.amdhsa_fp16_overflow 0
		.amdhsa_tg_split 0
		.amdhsa_exception_fp_ieee_invalid_op 0
		.amdhsa_exception_fp_denorm_src 0
		.amdhsa_exception_fp_ieee_div_zero 0
		.amdhsa_exception_fp_ieee_overflow 0
		.amdhsa_exception_fp_ieee_underflow 0
		.amdhsa_exception_fp_ieee_inexact 0
		.amdhsa_exception_int_div_zero 0
	.end_amdhsa_kernel
	.section	.text._ZN4vllm25paged_attention_v1_kernelIffLi64ELi32ELi128ELNS_18Fp8KVCacheDataTypeE0ELb1EEEvPT_PKS2_PKT0_S8_ifPKiSA_iPKfiiiSC_SC_iiiii,"axG",@progbits,_ZN4vllm25paged_attention_v1_kernelIffLi64ELi32ELi128ELNS_18Fp8KVCacheDataTypeE0ELb1EEEvPT_PKS2_PKT0_S8_ifPKiSA_iPKfiiiSC_SC_iiiii,comdat
.Lfunc_end37:
	.size	_ZN4vllm25paged_attention_v1_kernelIffLi64ELi32ELi128ELNS_18Fp8KVCacheDataTypeE0ELb1EEEvPT_PKS2_PKT0_S8_ifPKiSA_iPKfiiiSC_SC_iiiii, .Lfunc_end37-_ZN4vllm25paged_attention_v1_kernelIffLi64ELi32ELi128ELNS_18Fp8KVCacheDataTypeE0ELb1EEEvPT_PKS2_PKT0_S8_ifPKiSA_iPKfiiiSC_SC_iiiii
                                        ; -- End function
	.section	.AMDGPU.csdata,"",@progbits
; Kernel info:
; codeLenInByte = 5940
; NumSgprs: 51
; NumVgprs: 88
; NumAgprs: 0
; TotalNumVgprs: 88
; ScratchSize: 0
; MemoryBound: 0
; FloatMode: 240
; IeeeMode: 1
; LDSByteSize: 272 bytes/workgroup (compile time only)
; SGPRBlocks: 6
; VGPRBlocks: 10
; NumSGPRsForWavesPerEU: 51
; NumVGPRsForWavesPerEU: 88
; AccumOffset: 88
; Occupancy: 5
; WaveLimiterHint : 1
; COMPUTE_PGM_RSRC2:SCRATCH_EN: 0
; COMPUTE_PGM_RSRC2:USER_SGPR: 2
; COMPUTE_PGM_RSRC2:TRAP_HANDLER: 0
; COMPUTE_PGM_RSRC2:TGID_X_EN: 1
; COMPUTE_PGM_RSRC2:TGID_Y_EN: 1
; COMPUTE_PGM_RSRC2:TGID_Z_EN: 1
; COMPUTE_PGM_RSRC2:TIDIG_COMP_CNT: 0
; COMPUTE_PGM_RSRC3_GFX90A:ACCUM_OFFSET: 21
; COMPUTE_PGM_RSRC3_GFX90A:TG_SPLIT: 0
	.section	.text._ZN4vllm25paged_attention_v1_kernelIffLi80ELi32ELi128ELNS_18Fp8KVCacheDataTypeE0ELb1EEEvPT_PKS2_PKT0_S8_ifPKiSA_iPKfiiiSC_SC_iiiii,"axG",@progbits,_ZN4vllm25paged_attention_v1_kernelIffLi80ELi32ELi128ELNS_18Fp8KVCacheDataTypeE0ELb1EEEvPT_PKS2_PKT0_S8_ifPKiSA_iPKfiiiSC_SC_iiiii,comdat
	.protected	_ZN4vllm25paged_attention_v1_kernelIffLi80ELi32ELi128ELNS_18Fp8KVCacheDataTypeE0ELb1EEEvPT_PKS2_PKT0_S8_ifPKiSA_iPKfiiiSC_SC_iiiii ; -- Begin function _ZN4vllm25paged_attention_v1_kernelIffLi80ELi32ELi128ELNS_18Fp8KVCacheDataTypeE0ELb1EEEvPT_PKS2_PKT0_S8_ifPKiSA_iPKfiiiSC_SC_iiiii
	.globl	_ZN4vllm25paged_attention_v1_kernelIffLi80ELi32ELi128ELNS_18Fp8KVCacheDataTypeE0ELb1EEEvPT_PKS2_PKT0_S8_ifPKiSA_iPKfiiiSC_SC_iiiii
	.p2align	8
	.type	_ZN4vllm25paged_attention_v1_kernelIffLi80ELi32ELi128ELNS_18Fp8KVCacheDataTypeE0ELb1EEEvPT_PKS2_PKT0_S8_ifPKiSA_iPKfiiiSC_SC_iiiii,@function
_ZN4vllm25paged_attention_v1_kernelIffLi80ELi32ELi128ELNS_18Fp8KVCacheDataTypeE0ELb1EEEvPT_PKS2_PKT0_S8_ifPKiSA_iPKfiiiSC_SC_iiiii: ; @_ZN4vllm25paged_attention_v1_kernelIffLi80ELi32ELi128ELNS_18Fp8KVCacheDataTypeE0ELb1EEEvPT_PKS2_PKT0_S8_ifPKiSA_iPKfiiiSC_SC_iiiii
; %bb.0:
	s_load_dword s5, s[0:1], 0x80
	s_load_dwordx2 s[6:7], s[0:1], 0x30
	s_load_dwordx2 s[30:31], s[0:1], 0x20
	s_mov_b32 s10, s3
	s_ashr_i32 s11, s3, 31
	s_lshl_b64 s[8:9], s[10:11], 2
	s_waitcnt lgkmcnt(0)
	s_add_u32 s6, s6, s8
	s_addc_u32 s7, s7, s9
	s_abs_i32 s3, s30
	v_cvt_f32_u32_e32 v1, s3
	s_sub_i32 s11, 0, s3
	s_abs_i32 s9, s5
	s_xor_b32 s8, s5, s30
	v_rcp_iflag_f32_e32 v1, v1
	s_ashr_i32 s8, s8, 31
	s_mov_b32 s42, 0
	v_mul_f32_e32 v1, 0x4f7ffffe, v1
	v_cvt_u32_f32_e32 v1, v1
	s_nop 0
	v_readfirstlane_b32 s12, v1
	s_mul_i32 s11, s11, s12
	s_mul_hi_u32 s11, s12, s11
	s_add_i32 s12, s12, s11
	s_mul_hi_u32 s11, s9, s12
	s_mul_i32 s12, s11, s3
	s_sub_i32 s9, s9, s12
	s_add_i32 s12, s11, 1
	s_sub_i32 s13, s9, s3
	s_cmp_ge_u32 s9, s3
	s_cselect_b32 s11, s12, s11
	s_cselect_b32 s9, s13, s9
	s_add_i32 s12, s11, 1
	s_cmp_ge_u32 s9, s3
	s_cselect_b32 s3, s12, s11
	s_xor_b32 s3, s3, s8
	s_sub_i32 s12, s3, s8
	s_abs_i32 s11, s12
	v_cvt_f32_u32_e32 v1, s11
	s_load_dwordx2 s[8:9], s[0:1], 0x40
	s_sub_i32 s3, 0, s11
	s_abs_i32 s22, s2
	v_rcp_iflag_f32_e32 v1, v1
	s_nop 0
	v_mul_f32_e32 v1, 0x4f7ffffe, v1
	v_cvt_u32_f32_e32 v1, v1
	s_nop 0
	v_readfirstlane_b32 s13, v1
	s_mul_i32 s3, s3, s13
	s_mul_hi_u32 s3, s13, s3
	s_add_i32 s13, s13, s3
	s_waitcnt lgkmcnt(0)
	s_cmp_eq_u64 s[8:9], 0
	s_mul_hi_u32 s23, s22, s13
	s_cbranch_scc1 .LBB38_2
; %bb.1:
	s_ashr_i32 s3, s2, 31
	s_lshl_b64 s[14:15], s[2:3], 2
	s_add_u32 s8, s8, s14
	s_addc_u32 s9, s9, s15
	s_load_dword s42, s[8:9], 0x0
.LBB38_2:
	s_load_dword s33, s[6:7], 0x0
	s_ashr_i32 s9, s12, 31
	s_load_dwordx4 s[12:15], s[0:1], 0x48
	s_ashr_i32 s3, s2, 31
	v_and_b32_e32 v4, 1, v0
	s_mul_i32 s20, s2, 0x50
	v_cmp_gt_u32_e32 vcc, 40, v0
	v_lshlrev_b32_e32 v2, 3, v0
	v_lshlrev_b32_e32 v6, 2, v0
	s_and_saveexec_b64 s[6:7], vcc
	s_cbranch_execz .LBB38_4
; %bb.3:
	s_load_dwordx2 s[16:17], s[0:1], 0x8
	s_waitcnt lgkmcnt(0)
	s_mul_i32 s18, s10, s12
	s_ashr_i32 s19, s18, 31
	s_lshl_b64 s[18:19], s[18:19], 2
	v_and_b32_e32 v1, 0xff8, v6
	s_add_u32 s8, s16, s18
	s_addc_u32 s12, s17, s19
	s_ashr_i32 s21, s20, 31
	s_lshl_b64 s[16:17], s[20:21], 2
	s_add_u32 s16, s8, s16
	s_addc_u32 s17, s12, s17
	global_load_dwordx2 v[8:9], v2, s[16:17]
	s_movk_i32 s8, 0xa0
	v_mad_u32_u24 v1, v4, s8, v1
	s_waitcnt vmcnt(0)
	ds_write_b64 v1, v[8:9]
.LBB38_4:
	s_or_b64 exec, exec, s[6:7]
	s_mul_i32 s6, s23, s11
	s_sub_i32 s6, s22, s6
	s_xor_b32 s3, s3, s9
	s_add_i32 s7, s23, 1
	s_sub_i32 s9, s6, s11
	s_load_dwordx4 s[16:19], s[0:1], 0x68
	s_load_dword s8, s[0:1], 0x78
	s_cmp_ge_u32 s6, s11
	s_cselect_b32 s7, s7, s23
	s_cselect_b32 s6, s9, s6
	s_add_i32 s9, s7, 1
	s_cmp_ge_u32 s6, s11
	s_cselect_b32 s6, s9, s7
	s_waitcnt lgkmcnt(0)
	s_abs_i32 s21, s19
	v_cvt_f32_u32_e32 v1, s21
	s_xor_b32 s6, s6, s3
	s_sub_i32 s3, s6, s3
	s_sub_i32 s6, 0, s21
	v_rcp_iflag_f32_e32 v1, v1
	s_add_i32 s11, s33, -1
	s_abs_i32 s9, s11
	v_mul_f32_e32 v1, 0x4f7ffffe, v1
	v_cvt_u32_f32_e32 v1, v1
	s_barrier
	v_readfirstlane_b32 s40, v1
	s_mul_i32 s6, s6, s40
	s_mul_hi_u32 s6, s40, s6
	s_add_i32 s40, s40, s6
	s_cmp_lt_i32 s8, 0
	s_mul_hi_u32 s12, s9, s40
	s_cbranch_scc0 .LBB38_6
; %bb.5:
	s_mul_i32 s6, s16, s30
	s_add_i32 s6, s3, s6
	s_mul_i32 s6, s6, s8
	s_sub_i32 s41, 1, s6
	s_mov_b64 s[6:7], 0
	s_branch .LBB38_7
.LBB38_6:
	s_mov_b64 s[6:7], -1
                                        ; implicit-def: $sgpr41
.LBB38_7:
	s_load_dwordx2 s[24:25], s[0:1], 0x28
	s_ashr_i32 s15, s11, 31
	s_andn2_b64 vcc, exec, s[6:7]
	s_ashr_i32 s19, s19, 31
	s_cbranch_vccnz .LBB38_9
; %bb.8:
	s_mul_i32 s6, s5, s16
	s_add_i32 s2, s6, s2
	s_mul_i32 s2, s2, s8
	s_add_i32 s41, s2, 1
.LBB38_9:
	s_load_dword s2, s[0:1], 0x38
	s_load_dwordx2 s[22:23], s[0:1], 0x0
	s_load_dwordx2 s[28:29], s[0:1], 0x18
	s_load_dword s11, s[0:1], 0x88
	s_xor_b32 s6, s15, s19
	s_waitcnt lgkmcnt(0)
	s_mul_i32 s26, s10, s2
	s_mul_i32 s2, s12, s21
	s_sub_i32 s2, s9, s2
	s_ashr_i32 s27, s26, 31
	s_add_i32 s7, s12, 1
	s_sub_i32 s8, s2, s21
	s_cmp_ge_u32 s2, s21
	s_cselect_b32 s7, s7, s12
	s_cselect_b32 s2, s8, s2
	s_add_i32 s8, s7, 1
	s_cmp_ge_u32 s2, s21
	s_cselect_b32 s2, s8, s7
	s_xor_b32 s2, s2, s6
	s_sub_i32 s12, s2, s6
	s_add_i32 s2, s33, 31
	s_ashr_i32 s6, s2, 31
	s_lshr_b32 s6, s6, 27
	s_add_i32 s2, s2, s6
	s_ashr_i32 s16, s2, 5
	v_lshrrev_b32_e32 v1, 6, v0
	v_cmp_gt_i32_e64 s[6:7], s16, v1
	v_mov_b32_e32 v11, 0xff7fffff
	s_mul_i32 s14, s3, s14
	v_lshrrev_b32_e32 v7, 4, v0
	v_lshlrev_b32_e32 v72, 5, v1
	v_mbcnt_lo_u32_b32 v8, -1, 0
	s_and_saveexec_b64 s[34:35], s[6:7]
	s_cbranch_execz .LBB38_19
; %bb.10:
	s_load_dwordx2 s[0:1], s[0:1], 0x10
	s_ashr_i32 s15, s14, 31
	s_sub_i32 s30, s12, s17
	s_lshl_b64 s[2:3], s[14:15], 2
	v_bfe_u32 v9, v0, 1, 5
	s_waitcnt lgkmcnt(0)
	s_add_u32 s0, s0, s2
	s_addc_u32 s1, s1, s3
	s_abs_i32 s15, s18
	v_cvt_f32_u32_e32 v3, s15
	v_lshlrev_b32_e32 v14, 4, v9
	v_mov_b32_e32 v15, 0
	v_lshl_add_u64 v[10:11], s[0:1], 0, v[14:15]
	v_rcp_iflag_f32_e32 v5, v3
	v_and_b32_e32 v14, 8, v2
	s_sub_i32 s0, 0, s15
	v_cmp_eq_u32_e32 vcc, 0, v4
	v_mul_f32_e32 v5, 0x4f7ffffe, v5
	v_cvt_u32_f32_e32 v5, v5
	v_lshl_add_u64 v[2:3], v[10:11], 0, v[14:15]
	v_mul_u32_u24_e32 v10, 0xa0, v4
	v_lshlrev_b32_e32 v16, 2, v9
	v_mul_lo_u32 v4, s0, v5
	s_lshl_b64 s[0:1], s[26:27], 2
	s_add_u32 s0, s24, s0
	v_mul_hi_u32 v4, v5, v4
	v_and_b32_e32 v14, 60, v7
	s_addc_u32 s1, s25, s1
	v_lshl_or_b32 v11, v1, 7, v16
	v_add_u32_e32 v12, v5, v4
	v_lshl_add_u64 v[4:5], s[0:1], 0, v[14:15]
	v_add_u32_e32 v14, 0x150, v11
	v_subrev_u32_e32 v11, s33, v9
	v_mbcnt_hi_u32_b32 v17, -1, v8
	v_add_u32_e32 v15, 1, v11
	v_and_b32_e32 v11, 64, v17
	s_mov_b32 s43, s13
	v_cmp_neq_f32_e64 s[2:3], s42, 0
	v_lshlrev_b32_e32 v13, 5, v1
	s_mov_b64 s[36:37], 0
	v_mov_b32_e32 v16, 0xff7fffff
	s_movk_i32 s44, 0x1000
	s_movk_i32 s45, 0x2000
	v_xor_b32_e32 v18, 1, v17
	v_add_u32_e32 v19, 64, v11
	v_mov_b32_e32 v11, 0xff7fffff
	v_mov_b32_e32 v20, v1
	s_branch .LBB38_13
.LBB38_11:                              ;   in Loop: Header=BB38_13 Depth=1
	s_or_b64 exec, exec, s[38:39]
.LBB38_12:                              ;   in Loop: Header=BB38_13 Depth=1
	s_or_b64 exec, exec, s[8:9]
	v_add_u32_e32 v20, 2, v20
	v_cmp_le_i32_e64 s[0:1], s16, v20
	v_lshl_add_u64 v[4:5], v[4:5], 0, 8
	v_add_u32_e32 v13, 64, v13
	s_or_b64 s[36:37], s[0:1], s[36:37]
	v_add_u32_e32 v14, 0x100, v14
	s_andn2_b64 exec, exec, s[36:37]
	s_cbranch_execz .LBB38_18
.LBB38_13:                              ; =>This Inner Loop Header: Depth=1
	v_mul_hi_u32 v21, v13, s40
	s_waitcnt lgkmcnt(0)
	v_mul_lo_u32 v22, v21, s21
	v_sub_u32_e32 v22, v13, v22
	v_add_u32_e32 v23, 1, v21
	v_cmp_le_u32_e64 s[0:1], s21, v22
	s_nop 1
	v_cndmask_b32_e64 v21, v21, v23, s[0:1]
	v_subrev_u32_e32 v23, s21, v22
	v_cndmask_b32_e64 v22, v22, v23, s[0:1]
	v_add_u32_e32 v23, 1, v21
	v_cmp_le_u32_e64 s[0:1], s21, v22
	s_nop 1
	v_cndmask_b32_e64 v21, v21, v23, s[0:1]
	v_xor_b32_e32 v21, s19, v21
	v_subrev_u32_e32 v21, s19, v21
	v_add_u32_e32 v22, s41, v21
	v_sub_u32_e32 v24, 0, v22
	v_ashrrev_i32_e32 v23, 31, v22
	v_max_i32_e32 v22, v22, v24
	v_mul_hi_u32 v24, v22, v12
	v_mul_lo_u32 v24, v24, s15
	v_sub_u32_e32 v22, v22, v24
	v_subrev_u32_e32 v24, s15, v22
	v_cmp_le_u32_e64 s[0:1], s15, v22
	v_cmp_ge_i32_e64 s[8:9], s30, v21
	s_nop 0
	v_cndmask_b32_e64 v22, v22, v24, s[0:1]
	v_subrev_u32_e32 v24, s15, v22
	v_cmp_le_u32_e64 s[0:1], s15, v22
	s_nop 1
	v_cndmask_b32_e64 v22, v22, v24, s[0:1]
	v_xor_b32_e32 v22, v22, v23
	v_sub_u32_e32 v22, v22, v23
	v_cmp_ne_u32_e64 s[0:1], 0, v22
	s_and_b64 s[0:1], s[0:1], s[8:9]
	s_and_b64 s[38:39], vcc, s[0:1]
	s_and_saveexec_b64 s[8:9], s[38:39]
	s_cbranch_execz .LBB38_15
; %bb.14:                               ;   in Loop: Header=BB38_13 Depth=1
	ds_write_b32 v14, v16
.LBB38_15:                              ;   in Loop: Header=BB38_13 Depth=1
	s_or_b64 exec, exec, s[8:9]
	s_xor_b64 s[0:1], s[0:1], -1
	s_and_saveexec_b64 s[8:9], s[0:1]
	s_cbranch_execz .LBB38_12
; %bb.16:                               ;   in Loop: Header=BB38_13 Depth=1
	global_load_dword v21, v[4:5], off
	s_waitcnt vmcnt(0)
	v_mad_i64_i32 v[22:23], s[0:1], v21, s43, 0
	v_lshl_add_u64 v[22:23], v[22:23], 2, v[2:3]
	global_load_dwordx2 v[62:63], v[22:23], off offset:512
	global_load_dwordx2 v[64:65], v[22:23], off offset:1024
	;; [unrolled: 1-line block ×3, first 2 shown]
	global_load_dwordx2 v[68:69], v[22:23], off
	global_load_dwordx2 v[70:71], v[22:23], off offset:2048
	global_load_dwordx2 v[74:75], v[22:23], off offset:2560
	;; [unrolled: 1-line block ×4, first 2 shown]
	v_add_co_u32_e64 v24, s[0:1], s45, v22
	s_nop 1
	v_addc_co_u32_e64 v25, s[0:1], 0, v23, s[0:1]
	global_load_dwordx2 v[80:81], v[24:25], off offset:-4096
	v_add_co_u32_e64 v22, s[0:1], s44, v22
	s_nop 1
	v_addc_co_u32_e64 v23, s[0:1], 0, v23, s[0:1]
	global_load_dwordx2 v[82:83], v[22:23], off offset:512
	global_load_dwordx2 v[84:85], v[22:23], off offset:1024
	;; [unrolled: 1-line block ×7, first 2 shown]
	global_load_dwordx2 v[96:97], v[24:25], off
	global_load_dwordx2 v[98:99], v[24:25], off offset:512
	global_load_dwordx2 v[100:101], v[24:25], off offset:1024
                                        ; kill: killed $vgpr22 killed $vgpr23
	global_load_dwordx2 v[102:103], v[24:25], off offset:1536
	v_cmp_lt_i32_e64 s[0:1], v18, v19
	ds_read_b128 v[22:25], v10
	ds_read_b128 v[26:29], v10 offset:16
	ds_read_b128 v[30:33], v10 offset:32
	ds_read_b128 v[34:37], v10 offset:48
	ds_read_b128 v[38:41], v10 offset:64
	ds_read_b128 v[42:45], v10 offset:80
	ds_read_b128 v[46:49], v10 offset:96
	ds_read_b128 v[50:53], v10 offset:112
	ds_read_b128 v[54:57], v10 offset:128
	ds_read_b128 v[58:61], v10 offset:144
	v_cndmask_b32_e64 v21, v17, v18, s[0:1]
	v_lshlrev_b32_e32 v73, 2, v21
	s_waitcnt vmcnt(19) lgkmcnt(9)
	v_mul_f32_e32 v21, v24, v62
	v_mul_f32_e32 v24, v25, v63
	s_waitcnt vmcnt(16)
	v_fmac_f32_e32 v21, v22, v68
	v_fmac_f32_e32 v24, v23, v69
	s_waitcnt lgkmcnt(8)
	v_fmac_f32_e32 v21, v26, v64
	v_fmac_f32_e32 v24, v27, v65
	;; [unrolled: 1-line block ×4, first 2 shown]
	s_waitcnt vmcnt(15) lgkmcnt(7)
	v_fmac_f32_e32 v21, v30, v70
	v_fmac_f32_e32 v24, v31, v71
	s_waitcnt vmcnt(14)
	v_fmac_f32_e32 v21, v32, v74
	v_fmac_f32_e32 v24, v33, v75
	s_waitcnt vmcnt(13) lgkmcnt(6)
	v_fmac_f32_e32 v21, v34, v76
	v_fmac_f32_e32 v24, v35, v77
	s_waitcnt vmcnt(12)
	v_fmac_f32_e32 v21, v36, v78
	v_fmac_f32_e32 v24, v37, v79
	;; [unrolled: 6-line block ×8, first 2 shown]
	v_add_f32_e32 v21, v21, v24
	ds_bpermute_b32 v22, v73, v21
	s_and_saveexec_b64 s[38:39], vcc
	s_cbranch_execz .LBB38_11
; %bb.17:                               ;   in Loop: Header=BB38_13 Depth=1
	v_add_u32_e32 v23, v15, v13
	v_cvt_f32_i32_e32 v23, v23
	s_waitcnt lgkmcnt(0)
	v_add_f32_e32 v21, v21, v22
	v_add_u32_e32 v24, v9, v13
	v_cmp_gt_i32_e64 s[0:1], s33, v24
	v_mul_f32_e32 v22, s42, v23
	v_cndmask_b32_e64 v22, 0, v22, s[2:3]
	v_fmac_f32_e32 v22, s31, v21
	v_cndmask_b32_e64 v21, 0, v22, s[0:1]
	ds_write_b32 v14, v21
	v_max_f32_e32 v21, v11, v11
	v_max_f32_e32 v21, v21, v22
	v_cndmask_b32_e64 v11, v11, v21, s[0:1]
	s_branch .LBB38_11
.LBB38_18:
	s_or_b64 exec, exec, s[36:37]
.LBB38_19:
	s_or_b64 exec, exec, s[34:35]
	v_mbcnt_hi_u32_b32 v9, -1, v8
	v_and_b32_e32 v2, 64, v9
	v_add_u32_e32 v10, 64, v2
	v_xor_b32_e32 v2, 32, v9
	v_cmp_lt_i32_e32 vcc, v2, v10
	v_xor_b32_e32 v5, 16, v9
	v_max_f32_e32 v4, v11, v11
	v_cndmask_b32_e32 v2, v9, v2, vcc
	v_lshlrev_b32_e32 v2, 2, v2
	ds_bpermute_b32 v3, v2, v11
	v_cmp_lt_i32_e32 vcc, v5, v10
	v_xor_b32_e32 v8, 8, v9
	v_xor_b32_e32 v11, 4, v9
	v_and_b32_e32 v73, 63, v0
	s_waitcnt lgkmcnt(0)
	v_max_f32_e32 v3, v3, v3
	v_max_f32_e32 v4, v4, v3
	v_cndmask_b32_e32 v3, v9, v5, vcc
	v_lshlrev_b32_e32 v3, 2, v3
	ds_bpermute_b32 v5, v3, v4
	v_cmp_lt_i32_e32 vcc, v8, v10
	s_waitcnt lgkmcnt(0)
	v_max_f32_e32 v5, v5, v5
	v_max_f32_e32 v5, v4, v5
	v_cndmask_b32_e32 v4, v9, v8, vcc
	v_lshlrev_b32_e32 v4, 2, v4
	ds_bpermute_b32 v8, v4, v5
	v_cmp_lt_i32_e32 vcc, v11, v10
	s_waitcnt lgkmcnt(0)
	v_max_f32_e32 v8, v8, v8
	v_max_f32_e32 v5, v5, v8
	v_cndmask_b32_e32 v8, v9, v11, vcc
	v_lshlrev_b32_e32 v74, 2, v8
	ds_bpermute_b32 v8, v74, v5
	v_xor_b32_e32 v11, 2, v9
	v_cmp_lt_i32_e32 vcc, v11, v10
	s_waitcnt lgkmcnt(0)
	v_max_f32_e32 v8, v8, v8
	v_max_f32_e32 v8, v5, v8
	v_cndmask_b32_e32 v5, v9, v11, vcc
	v_lshlrev_b32_e32 v75, 2, v5
	ds_bpermute_b32 v11, v75, v8
	v_cmp_eq_u32_e32 vcc, 0, v73
	v_lshlrev_b32_e32 v5, 2, v1
	s_and_saveexec_b64 s[0:1], vcc
	s_cbranch_execz .LBB38_21
; %bb.20:
	s_waitcnt lgkmcnt(0)
	v_max_f32_e32 v11, v11, v11
	v_max_f32_e32 v8, v8, v8
	;; [unrolled: 1-line block ×3, first 2 shown]
	ds_write_b32 v5, v8 offset:320
.LBB38_21:
	s_or_b64 exec, exec, s[0:1]
	v_cmp_gt_u32_e64 s[0:1], 2, v73
	s_waitcnt lgkmcnt(0)
	v_mov_b32_e32 v11, 0xff7fffff
	v_lshlrev_b32_e32 v8, 2, v73
	s_barrier
	s_and_saveexec_b64 s[2:3], s[0:1]
	s_cbranch_execz .LBB38_23
; %bb.22:
	ds_read_b32 v11, v8 offset:320
.LBB38_23:
	s_or_b64 exec, exec, s[2:3]
	v_xor_b32_e32 v12, 1, v9
	v_cmp_lt_i32_e64 s[2:3], v12, v10
	s_nop 1
	v_cndmask_b32_e64 v10, v9, v12, s[2:3]
	v_lshlrev_b32_e32 v76, 2, v10
	s_waitcnt lgkmcnt(0)
	ds_bpermute_b32 v10, v76, v11
	v_max_f32_e32 v11, v11, v11
	v_lshlrev_b32_e32 v9, 2, v9
	v_and_b32_e32 v9, 0x100, v9
	s_lshl_b32 s2, s16, 5
	s_waitcnt lgkmcnt(0)
	v_max_f32_e32 v10, v10, v10
	v_max_f32_e32 v10, v11, v10
	ds_bpermute_b32 v11, v9, v10
	s_min_i32 s15, s2, s33
	v_cmp_gt_i32_e64 s[2:3], s15, v0
	v_mov_b32_e32 v10, 0
	s_and_saveexec_b64 s[30:31], s[2:3]
	s_cbranch_execz .LBB38_27
; %bb.24:
	v_mov_b32_e32 v10, 0x150
	v_lshl_add_u32 v12, v0, 2, v10
	s_mov_b64 s[34:35], 0
	v_mov_b32_e32 v10, 0
	v_mov_b32_e32 v13, v0
.LBB38_25:                              ; =>This Inner Loop Header: Depth=1
	ds_read_b32 v14, v12
	v_add_u32_e32 v13, 0x80, v13
	v_cmp_le_i32_e64 s[8:9], s15, v13
	s_or_b64 s[34:35], s[8:9], s[34:35]
	s_waitcnt lgkmcnt(0)
	v_sub_f32_e32 v14, v14, v11
	v_mul_f32_e32 v14, 0x3fb8aa3b, v14
	v_exp_f32_e32 v14, v14
	ds_write_b32 v12, v14
	v_add_f32_e32 v10, v10, v14
	v_add_u32_e32 v12, 0x200, v12
	s_andn2_b64 exec, exec, s[34:35]
	s_cbranch_execnz .LBB38_25
; %bb.26:
	s_or_b64 exec, exec, s[34:35]
.LBB38_27:
	s_or_b64 exec, exec, s[30:31]
	ds_bpermute_b32 v2, v2, v10
	s_waitcnt lgkmcnt(0)
	v_add_f32_e32 v2, v10, v2
	ds_bpermute_b32 v3, v3, v2
	s_waitcnt lgkmcnt(0)
	v_add_f32_e32 v2, v2, v3
	;; [unrolled: 3-line block ×6, first 2 shown]
	s_and_saveexec_b64 s[8:9], vcc
	s_cbranch_execz .LBB38_29
; %bb.28:
	ds_write_b32 v5, v2 offset:328
.LBB38_29:
	s_or_b64 exec, exec, s[8:9]
	s_waitcnt lgkmcnt(0)
	s_barrier
	s_and_saveexec_b64 s[8:9], s[0:1]
	s_cbranch_execz .LBB38_31
; %bb.30:
	ds_read_b32 v2, v8 offset:328
.LBB38_31:
	s_or_b64 exec, exec, s[8:9]
	s_waitcnt lgkmcnt(0)
	ds_bpermute_b32 v3, v76, v2
	s_waitcnt lgkmcnt(0)
	v_add_f32_e32 v2, v2, v3
	ds_bpermute_b32 v2, v9, v2
	s_and_saveexec_b64 s[0:1], s[2:3]
	s_cbranch_execz .LBB38_44
; %bb.32:
	s_waitcnt lgkmcnt(0)
	v_add_f32_e32 v2, 0x358637bd, v2
	v_div_scale_f32 v3, s[2:3], v2, v2, 1.0
	v_rcp_f32_e32 v4, v3
	v_div_scale_f32 v5, vcc, 1.0, v2, 1.0
	s_movk_i32 s2, 0x7f
	v_fma_f32 v8, -v3, v4, 1.0
	v_fmac_f32_e32 v4, v8, v4
	v_mul_f32_e32 v8, v5, v4
	v_fma_f32 v9, -v3, v8, v5
	v_fmac_f32_e32 v8, v9, v4
	v_fma_f32 v3, -v3, v8, v5
	v_div_fmas_f32 v3, v3, v4, v8
	v_xad_u32 v4, v0, -1, s15
	v_div_fixup_f32 v2, v3, v2, 1.0
	v_cmp_lt_u32_e32 vcc, s2, v4
	s_mov_b64 s[8:9], -1
	v_mov_b32_e32 v3, v0
	s_and_saveexec_b64 s[2:3], vcc
	s_cbranch_execz .LBB38_41
; %bb.33:
	v_lshrrev_b32_e32 v4, 7, v4
	v_add_u32_e32 v8, -1, v4
	v_lshrrev_b32_e32 v5, 1, v8
	v_mov_b32_e32 v3, v2
	v_add_u32_e32 v5, 1, v5
	v_cmp_lt_u32_e32 vcc, 13, v8
	v_mov_b32_e32 v10, 0
	s_and_saveexec_b64 s[8:9], vcc
	s_cbranch_execz .LBB38_37
; %bb.34:
	v_mov_b32_e32 v9, 0x150
	v_and_b32_e32 v8, -8, v5
	v_lshl_add_u32 v9, v0, 2, v9
	s_mov_b32 s34, 0
	s_mov_b64 s[30:31], 0
.LBB38_35:                              ; =>This Inner Loop Header: Depth=1
	ds_read2st64_b32 v[10:11], v9 offset1:2
	ds_read2st64_b32 v[12:13], v9 offset0:4 offset1:6
	ds_read2st64_b32 v[14:15], v9 offset0:8 offset1:10
	ds_read2st64_b32 v[16:17], v9 offset0:12 offset1:14
	v_add_u32_e32 v8, -8, v8
	s_waitcnt lgkmcnt(3)
	v_pk_mul_f32 v[10:11], v[2:3], v[10:11]
	s_waitcnt lgkmcnt(2)
	v_pk_mul_f32 v[12:13], v[2:3], v[12:13]
	ds_write2st64_b32 v9, v10, v11 offset1:2
	ds_write2st64_b32 v9, v12, v13 offset0:4 offset1:6
	ds_read2st64_b32 v[12:13], v9 offset0:16 offset1:18
	s_waitcnt lgkmcnt(4)
	v_pk_mul_f32 v[10:11], v[2:3], v[14:15]
	ds_write2st64_b32 v9, v10, v11 offset0:8 offset1:10
	s_waitcnt lgkmcnt(4)
	v_pk_mul_f32 v[10:11], v[2:3], v[16:17]
	ds_write2st64_b32 v9, v10, v11 offset0:12 offset1:14
	ds_read2st64_b32 v[10:11], v9 offset0:20 offset1:22
	s_waitcnt lgkmcnt(3)
	v_pk_mul_f32 v[12:13], v[2:3], v[12:13]
	ds_read2st64_b32 v[14:15], v9 offset0:24 offset1:26
	ds_write2st64_b32 v9, v12, v13 offset0:16 offset1:18
	ds_read2st64_b32 v[12:13], v9 offset0:28 offset1:30
	s_waitcnt lgkmcnt(3)
	v_pk_mul_f32 v[10:11], v[2:3], v[10:11]
	ds_write2st64_b32 v9, v10, v11 offset0:20 offset1:22
	s_waitcnt lgkmcnt(3)
	v_pk_mul_f32 v[10:11], v[2:3], v[14:15]
	ds_write2st64_b32 v9, v10, v11 offset0:24 offset1:26
	s_waitcnt lgkmcnt(2)
	v_pk_mul_f32 v[10:11], v[2:3], v[12:13]
	s_add_i32 s34, s34, 16
	v_cmp_eq_u32_e32 vcc, 0, v8
	ds_write2st64_b32 v9, v10, v11 offset0:28 offset1:30
	v_add_u32_e32 v9, 0x2000, v9
	s_or_b64 s[30:31], vcc, s[30:31]
	v_mov_b32_e32 v10, s34
	s_andn2_b64 exec, exec, s[30:31]
	s_cbranch_execnz .LBB38_35
; %bb.36:
	s_or_b64 exec, exec, s[30:31]
.LBB38_37:
	s_or_b64 exec, exec, s[8:9]
	v_and_b32_e32 v5, 7, v5
	v_cmp_ne_u32_e32 vcc, 0, v5
	s_and_saveexec_b64 s[8:9], vcc
	s_cbranch_execz .LBB38_40
; %bb.38:
	v_lshlrev_b32_e32 v8, 9, v10
	s_movk_i32 s30, 0x150
	v_add3_u32 v8, v8, v6, s30
	s_mov_b64 s[30:31], 0
.LBB38_39:                              ; =>This Inner Loop Header: Depth=1
	ds_read2st64_b32 v[10:11], v8 offset1:2
	v_add_u32_e32 v5, -1, v5
	v_cmp_eq_u32_e32 vcc, 0, v5
	s_or_b64 s[30:31], vcc, s[30:31]
	s_waitcnt lgkmcnt(0)
	v_pk_mul_f32 v[10:11], v[2:3], v[10:11]
	ds_write2st64_b32 v8, v10, v11 offset1:2
	v_add_u32_e32 v8, 0x400, v8
	s_andn2_b64 exec, exec, s[30:31]
	s_cbranch_execnz .LBB38_39
.LBB38_40:
	s_or_b64 exec, exec, s[8:9]
	v_add_u32_e32 v4, 1, v4
	v_and_b32_e32 v5, 0x3fffffe, v4
	v_cmp_ne_u32_e32 vcc, v4, v5
	v_lshl_add_u32 v3, v5, 7, v0
	s_orn2_b64 s[8:9], vcc, exec
.LBB38_41:
	s_or_b64 exec, exec, s[2:3]
	s_and_b64 exec, exec, s[8:9]
	s_cbranch_execz .LBB38_44
; %bb.42:
	v_mov_b32_e32 v4, 0x150
	v_lshl_add_u32 v4, v3, 2, v4
	s_mov_b64 s[2:3], 0
.LBB38_43:                              ; =>This Inner Loop Header: Depth=1
	ds_read_b32 v5, v4
	v_add_u32_e32 v3, 0x80, v3
	v_cmp_le_i32_e32 vcc, s15, v3
	s_or_b64 s[2:3], vcc, s[2:3]
	s_waitcnt lgkmcnt(0)
	v_mul_f32_e32 v5, v2, v5
	ds_write_b32 v4, v5
	v_add_u32_e32 v4, 0x200, v4
	s_andn2_b64 exec, exec, s[2:3]
	s_cbranch_execnz .LBB38_43
.LBB38_44:
	s_or_b64 exec, exec, s[0:1]
	v_mov_b32_e32 v47, 0
	v_and_b32_e32 v77, 7, v0
	v_mov_b32_e32 v46, 0
	v_mov_b32_e32 v49, 0
	;; [unrolled: 1-line block ×9, first 2 shown]
	s_waitcnt lgkmcnt(0)
	s_barrier
	s_and_saveexec_b64 s[2:3], s[6:7]
	s_cbranch_execz .LBB38_70
; %bb.45:
	s_ashr_i32 s15, s14, 31
	s_sub_i32 s17, s12, s17
	s_lshl_b64 s[0:1], s[14:15], 2
	s_add_u32 s6, s28, s0
	s_addc_u32 s7, s29, s1
	s_abs_i32 s18, s18
	v_cvt_f32_u32_e32 v3, s18
	s_sub_i32 s0, 0, s18
	s_add_i32 s28, s16, -1
	v_and_b32_e32 v2, 0xfc, v6
	v_rcp_iflag_f32_e32 v3, v3
	v_and_b32_e32 v78, 28, v6
	v_mov_b32_e32 v57, 0
	v_or_b32_e32 v4, 0x400, v2
	v_mul_f32_e32 v3, 0x4f7ffffe, v3
	v_cvt_u32_f32_e32 v3, v3
	v_or_b32_e32 v6, 0x500, v2
	v_or_b32_e32 v8, 0x600, v2
	;; [unrolled: 1-line block ×3, first 2 shown]
	v_mul_lo_u32 v5, s0, v3
	v_mul_hi_u32 v5, v3, v5
	s_lshl_b64 s[0:1], s[26:27], 2
	v_add_u32_e32 v79, v3, v5
	s_add_u32 s0, s24, s0
	v_lshlrev_b32_e32 v3, 4, v77
	v_or_b32_e32 v12, 0x800, v2
	v_or_b32_e32 v14, 0x900, v2
	v_and_b32_e32 v56, 60, v7
	s_addc_u32 s1, s25, s1
	v_lshl_or_b32 v3, v1, 7, v3
	s_mov_b32 s30, s13
	v_lshl_add_u64 v[58:59], s[0:1], 0, v[56:57]
	v_add_u32_e32 v80, 0x150, v3
	s_mov_b64 s[8:9], 0
	v_lshlrev_b32_e32 v60, 2, v2
	v_lshlrev_b32_e32 v56, 2, v4
	;; [unrolled: 1-line block ×7, first 2 shown]
	v_mov_b32_e32 v47, v57
	v_mov_b32_e32 v46, v57
	;; [unrolled: 1-line block ×10, first 2 shown]
	s_branch .LBB38_48
.LBB38_46:                              ;   in Loop: Header=BB38_48 Depth=1
	s_or_b64 exec, exec, s[0:1]
	s_waitcnt vmcnt(1) lgkmcnt(0)
	v_mul_f32_e32 v43, v3, v43
	v_mul_f32_e32 v35, v3, v35
	;; [unrolled: 1-line block ×9, first 2 shown]
	s_waitcnt vmcnt(0)
	v_mul_f32_e32 v3, v3, v39
	v_fmac_f32_e32 v43, v2, v42
	v_fmac_f32_e32 v35, v2, v34
	;; [unrolled: 1-line block ×30, first 2 shown]
	v_add_f32_e32 v46, v46, v43
	v_add_f32_e32 v49, v49, v35
	;; [unrolled: 1-line block ×10, first 2 shown]
.LBB38_47:                              ;   in Loop: Header=BB38_48 Depth=1
	s_or_b64 exec, exec, s[12:13]
	v_add_u32_e32 v1, 2, v1
	v_cmp_le_i32_e32 vcc, s16, v1
	v_lshl_add_u64 v[58:59], v[58:59], 0, 8
	v_add_u32_e32 v72, 64, v72
	s_or_b64 s[8:9], vcc, s[8:9]
	v_add_u32_e32 v80, 0x100, v80
	s_andn2_b64 exec, exec, s[8:9]
	s_cbranch_execz .LBB38_69
.LBB38_48:                              ; =>This Inner Loop Header: Depth=1
	v_mul_hi_u32 v2, v72, s40
	v_mul_lo_u32 v3, v2, s21
	v_sub_u32_e32 v3, v72, v3
	v_add_u32_e32 v4, 1, v2
	v_cmp_le_u32_e32 vcc, s21, v3
	s_nop 1
	v_cndmask_b32_e32 v2, v2, v4, vcc
	v_subrev_u32_e32 v4, s21, v3
	v_cndmask_b32_e32 v3, v3, v4, vcc
	v_add_u32_e32 v4, 1, v2
	v_cmp_le_u32_e32 vcc, s21, v3
	s_nop 1
	v_cndmask_b32_e32 v2, v2, v4, vcc
	v_xor_b32_e32 v2, s19, v2
	v_subrev_u32_e32 v2, s19, v2
	v_add_u32_e32 v3, s41, v2
	v_sub_u32_e32 v5, 0, v3
	v_ashrrev_i32_e32 v4, 31, v3
	v_max_i32_e32 v3, v3, v5
	v_mul_hi_u32 v5, v3, v79
	v_mul_lo_u32 v5, v5, s18
	v_sub_u32_e32 v3, v3, v5
	v_subrev_u32_e32 v5, s18, v3
	v_cmp_le_u32_e32 vcc, s18, v3
	v_cmp_lt_i32_e64 s[0:1], s17, v2
	s_nop 0
	v_cndmask_b32_e32 v3, v3, v5, vcc
	v_subrev_u32_e32 v5, s18, v3
	v_cmp_le_u32_e32 vcc, s18, v3
	s_nop 1
	v_cndmask_b32_e32 v3, v3, v5, vcc
	v_xor_b32_e32 v3, v3, v4
	v_sub_u32_e32 v3, v3, v4
	v_cmp_eq_u32_e32 vcc, 0, v3
	s_or_b64 s[0:1], vcc, s[0:1]
	s_and_saveexec_b64 s[12:13], s[0:1]
	s_cbranch_execz .LBB38_47
; %bb.49:                               ;   in Loop: Header=BB38_48 Depth=1
	global_load_dword v2, v[58:59], off
	v_mov_b32_e32 v61, v57
	v_cmp_eq_u32_e32 vcc, s28, v1
	s_waitcnt vmcnt(0)
	v_mad_i64_i32 v[2:3], s[0:1], v2, s30, 0
	v_lshl_add_u64 v[38:39], v[2:3], 2, s[6:7]
	v_lshl_add_u64 v[18:19], v[38:39], 0, v[60:61]
	global_load_dwordx4 v[6:9], v[18:19], off
	ds_read_b128 v[2:5], v80
	v_add_u32_e32 v61, v78, v72
	v_add_u32_e32 v83, 1, v61
	;; [unrolled: 1-line block ×4, first 2 shown]
	s_and_saveexec_b64 s[14:15], vcc
	s_cbranch_execnz .LBB38_66
; %bb.50:                               ;   in Loop: Header=BB38_48 Depth=1
	s_or_b64 exec, exec, s[14:15]
	global_load_dwordx4 v[10:13], v[18:19], off offset:1024
	s_and_saveexec_b64 s[14:15], vcc
	s_cbranch_execnz .LBB38_67
.LBB38_51:                              ;   in Loop: Header=BB38_48 Depth=1
	s_or_b64 exec, exec, s[14:15]
	global_load_dwordx4 v[14:17], v[18:19], off offset:2048
	s_and_saveexec_b64 s[14:15], vcc
	s_cbranch_execnz .LBB38_68
.LBB38_52:                              ;   in Loop: Header=BB38_48 Depth=1
	s_or_b64 exec, exec, s[14:15]
	global_load_dwordx4 v[18:21], v[18:19], off offset:3072
	s_and_saveexec_b64 s[14:15], vcc
	s_cbranch_execz .LBB38_54
.LBB38_53:                              ;   in Loop: Header=BB38_48 Depth=1
	v_cmp_gt_i32_e64 s[0:1], s33, v61
	s_waitcnt vmcnt(0)
	s_nop 0
	v_cndmask_b32_e64 v18, 0, v18, s[0:1]
	v_cmp_gt_i32_e64 s[0:1], s33, v83
	s_nop 1
	v_cndmask_b32_e64 v19, 0, v19, s[0:1]
	v_cmp_gt_i32_e64 s[0:1], s33, v82
	s_nop 1
	v_cndmask_b32_e64 v20, 0, v20, s[0:1]
	v_cmp_gt_i32_e64 s[0:1], s33, v81
	s_nop 1
	v_cndmask_b32_e64 v21, 0, v21, s[0:1]
.LBB38_54:                              ;   in Loop: Header=BB38_48 Depth=1
	s_or_b64 exec, exec, s[14:15]
	v_lshl_add_u64 v[22:23], v[38:39], 0, v[56:57]
	global_load_dwordx4 v[22:25], v[22:23], off
	s_and_saveexec_b64 s[14:15], vcc
	s_cbranch_execz .LBB38_56
; %bb.55:                               ;   in Loop: Header=BB38_48 Depth=1
	v_cmp_gt_i32_e64 s[0:1], s33, v61
	s_waitcnt vmcnt(0)
	s_nop 0
	v_cndmask_b32_e64 v22, 0, v22, s[0:1]
	v_cmp_gt_i32_e64 s[0:1], s33, v83
	s_nop 1
	v_cndmask_b32_e64 v23, 0, v23, s[0:1]
	v_cmp_gt_i32_e64 s[0:1], s33, v82
	s_nop 1
	v_cndmask_b32_e64 v24, 0, v24, s[0:1]
	v_cmp_gt_i32_e64 s[0:1], s33, v81
	s_nop 1
	v_cndmask_b32_e64 v25, 0, v25, s[0:1]
.LBB38_56:                              ;   in Loop: Header=BB38_48 Depth=1
	s_or_b64 exec, exec, s[14:15]
	v_mov_b32_e32 v63, v57
	v_lshl_add_u64 v[26:27], v[38:39], 0, v[62:63]
	global_load_dwordx4 v[26:29], v[26:27], off
	s_and_saveexec_b64 s[14:15], vcc
	s_cbranch_execz .LBB38_58
; %bb.57:                               ;   in Loop: Header=BB38_48 Depth=1
	v_cmp_gt_i32_e64 s[0:1], s33, v61
	s_waitcnt vmcnt(0)
	s_nop 0
	v_cndmask_b32_e64 v26, 0, v26, s[0:1]
	v_cmp_gt_i32_e64 s[0:1], s33, v83
	s_nop 1
	v_cndmask_b32_e64 v27, 0, v27, s[0:1]
	v_cmp_gt_i32_e64 s[0:1], s33, v82
	s_nop 1
	v_cndmask_b32_e64 v28, 0, v28, s[0:1]
	v_cmp_gt_i32_e64 s[0:1], s33, v81
	s_nop 1
	v_cndmask_b32_e64 v29, 0, v29, s[0:1]
.LBB38_58:                              ;   in Loop: Header=BB38_48 Depth=1
	s_or_b64 exec, exec, s[14:15]
	v_mov_b32_e32 v65, v57
	;; [unrolled: 21-line block ×5, first 2 shown]
	v_lshl_add_u64 v[38:39], v[38:39], 0, v[70:71]
	global_load_dwordx4 v[38:41], v[38:39], off
	s_and_saveexec_b64 s[0:1], vcc
	s_cbranch_execz .LBB38_46
; %bb.65:                               ;   in Loop: Header=BB38_48 Depth=1
	v_cmp_gt_i32_e32 vcc, s33, v61
	s_waitcnt vmcnt(0)
	s_nop 0
	v_cndmask_b32_e32 v38, 0, v38, vcc
	v_cmp_gt_i32_e32 vcc, s33, v83
	s_nop 1
	v_cndmask_b32_e32 v39, 0, v39, vcc
	v_cmp_gt_i32_e32 vcc, s33, v82
	;; [unrolled: 3-line block ×3, first 2 shown]
	s_nop 1
	v_cndmask_b32_e32 v41, 0, v41, vcc
	s_branch .LBB38_46
.LBB38_66:                              ;   in Loop: Header=BB38_48 Depth=1
	v_cmp_gt_i32_e64 s[0:1], s33, v61
	s_waitcnt vmcnt(0)
	s_nop 0
	v_cndmask_b32_e64 v6, 0, v6, s[0:1]
	v_cmp_gt_i32_e64 s[0:1], s33, v83
	s_nop 1
	v_cndmask_b32_e64 v7, 0, v7, s[0:1]
	v_cmp_gt_i32_e64 s[0:1], s33, v82
	;; [unrolled: 3-line block ×3, first 2 shown]
	s_nop 1
	v_cndmask_b32_e64 v9, 0, v9, s[0:1]
	s_or_b64 exec, exec, s[14:15]
	global_load_dwordx4 v[10:13], v[18:19], off offset:1024
	s_and_saveexec_b64 s[14:15], vcc
	s_cbranch_execz .LBB38_51
.LBB38_67:                              ;   in Loop: Header=BB38_48 Depth=1
	v_cmp_gt_i32_e64 s[0:1], s33, v61
	s_waitcnt vmcnt(0)
	s_nop 0
	v_cndmask_b32_e64 v10, 0, v10, s[0:1]
	v_cmp_gt_i32_e64 s[0:1], s33, v83
	s_nop 1
	v_cndmask_b32_e64 v11, 0, v11, s[0:1]
	v_cmp_gt_i32_e64 s[0:1], s33, v82
	;; [unrolled: 3-line block ×3, first 2 shown]
	s_nop 1
	v_cndmask_b32_e64 v13, 0, v13, s[0:1]
	s_or_b64 exec, exec, s[14:15]
	global_load_dwordx4 v[14:17], v[18:19], off offset:2048
	s_and_saveexec_b64 s[14:15], vcc
	s_cbranch_execz .LBB38_52
.LBB38_68:                              ;   in Loop: Header=BB38_48 Depth=1
	v_cmp_gt_i32_e64 s[0:1], s33, v61
	s_waitcnt vmcnt(0)
	s_nop 0
	v_cndmask_b32_e64 v14, 0, v14, s[0:1]
	v_cmp_gt_i32_e64 s[0:1], s33, v83
	s_nop 1
	v_cndmask_b32_e64 v15, 0, v15, s[0:1]
	v_cmp_gt_i32_e64 s[0:1], s33, v82
	;; [unrolled: 3-line block ×3, first 2 shown]
	s_nop 1
	v_cndmask_b32_e64 v17, 0, v17, s[0:1]
	s_or_b64 exec, exec, s[14:15]
	global_load_dwordx4 v[18:21], v[18:19], off offset:3072
	s_and_saveexec_b64 s[14:15], vcc
	s_cbranch_execnz .LBB38_53
	s_branch .LBB38_54
.LBB38_69:
	s_or_b64 exec, exec, s[8:9]
.LBB38_70:
	s_or_b64 exec, exec, s[2:3]
	ds_bpermute_b32 v8, v74, v50
	ds_bpermute_b32 v9, v74, v51
	;; [unrolled: 1-line block ×6, first 2 shown]
	s_waitcnt lgkmcnt(4)
	v_pk_add_f32 v[8:9], v[50:51], v[8:9]
	ds_bpermute_b32 v12, v75, v8
	s_waitcnt lgkmcnt(3)
	v_pk_add_f32 v[2:3], v[54:55], v[2:3]
	ds_bpermute_b32 v13, v75, v9
	;; [unrolled: 3-line block ×3, first 2 shown]
	ds_bpermute_b32 v15, v74, v49
	ds_bpermute_b32 v6, v75, v2
	;; [unrolled: 1-line block ×7, first 2 shown]
	s_waitcnt lgkmcnt(8)
	v_pk_add_f32 v[12:13], v[8:9], v[12:13]
	s_waitcnt lgkmcnt(6)
	v_pk_add_f32 v[8:9], v[48:49], v[14:15]
	s_waitcnt lgkmcnt(4)
	v_pk_add_f32 v[2:3], v[2:3], v[6:7]
	s_waitcnt lgkmcnt(2)
	v_pk_add_f32 v[4:5], v[4:5], v[10:11]
	ds_bpermute_b32 v14, v75, v8
	ds_bpermute_b32 v15, v75, v9
	s_waitcnt lgkmcnt(2)
	v_pk_add_f32 v[18:19], v[46:47], v[18:19]
	ds_bpermute_b32 v6, v76, v2
	ds_bpermute_b32 v7, v76, v3
	;; [unrolled: 1-line block ×8, first 2 shown]
	s_waitcnt lgkmcnt(8)
	v_pk_add_f32 v[14:15], v[8:9], v[14:15]
	ds_bpermute_b32 v20, v76, v14
	ds_bpermute_b32 v21, v76, v15
	s_waitcnt lgkmcnt(8)
	v_pk_add_f32 v[8:9], v[2:3], v[6:7]
	s_waitcnt lgkmcnt(6)
	v_pk_add_f32 v[6:7], v[4:5], v[10:11]
	s_waitcnt lgkmcnt(4)
	v_pk_add_f32 v[10:11], v[18:19], v[22:23]
	s_waitcnt lgkmcnt(2)
	v_pk_add_f32 v[4:5], v[12:13], v[16:17]
	ds_bpermute_b32 v12, v76, v10
	ds_bpermute_b32 v13, v76, v11
	v_and_b32_e32 v1, 0x3c7, v0
	s_waitcnt lgkmcnt(2)
	v_pk_add_f32 v[2:3], v[14:15], v[20:21]
	v_cmp_ne_u32_e32 vcc, 64, v1
	s_waitcnt lgkmcnt(0)
	s_barrier
	s_and_saveexec_b64 s[0:1], vcc
	s_xor_b64 s[0:1], exec, s[0:1]
; %bb.71:
                                        ; implicit-def: $vgpr73
; %bb.72:
	s_or_saveexec_b64 s[0:1], s[0:1]
	v_pk_add_f32 v[10:11], v[10:11], v[12:13]
	s_xor_b64 exec, exec, s[0:1]
	s_cbranch_execz .LBB38_74
; %bb.73:
	v_lshrrev_b32_e32 v12, 1, v73
	v_add_u32_e32 v12, 0x150, v12
	ds_write2_b32 v12, v8, v9 offset1:8
	ds_write2_b32 v12, v6, v7 offset0:16 offset1:24
	ds_write2_b32 v12, v4, v5 offset0:32 offset1:40
	ds_write2_b32 v12, v2, v3 offset0:48 offset1:56
	ds_write2_b32 v12, v10, v11 offset0:64 offset1:72
.LBB38_74:
	s_or_b64 exec, exec, s[0:1]
	v_cmp_gt_u32_e32 vcc, 64, v0
	s_waitcnt lgkmcnt(0)
	s_barrier
	s_and_saveexec_b64 s[0:1], vcc
	s_cbranch_execz .LBB38_87
; %bb.75:
	v_cmp_eq_u32_e32 vcc, 0, v77
	v_lshrrev_b32_e32 v12, 3, v0
	s_and_saveexec_b64 s[2:3], vcc
	s_cbranch_execnz .LBB38_90
; %bb.76:
	s_or_b64 exec, exec, s[2:3]
	s_and_saveexec_b64 s[2:3], vcc
	s_cbranch_execnz .LBB38_91
.LBB38_77:
	s_or_b64 exec, exec, s[2:3]
	s_and_saveexec_b64 s[2:3], vcc
	s_cbranch_execnz .LBB38_92
.LBB38_78:
	s_or_b64 exec, exec, s[2:3]
	s_and_saveexec_b64 s[2:3], vcc
	s_cbranch_execnz .LBB38_93
.LBB38_79:
	s_or_b64 exec, exec, s[2:3]
	s_and_saveexec_b64 s[2:3], vcc
	s_cbranch_execnz .LBB38_94
.LBB38_80:
	s_or_b64 exec, exec, s[2:3]
	s_and_saveexec_b64 s[2:3], vcc
	s_cbranch_execnz .LBB38_95
.LBB38_81:
	s_or_b64 exec, exec, s[2:3]
	s_and_saveexec_b64 s[2:3], vcc
	s_cbranch_execnz .LBB38_96
.LBB38_82:
	s_or_b64 exec, exec, s[2:3]
	s_and_saveexec_b64 s[2:3], vcc
	s_cbranch_execnz .LBB38_97
.LBB38_83:
	s_or_b64 exec, exec, s[2:3]
	s_and_saveexec_b64 s[2:3], vcc
	s_cbranch_execnz .LBB38_98
.LBB38_84:
	s_or_b64 exec, exec, s[2:3]
	s_and_saveexec_b64 s[2:3], vcc
	s_cbranch_execz .LBB38_86
.LBB38_85:
	v_mov_b32_e32 v13, 0x150
	v_lshl_add_u32 v12, v12, 2, v13
	ds_read_b32 v12, v12 offset:288
	s_waitcnt lgkmcnt(0)
	v_add_f32_e32 v11, v11, v12
.LBB38_86:
	s_or_b64 exec, exec, s[2:3]
.LBB38_87:
	s_or_b64 exec, exec, s[0:1]
	v_cmp_eq_u32_e32 vcc, 0, v1
	s_barrier
	s_and_saveexec_b64 s[0:1], vcc
	s_cbranch_execz .LBB38_89
; %bb.88:
	s_mul_i32 s0, s10, s11
	s_mul_i32 s0, s0, s5
	s_mulk_i32 s0, 0x50
	s_ashr_i32 s1, s0, 31
	s_lshl_b64 s[0:1], s[0:1], 2
	s_add_u32 s2, s22, s0
	s_mul_i32 s0, s11, s20
	s_addc_u32 s3, s23, s1
	s_ashr_i32 s1, s0, 31
	s_lshl_b64 s[0:1], s[0:1], 2
	s_add_u32 s2, s2, s0
	s_mul_i32 s0, s4, 0x50
	s_addc_u32 s3, s3, s1
	s_ashr_i32 s1, s0, 31
	s_lshl_b64 s[0:1], s[0:1], 2
	s_add_u32 s0, s2, s0
	s_addc_u32 s1, s3, s1
	v_lshrrev_b32_e32 v0, 1, v0
	global_store_dword v0, v8, s[0:1]
	global_store_dword v0, v9, s[0:1] offset:32
	global_store_dword v0, v6, s[0:1] offset:64
	;; [unrolled: 1-line block ×9, first 2 shown]
.LBB38_89:
	s_endpgm
.LBB38_90:
	v_mov_b32_e32 v13, 0x150
	v_lshl_add_u32 v13, v12, 2, v13
	ds_read_b32 v13, v13
	s_waitcnt lgkmcnt(0)
	v_add_f32_e32 v8, v8, v13
	s_or_b64 exec, exec, s[2:3]
	s_and_saveexec_b64 s[2:3], vcc
	s_cbranch_execz .LBB38_77
.LBB38_91:
	v_mov_b32_e32 v13, 0x150
	v_lshl_add_u32 v13, v12, 2, v13
	ds_read_b32 v13, v13 offset:32
	s_waitcnt lgkmcnt(0)
	v_add_f32_e32 v9, v9, v13
	s_or_b64 exec, exec, s[2:3]
	s_and_saveexec_b64 s[2:3], vcc
	s_cbranch_execz .LBB38_78
.LBB38_92:
	v_mov_b32_e32 v13, 0x150
	v_lshl_add_u32 v13, v12, 2, v13
	ds_read_b32 v13, v13 offset:64
	s_waitcnt lgkmcnt(0)
	v_add_f32_e32 v6, v6, v13
	s_or_b64 exec, exec, s[2:3]
	s_and_saveexec_b64 s[2:3], vcc
	s_cbranch_execz .LBB38_79
.LBB38_93:
	v_mov_b32_e32 v13, 0x150
	v_lshl_add_u32 v13, v12, 2, v13
	ds_read_b32 v13, v13 offset:96
	s_waitcnt lgkmcnt(0)
	v_add_f32_e32 v7, v7, v13
	s_or_b64 exec, exec, s[2:3]
	s_and_saveexec_b64 s[2:3], vcc
	s_cbranch_execz .LBB38_80
.LBB38_94:
	v_mov_b32_e32 v13, 0x150
	v_lshl_add_u32 v13, v12, 2, v13
	ds_read_b32 v13, v13 offset:128
	s_waitcnt lgkmcnt(0)
	v_add_f32_e32 v4, v4, v13
	s_or_b64 exec, exec, s[2:3]
	s_and_saveexec_b64 s[2:3], vcc
	s_cbranch_execz .LBB38_81
.LBB38_95:
	v_mov_b32_e32 v13, 0x150
	v_lshl_add_u32 v13, v12, 2, v13
	ds_read_b32 v13, v13 offset:160
	s_waitcnt lgkmcnt(0)
	v_add_f32_e32 v5, v5, v13
	s_or_b64 exec, exec, s[2:3]
	s_and_saveexec_b64 s[2:3], vcc
	s_cbranch_execz .LBB38_82
.LBB38_96:
	v_mov_b32_e32 v13, 0x150
	v_lshl_add_u32 v13, v12, 2, v13
	ds_read_b32 v13, v13 offset:192
	s_waitcnt lgkmcnt(0)
	v_add_f32_e32 v2, v2, v13
	s_or_b64 exec, exec, s[2:3]
	s_and_saveexec_b64 s[2:3], vcc
	s_cbranch_execz .LBB38_83
.LBB38_97:
	v_mov_b32_e32 v13, 0x150
	v_lshl_add_u32 v13, v12, 2, v13
	ds_read_b32 v13, v13 offset:224
	s_waitcnt lgkmcnt(0)
	v_add_f32_e32 v3, v3, v13
	s_or_b64 exec, exec, s[2:3]
	s_and_saveexec_b64 s[2:3], vcc
	s_cbranch_execz .LBB38_84
.LBB38_98:
	v_mov_b32_e32 v13, 0x150
	v_lshl_add_u32 v13, v12, 2, v13
	ds_read_b32 v13, v13 offset:256
	s_waitcnt lgkmcnt(0)
	v_add_f32_e32 v10, v10, v13
	s_or_b64 exec, exec, s[2:3]
	s_and_saveexec_b64 s[2:3], vcc
	s_cbranch_execnz .LBB38_85
	s_branch .LBB38_86
	.section	.rodata,"a",@progbits
	.p2align	6, 0x0
	.amdhsa_kernel _ZN4vllm25paged_attention_v1_kernelIffLi80ELi32ELi128ELNS_18Fp8KVCacheDataTypeE0ELb1EEEvPT_PKS2_PKT0_S8_ifPKiSA_iPKfiiiSC_SC_iiiii
		.amdhsa_group_segment_fixed_size 336
		.amdhsa_private_segment_fixed_size 0
		.amdhsa_kernarg_size 384
		.amdhsa_user_sgpr_count 2
		.amdhsa_user_sgpr_dispatch_ptr 0
		.amdhsa_user_sgpr_queue_ptr 0
		.amdhsa_user_sgpr_kernarg_segment_ptr 1
		.amdhsa_user_sgpr_dispatch_id 0
		.amdhsa_user_sgpr_kernarg_preload_length 0
		.amdhsa_user_sgpr_kernarg_preload_offset 0
		.amdhsa_user_sgpr_private_segment_size 0
		.amdhsa_uses_dynamic_stack 0
		.amdhsa_enable_private_segment 0
		.amdhsa_system_sgpr_workgroup_id_x 1
		.amdhsa_system_sgpr_workgroup_id_y 1
		.amdhsa_system_sgpr_workgroup_id_z 1
		.amdhsa_system_sgpr_workgroup_info 0
		.amdhsa_system_vgpr_workitem_id 0
		.amdhsa_next_free_vgpr 104
		.amdhsa_next_free_sgpr 46
		.amdhsa_accum_offset 104
		.amdhsa_reserve_vcc 1
		.amdhsa_float_round_mode_32 0
		.amdhsa_float_round_mode_16_64 0
		.amdhsa_float_denorm_mode_32 3
		.amdhsa_float_denorm_mode_16_64 3
		.amdhsa_dx10_clamp 1
		.amdhsa_ieee_mode 1
		.amdhsa_fp16_overflow 0
		.amdhsa_tg_split 0
		.amdhsa_exception_fp_ieee_invalid_op 0
		.amdhsa_exception_fp_denorm_src 0
		.amdhsa_exception_fp_ieee_div_zero 0
		.amdhsa_exception_fp_ieee_overflow 0
		.amdhsa_exception_fp_ieee_underflow 0
		.amdhsa_exception_fp_ieee_inexact 0
		.amdhsa_exception_int_div_zero 0
	.end_amdhsa_kernel
	.section	.text._ZN4vllm25paged_attention_v1_kernelIffLi80ELi32ELi128ELNS_18Fp8KVCacheDataTypeE0ELb1EEEvPT_PKS2_PKT0_S8_ifPKiSA_iPKfiiiSC_SC_iiiii,"axG",@progbits,_ZN4vllm25paged_attention_v1_kernelIffLi80ELi32ELi128ELNS_18Fp8KVCacheDataTypeE0ELb1EEEvPT_PKS2_PKT0_S8_ifPKiSA_iPKfiiiSC_SC_iiiii,comdat
.Lfunc_end38:
	.size	_ZN4vllm25paged_attention_v1_kernelIffLi80ELi32ELi128ELNS_18Fp8KVCacheDataTypeE0ELb1EEEvPT_PKS2_PKT0_S8_ifPKiSA_iPKfiiiSC_SC_iiiii, .Lfunc_end38-_ZN4vllm25paged_attention_v1_kernelIffLi80ELi32ELi128ELNS_18Fp8KVCacheDataTypeE0ELb1EEEvPT_PKS2_PKT0_S8_ifPKiSA_iPKfiiiSC_SC_iiiii
                                        ; -- End function
	.section	.AMDGPU.csdata,"",@progbits
; Kernel info:
; codeLenInByte = 6580
; NumSgprs: 52
; NumVgprs: 104
; NumAgprs: 0
; TotalNumVgprs: 104
; ScratchSize: 0
; MemoryBound: 0
; FloatMode: 240
; IeeeMode: 1
; LDSByteSize: 336 bytes/workgroup (compile time only)
; SGPRBlocks: 6
; VGPRBlocks: 12
; NumSGPRsForWavesPerEU: 52
; NumVGPRsForWavesPerEU: 104
; AccumOffset: 104
; Occupancy: 4
; WaveLimiterHint : 1
; COMPUTE_PGM_RSRC2:SCRATCH_EN: 0
; COMPUTE_PGM_RSRC2:USER_SGPR: 2
; COMPUTE_PGM_RSRC2:TRAP_HANDLER: 0
; COMPUTE_PGM_RSRC2:TGID_X_EN: 1
; COMPUTE_PGM_RSRC2:TGID_Y_EN: 1
; COMPUTE_PGM_RSRC2:TGID_Z_EN: 1
; COMPUTE_PGM_RSRC2:TIDIG_COMP_CNT: 0
; COMPUTE_PGM_RSRC3_GFX90A:ACCUM_OFFSET: 25
; COMPUTE_PGM_RSRC3_GFX90A:TG_SPLIT: 0
	.section	.text._ZN4vllm25paged_attention_v1_kernelIffLi96ELi32ELi128ELNS_18Fp8KVCacheDataTypeE0ELb1EEEvPT_PKS2_PKT0_S8_ifPKiSA_iPKfiiiSC_SC_iiiii,"axG",@progbits,_ZN4vllm25paged_attention_v1_kernelIffLi96ELi32ELi128ELNS_18Fp8KVCacheDataTypeE0ELb1EEEvPT_PKS2_PKT0_S8_ifPKiSA_iPKfiiiSC_SC_iiiii,comdat
	.protected	_ZN4vllm25paged_attention_v1_kernelIffLi96ELi32ELi128ELNS_18Fp8KVCacheDataTypeE0ELb1EEEvPT_PKS2_PKT0_S8_ifPKiSA_iPKfiiiSC_SC_iiiii ; -- Begin function _ZN4vllm25paged_attention_v1_kernelIffLi96ELi32ELi128ELNS_18Fp8KVCacheDataTypeE0ELb1EEEvPT_PKS2_PKT0_S8_ifPKiSA_iPKfiiiSC_SC_iiiii
	.globl	_ZN4vllm25paged_attention_v1_kernelIffLi96ELi32ELi128ELNS_18Fp8KVCacheDataTypeE0ELb1EEEvPT_PKS2_PKT0_S8_ifPKiSA_iPKfiiiSC_SC_iiiii
	.p2align	8
	.type	_ZN4vllm25paged_attention_v1_kernelIffLi96ELi32ELi128ELNS_18Fp8KVCacheDataTypeE0ELb1EEEvPT_PKS2_PKT0_S8_ifPKiSA_iPKfiiiSC_SC_iiiii,@function
_ZN4vllm25paged_attention_v1_kernelIffLi96ELi32ELi128ELNS_18Fp8KVCacheDataTypeE0ELb1EEEvPT_PKS2_PKT0_S8_ifPKiSA_iPKfiiiSC_SC_iiiii: ; @_ZN4vllm25paged_attention_v1_kernelIffLi96ELi32ELi128ELNS_18Fp8KVCacheDataTypeE0ELb1EEEvPT_PKS2_PKT0_S8_ifPKiSA_iPKfiiiSC_SC_iiiii
; %bb.0:
	s_load_dword s5, s[0:1], 0x80
	s_load_dwordx2 s[6:7], s[0:1], 0x30
	s_load_dwordx2 s[30:31], s[0:1], 0x20
	s_mov_b32 s10, s3
	s_ashr_i32 s11, s3, 31
	s_lshl_b64 s[8:9], s[10:11], 2
	s_waitcnt lgkmcnt(0)
	s_add_u32 s6, s6, s8
	s_addc_u32 s7, s7, s9
	s_abs_i32 s3, s30
	v_cvt_f32_u32_e32 v1, s3
	s_sub_i32 s11, 0, s3
	s_abs_i32 s9, s5
	s_xor_b32 s8, s5, s30
	v_rcp_iflag_f32_e32 v1, v1
	s_ashr_i32 s8, s8, 31
	s_mov_b32 s42, 0
	v_mul_f32_e32 v1, 0x4f7ffffe, v1
	v_cvt_u32_f32_e32 v1, v1
	s_nop 0
	v_readfirstlane_b32 s12, v1
	s_mul_i32 s11, s11, s12
	s_mul_hi_u32 s11, s12, s11
	s_add_i32 s12, s12, s11
	s_mul_hi_u32 s11, s9, s12
	s_mul_i32 s12, s11, s3
	s_sub_i32 s9, s9, s12
	s_add_i32 s12, s11, 1
	s_sub_i32 s13, s9, s3
	s_cmp_ge_u32 s9, s3
	s_cselect_b32 s11, s12, s11
	s_cselect_b32 s9, s13, s9
	s_add_i32 s12, s11, 1
	s_cmp_ge_u32 s9, s3
	s_cselect_b32 s3, s12, s11
	s_xor_b32 s3, s3, s8
	s_sub_i32 s12, s3, s8
	s_abs_i32 s11, s12
	v_cvt_f32_u32_e32 v1, s11
	s_load_dwordx2 s[8:9], s[0:1], 0x40
	s_sub_i32 s3, 0, s11
	s_abs_i32 s22, s2
	v_rcp_iflag_f32_e32 v1, v1
	s_nop 0
	v_mul_f32_e32 v1, 0x4f7ffffe, v1
	v_cvt_u32_f32_e32 v1, v1
	s_nop 0
	v_readfirstlane_b32 s13, v1
	s_mul_i32 s3, s3, s13
	s_mul_hi_u32 s3, s13, s3
	s_add_i32 s13, s13, s3
	s_waitcnt lgkmcnt(0)
	s_cmp_eq_u64 s[8:9], 0
	s_mul_hi_u32 s23, s22, s13
	s_cbranch_scc1 .LBB39_2
; %bb.1:
	s_ashr_i32 s3, s2, 31
	s_lshl_b64 s[14:15], s[2:3], 2
	s_add_u32 s8, s8, s14
	s_addc_u32 s9, s9, s15
	s_load_dword s42, s[8:9], 0x0
.LBB39_2:
	s_load_dword s33, s[6:7], 0x0
	s_ashr_i32 s9, s12, 31
	s_load_dwordx4 s[12:15], s[0:1], 0x48
	s_ashr_i32 s3, s2, 31
	v_and_b32_e32 v4, 1, v0
	s_mul_i32 s20, s2, 0x60
	v_cmp_gt_u32_e32 vcc, 48, v0
	v_lshlrev_b32_e32 v2, 3, v0
	v_lshlrev_b32_e32 v6, 2, v0
	s_and_saveexec_b64 s[6:7], vcc
	s_cbranch_execz .LBB39_4
; %bb.3:
	s_load_dwordx2 s[16:17], s[0:1], 0x8
	s_waitcnt lgkmcnt(0)
	s_mul_i32 s18, s10, s12
	s_ashr_i32 s19, s18, 31
	s_lshl_b64 s[18:19], s[18:19], 2
	v_and_b32_e32 v1, 0xff8, v6
	s_add_u32 s8, s16, s18
	s_addc_u32 s12, s17, s19
	s_ashr_i32 s21, s20, 31
	s_lshl_b64 s[16:17], s[20:21], 2
	s_add_u32 s16, s8, s16
	s_addc_u32 s17, s12, s17
	global_load_dwordx2 v[8:9], v2, s[16:17]
	s_movk_i32 s8, 0xc0
	v_mad_u32_u24 v1, v4, s8, v1
	s_waitcnt vmcnt(0)
	ds_write_b64 v1, v[8:9]
.LBB39_4:
	s_or_b64 exec, exec, s[6:7]
	s_mul_i32 s6, s23, s11
	s_sub_i32 s6, s22, s6
	s_xor_b32 s3, s3, s9
	s_add_i32 s7, s23, 1
	s_sub_i32 s9, s6, s11
	s_load_dwordx4 s[16:19], s[0:1], 0x68
	s_load_dword s8, s[0:1], 0x78
	s_cmp_ge_u32 s6, s11
	s_cselect_b32 s7, s7, s23
	s_cselect_b32 s6, s9, s6
	s_add_i32 s9, s7, 1
	s_cmp_ge_u32 s6, s11
	s_cselect_b32 s6, s9, s7
	s_waitcnt lgkmcnt(0)
	s_abs_i32 s21, s19
	v_cvt_f32_u32_e32 v1, s21
	s_xor_b32 s6, s6, s3
	s_sub_i32 s3, s6, s3
	s_sub_i32 s6, 0, s21
	v_rcp_iflag_f32_e32 v1, v1
	s_add_i32 s11, s33, -1
	s_abs_i32 s9, s11
	v_mul_f32_e32 v1, 0x4f7ffffe, v1
	v_cvt_u32_f32_e32 v1, v1
	s_barrier
	v_readfirstlane_b32 s40, v1
	s_mul_i32 s6, s6, s40
	s_mul_hi_u32 s6, s40, s6
	s_add_i32 s40, s40, s6
	s_cmp_lt_i32 s8, 0
	s_mul_hi_u32 s12, s9, s40
	s_cbranch_scc0 .LBB39_6
; %bb.5:
	s_mul_i32 s6, s16, s30
	s_add_i32 s6, s3, s6
	s_mul_i32 s6, s6, s8
	s_sub_i32 s41, 1, s6
	s_mov_b64 s[6:7], 0
	s_branch .LBB39_7
.LBB39_6:
	s_mov_b64 s[6:7], -1
                                        ; implicit-def: $sgpr41
.LBB39_7:
	s_load_dwordx2 s[24:25], s[0:1], 0x28
	s_ashr_i32 s15, s11, 31
	s_andn2_b64 vcc, exec, s[6:7]
	s_ashr_i32 s19, s19, 31
	s_cbranch_vccnz .LBB39_9
; %bb.8:
	s_mul_i32 s6, s5, s16
	s_add_i32 s2, s6, s2
	s_mul_i32 s2, s2, s8
	s_add_i32 s41, s2, 1
.LBB39_9:
	s_load_dword s2, s[0:1], 0x38
	s_load_dwordx2 s[22:23], s[0:1], 0x0
	s_load_dwordx2 s[28:29], s[0:1], 0x18
	s_load_dword s11, s[0:1], 0x88
	s_xor_b32 s6, s15, s19
	s_waitcnt lgkmcnt(0)
	s_mul_i32 s26, s10, s2
	s_mul_i32 s2, s12, s21
	s_sub_i32 s2, s9, s2
	s_ashr_i32 s27, s26, 31
	s_add_i32 s7, s12, 1
	s_sub_i32 s8, s2, s21
	s_cmp_ge_u32 s2, s21
	s_cselect_b32 s7, s7, s12
	s_cselect_b32 s2, s8, s2
	s_add_i32 s8, s7, 1
	s_cmp_ge_u32 s2, s21
	s_cselect_b32 s2, s8, s7
	s_xor_b32 s2, s2, s6
	s_sub_i32 s12, s2, s6
	s_add_i32 s2, s33, 31
	s_ashr_i32 s6, s2, 31
	s_lshr_b32 s6, s6, 27
	s_add_i32 s2, s2, s6
	s_ashr_i32 s16, s2, 5
	v_lshrrev_b32_e32 v1, 6, v0
	v_cmp_gt_i32_e64 s[6:7], s16, v1
	v_mov_b32_e32 v11, 0xff7fffff
	s_mul_i32 s14, s3, s14
	v_lshrrev_b32_e32 v7, 4, v0
	v_lshlrev_b32_e32 v86, 5, v1
	v_mbcnt_lo_u32_b32 v8, -1, 0
	s_and_saveexec_b64 s[34:35], s[6:7]
	s_cbranch_execz .LBB39_19
; %bb.10:
	s_load_dwordx2 s[0:1], s[0:1], 0x10
	s_ashr_i32 s15, s14, 31
	s_sub_i32 s30, s12, s17
	s_lshl_b64 s[2:3], s[14:15], 2
	v_bfe_u32 v9, v0, 1, 5
	s_waitcnt lgkmcnt(0)
	s_add_u32 s0, s0, s2
	s_addc_u32 s1, s1, s3
	s_abs_i32 s15, s18
	v_cvt_f32_u32_e32 v3, s15
	v_lshlrev_b32_e32 v14, 4, v9
	v_mov_b32_e32 v15, 0
	v_lshl_add_u64 v[10:11], s[0:1], 0, v[14:15]
	v_rcp_iflag_f32_e32 v5, v3
	v_and_b32_e32 v14, 8, v2
	s_sub_i32 s0, 0, s15
	v_cmp_eq_u32_e32 vcc, 0, v4
	v_mul_f32_e32 v5, 0x4f7ffffe, v5
	v_cvt_u32_f32_e32 v5, v5
	v_lshl_add_u64 v[2:3], v[10:11], 0, v[14:15]
	v_mul_u32_u24_e32 v10, 0xc0, v4
	v_lshlrev_b32_e32 v16, 2, v9
	v_mul_lo_u32 v4, s0, v5
	s_lshl_b64 s[0:1], s[26:27], 2
	s_add_u32 s0, s24, s0
	v_mul_hi_u32 v4, v5, v4
	v_and_b32_e32 v14, 60, v7
	s_addc_u32 s1, s25, s1
	v_lshl_or_b32 v11, v1, 7, v16
	v_add_u32_e32 v12, v5, v4
	v_lshl_add_u64 v[4:5], s[0:1], 0, v[14:15]
	v_add_u32_e32 v14, 0x190, v11
	v_subrev_u32_e32 v11, s33, v9
	v_mbcnt_hi_u32_b32 v17, -1, v8
	v_add_u32_e32 v15, 1, v11
	v_and_b32_e32 v11, 64, v17
	s_mov_b32 s43, s13
	v_cmp_neq_f32_e64 s[2:3], s42, 0
	v_lshlrev_b32_e32 v13, 5, v1
	s_mov_b64 s[36:37], 0
	v_mov_b32_e32 v16, 0xff7fffff
	s_movk_i32 s44, 0x1000
	s_movk_i32 s45, 0x2000
	v_xor_b32_e32 v18, 1, v17
	v_add_u32_e32 v19, 64, v11
	v_mov_b32_e32 v11, 0xff7fffff
	v_mov_b32_e32 v20, v1
	s_branch .LBB39_13
.LBB39_11:                              ;   in Loop: Header=BB39_13 Depth=1
	s_or_b64 exec, exec, s[38:39]
.LBB39_12:                              ;   in Loop: Header=BB39_13 Depth=1
	s_or_b64 exec, exec, s[8:9]
	v_add_u32_e32 v20, 2, v20
	v_cmp_le_i32_e64 s[0:1], s16, v20
	v_lshl_add_u64 v[4:5], v[4:5], 0, 8
	v_add_u32_e32 v13, 64, v13
	s_or_b64 s[36:37], s[0:1], s[36:37]
	v_add_u32_e32 v14, 0x100, v14
	s_andn2_b64 exec, exec, s[36:37]
	s_cbranch_execz .LBB39_18
.LBB39_13:                              ; =>This Inner Loop Header: Depth=1
	v_mul_hi_u32 v21, v13, s40
	s_waitcnt lgkmcnt(0)
	v_mul_lo_u32 v22, v21, s21
	v_sub_u32_e32 v22, v13, v22
	v_add_u32_e32 v23, 1, v21
	v_cmp_le_u32_e64 s[0:1], s21, v22
	s_nop 1
	v_cndmask_b32_e64 v21, v21, v23, s[0:1]
	v_subrev_u32_e32 v23, s21, v22
	v_cndmask_b32_e64 v22, v22, v23, s[0:1]
	v_add_u32_e32 v23, 1, v21
	v_cmp_le_u32_e64 s[0:1], s21, v22
	s_nop 1
	v_cndmask_b32_e64 v21, v21, v23, s[0:1]
	v_xor_b32_e32 v21, s19, v21
	v_subrev_u32_e32 v21, s19, v21
	v_add_u32_e32 v22, s41, v21
	v_sub_u32_e32 v24, 0, v22
	v_ashrrev_i32_e32 v23, 31, v22
	v_max_i32_e32 v22, v22, v24
	v_mul_hi_u32 v24, v22, v12
	v_mul_lo_u32 v24, v24, s15
	v_sub_u32_e32 v22, v22, v24
	v_subrev_u32_e32 v24, s15, v22
	v_cmp_le_u32_e64 s[0:1], s15, v22
	v_cmp_ge_i32_e64 s[8:9], s30, v21
	s_nop 0
	v_cndmask_b32_e64 v22, v22, v24, s[0:1]
	v_subrev_u32_e32 v24, s15, v22
	v_cmp_le_u32_e64 s[0:1], s15, v22
	s_nop 1
	v_cndmask_b32_e64 v22, v22, v24, s[0:1]
	v_xor_b32_e32 v22, v22, v23
	v_sub_u32_e32 v22, v22, v23
	v_cmp_ne_u32_e64 s[0:1], 0, v22
	s_and_b64 s[0:1], s[0:1], s[8:9]
	s_and_b64 s[38:39], vcc, s[0:1]
	s_and_saveexec_b64 s[8:9], s[38:39]
	s_cbranch_execz .LBB39_15
; %bb.14:                               ;   in Loop: Header=BB39_13 Depth=1
	ds_write_b32 v14, v16
.LBB39_15:                              ;   in Loop: Header=BB39_13 Depth=1
	s_or_b64 exec, exec, s[8:9]
	s_xor_b64 s[0:1], s[0:1], -1
	s_and_saveexec_b64 s[8:9], s[0:1]
	s_cbranch_execz .LBB39_12
; %bb.16:                               ;   in Loop: Header=BB39_13 Depth=1
	global_load_dword v21, v[4:5], off
	s_waitcnt vmcnt(0)
	v_mad_i64_i32 v[22:23], s[0:1], v21, s43, 0
	v_lshl_add_u64 v[22:23], v[22:23], 2, v[2:3]
	global_load_dwordx2 v[54:55], v[22:23], off offset:512
	global_load_dwordx2 v[58:59], v[22:23], off offset:1024
	;; [unrolled: 1-line block ×3, first 2 shown]
	global_load_dwordx2 v[56:57], v[22:23], off
	global_load_dwordx2 v[62:63], v[22:23], off offset:2048
	global_load_dwordx2 v[64:65], v[22:23], off offset:2560
	;; [unrolled: 1-line block ×4, first 2 shown]
	v_add_co_u32_e64 v24, s[0:1], s45, v22
	s_nop 1
	v_addc_co_u32_e64 v25, s[0:1], 0, v23, s[0:1]
	global_load_dwordx2 v[70:71], v[24:25], off offset:-4096
	v_add_co_u32_e64 v22, s[0:1], s44, v22
	s_nop 1
	v_addc_co_u32_e64 v23, s[0:1], 0, v23, s[0:1]
	global_load_dwordx2 v[72:73], v[22:23], off offset:512
	global_load_dwordx2 v[74:75], v[22:23], off offset:1024
	;; [unrolled: 1-line block ×7, first 2 shown]
	global_load_dwordx2 v[88:89], v[24:25], off
	global_load_dwordx2 v[90:91], v[24:25], off offset:512
	global_load_dwordx2 v[92:93], v[24:25], off offset:1024
                                        ; kill: killed $vgpr22 killed $vgpr23
	global_load_dwordx2 v[94:95], v[24:25], off offset:1536
	global_load_dwordx2 v[96:97], v[24:25], off offset:2048
	;; [unrolled: 1-line block ×5, first 2 shown]
	ds_read_b128 v[22:25], v10
	ds_read_b128 v[26:29], v10 offset:16
	ds_read_b128 v[30:33], v10 offset:32
	;; [unrolled: 1-line block ×7, first 2 shown]
	v_cmp_lt_i32_e64 s[0:1], v18, v19
	s_waitcnt vmcnt(23) lgkmcnt(7)
	v_mul_f32_e32 v21, v24, v54
	v_mul_f32_e32 v87, v25, v55
	v_cndmask_b32_e64 v104, v17, v18, s[0:1]
	s_waitcnt vmcnt(20)
	v_fmac_f32_e32 v21, v22, v56
	v_fmac_f32_e32 v87, v23, v57
	s_waitcnt lgkmcnt(6)
	v_fmac_f32_e32 v21, v26, v58
	v_fmac_f32_e32 v87, v27, v59
	v_fmac_f32_e32 v21, v28, v60
	v_fmac_f32_e32 v87, v29, v61
	s_waitcnt vmcnt(19) lgkmcnt(5)
	v_fmac_f32_e32 v21, v30, v62
	v_fmac_f32_e32 v87, v31, v63
	s_waitcnt vmcnt(18)
	v_fmac_f32_e32 v21, v32, v64
	v_fmac_f32_e32 v87, v33, v65
	s_waitcnt vmcnt(17) lgkmcnt(4)
	v_fmac_f32_e32 v21, v34, v66
	v_fmac_f32_e32 v87, v35, v67
	s_waitcnt vmcnt(16)
	v_fmac_f32_e32 v21, v36, v68
	v_fmac_f32_e32 v87, v37, v69
	;; [unrolled: 6-line block ×4, first 2 shown]
	ds_read_b128 v[22:25], v10 offset:128
	ds_read_b128 v[54:57], v10 offset:144
	s_waitcnt vmcnt(11) lgkmcnt(3)
	v_fmac_f32_e32 v21, v46, v78
	v_fmac_f32_e32 v87, v47, v79
	s_waitcnt vmcnt(10)
	v_fmac_f32_e32 v21, v48, v80
	v_fmac_f32_e32 v87, v49, v81
	s_waitcnt vmcnt(9) lgkmcnt(2)
	v_fmac_f32_e32 v21, v50, v82
	v_fmac_f32_e32 v87, v51, v83
	s_waitcnt vmcnt(8)
	v_fmac_f32_e32 v21, v52, v84
	v_fmac_f32_e32 v87, v53, v85
	ds_read_b128 v[26:29], v10 offset:160
	ds_read_b128 v[58:61], v10 offset:176
	s_waitcnt vmcnt(7) lgkmcnt(3)
	v_fmac_f32_e32 v21, v22, v88
	v_fmac_f32_e32 v87, v23, v89
	s_waitcnt vmcnt(6)
	v_fmac_f32_e32 v21, v24, v90
	v_fmac_f32_e32 v87, v25, v91
	s_waitcnt vmcnt(5) lgkmcnt(2)
	v_fmac_f32_e32 v21, v54, v92
	v_fmac_f32_e32 v87, v55, v93
	s_waitcnt vmcnt(4)
	v_fmac_f32_e32 v21, v56, v94
	v_fmac_f32_e32 v87, v57, v95
	;; [unrolled: 6-line block ×4, first 2 shown]
	v_lshlrev_b32_e32 v104, 2, v104
	v_add_f32_e32 v21, v21, v87
	ds_bpermute_b32 v22, v104, v21
	s_and_saveexec_b64 s[38:39], vcc
	s_cbranch_execz .LBB39_11
; %bb.17:                               ;   in Loop: Header=BB39_13 Depth=1
	v_add_u32_e32 v23, v15, v13
	v_cvt_f32_i32_e32 v23, v23
	s_waitcnt lgkmcnt(0)
	v_add_f32_e32 v21, v21, v22
	v_add_u32_e32 v24, v9, v13
	v_cmp_gt_i32_e64 s[0:1], s33, v24
	v_mul_f32_e32 v22, s42, v23
	v_cndmask_b32_e64 v22, 0, v22, s[2:3]
	v_fmac_f32_e32 v22, s31, v21
	v_cndmask_b32_e64 v21, 0, v22, s[0:1]
	ds_write_b32 v14, v21
	v_max_f32_e32 v21, v11, v11
	v_max_f32_e32 v21, v21, v22
	v_cndmask_b32_e64 v11, v11, v21, s[0:1]
	s_branch .LBB39_11
.LBB39_18:
	s_or_b64 exec, exec, s[36:37]
.LBB39_19:
	s_or_b64 exec, exec, s[34:35]
	v_mbcnt_hi_u32_b32 v9, -1, v8
	v_and_b32_e32 v2, 64, v9
	v_add_u32_e32 v10, 64, v2
	v_xor_b32_e32 v2, 32, v9
	v_cmp_lt_i32_e32 vcc, v2, v10
	v_xor_b32_e32 v5, 16, v9
	v_max_f32_e32 v4, v11, v11
	v_cndmask_b32_e32 v2, v9, v2, vcc
	v_lshlrev_b32_e32 v2, 2, v2
	ds_bpermute_b32 v3, v2, v11
	v_cmp_lt_i32_e32 vcc, v5, v10
	v_xor_b32_e32 v8, 8, v9
	v_xor_b32_e32 v11, 4, v9
	v_and_b32_e32 v87, 63, v0
	s_waitcnt lgkmcnt(0)
	v_max_f32_e32 v3, v3, v3
	v_max_f32_e32 v4, v4, v3
	v_cndmask_b32_e32 v3, v9, v5, vcc
	v_lshlrev_b32_e32 v3, 2, v3
	ds_bpermute_b32 v5, v3, v4
	v_cmp_lt_i32_e32 vcc, v8, v10
	s_waitcnt lgkmcnt(0)
	v_max_f32_e32 v5, v5, v5
	v_max_f32_e32 v5, v4, v5
	v_cndmask_b32_e32 v4, v9, v8, vcc
	v_lshlrev_b32_e32 v4, 2, v4
	ds_bpermute_b32 v8, v4, v5
	v_cmp_lt_i32_e32 vcc, v11, v10
	s_waitcnt lgkmcnt(0)
	v_max_f32_e32 v8, v8, v8
	v_max_f32_e32 v5, v5, v8
	v_cndmask_b32_e32 v8, v9, v11, vcc
	v_lshlrev_b32_e32 v88, 2, v8
	ds_bpermute_b32 v8, v88, v5
	v_xor_b32_e32 v11, 2, v9
	v_cmp_lt_i32_e32 vcc, v11, v10
	s_waitcnt lgkmcnt(0)
	v_max_f32_e32 v8, v8, v8
	v_max_f32_e32 v8, v5, v8
	v_cndmask_b32_e32 v5, v9, v11, vcc
	v_lshlrev_b32_e32 v89, 2, v5
	ds_bpermute_b32 v11, v89, v8
	v_cmp_eq_u32_e32 vcc, 0, v87
	v_lshlrev_b32_e32 v5, 2, v1
	s_and_saveexec_b64 s[0:1], vcc
	s_cbranch_execz .LBB39_21
; %bb.20:
	s_waitcnt lgkmcnt(0)
	v_max_f32_e32 v11, v11, v11
	v_max_f32_e32 v8, v8, v8
	;; [unrolled: 1-line block ×3, first 2 shown]
	ds_write_b32 v5, v8 offset:384
.LBB39_21:
	s_or_b64 exec, exec, s[0:1]
	v_cmp_gt_u32_e64 s[0:1], 2, v87
	s_waitcnt lgkmcnt(0)
	v_mov_b32_e32 v11, 0xff7fffff
	v_lshlrev_b32_e32 v8, 2, v87
	s_barrier
	s_and_saveexec_b64 s[2:3], s[0:1]
	s_cbranch_execz .LBB39_23
; %bb.22:
	ds_read_b32 v11, v8 offset:384
.LBB39_23:
	s_or_b64 exec, exec, s[2:3]
	v_xor_b32_e32 v12, 1, v9
	v_cmp_lt_i32_e64 s[2:3], v12, v10
	s_nop 1
	v_cndmask_b32_e64 v10, v9, v12, s[2:3]
	v_lshlrev_b32_e32 v90, 2, v10
	s_waitcnt lgkmcnt(0)
	ds_bpermute_b32 v10, v90, v11
	v_max_f32_e32 v11, v11, v11
	v_lshlrev_b32_e32 v9, 2, v9
	v_and_b32_e32 v9, 0x100, v9
	s_lshl_b32 s2, s16, 5
	s_waitcnt lgkmcnt(0)
	v_max_f32_e32 v10, v10, v10
	v_max_f32_e32 v10, v11, v10
	ds_bpermute_b32 v11, v9, v10
	s_min_i32 s15, s2, s33
	v_cmp_gt_i32_e64 s[2:3], s15, v0
	v_mov_b32_e32 v10, 0
	s_and_saveexec_b64 s[30:31], s[2:3]
	s_cbranch_execz .LBB39_27
; %bb.24:
	v_mov_b32_e32 v10, 0x190
	v_lshl_add_u32 v12, v0, 2, v10
	s_mov_b64 s[34:35], 0
	v_mov_b32_e32 v10, 0
	v_mov_b32_e32 v13, v0
.LBB39_25:                              ; =>This Inner Loop Header: Depth=1
	ds_read_b32 v14, v12
	v_add_u32_e32 v13, 0x80, v13
	v_cmp_le_i32_e64 s[8:9], s15, v13
	s_or_b64 s[34:35], s[8:9], s[34:35]
	s_waitcnt lgkmcnt(0)
	v_sub_f32_e32 v14, v14, v11
	v_mul_f32_e32 v14, 0x3fb8aa3b, v14
	v_exp_f32_e32 v14, v14
	ds_write_b32 v12, v14
	v_add_f32_e32 v10, v10, v14
	v_add_u32_e32 v12, 0x200, v12
	s_andn2_b64 exec, exec, s[34:35]
	s_cbranch_execnz .LBB39_25
; %bb.26:
	s_or_b64 exec, exec, s[34:35]
.LBB39_27:
	s_or_b64 exec, exec, s[30:31]
	ds_bpermute_b32 v2, v2, v10
	s_waitcnt lgkmcnt(0)
	v_add_f32_e32 v2, v10, v2
	ds_bpermute_b32 v3, v3, v2
	s_waitcnt lgkmcnt(0)
	v_add_f32_e32 v2, v2, v3
	ds_bpermute_b32 v3, v4, v2
	s_waitcnt lgkmcnt(0)
	v_add_f32_e32 v2, v2, v3
	ds_bpermute_b32 v3, v88, v2
	s_waitcnt lgkmcnt(0)
	v_add_f32_e32 v2, v2, v3
	ds_bpermute_b32 v3, v89, v2
	s_waitcnt lgkmcnt(0)
	v_add_f32_e32 v2, v2, v3
	ds_bpermute_b32 v3, v90, v2
	s_waitcnt lgkmcnt(0)
	v_add_f32_e32 v2, v2, v3
	s_and_saveexec_b64 s[8:9], vcc
	s_cbranch_execz .LBB39_29
; %bb.28:
	ds_write_b32 v5, v2 offset:392
.LBB39_29:
	s_or_b64 exec, exec, s[8:9]
	s_waitcnt lgkmcnt(0)
	s_barrier
	s_and_saveexec_b64 s[8:9], s[0:1]
	s_cbranch_execz .LBB39_31
; %bb.30:
	ds_read_b32 v2, v8 offset:392
.LBB39_31:
	s_or_b64 exec, exec, s[8:9]
	s_waitcnt lgkmcnt(0)
	ds_bpermute_b32 v3, v90, v2
	s_waitcnt lgkmcnt(0)
	v_add_f32_e32 v2, v2, v3
	ds_bpermute_b32 v2, v9, v2
	s_and_saveexec_b64 s[0:1], s[2:3]
	s_cbranch_execz .LBB39_44
; %bb.32:
	s_waitcnt lgkmcnt(0)
	v_add_f32_e32 v2, 0x358637bd, v2
	v_div_scale_f32 v3, s[2:3], v2, v2, 1.0
	v_rcp_f32_e32 v4, v3
	v_div_scale_f32 v5, vcc, 1.0, v2, 1.0
	s_movk_i32 s2, 0x7f
	v_fma_f32 v8, -v3, v4, 1.0
	v_fmac_f32_e32 v4, v8, v4
	v_mul_f32_e32 v8, v5, v4
	v_fma_f32 v9, -v3, v8, v5
	v_fmac_f32_e32 v8, v9, v4
	v_fma_f32 v3, -v3, v8, v5
	v_div_fmas_f32 v3, v3, v4, v8
	v_xad_u32 v4, v0, -1, s15
	v_div_fixup_f32 v2, v3, v2, 1.0
	v_cmp_lt_u32_e32 vcc, s2, v4
	s_mov_b64 s[8:9], -1
	v_mov_b32_e32 v3, v0
	s_and_saveexec_b64 s[2:3], vcc
	s_cbranch_execz .LBB39_41
; %bb.33:
	v_lshrrev_b32_e32 v4, 7, v4
	v_add_u32_e32 v8, -1, v4
	v_lshrrev_b32_e32 v5, 1, v8
	v_mov_b32_e32 v3, v2
	v_add_u32_e32 v5, 1, v5
	v_cmp_lt_u32_e32 vcc, 13, v8
	v_mov_b32_e32 v10, 0
	s_and_saveexec_b64 s[8:9], vcc
	s_cbranch_execz .LBB39_37
; %bb.34:
	v_mov_b32_e32 v9, 0x190
	v_and_b32_e32 v8, -8, v5
	v_lshl_add_u32 v9, v0, 2, v9
	s_mov_b32 s34, 0
	s_mov_b64 s[30:31], 0
.LBB39_35:                              ; =>This Inner Loop Header: Depth=1
	ds_read2st64_b32 v[10:11], v9 offset1:2
	ds_read2st64_b32 v[12:13], v9 offset0:4 offset1:6
	ds_read2st64_b32 v[14:15], v9 offset0:8 offset1:10
	;; [unrolled: 1-line block ×3, first 2 shown]
	v_add_u32_e32 v8, -8, v8
	s_waitcnt lgkmcnt(3)
	v_pk_mul_f32 v[10:11], v[2:3], v[10:11]
	s_waitcnt lgkmcnt(2)
	v_pk_mul_f32 v[12:13], v[2:3], v[12:13]
	ds_write2st64_b32 v9, v10, v11 offset1:2
	ds_write2st64_b32 v9, v12, v13 offset0:4 offset1:6
	ds_read2st64_b32 v[12:13], v9 offset0:16 offset1:18
	s_waitcnt lgkmcnt(4)
	v_pk_mul_f32 v[10:11], v[2:3], v[14:15]
	ds_write2st64_b32 v9, v10, v11 offset0:8 offset1:10
	s_waitcnt lgkmcnt(4)
	v_pk_mul_f32 v[10:11], v[2:3], v[16:17]
	ds_write2st64_b32 v9, v10, v11 offset0:12 offset1:14
	ds_read2st64_b32 v[10:11], v9 offset0:20 offset1:22
	s_waitcnt lgkmcnt(3)
	v_pk_mul_f32 v[12:13], v[2:3], v[12:13]
	ds_read2st64_b32 v[14:15], v9 offset0:24 offset1:26
	ds_write2st64_b32 v9, v12, v13 offset0:16 offset1:18
	ds_read2st64_b32 v[12:13], v9 offset0:28 offset1:30
	s_waitcnt lgkmcnt(3)
	v_pk_mul_f32 v[10:11], v[2:3], v[10:11]
	ds_write2st64_b32 v9, v10, v11 offset0:20 offset1:22
	s_waitcnt lgkmcnt(3)
	v_pk_mul_f32 v[10:11], v[2:3], v[14:15]
	ds_write2st64_b32 v9, v10, v11 offset0:24 offset1:26
	s_waitcnt lgkmcnt(2)
	v_pk_mul_f32 v[10:11], v[2:3], v[12:13]
	s_add_i32 s34, s34, 16
	v_cmp_eq_u32_e32 vcc, 0, v8
	ds_write2st64_b32 v9, v10, v11 offset0:28 offset1:30
	v_add_u32_e32 v9, 0x2000, v9
	s_or_b64 s[30:31], vcc, s[30:31]
	v_mov_b32_e32 v10, s34
	s_andn2_b64 exec, exec, s[30:31]
	s_cbranch_execnz .LBB39_35
; %bb.36:
	s_or_b64 exec, exec, s[30:31]
.LBB39_37:
	s_or_b64 exec, exec, s[8:9]
	v_and_b32_e32 v5, 7, v5
	v_cmp_ne_u32_e32 vcc, 0, v5
	s_and_saveexec_b64 s[8:9], vcc
	s_cbranch_execz .LBB39_40
; %bb.38:
	v_lshlrev_b32_e32 v8, 9, v10
	s_movk_i32 s30, 0x190
	v_add3_u32 v8, v8, v6, s30
	s_mov_b64 s[30:31], 0
.LBB39_39:                              ; =>This Inner Loop Header: Depth=1
	ds_read2st64_b32 v[10:11], v8 offset1:2
	v_add_u32_e32 v5, -1, v5
	v_cmp_eq_u32_e32 vcc, 0, v5
	s_or_b64 s[30:31], vcc, s[30:31]
	s_waitcnt lgkmcnt(0)
	v_pk_mul_f32 v[10:11], v[2:3], v[10:11]
	ds_write2st64_b32 v8, v10, v11 offset1:2
	v_add_u32_e32 v8, 0x400, v8
	s_andn2_b64 exec, exec, s[30:31]
	s_cbranch_execnz .LBB39_39
.LBB39_40:
	s_or_b64 exec, exec, s[8:9]
	v_add_u32_e32 v4, 1, v4
	v_and_b32_e32 v5, 0x3fffffe, v4
	v_cmp_ne_u32_e32 vcc, v4, v5
	v_lshl_add_u32 v3, v5, 7, v0
	s_orn2_b64 s[8:9], vcc, exec
.LBB39_41:
	s_or_b64 exec, exec, s[2:3]
	s_and_b64 exec, exec, s[8:9]
	s_cbranch_execz .LBB39_44
; %bb.42:
	v_mov_b32_e32 v4, 0x190
	v_lshl_add_u32 v4, v3, 2, v4
	s_mov_b64 s[2:3], 0
.LBB39_43:                              ; =>This Inner Loop Header: Depth=1
	ds_read_b32 v5, v4
	v_add_u32_e32 v3, 0x80, v3
	v_cmp_le_i32_e32 vcc, s15, v3
	s_or_b64 s[2:3], vcc, s[2:3]
	s_waitcnt lgkmcnt(0)
	v_mul_f32_e32 v5, v2, v5
	ds_write_b32 v4, v5
	v_add_u32_e32 v4, 0x200, v4
	s_andn2_b64 exec, exec, s[2:3]
	s_cbranch_execnz .LBB39_43
.LBB39_44:
	s_or_b64 exec, exec, s[0:1]
	v_mov_b32_e32 v55, 0
	v_and_b32_e32 v91, 7, v0
	v_mov_b32_e32 v54, 0
	v_mov_b32_e32 v57, 0
	v_mov_b32_e32 v56, 0
	v_mov_b32_e32 v59, 0
	v_mov_b32_e32 v58, 0
	v_mov_b32_e32 v61, 0
	v_mov_b32_e32 v60, 0
	v_mov_b32_e32 v63, 0
	v_mov_b32_e32 v62, 0
	v_mov_b32_e32 v67, 0
	v_mov_b32_e32 v66, 0
	s_waitcnt lgkmcnt(0)
	s_barrier
	s_and_saveexec_b64 s[2:3], s[6:7]
	s_cbranch_execz .LBB39_74
; %bb.45:
	s_ashr_i32 s15, s14, 31
	s_sub_i32 s17, s12, s17
	s_lshl_b64 s[0:1], s[14:15], 2
	s_add_u32 s6, s28, s0
	s_addc_u32 s7, s29, s1
	s_abs_i32 s18, s18
	v_cvt_f32_u32_e32 v3, s18
	s_sub_i32 s0, 0, s18
	s_add_i32 s28, s16, -1
	v_and_b32_e32 v2, 0xfc, v6
	v_rcp_iflag_f32_e32 v3, v3
	v_and_b32_e32 v92, 28, v6
	v_mov_b32_e32 v65, 0
	v_or_b32_e32 v4, 0x400, v2
	v_mul_f32_e32 v3, 0x4f7ffffe, v3
	v_cvt_u32_f32_e32 v3, v3
	v_or_b32_e32 v6, 0x500, v2
	v_or_b32_e32 v8, 0x600, v2
	;; [unrolled: 1-line block ×3, first 2 shown]
	v_mul_lo_u32 v5, s0, v3
	v_mul_hi_u32 v5, v3, v5
	s_lshl_b64 s[0:1], s[26:27], 2
	v_add_u32_e32 v93, v3, v5
	s_add_u32 s0, s24, s0
	v_lshlrev_b32_e32 v3, 4, v91
	v_or_b32_e32 v12, 0x800, v2
	v_or_b32_e32 v14, 0x900, v2
	;; [unrolled: 1-line block ×4, first 2 shown]
	v_and_b32_e32 v64, 60, v7
	s_addc_u32 s1, s25, s1
	v_lshl_or_b32 v3, v1, 7, v3
	s_mov_b32 s30, s13
	v_lshl_add_u64 v[68:69], s[0:1], 0, v[64:65]
	v_add_u32_e32 v94, 0x190, v3
	s_mov_b64 s[8:9], 0
	v_lshlrev_b32_e32 v70, 2, v2
	v_lshlrev_b32_e32 v64, 2, v4
	v_lshlrev_b32_e32 v72, 2, v6
	v_lshlrev_b32_e32 v74, 2, v8
	v_lshlrev_b32_e32 v76, 2, v10
	v_lshlrev_b32_e32 v78, 2, v12
	v_lshlrev_b32_e32 v80, 2, v14
	v_lshlrev_b32_e32 v82, 2, v16
	v_lshlrev_b32_e32 v84, 2, v18
	v_mov_b32_e32 v55, v65
	v_mov_b32_e32 v54, v65
	;; [unrolled: 1-line block ×12, first 2 shown]
	s_branch .LBB39_48
.LBB39_46:                              ;   in Loop: Header=BB39_48 Depth=1
	s_or_b64 exec, exec, s[0:1]
	s_waitcnt vmcnt(1) lgkmcnt(0)
	v_mul_f32_e32 v51, v3, v51
	v_mul_f32_e32 v47, v3, v47
	;; [unrolled: 1-line block ×11, first 2 shown]
	s_waitcnt vmcnt(0)
	v_mul_f32_e32 v3, v3, v43
	v_fmac_f32_e32 v51, v2, v50
	v_fmac_f32_e32 v47, v2, v46
	;; [unrolled: 1-line block ×36, first 2 shown]
	v_add_f32_e32 v54, v54, v51
	v_add_f32_e32 v57, v57, v47
	;; [unrolled: 1-line block ×12, first 2 shown]
.LBB39_47:                              ;   in Loop: Header=BB39_48 Depth=1
	s_or_b64 exec, exec, s[12:13]
	v_add_u32_e32 v1, 2, v1
	v_cmp_le_i32_e32 vcc, s16, v1
	v_lshl_add_u64 v[68:69], v[68:69], 0, 8
	v_add_u32_e32 v86, 64, v86
	s_or_b64 s[8:9], vcc, s[8:9]
	v_add_u32_e32 v94, 0x100, v94
	s_andn2_b64 exec, exec, s[8:9]
	s_cbranch_execz .LBB39_73
.LBB39_48:                              ; =>This Inner Loop Header: Depth=1
	v_mul_hi_u32 v2, v86, s40
	v_mul_lo_u32 v3, v2, s21
	v_sub_u32_e32 v3, v86, v3
	v_add_u32_e32 v4, 1, v2
	v_cmp_le_u32_e32 vcc, s21, v3
	s_nop 1
	v_cndmask_b32_e32 v2, v2, v4, vcc
	v_subrev_u32_e32 v4, s21, v3
	v_cndmask_b32_e32 v3, v3, v4, vcc
	v_add_u32_e32 v4, 1, v2
	v_cmp_le_u32_e32 vcc, s21, v3
	s_nop 1
	v_cndmask_b32_e32 v2, v2, v4, vcc
	v_xor_b32_e32 v2, s19, v2
	v_subrev_u32_e32 v2, s19, v2
	v_add_u32_e32 v3, s41, v2
	v_sub_u32_e32 v5, 0, v3
	v_ashrrev_i32_e32 v4, 31, v3
	v_max_i32_e32 v3, v3, v5
	v_mul_hi_u32 v5, v3, v93
	v_mul_lo_u32 v5, v5, s18
	v_sub_u32_e32 v3, v3, v5
	v_subrev_u32_e32 v5, s18, v3
	v_cmp_le_u32_e32 vcc, s18, v3
	v_cmp_lt_i32_e64 s[0:1], s17, v2
	s_nop 0
	v_cndmask_b32_e32 v3, v3, v5, vcc
	v_subrev_u32_e32 v5, s18, v3
	v_cmp_le_u32_e32 vcc, s18, v3
	s_nop 1
	v_cndmask_b32_e32 v3, v3, v5, vcc
	v_xor_b32_e32 v3, v3, v4
	v_sub_u32_e32 v3, v3, v4
	v_cmp_eq_u32_e32 vcc, 0, v3
	s_or_b64 s[0:1], vcc, s[0:1]
	s_and_saveexec_b64 s[12:13], s[0:1]
	s_cbranch_execz .LBB39_47
; %bb.49:                               ;   in Loop: Header=BB39_48 Depth=1
	global_load_dword v2, v[68:69], off
	v_mov_b32_e32 v71, v65
	v_cmp_eq_u32_e32 vcc, s28, v1
	s_waitcnt vmcnt(0)
	v_mad_i64_i32 v[2:3], s[0:1], v2, s30, 0
	v_lshl_add_u64 v[42:43], v[2:3], 2, s[6:7]
	v_lshl_add_u64 v[18:19], v[42:43], 0, v[70:71]
	global_load_dwordx4 v[6:9], v[18:19], off
	ds_read_b128 v[2:5], v94
	v_add_u32_e32 v71, v92, v86
	v_add_u32_e32 v97, 1, v71
	v_add_u32_e32 v96, 2, v71
	v_add_u32_e32 v95, 3, v71
	s_and_saveexec_b64 s[14:15], vcc
	s_cbranch_execnz .LBB39_70
; %bb.50:                               ;   in Loop: Header=BB39_48 Depth=1
	s_or_b64 exec, exec, s[14:15]
	global_load_dwordx4 v[10:13], v[18:19], off offset:1024
	s_and_saveexec_b64 s[14:15], vcc
	s_cbranch_execnz .LBB39_71
.LBB39_51:                              ;   in Loop: Header=BB39_48 Depth=1
	s_or_b64 exec, exec, s[14:15]
	global_load_dwordx4 v[14:17], v[18:19], off offset:2048
	s_and_saveexec_b64 s[14:15], vcc
	s_cbranch_execnz .LBB39_72
.LBB39_52:                              ;   in Loop: Header=BB39_48 Depth=1
	s_or_b64 exec, exec, s[14:15]
	global_load_dwordx4 v[18:21], v[18:19], off offset:3072
	s_and_saveexec_b64 s[14:15], vcc
	s_cbranch_execz .LBB39_54
.LBB39_53:                              ;   in Loop: Header=BB39_48 Depth=1
	v_cmp_gt_i32_e64 s[0:1], s33, v71
	s_waitcnt vmcnt(0)
	s_nop 0
	v_cndmask_b32_e64 v18, 0, v18, s[0:1]
	v_cmp_gt_i32_e64 s[0:1], s33, v97
	s_nop 1
	v_cndmask_b32_e64 v19, 0, v19, s[0:1]
	v_cmp_gt_i32_e64 s[0:1], s33, v96
	;; [unrolled: 3-line block ×3, first 2 shown]
	s_nop 1
	v_cndmask_b32_e64 v21, 0, v21, s[0:1]
.LBB39_54:                              ;   in Loop: Header=BB39_48 Depth=1
	s_or_b64 exec, exec, s[14:15]
	v_lshl_add_u64 v[22:23], v[42:43], 0, v[64:65]
	global_load_dwordx4 v[22:25], v[22:23], off
	s_and_saveexec_b64 s[14:15], vcc
	s_cbranch_execz .LBB39_56
; %bb.55:                               ;   in Loop: Header=BB39_48 Depth=1
	v_cmp_gt_i32_e64 s[0:1], s33, v71
	s_waitcnt vmcnt(0)
	s_nop 0
	v_cndmask_b32_e64 v22, 0, v22, s[0:1]
	v_cmp_gt_i32_e64 s[0:1], s33, v97
	s_nop 1
	v_cndmask_b32_e64 v23, 0, v23, s[0:1]
	v_cmp_gt_i32_e64 s[0:1], s33, v96
	s_nop 1
	v_cndmask_b32_e64 v24, 0, v24, s[0:1]
	v_cmp_gt_i32_e64 s[0:1], s33, v95
	s_nop 1
	v_cndmask_b32_e64 v25, 0, v25, s[0:1]
.LBB39_56:                              ;   in Loop: Header=BB39_48 Depth=1
	s_or_b64 exec, exec, s[14:15]
	v_mov_b32_e32 v73, v65
	v_lshl_add_u64 v[26:27], v[42:43], 0, v[72:73]
	global_load_dwordx4 v[26:29], v[26:27], off
	s_and_saveexec_b64 s[14:15], vcc
	s_cbranch_execz .LBB39_58
; %bb.57:                               ;   in Loop: Header=BB39_48 Depth=1
	v_cmp_gt_i32_e64 s[0:1], s33, v71
	s_waitcnt vmcnt(0)
	s_nop 0
	v_cndmask_b32_e64 v26, 0, v26, s[0:1]
	v_cmp_gt_i32_e64 s[0:1], s33, v97
	s_nop 1
	v_cndmask_b32_e64 v27, 0, v27, s[0:1]
	v_cmp_gt_i32_e64 s[0:1], s33, v96
	s_nop 1
	v_cndmask_b32_e64 v28, 0, v28, s[0:1]
	v_cmp_gt_i32_e64 s[0:1], s33, v95
	s_nop 1
	v_cndmask_b32_e64 v29, 0, v29, s[0:1]
.LBB39_58:                              ;   in Loop: Header=BB39_48 Depth=1
	s_or_b64 exec, exec, s[14:15]
	v_mov_b32_e32 v75, v65
	;; [unrolled: 21-line block ×7, first 2 shown]
	v_lshl_add_u64 v[42:43], v[42:43], 0, v[84:85]
	global_load_dwordx4 v[42:45], v[42:43], off
	s_and_saveexec_b64 s[0:1], vcc
	s_cbranch_execz .LBB39_46
; %bb.69:                               ;   in Loop: Header=BB39_48 Depth=1
	v_cmp_gt_i32_e32 vcc, s33, v71
	s_waitcnt vmcnt(0)
	s_nop 0
	v_cndmask_b32_e32 v42, 0, v42, vcc
	v_cmp_gt_i32_e32 vcc, s33, v97
	s_nop 1
	v_cndmask_b32_e32 v43, 0, v43, vcc
	v_cmp_gt_i32_e32 vcc, s33, v96
	;; [unrolled: 3-line block ×3, first 2 shown]
	s_nop 1
	v_cndmask_b32_e32 v45, 0, v45, vcc
	s_branch .LBB39_46
.LBB39_70:                              ;   in Loop: Header=BB39_48 Depth=1
	v_cmp_gt_i32_e64 s[0:1], s33, v71
	s_waitcnt vmcnt(0)
	s_nop 0
	v_cndmask_b32_e64 v6, 0, v6, s[0:1]
	v_cmp_gt_i32_e64 s[0:1], s33, v97
	s_nop 1
	v_cndmask_b32_e64 v7, 0, v7, s[0:1]
	v_cmp_gt_i32_e64 s[0:1], s33, v96
	;; [unrolled: 3-line block ×3, first 2 shown]
	s_nop 1
	v_cndmask_b32_e64 v9, 0, v9, s[0:1]
	s_or_b64 exec, exec, s[14:15]
	global_load_dwordx4 v[10:13], v[18:19], off offset:1024
	s_and_saveexec_b64 s[14:15], vcc
	s_cbranch_execz .LBB39_51
.LBB39_71:                              ;   in Loop: Header=BB39_48 Depth=1
	v_cmp_gt_i32_e64 s[0:1], s33, v71
	s_waitcnt vmcnt(0)
	s_nop 0
	v_cndmask_b32_e64 v10, 0, v10, s[0:1]
	v_cmp_gt_i32_e64 s[0:1], s33, v97
	s_nop 1
	v_cndmask_b32_e64 v11, 0, v11, s[0:1]
	v_cmp_gt_i32_e64 s[0:1], s33, v96
	;; [unrolled: 3-line block ×3, first 2 shown]
	s_nop 1
	v_cndmask_b32_e64 v13, 0, v13, s[0:1]
	s_or_b64 exec, exec, s[14:15]
	global_load_dwordx4 v[14:17], v[18:19], off offset:2048
	s_and_saveexec_b64 s[14:15], vcc
	s_cbranch_execz .LBB39_52
.LBB39_72:                              ;   in Loop: Header=BB39_48 Depth=1
	v_cmp_gt_i32_e64 s[0:1], s33, v71
	s_waitcnt vmcnt(0)
	s_nop 0
	v_cndmask_b32_e64 v14, 0, v14, s[0:1]
	v_cmp_gt_i32_e64 s[0:1], s33, v97
	s_nop 1
	v_cndmask_b32_e64 v15, 0, v15, s[0:1]
	v_cmp_gt_i32_e64 s[0:1], s33, v96
	;; [unrolled: 3-line block ×3, first 2 shown]
	s_nop 1
	v_cndmask_b32_e64 v17, 0, v17, s[0:1]
	s_or_b64 exec, exec, s[14:15]
	global_load_dwordx4 v[18:21], v[18:19], off offset:3072
	s_and_saveexec_b64 s[14:15], vcc
	s_cbranch_execnz .LBB39_53
	s_branch .LBB39_54
.LBB39_73:
	s_or_b64 exec, exec, s[8:9]
.LBB39_74:
	s_or_b64 exec, exec, s[2:3]
	ds_bpermute_b32 v2, v88, v66
	ds_bpermute_b32 v3, v88, v67
	;; [unrolled: 1-line block ×6, first 2 shown]
	s_waitcnt lgkmcnt(4)
	v_pk_add_f32 v[2:3], v[66:67], v[2:3]
	ds_bpermute_b32 v6, v89, v2
	ds_bpermute_b32 v7, v89, v3
	s_waitcnt lgkmcnt(4)
	v_pk_add_f32 v[10:11], v[60:61], v[10:11]
	ds_bpermute_b32 v12, v89, v10
	ds_bpermute_b32 v13, v89, v11
	ds_bpermute_b32 v16, v88, v56
	s_waitcnt lgkmcnt(3)
	v_pk_add_f32 v[2:3], v[2:3], v[6:7]
	ds_bpermute_b32 v6, v90, v2
	ds_bpermute_b32 v7, v90, v3
	;; [unrolled: 1-line block ×3, first 2 shown]
	v_pk_add_f32 v[4:5], v[62:63], v[4:5]
	ds_bpermute_b32 v8, v89, v4
	ds_bpermute_b32 v9, v89, v5
	s_waitcnt lgkmcnt(3)
	v_pk_add_f32 v[2:3], v[2:3], v[6:7]
	ds_bpermute_b32 v6, v88, v58
	ds_bpermute_b32 v7, v88, v59
	v_pk_add_f32 v[12:13], v[10:11], v[12:13]
	s_waitcnt lgkmcnt(4)
	v_pk_add_f32 v[10:11], v[56:57], v[16:17]
	ds_bpermute_b32 v20, v88, v54
	ds_bpermute_b32 v21, v88, v55
	s_waitcnt lgkmcnt(2)
	v_pk_add_f32 v[6:7], v[58:59], v[6:7]
	ds_bpermute_b32 v14, v89, v6
	ds_bpermute_b32 v15, v89, v7
	v_pk_add_f32 v[4:5], v[4:5], v[8:9]
	s_waitcnt lgkmcnt(2)
	v_pk_add_f32 v[20:21], v[54:55], v[20:21]
	ds_bpermute_b32 v8, v90, v4
	ds_bpermute_b32 v9, v90, v5
	s_waitcnt lgkmcnt(2)
	v_pk_add_f32 v[6:7], v[6:7], v[14:15]
	ds_bpermute_b32 v14, v89, v10
	ds_bpermute_b32 v15, v89, v11
	;; [unrolled: 1-line block ×6, first 2 shown]
	s_waitcnt lgkmcnt(4)
	v_pk_add_f32 v[14:15], v[10:11], v[14:15]
	ds_bpermute_b32 v22, v90, v14
	ds_bpermute_b32 v23, v90, v15
	;; [unrolled: 1-line block ×4, first 2 shown]
	v_pk_add_f32 v[10:11], v[4:5], v[8:9]
	s_waitcnt lgkmcnt(6)
	v_pk_add_f32 v[8:9], v[12:13], v[18:19]
	s_waitcnt lgkmcnt(4)
	;; [unrolled: 2-line block ×3, first 2 shown]
	v_pk_add_f32 v[4:5], v[14:15], v[22:23]
	ds_bpermute_b32 v14, v90, v12
	ds_bpermute_b32 v15, v90, v13
	v_and_b32_e32 v1, 0x3c7, v0
	s_waitcnt lgkmcnt(2)
	v_pk_add_f32 v[6:7], v[6:7], v[16:17]
	v_cmp_ne_u32_e32 vcc, 64, v1
	s_waitcnt lgkmcnt(0)
	s_barrier
	s_and_saveexec_b64 s[0:1], vcc
	s_xor_b64 s[0:1], exec, s[0:1]
; %bb.75:
                                        ; implicit-def: $vgpr87
; %bb.76:
	s_or_saveexec_b64 s[0:1], s[0:1]
	v_pk_add_f32 v[12:13], v[12:13], v[14:15]
	s_xor_b64 exec, exec, s[0:1]
	s_cbranch_execz .LBB39_78
; %bb.77:
	v_lshrrev_b32_e32 v14, 1, v87
	v_add_u32_e32 v14, 0x190, v14
	ds_write2_b32 v14, v2, v3 offset1:8
	ds_write2_b32 v14, v10, v11 offset0:16 offset1:24
	ds_write2_b32 v14, v8, v9 offset0:32 offset1:40
	;; [unrolled: 1-line block ×5, first 2 shown]
.LBB39_78:
	s_or_b64 exec, exec, s[0:1]
	v_cmp_gt_u32_e32 vcc, 64, v0
	s_waitcnt lgkmcnt(0)
	s_barrier
	s_and_saveexec_b64 s[0:1], vcc
	s_cbranch_execz .LBB39_93
; %bb.79:
	v_cmp_eq_u32_e32 vcc, 0, v91
	v_lshrrev_b32_e32 v14, 3, v0
	s_and_saveexec_b64 s[2:3], vcc
	s_cbranch_execnz .LBB39_96
; %bb.80:
	s_or_b64 exec, exec, s[2:3]
	s_and_saveexec_b64 s[2:3], vcc
	s_cbranch_execnz .LBB39_97
.LBB39_81:
	s_or_b64 exec, exec, s[2:3]
	s_and_saveexec_b64 s[2:3], vcc
	s_cbranch_execnz .LBB39_98
.LBB39_82:
	s_or_b64 exec, exec, s[2:3]
	s_and_saveexec_b64 s[2:3], vcc
	s_cbranch_execnz .LBB39_99
.LBB39_83:
	s_or_b64 exec, exec, s[2:3]
	s_and_saveexec_b64 s[2:3], vcc
	s_cbranch_execnz .LBB39_100
.LBB39_84:
	s_or_b64 exec, exec, s[2:3]
	s_and_saveexec_b64 s[2:3], vcc
	s_cbranch_execnz .LBB39_101
.LBB39_85:
	s_or_b64 exec, exec, s[2:3]
	s_and_saveexec_b64 s[2:3], vcc
	s_cbranch_execnz .LBB39_102
.LBB39_86:
	s_or_b64 exec, exec, s[2:3]
	s_and_saveexec_b64 s[2:3], vcc
	s_cbranch_execnz .LBB39_103
.LBB39_87:
	s_or_b64 exec, exec, s[2:3]
	s_and_saveexec_b64 s[2:3], vcc
	s_cbranch_execnz .LBB39_104
.LBB39_88:
	s_or_b64 exec, exec, s[2:3]
	s_and_saveexec_b64 s[2:3], vcc
	s_cbranch_execnz .LBB39_105
.LBB39_89:
	s_or_b64 exec, exec, s[2:3]
	s_and_saveexec_b64 s[2:3], vcc
	s_cbranch_execnz .LBB39_106
.LBB39_90:
	s_or_b64 exec, exec, s[2:3]
	s_and_saveexec_b64 s[2:3], vcc
	s_cbranch_execz .LBB39_92
.LBB39_91:
	v_mov_b32_e32 v15, 0x190
	v_lshl_add_u32 v14, v14, 2, v15
	ds_read_b32 v14, v14 offset:352
	s_waitcnt lgkmcnt(0)
	v_add_f32_e32 v13, v13, v14
.LBB39_92:
	s_or_b64 exec, exec, s[2:3]
.LBB39_93:
	s_or_b64 exec, exec, s[0:1]
	v_cmp_eq_u32_e32 vcc, 0, v1
	s_barrier
	s_and_saveexec_b64 s[0:1], vcc
	s_cbranch_execz .LBB39_95
; %bb.94:
	s_mul_i32 s0, s10, s11
	s_mul_i32 s0, s0, s5
	s_mulk_i32 s0, 0x60
	s_ashr_i32 s1, s0, 31
	s_lshl_b64 s[0:1], s[0:1], 2
	s_add_u32 s2, s22, s0
	s_mul_i32 s0, s11, s20
	s_addc_u32 s3, s23, s1
	s_ashr_i32 s1, s0, 31
	s_lshl_b64 s[0:1], s[0:1], 2
	s_add_u32 s2, s2, s0
	s_mul_i32 s0, s4, 0x60
	s_addc_u32 s3, s3, s1
	s_ashr_i32 s1, s0, 31
	s_lshl_b64 s[0:1], s[0:1], 2
	s_add_u32 s0, s2, s0
	s_addc_u32 s1, s3, s1
	v_lshrrev_b32_e32 v0, 1, v0
	global_store_dword v0, v2, s[0:1]
	global_store_dword v0, v3, s[0:1] offset:32
	global_store_dword v0, v10, s[0:1] offset:64
	;; [unrolled: 1-line block ×11, first 2 shown]
.LBB39_95:
	s_endpgm
.LBB39_96:
	v_mov_b32_e32 v15, 0x190
	v_lshl_add_u32 v15, v14, 2, v15
	ds_read_b32 v15, v15
	s_waitcnt lgkmcnt(0)
	v_add_f32_e32 v2, v2, v15
	s_or_b64 exec, exec, s[2:3]
	s_and_saveexec_b64 s[2:3], vcc
	s_cbranch_execz .LBB39_81
.LBB39_97:
	v_mov_b32_e32 v15, 0x190
	v_lshl_add_u32 v15, v14, 2, v15
	ds_read_b32 v15, v15 offset:32
	s_waitcnt lgkmcnt(0)
	v_add_f32_e32 v3, v3, v15
	s_or_b64 exec, exec, s[2:3]
	s_and_saveexec_b64 s[2:3], vcc
	s_cbranch_execz .LBB39_82
.LBB39_98:
	v_mov_b32_e32 v15, 0x190
	v_lshl_add_u32 v15, v14, 2, v15
	ds_read_b32 v15, v15 offset:64
	s_waitcnt lgkmcnt(0)
	v_add_f32_e32 v10, v10, v15
	s_or_b64 exec, exec, s[2:3]
	s_and_saveexec_b64 s[2:3], vcc
	s_cbranch_execz .LBB39_83
.LBB39_99:
	v_mov_b32_e32 v15, 0x190
	v_lshl_add_u32 v15, v14, 2, v15
	ds_read_b32 v15, v15 offset:96
	s_waitcnt lgkmcnt(0)
	v_add_f32_e32 v11, v11, v15
	s_or_b64 exec, exec, s[2:3]
	s_and_saveexec_b64 s[2:3], vcc
	s_cbranch_execz .LBB39_84
.LBB39_100:
	v_mov_b32_e32 v15, 0x190
	v_lshl_add_u32 v15, v14, 2, v15
	ds_read_b32 v15, v15 offset:128
	s_waitcnt lgkmcnt(0)
	v_add_f32_e32 v8, v8, v15
	s_or_b64 exec, exec, s[2:3]
	s_and_saveexec_b64 s[2:3], vcc
	s_cbranch_execz .LBB39_85
.LBB39_101:
	v_mov_b32_e32 v15, 0x190
	v_lshl_add_u32 v15, v14, 2, v15
	ds_read_b32 v15, v15 offset:160
	s_waitcnt lgkmcnt(0)
	v_add_f32_e32 v9, v9, v15
	s_or_b64 exec, exec, s[2:3]
	s_and_saveexec_b64 s[2:3], vcc
	s_cbranch_execz .LBB39_86
.LBB39_102:
	v_mov_b32_e32 v15, 0x190
	v_lshl_add_u32 v15, v14, 2, v15
	ds_read_b32 v15, v15 offset:192
	s_waitcnt lgkmcnt(0)
	v_add_f32_e32 v6, v6, v15
	s_or_b64 exec, exec, s[2:3]
	s_and_saveexec_b64 s[2:3], vcc
	s_cbranch_execz .LBB39_87
.LBB39_103:
	v_mov_b32_e32 v15, 0x190
	v_lshl_add_u32 v15, v14, 2, v15
	ds_read_b32 v15, v15 offset:224
	s_waitcnt lgkmcnt(0)
	v_add_f32_e32 v7, v7, v15
	s_or_b64 exec, exec, s[2:3]
	s_and_saveexec_b64 s[2:3], vcc
	s_cbranch_execz .LBB39_88
.LBB39_104:
	v_mov_b32_e32 v15, 0x190
	v_lshl_add_u32 v15, v14, 2, v15
	ds_read_b32 v15, v15 offset:256
	s_waitcnt lgkmcnt(0)
	v_add_f32_e32 v4, v4, v15
	s_or_b64 exec, exec, s[2:3]
	s_and_saveexec_b64 s[2:3], vcc
	s_cbranch_execz .LBB39_89
.LBB39_105:
	v_mov_b32_e32 v15, 0x190
	v_lshl_add_u32 v15, v14, 2, v15
	ds_read_b32 v15, v15 offset:288
	s_waitcnt lgkmcnt(0)
	v_add_f32_e32 v5, v5, v15
	s_or_b64 exec, exec, s[2:3]
	s_and_saveexec_b64 s[2:3], vcc
	s_cbranch_execz .LBB39_90
.LBB39_106:
	v_mov_b32_e32 v15, 0x190
	v_lshl_add_u32 v15, v14, 2, v15
	ds_read_b32 v15, v15 offset:320
	s_waitcnt lgkmcnt(0)
	v_add_f32_e32 v12, v12, v15
	s_or_b64 exec, exec, s[2:3]
	s_and_saveexec_b64 s[2:3], vcc
	s_cbranch_execnz .LBB39_91
	s_branch .LBB39_92
	.section	.rodata,"a",@progbits
	.p2align	6, 0x0
	.amdhsa_kernel _ZN4vllm25paged_attention_v1_kernelIffLi96ELi32ELi128ELNS_18Fp8KVCacheDataTypeE0ELb1EEEvPT_PKS2_PKT0_S8_ifPKiSA_iPKfiiiSC_SC_iiiii
		.amdhsa_group_segment_fixed_size 400
		.amdhsa_private_segment_fixed_size 0
		.amdhsa_kernarg_size 384
		.amdhsa_user_sgpr_count 2
		.amdhsa_user_sgpr_dispatch_ptr 0
		.amdhsa_user_sgpr_queue_ptr 0
		.amdhsa_user_sgpr_kernarg_segment_ptr 1
		.amdhsa_user_sgpr_dispatch_id 0
		.amdhsa_user_sgpr_kernarg_preload_length 0
		.amdhsa_user_sgpr_kernarg_preload_offset 0
		.amdhsa_user_sgpr_private_segment_size 0
		.amdhsa_uses_dynamic_stack 0
		.amdhsa_enable_private_segment 0
		.amdhsa_system_sgpr_workgroup_id_x 1
		.amdhsa_system_sgpr_workgroup_id_y 1
		.amdhsa_system_sgpr_workgroup_id_z 1
		.amdhsa_system_sgpr_workgroup_info 0
		.amdhsa_system_vgpr_workitem_id 0
		.amdhsa_next_free_vgpr 105
		.amdhsa_next_free_sgpr 46
		.amdhsa_accum_offset 108
		.amdhsa_reserve_vcc 1
		.amdhsa_float_round_mode_32 0
		.amdhsa_float_round_mode_16_64 0
		.amdhsa_float_denorm_mode_32 3
		.amdhsa_float_denorm_mode_16_64 3
		.amdhsa_dx10_clamp 1
		.amdhsa_ieee_mode 1
		.amdhsa_fp16_overflow 0
		.amdhsa_tg_split 0
		.amdhsa_exception_fp_ieee_invalid_op 0
		.amdhsa_exception_fp_denorm_src 0
		.amdhsa_exception_fp_ieee_div_zero 0
		.amdhsa_exception_fp_ieee_overflow 0
		.amdhsa_exception_fp_ieee_underflow 0
		.amdhsa_exception_fp_ieee_inexact 0
		.amdhsa_exception_int_div_zero 0
	.end_amdhsa_kernel
	.section	.text._ZN4vllm25paged_attention_v1_kernelIffLi96ELi32ELi128ELNS_18Fp8KVCacheDataTypeE0ELb1EEEvPT_PKS2_PKT0_S8_ifPKiSA_iPKfiiiSC_SC_iiiii,"axG",@progbits,_ZN4vllm25paged_attention_v1_kernelIffLi96ELi32ELi128ELNS_18Fp8KVCacheDataTypeE0ELb1EEEvPT_PKS2_PKT0_S8_ifPKiSA_iPKfiiiSC_SC_iiiii,comdat
.Lfunc_end39:
	.size	_ZN4vllm25paged_attention_v1_kernelIffLi96ELi32ELi128ELNS_18Fp8KVCacheDataTypeE0ELb1EEEvPT_PKS2_PKT0_S8_ifPKiSA_iPKfiiiSC_SC_iiiii, .Lfunc_end39-_ZN4vllm25paged_attention_v1_kernelIffLi96ELi32ELi128ELNS_18Fp8KVCacheDataTypeE0ELb1EEEvPT_PKS2_PKT0_S8_ifPKiSA_iPKfiiiSC_SC_iiiii
                                        ; -- End function
	.section	.AMDGPU.csdata,"",@progbits
; Kernel info:
; codeLenInByte = 7192
; NumSgprs: 52
; NumVgprs: 105
; NumAgprs: 0
; TotalNumVgprs: 105
; ScratchSize: 0
; MemoryBound: 0
; FloatMode: 240
; IeeeMode: 1
; LDSByteSize: 400 bytes/workgroup (compile time only)
; SGPRBlocks: 6
; VGPRBlocks: 13
; NumSGPRsForWavesPerEU: 52
; NumVGPRsForWavesPerEU: 105
; AccumOffset: 108
; Occupancy: 4
; WaveLimiterHint : 1
; COMPUTE_PGM_RSRC2:SCRATCH_EN: 0
; COMPUTE_PGM_RSRC2:USER_SGPR: 2
; COMPUTE_PGM_RSRC2:TRAP_HANDLER: 0
; COMPUTE_PGM_RSRC2:TGID_X_EN: 1
; COMPUTE_PGM_RSRC2:TGID_Y_EN: 1
; COMPUTE_PGM_RSRC2:TGID_Z_EN: 1
; COMPUTE_PGM_RSRC2:TIDIG_COMP_CNT: 0
; COMPUTE_PGM_RSRC3_GFX90A:ACCUM_OFFSET: 26
; COMPUTE_PGM_RSRC3_GFX90A:TG_SPLIT: 0
	.section	.text._ZN4vllm25paged_attention_v1_kernelIffLi112ELi32ELi128ELNS_18Fp8KVCacheDataTypeE0ELb1EEEvPT_PKS2_PKT0_S8_ifPKiSA_iPKfiiiSC_SC_iiiii,"axG",@progbits,_ZN4vllm25paged_attention_v1_kernelIffLi112ELi32ELi128ELNS_18Fp8KVCacheDataTypeE0ELb1EEEvPT_PKS2_PKT0_S8_ifPKiSA_iPKfiiiSC_SC_iiiii,comdat
	.protected	_ZN4vllm25paged_attention_v1_kernelIffLi112ELi32ELi128ELNS_18Fp8KVCacheDataTypeE0ELb1EEEvPT_PKS2_PKT0_S8_ifPKiSA_iPKfiiiSC_SC_iiiii ; -- Begin function _ZN4vllm25paged_attention_v1_kernelIffLi112ELi32ELi128ELNS_18Fp8KVCacheDataTypeE0ELb1EEEvPT_PKS2_PKT0_S8_ifPKiSA_iPKfiiiSC_SC_iiiii
	.globl	_ZN4vllm25paged_attention_v1_kernelIffLi112ELi32ELi128ELNS_18Fp8KVCacheDataTypeE0ELb1EEEvPT_PKS2_PKT0_S8_ifPKiSA_iPKfiiiSC_SC_iiiii
	.p2align	8
	.type	_ZN4vllm25paged_attention_v1_kernelIffLi112ELi32ELi128ELNS_18Fp8KVCacheDataTypeE0ELb1EEEvPT_PKS2_PKT0_S8_ifPKiSA_iPKfiiiSC_SC_iiiii,@function
_ZN4vllm25paged_attention_v1_kernelIffLi112ELi32ELi128ELNS_18Fp8KVCacheDataTypeE0ELb1EEEvPT_PKS2_PKT0_S8_ifPKiSA_iPKfiiiSC_SC_iiiii: ; @_ZN4vllm25paged_attention_v1_kernelIffLi112ELi32ELi128ELNS_18Fp8KVCacheDataTypeE0ELb1EEEvPT_PKS2_PKT0_S8_ifPKiSA_iPKfiiiSC_SC_iiiii
; %bb.0:
	s_load_dword s5, s[0:1], 0x80
	s_load_dwordx2 s[6:7], s[0:1], 0x30
	s_load_dwordx2 s[30:31], s[0:1], 0x20
	s_mov_b32 s10, s3
	s_ashr_i32 s11, s3, 31
	s_lshl_b64 s[8:9], s[10:11], 2
	s_waitcnt lgkmcnt(0)
	s_add_u32 s6, s6, s8
	s_addc_u32 s7, s7, s9
	s_abs_i32 s3, s30
	v_cvt_f32_u32_e32 v1, s3
	s_sub_i32 s11, 0, s3
	s_abs_i32 s9, s5
	s_xor_b32 s8, s5, s30
	v_rcp_iflag_f32_e32 v1, v1
	s_ashr_i32 s8, s8, 31
	s_mov_b32 s42, 0
	v_mul_f32_e32 v1, 0x4f7ffffe, v1
	v_cvt_u32_f32_e32 v1, v1
	s_nop 0
	v_readfirstlane_b32 s12, v1
	s_mul_i32 s11, s11, s12
	s_mul_hi_u32 s11, s12, s11
	s_add_i32 s12, s12, s11
	s_mul_hi_u32 s11, s9, s12
	s_mul_i32 s12, s11, s3
	s_sub_i32 s9, s9, s12
	s_add_i32 s12, s11, 1
	s_sub_i32 s13, s9, s3
	s_cmp_ge_u32 s9, s3
	s_cselect_b32 s11, s12, s11
	s_cselect_b32 s9, s13, s9
	s_add_i32 s12, s11, 1
	s_cmp_ge_u32 s9, s3
	s_cselect_b32 s3, s12, s11
	s_xor_b32 s3, s3, s8
	s_sub_i32 s12, s3, s8
	s_abs_i32 s11, s12
	v_cvt_f32_u32_e32 v1, s11
	s_load_dwordx2 s[8:9], s[0:1], 0x40
	s_sub_i32 s3, 0, s11
	s_abs_i32 s22, s2
	v_rcp_iflag_f32_e32 v1, v1
	s_nop 0
	v_mul_f32_e32 v1, 0x4f7ffffe, v1
	v_cvt_u32_f32_e32 v1, v1
	s_nop 0
	v_readfirstlane_b32 s13, v1
	s_mul_i32 s3, s3, s13
	s_mul_hi_u32 s3, s13, s3
	s_add_i32 s13, s13, s3
	s_waitcnt lgkmcnt(0)
	s_cmp_eq_u64 s[8:9], 0
	s_mul_hi_u32 s23, s22, s13
	s_cbranch_scc1 .LBB40_2
; %bb.1:
	s_ashr_i32 s3, s2, 31
	s_lshl_b64 s[14:15], s[2:3], 2
	s_add_u32 s8, s8, s14
	s_addc_u32 s9, s9, s15
	s_load_dword s42, s[8:9], 0x0
.LBB40_2:
	s_load_dword s33, s[6:7], 0x0
	s_ashr_i32 s9, s12, 31
	s_load_dwordx4 s[12:15], s[0:1], 0x48
	s_ashr_i32 s3, s2, 31
	v_and_b32_e32 v4, 1, v0
	s_mul_i32 s20, s2, 0x70
	v_cmp_gt_u32_e32 vcc, 56, v0
	v_lshlrev_b32_e32 v2, 3, v0
	v_lshlrev_b32_e32 v34, 2, v0
	s_and_saveexec_b64 s[6:7], vcc
	s_cbranch_execz .LBB40_4
; %bb.3:
	s_load_dwordx2 s[16:17], s[0:1], 0x8
	s_waitcnt lgkmcnt(0)
	s_mul_i32 s18, s10, s12
	s_ashr_i32 s19, s18, 31
	s_lshl_b64 s[18:19], s[18:19], 2
	v_and_b32_e32 v1, 0xff8, v34
	s_add_u32 s8, s16, s18
	s_addc_u32 s12, s17, s19
	s_ashr_i32 s21, s20, 31
	s_lshl_b64 s[16:17], s[20:21], 2
	s_add_u32 s16, s8, s16
	s_addc_u32 s17, s12, s17
	global_load_dwordx2 v[6:7], v2, s[16:17]
	s_movk_i32 s8, 0xe0
	v_mad_u32_u24 v1, v4, s8, v1
	s_waitcnt vmcnt(0)
	ds_write_b64 v1, v[6:7]
.LBB40_4:
	s_or_b64 exec, exec, s[6:7]
	s_mul_i32 s6, s23, s11
	s_sub_i32 s6, s22, s6
	s_xor_b32 s3, s3, s9
	s_add_i32 s7, s23, 1
	s_sub_i32 s9, s6, s11
	s_load_dwordx4 s[16:19], s[0:1], 0x68
	s_load_dword s8, s[0:1], 0x78
	s_cmp_ge_u32 s6, s11
	s_cselect_b32 s7, s7, s23
	s_cselect_b32 s6, s9, s6
	s_add_i32 s9, s7, 1
	s_cmp_ge_u32 s6, s11
	s_cselect_b32 s6, s9, s7
	s_waitcnt lgkmcnt(0)
	s_abs_i32 s21, s19
	v_cvt_f32_u32_e32 v1, s21
	s_xor_b32 s6, s6, s3
	s_sub_i32 s3, s6, s3
	s_sub_i32 s6, 0, s21
	v_rcp_iflag_f32_e32 v1, v1
	s_add_i32 s11, s33, -1
	s_abs_i32 s9, s11
	v_mul_f32_e32 v1, 0x4f7ffffe, v1
	v_cvt_u32_f32_e32 v1, v1
	s_barrier
	v_readfirstlane_b32 s40, v1
	s_mul_i32 s6, s6, s40
	s_mul_hi_u32 s6, s40, s6
	s_add_i32 s40, s40, s6
	s_cmp_lt_i32 s8, 0
	s_mul_hi_u32 s12, s9, s40
	s_cbranch_scc0 .LBB40_6
; %bb.5:
	s_mul_i32 s6, s16, s30
	s_add_i32 s6, s3, s6
	s_mul_i32 s6, s6, s8
	s_sub_i32 s41, 1, s6
	s_mov_b64 s[6:7], 0
	s_branch .LBB40_7
.LBB40_6:
	s_mov_b64 s[6:7], -1
                                        ; implicit-def: $sgpr41
.LBB40_7:
	s_load_dwordx2 s[24:25], s[0:1], 0x28
	s_ashr_i32 s15, s11, 31
	s_andn2_b64 vcc, exec, s[6:7]
	s_ashr_i32 s19, s19, 31
	s_cbranch_vccnz .LBB40_9
; %bb.8:
	s_mul_i32 s6, s5, s16
	s_add_i32 s2, s6, s2
	s_mul_i32 s2, s2, s8
	s_add_i32 s41, s2, 1
.LBB40_9:
	s_load_dword s2, s[0:1], 0x38
	s_load_dwordx2 s[22:23], s[0:1], 0x0
	s_load_dwordx2 s[28:29], s[0:1], 0x18
	s_load_dword s11, s[0:1], 0x88
	s_xor_b32 s6, s15, s19
	s_waitcnt lgkmcnt(0)
	s_mul_i32 s26, s10, s2
	s_mul_i32 s2, s12, s21
	s_sub_i32 s2, s9, s2
	s_ashr_i32 s27, s26, 31
	s_add_i32 s7, s12, 1
	s_sub_i32 s8, s2, s21
	s_cmp_ge_u32 s2, s21
	s_cselect_b32 s7, s7, s12
	s_cselect_b32 s2, s8, s2
	s_add_i32 s8, s7, 1
	s_cmp_ge_u32 s2, s21
	s_cselect_b32 s2, s8, s7
	s_xor_b32 s2, s2, s6
	s_sub_i32 s12, s2, s6
	s_add_i32 s2, s33, 31
	s_ashr_i32 s6, s2, 31
	s_lshr_b32 s6, s6, 27
	s_add_i32 s2, s2, s6
	s_ashr_i32 s16, s2, 5
	v_lshrrev_b32_e32 v1, 6, v0
	v_cmp_gt_i32_e64 s[6:7], s16, v1
	v_mov_b32_e32 v39, 0xff7fffff
	s_mul_i32 s14, s3, s14
	v_lshrrev_b32_e32 v35, 4, v0
	v_lshlrev_b32_e32 v100, 5, v1
	v_mbcnt_lo_u32_b32 v36, -1, 0
	s_and_saveexec_b64 s[34:35], s[6:7]
	s_cbranch_execz .LBB40_19
; %bb.10:
	s_load_dwordx2 s[0:1], s[0:1], 0x10
	s_ashr_i32 s15, s14, 31
	s_sub_i32 s30, s12, s17
	s_lshl_b64 s[2:3], s[14:15], 2
	v_bfe_u32 v37, v0, 1, 5
	s_waitcnt lgkmcnt(0)
	s_add_u32 s0, s0, s2
	s_addc_u32 s1, s1, s3
	s_abs_i32 s15, s18
	v_cvt_f32_u32_e32 v3, s15
	v_lshlrev_b32_e32 v6, 4, v37
	v_mov_b32_e32 v7, 0
	v_lshl_add_u64 v[8:9], s[0:1], 0, v[6:7]
	v_rcp_iflag_f32_e32 v5, v3
	s_sub_i32 s0, 0, s15
	v_cmp_eq_u32_e32 vcc, 0, v4
	v_mul_u32_u24_e32 v38, 0xe0, v4
	v_mul_f32_e32 v5, 0x4f7ffffe, v5
	v_cvt_u32_f32_e32 v5, v5
	v_and_b32_e32 v6, 8, v2
	v_lshlrev_b32_e32 v10, 2, v37
	v_lshl_add_u64 v[2:3], v[8:9], 0, v[6:7]
	v_mul_lo_u32 v4, s0, v5
	s_lshl_b64 s[0:1], s[26:27], 2
	s_add_u32 s0, s24, s0
	v_mul_hi_u32 v4, v5, v4
	v_and_b32_e32 v6, 60, v35
	s_addc_u32 s1, s25, s1
	v_add_u32_e32 v40, v5, v4
	v_lshl_add_u64 v[4:5], s[0:1], 0, v[6:7]
	v_lshl_or_b32 v6, v1, 7, v10
	v_add_u32_e32 v42, 0x1d0, v6
	v_subrev_u32_e32 v6, s33, v37
	v_mbcnt_hi_u32_b32 v45, -1, v36
	v_add_u32_e32 v43, 1, v6
	v_and_b32_e32 v6, 64, v45
	s_mov_b32 s43, s13
	v_cmp_neq_f32_e64 s[2:3], s42, 0
	v_lshlrev_b32_e32 v41, 5, v1
	s_mov_b64 s[36:37], 0
	v_mov_b32_e32 v44, 0xff7fffff
	s_movk_i32 s44, 0x1000
	s_movk_i32 s45, 0x2000
	;; [unrolled: 1-line block ×3, first 2 shown]
	v_xor_b32_e32 v46, 1, v45
	v_add_u32_e32 v47, 64, v6
	v_mov_b32_e32 v39, 0xff7fffff
	v_mov_b32_e32 v48, v1
	s_branch .LBB40_13
.LBB40_11:                              ;   in Loop: Header=BB40_13 Depth=1
	s_or_b64 exec, exec, s[38:39]
.LBB40_12:                              ;   in Loop: Header=BB40_13 Depth=1
	s_or_b64 exec, exec, s[8:9]
	v_add_u32_e32 v48, 2, v48
	v_cmp_le_i32_e64 s[0:1], s16, v48
	v_lshl_add_u64 v[4:5], v[4:5], 0, 8
	v_add_u32_e32 v41, 64, v41
	s_or_b64 s[36:37], s[0:1], s[36:37]
	v_add_u32_e32 v42, 0x100, v42
	s_andn2_b64 exec, exec, s[36:37]
	s_cbranch_execz .LBB40_18
.LBB40_13:                              ; =>This Inner Loop Header: Depth=1
	v_mul_hi_u32 v6, v41, s40
	s_waitcnt lgkmcnt(0)
	v_mul_lo_u32 v7, v6, s21
	v_sub_u32_e32 v7, v41, v7
	v_add_u32_e32 v8, 1, v6
	v_cmp_le_u32_e64 s[0:1], s21, v7
	s_nop 1
	v_cndmask_b32_e64 v6, v6, v8, s[0:1]
	v_subrev_u32_e32 v8, s21, v7
	v_cndmask_b32_e64 v7, v7, v8, s[0:1]
	v_add_u32_e32 v8, 1, v6
	v_cmp_le_u32_e64 s[0:1], s21, v7
	s_nop 1
	v_cndmask_b32_e64 v6, v6, v8, s[0:1]
	v_xor_b32_e32 v6, s19, v6
	v_subrev_u32_e32 v6, s19, v6
	v_add_u32_e32 v7, s41, v6
	v_sub_u32_e32 v9, 0, v7
	v_ashrrev_i32_e32 v8, 31, v7
	v_max_i32_e32 v7, v7, v9
	v_mul_hi_u32 v9, v7, v40
	v_mul_lo_u32 v9, v9, s15
	v_sub_u32_e32 v7, v7, v9
	v_subrev_u32_e32 v9, s15, v7
	v_cmp_le_u32_e64 s[0:1], s15, v7
	v_cmp_ge_i32_e64 s[8:9], s30, v6
	s_nop 0
	v_cndmask_b32_e64 v7, v7, v9, s[0:1]
	v_subrev_u32_e32 v9, s15, v7
	v_cmp_le_u32_e64 s[0:1], s15, v7
	s_nop 1
	v_cndmask_b32_e64 v7, v7, v9, s[0:1]
	v_xor_b32_e32 v7, v7, v8
	v_sub_u32_e32 v7, v7, v8
	v_cmp_ne_u32_e64 s[0:1], 0, v7
	s_and_b64 s[0:1], s[0:1], s[8:9]
	s_and_b64 s[38:39], vcc, s[0:1]
	s_and_saveexec_b64 s[8:9], s[38:39]
	s_cbranch_execz .LBB40_15
; %bb.14:                               ;   in Loop: Header=BB40_13 Depth=1
	ds_write_b32 v42, v44
.LBB40_15:                              ;   in Loop: Header=BB40_13 Depth=1
	s_or_b64 exec, exec, s[8:9]
	s_xor_b64 s[0:1], s[0:1], -1
	s_and_saveexec_b64 s[8:9], s[0:1]
	s_cbranch_execz .LBB40_12
; %bb.16:                               ;   in Loop: Header=BB40_13 Depth=1
	global_load_dword v6, v[4:5], off
	s_waitcnt vmcnt(0)
	v_mad_i64_i32 v[6:7], s[0:1], v6, s43, 0
	v_lshl_add_u64 v[16:17], v[6:7], 2, v[2:3]
	global_load_dwordx2 v[10:11], v[16:17], off offset:512
	global_load_dwordx2 v[18:19], v[16:17], off
	global_load_dwordx2 v[20:21], v[16:17], off offset:1024
	global_load_dwordx2 v[22:23], v[16:17], off offset:1536
	;; [unrolled: 1-line block ×6, first 2 shown]
	v_add_co_u32_e64 v60, s[0:1], s45, v16
	s_nop 1
	v_addc_co_u32_e64 v61, s[0:1], 0, v17, s[0:1]
	global_load_dwordx2 v[62:63], v[60:61], off offset:-4096
	v_add_co_u32_e64 v64, s[0:1], s44, v16
	s_nop 1
	v_addc_co_u32_e64 v65, s[0:1], 0, v17, s[0:1]
	global_load_dwordx2 v[66:67], v[64:65], off offset:512
	global_load_dwordx2 v[68:69], v[64:65], off offset:1024
	;; [unrolled: 1-line block ×4, first 2 shown]
	ds_read_b128 v[6:9], v38
	global_load_dwordx2 v[32:33], v[64:65], off offset:2560
	ds_read_b128 v[12:15], v38 offset:16
	ds_read_b128 v[24:27], v38 offset:32
	ds_read_b128 v[50:53], v38 offset:48
	global_load_dwordx2 v[72:73], v[64:65], off offset:3072
	global_load_dwordx2 v[74:75], v[64:65], off offset:3584
	s_waitcnt vmcnt(15) lgkmcnt(3)
	v_mul_f32_e32 v49, v8, v10
	v_mul_f32_e32 v76, v9, v11
	s_waitcnt vmcnt(14)
	v_fmac_f32_e32 v49, v6, v18
	v_fmac_f32_e32 v76, v7, v19
	s_waitcnt vmcnt(13) lgkmcnt(2)
	v_fmac_f32_e32 v49, v12, v20
	v_fmac_f32_e32 v76, v13, v21
	global_load_dwordx2 v[12:13], v[60:61], off
	global_load_dwordx2 v[10:11], v[60:61], off offset:512
	global_load_dwordx2 v[8:9], v[60:61], off offset:1024
	;; [unrolled: 1-line block ×3, first 2 shown]
	s_waitcnt vmcnt(16)
	v_fmac_f32_e32 v49, v14, v22
	v_fmac_f32_e32 v76, v15, v23
	global_load_dwordx2 v[14:15], v[60:61], off offset:2048
	v_add_co_u32_e64 v22, s[0:1], s46, v16
	s_waitcnt vmcnt(16) lgkmcnt(1)
	v_fmac_f32_e32 v49, v24, v28
	v_addc_co_u32_e64 v23, s[0:1], 0, v17, s[0:1]
	global_load_dwordx2 v[20:21], v[60:61], off offset:2560
	global_load_dwordx2 v[18:19], v[60:61], off offset:3072
	;; [unrolled: 1-line block ×3, first 2 shown]
	v_fmac_f32_e32 v76, v25, v29
	global_load_dwordx2 v[24:25], v[22:23], off
	s_waitcnt vmcnt(19)
	v_fmac_f32_e32 v49, v26, v54
	v_fmac_f32_e32 v76, v27, v55
	global_load_dwordx2 v[28:29], v[22:23], off offset:512
	global_load_dwordx2 v[26:27], v[22:23], off offset:1024
	s_nop 0
	global_load_dwordx2 v[22:23], v[22:23], off offset:1536
	s_waitcnt vmcnt(21) lgkmcnt(0)
	v_fmac_f32_e32 v49, v50, v56
	v_fmac_f32_e32 v76, v51, v57
	ds_read_b128 v[54:57], v38 offset:64
	s_waitcnt vmcnt(20)
	v_fmac_f32_e32 v49, v52, v58
	v_fmac_f32_e32 v76, v53, v59
	ds_read_b128 v[50:53], v38 offset:80
	v_cmp_lt_i32_e64 s[0:1], v46, v47
	s_waitcnt vmcnt(19) lgkmcnt(1)
	v_fmac_f32_e32 v49, v54, v62
	v_fmac_f32_e32 v76, v55, v63
	s_waitcnt vmcnt(18)
	v_fmac_f32_e32 v49, v56, v66
	v_fmac_f32_e32 v76, v57, v67
	ds_read_b128 v[54:57], v38 offset:96
	ds_read_b128 v[58:61], v38 offset:112
	s_waitcnt vmcnt(17) lgkmcnt(2)
	v_fmac_f32_e32 v49, v50, v68
	v_fmac_f32_e32 v76, v51, v69
	s_waitcnt vmcnt(16)
	v_fmac_f32_e32 v49, v52, v70
	v_fmac_f32_e32 v76, v53, v71
	ds_read_b128 v[50:53], v38 offset:128
	ds_read_b128 v[62:65], v38 offset:144
	s_waitcnt vmcnt(15) lgkmcnt(3)
	v_fmac_f32_e32 v49, v54, v30
	v_fmac_f32_e32 v76, v55, v31
	s_waitcnt vmcnt(14)
	v_fmac_f32_e32 v49, v56, v32
	v_fmac_f32_e32 v76, v57, v33
	s_waitcnt vmcnt(13) lgkmcnt(2)
	v_fmac_f32_e32 v49, v58, v72
	v_fmac_f32_e32 v76, v59, v73
	s_waitcnt vmcnt(12)
	v_fmac_f32_e32 v49, v60, v74
	v_fmac_f32_e32 v76, v61, v75
	ds_read_b128 v[30:33], v38 offset:160
	ds_read_b128 v[54:57], v38 offset:176
	;; [unrolled: 1-line block ×4, first 2 shown]
	v_cndmask_b32_e64 v70, v45, v46, s[0:1]
	v_lshlrev_b32_e32 v70, 2, v70
	s_waitcnt vmcnt(11) lgkmcnt(5)
	v_fmac_f32_e32 v49, v50, v12
	v_fmac_f32_e32 v76, v51, v13
	s_waitcnt vmcnt(10)
	v_fmac_f32_e32 v49, v52, v10
	v_fmac_f32_e32 v76, v53, v11
	s_waitcnt vmcnt(9) lgkmcnt(4)
	v_fmac_f32_e32 v49, v62, v8
	v_fmac_f32_e32 v76, v63, v9
	s_waitcnt vmcnt(8)
	v_fmac_f32_e32 v49, v64, v6
	v_fmac_f32_e32 v76, v65, v7
	;; [unrolled: 6-line block ×6, first 2 shown]
	v_add_f32_e32 v6, v49, v76
	ds_bpermute_b32 v7, v70, v6
	s_and_saveexec_b64 s[38:39], vcc
	s_cbranch_execz .LBB40_11
; %bb.17:                               ;   in Loop: Header=BB40_13 Depth=1
	v_add_u32_e32 v8, v43, v41
	v_cvt_f32_i32_e32 v8, v8
	s_waitcnt lgkmcnt(0)
	v_add_f32_e32 v6, v6, v7
	v_add_u32_e32 v9, v37, v41
	v_cmp_gt_i32_e64 s[0:1], s33, v9
	v_mul_f32_e32 v7, s42, v8
	v_cndmask_b32_e64 v7, 0, v7, s[2:3]
	v_fmac_f32_e32 v7, s31, v6
	v_cndmask_b32_e64 v6, 0, v7, s[0:1]
	ds_write_b32 v42, v6
	v_max_f32_e32 v6, v39, v39
	v_max_f32_e32 v6, v6, v7
	v_cndmask_b32_e64 v39, v39, v6, s[0:1]
	s_branch .LBB40_11
.LBB40_18:
	s_or_b64 exec, exec, s[36:37]
.LBB40_19:
	s_or_b64 exec, exec, s[34:35]
	s_waitcnt lgkmcnt(0)
	v_mbcnt_hi_u32_b32 v7, -1, v36
	v_and_b32_e32 v2, 64, v7
	v_add_u32_e32 v8, 64, v2
	v_xor_b32_e32 v2, 32, v7
	v_cmp_lt_i32_e32 vcc, v2, v8
	v_xor_b32_e32 v5, 16, v7
	v_max_f32_e32 v4, v39, v39
	v_cndmask_b32_e32 v2, v7, v2, vcc
	v_lshlrev_b32_e32 v2, 2, v2
	ds_bpermute_b32 v3, v2, v39
	v_cmp_lt_i32_e32 vcc, v5, v8
	v_xor_b32_e32 v6, 8, v7
	v_xor_b32_e32 v9, 4, v7
	v_and_b32_e32 v101, 63, v0
	s_waitcnt lgkmcnt(0)
	v_max_f32_e32 v3, v3, v3
	v_max_f32_e32 v4, v4, v3
	v_cndmask_b32_e32 v3, v7, v5, vcc
	v_lshlrev_b32_e32 v3, 2, v3
	ds_bpermute_b32 v5, v3, v4
	v_cmp_lt_i32_e32 vcc, v6, v8
	s_waitcnt lgkmcnt(0)
	v_max_f32_e32 v5, v5, v5
	v_max_f32_e32 v5, v4, v5
	v_cndmask_b32_e32 v4, v7, v6, vcc
	v_lshlrev_b32_e32 v4, 2, v4
	ds_bpermute_b32 v6, v4, v5
	v_cmp_lt_i32_e32 vcc, v9, v8
	s_waitcnt lgkmcnt(0)
	v_max_f32_e32 v6, v6, v6
	v_max_f32_e32 v5, v5, v6
	v_cndmask_b32_e32 v6, v7, v9, vcc
	v_lshlrev_b32_e32 v103, 2, v6
	ds_bpermute_b32 v6, v103, v5
	v_xor_b32_e32 v9, 2, v7
	v_cmp_lt_i32_e32 vcc, v9, v8
	s_waitcnt lgkmcnt(0)
	v_max_f32_e32 v6, v6, v6
	v_max_f32_e32 v6, v5, v6
	v_cndmask_b32_e32 v5, v7, v9, vcc
	v_lshlrev_b32_e32 v102, 2, v5
	ds_bpermute_b32 v9, v102, v6
	v_cmp_eq_u32_e32 vcc, 0, v101
	v_lshlrev_b32_e32 v5, 2, v1
	s_and_saveexec_b64 s[0:1], vcc
	s_cbranch_execz .LBB40_21
; %bb.20:
	s_waitcnt lgkmcnt(0)
	v_max_f32_e32 v9, v9, v9
	v_max_f32_e32 v6, v6, v6
	;; [unrolled: 1-line block ×3, first 2 shown]
	ds_write_b32 v5, v6 offset:448
.LBB40_21:
	s_or_b64 exec, exec, s[0:1]
	v_cmp_gt_u32_e64 s[0:1], 2, v101
	s_waitcnt lgkmcnt(0)
	v_mov_b32_e32 v9, 0xff7fffff
	v_lshlrev_b32_e32 v6, 2, v101
	s_barrier
	s_and_saveexec_b64 s[2:3], s[0:1]
	s_cbranch_execz .LBB40_23
; %bb.22:
	ds_read_b32 v9, v6 offset:448
.LBB40_23:
	s_or_b64 exec, exec, s[2:3]
	v_xor_b32_e32 v10, 1, v7
	v_cmp_lt_i32_e64 s[2:3], v10, v8
	s_nop 1
	v_cndmask_b32_e64 v8, v7, v10, s[2:3]
	v_lshlrev_b32_e32 v104, 2, v8
	s_waitcnt lgkmcnt(0)
	ds_bpermute_b32 v8, v104, v9
	v_max_f32_e32 v9, v9, v9
	v_lshlrev_b32_e32 v7, 2, v7
	v_and_b32_e32 v7, 0x100, v7
	s_lshl_b32 s2, s16, 5
	s_waitcnt lgkmcnt(0)
	v_max_f32_e32 v8, v8, v8
	v_max_f32_e32 v8, v9, v8
	ds_bpermute_b32 v9, v7, v8
	s_min_i32 s15, s2, s33
	v_cmp_gt_i32_e64 s[2:3], s15, v0
	v_mov_b32_e32 v8, 0
	s_and_saveexec_b64 s[30:31], s[2:3]
	s_cbranch_execz .LBB40_27
; %bb.24:
	v_mov_b32_e32 v8, 0x1d0
	v_lshl_add_u32 v10, v0, 2, v8
	s_mov_b64 s[34:35], 0
	v_mov_b32_e32 v8, 0
	v_mov_b32_e32 v11, v0
.LBB40_25:                              ; =>This Inner Loop Header: Depth=1
	ds_read_b32 v12, v10
	v_add_u32_e32 v11, 0x80, v11
	v_cmp_le_i32_e64 s[8:9], s15, v11
	s_or_b64 s[34:35], s[8:9], s[34:35]
	s_waitcnt lgkmcnt(0)
	v_sub_f32_e32 v12, v12, v9
	v_mul_f32_e32 v12, 0x3fb8aa3b, v12
	v_exp_f32_e32 v12, v12
	ds_write_b32 v10, v12
	v_add_f32_e32 v8, v8, v12
	v_add_u32_e32 v10, 0x200, v10
	s_andn2_b64 exec, exec, s[34:35]
	s_cbranch_execnz .LBB40_25
; %bb.26:
	s_or_b64 exec, exec, s[34:35]
.LBB40_27:
	s_or_b64 exec, exec, s[30:31]
	ds_bpermute_b32 v2, v2, v8
	s_waitcnt lgkmcnt(0)
	v_add_f32_e32 v2, v8, v2
	ds_bpermute_b32 v3, v3, v2
	s_waitcnt lgkmcnt(0)
	v_add_f32_e32 v2, v2, v3
	;; [unrolled: 3-line block ×6, first 2 shown]
	s_and_saveexec_b64 s[8:9], vcc
	s_cbranch_execz .LBB40_29
; %bb.28:
	ds_write_b32 v5, v2 offset:456
.LBB40_29:
	s_or_b64 exec, exec, s[8:9]
	s_waitcnt lgkmcnt(0)
	s_barrier
	s_and_saveexec_b64 s[8:9], s[0:1]
	s_cbranch_execz .LBB40_31
; %bb.30:
	ds_read_b32 v2, v6 offset:456
.LBB40_31:
	s_or_b64 exec, exec, s[8:9]
	s_waitcnt lgkmcnt(0)
	ds_bpermute_b32 v3, v104, v2
	s_waitcnt lgkmcnt(0)
	v_add_f32_e32 v2, v2, v3
	ds_bpermute_b32 v2, v7, v2
	s_and_saveexec_b64 s[0:1], s[2:3]
	s_cbranch_execz .LBB40_44
; %bb.32:
	s_waitcnt lgkmcnt(0)
	v_add_f32_e32 v2, 0x358637bd, v2
	v_div_scale_f32 v3, s[2:3], v2, v2, 1.0
	v_rcp_f32_e32 v4, v3
	v_div_scale_f32 v5, vcc, 1.0, v2, 1.0
	s_movk_i32 s2, 0x7f
	v_fma_f32 v6, -v3, v4, 1.0
	v_fmac_f32_e32 v4, v6, v4
	v_mul_f32_e32 v6, v5, v4
	v_fma_f32 v7, -v3, v6, v5
	v_fmac_f32_e32 v6, v7, v4
	v_fma_f32 v3, -v3, v6, v5
	v_div_fmas_f32 v3, v3, v4, v6
	v_xad_u32 v4, v0, -1, s15
	v_div_fixup_f32 v2, v3, v2, 1.0
	v_cmp_lt_u32_e32 vcc, s2, v4
	s_mov_b64 s[8:9], -1
	v_mov_b32_e32 v3, v0
	s_and_saveexec_b64 s[2:3], vcc
	s_cbranch_execz .LBB40_41
; %bb.33:
	v_lshrrev_b32_e32 v4, 7, v4
	v_add_u32_e32 v6, -1, v4
	v_lshrrev_b32_e32 v5, 1, v6
	v_mov_b32_e32 v3, v2
	v_add_u32_e32 v5, 1, v5
	v_cmp_lt_u32_e32 vcc, 13, v6
	v_mov_b32_e32 v8, 0
	s_and_saveexec_b64 s[8:9], vcc
	s_cbranch_execz .LBB40_37
; %bb.34:
	v_mov_b32_e32 v7, 0x1d0
	v_and_b32_e32 v6, -8, v5
	v_lshl_add_u32 v7, v0, 2, v7
	s_mov_b32 s34, 0
	s_mov_b64 s[30:31], 0
.LBB40_35:                              ; =>This Inner Loop Header: Depth=1
	ds_read2st64_b32 v[8:9], v7 offset1:2
	ds_read2st64_b32 v[10:11], v7 offset0:4 offset1:6
	ds_read2st64_b32 v[12:13], v7 offset0:8 offset1:10
	;; [unrolled: 1-line block ×3, first 2 shown]
	v_add_u32_e32 v6, -8, v6
	s_waitcnt lgkmcnt(3)
	v_pk_mul_f32 v[8:9], v[2:3], v[8:9]
	s_waitcnt lgkmcnt(2)
	v_pk_mul_f32 v[10:11], v[2:3], v[10:11]
	ds_write2st64_b32 v7, v8, v9 offset1:2
	ds_write2st64_b32 v7, v10, v11 offset0:4 offset1:6
	ds_read2st64_b32 v[10:11], v7 offset0:16 offset1:18
	s_waitcnt lgkmcnt(4)
	v_pk_mul_f32 v[8:9], v[2:3], v[12:13]
	ds_write2st64_b32 v7, v8, v9 offset0:8 offset1:10
	s_waitcnt lgkmcnt(4)
	v_pk_mul_f32 v[8:9], v[2:3], v[14:15]
	ds_write2st64_b32 v7, v8, v9 offset0:12 offset1:14
	ds_read2st64_b32 v[8:9], v7 offset0:20 offset1:22
	s_waitcnt lgkmcnt(3)
	v_pk_mul_f32 v[10:11], v[2:3], v[10:11]
	ds_read2st64_b32 v[12:13], v7 offset0:24 offset1:26
	ds_write2st64_b32 v7, v10, v11 offset0:16 offset1:18
	ds_read2st64_b32 v[10:11], v7 offset0:28 offset1:30
	s_waitcnt lgkmcnt(3)
	v_pk_mul_f32 v[8:9], v[2:3], v[8:9]
	ds_write2st64_b32 v7, v8, v9 offset0:20 offset1:22
	s_waitcnt lgkmcnt(3)
	v_pk_mul_f32 v[8:9], v[2:3], v[12:13]
	ds_write2st64_b32 v7, v8, v9 offset0:24 offset1:26
	s_waitcnt lgkmcnt(2)
	v_pk_mul_f32 v[8:9], v[2:3], v[10:11]
	s_add_i32 s34, s34, 16
	v_cmp_eq_u32_e32 vcc, 0, v6
	ds_write2st64_b32 v7, v8, v9 offset0:28 offset1:30
	v_add_u32_e32 v7, 0x2000, v7
	s_or_b64 s[30:31], vcc, s[30:31]
	v_mov_b32_e32 v8, s34
	s_andn2_b64 exec, exec, s[30:31]
	s_cbranch_execnz .LBB40_35
; %bb.36:
	s_or_b64 exec, exec, s[30:31]
.LBB40_37:
	s_or_b64 exec, exec, s[8:9]
	v_and_b32_e32 v5, 7, v5
	v_cmp_ne_u32_e32 vcc, 0, v5
	s_and_saveexec_b64 s[8:9], vcc
	s_cbranch_execz .LBB40_40
; %bb.38:
	v_lshlrev_b32_e32 v6, 9, v8
	s_movk_i32 s30, 0x1d0
	v_add3_u32 v6, v6, v34, s30
	s_mov_b64 s[30:31], 0
.LBB40_39:                              ; =>This Inner Loop Header: Depth=1
	ds_read2st64_b32 v[8:9], v6 offset1:2
	v_add_u32_e32 v5, -1, v5
	v_cmp_eq_u32_e32 vcc, 0, v5
	s_or_b64 s[30:31], vcc, s[30:31]
	s_waitcnt lgkmcnt(0)
	v_pk_mul_f32 v[8:9], v[2:3], v[8:9]
	ds_write2st64_b32 v6, v8, v9 offset1:2
	v_add_u32_e32 v6, 0x400, v6
	s_andn2_b64 exec, exec, s[30:31]
	s_cbranch_execnz .LBB40_39
.LBB40_40:
	s_or_b64 exec, exec, s[8:9]
	v_add_u32_e32 v4, 1, v4
	v_and_b32_e32 v5, 0x3fffffe, v4
	v_cmp_ne_u32_e32 vcc, v4, v5
	v_lshl_add_u32 v3, v5, 7, v0
	s_orn2_b64 s[8:9], vcc, exec
.LBB40_41:
	s_or_b64 exec, exec, s[2:3]
	s_and_b64 exec, exec, s[8:9]
	s_cbranch_execz .LBB40_44
; %bb.42:
	v_mov_b32_e32 v4, 0x1d0
	v_lshl_add_u32 v4, v3, 2, v4
	s_mov_b64 s[2:3], 0
.LBB40_43:                              ; =>This Inner Loop Header: Depth=1
	ds_read_b32 v5, v4
	v_add_u32_e32 v3, 0x80, v3
	v_cmp_le_i32_e32 vcc, s15, v3
	s_or_b64 s[2:3], vcc, s[2:3]
	s_waitcnt lgkmcnt(0)
	v_mul_f32_e32 v5, v2, v5
	ds_write_b32 v4, v5
	v_add_u32_e32 v4, 0x200, v4
	s_andn2_b64 exec, exec, s[2:3]
	s_cbranch_execnz .LBB40_43
.LBB40_44:
	s_or_b64 exec, exec, s[0:1]
	v_mov_b32_e32 v76, 0
	v_and_b32_e32 v105, 7, v0
	v_mov_b32_e32 v77, 0
	v_mov_b32_e32 v72, 0
	;; [unrolled: 1-line block ×13, first 2 shown]
	s_waitcnt lgkmcnt(0)
	s_barrier
	s_and_saveexec_b64 s[2:3], s[6:7]
	s_cbranch_execz .LBB40_78
; %bb.45:
	s_ashr_i32 s15, s14, 31
	s_sub_i32 s17, s12, s17
	s_lshl_b64 s[0:1], s[14:15], 2
	s_add_u32 s6, s28, s0
	s_addc_u32 s7, s29, s1
	s_abs_i32 s18, s18
	v_cvt_f32_u32_e32 v3, s18
	s_sub_i32 s0, 0, s18
	s_add_i32 s28, s16, -1
	v_and_b32_e32 v2, 0xfc, v34
	v_rcp_iflag_f32_e32 v3, v3
	v_mov_b32_e32 v75, 0
	v_or_b32_e32 v4, 0x400, v2
	v_or_b32_e32 v6, 0x500, v2
	v_mul_f32_e32 v3, 0x4f7ffffe, v3
	v_cvt_u32_f32_e32 v3, v3
	v_or_b32_e32 v8, 0x600, v2
	v_or_b32_e32 v10, 0x700, v2
	;; [unrolled: 1-line block ×3, first 2 shown]
	v_mul_lo_u32 v5, s0, v3
	v_mul_hi_u32 v5, v3, v5
	s_lshl_b64 s[0:1], s[26:27], 2
	v_add_u32_e32 v107, v3, v5
	s_add_u32 s0, s24, s0
	v_lshlrev_b32_e32 v3, 4, v105
	v_or_b32_e32 v14, 0x900, v2
	v_or_b32_e32 v16, 0xa00, v2
	;; [unrolled: 1-line block ×5, first 2 shown]
	v_and_b32_e32 v74, 60, v35
	s_addc_u32 s1, s25, s1
	v_lshl_or_b32 v3, v1, 7, v3
	v_and_b32_e32 v106, 28, v34
	s_mov_b32 s30, s13
	v_lshl_add_u64 v[78:79], s[0:1], 0, v[74:75]
	v_add_u32_e32 v108, 0x1d0, v3
	s_mov_b64 s[8:9], 0
	v_lshlrev_b32_e32 v80, 2, v2
	v_lshlrev_b32_e32 v74, 2, v4
	v_lshlrev_b32_e32 v82, 2, v6
	v_lshlrev_b32_e32 v84, 2, v8
	v_lshlrev_b32_e32 v86, 2, v10
	v_lshlrev_b32_e32 v88, 2, v12
	v_lshlrev_b32_e32 v90, 2, v14
	v_lshlrev_b32_e32 v92, 2, v16
	v_lshlrev_b32_e32 v94, 2, v18
	v_lshlrev_b32_e32 v96, 2, v20
	v_lshlrev_b32_e32 v98, 2, v22
	v_mov_b32_e32 v63, v75
	v_mov_b32_e32 v62, v75
	;; [unrolled: 1-line block ×14, first 2 shown]
	s_branch .LBB40_48
.LBB40_46:                              ;   in Loop: Header=BB40_48 Depth=1
	s_or_b64 exec, exec, s[0:1]
	s_waitcnt vmcnt(1) lgkmcnt(0)
	v_mul_f32_e32 v59, v3, v59
	v_mul_f32_e32 v55, v3, v55
	;; [unrolled: 1-line block ×13, first 2 shown]
	s_waitcnt vmcnt(0)
	v_mul_f32_e32 v3, v3, v51
	v_fmac_f32_e32 v59, v2, v58
	v_fmac_f32_e32 v55, v2, v54
	;; [unrolled: 1-line block ×42, first 2 shown]
	v_add_f32_e32 v62, v62, v59
	v_add_f32_e32 v65, v65, v55
	;; [unrolled: 1-line block ×14, first 2 shown]
.LBB40_47:                              ;   in Loop: Header=BB40_48 Depth=1
	s_or_b64 exec, exec, s[12:13]
	v_add_u32_e32 v1, 2, v1
	v_cmp_le_i32_e32 vcc, s16, v1
	v_lshl_add_u64 v[78:79], v[78:79], 0, 8
	v_add_u32_e32 v100, 64, v100
	s_or_b64 s[8:9], vcc, s[8:9]
	v_add_u32_e32 v108, 0x100, v108
	s_andn2_b64 exec, exec, s[8:9]
	s_cbranch_execz .LBB40_77
.LBB40_48:                              ; =>This Inner Loop Header: Depth=1
	v_mul_hi_u32 v2, v100, s40
	v_mul_lo_u32 v3, v2, s21
	v_sub_u32_e32 v3, v100, v3
	v_add_u32_e32 v4, 1, v2
	v_cmp_le_u32_e32 vcc, s21, v3
	s_nop 1
	v_cndmask_b32_e32 v2, v2, v4, vcc
	v_subrev_u32_e32 v4, s21, v3
	v_cndmask_b32_e32 v3, v3, v4, vcc
	v_add_u32_e32 v4, 1, v2
	v_cmp_le_u32_e32 vcc, s21, v3
	s_nop 1
	v_cndmask_b32_e32 v2, v2, v4, vcc
	v_xor_b32_e32 v2, s19, v2
	v_subrev_u32_e32 v2, s19, v2
	v_add_u32_e32 v3, s41, v2
	v_sub_u32_e32 v5, 0, v3
	v_ashrrev_i32_e32 v4, 31, v3
	v_max_i32_e32 v3, v3, v5
	v_mul_hi_u32 v5, v3, v107
	v_mul_lo_u32 v5, v5, s18
	v_sub_u32_e32 v3, v3, v5
	v_subrev_u32_e32 v5, s18, v3
	v_cmp_le_u32_e32 vcc, s18, v3
	v_cmp_lt_i32_e64 s[0:1], s17, v2
	s_nop 0
	v_cndmask_b32_e32 v3, v3, v5, vcc
	v_subrev_u32_e32 v5, s18, v3
	v_cmp_le_u32_e32 vcc, s18, v3
	s_nop 1
	v_cndmask_b32_e32 v3, v3, v5, vcc
	v_xor_b32_e32 v3, v3, v4
	v_sub_u32_e32 v3, v3, v4
	v_cmp_eq_u32_e32 vcc, 0, v3
	s_or_b64 s[0:1], vcc, s[0:1]
	s_and_saveexec_b64 s[12:13], s[0:1]
	s_cbranch_execz .LBB40_47
; %bb.49:                               ;   in Loop: Header=BB40_48 Depth=1
	global_load_dword v2, v[78:79], off
	v_mov_b32_e32 v81, v75
	v_cmp_eq_u32_e32 vcc, s28, v1
	s_waitcnt vmcnt(0)
	v_mad_i64_i32 v[2:3], s[0:1], v2, s30, 0
	v_lshl_add_u64 v[50:51], v[2:3], 2, s[6:7]
	v_lshl_add_u64 v[18:19], v[50:51], 0, v[80:81]
	global_load_dwordx4 v[6:9], v[18:19], off
	ds_read_b128 v[2:5], v108
	v_add_u32_e32 v81, v106, v100
	v_add_u32_e32 v111, 1, v81
	;; [unrolled: 1-line block ×4, first 2 shown]
	s_and_saveexec_b64 s[14:15], vcc
	s_cbranch_execnz .LBB40_74
; %bb.50:                               ;   in Loop: Header=BB40_48 Depth=1
	s_or_b64 exec, exec, s[14:15]
	global_load_dwordx4 v[10:13], v[18:19], off offset:1024
	s_and_saveexec_b64 s[14:15], vcc
	s_cbranch_execnz .LBB40_75
.LBB40_51:                              ;   in Loop: Header=BB40_48 Depth=1
	s_or_b64 exec, exec, s[14:15]
	global_load_dwordx4 v[14:17], v[18:19], off offset:2048
	s_and_saveexec_b64 s[14:15], vcc
	s_cbranch_execnz .LBB40_76
.LBB40_52:                              ;   in Loop: Header=BB40_48 Depth=1
	s_or_b64 exec, exec, s[14:15]
	global_load_dwordx4 v[18:21], v[18:19], off offset:3072
	s_and_saveexec_b64 s[14:15], vcc
	s_cbranch_execz .LBB40_54
.LBB40_53:                              ;   in Loop: Header=BB40_48 Depth=1
	v_cmp_gt_i32_e64 s[0:1], s33, v81
	s_waitcnt vmcnt(0)
	s_nop 0
	v_cndmask_b32_e64 v18, 0, v18, s[0:1]
	v_cmp_gt_i32_e64 s[0:1], s33, v111
	s_nop 1
	v_cndmask_b32_e64 v19, 0, v19, s[0:1]
	v_cmp_gt_i32_e64 s[0:1], s33, v110
	;; [unrolled: 3-line block ×3, first 2 shown]
	s_nop 1
	v_cndmask_b32_e64 v21, 0, v21, s[0:1]
.LBB40_54:                              ;   in Loop: Header=BB40_48 Depth=1
	s_or_b64 exec, exec, s[14:15]
	v_lshl_add_u64 v[22:23], v[50:51], 0, v[74:75]
	global_load_dwordx4 v[22:25], v[22:23], off
	s_and_saveexec_b64 s[14:15], vcc
	s_cbranch_execz .LBB40_56
; %bb.55:                               ;   in Loop: Header=BB40_48 Depth=1
	v_cmp_gt_i32_e64 s[0:1], s33, v81
	s_waitcnt vmcnt(0)
	s_nop 0
	v_cndmask_b32_e64 v22, 0, v22, s[0:1]
	v_cmp_gt_i32_e64 s[0:1], s33, v111
	s_nop 1
	v_cndmask_b32_e64 v23, 0, v23, s[0:1]
	v_cmp_gt_i32_e64 s[0:1], s33, v110
	s_nop 1
	v_cndmask_b32_e64 v24, 0, v24, s[0:1]
	v_cmp_gt_i32_e64 s[0:1], s33, v109
	s_nop 1
	v_cndmask_b32_e64 v25, 0, v25, s[0:1]
.LBB40_56:                              ;   in Loop: Header=BB40_48 Depth=1
	s_or_b64 exec, exec, s[14:15]
	v_mov_b32_e32 v83, v75
	v_lshl_add_u64 v[26:27], v[50:51], 0, v[82:83]
	global_load_dwordx4 v[26:29], v[26:27], off
	s_and_saveexec_b64 s[14:15], vcc
	s_cbranch_execz .LBB40_58
; %bb.57:                               ;   in Loop: Header=BB40_48 Depth=1
	v_cmp_gt_i32_e64 s[0:1], s33, v81
	s_waitcnt vmcnt(0)
	s_nop 0
	v_cndmask_b32_e64 v26, 0, v26, s[0:1]
	v_cmp_gt_i32_e64 s[0:1], s33, v111
	s_nop 1
	v_cndmask_b32_e64 v27, 0, v27, s[0:1]
	v_cmp_gt_i32_e64 s[0:1], s33, v110
	s_nop 1
	v_cndmask_b32_e64 v28, 0, v28, s[0:1]
	v_cmp_gt_i32_e64 s[0:1], s33, v109
	s_nop 1
	v_cndmask_b32_e64 v29, 0, v29, s[0:1]
.LBB40_58:                              ;   in Loop: Header=BB40_48 Depth=1
	s_or_b64 exec, exec, s[14:15]
	v_mov_b32_e32 v85, v75
	;; [unrolled: 21-line block ×9, first 2 shown]
	v_lshl_add_u64 v[50:51], v[50:51], 0, v[98:99]
	global_load_dwordx4 v[50:53], v[50:51], off
	s_and_saveexec_b64 s[0:1], vcc
	s_cbranch_execz .LBB40_46
; %bb.73:                               ;   in Loop: Header=BB40_48 Depth=1
	v_cmp_gt_i32_e32 vcc, s33, v81
	s_waitcnt vmcnt(0)
	s_nop 0
	v_cndmask_b32_e32 v50, 0, v50, vcc
	v_cmp_gt_i32_e32 vcc, s33, v111
	s_nop 1
	v_cndmask_b32_e32 v51, 0, v51, vcc
	v_cmp_gt_i32_e32 vcc, s33, v110
	;; [unrolled: 3-line block ×3, first 2 shown]
	s_nop 1
	v_cndmask_b32_e32 v53, 0, v53, vcc
	s_branch .LBB40_46
.LBB40_74:                              ;   in Loop: Header=BB40_48 Depth=1
	v_cmp_gt_i32_e64 s[0:1], s33, v81
	s_waitcnt vmcnt(0)
	s_nop 0
	v_cndmask_b32_e64 v6, 0, v6, s[0:1]
	v_cmp_gt_i32_e64 s[0:1], s33, v111
	s_nop 1
	v_cndmask_b32_e64 v7, 0, v7, s[0:1]
	v_cmp_gt_i32_e64 s[0:1], s33, v110
	;; [unrolled: 3-line block ×3, first 2 shown]
	s_nop 1
	v_cndmask_b32_e64 v9, 0, v9, s[0:1]
	s_or_b64 exec, exec, s[14:15]
	global_load_dwordx4 v[10:13], v[18:19], off offset:1024
	s_and_saveexec_b64 s[14:15], vcc
	s_cbranch_execz .LBB40_51
.LBB40_75:                              ;   in Loop: Header=BB40_48 Depth=1
	v_cmp_gt_i32_e64 s[0:1], s33, v81
	s_waitcnt vmcnt(0)
	s_nop 0
	v_cndmask_b32_e64 v10, 0, v10, s[0:1]
	v_cmp_gt_i32_e64 s[0:1], s33, v111
	s_nop 1
	v_cndmask_b32_e64 v11, 0, v11, s[0:1]
	v_cmp_gt_i32_e64 s[0:1], s33, v110
	;; [unrolled: 3-line block ×3, first 2 shown]
	s_nop 1
	v_cndmask_b32_e64 v13, 0, v13, s[0:1]
	s_or_b64 exec, exec, s[14:15]
	global_load_dwordx4 v[14:17], v[18:19], off offset:2048
	s_and_saveexec_b64 s[14:15], vcc
	s_cbranch_execz .LBB40_52
.LBB40_76:                              ;   in Loop: Header=BB40_48 Depth=1
	v_cmp_gt_i32_e64 s[0:1], s33, v81
	s_waitcnt vmcnt(0)
	s_nop 0
	v_cndmask_b32_e64 v14, 0, v14, s[0:1]
	v_cmp_gt_i32_e64 s[0:1], s33, v111
	s_nop 1
	v_cndmask_b32_e64 v15, 0, v15, s[0:1]
	v_cmp_gt_i32_e64 s[0:1], s33, v110
	s_nop 1
	v_cndmask_b32_e64 v16, 0, v16, s[0:1]
	v_cmp_gt_i32_e64 s[0:1], s33, v109
	s_nop 1
	v_cndmask_b32_e64 v17, 0, v17, s[0:1]
	s_or_b64 exec, exec, s[14:15]
	global_load_dwordx4 v[18:21], v[18:19], off offset:3072
	s_and_saveexec_b64 s[14:15], vcc
	s_cbranch_execnz .LBB40_53
	s_branch .LBB40_54
.LBB40_77:
	s_or_b64 exec, exec, s[8:9]
.LBB40_78:
	s_or_b64 exec, exec, s[2:3]
	ds_bpermute_b32 v2, v103, v76
	ds_bpermute_b32 v3, v103, v77
	ds_bpermute_b32 v4, v103, v72
	ds_bpermute_b32 v5, v103, v73
	ds_bpermute_b32 v8, v103, v70
	ds_bpermute_b32 v9, v103, v71
	s_waitcnt lgkmcnt(4)
	v_pk_add_f32 v[2:3], v[76:77], v[2:3]
	ds_bpermute_b32 v6, v102, v2
	s_waitcnt lgkmcnt(3)
	v_pk_add_f32 v[4:5], v[72:73], v[4:5]
	ds_bpermute_b32 v7, v102, v3
	ds_bpermute_b32 v10, v102, v4
	;; [unrolled: 1-line block ×3, first 2 shown]
	s_waitcnt lgkmcnt(4)
	v_pk_add_f32 v[8:9], v[70:71], v[8:9]
	ds_bpermute_b32 v14, v102, v8
	s_waitcnt lgkmcnt(3)
	v_pk_add_f32 v[2:3], v[2:3], v[6:7]
	ds_bpermute_b32 v6, v104, v2
	;; [unrolled: 3-line block ×3, first 2 shown]
	ds_bpermute_b32 v12, v104, v10
	ds_bpermute_b32 v13, v104, v11
	;; [unrolled: 1-line block ×4, first 2 shown]
	s_waitcnt lgkmcnt(4)
	v_pk_add_f32 v[4:5], v[2:3], v[6:7]
	ds_bpermute_b32 v19, v103, v65
	s_waitcnt lgkmcnt(3)
	v_pk_add_f32 v[2:3], v[10:11], v[12:13]
	ds_bpermute_b32 v12, v103, v66
	ds_bpermute_b32 v13, v103, v67
	s_waitcnt lgkmcnt(4)
	v_pk_add_f32 v[6:7], v[8:9], v[14:15]
	ds_bpermute_b32 v8, v103, v68
	ds_bpermute_b32 v9, v103, v69
	;; [unrolled: 1-line block ×3, first 2 shown]
	s_waitcnt lgkmcnt(3)
	v_pk_add_f32 v[12:13], v[66:67], v[12:13]
	ds_bpermute_b32 v16, v102, v12
	ds_bpermute_b32 v17, v102, v13
	s_waitcnt lgkmcnt(3)
	v_pk_add_f32 v[8:9], v[68:69], v[8:9]
	ds_bpermute_b32 v14, v102, v8
	ds_bpermute_b32 v15, v102, v9
	;; [unrolled: 1-line block ×3, first 2 shown]
	s_waitcnt lgkmcnt(3)
	v_pk_add_f32 v[16:17], v[12:13], v[16:17]
	v_pk_add_f32 v[12:13], v[64:65], v[18:19]
	ds_bpermute_b32 v18, v102, v12
	s_waitcnt lgkmcnt(2)
	v_pk_add_f32 v[8:9], v[8:9], v[14:15]
	ds_bpermute_b32 v19, v102, v13
	s_waitcnt lgkmcnt(2)
	v_pk_add_f32 v[22:23], v[62:63], v[22:23]
	ds_bpermute_b32 v10, v104, v6
	ds_bpermute_b32 v11, v104, v7
	;; [unrolled: 1-line block ×8, first 2 shown]
	s_waitcnt lgkmcnt(8)
	v_pk_add_f32 v[18:19], v[12:13], v[18:19]
	ds_bpermute_b32 v24, v104, v18
	ds_bpermute_b32 v25, v104, v19
	s_waitcnt lgkmcnt(8)
	v_pk_add_f32 v[12:13], v[6:7], v[10:11]
	s_waitcnt lgkmcnt(6)
	v_pk_add_f32 v[10:11], v[8:9], v[14:15]
	;; [unrolled: 2-line block ×4, first 2 shown]
	ds_bpermute_b32 v16, v104, v14
	ds_bpermute_b32 v17, v104, v15
	v_and_b32_e32 v1, 0x3c7, v0
	s_waitcnt lgkmcnt(2)
	v_pk_add_f32 v[6:7], v[18:19], v[24:25]
	v_cmp_ne_u32_e32 vcc, 64, v1
	s_waitcnt lgkmcnt(0)
	s_barrier
	s_and_saveexec_b64 s[0:1], vcc
	s_xor_b64 s[0:1], exec, s[0:1]
; %bb.79:
                                        ; implicit-def: $vgpr101
; %bb.80:
	s_or_saveexec_b64 s[0:1], s[0:1]
	v_pk_add_f32 v[14:15], v[14:15], v[16:17]
	s_xor_b64 exec, exec, s[0:1]
	s_cbranch_execz .LBB40_82
; %bb.81:
	v_lshrrev_b32_e32 v16, 1, v101
	v_add_u32_e32 v16, 0x1d0, v16
	ds_write2_b32 v16, v4, v5 offset1:8
	ds_write2_b32 v16, v2, v3 offset0:16 offset1:24
	ds_write2_b32 v16, v12, v13 offset0:32 offset1:40
	;; [unrolled: 1-line block ×6, first 2 shown]
.LBB40_82:
	s_or_b64 exec, exec, s[0:1]
	v_cmp_gt_u32_e32 vcc, 64, v0
	s_waitcnt lgkmcnt(0)
	s_barrier
	s_and_saveexec_b64 s[0:1], vcc
	s_cbranch_execz .LBB40_99
; %bb.83:
	v_cmp_eq_u32_e32 vcc, 0, v105
	v_lshrrev_b32_e32 v16, 3, v0
	s_and_saveexec_b64 s[2:3], vcc
	s_cbranch_execnz .LBB40_102
; %bb.84:
	s_or_b64 exec, exec, s[2:3]
	s_and_saveexec_b64 s[2:3], vcc
	s_cbranch_execnz .LBB40_103
.LBB40_85:
	s_or_b64 exec, exec, s[2:3]
	s_and_saveexec_b64 s[2:3], vcc
	s_cbranch_execnz .LBB40_104
.LBB40_86:
	s_or_b64 exec, exec, s[2:3]
	s_and_saveexec_b64 s[2:3], vcc
	s_cbranch_execnz .LBB40_105
.LBB40_87:
	s_or_b64 exec, exec, s[2:3]
	s_and_saveexec_b64 s[2:3], vcc
	s_cbranch_execnz .LBB40_106
.LBB40_88:
	s_or_b64 exec, exec, s[2:3]
	s_and_saveexec_b64 s[2:3], vcc
	s_cbranch_execnz .LBB40_107
.LBB40_89:
	s_or_b64 exec, exec, s[2:3]
	s_and_saveexec_b64 s[2:3], vcc
	s_cbranch_execnz .LBB40_108
.LBB40_90:
	s_or_b64 exec, exec, s[2:3]
	s_and_saveexec_b64 s[2:3], vcc
	s_cbranch_execnz .LBB40_109
.LBB40_91:
	s_or_b64 exec, exec, s[2:3]
	s_and_saveexec_b64 s[2:3], vcc
	s_cbranch_execnz .LBB40_110
.LBB40_92:
	s_or_b64 exec, exec, s[2:3]
	s_and_saveexec_b64 s[2:3], vcc
	s_cbranch_execnz .LBB40_111
.LBB40_93:
	s_or_b64 exec, exec, s[2:3]
	s_and_saveexec_b64 s[2:3], vcc
	s_cbranch_execnz .LBB40_112
.LBB40_94:
	s_or_b64 exec, exec, s[2:3]
	s_and_saveexec_b64 s[2:3], vcc
	s_cbranch_execnz .LBB40_113
.LBB40_95:
	s_or_b64 exec, exec, s[2:3]
	s_and_saveexec_b64 s[2:3], vcc
	s_cbranch_execnz .LBB40_114
.LBB40_96:
	s_or_b64 exec, exec, s[2:3]
	s_and_saveexec_b64 s[2:3], vcc
	s_cbranch_execz .LBB40_98
.LBB40_97:
	v_mov_b32_e32 v17, 0x1d0
	v_lshl_add_u32 v16, v16, 2, v17
	ds_read_b32 v16, v16 offset:416
	s_waitcnt lgkmcnt(0)
	v_add_f32_e32 v15, v15, v16
.LBB40_98:
	s_or_b64 exec, exec, s[2:3]
.LBB40_99:
	s_or_b64 exec, exec, s[0:1]
	v_cmp_eq_u32_e32 vcc, 0, v1
	s_barrier
	s_and_saveexec_b64 s[0:1], vcc
	s_cbranch_execz .LBB40_101
; %bb.100:
	s_mul_i32 s0, s10, s11
	s_mul_i32 s0, s0, s5
	s_mulk_i32 s0, 0x70
	s_ashr_i32 s1, s0, 31
	s_lshl_b64 s[0:1], s[0:1], 2
	s_add_u32 s2, s22, s0
	s_mul_i32 s0, s11, s20
	s_addc_u32 s3, s23, s1
	s_ashr_i32 s1, s0, 31
	s_lshl_b64 s[0:1], s[0:1], 2
	s_add_u32 s2, s2, s0
	s_mul_i32 s0, s4, 0x70
	s_addc_u32 s3, s3, s1
	s_ashr_i32 s1, s0, 31
	s_lshl_b64 s[0:1], s[0:1], 2
	s_add_u32 s0, s2, s0
	s_addc_u32 s1, s3, s1
	v_lshrrev_b32_e32 v0, 1, v0
	global_store_dword v0, v4, s[0:1]
	global_store_dword v0, v5, s[0:1] offset:32
	global_store_dword v0, v2, s[0:1] offset:64
	;; [unrolled: 1-line block ×13, first 2 shown]
.LBB40_101:
	s_endpgm
.LBB40_102:
	v_mov_b32_e32 v17, 0x1d0
	v_lshl_add_u32 v17, v16, 2, v17
	ds_read_b32 v17, v17
	s_waitcnt lgkmcnt(0)
	v_add_f32_e32 v4, v4, v17
	s_or_b64 exec, exec, s[2:3]
	s_and_saveexec_b64 s[2:3], vcc
	s_cbranch_execz .LBB40_85
.LBB40_103:
	v_mov_b32_e32 v17, 0x1d0
	v_lshl_add_u32 v17, v16, 2, v17
	ds_read_b32 v17, v17 offset:32
	s_waitcnt lgkmcnt(0)
	v_add_f32_e32 v5, v5, v17
	s_or_b64 exec, exec, s[2:3]
	s_and_saveexec_b64 s[2:3], vcc
	s_cbranch_execz .LBB40_86
.LBB40_104:
	v_mov_b32_e32 v17, 0x1d0
	v_lshl_add_u32 v17, v16, 2, v17
	ds_read_b32 v17, v17 offset:64
	s_waitcnt lgkmcnt(0)
	v_add_f32_e32 v2, v2, v17
	s_or_b64 exec, exec, s[2:3]
	s_and_saveexec_b64 s[2:3], vcc
	s_cbranch_execz .LBB40_87
.LBB40_105:
	v_mov_b32_e32 v17, 0x1d0
	v_lshl_add_u32 v17, v16, 2, v17
	ds_read_b32 v17, v17 offset:96
	s_waitcnt lgkmcnt(0)
	v_add_f32_e32 v3, v3, v17
	s_or_b64 exec, exec, s[2:3]
	s_and_saveexec_b64 s[2:3], vcc
	s_cbranch_execz .LBB40_88
.LBB40_106:
	v_mov_b32_e32 v17, 0x1d0
	v_lshl_add_u32 v17, v16, 2, v17
	ds_read_b32 v17, v17 offset:128
	s_waitcnt lgkmcnt(0)
	v_add_f32_e32 v12, v12, v17
	s_or_b64 exec, exec, s[2:3]
	s_and_saveexec_b64 s[2:3], vcc
	s_cbranch_execz .LBB40_89
.LBB40_107:
	v_mov_b32_e32 v17, 0x1d0
	v_lshl_add_u32 v17, v16, 2, v17
	ds_read_b32 v17, v17 offset:160
	s_waitcnt lgkmcnt(0)
	v_add_f32_e32 v13, v13, v17
	s_or_b64 exec, exec, s[2:3]
	s_and_saveexec_b64 s[2:3], vcc
	s_cbranch_execz .LBB40_90
.LBB40_108:
	v_mov_b32_e32 v17, 0x1d0
	v_lshl_add_u32 v17, v16, 2, v17
	ds_read_b32 v17, v17 offset:192
	s_waitcnt lgkmcnt(0)
	v_add_f32_e32 v10, v10, v17
	s_or_b64 exec, exec, s[2:3]
	s_and_saveexec_b64 s[2:3], vcc
	s_cbranch_execz .LBB40_91
.LBB40_109:
	v_mov_b32_e32 v17, 0x1d0
	v_lshl_add_u32 v17, v16, 2, v17
	ds_read_b32 v17, v17 offset:224
	s_waitcnt lgkmcnt(0)
	v_add_f32_e32 v11, v11, v17
	s_or_b64 exec, exec, s[2:3]
	s_and_saveexec_b64 s[2:3], vcc
	s_cbranch_execz .LBB40_92
.LBB40_110:
	v_mov_b32_e32 v17, 0x1d0
	v_lshl_add_u32 v17, v16, 2, v17
	ds_read_b32 v17, v17 offset:256
	s_waitcnt lgkmcnt(0)
	v_add_f32_e32 v8, v8, v17
	s_or_b64 exec, exec, s[2:3]
	s_and_saveexec_b64 s[2:3], vcc
	s_cbranch_execz .LBB40_93
.LBB40_111:
	v_mov_b32_e32 v17, 0x1d0
	v_lshl_add_u32 v17, v16, 2, v17
	ds_read_b32 v17, v17 offset:288
	s_waitcnt lgkmcnt(0)
	v_add_f32_e32 v9, v9, v17
	s_or_b64 exec, exec, s[2:3]
	s_and_saveexec_b64 s[2:3], vcc
	s_cbranch_execz .LBB40_94
.LBB40_112:
	v_mov_b32_e32 v17, 0x1d0
	v_lshl_add_u32 v17, v16, 2, v17
	ds_read_b32 v17, v17 offset:320
	s_waitcnt lgkmcnt(0)
	v_add_f32_e32 v6, v6, v17
	s_or_b64 exec, exec, s[2:3]
	s_and_saveexec_b64 s[2:3], vcc
	s_cbranch_execz .LBB40_95
.LBB40_113:
	v_mov_b32_e32 v17, 0x1d0
	v_lshl_add_u32 v17, v16, 2, v17
	ds_read_b32 v17, v17 offset:352
	s_waitcnt lgkmcnt(0)
	v_add_f32_e32 v7, v7, v17
	s_or_b64 exec, exec, s[2:3]
	s_and_saveexec_b64 s[2:3], vcc
	s_cbranch_execz .LBB40_96
.LBB40_114:
	v_mov_b32_e32 v17, 0x1d0
	v_lshl_add_u32 v17, v16, 2, v17
	ds_read_b32 v17, v17 offset:384
	s_waitcnt lgkmcnt(0)
	v_add_f32_e32 v14, v14, v17
	s_or_b64 exec, exec, s[2:3]
	s_and_saveexec_b64 s[2:3], vcc
	s_cbranch_execnz .LBB40_97
	s_branch .LBB40_98
	.section	.rodata,"a",@progbits
	.p2align	6, 0x0
	.amdhsa_kernel _ZN4vllm25paged_attention_v1_kernelIffLi112ELi32ELi128ELNS_18Fp8KVCacheDataTypeE0ELb1EEEvPT_PKS2_PKT0_S8_ifPKiSA_iPKfiiiSC_SC_iiiii
		.amdhsa_group_segment_fixed_size 464
		.amdhsa_private_segment_fixed_size 0
		.amdhsa_kernarg_size 384
		.amdhsa_user_sgpr_count 2
		.amdhsa_user_sgpr_dispatch_ptr 0
		.amdhsa_user_sgpr_queue_ptr 0
		.amdhsa_user_sgpr_kernarg_segment_ptr 1
		.amdhsa_user_sgpr_dispatch_id 0
		.amdhsa_user_sgpr_kernarg_preload_length 0
		.amdhsa_user_sgpr_kernarg_preload_offset 0
		.amdhsa_user_sgpr_private_segment_size 0
		.amdhsa_uses_dynamic_stack 0
		.amdhsa_enable_private_segment 0
		.amdhsa_system_sgpr_workgroup_id_x 1
		.amdhsa_system_sgpr_workgroup_id_y 1
		.amdhsa_system_sgpr_workgroup_id_z 1
		.amdhsa_system_sgpr_workgroup_info 0
		.amdhsa_system_vgpr_workitem_id 0
		.amdhsa_next_free_vgpr 112
		.amdhsa_next_free_sgpr 47
		.amdhsa_accum_offset 112
		.amdhsa_reserve_vcc 1
		.amdhsa_float_round_mode_32 0
		.amdhsa_float_round_mode_16_64 0
		.amdhsa_float_denorm_mode_32 3
		.amdhsa_float_denorm_mode_16_64 3
		.amdhsa_dx10_clamp 1
		.amdhsa_ieee_mode 1
		.amdhsa_fp16_overflow 0
		.amdhsa_tg_split 0
		.amdhsa_exception_fp_ieee_invalid_op 0
		.amdhsa_exception_fp_denorm_src 0
		.amdhsa_exception_fp_ieee_div_zero 0
		.amdhsa_exception_fp_ieee_overflow 0
		.amdhsa_exception_fp_ieee_underflow 0
		.amdhsa_exception_fp_ieee_inexact 0
		.amdhsa_exception_int_div_zero 0
	.end_amdhsa_kernel
	.section	.text._ZN4vllm25paged_attention_v1_kernelIffLi112ELi32ELi128ELNS_18Fp8KVCacheDataTypeE0ELb1EEEvPT_PKS2_PKT0_S8_ifPKiSA_iPKfiiiSC_SC_iiiii,"axG",@progbits,_ZN4vllm25paged_attention_v1_kernelIffLi112ELi32ELi128ELNS_18Fp8KVCacheDataTypeE0ELb1EEEvPT_PKS2_PKT0_S8_ifPKiSA_iPKfiiiSC_SC_iiiii,comdat
.Lfunc_end40:
	.size	_ZN4vllm25paged_attention_v1_kernelIffLi112ELi32ELi128ELNS_18Fp8KVCacheDataTypeE0ELb1EEEvPT_PKS2_PKT0_S8_ifPKiSA_iPKfiiiSC_SC_iiiii, .Lfunc_end40-_ZN4vllm25paged_attention_v1_kernelIffLi112ELi32ELi128ELNS_18Fp8KVCacheDataTypeE0ELb1EEEvPT_PKS2_PKT0_S8_ifPKiSA_iPKfiiiSC_SC_iiiii
                                        ; -- End function
	.section	.AMDGPU.csdata,"",@progbits
; Kernel info:
; codeLenInByte = 7864
; NumSgprs: 53
; NumVgprs: 112
; NumAgprs: 0
; TotalNumVgprs: 112
; ScratchSize: 0
; MemoryBound: 0
; FloatMode: 240
; IeeeMode: 1
; LDSByteSize: 464 bytes/workgroup (compile time only)
; SGPRBlocks: 6
; VGPRBlocks: 13
; NumSGPRsForWavesPerEU: 53
; NumVGPRsForWavesPerEU: 112
; AccumOffset: 112
; Occupancy: 4
; WaveLimiterHint : 1
; COMPUTE_PGM_RSRC2:SCRATCH_EN: 0
; COMPUTE_PGM_RSRC2:USER_SGPR: 2
; COMPUTE_PGM_RSRC2:TRAP_HANDLER: 0
; COMPUTE_PGM_RSRC2:TGID_X_EN: 1
; COMPUTE_PGM_RSRC2:TGID_Y_EN: 1
; COMPUTE_PGM_RSRC2:TGID_Z_EN: 1
; COMPUTE_PGM_RSRC2:TIDIG_COMP_CNT: 0
; COMPUTE_PGM_RSRC3_GFX90A:ACCUM_OFFSET: 27
; COMPUTE_PGM_RSRC3_GFX90A:TG_SPLIT: 0
	.section	.text._ZN4vllm25paged_attention_v1_kernelIffLi120ELi32ELi128ELNS_18Fp8KVCacheDataTypeE0ELb1EEEvPT_PKS2_PKT0_S8_ifPKiSA_iPKfiiiSC_SC_iiiii,"axG",@progbits,_ZN4vllm25paged_attention_v1_kernelIffLi120ELi32ELi128ELNS_18Fp8KVCacheDataTypeE0ELb1EEEvPT_PKS2_PKT0_S8_ifPKiSA_iPKfiiiSC_SC_iiiii,comdat
	.protected	_ZN4vllm25paged_attention_v1_kernelIffLi120ELi32ELi128ELNS_18Fp8KVCacheDataTypeE0ELb1EEEvPT_PKS2_PKT0_S8_ifPKiSA_iPKfiiiSC_SC_iiiii ; -- Begin function _ZN4vllm25paged_attention_v1_kernelIffLi120ELi32ELi128ELNS_18Fp8KVCacheDataTypeE0ELb1EEEvPT_PKS2_PKT0_S8_ifPKiSA_iPKfiiiSC_SC_iiiii
	.globl	_ZN4vllm25paged_attention_v1_kernelIffLi120ELi32ELi128ELNS_18Fp8KVCacheDataTypeE0ELb1EEEvPT_PKS2_PKT0_S8_ifPKiSA_iPKfiiiSC_SC_iiiii
	.p2align	8
	.type	_ZN4vllm25paged_attention_v1_kernelIffLi120ELi32ELi128ELNS_18Fp8KVCacheDataTypeE0ELb1EEEvPT_PKS2_PKT0_S8_ifPKiSA_iPKfiiiSC_SC_iiiii,@function
_ZN4vllm25paged_attention_v1_kernelIffLi120ELi32ELi128ELNS_18Fp8KVCacheDataTypeE0ELb1EEEvPT_PKS2_PKT0_S8_ifPKiSA_iPKfiiiSC_SC_iiiii: ; @_ZN4vllm25paged_attention_v1_kernelIffLi120ELi32ELi128ELNS_18Fp8KVCacheDataTypeE0ELb1EEEvPT_PKS2_PKT0_S8_ifPKiSA_iPKfiiiSC_SC_iiiii
; %bb.0:
	s_load_dword s5, s[0:1], 0x80
	s_load_dwordx2 s[6:7], s[0:1], 0x30
	s_load_dwordx2 s[30:31], s[0:1], 0x20
	s_mov_b32 s10, s3
	s_ashr_i32 s11, s3, 31
	s_lshl_b64 s[8:9], s[10:11], 2
	s_waitcnt lgkmcnt(0)
	s_add_u32 s6, s6, s8
	s_addc_u32 s7, s7, s9
	s_abs_i32 s3, s30
	v_cvt_f32_u32_e32 v1, s3
	s_sub_i32 s11, 0, s3
	s_abs_i32 s9, s5
	s_xor_b32 s8, s5, s30
	v_rcp_iflag_f32_e32 v1, v1
	s_ashr_i32 s8, s8, 31
	s_mov_b32 s42, 0
	v_mul_f32_e32 v1, 0x4f7ffffe, v1
	v_cvt_u32_f32_e32 v1, v1
	s_nop 0
	v_readfirstlane_b32 s12, v1
	s_mul_i32 s11, s11, s12
	s_mul_hi_u32 s11, s12, s11
	s_add_i32 s12, s12, s11
	s_mul_hi_u32 s11, s9, s12
	s_mul_i32 s12, s11, s3
	s_sub_i32 s9, s9, s12
	s_add_i32 s12, s11, 1
	s_sub_i32 s13, s9, s3
	s_cmp_ge_u32 s9, s3
	s_cselect_b32 s11, s12, s11
	s_cselect_b32 s9, s13, s9
	s_add_i32 s12, s11, 1
	s_cmp_ge_u32 s9, s3
	s_cselect_b32 s3, s12, s11
	s_xor_b32 s3, s3, s8
	s_sub_i32 s12, s3, s8
	s_abs_i32 s11, s12
	v_cvt_f32_u32_e32 v1, s11
	s_load_dwordx2 s[8:9], s[0:1], 0x40
	s_sub_i32 s3, 0, s11
	s_abs_i32 s22, s2
	v_rcp_iflag_f32_e32 v1, v1
	s_nop 0
	v_mul_f32_e32 v1, 0x4f7ffffe, v1
	v_cvt_u32_f32_e32 v1, v1
	s_nop 0
	v_readfirstlane_b32 s13, v1
	s_mul_i32 s3, s3, s13
	s_mul_hi_u32 s3, s13, s3
	s_add_i32 s13, s13, s3
	s_waitcnt lgkmcnt(0)
	s_cmp_eq_u64 s[8:9], 0
	s_mul_hi_u32 s23, s22, s13
	s_cbranch_scc1 .LBB41_2
; %bb.1:
	s_ashr_i32 s3, s2, 31
	s_lshl_b64 s[14:15], s[2:3], 2
	s_add_u32 s8, s8, s14
	s_addc_u32 s9, s9, s15
	s_load_dword s42, s[8:9], 0x0
.LBB41_2:
	s_load_dword s33, s[6:7], 0x0
	s_ashr_i32 s9, s12, 31
	s_load_dwordx4 s[12:15], s[0:1], 0x48
	s_ashr_i32 s3, s2, 31
	v_and_b32_e32 v4, 1, v0
	s_mul_i32 s20, s2, 0x78
	v_cmp_gt_u32_e32 vcc, 60, v0
	v_lshlrev_b32_e32 v2, 3, v0
	v_lshlrev_b32_e32 v34, 2, v0
	s_and_saveexec_b64 s[6:7], vcc
	s_cbranch_execz .LBB41_4
; %bb.3:
	s_load_dwordx2 s[16:17], s[0:1], 0x8
	s_waitcnt lgkmcnt(0)
	s_mul_i32 s18, s10, s12
	s_ashr_i32 s19, s18, 31
	s_lshl_b64 s[18:19], s[18:19], 2
	v_and_b32_e32 v1, 0xff8, v34
	s_add_u32 s8, s16, s18
	s_addc_u32 s12, s17, s19
	s_ashr_i32 s21, s20, 31
	s_lshl_b64 s[16:17], s[20:21], 2
	s_add_u32 s16, s8, s16
	s_addc_u32 s17, s12, s17
	global_load_dwordx2 v[6:7], v2, s[16:17]
	s_movk_i32 s8, 0xf0
	v_mad_u32_u24 v1, v4, s8, v1
	s_waitcnt vmcnt(0)
	ds_write_b64 v1, v[6:7]
.LBB41_4:
	s_or_b64 exec, exec, s[6:7]
	s_mul_i32 s6, s23, s11
	s_sub_i32 s6, s22, s6
	s_xor_b32 s3, s3, s9
	s_add_i32 s7, s23, 1
	s_sub_i32 s9, s6, s11
	s_load_dwordx4 s[16:19], s[0:1], 0x68
	s_load_dword s8, s[0:1], 0x78
	s_cmp_ge_u32 s6, s11
	s_cselect_b32 s7, s7, s23
	s_cselect_b32 s6, s9, s6
	s_add_i32 s9, s7, 1
	s_cmp_ge_u32 s6, s11
	s_cselect_b32 s6, s9, s7
	s_waitcnt lgkmcnt(0)
	s_abs_i32 s21, s19
	v_cvt_f32_u32_e32 v1, s21
	s_xor_b32 s6, s6, s3
	s_sub_i32 s3, s6, s3
	s_sub_i32 s6, 0, s21
	v_rcp_iflag_f32_e32 v1, v1
	s_add_i32 s11, s33, -1
	s_abs_i32 s9, s11
	v_mul_f32_e32 v1, 0x4f7ffffe, v1
	v_cvt_u32_f32_e32 v1, v1
	s_barrier
	v_readfirstlane_b32 s40, v1
	s_mul_i32 s6, s6, s40
	s_mul_hi_u32 s6, s40, s6
	s_add_i32 s40, s40, s6
	s_cmp_lt_i32 s8, 0
	s_mul_hi_u32 s12, s9, s40
	s_cbranch_scc0 .LBB41_6
; %bb.5:
	s_mul_i32 s6, s16, s30
	s_add_i32 s6, s3, s6
	s_mul_i32 s6, s6, s8
	s_sub_i32 s41, 1, s6
	s_mov_b64 s[6:7], 0
	s_branch .LBB41_7
.LBB41_6:
	s_mov_b64 s[6:7], -1
                                        ; implicit-def: $sgpr41
.LBB41_7:
	s_load_dwordx2 s[24:25], s[0:1], 0x28
	s_ashr_i32 s15, s11, 31
	s_andn2_b64 vcc, exec, s[6:7]
	s_ashr_i32 s19, s19, 31
	s_cbranch_vccnz .LBB41_9
; %bb.8:
	s_mul_i32 s6, s5, s16
	s_add_i32 s2, s6, s2
	s_mul_i32 s2, s2, s8
	s_add_i32 s41, s2, 1
.LBB41_9:
	s_load_dword s2, s[0:1], 0x38
	s_load_dwordx2 s[22:23], s[0:1], 0x0
	s_load_dwordx2 s[28:29], s[0:1], 0x18
	s_load_dword s11, s[0:1], 0x88
	s_xor_b32 s6, s15, s19
	s_waitcnt lgkmcnt(0)
	s_mul_i32 s26, s10, s2
	s_mul_i32 s2, s12, s21
	s_sub_i32 s2, s9, s2
	s_ashr_i32 s27, s26, 31
	s_add_i32 s7, s12, 1
	s_sub_i32 s8, s2, s21
	s_cmp_ge_u32 s2, s21
	s_cselect_b32 s7, s7, s12
	s_cselect_b32 s2, s8, s2
	s_add_i32 s8, s7, 1
	s_cmp_ge_u32 s2, s21
	s_cselect_b32 s2, s8, s7
	s_xor_b32 s2, s2, s6
	s_sub_i32 s12, s2, s6
	s_add_i32 s2, s33, 31
	s_ashr_i32 s6, s2, 31
	s_lshr_b32 s6, s6, 27
	s_add_i32 s2, s2, s6
	s_ashr_i32 s16, s2, 5
	v_lshrrev_b32_e32 v1, 6, v0
	v_cmp_gt_i32_e64 s[6:7], s16, v1
	v_mov_b32_e32 v39, 0xff7fffff
	s_mul_i32 s14, s3, s14
	v_lshrrev_b32_e32 v35, 4, v0
	v_lshlrev_b32_e32 v106, 5, v1
	v_mbcnt_lo_u32_b32 v36, -1, 0
	s_and_saveexec_b64 s[34:35], s[6:7]
	s_cbranch_execz .LBB41_19
; %bb.10:
	s_load_dwordx2 s[0:1], s[0:1], 0x10
	s_ashr_i32 s15, s14, 31
	s_sub_i32 s30, s12, s17
	s_lshl_b64 s[2:3], s[14:15], 2
	v_bfe_u32 v37, v0, 1, 5
	s_waitcnt lgkmcnt(0)
	s_add_u32 s0, s0, s2
	s_addc_u32 s1, s1, s3
	s_abs_i32 s15, s18
	v_cvt_f32_u32_e32 v3, s15
	v_lshlrev_b32_e32 v6, 4, v37
	v_mov_b32_e32 v7, 0
	v_lshl_add_u64 v[8:9], s[0:1], 0, v[6:7]
	v_rcp_iflag_f32_e32 v5, v3
	s_sub_i32 s0, 0, s15
	v_cmp_eq_u32_e32 vcc, 0, v4
	v_mul_u32_u24_e32 v38, 0xf0, v4
	v_mul_f32_e32 v5, 0x4f7ffffe, v5
	v_cvt_u32_f32_e32 v5, v5
	v_and_b32_e32 v6, 8, v2
	v_lshlrev_b32_e32 v10, 2, v37
	v_lshl_add_u64 v[2:3], v[8:9], 0, v[6:7]
	v_mul_lo_u32 v4, s0, v5
	s_lshl_b64 s[0:1], s[26:27], 2
	s_add_u32 s0, s24, s0
	v_mul_hi_u32 v4, v5, v4
	v_and_b32_e32 v6, 60, v35
	s_addc_u32 s1, s25, s1
	v_add_u32_e32 v40, v5, v4
	v_lshl_add_u64 v[4:5], s[0:1], 0, v[6:7]
	v_lshl_or_b32 v6, v1, 7, v10
	v_add_u32_e32 v42, 0x1f0, v6
	v_subrev_u32_e32 v6, s33, v37
	v_mbcnt_hi_u32_b32 v45, -1, v36
	v_add_u32_e32 v43, 1, v6
	v_and_b32_e32 v6, 64, v45
	s_mov_b32 s43, s13
	v_cmp_neq_f32_e64 s[2:3], s42, 0
	v_lshlrev_b32_e32 v41, 5, v1
	s_mov_b64 s[36:37], 0
	v_mov_b32_e32 v44, 0xff7fffff
	s_movk_i32 s44, 0x1000
	s_movk_i32 s45, 0x2000
	;; [unrolled: 1-line block ×3, first 2 shown]
	v_xor_b32_e32 v46, 1, v45
	v_add_u32_e32 v47, 64, v6
	v_mov_b32_e32 v39, 0xff7fffff
	v_mov_b32_e32 v48, v1
	s_branch .LBB41_13
.LBB41_11:                              ;   in Loop: Header=BB41_13 Depth=1
	s_or_b64 exec, exec, s[38:39]
.LBB41_12:                              ;   in Loop: Header=BB41_13 Depth=1
	s_or_b64 exec, exec, s[8:9]
	v_add_u32_e32 v48, 2, v48
	v_cmp_le_i32_e64 s[0:1], s16, v48
	v_lshl_add_u64 v[4:5], v[4:5], 0, 8
	v_add_u32_e32 v41, 64, v41
	s_or_b64 s[36:37], s[0:1], s[36:37]
	v_add_u32_e32 v42, 0x100, v42
	s_andn2_b64 exec, exec, s[36:37]
	s_cbranch_execz .LBB41_18
.LBB41_13:                              ; =>This Inner Loop Header: Depth=1
	v_mul_hi_u32 v6, v41, s40
	s_waitcnt lgkmcnt(0)
	v_mul_lo_u32 v7, v6, s21
	v_sub_u32_e32 v7, v41, v7
	v_add_u32_e32 v8, 1, v6
	v_cmp_le_u32_e64 s[0:1], s21, v7
	s_nop 1
	v_cndmask_b32_e64 v6, v6, v8, s[0:1]
	v_subrev_u32_e32 v8, s21, v7
	v_cndmask_b32_e64 v7, v7, v8, s[0:1]
	v_add_u32_e32 v8, 1, v6
	v_cmp_le_u32_e64 s[0:1], s21, v7
	s_nop 1
	v_cndmask_b32_e64 v6, v6, v8, s[0:1]
	v_xor_b32_e32 v6, s19, v6
	v_subrev_u32_e32 v6, s19, v6
	v_add_u32_e32 v7, s41, v6
	v_sub_u32_e32 v9, 0, v7
	v_ashrrev_i32_e32 v8, 31, v7
	v_max_i32_e32 v7, v7, v9
	v_mul_hi_u32 v9, v7, v40
	v_mul_lo_u32 v9, v9, s15
	v_sub_u32_e32 v7, v7, v9
	v_subrev_u32_e32 v9, s15, v7
	v_cmp_le_u32_e64 s[0:1], s15, v7
	v_cmp_ge_i32_e64 s[8:9], s30, v6
	s_nop 0
	v_cndmask_b32_e64 v7, v7, v9, s[0:1]
	v_subrev_u32_e32 v9, s15, v7
	v_cmp_le_u32_e64 s[0:1], s15, v7
	s_nop 1
	v_cndmask_b32_e64 v7, v7, v9, s[0:1]
	v_xor_b32_e32 v7, v7, v8
	v_sub_u32_e32 v7, v7, v8
	v_cmp_ne_u32_e64 s[0:1], 0, v7
	s_and_b64 s[0:1], s[0:1], s[8:9]
	s_and_b64 s[38:39], vcc, s[0:1]
	s_and_saveexec_b64 s[8:9], s[38:39]
	s_cbranch_execz .LBB41_15
; %bb.14:                               ;   in Loop: Header=BB41_13 Depth=1
	ds_write_b32 v42, v44
.LBB41_15:                              ;   in Loop: Header=BB41_13 Depth=1
	s_or_b64 exec, exec, s[8:9]
	s_xor_b64 s[0:1], s[0:1], -1
	s_and_saveexec_b64 s[8:9], s[0:1]
	s_cbranch_execz .LBB41_12
; %bb.16:                               ;   in Loop: Header=BB41_13 Depth=1
	global_load_dword v6, v[4:5], off
	s_waitcnt vmcnt(0)
	v_mad_i64_i32 v[6:7], s[0:1], v6, s43, 0
	v_lshl_add_u64 v[18:19], v[6:7], 2, v[2:3]
	global_load_dwordx2 v[24:25], v[18:19], off offset:512
	global_load_dwordx2 v[26:27], v[18:19], off
	global_load_dwordx2 v[28:29], v[18:19], off offset:1024
	global_load_dwordx2 v[60:61], v[18:19], off offset:1536
	;; [unrolled: 1-line block ×6, first 2 shown]
	v_add_co_u32_e64 v70, s[0:1], s45, v18
	s_nop 1
	v_addc_co_u32_e64 v71, s[0:1], 0, v19, s[0:1]
	global_load_dwordx2 v[72:73], v[70:71], off offset:-4096
	v_add_co_u32_e64 v52, s[0:1], s44, v18
	s_nop 1
	v_addc_co_u32_e64 v53, s[0:1], 0, v19, s[0:1]
	global_load_dwordx2 v[74:75], v[52:53], off offset:512
	global_load_dwordx2 v[30:31], v[52:53], off offset:1024
	ds_read_b128 v[6:9], v38
	ds_read_b128 v[10:13], v38 offset:16
	global_load_dwordx2 v[32:33], v[52:53], off offset:1536
	ds_read_b128 v[14:17], v38 offset:32
	ds_read_b128 v[20:23], v38 offset:48
	global_load_dwordx2 v[76:77], v[52:53], off offset:2048
	global_load_dwordx2 v[78:79], v[52:53], off offset:2560
	global_load_dwordx2 v[80:81], v[52:53], off offset:3072
	global_load_dwordx2 v[82:83], v[52:53], off offset:3584
	ds_read_b128 v[52:55], v38 offset:64
	ds_read_b128 v[56:59], v38 offset:80
	global_load_dwordx2 v[84:85], v[70:71], off
	global_load_dwordx2 v[86:87], v[70:71], off offset:512
	s_waitcnt vmcnt(17) lgkmcnt(5)
	v_mul_f32_e32 v49, v8, v24
	v_mul_f32_e32 v50, v9, v25
	s_waitcnt vmcnt(16)
	v_fmac_f32_e32 v49, v6, v26
	v_fmac_f32_e32 v50, v7, v27
	s_waitcnt vmcnt(15) lgkmcnt(4)
	v_fmac_f32_e32 v49, v10, v28
	v_fmac_f32_e32 v50, v11, v29
	global_load_dwordx2 v[8:9], v[70:71], off offset:1024
	s_waitcnt vmcnt(15)
	v_fmac_f32_e32 v49, v12, v60
	v_fmac_f32_e32 v50, v13, v61
	global_load_dwordx2 v[12:13], v[70:71], off offset:1536
	v_add_co_u32_e64 v24, s[0:1], s46, v18
	s_waitcnt vmcnt(15) lgkmcnt(3)
	v_fmac_f32_e32 v49, v14, v62
	v_fmac_f32_e32 v50, v15, v63
	v_addc_co_u32_e64 v25, s[0:1], 0, v19, s[0:1]
	s_waitcnt vmcnt(14)
	v_fmac_f32_e32 v49, v16, v64
	v_fmac_f32_e32 v50, v17, v65
	global_load_dwordx2 v[18:19], v[70:71], off offset:2048
	global_load_dwordx2 v[16:17], v[70:71], off offset:2560
	;; [unrolled: 1-line block ×4, first 2 shown]
	s_waitcnt vmcnt(17) lgkmcnt(2)
	v_fmac_f32_e32 v49, v20, v66
	v_fmac_f32_e32 v50, v21, v67
	global_load_dwordx2 v[20:21], v[24:25], off
	s_waitcnt vmcnt(17)
	v_fmac_f32_e32 v49, v22, v68
	v_fmac_f32_e32 v50, v23, v69
	global_load_dwordx2 v[6:7], v[24:25], off offset:2560
	global_load_dwordx2 v[22:23], v[24:25], off offset:512
	;; [unrolled: 1-line block ×4, first 2 shown]
	s_nop 0
	global_load_dwordx2 v[24:25], v[24:25], off offset:2048
	s_waitcnt vmcnt(21) lgkmcnt(1)
	v_fmac_f32_e32 v49, v52, v72
	v_fmac_f32_e32 v50, v53, v73
	s_waitcnt vmcnt(20)
	v_fmac_f32_e32 v49, v54, v74
	v_fmac_f32_e32 v50, v55, v75
	ds_read_b128 v[52:55], v38 offset:96
	ds_read_b128 v[60:63], v38 offset:112
	s_waitcnt vmcnt(19) lgkmcnt(2)
	v_fmac_f32_e32 v49, v56, v30
	v_fmac_f32_e32 v50, v57, v31
	s_waitcnt vmcnt(18)
	v_fmac_f32_e32 v49, v58, v32
	v_fmac_f32_e32 v50, v59, v33
	s_waitcnt vmcnt(17) lgkmcnt(1)
	v_fmac_f32_e32 v49, v52, v76
	v_fmac_f32_e32 v50, v53, v77
	ds_read_b128 v[30:33], v38 offset:128
	ds_read_b128 v[56:59], v38 offset:144
	s_waitcnt vmcnt(16)
	v_fmac_f32_e32 v49, v54, v78
	v_fmac_f32_e32 v50, v55, v79
	s_waitcnt vmcnt(15) lgkmcnt(2)
	v_fmac_f32_e32 v49, v60, v80
	v_fmac_f32_e32 v50, v61, v81
	s_waitcnt vmcnt(14)
	v_fmac_f32_e32 v49, v62, v82
	v_fmac_f32_e32 v50, v63, v83
	ds_read_b128 v[52:55], v38 offset:160
	ds_read_b128 v[64:67], v38 offset:176
	s_waitcnt vmcnt(13) lgkmcnt(3)
	v_fmac_f32_e32 v49, v30, v84
	v_fmac_f32_e32 v50, v31, v85
	s_waitcnt vmcnt(12)
	v_fmac_f32_e32 v49, v32, v86
	v_fmac_f32_e32 v50, v33, v87
	ds_read_b128 v[30:33], v38 offset:192
	ds_read_b128 v[60:63], v38 offset:208
	;; [unrolled: 1-line block ×3, first 2 shown]
	v_cmp_lt_i32_e64 s[0:1], v46, v47
	s_waitcnt vmcnt(11) lgkmcnt(5)
	v_fmac_f32_e32 v49, v56, v8
	v_fmac_f32_e32 v50, v57, v9
	v_cndmask_b32_e64 v51, v45, v46, s[0:1]
	s_waitcnt vmcnt(10)
	v_fmac_f32_e32 v49, v58, v12
	v_fmac_f32_e32 v50, v59, v13
	v_lshlrev_b32_e32 v51, 2, v51
	s_waitcnt vmcnt(9) lgkmcnt(4)
	v_fmac_f32_e32 v49, v52, v18
	v_fmac_f32_e32 v50, v53, v19
	s_waitcnt vmcnt(8)
	v_fmac_f32_e32 v49, v54, v16
	v_fmac_f32_e32 v50, v55, v17
	s_waitcnt vmcnt(7) lgkmcnt(3)
	v_fmac_f32_e32 v49, v64, v14
	v_fmac_f32_e32 v50, v65, v15
	s_waitcnt vmcnt(6)
	v_fmac_f32_e32 v49, v66, v10
	v_fmac_f32_e32 v50, v67, v11
	;; [unrolled: 6-line block ×4, first 2 shown]
	s_waitcnt vmcnt(0) lgkmcnt(0)
	v_fmac_f32_e32 v49, v24, v68
	v_fmac_f32_e32 v50, v25, v69
	v_fmac_f32_e32 v49, v6, v70
	v_fmac_f32_e32 v50, v7, v71
	v_add_f32_e32 v6, v49, v50
	ds_bpermute_b32 v7, v51, v6
	s_and_saveexec_b64 s[38:39], vcc
	s_cbranch_execz .LBB41_11
; %bb.17:                               ;   in Loop: Header=BB41_13 Depth=1
	v_add_u32_e32 v8, v43, v41
	v_cvt_f32_i32_e32 v8, v8
	s_waitcnt lgkmcnt(0)
	v_add_f32_e32 v6, v6, v7
	v_add_u32_e32 v9, v37, v41
	v_cmp_gt_i32_e64 s[0:1], s33, v9
	v_mul_f32_e32 v7, s42, v8
	v_cndmask_b32_e64 v7, 0, v7, s[2:3]
	v_fmac_f32_e32 v7, s31, v6
	v_cndmask_b32_e64 v6, 0, v7, s[0:1]
	ds_write_b32 v42, v6
	v_max_f32_e32 v6, v39, v39
	v_max_f32_e32 v6, v6, v7
	v_cndmask_b32_e64 v39, v39, v6, s[0:1]
	s_branch .LBB41_11
.LBB41_18:
	s_or_b64 exec, exec, s[36:37]
.LBB41_19:
	s_or_b64 exec, exec, s[34:35]
	s_waitcnt lgkmcnt(0)
	v_mbcnt_hi_u32_b32 v7, -1, v36
	v_and_b32_e32 v2, 64, v7
	v_add_u32_e32 v8, 64, v2
	v_xor_b32_e32 v2, 32, v7
	v_cmp_lt_i32_e32 vcc, v2, v8
	v_xor_b32_e32 v5, 16, v7
	v_max_f32_e32 v4, v39, v39
	v_cndmask_b32_e32 v2, v7, v2, vcc
	v_lshlrev_b32_e32 v2, 2, v2
	ds_bpermute_b32 v3, v2, v39
	v_cmp_lt_i32_e32 vcc, v5, v8
	v_xor_b32_e32 v6, 8, v7
	v_xor_b32_e32 v9, 4, v7
	v_and_b32_e32 v107, 63, v0
	s_waitcnt lgkmcnt(0)
	v_max_f32_e32 v3, v3, v3
	v_max_f32_e32 v4, v4, v3
	v_cndmask_b32_e32 v3, v7, v5, vcc
	v_lshlrev_b32_e32 v3, 2, v3
	ds_bpermute_b32 v5, v3, v4
	v_cmp_lt_i32_e32 vcc, v6, v8
	s_waitcnt lgkmcnt(0)
	v_max_f32_e32 v5, v5, v5
	v_max_f32_e32 v5, v4, v5
	v_cndmask_b32_e32 v4, v7, v6, vcc
	v_lshlrev_b32_e32 v4, 2, v4
	ds_bpermute_b32 v6, v4, v5
	v_cmp_lt_i32_e32 vcc, v9, v8
	s_waitcnt lgkmcnt(0)
	v_max_f32_e32 v6, v6, v6
	v_max_f32_e32 v5, v5, v6
	v_cndmask_b32_e32 v6, v7, v9, vcc
	v_lshlrev_b32_e32 v108, 2, v6
	ds_bpermute_b32 v6, v108, v5
	v_xor_b32_e32 v9, 2, v7
	v_cmp_lt_i32_e32 vcc, v9, v8
	s_waitcnt lgkmcnt(0)
	v_max_f32_e32 v6, v6, v6
	v_max_f32_e32 v6, v5, v6
	v_cndmask_b32_e32 v5, v7, v9, vcc
	v_lshlrev_b32_e32 v109, 2, v5
	ds_bpermute_b32 v9, v109, v6
	v_cmp_eq_u32_e32 vcc, 0, v107
	v_lshlrev_b32_e32 v5, 2, v1
	s_and_saveexec_b64 s[0:1], vcc
	s_cbranch_execz .LBB41_21
; %bb.20:
	s_waitcnt lgkmcnt(0)
	v_max_f32_e32 v9, v9, v9
	v_max_f32_e32 v6, v6, v6
	;; [unrolled: 1-line block ×3, first 2 shown]
	ds_write_b32 v5, v6 offset:480
.LBB41_21:
	s_or_b64 exec, exec, s[0:1]
	v_cmp_gt_u32_e64 s[0:1], 2, v107
	s_waitcnt lgkmcnt(0)
	v_mov_b32_e32 v9, 0xff7fffff
	v_lshlrev_b32_e32 v6, 2, v107
	s_barrier
	s_and_saveexec_b64 s[2:3], s[0:1]
	s_cbranch_execz .LBB41_23
; %bb.22:
	ds_read_b32 v9, v6 offset:480
.LBB41_23:
	s_or_b64 exec, exec, s[2:3]
	v_xor_b32_e32 v10, 1, v7
	v_cmp_lt_i32_e64 s[2:3], v10, v8
	s_nop 1
	v_cndmask_b32_e64 v8, v7, v10, s[2:3]
	v_lshlrev_b32_e32 v110, 2, v8
	s_waitcnt lgkmcnt(0)
	ds_bpermute_b32 v8, v110, v9
	v_max_f32_e32 v9, v9, v9
	v_lshlrev_b32_e32 v7, 2, v7
	v_and_b32_e32 v7, 0x100, v7
	s_lshl_b32 s2, s16, 5
	s_waitcnt lgkmcnt(0)
	v_max_f32_e32 v8, v8, v8
	v_max_f32_e32 v8, v9, v8
	ds_bpermute_b32 v9, v7, v8
	s_min_i32 s15, s2, s33
	v_cmp_gt_i32_e64 s[2:3], s15, v0
	v_mov_b32_e32 v8, 0
	s_and_saveexec_b64 s[30:31], s[2:3]
	s_cbranch_execz .LBB41_27
; %bb.24:
	v_mov_b32_e32 v8, 0x1f0
	v_lshl_add_u32 v10, v0, 2, v8
	s_mov_b64 s[34:35], 0
	v_mov_b32_e32 v8, 0
	v_mov_b32_e32 v11, v0
.LBB41_25:                              ; =>This Inner Loop Header: Depth=1
	ds_read_b32 v12, v10
	v_add_u32_e32 v11, 0x80, v11
	v_cmp_le_i32_e64 s[8:9], s15, v11
	s_or_b64 s[34:35], s[8:9], s[34:35]
	s_waitcnt lgkmcnt(0)
	v_sub_f32_e32 v12, v12, v9
	v_mul_f32_e32 v12, 0x3fb8aa3b, v12
	v_exp_f32_e32 v12, v12
	ds_write_b32 v10, v12
	v_add_f32_e32 v8, v8, v12
	v_add_u32_e32 v10, 0x200, v10
	s_andn2_b64 exec, exec, s[34:35]
	s_cbranch_execnz .LBB41_25
; %bb.26:
	s_or_b64 exec, exec, s[34:35]
.LBB41_27:
	s_or_b64 exec, exec, s[30:31]
	ds_bpermute_b32 v2, v2, v8
	s_waitcnt lgkmcnt(0)
	v_add_f32_e32 v2, v8, v2
	ds_bpermute_b32 v3, v3, v2
	s_waitcnt lgkmcnt(0)
	v_add_f32_e32 v2, v2, v3
	;; [unrolled: 3-line block ×6, first 2 shown]
	s_and_saveexec_b64 s[8:9], vcc
	s_cbranch_execz .LBB41_29
; %bb.28:
	ds_write_b32 v5, v2 offset:488
.LBB41_29:
	s_or_b64 exec, exec, s[8:9]
	s_waitcnt lgkmcnt(0)
	s_barrier
	s_and_saveexec_b64 s[8:9], s[0:1]
	s_cbranch_execz .LBB41_31
; %bb.30:
	ds_read_b32 v2, v6 offset:488
.LBB41_31:
	s_or_b64 exec, exec, s[8:9]
	s_waitcnt lgkmcnt(0)
	ds_bpermute_b32 v3, v110, v2
	s_waitcnt lgkmcnt(0)
	v_add_f32_e32 v2, v2, v3
	ds_bpermute_b32 v2, v7, v2
	s_and_saveexec_b64 s[0:1], s[2:3]
	s_cbranch_execz .LBB41_44
; %bb.32:
	s_waitcnt lgkmcnt(0)
	v_add_f32_e32 v2, 0x358637bd, v2
	v_div_scale_f32 v3, s[2:3], v2, v2, 1.0
	v_rcp_f32_e32 v4, v3
	v_div_scale_f32 v5, vcc, 1.0, v2, 1.0
	s_movk_i32 s2, 0x7f
	v_fma_f32 v6, -v3, v4, 1.0
	v_fmac_f32_e32 v4, v6, v4
	v_mul_f32_e32 v6, v5, v4
	v_fma_f32 v7, -v3, v6, v5
	v_fmac_f32_e32 v6, v7, v4
	v_fma_f32 v3, -v3, v6, v5
	v_div_fmas_f32 v3, v3, v4, v6
	v_xad_u32 v4, v0, -1, s15
	v_div_fixup_f32 v2, v3, v2, 1.0
	v_cmp_lt_u32_e32 vcc, s2, v4
	s_mov_b64 s[8:9], -1
	v_mov_b32_e32 v3, v0
	s_and_saveexec_b64 s[2:3], vcc
	s_cbranch_execz .LBB41_41
; %bb.33:
	v_lshrrev_b32_e32 v4, 7, v4
	v_add_u32_e32 v6, -1, v4
	v_lshrrev_b32_e32 v5, 1, v6
	v_mov_b32_e32 v3, v2
	v_add_u32_e32 v5, 1, v5
	v_cmp_lt_u32_e32 vcc, 13, v6
	v_mov_b32_e32 v8, 0
	s_and_saveexec_b64 s[8:9], vcc
	s_cbranch_execz .LBB41_37
; %bb.34:
	v_mov_b32_e32 v7, 0x1f0
	v_and_b32_e32 v6, -8, v5
	v_lshl_add_u32 v7, v0, 2, v7
	s_mov_b32 s34, 0
	s_mov_b64 s[30:31], 0
.LBB41_35:                              ; =>This Inner Loop Header: Depth=1
	ds_read2st64_b32 v[8:9], v7 offset1:2
	ds_read2st64_b32 v[10:11], v7 offset0:4 offset1:6
	ds_read2st64_b32 v[12:13], v7 offset0:8 offset1:10
	ds_read2st64_b32 v[14:15], v7 offset0:12 offset1:14
	v_add_u32_e32 v6, -8, v6
	s_waitcnt lgkmcnt(3)
	v_pk_mul_f32 v[8:9], v[2:3], v[8:9]
	s_waitcnt lgkmcnt(2)
	v_pk_mul_f32 v[10:11], v[2:3], v[10:11]
	ds_write2st64_b32 v7, v8, v9 offset1:2
	ds_write2st64_b32 v7, v10, v11 offset0:4 offset1:6
	ds_read2st64_b32 v[10:11], v7 offset0:16 offset1:18
	s_waitcnt lgkmcnt(4)
	v_pk_mul_f32 v[8:9], v[2:3], v[12:13]
	ds_write2st64_b32 v7, v8, v9 offset0:8 offset1:10
	s_waitcnt lgkmcnt(4)
	v_pk_mul_f32 v[8:9], v[2:3], v[14:15]
	ds_write2st64_b32 v7, v8, v9 offset0:12 offset1:14
	ds_read2st64_b32 v[8:9], v7 offset0:20 offset1:22
	s_waitcnt lgkmcnt(3)
	v_pk_mul_f32 v[10:11], v[2:3], v[10:11]
	ds_read2st64_b32 v[12:13], v7 offset0:24 offset1:26
	ds_write2st64_b32 v7, v10, v11 offset0:16 offset1:18
	ds_read2st64_b32 v[10:11], v7 offset0:28 offset1:30
	s_waitcnt lgkmcnt(3)
	v_pk_mul_f32 v[8:9], v[2:3], v[8:9]
	ds_write2st64_b32 v7, v8, v9 offset0:20 offset1:22
	s_waitcnt lgkmcnt(3)
	v_pk_mul_f32 v[8:9], v[2:3], v[12:13]
	ds_write2st64_b32 v7, v8, v9 offset0:24 offset1:26
	s_waitcnt lgkmcnt(2)
	v_pk_mul_f32 v[8:9], v[2:3], v[10:11]
	s_add_i32 s34, s34, 16
	v_cmp_eq_u32_e32 vcc, 0, v6
	ds_write2st64_b32 v7, v8, v9 offset0:28 offset1:30
	v_add_u32_e32 v7, 0x2000, v7
	s_or_b64 s[30:31], vcc, s[30:31]
	v_mov_b32_e32 v8, s34
	s_andn2_b64 exec, exec, s[30:31]
	s_cbranch_execnz .LBB41_35
; %bb.36:
	s_or_b64 exec, exec, s[30:31]
.LBB41_37:
	s_or_b64 exec, exec, s[8:9]
	v_and_b32_e32 v5, 7, v5
	v_cmp_ne_u32_e32 vcc, 0, v5
	s_and_saveexec_b64 s[8:9], vcc
	s_cbranch_execz .LBB41_40
; %bb.38:
	v_lshlrev_b32_e32 v6, 9, v8
	s_movk_i32 s30, 0x1f0
	v_add3_u32 v6, v6, v34, s30
	s_mov_b64 s[30:31], 0
.LBB41_39:                              ; =>This Inner Loop Header: Depth=1
	ds_read2st64_b32 v[8:9], v6 offset1:2
	v_add_u32_e32 v5, -1, v5
	v_cmp_eq_u32_e32 vcc, 0, v5
	s_or_b64 s[30:31], vcc, s[30:31]
	s_waitcnt lgkmcnt(0)
	v_pk_mul_f32 v[8:9], v[2:3], v[8:9]
	ds_write2st64_b32 v6, v8, v9 offset1:2
	v_add_u32_e32 v6, 0x400, v6
	s_andn2_b64 exec, exec, s[30:31]
	s_cbranch_execnz .LBB41_39
.LBB41_40:
	s_or_b64 exec, exec, s[8:9]
	v_add_u32_e32 v4, 1, v4
	v_and_b32_e32 v5, 0x3fffffe, v4
	v_cmp_ne_u32_e32 vcc, v4, v5
	v_lshl_add_u32 v3, v5, 7, v0
	s_orn2_b64 s[8:9], vcc, exec
.LBB41_41:
	s_or_b64 exec, exec, s[2:3]
	s_and_b64 exec, exec, s[8:9]
	s_cbranch_execz .LBB41_44
; %bb.42:
	v_mov_b32_e32 v4, 0x1f0
	v_lshl_add_u32 v4, v3, 2, v4
	s_mov_b64 s[2:3], 0
.LBB41_43:                              ; =>This Inner Loop Header: Depth=1
	ds_read_b32 v5, v4
	v_add_u32_e32 v3, 0x80, v3
	v_cmp_le_i32_e32 vcc, s15, v3
	s_or_b64 s[2:3], vcc, s[2:3]
	s_waitcnt lgkmcnt(0)
	v_mul_f32_e32 v5, v2, v5
	ds_write_b32 v4, v5
	v_add_u32_e32 v4, 0x200, v4
	s_andn2_b64 exec, exec, s[2:3]
	s_cbranch_execnz .LBB41_43
.LBB41_44:
	s_or_b64 exec, exec, s[0:1]
	v_mov_b32_e32 v80, 0
	v_and_b32_e32 v111, 7, v0
	v_mov_b32_e32 v81, 0
	v_mov_b32_e32 v76, 0
	;; [unrolled: 1-line block ×14, first 2 shown]
	s_waitcnt lgkmcnt(0)
	s_barrier
	s_and_saveexec_b64 s[2:3], s[6:7]
	s_cbranch_execz .LBB41_80
; %bb.45:
	s_ashr_i32 s15, s14, 31
	s_sub_i32 s17, s12, s17
	s_lshl_b64 s[0:1], s[14:15], 2
	s_add_u32 s6, s28, s0
	s_addc_u32 s7, s29, s1
	s_abs_i32 s18, s18
	v_cvt_f32_u32_e32 v3, s18
	s_sub_i32 s0, 0, s18
	s_add_i32 s28, s16, -1
	v_and_b32_e32 v2, 0xfc, v34
	v_rcp_iflag_f32_e32 v3, v3
	v_mov_b32_e32 v79, 0
	v_or_b32_e32 v4, 0x400, v2
	v_or_b32_e32 v6, 0x500, v2
	v_mul_f32_e32 v3, 0x4f7ffffe, v3
	v_cvt_u32_f32_e32 v3, v3
	v_or_b32_e32 v8, 0x600, v2
	v_or_b32_e32 v10, 0x700, v2
	;; [unrolled: 1-line block ×3, first 2 shown]
	v_mul_lo_u32 v5, s0, v3
	v_mul_hi_u32 v5, v3, v5
	s_lshl_b64 s[0:1], s[26:27], 2
	v_add_u32_e32 v114, v3, v5
	s_add_u32 s0, s24, s0
	v_lshlrev_b32_e32 v3, 4, v111
	v_or_b32_e32 v14, 0x900, v2
	v_or_b32_e32 v16, 0xa00, v2
	;; [unrolled: 1-line block ×6, first 2 shown]
	v_and_b32_e32 v78, 60, v35
	s_addc_u32 s1, s25, s1
	v_lshl_or_b32 v3, v1, 7, v3
	v_and_b32_e32 v113, 28, v34
	s_mov_b32 s30, s13
	v_lshl_add_u64 v[82:83], s[0:1], 0, v[78:79]
	v_add_u32_e32 v115, 0x1f0, v3
	s_mov_b64 s[8:9], 0
	v_lshlrev_b32_e32 v84, 2, v2
	v_lshlrev_b32_e32 v78, 2, v4
	;; [unrolled: 1-line block ×12, first 2 shown]
	v_mov_b32_e32 v112, v79
	v_mov_b32_e32 v67, v79
	;; [unrolled: 1-line block ×15, first 2 shown]
	s_branch .LBB41_48
.LBB41_46:                              ;   in Loop: Header=BB41_48 Depth=1
	s_or_b64 exec, exec, s[0:1]
	s_waitcnt vmcnt(1) lgkmcnt(0)
	v_mul_f32_e32 v63, v3, v63
	v_mul_f32_e32 v59, v3, v59
	;; [unrolled: 1-line block ×14, first 2 shown]
	s_waitcnt vmcnt(0)
	v_mul_f32_e32 v3, v3, v55
	v_fmac_f32_e32 v63, v2, v62
	v_fmac_f32_e32 v59, v2, v58
	;; [unrolled: 1-line block ×45, first 2 shown]
	v_add_f32_e32 v67, v67, v63
	v_add_f32_e32 v66, v66, v59
	;; [unrolled: 1-line block ×15, first 2 shown]
.LBB41_47:                              ;   in Loop: Header=BB41_48 Depth=1
	s_or_b64 exec, exec, s[12:13]
	v_add_u32_e32 v1, 2, v1
	v_cmp_le_i32_e32 vcc, s16, v1
	v_lshl_add_u64 v[82:83], v[82:83], 0, 8
	v_add_u32_e32 v106, 64, v106
	s_or_b64 s[8:9], vcc, s[8:9]
	v_add_u32_e32 v115, 0x100, v115
	s_andn2_b64 exec, exec, s[8:9]
	s_cbranch_execz .LBB41_79
.LBB41_48:                              ; =>This Inner Loop Header: Depth=1
	v_mul_hi_u32 v2, v106, s40
	v_mul_lo_u32 v3, v2, s21
	v_sub_u32_e32 v3, v106, v3
	v_add_u32_e32 v4, 1, v2
	v_cmp_le_u32_e32 vcc, s21, v3
	s_nop 1
	v_cndmask_b32_e32 v2, v2, v4, vcc
	v_subrev_u32_e32 v4, s21, v3
	v_cndmask_b32_e32 v3, v3, v4, vcc
	v_add_u32_e32 v4, 1, v2
	v_cmp_le_u32_e32 vcc, s21, v3
	s_nop 1
	v_cndmask_b32_e32 v2, v2, v4, vcc
	v_xor_b32_e32 v2, s19, v2
	v_subrev_u32_e32 v2, s19, v2
	v_add_u32_e32 v3, s41, v2
	v_sub_u32_e32 v5, 0, v3
	v_ashrrev_i32_e32 v4, 31, v3
	v_max_i32_e32 v3, v3, v5
	v_mul_hi_u32 v5, v3, v114
	v_mul_lo_u32 v5, v5, s18
	v_sub_u32_e32 v3, v3, v5
	v_subrev_u32_e32 v5, s18, v3
	v_cmp_le_u32_e32 vcc, s18, v3
	v_cmp_lt_i32_e64 s[0:1], s17, v2
	s_nop 0
	v_cndmask_b32_e32 v3, v3, v5, vcc
	v_subrev_u32_e32 v5, s18, v3
	v_cmp_le_u32_e32 vcc, s18, v3
	s_nop 1
	v_cndmask_b32_e32 v3, v3, v5, vcc
	v_xor_b32_e32 v3, v3, v4
	v_sub_u32_e32 v3, v3, v4
	v_cmp_eq_u32_e32 vcc, 0, v3
	s_or_b64 s[0:1], vcc, s[0:1]
	s_and_saveexec_b64 s[12:13], s[0:1]
	s_cbranch_execz .LBB41_47
; %bb.49:                               ;   in Loop: Header=BB41_48 Depth=1
	global_load_dword v2, v[82:83], off
	v_mov_b32_e32 v85, v79
	v_cmp_eq_u32_e32 vcc, s28, v1
	s_waitcnt vmcnt(0)
	v_mad_i64_i32 v[2:3], s[0:1], v2, s30, 0
	v_lshl_add_u64 v[54:55], v[2:3], 2, s[6:7]
	v_lshl_add_u64 v[18:19], v[54:55], 0, v[84:85]
	global_load_dwordx4 v[6:9], v[18:19], off
	ds_read_b128 v[2:5], v115
	v_add_u32_e32 v85, v113, v106
	v_add_u32_e32 v118, 1, v85
	;; [unrolled: 1-line block ×4, first 2 shown]
	s_and_saveexec_b64 s[14:15], vcc
	s_cbranch_execnz .LBB41_76
; %bb.50:                               ;   in Loop: Header=BB41_48 Depth=1
	s_or_b64 exec, exec, s[14:15]
	global_load_dwordx4 v[10:13], v[18:19], off offset:1024
	s_and_saveexec_b64 s[14:15], vcc
	s_cbranch_execnz .LBB41_77
.LBB41_51:                              ;   in Loop: Header=BB41_48 Depth=1
	s_or_b64 exec, exec, s[14:15]
	global_load_dwordx4 v[14:17], v[18:19], off offset:2048
	s_and_saveexec_b64 s[14:15], vcc
	s_cbranch_execnz .LBB41_78
.LBB41_52:                              ;   in Loop: Header=BB41_48 Depth=1
	s_or_b64 exec, exec, s[14:15]
	global_load_dwordx4 v[18:21], v[18:19], off offset:3072
	s_and_saveexec_b64 s[14:15], vcc
	s_cbranch_execz .LBB41_54
.LBB41_53:                              ;   in Loop: Header=BB41_48 Depth=1
	v_cmp_gt_i32_e64 s[0:1], s33, v85
	s_waitcnt vmcnt(0)
	s_nop 0
	v_cndmask_b32_e64 v18, 0, v18, s[0:1]
	v_cmp_gt_i32_e64 s[0:1], s33, v118
	s_nop 1
	v_cndmask_b32_e64 v19, 0, v19, s[0:1]
	v_cmp_gt_i32_e64 s[0:1], s33, v117
	;; [unrolled: 3-line block ×3, first 2 shown]
	s_nop 1
	v_cndmask_b32_e64 v21, 0, v21, s[0:1]
.LBB41_54:                              ;   in Loop: Header=BB41_48 Depth=1
	s_or_b64 exec, exec, s[14:15]
	v_lshl_add_u64 v[22:23], v[54:55], 0, v[78:79]
	global_load_dwordx4 v[22:25], v[22:23], off
	s_and_saveexec_b64 s[14:15], vcc
	s_cbranch_execz .LBB41_56
; %bb.55:                               ;   in Loop: Header=BB41_48 Depth=1
	v_cmp_gt_i32_e64 s[0:1], s33, v85
	s_waitcnt vmcnt(0)
	s_nop 0
	v_cndmask_b32_e64 v22, 0, v22, s[0:1]
	v_cmp_gt_i32_e64 s[0:1], s33, v118
	s_nop 1
	v_cndmask_b32_e64 v23, 0, v23, s[0:1]
	v_cmp_gt_i32_e64 s[0:1], s33, v117
	s_nop 1
	v_cndmask_b32_e64 v24, 0, v24, s[0:1]
	v_cmp_gt_i32_e64 s[0:1], s33, v116
	s_nop 1
	v_cndmask_b32_e64 v25, 0, v25, s[0:1]
.LBB41_56:                              ;   in Loop: Header=BB41_48 Depth=1
	s_or_b64 exec, exec, s[14:15]
	v_mov_b32_e32 v87, v79
	v_lshl_add_u64 v[26:27], v[54:55], 0, v[86:87]
	global_load_dwordx4 v[26:29], v[26:27], off
	s_and_saveexec_b64 s[14:15], vcc
	s_cbranch_execz .LBB41_58
; %bb.57:                               ;   in Loop: Header=BB41_48 Depth=1
	v_cmp_gt_i32_e64 s[0:1], s33, v85
	s_waitcnt vmcnt(0)
	s_nop 0
	v_cndmask_b32_e64 v26, 0, v26, s[0:1]
	v_cmp_gt_i32_e64 s[0:1], s33, v118
	s_nop 1
	v_cndmask_b32_e64 v27, 0, v27, s[0:1]
	v_cmp_gt_i32_e64 s[0:1], s33, v117
	s_nop 1
	v_cndmask_b32_e64 v28, 0, v28, s[0:1]
	v_cmp_gt_i32_e64 s[0:1], s33, v116
	s_nop 1
	v_cndmask_b32_e64 v29, 0, v29, s[0:1]
.LBB41_58:                              ;   in Loop: Header=BB41_48 Depth=1
	s_or_b64 exec, exec, s[14:15]
	v_mov_b32_e32 v89, v79
	;; [unrolled: 21-line block ×10, first 2 shown]
	v_lshl_add_u64 v[54:55], v[54:55], 0, v[104:105]
	global_load_dwordx4 v[54:57], v[54:55], off
	s_and_saveexec_b64 s[0:1], vcc
	s_cbranch_execz .LBB41_46
; %bb.75:                               ;   in Loop: Header=BB41_48 Depth=1
	v_cmp_gt_i32_e32 vcc, s33, v85
	s_waitcnt vmcnt(0)
	s_nop 0
	v_cndmask_b32_e32 v54, 0, v54, vcc
	v_cmp_gt_i32_e32 vcc, s33, v118
	s_nop 1
	v_cndmask_b32_e32 v55, 0, v55, vcc
	v_cmp_gt_i32_e32 vcc, s33, v117
	;; [unrolled: 3-line block ×3, first 2 shown]
	s_nop 1
	v_cndmask_b32_e32 v57, 0, v57, vcc
	s_branch .LBB41_46
.LBB41_76:                              ;   in Loop: Header=BB41_48 Depth=1
	v_cmp_gt_i32_e64 s[0:1], s33, v85
	s_waitcnt vmcnt(0)
	s_nop 0
	v_cndmask_b32_e64 v6, 0, v6, s[0:1]
	v_cmp_gt_i32_e64 s[0:1], s33, v118
	s_nop 1
	v_cndmask_b32_e64 v7, 0, v7, s[0:1]
	v_cmp_gt_i32_e64 s[0:1], s33, v117
	;; [unrolled: 3-line block ×3, first 2 shown]
	s_nop 1
	v_cndmask_b32_e64 v9, 0, v9, s[0:1]
	s_or_b64 exec, exec, s[14:15]
	global_load_dwordx4 v[10:13], v[18:19], off offset:1024
	s_and_saveexec_b64 s[14:15], vcc
	s_cbranch_execz .LBB41_51
.LBB41_77:                              ;   in Loop: Header=BB41_48 Depth=1
	v_cmp_gt_i32_e64 s[0:1], s33, v85
	s_waitcnt vmcnt(0)
	s_nop 0
	v_cndmask_b32_e64 v10, 0, v10, s[0:1]
	v_cmp_gt_i32_e64 s[0:1], s33, v118
	s_nop 1
	v_cndmask_b32_e64 v11, 0, v11, s[0:1]
	v_cmp_gt_i32_e64 s[0:1], s33, v117
	;; [unrolled: 3-line block ×3, first 2 shown]
	s_nop 1
	v_cndmask_b32_e64 v13, 0, v13, s[0:1]
	s_or_b64 exec, exec, s[14:15]
	global_load_dwordx4 v[14:17], v[18:19], off offset:2048
	s_and_saveexec_b64 s[14:15], vcc
	s_cbranch_execz .LBB41_52
.LBB41_78:                              ;   in Loop: Header=BB41_48 Depth=1
	v_cmp_gt_i32_e64 s[0:1], s33, v85
	s_waitcnt vmcnt(0)
	s_nop 0
	v_cndmask_b32_e64 v14, 0, v14, s[0:1]
	v_cmp_gt_i32_e64 s[0:1], s33, v118
	s_nop 1
	v_cndmask_b32_e64 v15, 0, v15, s[0:1]
	v_cmp_gt_i32_e64 s[0:1], s33, v117
	;; [unrolled: 3-line block ×3, first 2 shown]
	s_nop 1
	v_cndmask_b32_e64 v17, 0, v17, s[0:1]
	s_or_b64 exec, exec, s[14:15]
	global_load_dwordx4 v[18:21], v[18:19], off offset:3072
	s_and_saveexec_b64 s[14:15], vcc
	s_cbranch_execnz .LBB41_53
	s_branch .LBB41_54
.LBB41_79:
	s_or_b64 exec, exec, s[8:9]
.LBB41_80:
	s_or_b64 exec, exec, s[2:3]
	ds_bpermute_b32 v4, v108, v76
	ds_bpermute_b32 v5, v108, v77
	;; [unrolled: 1-line block ×6, first 2 shown]
	s_waitcnt lgkmcnt(4)
	v_pk_add_f32 v[4:5], v[76:77], v[4:5]
	ds_bpermute_b32 v8, v109, v4
	ds_bpermute_b32 v9, v109, v5
	s_waitcnt lgkmcnt(4)
	v_pk_add_f32 v[2:3], v[80:81], v[2:3]
	ds_bpermute_b32 v6, v109, v2
	ds_bpermute_b32 v7, v109, v3
	;; [unrolled: 1-line block ×3, first 2 shown]
	s_waitcnt lgkmcnt(3)
	v_pk_add_f32 v[4:5], v[4:5], v[8:9]
	v_pk_add_f32 v[8:9], v[74:75], v[10:11]
	ds_bpermute_b32 v10, v109, v8
	ds_bpermute_b32 v11, v109, v9
	;; [unrolled: 1-line block ×3, first 2 shown]
	s_waitcnt lgkmcnt(4)
	v_pk_add_f32 v[2:3], v[2:3], v[6:7]
	ds_bpermute_b32 v6, v110, v2
	ds_bpermute_b32 v7, v110, v3
	s_waitcnt lgkmcnt(3)
	v_pk_add_f32 v[8:9], v[8:9], v[10:11]
	s_waitcnt lgkmcnt(2)
	v_pk_add_f32 v[14:15], v[72:73], v[14:15]
	ds_bpermute_b32 v10, v110, v8
	ds_bpermute_b32 v11, v110, v9
	;; [unrolled: 1-line block ×6, first 2 shown]
	s_waitcnt lgkmcnt(6)
	v_pk_add_f32 v[6:7], v[2:3], v[6:7]
	s_waitcnt lgkmcnt(4)
	v_pk_add_f32 v[2:3], v[8:9], v[10:11]
	s_waitcnt lgkmcnt(2)
	v_pk_add_f32 v[8:9], v[14:15], v[16:17]
	ds_bpermute_b32 v16, v108, v68
	ds_bpermute_b32 v17, v108, v69
	;; [unrolled: 1-line block ×4, first 2 shown]
	s_waitcnt lgkmcnt(4)
	v_pk_add_f32 v[10:11], v[70:71], v[18:19]
	ds_bpermute_b32 v18, v108, v66
	ds_bpermute_b32 v19, v108, v67
	s_waitcnt lgkmcnt(4)
	v_pk_add_f32 v[16:17], v[68:69], v[16:17]
	s_waitcnt lgkmcnt(2)
	v_pk_add_f32 v[4:5], v[4:5], v[12:13]
	ds_bpermute_b32 v12, v109, v10
	ds_bpermute_b32 v13, v109, v11
	;; [unrolled: 1-line block ×5, first 2 shown]
	s_waitcnt lgkmcnt(5)
	v_pk_add_f32 v[18:19], v[66:67], v[18:19]
	s_waitcnt lgkmcnt(3)
	v_pk_add_f32 v[10:11], v[10:11], v[12:13]
	ds_bpermute_b32 v22, v109, v18
	ds_bpermute_b32 v23, v109, v19
	s_waitcnt lgkmcnt(3)
	v_pk_add_f32 v[16:17], v[16:17], v[20:21]
	s_waitcnt lgkmcnt(2)
	v_add_f32_e32 v1, v112, v1
	ds_bpermute_b32 v12, v110, v10
	ds_bpermute_b32 v13, v110, v11
	ds_bpermute_b32 v20, v110, v16
	ds_bpermute_b32 v21, v110, v17
	ds_bpermute_b32 v24, v109, v1
	s_waitcnt lgkmcnt(5)
	v_pk_add_f32 v[18:19], v[18:19], v[22:23]
	ds_bpermute_b32 v14, v110, v8
	ds_bpermute_b32 v15, v110, v9
	;; [unrolled: 1-line block ×4, first 2 shown]
	s_waitcnt lgkmcnt(7)
	v_pk_add_f32 v[12:13], v[10:11], v[12:13]
	s_waitcnt lgkmcnt(5)
	v_pk_add_f32 v[10:11], v[16:17], v[20:21]
	s_waitcnt lgkmcnt(4)
	v_add_f32_e32 v16, v1, v24
	ds_bpermute_b32 v17, v110, v16
	v_and_b32_e32 v1, 0x3c7, v0
	s_waitcnt lgkmcnt(3)
	v_pk_add_f32 v[14:15], v[8:9], v[14:15]
	s_waitcnt lgkmcnt(1)
	v_pk_add_f32 v[8:9], v[18:19], v[22:23]
	v_cmp_ne_u32_e32 vcc, 64, v1
	s_waitcnt lgkmcnt(0)
	s_barrier
	s_and_saveexec_b64 s[0:1], vcc
	s_xor_b64 s[0:1], exec, s[0:1]
; %bb.81:
                                        ; implicit-def: $vgpr107
; %bb.82:
	s_or_saveexec_b64 s[0:1], s[0:1]
	v_add_f32_e32 v16, v16, v17
	s_xor_b64 exec, exec, s[0:1]
	s_cbranch_execz .LBB41_84
; %bb.83:
	v_lshrrev_b32_e32 v17, 1, v107
	v_add_u32_e32 v17, 0x1f0, v17
	ds_write2_b32 v17, v6, v7 offset1:8
	ds_write2_b32 v17, v4, v5 offset0:16 offset1:24
	ds_write2_b32 v17, v2, v3 offset0:32 offset1:40
	;; [unrolled: 1-line block ×6, first 2 shown]
	ds_write_b32 v17, v16 offset:448
.LBB41_84:
	s_or_b64 exec, exec, s[0:1]
	v_cmp_gt_u32_e32 vcc, 64, v0
	s_waitcnt lgkmcnt(0)
	s_barrier
	s_and_saveexec_b64 s[0:1], vcc
	s_cbranch_execz .LBB41_102
; %bb.85:
	v_cmp_eq_u32_e32 vcc, 0, v111
	v_lshrrev_b32_e32 v17, 3, v0
	s_and_saveexec_b64 s[2:3], vcc
	s_cbranch_execnz .LBB41_105
; %bb.86:
	s_or_b64 exec, exec, s[2:3]
	s_and_saveexec_b64 s[2:3], vcc
	s_cbranch_execnz .LBB41_106
.LBB41_87:
	s_or_b64 exec, exec, s[2:3]
	s_and_saveexec_b64 s[2:3], vcc
	s_cbranch_execnz .LBB41_107
.LBB41_88:
	s_or_b64 exec, exec, s[2:3]
	s_and_saveexec_b64 s[2:3], vcc
	s_cbranch_execnz .LBB41_108
.LBB41_89:
	s_or_b64 exec, exec, s[2:3]
	s_and_saveexec_b64 s[2:3], vcc
	s_cbranch_execnz .LBB41_109
.LBB41_90:
	s_or_b64 exec, exec, s[2:3]
	s_and_saveexec_b64 s[2:3], vcc
	s_cbranch_execnz .LBB41_110
.LBB41_91:
	s_or_b64 exec, exec, s[2:3]
	s_and_saveexec_b64 s[2:3], vcc
	s_cbranch_execnz .LBB41_111
.LBB41_92:
	s_or_b64 exec, exec, s[2:3]
	s_and_saveexec_b64 s[2:3], vcc
	s_cbranch_execnz .LBB41_112
.LBB41_93:
	s_or_b64 exec, exec, s[2:3]
	s_and_saveexec_b64 s[2:3], vcc
	s_cbranch_execnz .LBB41_113
.LBB41_94:
	s_or_b64 exec, exec, s[2:3]
	s_and_saveexec_b64 s[2:3], vcc
	s_cbranch_execnz .LBB41_114
.LBB41_95:
	s_or_b64 exec, exec, s[2:3]
	s_and_saveexec_b64 s[2:3], vcc
	s_cbranch_execnz .LBB41_115
.LBB41_96:
	s_or_b64 exec, exec, s[2:3]
	s_and_saveexec_b64 s[2:3], vcc
	s_cbranch_execnz .LBB41_116
.LBB41_97:
	s_or_b64 exec, exec, s[2:3]
	s_and_saveexec_b64 s[2:3], vcc
	s_cbranch_execnz .LBB41_117
.LBB41_98:
	s_or_b64 exec, exec, s[2:3]
	s_and_saveexec_b64 s[2:3], vcc
	s_cbranch_execnz .LBB41_118
.LBB41_99:
	s_or_b64 exec, exec, s[2:3]
	s_and_saveexec_b64 s[2:3], vcc
	s_cbranch_execz .LBB41_101
.LBB41_100:
	v_mov_b32_e32 v18, 0x1f0
	v_lshl_add_u32 v17, v17, 2, v18
	ds_read_b32 v17, v17 offset:448
	s_waitcnt lgkmcnt(0)
	v_add_f32_e32 v16, v16, v17
.LBB41_101:
	s_or_b64 exec, exec, s[2:3]
.LBB41_102:
	s_or_b64 exec, exec, s[0:1]
	v_cmp_eq_u32_e32 vcc, 0, v1
	s_barrier
	s_and_saveexec_b64 s[0:1], vcc
	s_cbranch_execz .LBB41_104
; %bb.103:
	s_mul_i32 s0, s10, s11
	s_mul_i32 s0, s0, s5
	s_mulk_i32 s0, 0x78
	s_ashr_i32 s1, s0, 31
	s_lshl_b64 s[0:1], s[0:1], 2
	s_add_u32 s2, s22, s0
	s_mul_i32 s0, s11, s20
	s_addc_u32 s3, s23, s1
	s_ashr_i32 s1, s0, 31
	s_lshl_b64 s[0:1], s[0:1], 2
	s_add_u32 s2, s2, s0
	s_mul_i32 s0, s4, 0x78
	s_addc_u32 s3, s3, s1
	s_ashr_i32 s1, s0, 31
	s_lshl_b64 s[0:1], s[0:1], 2
	s_add_u32 s0, s2, s0
	s_addc_u32 s1, s3, s1
	v_lshrrev_b32_e32 v0, 1, v0
	global_store_dword v0, v6, s[0:1]
	global_store_dword v0, v7, s[0:1] offset:32
	global_store_dword v0, v4, s[0:1] offset:64
	;; [unrolled: 1-line block ×14, first 2 shown]
.LBB41_104:
	s_endpgm
.LBB41_105:
	v_mov_b32_e32 v18, 0x1f0
	v_lshl_add_u32 v18, v17, 2, v18
	ds_read_b32 v18, v18
	s_waitcnt lgkmcnt(0)
	v_add_f32_e32 v6, v6, v18
	s_or_b64 exec, exec, s[2:3]
	s_and_saveexec_b64 s[2:3], vcc
	s_cbranch_execz .LBB41_87
.LBB41_106:
	v_mov_b32_e32 v18, 0x1f0
	v_lshl_add_u32 v18, v17, 2, v18
	ds_read_b32 v18, v18 offset:32
	s_waitcnt lgkmcnt(0)
	v_add_f32_e32 v7, v7, v18
	s_or_b64 exec, exec, s[2:3]
	s_and_saveexec_b64 s[2:3], vcc
	s_cbranch_execz .LBB41_88
.LBB41_107:
	v_mov_b32_e32 v18, 0x1f0
	v_lshl_add_u32 v18, v17, 2, v18
	ds_read_b32 v18, v18 offset:64
	s_waitcnt lgkmcnt(0)
	v_add_f32_e32 v4, v4, v18
	s_or_b64 exec, exec, s[2:3]
	s_and_saveexec_b64 s[2:3], vcc
	s_cbranch_execz .LBB41_89
.LBB41_108:
	v_mov_b32_e32 v18, 0x1f0
	v_lshl_add_u32 v18, v17, 2, v18
	ds_read_b32 v18, v18 offset:96
	s_waitcnt lgkmcnt(0)
	v_add_f32_e32 v5, v5, v18
	s_or_b64 exec, exec, s[2:3]
	s_and_saveexec_b64 s[2:3], vcc
	s_cbranch_execz .LBB41_90
.LBB41_109:
	v_mov_b32_e32 v18, 0x1f0
	v_lshl_add_u32 v18, v17, 2, v18
	ds_read_b32 v18, v18 offset:128
	s_waitcnt lgkmcnt(0)
	v_add_f32_e32 v2, v2, v18
	s_or_b64 exec, exec, s[2:3]
	s_and_saveexec_b64 s[2:3], vcc
	s_cbranch_execz .LBB41_91
.LBB41_110:
	v_mov_b32_e32 v18, 0x1f0
	v_lshl_add_u32 v18, v17, 2, v18
	ds_read_b32 v18, v18 offset:160
	s_waitcnt lgkmcnt(0)
	v_add_f32_e32 v3, v3, v18
	s_or_b64 exec, exec, s[2:3]
	s_and_saveexec_b64 s[2:3], vcc
	s_cbranch_execz .LBB41_92
.LBB41_111:
	v_mov_b32_e32 v18, 0x1f0
	v_lshl_add_u32 v18, v17, 2, v18
	ds_read_b32 v18, v18 offset:192
	s_waitcnt lgkmcnt(0)
	v_add_f32_e32 v14, v14, v18
	s_or_b64 exec, exec, s[2:3]
	s_and_saveexec_b64 s[2:3], vcc
	s_cbranch_execz .LBB41_93
.LBB41_112:
	v_mov_b32_e32 v18, 0x1f0
	v_lshl_add_u32 v18, v17, 2, v18
	ds_read_b32 v18, v18 offset:224
	s_waitcnt lgkmcnt(0)
	v_add_f32_e32 v15, v15, v18
	s_or_b64 exec, exec, s[2:3]
	s_and_saveexec_b64 s[2:3], vcc
	s_cbranch_execz .LBB41_94
.LBB41_113:
	v_mov_b32_e32 v18, 0x1f0
	v_lshl_add_u32 v18, v17, 2, v18
	ds_read_b32 v18, v18 offset:256
	s_waitcnt lgkmcnt(0)
	v_add_f32_e32 v12, v12, v18
	s_or_b64 exec, exec, s[2:3]
	s_and_saveexec_b64 s[2:3], vcc
	s_cbranch_execz .LBB41_95
.LBB41_114:
	v_mov_b32_e32 v18, 0x1f0
	v_lshl_add_u32 v18, v17, 2, v18
	ds_read_b32 v18, v18 offset:288
	s_waitcnt lgkmcnt(0)
	v_add_f32_e32 v13, v13, v18
	s_or_b64 exec, exec, s[2:3]
	s_and_saveexec_b64 s[2:3], vcc
	s_cbranch_execz .LBB41_96
.LBB41_115:
	v_mov_b32_e32 v18, 0x1f0
	v_lshl_add_u32 v18, v17, 2, v18
	ds_read_b32 v18, v18 offset:320
	s_waitcnt lgkmcnt(0)
	v_add_f32_e32 v10, v10, v18
	s_or_b64 exec, exec, s[2:3]
	s_and_saveexec_b64 s[2:3], vcc
	s_cbranch_execz .LBB41_97
.LBB41_116:
	v_mov_b32_e32 v18, 0x1f0
	v_lshl_add_u32 v18, v17, 2, v18
	ds_read_b32 v18, v18 offset:352
	s_waitcnt lgkmcnt(0)
	v_add_f32_e32 v11, v11, v18
	s_or_b64 exec, exec, s[2:3]
	s_and_saveexec_b64 s[2:3], vcc
	s_cbranch_execz .LBB41_98
.LBB41_117:
	v_mov_b32_e32 v18, 0x1f0
	v_lshl_add_u32 v18, v17, 2, v18
	ds_read_b32 v18, v18 offset:384
	s_waitcnt lgkmcnt(0)
	v_add_f32_e32 v8, v8, v18
	s_or_b64 exec, exec, s[2:3]
	s_and_saveexec_b64 s[2:3], vcc
	s_cbranch_execz .LBB41_99
.LBB41_118:
	v_mov_b32_e32 v18, 0x1f0
	v_lshl_add_u32 v18, v17, 2, v18
	ds_read_b32 v18, v18 offset:416
	s_waitcnt lgkmcnt(0)
	v_add_f32_e32 v9, v9, v18
	s_or_b64 exec, exec, s[2:3]
	s_and_saveexec_b64 s[2:3], vcc
	s_cbranch_execnz .LBB41_100
	s_branch .LBB41_101
	.section	.rodata,"a",@progbits
	.p2align	6, 0x0
	.amdhsa_kernel _ZN4vllm25paged_attention_v1_kernelIffLi120ELi32ELi128ELNS_18Fp8KVCacheDataTypeE0ELb1EEEvPT_PKS2_PKT0_S8_ifPKiSA_iPKfiiiSC_SC_iiiii
		.amdhsa_group_segment_fixed_size 496
		.amdhsa_private_segment_fixed_size 0
		.amdhsa_kernarg_size 384
		.amdhsa_user_sgpr_count 2
		.amdhsa_user_sgpr_dispatch_ptr 0
		.amdhsa_user_sgpr_queue_ptr 0
		.amdhsa_user_sgpr_kernarg_segment_ptr 1
		.amdhsa_user_sgpr_dispatch_id 0
		.amdhsa_user_sgpr_kernarg_preload_length 0
		.amdhsa_user_sgpr_kernarg_preload_offset 0
		.amdhsa_user_sgpr_private_segment_size 0
		.amdhsa_uses_dynamic_stack 0
		.amdhsa_enable_private_segment 0
		.amdhsa_system_sgpr_workgroup_id_x 1
		.amdhsa_system_sgpr_workgroup_id_y 1
		.amdhsa_system_sgpr_workgroup_id_z 1
		.amdhsa_system_sgpr_workgroup_info 0
		.amdhsa_system_vgpr_workitem_id 0
		.amdhsa_next_free_vgpr 119
		.amdhsa_next_free_sgpr 47
		.amdhsa_accum_offset 120
		.amdhsa_reserve_vcc 1
		.amdhsa_float_round_mode_32 0
		.amdhsa_float_round_mode_16_64 0
		.amdhsa_float_denorm_mode_32 3
		.amdhsa_float_denorm_mode_16_64 3
		.amdhsa_dx10_clamp 1
		.amdhsa_ieee_mode 1
		.amdhsa_fp16_overflow 0
		.amdhsa_tg_split 0
		.amdhsa_exception_fp_ieee_invalid_op 0
		.amdhsa_exception_fp_denorm_src 0
		.amdhsa_exception_fp_ieee_div_zero 0
		.amdhsa_exception_fp_ieee_overflow 0
		.amdhsa_exception_fp_ieee_underflow 0
		.amdhsa_exception_fp_ieee_inexact 0
		.amdhsa_exception_int_div_zero 0
	.end_amdhsa_kernel
	.section	.text._ZN4vllm25paged_attention_v1_kernelIffLi120ELi32ELi128ELNS_18Fp8KVCacheDataTypeE0ELb1EEEvPT_PKS2_PKT0_S8_ifPKiSA_iPKfiiiSC_SC_iiiii,"axG",@progbits,_ZN4vllm25paged_attention_v1_kernelIffLi120ELi32ELi128ELNS_18Fp8KVCacheDataTypeE0ELb1EEEvPT_PKS2_PKT0_S8_ifPKiSA_iPKfiiiSC_SC_iiiii,comdat
.Lfunc_end41:
	.size	_ZN4vllm25paged_attention_v1_kernelIffLi120ELi32ELi128ELNS_18Fp8KVCacheDataTypeE0ELb1EEEvPT_PKS2_PKT0_S8_ifPKiSA_iPKfiiiSC_SC_iiiii, .Lfunc_end41-_ZN4vllm25paged_attention_v1_kernelIffLi120ELi32ELi128ELNS_18Fp8KVCacheDataTypeE0ELb1EEEvPT_PKS2_PKT0_S8_ifPKiSA_iPKfiiiSC_SC_iiiii
                                        ; -- End function
	.section	.AMDGPU.csdata,"",@progbits
; Kernel info:
; codeLenInByte = 8184
; NumSgprs: 53
; NumVgprs: 119
; NumAgprs: 0
; TotalNumVgprs: 119
; ScratchSize: 0
; MemoryBound: 0
; FloatMode: 240
; IeeeMode: 1
; LDSByteSize: 496 bytes/workgroup (compile time only)
; SGPRBlocks: 6
; VGPRBlocks: 14
; NumSGPRsForWavesPerEU: 53
; NumVGPRsForWavesPerEU: 119
; AccumOffset: 120
; Occupancy: 4
; WaveLimiterHint : 1
; COMPUTE_PGM_RSRC2:SCRATCH_EN: 0
; COMPUTE_PGM_RSRC2:USER_SGPR: 2
; COMPUTE_PGM_RSRC2:TRAP_HANDLER: 0
; COMPUTE_PGM_RSRC2:TGID_X_EN: 1
; COMPUTE_PGM_RSRC2:TGID_Y_EN: 1
; COMPUTE_PGM_RSRC2:TGID_Z_EN: 1
; COMPUTE_PGM_RSRC2:TIDIG_COMP_CNT: 0
; COMPUTE_PGM_RSRC3_GFX90A:ACCUM_OFFSET: 29
; COMPUTE_PGM_RSRC3_GFX90A:TG_SPLIT: 0
	.section	.text._ZN4vllm25paged_attention_v1_kernelIffLi128ELi32ELi128ELNS_18Fp8KVCacheDataTypeE0ELb1EEEvPT_PKS2_PKT0_S8_ifPKiSA_iPKfiiiSC_SC_iiiii,"axG",@progbits,_ZN4vllm25paged_attention_v1_kernelIffLi128ELi32ELi128ELNS_18Fp8KVCacheDataTypeE0ELb1EEEvPT_PKS2_PKT0_S8_ifPKiSA_iPKfiiiSC_SC_iiiii,comdat
	.protected	_ZN4vllm25paged_attention_v1_kernelIffLi128ELi32ELi128ELNS_18Fp8KVCacheDataTypeE0ELb1EEEvPT_PKS2_PKT0_S8_ifPKiSA_iPKfiiiSC_SC_iiiii ; -- Begin function _ZN4vllm25paged_attention_v1_kernelIffLi128ELi32ELi128ELNS_18Fp8KVCacheDataTypeE0ELb1EEEvPT_PKS2_PKT0_S8_ifPKiSA_iPKfiiiSC_SC_iiiii
	.globl	_ZN4vllm25paged_attention_v1_kernelIffLi128ELi32ELi128ELNS_18Fp8KVCacheDataTypeE0ELb1EEEvPT_PKS2_PKT0_S8_ifPKiSA_iPKfiiiSC_SC_iiiii
	.p2align	8
	.type	_ZN4vllm25paged_attention_v1_kernelIffLi128ELi32ELi128ELNS_18Fp8KVCacheDataTypeE0ELb1EEEvPT_PKS2_PKT0_S8_ifPKiSA_iPKfiiiSC_SC_iiiii,@function
_ZN4vllm25paged_attention_v1_kernelIffLi128ELi32ELi128ELNS_18Fp8KVCacheDataTypeE0ELb1EEEvPT_PKS2_PKT0_S8_ifPKiSA_iPKfiiiSC_SC_iiiii: ; @_ZN4vllm25paged_attention_v1_kernelIffLi128ELi32ELi128ELNS_18Fp8KVCacheDataTypeE0ELb1EEEvPT_PKS2_PKT0_S8_ifPKiSA_iPKfiiiSC_SC_iiiii
; %bb.0:
	s_load_dword s5, s[0:1], 0x80
	s_load_dwordx2 s[6:7], s[0:1], 0x30
	s_load_dwordx2 s[34:35], s[0:1], 0x20
	s_mov_b32 s20, s3
	s_ashr_i32 s21, s3, 31
	s_lshl_b64 s[8:9], s[20:21], 2
	s_waitcnt lgkmcnt(0)
	s_add_u32 s6, s6, s8
	s_addc_u32 s7, s7, s9
	s_abs_i32 s3, s34
	v_cvt_f32_u32_e32 v1, s3
	s_sub_i32 s10, 0, s3
	s_abs_i32 s9, s5
	s_xor_b32 s8, s5, s34
	v_rcp_iflag_f32_e32 v1, v1
	s_ashr_i32 s8, s8, 31
	s_mov_b32 s45, 0
	v_mul_f32_e32 v1, 0x4f7ffffe, v1
	v_cvt_u32_f32_e32 v1, v1
	s_nop 0
	v_readfirstlane_b32 s11, v1
	s_mul_i32 s10, s10, s11
	s_mul_hi_u32 s10, s11, s10
	s_add_i32 s11, s11, s10
	s_mul_hi_u32 s10, s9, s11
	s_mul_i32 s11, s10, s3
	s_sub_i32 s9, s9, s11
	s_add_i32 s11, s10, 1
	s_sub_i32 s12, s9, s3
	s_cmp_ge_u32 s9, s3
	s_cselect_b32 s10, s11, s10
	s_cselect_b32 s9, s12, s9
	s_add_i32 s11, s10, 1
	s_cmp_ge_u32 s9, s3
	s_cselect_b32 s3, s11, s10
	s_xor_b32 s3, s3, s8
	s_sub_i32 s12, s3, s8
	s_abs_i32 s10, s12
	v_cvt_f32_u32_e32 v1, s10
	s_load_dwordx2 s[8:9], s[0:1], 0x40
	s_sub_i32 s3, 0, s10
	s_abs_i32 s11, s2
	v_rcp_iflag_f32_e32 v1, v1
	s_nop 0
	v_mul_f32_e32 v1, 0x4f7ffffe, v1
	v_cvt_u32_f32_e32 v1, v1
	s_nop 0
	v_readfirstlane_b32 s13, v1
	s_mul_i32 s3, s3, s13
	s_mul_hi_u32 s3, s13, s3
	s_add_i32 s13, s13, s3
	s_waitcnt lgkmcnt(0)
	s_cmp_eq_u64 s[8:9], 0
	s_mul_hi_u32 s24, s11, s13
	s_cbranch_scc1 .LBB42_2
; %bb.1:
	s_ashr_i32 s3, s2, 31
	s_lshl_b64 s[14:15], s[2:3], 2
	s_add_u32 s8, s8, s14
	s_addc_u32 s9, s9, s15
	s_load_dword s45, s[8:9], 0x0
.LBB42_2:
	s_load_dword s21, s[6:7], 0x0
	s_load_dwordx4 s[16:19], s[0:1], 0x48
	s_ashr_i32 s25, s2, 31
	s_ashr_i32 s26, s12, 31
	v_and_b32_e32 v4, 1, v0
	s_lshl_b32 s22, s2, 7
	v_cmp_gt_u32_e64 s[6:7], 64, v0
	v_lshlrev_b32_e32 v2, 3, v0
	v_lshlrev_b32_e32 v44, 2, v0
	s_and_saveexec_b64 s[8:9], s[6:7]
	s_cbranch_execz .LBB42_4
; %bb.3:
	s_load_dwordx2 s[12:13], s[0:1], 0x8
	s_waitcnt lgkmcnt(0)
	s_mul_i32 s14, s20, s16
	s_ashr_i32 s15, s14, 31
	s_lshl_b64 s[14:15], s[14:15], 2
	v_and_b32_e32 v1, 0xff8, v44
	s_add_u32 s3, s12, s14
	s_addc_u32 s14, s13, s15
	s_ashr_i32 s23, s22, 31
	s_lshl_b64 s[12:13], s[22:23], 2
	s_add_u32 s12, s3, s12
	s_addc_u32 s13, s14, s13
	global_load_dwordx2 v[6:7], v2, s[12:13]
	v_lshl_add_u32 v1, v4, 8, v1
	s_waitcnt vmcnt(0)
	ds_write_b64 v1, v[6:7]
.LBB42_4:
	s_or_b64 exec, exec, s[8:9]
	s_mul_i32 s9, s24, s10
	s_sub_i32 s9, s11, s9
	s_xor_b32 s8, s25, s26
	s_add_i32 s11, s24, 1
	s_waitcnt lgkmcnt(0)
	s_sub_i32 s16, s9, s10
	s_load_dwordx4 s[12:15], s[0:1], 0x68
	s_load_dword s3, s[0:1], 0x78
	s_cmp_ge_u32 s9, s10
	s_cselect_b32 s11, s11, s24
	s_cselect_b32 s9, s16, s9
	s_add_i32 s16, s11, 1
	s_cmp_ge_u32 s9, s10
	s_cselect_b32 s9, s16, s11
	s_waitcnt lgkmcnt(0)
	s_abs_i32 s23, s15
	v_cvt_f32_u32_e32 v1, s23
	s_xor_b32 s9, s9, s8
	s_sub_i32 s10, s9, s8
	s_sub_i32 s8, 0, s23
	v_rcp_iflag_f32_e32 v1, v1
	s_add_i32 s16, s21, -1
	s_abs_i32 s11, s16
	v_mul_f32_e32 v1, 0x4f7ffffe, v1
	v_cvt_u32_f32_e32 v1, v1
	s_barrier
	v_readfirstlane_b32 s33, v1
	s_mul_i32 s8, s8, s33
	s_mul_hi_u32 s8, s33, s8
	s_add_i32 s33, s33, s8
	s_cmp_lt_i32 s3, 0
	s_mul_hi_u32 s19, s11, s33
	s_cbranch_scc0 .LBB42_6
; %bb.5:
	s_mul_i32 s8, s12, s34
	s_add_i32 s8, s10, s8
	s_mul_i32 s8, s8, s3
	s_sub_i32 s42, 1, s8
	s_mov_b64 s[8:9], 0
	s_branch .LBB42_7
.LBB42_6:
	s_mov_b64 s[8:9], -1
                                        ; implicit-def: $sgpr42
.LBB42_7:
	s_load_dwordx2 s[26:27], s[0:1], 0x28
	s_ashr_i32 s28, s16, 31
	s_andn2_b64 vcc, exec, s[8:9]
	s_ashr_i32 s43, s15, 31
	s_cbranch_vccnz .LBB42_9
; %bb.8:
	s_mul_i32 s8, s5, s12
	s_add_i32 s2, s8, s2
	s_mul_i32 s2, s2, s3
	s_add_i32 s42, s2, 1
.LBB42_9:
	s_load_dword s2, s[0:1], 0x38
	s_load_dwordx2 s[24:25], s[0:1], 0x0
	s_load_dwordx2 s[30:31], s[0:1], 0x18
	s_load_dword s16, s[0:1], 0x88
	s_xor_b32 s3, s28, s43
	s_waitcnt lgkmcnt(0)
	s_mul_i32 s28, s20, s2
	s_mul_i32 s2, s19, s23
	s_sub_i32 s2, s11, s2
	s_ashr_i32 s29, s28, 31
	s_add_i32 s8, s19, 1
	s_sub_i32 s9, s2, s23
	s_cmp_ge_u32 s2, s23
	s_cselect_b32 s8, s8, s19
	s_cselect_b32 s2, s9, s2
	s_add_i32 s9, s8, 1
	s_cmp_ge_u32 s2, s23
	s_cselect_b32 s2, s9, s8
	s_xor_b32 s2, s2, s3
	s_sub_i32 s12, s2, s3
	s_add_i32 s2, s21, 31
	s_ashr_i32 s3, s2, 31
	s_lshr_b32 s3, s3, 27
	s_add_i32 s2, s2, s3
	s_ashr_i32 s44, s2, 5
	v_lshrrev_b32_e32 v1, 6, v0
	v_cmp_gt_i32_e64 s[2:3], s44, v1
	v_mov_b32_e32 v49, 0xff7fffff
	s_mul_i32 s18, s10, s18
	v_lshrrev_b32_e32 v45, 4, v0
	v_lshlrev_b32_e32 v114, 5, v1
	v_mbcnt_lo_u32_b32 v46, -1, 0
	s_and_saveexec_b64 s[36:37], s[2:3]
	s_cbranch_execz .LBB42_19
; %bb.10:
	s_load_dwordx2 s[0:1], s[0:1], 0x10
	s_ashr_i32 s19, s18, 31
	s_sub_i32 s15, s12, s13
	s_lshl_b64 s[8:9], s[18:19], 2
	v_bfe_u32 v47, v0, 1, 5
	s_waitcnt lgkmcnt(0)
	s_add_u32 s0, s0, s8
	s_addc_u32 s1, s1, s9
	s_abs_i32 s19, s14
	v_cvt_f32_u32_e32 v3, s19
	s_sub_i32 s8, 0, s19
	v_cmp_eq_u32_e32 vcc, 0, v4
	v_lshlrev_b32_e32 v6, 4, v47
	v_rcp_iflag_f32_e32 v5, v3
	v_mov_b32_e32 v7, 0
	v_lshlrev_b32_e32 v48, 8, v4
	v_lshl_add_u64 v[8:9], s[0:1], 0, v[6:7]
	v_mul_f32_e32 v5, 0x4f7ffffe, v5
	v_cvt_u32_f32_e32 v5, v5
	v_and_b32_e32 v6, 8, v2
	v_lshlrev_b32_e32 v10, 2, v47
	v_lshl_add_u64 v[2:3], v[8:9], 0, v[6:7]
	v_mul_lo_u32 v4, s8, v5
	s_lshl_b64 s[8:9], s[28:29], 2
	s_add_u32 s8, s26, s8
	v_mul_hi_u32 v4, v5, v4
	v_and_b32_e32 v6, 60, v45
	s_addc_u32 s9, s27, s9
	v_add_u32_e32 v50, v5, v4
	v_lshl_add_u64 v[4:5], s[8:9], 0, v[6:7]
	v_lshl_or_b32 v6, v1, 7, v10
	v_add_u32_e32 v52, 0x210, v6
	v_subrev_u32_e32 v6, s21, v47
	v_mbcnt_hi_u32_b32 v55, -1, v46
	v_add_u32_e32 v53, 1, v6
	v_and_b32_e32 v6, 64, v55
	s_mov_b32 s34, s17
	v_cmp_neq_f32_e64 s[0:1], s45, 0
	v_lshlrev_b32_e32 v51, 5, v1
	s_mov_b64 s[38:39], 0
	v_mov_b32_e32 v54, 0xff7fffff
	s_movk_i32 s46, 0x1000
	s_movk_i32 s47, 0x2000
	;; [unrolled: 1-line block ×3, first 2 shown]
	v_xor_b32_e32 v56, 1, v55
	v_add_u32_e32 v57, 64, v6
	v_mov_b32_e32 v49, 0xff7fffff
	v_mov_b32_e32 v58, v1
	s_branch .LBB42_13
.LBB42_11:                              ;   in Loop: Header=BB42_13 Depth=1
	s_or_b64 exec, exec, s[40:41]
.LBB42_12:                              ;   in Loop: Header=BB42_13 Depth=1
	s_or_b64 exec, exec, s[10:11]
	v_add_u32_e32 v58, 2, v58
	v_cmp_le_i32_e64 s[8:9], s44, v58
	v_lshl_add_u64 v[4:5], v[4:5], 0, 8
	v_add_u32_e32 v51, 64, v51
	s_or_b64 s[38:39], s[8:9], s[38:39]
	v_add_u32_e32 v52, 0x100, v52
	s_andn2_b64 exec, exec, s[38:39]
	s_cbranch_execz .LBB42_18
.LBB42_13:                              ; =>This Inner Loop Header: Depth=1
	v_mul_hi_u32 v6, v51, s33
	s_waitcnt lgkmcnt(0)
	v_mul_lo_u32 v7, v6, s23
	v_sub_u32_e32 v7, v51, v7
	v_add_u32_e32 v8, 1, v6
	v_cmp_le_u32_e64 s[8:9], s23, v7
	s_nop 1
	v_cndmask_b32_e64 v6, v6, v8, s[8:9]
	v_subrev_u32_e32 v8, s23, v7
	v_cndmask_b32_e64 v7, v7, v8, s[8:9]
	v_add_u32_e32 v8, 1, v6
	v_cmp_le_u32_e64 s[8:9], s23, v7
	s_nop 1
	v_cndmask_b32_e64 v6, v6, v8, s[8:9]
	v_xor_b32_e32 v6, s43, v6
	v_subrev_u32_e32 v6, s43, v6
	v_add_u32_e32 v7, s42, v6
	v_sub_u32_e32 v9, 0, v7
	v_ashrrev_i32_e32 v8, 31, v7
	v_max_i32_e32 v7, v7, v9
	v_mul_hi_u32 v9, v7, v50
	v_mul_lo_u32 v9, v9, s19
	v_sub_u32_e32 v7, v7, v9
	v_subrev_u32_e32 v9, s19, v7
	v_cmp_le_u32_e64 s[8:9], s19, v7
	v_cmp_ge_i32_e64 s[10:11], s15, v6
	s_nop 0
	v_cndmask_b32_e64 v7, v7, v9, s[8:9]
	v_subrev_u32_e32 v9, s19, v7
	v_cmp_le_u32_e64 s[8:9], s19, v7
	s_nop 1
	v_cndmask_b32_e64 v7, v7, v9, s[8:9]
	v_xor_b32_e32 v7, v7, v8
	v_sub_u32_e32 v7, v7, v8
	v_cmp_ne_u32_e64 s[8:9], 0, v7
	s_and_b64 s[8:9], s[8:9], s[10:11]
	s_and_b64 s[40:41], vcc, s[8:9]
	s_and_saveexec_b64 s[10:11], s[40:41]
	s_cbranch_execz .LBB42_15
; %bb.14:                               ;   in Loop: Header=BB42_13 Depth=1
	ds_write_b32 v52, v54
.LBB42_15:                              ;   in Loop: Header=BB42_13 Depth=1
	s_or_b64 exec, exec, s[10:11]
	s_xor_b64 s[8:9], s[8:9], -1
	s_and_saveexec_b64 s[10:11], s[8:9]
	s_cbranch_execz .LBB42_12
; %bb.16:                               ;   in Loop: Header=BB42_13 Depth=1
	global_load_dword v6, v[4:5], off
	s_waitcnt vmcnt(0)
	v_mad_i64_i32 v[6:7], s[8:9], v6, s34, 0
	v_lshl_add_u64 v[14:15], v[6:7], 2, v[2:3]
	v_add_co_u32_e64 v72, s[8:9], s47, v14
	global_load_dwordx2 v[16:17], v[14:15], off offset:512
	global_load_dwordx2 v[22:23], v[14:15], off
	global_load_dwordx2 v[24:25], v[14:15], off offset:1024
	global_load_dwordx2 v[26:27], v[14:15], off offset:1536
	;; [unrolled: 1-line block ×6, first 2 shown]
	v_addc_co_u32_e64 v73, s[8:9], 0, v15, s[8:9]
	global_load_dwordx2 v[74:75], v[72:73], off offset:-4096
	v_add_co_u32_e64 v18, s[8:9], s46, v14
	s_nop 1
	v_addc_co_u32_e64 v19, s[8:9], 0, v15, s[8:9]
	global_load_dwordx2 v[76:77], v[18:19], off offset:512
	global_load_dwordx2 v[78:79], v[18:19], off offset:1024
	ds_read_b128 v[6:9], v48
	ds_read_b128 v[10:13], v48 offset:16
	global_load_dwordx2 v[42:43], v[18:19], off offset:1536
	global_load_dwordx2 v[36:37], v[18:19], off offset:2048
	;; [unrolled: 1-line block ×5, first 2 shown]
	v_add_co_u32_e64 v80, s[8:9], s48, v14
	s_waitcnt vmcnt(15) lgkmcnt(1)
	v_mul_f32_e32 v59, v8, v16
	v_addc_co_u32_e64 v81, s[8:9], 0, v15, s[8:9]
	v_mul_f32_e32 v60, v9, v17
	ds_read_b128 v[14:17], v48 offset:32
	ds_read_b128 v[18:21], v48 offset:48
	global_load_dwordx2 v[82:83], v[72:73], off
	global_load_dwordx2 v[84:85], v[72:73], off offset:512
	global_load_dwordx2 v[32:33], v[72:73], off offset:1024
	;; [unrolled: 1-line block ×3, first 2 shown]
	s_waitcnt vmcnt(18)
	v_fmac_f32_e32 v59, v6, v22
	v_fmac_f32_e32 v60, v7, v23
	s_waitcnt vmcnt(17) lgkmcnt(2)
	v_fmac_f32_e32 v59, v10, v24
	v_fmac_f32_e32 v60, v11, v25
	s_waitcnt vmcnt(16)
	v_fmac_f32_e32 v59, v12, v26
	v_fmac_f32_e32 v60, v13, v27
	s_waitcnt vmcnt(15) lgkmcnt(1)
	v_fmac_f32_e32 v59, v14, v28
	v_fmac_f32_e32 v60, v15, v29
	ds_read_b128 v[24:27], v48 offset:64
	ds_read_b128 v[62:65], v48 offset:80
	global_load_dwordx2 v[14:15], v[72:73], off offset:2048
	global_load_dwordx2 v[12:13], v[72:73], off offset:2560
	;; [unrolled: 1-line block ×4, first 2 shown]
	s_waitcnt vmcnt(18)
	v_fmac_f32_e32 v59, v16, v66
	v_fmac_f32_e32 v60, v17, v67
	global_load_dwordx2 v[16:17], v[80:81], off
	s_waitcnt vmcnt(18) lgkmcnt(2)
	v_fmac_f32_e32 v59, v18, v68
	v_fmac_f32_e32 v60, v19, v69
	global_load_dwordx2 v[18:19], v[80:81], off offset:512
	s_waitcnt vmcnt(18)
	v_fmac_f32_e32 v59, v20, v70
	v_fmac_f32_e32 v60, v21, v71
	global_load_dwordx2 v[20:21], v[80:81], off offset:1024
	s_waitcnt vmcnt(18) lgkmcnt(1)
	v_fmac_f32_e32 v59, v24, v74
	v_fmac_f32_e32 v60, v25, v75
	global_load_dwordx2 v[24:25], v[80:81], off offset:1536
	global_load_dwordx2 v[6:7], v[80:81], off offset:3584
	s_waitcnt vmcnt(19)
	v_fmac_f32_e32 v59, v26, v76
	v_fmac_f32_e32 v60, v27, v77
	global_load_dwordx2 v[28:29], v[80:81], off offset:2048
	global_load_dwordx2 v[26:27], v[80:81], off offset:2560
	;; [unrolled: 1-line block ×3, first 2 shown]
	ds_read_b128 v[66:69], v48 offset:96
	s_waitcnt vmcnt(21) lgkmcnt(1)
	v_fmac_f32_e32 v59, v62, v78
	v_fmac_f32_e32 v60, v63, v79
	s_waitcnt vmcnt(20)
	v_fmac_f32_e32 v59, v64, v42
	v_fmac_f32_e32 v60, v65, v43
	ds_read_b128 v[62:65], v48 offset:112
	s_waitcnt vmcnt(19) lgkmcnt(1)
	v_fmac_f32_e32 v59, v66, v36
	v_fmac_f32_e32 v60, v67, v37
	s_waitcnt vmcnt(18)
	v_fmac_f32_e32 v59, v68, v34
	v_fmac_f32_e32 v60, v69, v35
	ds_read_b128 v[34:37], v48 offset:128
	ds_read_b128 v[66:69], v48 offset:144
	s_waitcnt vmcnt(17) lgkmcnt(2)
	v_fmac_f32_e32 v59, v62, v40
	v_fmac_f32_e32 v60, v63, v41
	s_waitcnt vmcnt(16)
	v_fmac_f32_e32 v59, v64, v38
	v_fmac_f32_e32 v60, v65, v39
	ds_read_b128 v[38:41], v48 offset:160
	ds_read_b128 v[62:65], v48 offset:176
	v_cmp_lt_i32_e64 s[8:9], v56, v57
	s_waitcnt vmcnt(15) lgkmcnt(3)
	v_fmac_f32_e32 v59, v34, v82
	v_fmac_f32_e32 v60, v35, v83
	s_waitcnt vmcnt(14)
	v_fmac_f32_e32 v59, v36, v84
	v_fmac_f32_e32 v60, v37, v85
	s_waitcnt vmcnt(13) lgkmcnt(2)
	v_fmac_f32_e32 v59, v66, v32
	v_fmac_f32_e32 v60, v67, v33
	s_waitcnt vmcnt(12)
	v_fmac_f32_e32 v59, v68, v30
	v_fmac_f32_e32 v60, v69, v31
	ds_read_b128 v[34:37], v48 offset:192
	ds_read_b128 v[70:73], v48 offset:208
	;; [unrolled: 1-line block ×4, first 2 shown]
	s_waitcnt vmcnt(11) lgkmcnt(5)
	v_fmac_f32_e32 v59, v38, v14
	v_fmac_f32_e32 v60, v39, v15
	s_waitcnt vmcnt(10)
	v_fmac_f32_e32 v59, v40, v12
	v_fmac_f32_e32 v60, v41, v13
	s_waitcnt vmcnt(9) lgkmcnt(4)
	v_fmac_f32_e32 v59, v62, v10
	v_fmac_f32_e32 v60, v63, v11
	s_waitcnt vmcnt(8)
	v_fmac_f32_e32 v59, v64, v8
	v_fmac_f32_e32 v60, v65, v9
	;; [unrolled: 6-line block ×3, first 2 shown]
	s_waitcnt vmcnt(5) lgkmcnt(2)
	v_fmac_f32_e32 v59, v20, v70
	v_fmac_f32_e32 v60, v21, v71
	v_cndmask_b32_e64 v42, v55, v56, s[8:9]
	s_waitcnt vmcnt(4)
	v_fmac_f32_e32 v59, v24, v72
	v_fmac_f32_e32 v60, v25, v73
	s_waitcnt vmcnt(2) lgkmcnt(1)
	v_fmac_f32_e32 v59, v28, v30
	v_fmac_f32_e32 v60, v29, v31
	s_waitcnt vmcnt(1)
	v_fmac_f32_e32 v59, v26, v32
	v_fmac_f32_e32 v60, v27, v33
	s_waitcnt vmcnt(0) lgkmcnt(0)
	v_fmac_f32_e32 v59, v22, v66
	v_fmac_f32_e32 v60, v23, v67
	v_fmac_f32_e32 v59, v6, v68
	v_fmac_f32_e32 v60, v7, v69
	v_lshlrev_b32_e32 v42, 2, v42
	v_add_f32_e32 v6, v59, v60
	ds_bpermute_b32 v7, v42, v6
	s_and_saveexec_b64 s[40:41], vcc
	s_cbranch_execz .LBB42_11
; %bb.17:                               ;   in Loop: Header=BB42_13 Depth=1
	v_add_u32_e32 v8, v53, v51
	v_cvt_f32_i32_e32 v8, v8
	s_waitcnt lgkmcnt(0)
	v_add_f32_e32 v6, v6, v7
	v_add_u32_e32 v9, v47, v51
	v_cmp_gt_i32_e64 s[8:9], s21, v9
	v_mul_f32_e32 v7, s45, v8
	v_cndmask_b32_e64 v7, 0, v7, s[0:1]
	v_fmac_f32_e32 v7, s35, v6
	v_cndmask_b32_e64 v6, 0, v7, s[8:9]
	ds_write_b32 v52, v6
	v_max_f32_e32 v6, v49, v49
	v_max_f32_e32 v6, v6, v7
	v_cndmask_b32_e64 v49, v49, v6, s[8:9]
	s_branch .LBB42_11
.LBB42_18:
	s_or_b64 exec, exec, s[38:39]
.LBB42_19:
	s_or_b64 exec, exec, s[36:37]
	s_waitcnt lgkmcnt(0)
	v_mbcnt_hi_u32_b32 v7, -1, v46
	v_and_b32_e32 v2, 64, v7
	v_add_u32_e32 v8, 64, v2
	v_xor_b32_e32 v2, 32, v7
	v_cmp_lt_i32_e32 vcc, v2, v8
	v_xor_b32_e32 v5, 16, v7
	v_max_f32_e32 v4, v49, v49
	v_cndmask_b32_e32 v2, v7, v2, vcc
	v_lshlrev_b32_e32 v2, 2, v2
	ds_bpermute_b32 v3, v2, v49
	v_cmp_lt_i32_e32 vcc, v5, v8
	v_xor_b32_e32 v6, 8, v7
	v_xor_b32_e32 v9, 4, v7
	v_and_b32_e32 v115, 63, v0
	s_waitcnt lgkmcnt(0)
	v_max_f32_e32 v3, v3, v3
	v_max_f32_e32 v4, v4, v3
	v_cndmask_b32_e32 v3, v7, v5, vcc
	v_lshlrev_b32_e32 v3, 2, v3
	ds_bpermute_b32 v5, v3, v4
	v_cmp_lt_i32_e32 vcc, v6, v8
	s_waitcnt lgkmcnt(0)
	v_max_f32_e32 v5, v5, v5
	v_max_f32_e32 v5, v4, v5
	v_cndmask_b32_e32 v4, v7, v6, vcc
	v_lshlrev_b32_e32 v4, 2, v4
	ds_bpermute_b32 v6, v4, v5
	v_cmp_lt_i32_e32 vcc, v9, v8
	s_waitcnt lgkmcnt(0)
	v_max_f32_e32 v6, v6, v6
	v_max_f32_e32 v5, v5, v6
	v_cndmask_b32_e32 v6, v7, v9, vcc
	v_lshlrev_b32_e32 v117, 2, v6
	ds_bpermute_b32 v6, v117, v5
	v_xor_b32_e32 v9, 2, v7
	v_cmp_lt_i32_e32 vcc, v9, v8
	s_waitcnt lgkmcnt(0)
	v_max_f32_e32 v6, v6, v6
	v_max_f32_e32 v6, v5, v6
	v_cndmask_b32_e32 v5, v7, v9, vcc
	v_lshlrev_b32_e32 v116, 2, v5
	ds_bpermute_b32 v9, v116, v6
	v_cmp_eq_u32_e32 vcc, 0, v115
	v_lshlrev_b32_e32 v5, 2, v1
	s_and_saveexec_b64 s[0:1], vcc
	s_cbranch_execz .LBB42_21
; %bb.20:
	s_waitcnt lgkmcnt(0)
	v_max_f32_e32 v9, v9, v9
	v_max_f32_e32 v6, v6, v6
	;; [unrolled: 1-line block ×3, first 2 shown]
	ds_write_b32 v5, v6 offset:512
.LBB42_21:
	s_or_b64 exec, exec, s[0:1]
	v_cmp_gt_u32_e64 s[0:1], 2, v115
	s_waitcnt lgkmcnt(0)
	v_mov_b32_e32 v9, 0xff7fffff
	v_lshlrev_b32_e32 v6, 2, v115
	s_barrier
	s_and_saveexec_b64 s[8:9], s[0:1]
	s_cbranch_execz .LBB42_23
; %bb.22:
	ds_read_b32 v9, v6 offset:512
.LBB42_23:
	s_or_b64 exec, exec, s[8:9]
	v_xor_b32_e32 v10, 1, v7
	v_cmp_lt_i32_e64 s[8:9], v10, v8
	s_nop 1
	v_cndmask_b32_e64 v8, v7, v10, s[8:9]
	v_lshlrev_b32_e32 v118, 2, v8
	s_waitcnt lgkmcnt(0)
	ds_bpermute_b32 v8, v118, v9
	v_max_f32_e32 v9, v9, v9
	v_lshlrev_b32_e32 v7, 2, v7
	v_and_b32_e32 v7, 0x100, v7
	s_lshl_b32 s8, s44, 5
	s_waitcnt lgkmcnt(0)
	v_max_f32_e32 v8, v8, v8
	v_max_f32_e32 v8, v9, v8
	ds_bpermute_b32 v9, v7, v8
	s_min_i32 s15, s8, s21
	v_cmp_gt_i32_e64 s[8:9], s15, v0
	v_mov_b32_e32 v8, 0
	s_and_saveexec_b64 s[34:35], s[8:9]
	s_cbranch_execz .LBB42_27
; %bb.24:
	v_mov_b32_e32 v8, 0x210
	v_lshl_add_u32 v10, v0, 2, v8
	s_mov_b64 s[36:37], 0
	v_mov_b32_e32 v8, 0
	v_mov_b32_e32 v11, v0
.LBB42_25:                              ; =>This Inner Loop Header: Depth=1
	ds_read_b32 v12, v10
	v_add_u32_e32 v11, 0x80, v11
	v_cmp_le_i32_e64 s[10:11], s15, v11
	s_or_b64 s[36:37], s[10:11], s[36:37]
	s_waitcnt lgkmcnt(0)
	v_sub_f32_e32 v12, v12, v9
	v_mul_f32_e32 v12, 0x3fb8aa3b, v12
	v_exp_f32_e32 v12, v12
	ds_write_b32 v10, v12
	v_add_f32_e32 v8, v8, v12
	v_add_u32_e32 v10, 0x200, v10
	s_andn2_b64 exec, exec, s[36:37]
	s_cbranch_execnz .LBB42_25
; %bb.26:
	s_or_b64 exec, exec, s[36:37]
.LBB42_27:
	s_or_b64 exec, exec, s[34:35]
	ds_bpermute_b32 v2, v2, v8
	s_waitcnt lgkmcnt(0)
	v_add_f32_e32 v2, v8, v2
	ds_bpermute_b32 v3, v3, v2
	s_waitcnt lgkmcnt(0)
	v_add_f32_e32 v2, v2, v3
	;; [unrolled: 3-line block ×6, first 2 shown]
	s_and_saveexec_b64 s[10:11], vcc
	s_cbranch_execz .LBB42_29
; %bb.28:
	ds_write_b32 v5, v2 offset:520
.LBB42_29:
	s_or_b64 exec, exec, s[10:11]
	s_waitcnt lgkmcnt(0)
	s_barrier
	s_and_saveexec_b64 s[10:11], s[0:1]
	s_cbranch_execz .LBB42_31
; %bb.30:
	ds_read_b32 v2, v6 offset:520
.LBB42_31:
	s_or_b64 exec, exec, s[10:11]
	s_waitcnt lgkmcnt(0)
	ds_bpermute_b32 v3, v118, v2
	s_waitcnt lgkmcnt(0)
	v_add_f32_e32 v2, v2, v3
	ds_bpermute_b32 v2, v7, v2
	s_and_saveexec_b64 s[0:1], s[8:9]
	s_cbranch_execz .LBB42_44
; %bb.32:
	s_waitcnt lgkmcnt(0)
	v_add_f32_e32 v2, 0x358637bd, v2
	v_div_scale_f32 v3, s[8:9], v2, v2, 1.0
	v_rcp_f32_e32 v4, v3
	v_div_scale_f32 v5, vcc, 1.0, v2, 1.0
	s_movk_i32 s8, 0x7f
	v_fma_f32 v6, -v3, v4, 1.0
	v_fmac_f32_e32 v4, v6, v4
	v_mul_f32_e32 v6, v5, v4
	v_fma_f32 v7, -v3, v6, v5
	v_fmac_f32_e32 v6, v7, v4
	v_fma_f32 v3, -v3, v6, v5
	v_div_fmas_f32 v3, v3, v4, v6
	v_xad_u32 v4, v0, -1, s15
	v_div_fixup_f32 v2, v3, v2, 1.0
	v_cmp_lt_u32_e32 vcc, s8, v4
	s_mov_b64 s[10:11], -1
	v_mov_b32_e32 v3, v0
	s_and_saveexec_b64 s[8:9], vcc
	s_cbranch_execz .LBB42_41
; %bb.33:
	v_lshrrev_b32_e32 v4, 7, v4
	v_add_u32_e32 v6, -1, v4
	v_lshrrev_b32_e32 v5, 1, v6
	v_mov_b32_e32 v3, v2
	v_add_u32_e32 v5, 1, v5
	v_cmp_lt_u32_e32 vcc, 13, v6
	v_mov_b32_e32 v8, 0
	s_and_saveexec_b64 s[10:11], vcc
	s_cbranch_execz .LBB42_37
; %bb.34:
	v_mov_b32_e32 v7, 0x210
	v_and_b32_e32 v6, -8, v5
	v_lshl_add_u32 v7, v0, 2, v7
	s_mov_b32 s19, 0
	s_mov_b64 s[34:35], 0
.LBB42_35:                              ; =>This Inner Loop Header: Depth=1
	ds_read2st64_b32 v[8:9], v7 offset1:2
	ds_read2st64_b32 v[10:11], v7 offset0:4 offset1:6
	ds_read2st64_b32 v[12:13], v7 offset0:8 offset1:10
	;; [unrolled: 1-line block ×3, first 2 shown]
	v_add_u32_e32 v6, -8, v6
	s_waitcnt lgkmcnt(3)
	v_pk_mul_f32 v[8:9], v[2:3], v[8:9]
	s_waitcnt lgkmcnt(2)
	v_pk_mul_f32 v[10:11], v[2:3], v[10:11]
	ds_write2st64_b32 v7, v8, v9 offset1:2
	ds_write2st64_b32 v7, v10, v11 offset0:4 offset1:6
	ds_read2st64_b32 v[10:11], v7 offset0:16 offset1:18
	s_waitcnt lgkmcnt(4)
	v_pk_mul_f32 v[8:9], v[2:3], v[12:13]
	ds_write2st64_b32 v7, v8, v9 offset0:8 offset1:10
	s_waitcnt lgkmcnt(4)
	v_pk_mul_f32 v[8:9], v[2:3], v[14:15]
	ds_write2st64_b32 v7, v8, v9 offset0:12 offset1:14
	ds_read2st64_b32 v[8:9], v7 offset0:20 offset1:22
	s_waitcnt lgkmcnt(3)
	v_pk_mul_f32 v[10:11], v[2:3], v[10:11]
	ds_read2st64_b32 v[12:13], v7 offset0:24 offset1:26
	ds_write2st64_b32 v7, v10, v11 offset0:16 offset1:18
	ds_read2st64_b32 v[10:11], v7 offset0:28 offset1:30
	s_waitcnt lgkmcnt(3)
	v_pk_mul_f32 v[8:9], v[2:3], v[8:9]
	ds_write2st64_b32 v7, v8, v9 offset0:20 offset1:22
	s_waitcnt lgkmcnt(3)
	v_pk_mul_f32 v[8:9], v[2:3], v[12:13]
	ds_write2st64_b32 v7, v8, v9 offset0:24 offset1:26
	s_waitcnt lgkmcnt(2)
	v_pk_mul_f32 v[8:9], v[2:3], v[10:11]
	s_add_i32 s19, s19, 16
	v_cmp_eq_u32_e32 vcc, 0, v6
	ds_write2st64_b32 v7, v8, v9 offset0:28 offset1:30
	v_add_u32_e32 v7, 0x2000, v7
	s_or_b64 s[34:35], vcc, s[34:35]
	v_mov_b32_e32 v8, s19
	s_andn2_b64 exec, exec, s[34:35]
	s_cbranch_execnz .LBB42_35
; %bb.36:
	s_or_b64 exec, exec, s[34:35]
.LBB42_37:
	s_or_b64 exec, exec, s[10:11]
	v_and_b32_e32 v5, 7, v5
	v_cmp_ne_u32_e32 vcc, 0, v5
	s_and_saveexec_b64 s[10:11], vcc
	s_cbranch_execz .LBB42_40
; %bb.38:
	v_lshlrev_b32_e32 v6, 9, v8
	s_movk_i32 s19, 0x210
	v_add3_u32 v6, v6, v44, s19
	s_mov_b64 s[34:35], 0
.LBB42_39:                              ; =>This Inner Loop Header: Depth=1
	ds_read2st64_b32 v[8:9], v6 offset1:2
	v_add_u32_e32 v5, -1, v5
	v_cmp_eq_u32_e32 vcc, 0, v5
	s_or_b64 s[34:35], vcc, s[34:35]
	s_waitcnt lgkmcnt(0)
	v_pk_mul_f32 v[8:9], v[2:3], v[8:9]
	ds_write2st64_b32 v6, v8, v9 offset1:2
	v_add_u32_e32 v6, 0x400, v6
	s_andn2_b64 exec, exec, s[34:35]
	s_cbranch_execnz .LBB42_39
.LBB42_40:
	s_or_b64 exec, exec, s[10:11]
	v_add_u32_e32 v4, 1, v4
	v_and_b32_e32 v5, 0x3fffffe, v4
	v_cmp_ne_u32_e32 vcc, v4, v5
	v_lshl_add_u32 v3, v5, 7, v0
	s_orn2_b64 s[10:11], vcc, exec
.LBB42_41:
	s_or_b64 exec, exec, s[8:9]
	s_and_b64 exec, exec, s[10:11]
	s_cbranch_execz .LBB42_44
; %bb.42:
	v_mov_b32_e32 v4, 0x210
	v_lshl_add_u32 v4, v3, 2, v4
	s_mov_b64 s[8:9], 0
.LBB42_43:                              ; =>This Inner Loop Header: Depth=1
	ds_read_b32 v5, v4
	v_add_u32_e32 v3, 0x80, v3
	v_cmp_le_i32_e32 vcc, s15, v3
	s_or_b64 s[8:9], vcc, s[8:9]
	s_waitcnt lgkmcnt(0)
	v_mul_f32_e32 v5, v2, v5
	ds_write_b32 v4, v5
	v_add_u32_e32 v4, 0x200, v4
	s_andn2_b64 exec, exec, s[8:9]
	s_cbranch_execnz .LBB42_43
.LBB42_44:
	s_or_b64 exec, exec, s[0:1]
	v_mov_b32_e32 v86, 0
	v_and_b32_e32 v119, 7, v0
	v_mov_b32_e32 v87, 0
	v_mov_b32_e32 v84, 0
	;; [unrolled: 1-line block ×15, first 2 shown]
	s_waitcnt lgkmcnt(0)
	s_barrier
	s_and_saveexec_b64 s[8:9], s[2:3]
	s_cbranch_execz .LBB42_82
; %bb.45:
	s_ashr_i32 s19, s18, 31
	s_sub_i32 s34, s12, s13
	s_lshl_b64 s[0:1], s[18:19], 2
	s_add_u32 s2, s30, s0
	s_addc_u32 s3, s31, s1
	s_abs_i32 s19, s14
	v_cvt_f32_u32_e32 v3, s19
	s_sub_i32 s0, 0, s19
	s_add_i32 s18, s44, -1
	v_and_b32_e32 v2, 0xfc, v44
	v_rcp_iflag_f32_e32 v3, v3
	v_mov_b32_e32 v83, 0
	v_or_b32_e32 v4, 0x400, v2
	v_or_b32_e32 v6, 0x500, v2
	v_mul_f32_e32 v3, 0x4f7ffffe, v3
	v_cvt_u32_f32_e32 v3, v3
	v_or_b32_e32 v8, 0x600, v2
	v_or_b32_e32 v10, 0x700, v2
	v_or_b32_e32 v12, 0x800, v2
	v_mul_lo_u32 v5, s0, v3
	v_mul_hi_u32 v5, v3, v5
	s_lshl_b64 s[0:1], s[28:29], 2
	v_add_u32_e32 v121, v3, v5
	s_add_u32 s0, s26, s0
	v_lshlrev_b32_e32 v3, 4, v119
	v_or_b32_e32 v14, 0x900, v2
	v_or_b32_e32 v16, 0xa00, v2
	;; [unrolled: 1-line block ×7, first 2 shown]
	v_and_b32_e32 v82, 60, v45
	s_addc_u32 s1, s27, s1
	v_lshl_or_b32 v3, v1, 7, v3
	v_and_b32_e32 v120, 28, v44
	v_lshl_add_u64 v[88:89], s[0:1], 0, v[82:83]
	v_add_u32_e32 v122, 0x210, v3
	s_mov_b64 s[10:11], 0
	v_lshlrev_b32_e32 v90, 2, v2
	v_lshlrev_b32_e32 v82, 2, v4
	;; [unrolled: 1-line block ×13, first 2 shown]
	v_mov_b32_e32 v71, v83
	v_mov_b32_e32 v70, v83
	;; [unrolled: 1-line block ×16, first 2 shown]
	s_branch .LBB42_48
.LBB42_46:                              ;   in Loop: Header=BB42_48 Depth=1
	s_or_b64 exec, exec, s[0:1]
	s_waitcnt vmcnt(1) lgkmcnt(0)
	v_mul_f32_e32 v67, v3, v67
	v_mul_f32_e32 v63, v3, v63
	;; [unrolled: 1-line block ×15, first 2 shown]
	s_waitcnt vmcnt(0)
	v_mul_f32_e32 v3, v3, v59
	v_fmac_f32_e32 v67, v2, v66
	v_fmac_f32_e32 v63, v2, v62
	v_fmac_f32_e32 v55, v2, v54
	v_fmac_f32_e32 v51, v2, v50
	v_fmac_f32_e32 v47, v2, v46
	v_fmac_f32_e32 v43, v2, v42
	v_fmac_f32_e32 v39, v2, v38
	v_fmac_f32_e32 v35, v2, v34
	v_fmac_f32_e32 v31, v2, v30
	v_fmac_f32_e32 v27, v2, v26
	v_fmac_f32_e32 v23, v2, v22
	v_fmac_f32_e32 v19, v2, v18
	v_fmac_f32_e32 v15, v2, v14
	v_fmac_f32_e32 v11, v2, v10
	v_fmac_f32_e32 v7, v2, v6
	v_fmac_f32_e32 v3, v2, v58
	v_fmac_f32_e32 v67, v4, v68
	v_fmac_f32_e32 v63, v4, v64
	v_fmac_f32_e32 v55, v4, v56
	v_fmac_f32_e32 v51, v4, v52
	v_fmac_f32_e32 v47, v4, v48
	v_fmac_f32_e32 v43, v4, v44
	v_fmac_f32_e32 v39, v4, v40
	v_fmac_f32_e32 v35, v4, v36
	v_fmac_f32_e32 v31, v4, v32
	v_fmac_f32_e32 v27, v4, v28
	v_fmac_f32_e32 v23, v4, v24
	v_fmac_f32_e32 v19, v4, v20
	v_fmac_f32_e32 v15, v4, v16
	v_fmac_f32_e32 v11, v4, v12
	v_fmac_f32_e32 v7, v4, v8
	v_fmac_f32_e32 v3, v4, v60
	v_fmac_f32_e32 v67, v5, v69
	v_fmac_f32_e32 v63, v5, v65
	v_fmac_f32_e32 v55, v5, v57
	v_fmac_f32_e32 v51, v5, v53
	v_fmac_f32_e32 v47, v5, v49
	v_fmac_f32_e32 v43, v5, v45
	v_fmac_f32_e32 v39, v5, v41
	v_fmac_f32_e32 v35, v5, v37
	v_fmac_f32_e32 v31, v5, v33
	v_fmac_f32_e32 v27, v5, v29
	v_fmac_f32_e32 v23, v5, v25
	v_fmac_f32_e32 v19, v5, v21
	v_fmac_f32_e32 v15, v5, v17
	v_fmac_f32_e32 v11, v5, v13
	v_fmac_f32_e32 v7, v5, v9
	v_fmac_f32_e32 v3, v5, v61
	v_add_f32_e32 v70, v70, v67
	v_add_f32_e32 v73, v73, v63
	;; [unrolled: 1-line block ×16, first 2 shown]
.LBB42_47:                              ;   in Loop: Header=BB42_48 Depth=1
	s_or_b64 exec, exec, s[12:13]
	v_add_u32_e32 v1, 2, v1
	v_cmp_le_i32_e32 vcc, s44, v1
	v_lshl_add_u64 v[88:89], v[88:89], 0, 8
	v_add_u32_e32 v114, 64, v114
	s_or_b64 s[10:11], vcc, s[10:11]
	v_add_u32_e32 v122, 0x100, v122
	s_andn2_b64 exec, exec, s[10:11]
	s_cbranch_execz .LBB42_81
.LBB42_48:                              ; =>This Inner Loop Header: Depth=1
	v_mul_hi_u32 v2, v114, s33
	v_mul_lo_u32 v3, v2, s23
	v_sub_u32_e32 v3, v114, v3
	v_add_u32_e32 v4, 1, v2
	v_cmp_le_u32_e32 vcc, s23, v3
	s_nop 1
	v_cndmask_b32_e32 v2, v2, v4, vcc
	v_subrev_u32_e32 v4, s23, v3
	v_cndmask_b32_e32 v3, v3, v4, vcc
	v_add_u32_e32 v4, 1, v2
	v_cmp_le_u32_e32 vcc, s23, v3
	s_nop 1
	v_cndmask_b32_e32 v2, v2, v4, vcc
	v_xor_b32_e32 v2, s43, v2
	v_subrev_u32_e32 v2, s43, v2
	v_add_u32_e32 v3, s42, v2
	v_sub_u32_e32 v5, 0, v3
	v_ashrrev_i32_e32 v4, 31, v3
	v_max_i32_e32 v3, v3, v5
	v_mul_hi_u32 v5, v3, v121
	v_mul_lo_u32 v5, v5, s19
	v_sub_u32_e32 v3, v3, v5
	v_subrev_u32_e32 v5, s19, v3
	v_cmp_le_u32_e32 vcc, s19, v3
	v_cmp_lt_i32_e64 s[0:1], s34, v2
	s_nop 0
	v_cndmask_b32_e32 v3, v3, v5, vcc
	v_subrev_u32_e32 v5, s19, v3
	v_cmp_le_u32_e32 vcc, s19, v3
	s_nop 1
	v_cndmask_b32_e32 v3, v3, v5, vcc
	v_xor_b32_e32 v3, v3, v4
	v_sub_u32_e32 v3, v3, v4
	v_cmp_eq_u32_e32 vcc, 0, v3
	s_or_b64 s[0:1], vcc, s[0:1]
	s_and_saveexec_b64 s[12:13], s[0:1]
	s_cbranch_execz .LBB42_47
; %bb.49:                               ;   in Loop: Header=BB42_48 Depth=1
	global_load_dword v2, v[88:89], off
	v_mov_b32_e32 v91, v83
	v_cmp_eq_u32_e32 vcc, s18, v1
	s_waitcnt vmcnt(0)
	v_mad_i64_i32 v[2:3], s[0:1], v2, s17, 0
	v_lshl_add_u64 v[58:59], v[2:3], 2, s[2:3]
	v_lshl_add_u64 v[18:19], v[58:59], 0, v[90:91]
	global_load_dwordx4 v[6:9], v[18:19], off
	ds_read_b128 v[2:5], v122
	v_add_u32_e32 v91, v120, v114
	v_add_u32_e32 v125, 1, v91
	;; [unrolled: 1-line block ×4, first 2 shown]
	s_and_saveexec_b64 s[14:15], vcc
	s_cbranch_execnz .LBB42_78
; %bb.50:                               ;   in Loop: Header=BB42_48 Depth=1
	s_or_b64 exec, exec, s[14:15]
	global_load_dwordx4 v[10:13], v[18:19], off offset:1024
	s_and_saveexec_b64 s[14:15], vcc
	s_cbranch_execnz .LBB42_79
.LBB42_51:                              ;   in Loop: Header=BB42_48 Depth=1
	s_or_b64 exec, exec, s[14:15]
	global_load_dwordx4 v[14:17], v[18:19], off offset:2048
	s_and_saveexec_b64 s[14:15], vcc
	s_cbranch_execnz .LBB42_80
.LBB42_52:                              ;   in Loop: Header=BB42_48 Depth=1
	s_or_b64 exec, exec, s[14:15]
	global_load_dwordx4 v[18:21], v[18:19], off offset:3072
	s_and_saveexec_b64 s[14:15], vcc
	s_cbranch_execz .LBB42_54
.LBB42_53:                              ;   in Loop: Header=BB42_48 Depth=1
	v_cmp_gt_i32_e64 s[0:1], s21, v91
	s_waitcnt vmcnt(0)
	s_nop 0
	v_cndmask_b32_e64 v18, 0, v18, s[0:1]
	v_cmp_gt_i32_e64 s[0:1], s21, v125
	s_nop 1
	v_cndmask_b32_e64 v19, 0, v19, s[0:1]
	v_cmp_gt_i32_e64 s[0:1], s21, v124
	s_nop 1
	v_cndmask_b32_e64 v20, 0, v20, s[0:1]
	v_cmp_gt_i32_e64 s[0:1], s21, v123
	s_nop 1
	v_cndmask_b32_e64 v21, 0, v21, s[0:1]
.LBB42_54:                              ;   in Loop: Header=BB42_48 Depth=1
	s_or_b64 exec, exec, s[14:15]
	v_lshl_add_u64 v[22:23], v[58:59], 0, v[82:83]
	global_load_dwordx4 v[22:25], v[22:23], off
	s_and_saveexec_b64 s[14:15], vcc
	s_cbranch_execz .LBB42_56
; %bb.55:                               ;   in Loop: Header=BB42_48 Depth=1
	v_cmp_gt_i32_e64 s[0:1], s21, v91
	s_waitcnt vmcnt(0)
	s_nop 0
	v_cndmask_b32_e64 v22, 0, v22, s[0:1]
	v_cmp_gt_i32_e64 s[0:1], s21, v125
	s_nop 1
	v_cndmask_b32_e64 v23, 0, v23, s[0:1]
	v_cmp_gt_i32_e64 s[0:1], s21, v124
	s_nop 1
	v_cndmask_b32_e64 v24, 0, v24, s[0:1]
	v_cmp_gt_i32_e64 s[0:1], s21, v123
	s_nop 1
	v_cndmask_b32_e64 v25, 0, v25, s[0:1]
.LBB42_56:                              ;   in Loop: Header=BB42_48 Depth=1
	s_or_b64 exec, exec, s[14:15]
	v_mov_b32_e32 v93, v83
	v_lshl_add_u64 v[26:27], v[58:59], 0, v[92:93]
	global_load_dwordx4 v[26:29], v[26:27], off
	s_and_saveexec_b64 s[14:15], vcc
	s_cbranch_execz .LBB42_58
; %bb.57:                               ;   in Loop: Header=BB42_48 Depth=1
	v_cmp_gt_i32_e64 s[0:1], s21, v91
	s_waitcnt vmcnt(0)
	s_nop 0
	v_cndmask_b32_e64 v26, 0, v26, s[0:1]
	v_cmp_gt_i32_e64 s[0:1], s21, v125
	s_nop 1
	v_cndmask_b32_e64 v27, 0, v27, s[0:1]
	v_cmp_gt_i32_e64 s[0:1], s21, v124
	s_nop 1
	v_cndmask_b32_e64 v28, 0, v28, s[0:1]
	v_cmp_gt_i32_e64 s[0:1], s21, v123
	s_nop 1
	v_cndmask_b32_e64 v29, 0, v29, s[0:1]
.LBB42_58:                              ;   in Loop: Header=BB42_48 Depth=1
	s_or_b64 exec, exec, s[14:15]
	v_mov_b32_e32 v95, v83
	;; [unrolled: 21-line block ×11, first 2 shown]
	v_lshl_add_u64 v[58:59], v[58:59], 0, v[112:113]
	global_load_dwordx4 v[58:61], v[58:59], off
	s_and_saveexec_b64 s[0:1], vcc
	s_cbranch_execz .LBB42_46
; %bb.77:                               ;   in Loop: Header=BB42_48 Depth=1
	v_cmp_gt_i32_e32 vcc, s21, v91
	s_waitcnt vmcnt(0)
	s_nop 0
	v_cndmask_b32_e32 v58, 0, v58, vcc
	v_cmp_gt_i32_e32 vcc, s21, v125
	s_nop 1
	v_cndmask_b32_e32 v59, 0, v59, vcc
	v_cmp_gt_i32_e32 vcc, s21, v124
	;; [unrolled: 3-line block ×3, first 2 shown]
	s_nop 1
	v_cndmask_b32_e32 v61, 0, v61, vcc
	s_branch .LBB42_46
.LBB42_78:                              ;   in Loop: Header=BB42_48 Depth=1
	v_cmp_gt_i32_e64 s[0:1], s21, v91
	s_waitcnt vmcnt(0)
	s_nop 0
	v_cndmask_b32_e64 v6, 0, v6, s[0:1]
	v_cmp_gt_i32_e64 s[0:1], s21, v125
	s_nop 1
	v_cndmask_b32_e64 v7, 0, v7, s[0:1]
	v_cmp_gt_i32_e64 s[0:1], s21, v124
	;; [unrolled: 3-line block ×3, first 2 shown]
	s_nop 1
	v_cndmask_b32_e64 v9, 0, v9, s[0:1]
	s_or_b64 exec, exec, s[14:15]
	global_load_dwordx4 v[10:13], v[18:19], off offset:1024
	s_and_saveexec_b64 s[14:15], vcc
	s_cbranch_execz .LBB42_51
.LBB42_79:                              ;   in Loop: Header=BB42_48 Depth=1
	v_cmp_gt_i32_e64 s[0:1], s21, v91
	s_waitcnt vmcnt(0)
	s_nop 0
	v_cndmask_b32_e64 v10, 0, v10, s[0:1]
	v_cmp_gt_i32_e64 s[0:1], s21, v125
	s_nop 1
	v_cndmask_b32_e64 v11, 0, v11, s[0:1]
	v_cmp_gt_i32_e64 s[0:1], s21, v124
	;; [unrolled: 3-line block ×3, first 2 shown]
	s_nop 1
	v_cndmask_b32_e64 v13, 0, v13, s[0:1]
	s_or_b64 exec, exec, s[14:15]
	global_load_dwordx4 v[14:17], v[18:19], off offset:2048
	s_and_saveexec_b64 s[14:15], vcc
	s_cbranch_execz .LBB42_52
.LBB42_80:                              ;   in Loop: Header=BB42_48 Depth=1
	v_cmp_gt_i32_e64 s[0:1], s21, v91
	s_waitcnt vmcnt(0)
	s_nop 0
	v_cndmask_b32_e64 v14, 0, v14, s[0:1]
	v_cmp_gt_i32_e64 s[0:1], s21, v125
	s_nop 1
	v_cndmask_b32_e64 v15, 0, v15, s[0:1]
	v_cmp_gt_i32_e64 s[0:1], s21, v124
	;; [unrolled: 3-line block ×3, first 2 shown]
	s_nop 1
	v_cndmask_b32_e64 v17, 0, v17, s[0:1]
	s_or_b64 exec, exec, s[14:15]
	global_load_dwordx4 v[18:21], v[18:19], off offset:3072
	s_and_saveexec_b64 s[14:15], vcc
	s_cbranch_execnz .LBB42_53
	s_branch .LBB42_54
.LBB42_81:
	s_or_b64 exec, exec, s[10:11]
.LBB42_82:
	s_or_b64 exec, exec, s[8:9]
	ds_bpermute_b32 v4, v117, v84
	ds_bpermute_b32 v5, v117, v85
	;; [unrolled: 1-line block ×6, first 2 shown]
	s_waitcnt lgkmcnt(4)
	v_pk_add_f32 v[4:5], v[84:85], v[4:5]
	ds_bpermute_b32 v8, v116, v4
	ds_bpermute_b32 v9, v116, v5
	s_waitcnt lgkmcnt(4)
	v_pk_add_f32 v[2:3], v[86:87], v[2:3]
	ds_bpermute_b32 v6, v116, v2
	ds_bpermute_b32 v7, v116, v3
	;; [unrolled: 1-line block ×3, first 2 shown]
	s_waitcnt lgkmcnt(3)
	v_pk_add_f32 v[4:5], v[4:5], v[8:9]
	v_pk_add_f32 v[8:9], v[80:81], v[10:11]
	ds_bpermute_b32 v10, v116, v8
	ds_bpermute_b32 v11, v116, v9
	;; [unrolled: 1-line block ×3, first 2 shown]
	s_waitcnt lgkmcnt(4)
	v_pk_add_f32 v[2:3], v[2:3], v[6:7]
	ds_bpermute_b32 v6, v118, v2
	ds_bpermute_b32 v7, v118, v3
	s_waitcnt lgkmcnt(3)
	v_pk_add_f32 v[8:9], v[8:9], v[10:11]
	s_waitcnt lgkmcnt(2)
	v_pk_add_f32 v[14:15], v[78:79], v[14:15]
	ds_bpermute_b32 v10, v118, v8
	ds_bpermute_b32 v11, v118, v9
	;; [unrolled: 1-line block ×4, first 2 shown]
	s_waitcnt lgkmcnt(4)
	v_pk_add_f32 v[6:7], v[2:3], v[6:7]
	ds_bpermute_b32 v20, v117, v72
	s_waitcnt lgkmcnt(3)
	v_pk_add_f32 v[2:3], v[8:9], v[10:11]
	ds_bpermute_b32 v10, v117, v76
	;; [unrolled: 3-line block ×3, first 2 shown]
	ds_bpermute_b32 v15, v117, v75
	ds_bpermute_b32 v11, v117, v77
	;; [unrolled: 1-line block ×5, first 2 shown]
	s_waitcnt lgkmcnt(4)
	v_pk_add_f32 v[14:15], v[74:75], v[14:15]
	s_waitcnt lgkmcnt(3)
	v_pk_add_f32 v[10:11], v[76:77], v[10:11]
	ds_bpermute_b32 v18, v116, v14
	ds_bpermute_b32 v19, v116, v15
	;; [unrolled: 1-line block ×6, first 2 shown]
	s_waitcnt lgkmcnt(4)
	v_pk_add_f32 v[18:19], v[14:15], v[18:19]
	v_pk_add_f32 v[14:15], v[72:73], v[20:21]
	s_waitcnt lgkmcnt(2)
	v_pk_add_f32 v[10:11], v[10:11], v[16:17]
	ds_bpermute_b32 v20, v116, v14
	ds_bpermute_b32 v21, v116, v15
	v_pk_add_f32 v[24:25], v[70:71], v[24:25]
	s_waitcnt lgkmcnt(2)
	v_pk_add_f32 v[4:5], v[4:5], v[12:13]
	ds_bpermute_b32 v12, v118, v8
	ds_bpermute_b32 v13, v118, v9
	;; [unrolled: 1-line block ×8, first 2 shown]
	s_waitcnt lgkmcnt(8)
	v_pk_add_f32 v[20:21], v[14:15], v[20:21]
	ds_bpermute_b32 v26, v118, v20
	ds_bpermute_b32 v27, v118, v21
	s_waitcnt lgkmcnt(8)
	v_pk_add_f32 v[14:15], v[8:9], v[12:13]
	s_waitcnt lgkmcnt(6)
	v_pk_add_f32 v[12:13], v[10:11], v[16:17]
	;; [unrolled: 2-line block ×4, first 2 shown]
	ds_bpermute_b32 v18, v118, v16
	ds_bpermute_b32 v19, v118, v17
	v_and_b32_e32 v1, 0x3c7, v0
	s_waitcnt lgkmcnt(2)
	v_pk_add_f32 v[8:9], v[20:21], v[26:27]
	v_cmp_ne_u32_e32 vcc, 64, v1
	s_waitcnt lgkmcnt(0)
	s_barrier
	s_and_saveexec_b64 s[0:1], vcc
	s_xor_b64 s[0:1], exec, s[0:1]
; %bb.83:
                                        ; implicit-def: $vgpr115
; %bb.84:
	s_or_saveexec_b64 s[0:1], s[0:1]
	v_pk_add_f32 v[16:17], v[16:17], v[18:19]
	s_xor_b64 exec, exec, s[0:1]
	s_cbranch_execz .LBB42_86
; %bb.85:
	v_lshrrev_b32_e32 v18, 1, v115
	v_add_u32_e32 v18, 0x210, v18
	ds_write2_b32 v18, v6, v7 offset1:8
	ds_write2_b32 v18, v4, v5 offset0:16 offset1:24
	ds_write2_b32 v18, v2, v3 offset0:32 offset1:40
	;; [unrolled: 1-line block ×7, first 2 shown]
.LBB42_86:
	s_or_b64 exec, exec, s[0:1]
	s_waitcnt lgkmcnt(0)
	s_barrier
	s_and_saveexec_b64 s[0:1], s[6:7]
	s_cbranch_execz .LBB42_105
; %bb.87:
	v_cmp_eq_u32_e32 vcc, 0, v119
	v_lshrrev_b32_e32 v18, 3, v0
	s_and_saveexec_b64 s[2:3], vcc
	s_cbranch_execnz .LBB42_108
; %bb.88:
	s_or_b64 exec, exec, s[2:3]
	s_and_saveexec_b64 s[2:3], vcc
	s_cbranch_execnz .LBB42_109
.LBB42_89:
	s_or_b64 exec, exec, s[2:3]
	s_and_saveexec_b64 s[2:3], vcc
	s_cbranch_execnz .LBB42_110
.LBB42_90:
	s_or_b64 exec, exec, s[2:3]
	s_and_saveexec_b64 s[2:3], vcc
	s_cbranch_execnz .LBB42_111
.LBB42_91:
	s_or_b64 exec, exec, s[2:3]
	s_and_saveexec_b64 s[2:3], vcc
	s_cbranch_execnz .LBB42_112
.LBB42_92:
	s_or_b64 exec, exec, s[2:3]
	s_and_saveexec_b64 s[2:3], vcc
	s_cbranch_execnz .LBB42_113
.LBB42_93:
	s_or_b64 exec, exec, s[2:3]
	s_and_saveexec_b64 s[2:3], vcc
	s_cbranch_execnz .LBB42_114
.LBB42_94:
	s_or_b64 exec, exec, s[2:3]
	s_and_saveexec_b64 s[2:3], vcc
	s_cbranch_execnz .LBB42_115
.LBB42_95:
	s_or_b64 exec, exec, s[2:3]
	s_and_saveexec_b64 s[2:3], vcc
	s_cbranch_execnz .LBB42_116
.LBB42_96:
	s_or_b64 exec, exec, s[2:3]
	s_and_saveexec_b64 s[2:3], vcc
	s_cbranch_execnz .LBB42_117
.LBB42_97:
	s_or_b64 exec, exec, s[2:3]
	s_and_saveexec_b64 s[2:3], vcc
	s_cbranch_execnz .LBB42_118
.LBB42_98:
	s_or_b64 exec, exec, s[2:3]
	s_and_saveexec_b64 s[2:3], vcc
	s_cbranch_execnz .LBB42_119
.LBB42_99:
	s_or_b64 exec, exec, s[2:3]
	s_and_saveexec_b64 s[2:3], vcc
	s_cbranch_execnz .LBB42_120
.LBB42_100:
	s_or_b64 exec, exec, s[2:3]
	s_and_saveexec_b64 s[2:3], vcc
	s_cbranch_execnz .LBB42_121
.LBB42_101:
	s_or_b64 exec, exec, s[2:3]
	s_and_saveexec_b64 s[2:3], vcc
	s_cbranch_execnz .LBB42_122
.LBB42_102:
	s_or_b64 exec, exec, s[2:3]
	s_and_saveexec_b64 s[2:3], vcc
	s_cbranch_execz .LBB42_104
.LBB42_103:
	v_mov_b32_e32 v19, 0x210
	v_lshl_add_u32 v18, v18, 2, v19
	ds_read_b32 v18, v18 offset:480
	s_waitcnt lgkmcnt(0)
	v_add_f32_e32 v17, v17, v18
.LBB42_104:
	s_or_b64 exec, exec, s[2:3]
.LBB42_105:
	s_or_b64 exec, exec, s[0:1]
	v_cmp_eq_u32_e32 vcc, 0, v1
	s_barrier
	s_and_saveexec_b64 s[0:1], vcc
	s_cbranch_execz .LBB42_107
; %bb.106:
	s_mul_i32 s0, s20, s16
	s_mul_i32 s0, s0, s5
	s_lshl_b32 s0, s0, 7
	s_ashr_i32 s1, s0, 31
	s_lshl_b64 s[0:1], s[0:1], 2
	s_add_u32 s2, s24, s0
	s_mul_i32 s0, s16, s22
	s_addc_u32 s3, s25, s1
	s_ashr_i32 s1, s0, 31
	s_lshl_b64 s[0:1], s[0:1], 2
	s_add_u32 s2, s2, s0
	s_addc_u32 s3, s3, s1
	s_lshl_b32 s0, s4, 7
	s_ashr_i32 s1, s0, 31
	s_lshl_b64 s[0:1], s[0:1], 2
	s_add_u32 s0, s2, s0
	s_addc_u32 s1, s3, s1
	v_lshrrev_b32_e32 v0, 1, v0
	global_store_dword v0, v6, s[0:1]
	global_store_dword v0, v7, s[0:1] offset:32
	global_store_dword v0, v4, s[0:1] offset:64
	;; [unrolled: 1-line block ×15, first 2 shown]
.LBB42_107:
	s_endpgm
.LBB42_108:
	v_mov_b32_e32 v19, 0x210
	v_lshl_add_u32 v19, v18, 2, v19
	ds_read_b32 v19, v19
	s_waitcnt lgkmcnt(0)
	v_add_f32_e32 v6, v6, v19
	s_or_b64 exec, exec, s[2:3]
	s_and_saveexec_b64 s[2:3], vcc
	s_cbranch_execz .LBB42_89
.LBB42_109:
	v_mov_b32_e32 v19, 0x210
	v_lshl_add_u32 v19, v18, 2, v19
	ds_read_b32 v19, v19 offset:32
	s_waitcnt lgkmcnt(0)
	v_add_f32_e32 v7, v7, v19
	s_or_b64 exec, exec, s[2:3]
	s_and_saveexec_b64 s[2:3], vcc
	s_cbranch_execz .LBB42_90
.LBB42_110:
	v_mov_b32_e32 v19, 0x210
	v_lshl_add_u32 v19, v18, 2, v19
	ds_read_b32 v19, v19 offset:64
	s_waitcnt lgkmcnt(0)
	v_add_f32_e32 v4, v4, v19
	s_or_b64 exec, exec, s[2:3]
	s_and_saveexec_b64 s[2:3], vcc
	s_cbranch_execz .LBB42_91
.LBB42_111:
	v_mov_b32_e32 v19, 0x210
	v_lshl_add_u32 v19, v18, 2, v19
	ds_read_b32 v19, v19 offset:96
	s_waitcnt lgkmcnt(0)
	v_add_f32_e32 v5, v5, v19
	s_or_b64 exec, exec, s[2:3]
	s_and_saveexec_b64 s[2:3], vcc
	s_cbranch_execz .LBB42_92
.LBB42_112:
	v_mov_b32_e32 v19, 0x210
	v_lshl_add_u32 v19, v18, 2, v19
	ds_read_b32 v19, v19 offset:128
	s_waitcnt lgkmcnt(0)
	v_add_f32_e32 v2, v2, v19
	s_or_b64 exec, exec, s[2:3]
	s_and_saveexec_b64 s[2:3], vcc
	s_cbranch_execz .LBB42_93
.LBB42_113:
	v_mov_b32_e32 v19, 0x210
	v_lshl_add_u32 v19, v18, 2, v19
	ds_read_b32 v19, v19 offset:160
	s_waitcnt lgkmcnt(0)
	v_add_f32_e32 v3, v3, v19
	s_or_b64 exec, exec, s[2:3]
	s_and_saveexec_b64 s[2:3], vcc
	s_cbranch_execz .LBB42_94
.LBB42_114:
	v_mov_b32_e32 v19, 0x210
	v_lshl_add_u32 v19, v18, 2, v19
	ds_read_b32 v19, v19 offset:192
	s_waitcnt lgkmcnt(0)
	v_add_f32_e32 v14, v14, v19
	s_or_b64 exec, exec, s[2:3]
	s_and_saveexec_b64 s[2:3], vcc
	s_cbranch_execz .LBB42_95
.LBB42_115:
	v_mov_b32_e32 v19, 0x210
	v_lshl_add_u32 v19, v18, 2, v19
	ds_read_b32 v19, v19 offset:224
	s_waitcnt lgkmcnt(0)
	v_add_f32_e32 v15, v15, v19
	s_or_b64 exec, exec, s[2:3]
	s_and_saveexec_b64 s[2:3], vcc
	s_cbranch_execz .LBB42_96
.LBB42_116:
	v_mov_b32_e32 v19, 0x210
	v_lshl_add_u32 v19, v18, 2, v19
	ds_read_b32 v19, v19 offset:256
	s_waitcnt lgkmcnt(0)
	v_add_f32_e32 v12, v12, v19
	s_or_b64 exec, exec, s[2:3]
	s_and_saveexec_b64 s[2:3], vcc
	s_cbranch_execz .LBB42_97
.LBB42_117:
	v_mov_b32_e32 v19, 0x210
	v_lshl_add_u32 v19, v18, 2, v19
	ds_read_b32 v19, v19 offset:288
	s_waitcnt lgkmcnt(0)
	v_add_f32_e32 v13, v13, v19
	s_or_b64 exec, exec, s[2:3]
	s_and_saveexec_b64 s[2:3], vcc
	s_cbranch_execz .LBB42_98
.LBB42_118:
	v_mov_b32_e32 v19, 0x210
	v_lshl_add_u32 v19, v18, 2, v19
	ds_read_b32 v19, v19 offset:320
	s_waitcnt lgkmcnt(0)
	v_add_f32_e32 v10, v10, v19
	s_or_b64 exec, exec, s[2:3]
	s_and_saveexec_b64 s[2:3], vcc
	s_cbranch_execz .LBB42_99
.LBB42_119:
	v_mov_b32_e32 v19, 0x210
	v_lshl_add_u32 v19, v18, 2, v19
	ds_read_b32 v19, v19 offset:352
	s_waitcnt lgkmcnt(0)
	v_add_f32_e32 v11, v11, v19
	s_or_b64 exec, exec, s[2:3]
	s_and_saveexec_b64 s[2:3], vcc
	s_cbranch_execz .LBB42_100
.LBB42_120:
	v_mov_b32_e32 v19, 0x210
	v_lshl_add_u32 v19, v18, 2, v19
	ds_read_b32 v19, v19 offset:384
	s_waitcnt lgkmcnt(0)
	v_add_f32_e32 v8, v8, v19
	s_or_b64 exec, exec, s[2:3]
	s_and_saveexec_b64 s[2:3], vcc
	s_cbranch_execz .LBB42_101
.LBB42_121:
	v_mov_b32_e32 v19, 0x210
	v_lshl_add_u32 v19, v18, 2, v19
	ds_read_b32 v19, v19 offset:416
	s_waitcnt lgkmcnt(0)
	v_add_f32_e32 v9, v9, v19
	s_or_b64 exec, exec, s[2:3]
	s_and_saveexec_b64 s[2:3], vcc
	s_cbranch_execz .LBB42_102
.LBB42_122:
	v_mov_b32_e32 v19, 0x210
	v_lshl_add_u32 v19, v18, 2, v19
	ds_read_b32 v19, v19 offset:448
	s_waitcnt lgkmcnt(0)
	v_add_f32_e32 v16, v16, v19
	s_or_b64 exec, exec, s[2:3]
	s_and_saveexec_b64 s[2:3], vcc
	s_cbranch_execnz .LBB42_103
	s_branch .LBB42_104
	.section	.rodata,"a",@progbits
	.p2align	6, 0x0
	.amdhsa_kernel _ZN4vllm25paged_attention_v1_kernelIffLi128ELi32ELi128ELNS_18Fp8KVCacheDataTypeE0ELb1EEEvPT_PKS2_PKT0_S8_ifPKiSA_iPKfiiiSC_SC_iiiii
		.amdhsa_group_segment_fixed_size 528
		.amdhsa_private_segment_fixed_size 0
		.amdhsa_kernarg_size 384
		.amdhsa_user_sgpr_count 2
		.amdhsa_user_sgpr_dispatch_ptr 0
		.amdhsa_user_sgpr_queue_ptr 0
		.amdhsa_user_sgpr_kernarg_segment_ptr 1
		.amdhsa_user_sgpr_dispatch_id 0
		.amdhsa_user_sgpr_kernarg_preload_length 0
		.amdhsa_user_sgpr_kernarg_preload_offset 0
		.amdhsa_user_sgpr_private_segment_size 0
		.amdhsa_uses_dynamic_stack 0
		.amdhsa_enable_private_segment 0
		.amdhsa_system_sgpr_workgroup_id_x 1
		.amdhsa_system_sgpr_workgroup_id_y 1
		.amdhsa_system_sgpr_workgroup_id_z 1
		.amdhsa_system_sgpr_workgroup_info 0
		.amdhsa_system_vgpr_workitem_id 0
		.amdhsa_next_free_vgpr 126
		.amdhsa_next_free_sgpr 49
		.amdhsa_accum_offset 128
		.amdhsa_reserve_vcc 1
		.amdhsa_float_round_mode_32 0
		.amdhsa_float_round_mode_16_64 0
		.amdhsa_float_denorm_mode_32 3
		.amdhsa_float_denorm_mode_16_64 3
		.amdhsa_dx10_clamp 1
		.amdhsa_ieee_mode 1
		.amdhsa_fp16_overflow 0
		.amdhsa_tg_split 0
		.amdhsa_exception_fp_ieee_invalid_op 0
		.amdhsa_exception_fp_denorm_src 0
		.amdhsa_exception_fp_ieee_div_zero 0
		.amdhsa_exception_fp_ieee_overflow 0
		.amdhsa_exception_fp_ieee_underflow 0
		.amdhsa_exception_fp_ieee_inexact 0
		.amdhsa_exception_int_div_zero 0
	.end_amdhsa_kernel
	.section	.text._ZN4vllm25paged_attention_v1_kernelIffLi128ELi32ELi128ELNS_18Fp8KVCacheDataTypeE0ELb1EEEvPT_PKS2_PKT0_S8_ifPKiSA_iPKfiiiSC_SC_iiiii,"axG",@progbits,_ZN4vllm25paged_attention_v1_kernelIffLi128ELi32ELi128ELNS_18Fp8KVCacheDataTypeE0ELb1EEEvPT_PKS2_PKT0_S8_ifPKiSA_iPKfiiiSC_SC_iiiii,comdat
.Lfunc_end42:
	.size	_ZN4vllm25paged_attention_v1_kernelIffLi128ELi32ELi128ELNS_18Fp8KVCacheDataTypeE0ELb1EEEvPT_PKS2_PKT0_S8_ifPKiSA_iPKfiiiSC_SC_iiiii, .Lfunc_end42-_ZN4vllm25paged_attention_v1_kernelIffLi128ELi32ELi128ELNS_18Fp8KVCacheDataTypeE0ELb1EEEvPT_PKS2_PKT0_S8_ifPKiSA_iPKfiiiSC_SC_iiiii
                                        ; -- End function
	.section	.AMDGPU.csdata,"",@progbits
; Kernel info:
; codeLenInByte = 8456
; NumSgprs: 55
; NumVgprs: 126
; NumAgprs: 0
; TotalNumVgprs: 126
; ScratchSize: 0
; MemoryBound: 0
; FloatMode: 240
; IeeeMode: 1
; LDSByteSize: 528 bytes/workgroup (compile time only)
; SGPRBlocks: 6
; VGPRBlocks: 15
; NumSGPRsForWavesPerEU: 55
; NumVGPRsForWavesPerEU: 126
; AccumOffset: 128
; Occupancy: 4
; WaveLimiterHint : 1
; COMPUTE_PGM_RSRC2:SCRATCH_EN: 0
; COMPUTE_PGM_RSRC2:USER_SGPR: 2
; COMPUTE_PGM_RSRC2:TRAP_HANDLER: 0
; COMPUTE_PGM_RSRC2:TGID_X_EN: 1
; COMPUTE_PGM_RSRC2:TGID_Y_EN: 1
; COMPUTE_PGM_RSRC2:TGID_Z_EN: 1
; COMPUTE_PGM_RSRC2:TIDIG_COMP_CNT: 0
; COMPUTE_PGM_RSRC3_GFX90A:ACCUM_OFFSET: 31
; COMPUTE_PGM_RSRC3_GFX90A:TG_SPLIT: 0
	.section	.text._ZN4vllm25paged_attention_v1_kernelIffLi192ELi32ELi128ELNS_18Fp8KVCacheDataTypeE0ELb1EEEvPT_PKS2_PKT0_S8_ifPKiSA_iPKfiiiSC_SC_iiiii,"axG",@progbits,_ZN4vllm25paged_attention_v1_kernelIffLi192ELi32ELi128ELNS_18Fp8KVCacheDataTypeE0ELb1EEEvPT_PKS2_PKT0_S8_ifPKiSA_iPKfiiiSC_SC_iiiii,comdat
	.protected	_ZN4vllm25paged_attention_v1_kernelIffLi192ELi32ELi128ELNS_18Fp8KVCacheDataTypeE0ELb1EEEvPT_PKS2_PKT0_S8_ifPKiSA_iPKfiiiSC_SC_iiiii ; -- Begin function _ZN4vllm25paged_attention_v1_kernelIffLi192ELi32ELi128ELNS_18Fp8KVCacheDataTypeE0ELb1EEEvPT_PKS2_PKT0_S8_ifPKiSA_iPKfiiiSC_SC_iiiii
	.globl	_ZN4vllm25paged_attention_v1_kernelIffLi192ELi32ELi128ELNS_18Fp8KVCacheDataTypeE0ELb1EEEvPT_PKS2_PKT0_S8_ifPKiSA_iPKfiiiSC_SC_iiiii
	.p2align	8
	.type	_ZN4vllm25paged_attention_v1_kernelIffLi192ELi32ELi128ELNS_18Fp8KVCacheDataTypeE0ELb1EEEvPT_PKS2_PKT0_S8_ifPKiSA_iPKfiiiSC_SC_iiiii,@function
_ZN4vllm25paged_attention_v1_kernelIffLi192ELi32ELi128ELNS_18Fp8KVCacheDataTypeE0ELb1EEEvPT_PKS2_PKT0_S8_ifPKiSA_iPKfiiiSC_SC_iiiii: ; @_ZN4vllm25paged_attention_v1_kernelIffLi192ELi32ELi128ELNS_18Fp8KVCacheDataTypeE0ELb1EEEvPT_PKS2_PKT0_S8_ifPKiSA_iPKfiiiSC_SC_iiiii
; %bb.0:
	s_load_dword s5, s[0:1], 0x80
	s_load_dwordx2 s[6:7], s[0:1], 0x30
	s_load_dwordx2 s[30:31], s[0:1], 0x20
	s_mov_b32 s10, s3
	s_ashr_i32 s11, s3, 31
	s_lshl_b64 s[8:9], s[10:11], 2
	s_waitcnt lgkmcnt(0)
	s_add_u32 s6, s6, s8
	s_addc_u32 s7, s7, s9
	s_abs_i32 s3, s30
	v_mov_b32_e32 v109, v0
	v_cvt_f32_u32_e32 v0, s3
	s_sub_i32 s11, 0, s3
	s_abs_i32 s9, s5
	s_xor_b32 s8, s5, s30
	v_rcp_iflag_f32_e32 v0, v0
	s_ashr_i32 s8, s8, 31
	s_mov_b32 s43, 0
	v_mul_f32_e32 v0, 0x4f7ffffe, v0
	v_cvt_u32_f32_e32 v0, v0
	s_nop 0
	v_readfirstlane_b32 s12, v0
	s_mul_i32 s11, s11, s12
	s_mul_hi_u32 s11, s12, s11
	s_add_i32 s12, s12, s11
	s_mul_hi_u32 s11, s9, s12
	s_mul_i32 s12, s11, s3
	s_sub_i32 s9, s9, s12
	s_add_i32 s12, s11, 1
	s_sub_i32 s13, s9, s3
	s_cmp_ge_u32 s9, s3
	s_cselect_b32 s11, s12, s11
	s_cselect_b32 s9, s13, s9
	s_add_i32 s12, s11, 1
	s_cmp_ge_u32 s9, s3
	s_cselect_b32 s3, s12, s11
	s_xor_b32 s3, s3, s8
	s_sub_i32 s12, s3, s8
	s_abs_i32 s11, s12
	v_cvt_f32_u32_e32 v0, s11
	s_load_dwordx2 s[8:9], s[0:1], 0x40
	s_sub_i32 s3, 0, s11
	s_abs_i32 s22, s2
	v_rcp_iflag_f32_e32 v0, v0
	s_nop 0
	v_mul_f32_e32 v0, 0x4f7ffffe, v0
	v_cvt_u32_f32_e32 v0, v0
	s_nop 0
	v_readfirstlane_b32 s13, v0
	s_mul_i32 s3, s3, s13
	s_mul_hi_u32 s3, s13, s3
	s_add_i32 s13, s13, s3
	s_waitcnt lgkmcnt(0)
	s_cmp_eq_u64 s[8:9], 0
	s_mul_hi_u32 s23, s22, s13
	s_cbranch_scc1 .LBB43_2
; %bb.1:
	s_ashr_i32 s3, s2, 31
	s_lshl_b64 s[14:15], s[2:3], 2
	s_add_u32 s8, s8, s14
	s_addc_u32 s9, s9, s15
	s_load_dword s43, s[8:9], 0x0
.LBB43_2:
	s_load_dword s33, s[6:7], 0x0
	s_load_dwordx4 s[16:19], s[0:1], 0x48
	s_movk_i32 s6, 0x60
	s_ashr_i32 s3, s2, 31
	s_ashr_i32 s9, s12, 31
	v_and_b32_e32 v2, 1, v109
	s_mul_i32 s20, s2, 0xc0
	v_cmp_gt_u32_e32 vcc, s6, v109
	v_lshlrev_b32_e32 v0, 3, v109
	v_lshlrev_b32_e32 v50, 2, v109
	s_and_saveexec_b64 s[6:7], vcc
	s_cbranch_execz .LBB43_4
; %bb.3:
	s_load_dwordx2 s[12:13], s[0:1], 0x8
	s_waitcnt lgkmcnt(0)
	s_mul_i32 s14, s10, s16
	s_ashr_i32 s15, s14, 31
	s_lshl_b64 s[14:15], s[14:15], 2
	v_and_b32_e32 v1, 0xff8, v50
	s_add_u32 s8, s12, s14
	s_addc_u32 s14, s13, s15
	s_ashr_i32 s21, s20, 31
	s_lshl_b64 s[12:13], s[20:21], 2
	s_add_u32 s12, s8, s12
	s_addc_u32 s13, s14, s13
	global_load_dwordx2 v[4:5], v0, s[12:13]
	s_movk_i32 s8, 0x180
	v_mad_u32_u24 v1, v2, s8, v1
	s_waitcnt vmcnt(0)
	ds_write_b64 v1, v[4:5]
.LBB43_4:
	s_or_b64 exec, exec, s[6:7]
	s_mul_i32 s6, s23, s11
	s_sub_i32 s6, s22, s6
	s_xor_b32 s3, s3, s9
	s_add_i32 s7, s23, 1
	s_sub_i32 s9, s6, s11
	s_load_dwordx4 s[12:15], s[0:1], 0x68
	s_load_dword s8, s[0:1], 0x78
	s_cmp_ge_u32 s6, s11
	s_cselect_b32 s7, s7, s23
	s_cselect_b32 s6, s9, s6
	s_add_i32 s9, s7, 1
	s_cmp_ge_u32 s6, s11
	s_cselect_b32 s6, s9, s7
	s_waitcnt lgkmcnt(0)
	s_abs_i32 s16, s15
	v_cvt_f32_u32_e32 v1, s16
	s_xor_b32 s6, s6, s3
	s_sub_i32 s3, s6, s3
	s_sub_i32 s6, 0, s16
	v_rcp_iflag_f32_e32 v1, v1
	s_add_i32 s11, s33, -1
	s_abs_i32 s9, s11
	v_mul_f32_e32 v1, 0x4f7ffffe, v1
	v_cvt_u32_f32_e32 v1, v1
	s_barrier
	v_readfirstlane_b32 s21, v1
	s_mul_i32 s6, s6, s21
	s_mul_hi_u32 s6, s21, s6
	s_add_i32 s21, s21, s6
	s_cmp_lt_i32 s8, 0
	s_mul_hi_u32 s19, s9, s21
	s_cbranch_scc0 .LBB43_6
; %bb.5:
	s_mul_i32 s6, s12, s30
	s_add_i32 s6, s3, s6
	s_mul_i32 s6, s6, s8
	s_sub_i32 s40, 1, s6
	s_mov_b64 s[6:7], 0
	s_branch .LBB43_7
.LBB43_6:
	s_mov_b64 s[6:7], -1
                                        ; implicit-def: $sgpr40
.LBB43_7:
	s_load_dwordx2 s[24:25], s[0:1], 0x28
	s_ashr_i32 s26, s11, 31
	s_andn2_b64 vcc, exec, s[6:7]
	s_ashr_i32 s41, s15, 31
	s_cbranch_vccnz .LBB43_9
; %bb.8:
	s_mul_i32 s6, s5, s12
	s_add_i32 s2, s6, s2
	s_mul_i32 s2, s2, s8
	s_add_i32 s40, s2, 1
.LBB43_9:
	s_load_dword s2, s[0:1], 0x38
	s_load_dwordx2 s[22:23], s[0:1], 0x0
	s_load_dwordx2 s[28:29], s[0:1], 0x18
	s_load_dword s11, s[0:1], 0x88
	s_xor_b32 s6, s26, s41
	s_waitcnt lgkmcnt(0)
	s_mul_i32 s26, s10, s2
	s_mul_i32 s2, s19, s16
	s_sub_i32 s2, s9, s2
	s_ashr_i32 s27, s26, 31
	s_add_i32 s7, s19, 1
	s_sub_i32 s8, s2, s16
	s_cmp_ge_u32 s2, s16
	s_cselect_b32 s7, s7, s19
	s_cselect_b32 s2, s8, s2
	s_add_i32 s8, s7, 1
	s_cmp_ge_u32 s2, s16
	s_cselect_b32 s2, s8, s7
	s_xor_b32 s2, s2, s6
	s_sub_i32 s12, s2, s6
	s_add_i32 s2, s33, 31
	s_ashr_i32 s6, s2, 31
	s_lshr_b32 s6, s6, 27
	s_add_i32 s2, s2, s6
	s_ashr_i32 s42, s2, 5
	v_lshrrev_b32_e32 v104, 6, v109
	v_cmp_gt_i32_e64 s[6:7], s42, v104
	v_mov_b32_e32 v55, 0xff7fffff
	s_mul_i32 s18, s3, s18
	v_lshrrev_b32_e32 v51, 4, v109
	v_lshlrev_b32_e32 v105, 5, v104
	v_mbcnt_lo_u32_b32 v52, -1, 0
	s_and_saveexec_b64 s[34:35], s[6:7]
	s_cbranch_execz .LBB43_19
; %bb.10:
	s_load_dwordx2 s[0:1], s[0:1], 0x10
	s_ashr_i32 s19, s18, 31
	s_sub_i32 s15, s12, s13
	s_lshl_b64 s[2:3], s[18:19], 2
	v_bfe_u32 v53, v109, 1, 5
	s_waitcnt lgkmcnt(0)
	s_add_u32 s0, s0, s2
	s_addc_u32 s1, s1, s3
	s_abs_i32 s19, s14
	v_cvt_f32_u32_e32 v1, s19
	v_lshlrev_b32_e32 v4, 4, v53
	v_mov_b32_e32 v5, 0
	v_lshl_add_u64 v[6:7], s[0:1], 0, v[4:5]
	v_rcp_iflag_f32_e32 v3, v1
	s_sub_i32 s0, 0, s19
	v_cmp_eq_u32_e32 vcc, 0, v2
	v_mul_u32_u24_e32 v54, 0x180, v2
	v_mul_f32_e32 v3, 0x4f7ffffe, v3
	v_cvt_u32_f32_e32 v3, v3
	v_and_b32_e32 v4, 8, v0
	v_lshlrev_b32_e32 v8, 2, v53
	v_lshl_add_u64 v[0:1], v[6:7], 0, v[4:5]
	v_mul_lo_u32 v2, s0, v3
	s_lshl_b64 s[0:1], s[26:27], 2
	s_add_u32 s0, s24, s0
	v_mul_hi_u32 v2, v3, v2
	v_and_b32_e32 v4, 60, v51
	s_addc_u32 s1, s25, s1
	v_add_u32_e32 v56, v3, v2
	v_lshl_add_u64 v[2:3], s[0:1], 0, v[4:5]
	v_lshl_or_b32 v4, v104, 7, v8
	v_add_u32_e32 v58, 0x310, v4
	v_subrev_u32_e32 v4, s33, v53
	v_mbcnt_hi_u32_b32 v61, -1, v52
	v_add_u32_e32 v59, 1, v4
	v_and_b32_e32 v4, 64, v61
	s_mov_b32 s30, s17
	v_cmp_neq_f32_e64 s[2:3], s43, 0
	v_lshlrev_b32_e32 v57, 5, v104
	s_mov_b64 s[36:37], 0
	v_mov_b32_e32 v60, 0xff7fffff
	s_movk_i32 s44, 0x1000
	s_movk_i32 s45, 0x2000
	;; [unrolled: 1-line block ×5, first 2 shown]
	v_xor_b32_e32 v62, 1, v61
	v_add_u32_e32 v63, 64, v4
	v_mov_b32_e32 v55, 0xff7fffff
	v_mov_b32_e32 v64, v104
	s_branch .LBB43_13
.LBB43_11:                              ;   in Loop: Header=BB43_13 Depth=1
	s_or_b64 exec, exec, s[38:39]
.LBB43_12:                              ;   in Loop: Header=BB43_13 Depth=1
	s_or_b64 exec, exec, s[8:9]
	v_add_u32_e32 v64, 2, v64
	v_cmp_le_i32_e64 s[0:1], s42, v64
	v_lshl_add_u64 v[2:3], v[2:3], 0, 8
	v_add_u32_e32 v57, 64, v57
	s_or_b64 s[36:37], s[0:1], s[36:37]
	v_add_u32_e32 v58, 0x100, v58
	s_andn2_b64 exec, exec, s[36:37]
	s_cbranch_execz .LBB43_18
.LBB43_13:                              ; =>This Inner Loop Header: Depth=1
	v_mul_hi_u32 v4, v57, s21
	s_waitcnt lgkmcnt(0)
	v_mul_lo_u32 v5, v4, s16
	v_sub_u32_e32 v5, v57, v5
	v_add_u32_e32 v6, 1, v4
	v_cmp_le_u32_e64 s[0:1], s16, v5
	s_nop 1
	v_cndmask_b32_e64 v4, v4, v6, s[0:1]
	v_subrev_u32_e32 v6, s16, v5
	v_cndmask_b32_e64 v5, v5, v6, s[0:1]
	v_add_u32_e32 v6, 1, v4
	v_cmp_le_u32_e64 s[0:1], s16, v5
	s_nop 1
	v_cndmask_b32_e64 v4, v4, v6, s[0:1]
	v_xor_b32_e32 v4, s41, v4
	v_subrev_u32_e32 v4, s41, v4
	v_add_u32_e32 v5, s40, v4
	v_sub_u32_e32 v7, 0, v5
	v_ashrrev_i32_e32 v6, 31, v5
	v_max_i32_e32 v5, v5, v7
	v_mul_hi_u32 v7, v5, v56
	v_mul_lo_u32 v7, v7, s19
	v_sub_u32_e32 v5, v5, v7
	v_subrev_u32_e32 v7, s19, v5
	v_cmp_le_u32_e64 s[0:1], s19, v5
	v_cmp_ge_i32_e64 s[8:9], s15, v4
	s_nop 0
	v_cndmask_b32_e64 v5, v5, v7, s[0:1]
	v_subrev_u32_e32 v7, s19, v5
	v_cmp_le_u32_e64 s[0:1], s19, v5
	s_nop 1
	v_cndmask_b32_e64 v5, v5, v7, s[0:1]
	v_xor_b32_e32 v5, v5, v6
	v_sub_u32_e32 v5, v5, v6
	v_cmp_ne_u32_e64 s[0:1], 0, v5
	s_and_b64 s[0:1], s[0:1], s[8:9]
	s_and_b64 s[38:39], vcc, s[0:1]
	s_and_saveexec_b64 s[8:9], s[38:39]
	s_cbranch_execz .LBB43_15
; %bb.14:                               ;   in Loop: Header=BB43_13 Depth=1
	ds_write_b32 v58, v60
.LBB43_15:                              ;   in Loop: Header=BB43_13 Depth=1
	s_or_b64 exec, exec, s[8:9]
	s_xor_b64 s[0:1], s[0:1], -1
	s_and_saveexec_b64 s[8:9], s[0:1]
	s_cbranch_execz .LBB43_12
; %bb.16:                               ;   in Loop: Header=BB43_13 Depth=1
	global_load_dword v4, v[2:3], off
	s_waitcnt vmcnt(0)
	v_mad_i64_i32 v[4:5], s[0:1], v4, s30, 0
	v_lshl_add_u64 v[4:5], v[4:5], 2, v[0:1]
	global_load_dwordx2 v[10:11], v[4:5], off offset:512
	global_load_dwordx2 v[26:27], v[4:5], off
	global_load_dwordx2 v[30:31], v[4:5], off offset:1024
	global_load_dwordx2 v[36:37], v[4:5], off offset:1536
	;; [unrolled: 1-line block ×6, first 2 shown]
	v_add_co_u32_e64 v72, s[0:1], s45, v4
	s_nop 1
	v_addc_co_u32_e64 v73, s[0:1], 0, v5, s[0:1]
	global_load_dwordx2 v[74:75], v[72:73], off offset:-4096
	v_add_co_u32_e64 v40, s[0:1], s44, v4
	s_nop 1
	v_addc_co_u32_e64 v41, s[0:1], 0, v5, s[0:1]
	global_load_dwordx2 v[76:77], v[40:41], off offset:512
	global_load_dwordx2 v[78:79], v[40:41], off offset:1024
	;; [unrolled: 1-line block ×3, first 2 shown]
	ds_read_b128 v[6:9], v54
	ds_read_b128 v[18:21], v54 offset:16
	global_load_dwordx2 v[16:17], v[40:41], off offset:2048
	ds_read_b128 v[22:25], v54 offset:32
	ds_read_b128 v[32:35], v54 offset:48
	global_load_dwordx2 v[28:29], v[40:41], off offset:2560
	v_add_co_u32_e64 v80, s[0:1], s46, v4
	s_waitcnt vmcnt(13) lgkmcnt(3)
	v_mul_f32_e32 v65, v8, v10
	v_mul_f32_e32 v66, v9, v11
	global_load_dwordx2 v[12:13], v[40:41], off offset:3072
	global_load_dwordx2 v[10:11], v[40:41], off offset:3584
	s_waitcnt vmcnt(14)
	v_fmac_f32_e32 v65, v6, v26
	v_fmac_f32_e32 v66, v7, v27
	global_load_dwordx2 v[8:9], v[72:73], off
	s_waitcnt vmcnt(14) lgkmcnt(2)
	v_fmac_f32_e32 v65, v18, v30
	v_fmac_f32_e32 v66, v19, v31
	s_waitcnt vmcnt(13)
	v_fmac_f32_e32 v65, v20, v36
	v_fmac_f32_e32 v66, v21, v37
	ds_read_b128 v[40:43], v54 offset:64
	ds_read_b128 v[68:71], v54 offset:80
	global_load_dwordx2 v[36:37], v[72:73], off offset:512
	s_waitcnt vmcnt(13) lgkmcnt(3)
	v_fmac_f32_e32 v65, v22, v38
	v_fmac_f32_e32 v66, v23, v39
	global_load_dwordx2 v[38:39], v[72:73], off offset:1024
	global_load_dwordx2 v[30:31], v[72:73], off offset:1536
	s_waitcnt vmcnt(14)
	v_fmac_f32_e32 v65, v24, v44
	v_fmac_f32_e32 v66, v25, v45
	global_load_dwordx2 v[44:45], v[72:73], off offset:2048
	s_waitcnt vmcnt(14) lgkmcnt(2)
	v_fmac_f32_e32 v65, v32, v46
	v_fmac_f32_e32 v66, v33, v47
	global_load_dwordx2 v[46:47], v[72:73], off offset:2560
	global_load_dwordx2 v[18:19], v[72:73], off offset:3072
	v_addc_co_u32_e64 v81, s[0:1], 0, v5, s[0:1]
	v_add_co_u32_e64 v24, s[0:1], s47, v4
	global_load_dwordx2 v[20:21], v[72:73], off offset:3584
	s_nop 0
	v_addc_co_u32_e64 v25, s[0:1], 0, v5, s[0:1]
	v_add_co_u32_e64 v6, s[0:1], s48, v4
	s_waitcnt vmcnt(16)
	v_fmac_f32_e32 v65, v34, v48
	v_addc_co_u32_e64 v7, s[0:1], 0, v5, s[0:1]
	global_load_dwordx2 v[22:23], v[24:25], off offset:-4096
	global_load_dwordx2 v[4:5], v[6:7], off offset:3584
	global_load_dwordx2 v[26:27], v[80:81], off offset:512
	v_fmac_f32_e32 v66, v35, v49
	s_waitcnt vmcnt(18) lgkmcnt(1)
	v_fmac_f32_e32 v65, v40, v74
	v_fmac_f32_e32 v66, v41, v75
	ds_read_b128 v[32:35], v54 offset:96
	ds_read_b128 v[72:75], v54 offset:112
	s_waitcnt vmcnt(17)
	v_fmac_f32_e32 v65, v42, v76
	v_fmac_f32_e32 v66, v43, v77
	s_waitcnt vmcnt(16) lgkmcnt(2)
	v_fmac_f32_e32 v65, v68, v78
	v_fmac_f32_e32 v66, v69, v79
	global_load_dwordx2 v[76:77], v[80:81], off offset:1024
	global_load_dwordx2 v[48:49], v[80:81], off offset:1536
	s_waitcnt vmcnt(17)
	v_fmac_f32_e32 v65, v70, v14
	v_fmac_f32_e32 v66, v71, v15
	s_waitcnt vmcnt(16) lgkmcnt(1)
	v_fmac_f32_e32 v65, v32, v16
	v_fmac_f32_e32 v66, v33, v17
	ds_read_b128 v[14:17], v54 offset:128
	ds_read_b128 v[68:71], v54 offset:144
	s_waitcnt vmcnt(15)
	v_fmac_f32_e32 v65, v34, v28
	v_fmac_f32_e32 v66, v35, v29
	global_load_dwordx2 v[42:43], v[80:81], off offset:2048
	global_load_dwordx2 v[40:41], v[80:81], off offset:2560
	;; [unrolled: 1-line block ×4, first 2 shown]
	v_cmp_lt_i32_e64 s[0:1], v62, v63
	s_waitcnt vmcnt(18) lgkmcnt(2)
	v_fmac_f32_e32 v65, v72, v12
	v_fmac_f32_e32 v66, v73, v13
	s_waitcnt vmcnt(17)
	v_fmac_f32_e32 v65, v74, v10
	v_fmac_f32_e32 v66, v75, v11
	s_waitcnt vmcnt(16) lgkmcnt(1)
	v_fmac_f32_e32 v65, v14, v8
	v_fmac_f32_e32 v66, v15, v9
	ds_read_b128 v[8:11], v54 offset:160
	ds_read_b128 v[72:75], v54 offset:176
	s_waitcnt vmcnt(15)
	v_fmac_f32_e32 v65, v16, v36
	v_fmac_f32_e32 v66, v17, v37
	global_load_dwordx2 v[36:37], v[24:25], off
	s_waitcnt vmcnt(15) lgkmcnt(2)
	v_fmac_f32_e32 v65, v68, v38
	v_fmac_f32_e32 v66, v69, v39
	global_load_dwordx2 v[38:39], v[24:25], off offset:512
	s_waitcnt vmcnt(15)
	v_fmac_f32_e32 v65, v70, v30
	v_fmac_f32_e32 v66, v71, v31
	global_load_dwordx2 v[30:31], v[24:25], off offset:1024
	global_load_dwordx2 v[28:29], v[24:25], off offset:1536
	s_waitcnt vmcnt(16) lgkmcnt(1)
	v_fmac_f32_e32 v65, v8, v44
	v_fmac_f32_e32 v66, v9, v45
	s_waitcnt vmcnt(15)
	v_fmac_f32_e32 v65, v10, v46
	v_fmac_f32_e32 v66, v11, v47
	ds_read_b128 v[44:47], v54 offset:192
	ds_read_b128 v[68:71], v54 offset:208
	global_load_dwordx2 v[14:15], v[24:25], off offset:2048
	global_load_dwordx2 v[16:17], v[24:25], off offset:2560
	s_waitcnt vmcnt(16) lgkmcnt(2)
	v_fmac_f32_e32 v65, v72, v18
	v_fmac_f32_e32 v66, v73, v19
	global_load_dwordx2 v[18:19], v[24:25], off offset:3072
	global_load_dwordx2 v[8:9], v[24:25], off offset:3584
	s_waitcnt vmcnt(17)
	v_fmac_f32_e32 v65, v74, v20
	v_fmac_f32_e32 v66, v75, v21
	global_load_dwordx2 v[20:21], v[6:7], off
	global_load_dwordx2 v[10:11], v[6:7], off offset:512
	s_waitcnt vmcnt(18) lgkmcnt(1)
	v_fmac_f32_e32 v65, v44, v22
	v_fmac_f32_e32 v66, v45, v23
	global_load_dwordx2 v[22:23], v[6:7], off offset:1024
	global_load_dwordx2 v[24:25], v[6:7], off offset:1536
	s_waitcnt vmcnt(18)
	v_fmac_f32_e32 v65, v26, v46
	v_fmac_f32_e32 v66, v27, v47
	global_load_dwordx2 v[26:27], v[6:7], off offset:2048
	global_load_dwordx2 v[12:13], v[6:7], off offset:2560
	s_nop 0
	global_load_dwordx2 v[6:7], v[6:7], off offset:3072
	ds_read_b128 v[44:47], v54 offset:224
	s_waitcnt vmcnt(20) lgkmcnt(1)
	v_fmac_f32_e32 v65, v76, v68
	v_fmac_f32_e32 v66, v77, v69
	s_waitcnt vmcnt(19)
	v_fmac_f32_e32 v65, v48, v70
	v_fmac_f32_e32 v66, v49, v71
	ds_read_b128 v[68:71], v54 offset:240
	v_cndmask_b32_e64 v48, v61, v62, s[0:1]
	v_lshlrev_b32_e32 v48, 2, v48
	s_waitcnt vmcnt(18) lgkmcnt(1)
	v_fmac_f32_e32 v65, v42, v44
	v_fmac_f32_e32 v66, v43, v45
	s_waitcnt vmcnt(17)
	v_fmac_f32_e32 v65, v40, v46
	v_fmac_f32_e32 v66, v41, v47
	ds_read_b128 v[40:43], v54 offset:256
	ds_read_b128 v[44:47], v54 offset:272
	s_waitcnt vmcnt(16) lgkmcnt(2)
	v_fmac_f32_e32 v65, v34, v68
	v_fmac_f32_e32 v66, v35, v69
	s_waitcnt vmcnt(15)
	v_fmac_f32_e32 v65, v32, v70
	v_fmac_f32_e32 v66, v33, v71
	ds_read_b128 v[32:35], v54 offset:288
	ds_read_b128 v[68:71], v54 offset:304
	s_waitcnt vmcnt(14) lgkmcnt(3)
	v_fmac_f32_e32 v65, v36, v40
	v_fmac_f32_e32 v66, v37, v41
	s_waitcnt vmcnt(13)
	v_fmac_f32_e32 v65, v38, v42
	v_fmac_f32_e32 v66, v39, v43
	s_waitcnt vmcnt(12) lgkmcnt(2)
	v_fmac_f32_e32 v65, v30, v44
	v_fmac_f32_e32 v66, v31, v45
	s_waitcnt vmcnt(11)
	v_fmac_f32_e32 v65, v28, v46
	v_fmac_f32_e32 v66, v29, v47
	ds_read_b128 v[36:39], v54 offset:320
	ds_read_b128 v[40:43], v54 offset:336
	;; [unrolled: 1-line block ×4, first 2 shown]
	s_waitcnt vmcnt(10) lgkmcnt(5)
	v_fmac_f32_e32 v65, v14, v32
	v_fmac_f32_e32 v66, v15, v33
	s_waitcnt vmcnt(9)
	v_fmac_f32_e32 v65, v16, v34
	v_fmac_f32_e32 v66, v17, v35
	s_waitcnt vmcnt(8) lgkmcnt(4)
	v_fmac_f32_e32 v65, v18, v68
	v_fmac_f32_e32 v66, v19, v69
	s_waitcnt vmcnt(7)
	v_fmac_f32_e32 v65, v8, v70
	v_fmac_f32_e32 v66, v9, v71
	;; [unrolled: 6-line block ×5, first 2 shown]
	s_waitcnt vmcnt(0) lgkmcnt(0)
	v_fmac_f32_e32 v65, v6, v44
	v_fmac_f32_e32 v66, v7, v45
	;; [unrolled: 1-line block ×4, first 2 shown]
	v_add_f32_e32 v4, v65, v66
	ds_bpermute_b32 v5, v48, v4
	s_and_saveexec_b64 s[38:39], vcc
	s_cbranch_execz .LBB43_11
; %bb.17:                               ;   in Loop: Header=BB43_13 Depth=1
	v_add_u32_e32 v6, v59, v57
	v_cvt_f32_i32_e32 v6, v6
	s_waitcnt lgkmcnt(0)
	v_add_f32_e32 v4, v4, v5
	v_add_u32_e32 v7, v53, v57
	v_cmp_gt_i32_e64 s[0:1], s33, v7
	v_mul_f32_e32 v5, s43, v6
	v_cndmask_b32_e64 v5, 0, v5, s[2:3]
	v_fmac_f32_e32 v5, s31, v4
	v_cndmask_b32_e64 v4, 0, v5, s[0:1]
	ds_write_b32 v58, v4
	v_max_f32_e32 v4, v55, v55
	v_max_f32_e32 v4, v4, v5
	v_cndmask_b32_e64 v55, v55, v4, s[0:1]
	s_branch .LBB43_11
.LBB43_18:
	s_or_b64 exec, exec, s[36:37]
.LBB43_19:
	s_or_b64 exec, exec, s[34:35]
	s_waitcnt lgkmcnt(0)
	v_mbcnt_hi_u32_b32 v5, -1, v52
	v_and_b32_e32 v0, 64, v5
	v_add_u32_e32 v6, 64, v0
	v_xor_b32_e32 v0, 32, v5
	v_cmp_lt_i32_e32 vcc, v0, v6
	v_xor_b32_e32 v3, 16, v5
	v_max_f32_e32 v2, v55, v55
	v_cndmask_b32_e32 v0, v5, v0, vcc
	v_lshlrev_b32_e32 v0, 2, v0
	ds_bpermute_b32 v1, v0, v55
	v_cmp_lt_i32_e32 vcc, v3, v6
	v_xor_b32_e32 v4, 8, v5
	v_xor_b32_e32 v7, 4, v5
	v_and_b32_e32 v36, 63, v109
	s_waitcnt lgkmcnt(0)
	v_max_f32_e32 v1, v1, v1
	v_max_f32_e32 v2, v2, v1
	v_cndmask_b32_e32 v1, v5, v3, vcc
	v_lshlrev_b32_e32 v1, 2, v1
	ds_bpermute_b32 v3, v1, v2
	v_cmp_lt_i32_e32 vcc, v4, v6
	s_waitcnt lgkmcnt(0)
	v_max_f32_e32 v3, v3, v3
	v_max_f32_e32 v3, v2, v3
	v_cndmask_b32_e32 v2, v5, v4, vcc
	v_lshlrev_b32_e32 v2, 2, v2
	ds_bpermute_b32 v4, v2, v3
	v_cmp_lt_i32_e32 vcc, v7, v6
	s_waitcnt lgkmcnt(0)
	v_max_f32_e32 v4, v4, v4
	v_max_f32_e32 v3, v3, v4
	v_cndmask_b32_e32 v4, v5, v7, vcc
	v_lshlrev_b32_e32 v31, 2, v4
	ds_bpermute_b32 v4, v31, v3
	v_xor_b32_e32 v7, 2, v5
	v_cmp_lt_i32_e32 vcc, v7, v6
	s_waitcnt lgkmcnt(0)
	v_max_f32_e32 v4, v4, v4
	v_max_f32_e32 v4, v3, v4
	v_cndmask_b32_e32 v3, v5, v7, vcc
	v_lshlrev_b32_e32 v35, 2, v3
	ds_bpermute_b32 v7, v35, v4
	v_cmp_eq_u32_e32 vcc, 0, v36
	v_lshlrev_b32_e32 v3, 2, v104
	s_and_saveexec_b64 s[0:1], vcc
	s_cbranch_execz .LBB43_21
; %bb.20:
	s_waitcnt lgkmcnt(0)
	v_max_f32_e32 v7, v7, v7
	v_max_f32_e32 v4, v4, v4
	;; [unrolled: 1-line block ×3, first 2 shown]
	ds_write_b32 v3, v4 offset:768
.LBB43_21:
	s_or_b64 exec, exec, s[0:1]
	v_cmp_gt_u32_e64 s[0:1], 2, v36
	s_waitcnt lgkmcnt(0)
	v_mov_b32_e32 v7, 0xff7fffff
	v_lshlrev_b32_e32 v4, 2, v36
	s_barrier
	s_and_saveexec_b64 s[2:3], s[0:1]
	s_cbranch_execz .LBB43_23
; %bb.22:
	ds_read_b32 v7, v4 offset:768
.LBB43_23:
	s_or_b64 exec, exec, s[2:3]
	v_xor_b32_e32 v8, 1, v5
	v_cmp_lt_i32_e64 s[2:3], v8, v6
	s_nop 1
	v_cndmask_b32_e64 v6, v5, v8, s[2:3]
	v_lshlrev_b32_e32 v37, 2, v6
	s_waitcnt lgkmcnt(0)
	ds_bpermute_b32 v6, v37, v7
	v_max_f32_e32 v7, v7, v7
	v_lshlrev_b32_e32 v5, 2, v5
	v_and_b32_e32 v5, 0x100, v5
	s_lshl_b32 s2, s42, 5
	s_waitcnt lgkmcnt(0)
	v_max_f32_e32 v6, v6, v6
	v_max_f32_e32 v6, v7, v6
	ds_bpermute_b32 v7, v5, v6
	s_min_i32 s15, s2, s33
	v_cmp_gt_i32_e64 s[2:3], s15, v109
	v_mov_b32_e32 v6, 0
	s_and_saveexec_b64 s[30:31], s[2:3]
	s_cbranch_execz .LBB43_27
; %bb.24:
	v_mov_b32_e32 v6, 0x310
	v_lshl_add_u32 v8, v109, 2, v6
	s_mov_b64 s[34:35], 0
	v_mov_b32_e32 v6, 0
	v_mov_b32_e32 v9, v109
.LBB43_25:                              ; =>This Inner Loop Header: Depth=1
	ds_read_b32 v10, v8
	v_add_u32_e32 v9, 0x80, v9
	v_cmp_le_i32_e64 s[8:9], s15, v9
	s_or_b64 s[34:35], s[8:9], s[34:35]
	s_waitcnt lgkmcnt(0)
	v_sub_f32_e32 v10, v10, v7
	v_mul_f32_e32 v10, 0x3fb8aa3b, v10
	v_exp_f32_e32 v10, v10
	ds_write_b32 v8, v10
	v_add_f32_e32 v6, v6, v10
	v_add_u32_e32 v8, 0x200, v8
	s_andn2_b64 exec, exec, s[34:35]
	s_cbranch_execnz .LBB43_25
; %bb.26:
	s_or_b64 exec, exec, s[34:35]
.LBB43_27:
	s_or_b64 exec, exec, s[30:31]
	ds_bpermute_b32 v0, v0, v6
	s_waitcnt lgkmcnt(0)
	v_add_f32_e32 v0, v6, v0
	ds_bpermute_b32 v1, v1, v0
	s_waitcnt lgkmcnt(0)
	v_add_f32_e32 v0, v0, v1
	ds_bpermute_b32 v1, v2, v0
	s_waitcnt lgkmcnt(0)
	v_add_f32_e32 v0, v0, v1
	ds_bpermute_b32 v1, v31, v0
	s_waitcnt lgkmcnt(0)
	v_add_f32_e32 v0, v0, v1
	ds_bpermute_b32 v1, v35, v0
	s_waitcnt lgkmcnt(0)
	v_add_f32_e32 v0, v0, v1
	ds_bpermute_b32 v1, v37, v0
	s_waitcnt lgkmcnt(0)
	v_add_f32_e32 v0, v0, v1
	s_and_saveexec_b64 s[8:9], vcc
	s_cbranch_execz .LBB43_29
; %bb.28:
	ds_write_b32 v3, v0 offset:776
.LBB43_29:
	s_or_b64 exec, exec, s[8:9]
	s_waitcnt lgkmcnt(0)
	s_barrier
	s_and_saveexec_b64 s[8:9], s[0:1]
	s_cbranch_execz .LBB43_31
; %bb.30:
	ds_read_b32 v0, v4 offset:776
.LBB43_31:
	s_or_b64 exec, exec, s[8:9]
	s_waitcnt lgkmcnt(0)
	ds_bpermute_b32 v1, v37, v0
	s_waitcnt lgkmcnt(0)
	v_add_f32_e32 v0, v0, v1
	ds_bpermute_b32 v0, v5, v0
	s_and_saveexec_b64 s[0:1], s[2:3]
	s_cbranch_execz .LBB43_44
; %bb.32:
	s_waitcnt lgkmcnt(0)
	v_add_f32_e32 v0, 0x358637bd, v0
	v_div_scale_f32 v1, s[2:3], v0, v0, 1.0
	v_rcp_f32_e32 v2, v1
	v_div_scale_f32 v3, vcc, 1.0, v0, 1.0
	s_movk_i32 s2, 0x7f
	v_fma_f32 v4, -v1, v2, 1.0
	v_fmac_f32_e32 v2, v4, v2
	v_mul_f32_e32 v4, v3, v2
	v_fma_f32 v5, -v1, v4, v3
	v_fmac_f32_e32 v4, v5, v2
	v_fma_f32 v1, -v1, v4, v3
	v_div_fmas_f32 v1, v1, v2, v4
	v_xad_u32 v2, v109, -1, s15
	v_div_fixup_f32 v0, v1, v0, 1.0
	v_cmp_lt_u32_e32 vcc, s2, v2
	s_mov_b64 s[8:9], -1
	v_mov_b32_e32 v1, v109
	s_and_saveexec_b64 s[2:3], vcc
	s_cbranch_execz .LBB43_41
; %bb.33:
	v_lshrrev_b32_e32 v2, 7, v2
	v_add_u32_e32 v4, -1, v2
	v_lshrrev_b32_e32 v3, 1, v4
	v_mov_b32_e32 v1, v0
	v_add_u32_e32 v3, 1, v3
	v_cmp_lt_u32_e32 vcc, 13, v4
	v_mov_b32_e32 v6, 0
	s_and_saveexec_b64 s[8:9], vcc
	s_cbranch_execz .LBB43_37
; %bb.34:
	v_mov_b32_e32 v5, 0x310
	v_and_b32_e32 v4, -8, v3
	v_lshl_add_u32 v5, v109, 2, v5
	s_mov_b32 s19, 0
	s_mov_b64 s[30:31], 0
.LBB43_35:                              ; =>This Inner Loop Header: Depth=1
	ds_read2st64_b32 v[6:7], v5 offset1:2
	ds_read2st64_b32 v[8:9], v5 offset0:4 offset1:6
	ds_read2st64_b32 v[10:11], v5 offset0:8 offset1:10
	;; [unrolled: 1-line block ×3, first 2 shown]
	v_add_u32_e32 v4, -8, v4
	s_waitcnt lgkmcnt(3)
	v_pk_mul_f32 v[6:7], v[0:1], v[6:7]
	s_waitcnt lgkmcnt(2)
	v_pk_mul_f32 v[8:9], v[0:1], v[8:9]
	ds_write2st64_b32 v5, v6, v7 offset1:2
	ds_write2st64_b32 v5, v8, v9 offset0:4 offset1:6
	ds_read2st64_b32 v[8:9], v5 offset0:16 offset1:18
	s_waitcnt lgkmcnt(4)
	v_pk_mul_f32 v[6:7], v[0:1], v[10:11]
	ds_write2st64_b32 v5, v6, v7 offset0:8 offset1:10
	s_waitcnt lgkmcnt(4)
	v_pk_mul_f32 v[6:7], v[0:1], v[12:13]
	ds_write2st64_b32 v5, v6, v7 offset0:12 offset1:14
	ds_read2st64_b32 v[6:7], v5 offset0:20 offset1:22
	s_waitcnt lgkmcnt(3)
	v_pk_mul_f32 v[8:9], v[0:1], v[8:9]
	ds_read2st64_b32 v[10:11], v5 offset0:24 offset1:26
	ds_write2st64_b32 v5, v8, v9 offset0:16 offset1:18
	ds_read2st64_b32 v[8:9], v5 offset0:28 offset1:30
	s_waitcnt lgkmcnt(3)
	v_pk_mul_f32 v[6:7], v[0:1], v[6:7]
	ds_write2st64_b32 v5, v6, v7 offset0:20 offset1:22
	s_waitcnt lgkmcnt(3)
	v_pk_mul_f32 v[6:7], v[0:1], v[10:11]
	ds_write2st64_b32 v5, v6, v7 offset0:24 offset1:26
	s_waitcnt lgkmcnt(2)
	v_pk_mul_f32 v[6:7], v[0:1], v[8:9]
	s_add_i32 s19, s19, 16
	v_cmp_eq_u32_e32 vcc, 0, v4
	ds_write2st64_b32 v5, v6, v7 offset0:28 offset1:30
	v_add_u32_e32 v5, 0x2000, v5
	s_or_b64 s[30:31], vcc, s[30:31]
	v_mov_b32_e32 v6, s19
	s_andn2_b64 exec, exec, s[30:31]
	s_cbranch_execnz .LBB43_35
; %bb.36:
	s_or_b64 exec, exec, s[30:31]
.LBB43_37:
	s_or_b64 exec, exec, s[8:9]
	v_and_b32_e32 v3, 7, v3
	v_cmp_ne_u32_e32 vcc, 0, v3
	s_and_saveexec_b64 s[8:9], vcc
	s_cbranch_execz .LBB43_40
; %bb.38:
	v_lshlrev_b32_e32 v4, 9, v6
	s_movk_i32 s19, 0x310
	v_add3_u32 v4, v4, v50, s19
	s_mov_b64 s[30:31], 0
.LBB43_39:                              ; =>This Inner Loop Header: Depth=1
	ds_read2st64_b32 v[6:7], v4 offset1:2
	v_add_u32_e32 v3, -1, v3
	v_cmp_eq_u32_e32 vcc, 0, v3
	s_or_b64 s[30:31], vcc, s[30:31]
	s_waitcnt lgkmcnt(0)
	v_pk_mul_f32 v[6:7], v[0:1], v[6:7]
	ds_write2st64_b32 v4, v6, v7 offset1:2
	v_add_u32_e32 v4, 0x400, v4
	s_andn2_b64 exec, exec, s[30:31]
	s_cbranch_execnz .LBB43_39
.LBB43_40:
	s_or_b64 exec, exec, s[8:9]
	v_add_u32_e32 v2, 1, v2
	v_and_b32_e32 v3, 0x3fffffe, v2
	v_cmp_ne_u32_e32 vcc, v2, v3
	v_lshl_add_u32 v1, v3, 7, v109
	s_orn2_b64 s[8:9], vcc, exec
.LBB43_41:
	s_or_b64 exec, exec, s[2:3]
	s_and_b64 exec, exec, s[8:9]
	s_cbranch_execz .LBB43_44
; %bb.42:
	v_mov_b32_e32 v2, 0x310
	v_lshl_add_u32 v2, v1, 2, v2
	s_mov_b64 s[2:3], 0
.LBB43_43:                              ; =>This Inner Loop Header: Depth=1
	ds_read_b32 v3, v2
	v_add_u32_e32 v1, 0x80, v1
	v_cmp_le_i32_e32 vcc, s15, v1
	s_or_b64 s[2:3], vcc, s[2:3]
	s_waitcnt lgkmcnt(0)
	v_mul_f32_e32 v3, v0, v3
	ds_write_b32 v2, v3
	v_add_u32_e32 v2, 0x200, v2
	s_andn2_b64 exec, exec, s[2:3]
	s_cbranch_execnz .LBB43_43
.LBB43_44:
	s_or_b64 exec, exec, s[0:1]
	v_mov_b32_e32 v126, 0
	v_mov_b32_e32 v127, 0
	;; [unrolled: 1-line block ×24, first 2 shown]
	s_waitcnt lgkmcnt(0)
	s_barrier
	s_and_saveexec_b64 s[2:3], s[6:7]
	s_cbranch_execz .LBB43_98
; %bb.45:
	s_ashr_i32 s19, s18, 31
	s_sub_i32 s30, s12, s13
	s_lshl_b64 s[0:1], s[18:19], 2
	s_add_u32 s6, s28, s0
	v_and_b32_e32 v2, 0xfc, v50
	v_and_b32_e32 v0, 28, v50
	s_addc_u32 s7, s29, s1
	v_or_b32_e32 v4, 0x400, v2
	v_or_b32_e32 v6, 0x500, v2
	v_or_b32_e32 v8, 0x600, v2
	v_or_b32_e32 v10, 0x700, v2
	v_or_b32_e32 v12, 0x800, v2
	v_or_b32_e32 v14, 0x900, v2
	v_or_b32_e32 v16, 0xa00, v2
	v_or_b32_e32 v18, 0xb00, v2
	v_or_b32_e32 v20, 0xc00, v2
	v_or_b32_e32 v22, 0xd00, v2
	v_or_b32_e32 v24, 0xe00, v2
	s_abs_i32 s19, s14
	v_or_b32_e32 v28, 0x1000, v2
	v_or_b32_e32 v30, 0x1100, v2
	v_or_b32_e32 v32, 0x1200, v2
	v_or_b32_e32 v34, 0x1300, v2
	v_or_b32_e32 v36, 0x1400, v2
	v_or_b32_e32 v38, 0x1500, v2
	v_or_b32_e32 v40, 0x1600, v2
	v_or_b32_e32 v42, 0x1700, v2
	v_lshlrev_b32_e32 v2, 2, v2
	scratch_store_dword off, v37, off offset:216 ; 4-byte Folded Spill
	scratch_store_dword off, v31, off offset:212 ; 4-byte Folded Spill
	;; [unrolled: 1-line block ×4, first 2 shown]
	v_cvt_f32_u32_e32 v0, s19
	scratch_store_dwordx2 off, v[2:3], off offset:44 ; 8-byte Folded Spill
	v_lshlrev_b32_e32 v2, 2, v6
	scratch_store_dwordx2 off, v[2:3], off offset:52 ; 8-byte Folded Spill
	v_lshlrev_b32_e32 v2, 2, v8
	;; [unrolled: 2-line block ×4, first 2 shown]
	v_rcp_iflag_f32_e32 v0, v0
	scratch_store_dwordx2 off, v[2:3], off offset:76 ; 8-byte Folded Spill
	v_lshlrev_b32_e32 v2, 2, v14
	scratch_store_dwordx2 off, v[2:3], off offset:84 ; 8-byte Folded Spill
	v_lshlrev_b32_e32 v2, 2, v16
	;; [unrolled: 2-line block ×4, first 2 shown]
	v_mul_f32_e32 v0, 0x4f7ffffe, v0
	scratch_store_dwordx2 off, v[2:3], off offset:108 ; 8-byte Folded Spill
	v_lshlrev_b32_e32 v2, 2, v22
	v_or_b32_e32 v26, 0xf00, v50
	v_cvt_u32_f32_e32 v0, v0
	scratch_store_dwordx2 off, v[2:3], off offset:116 ; 8-byte Folded Spill
	v_lshlrev_b32_e32 v2, 2, v24
	scratch_store_dwordx2 off, v[2:3], off offset:124 ; 8-byte Folded Spill
	v_lshlrev_b32_e32 v2, 2, v26
	;; [unrolled: 2-line block ×3, first 2 shown]
	s_sub_i32 s0, 0, s19
	scratch_store_dwordx2 off, v[2:3], off offset:140 ; 8-byte Folded Spill
	v_lshlrev_b32_e32 v2, 2, v30
	v_mul_lo_u32 v1, s0, v0
	scratch_store_dwordx2 off, v[2:3], off offset:148 ; 8-byte Folded Spill
	v_lshlrev_b32_e32 v2, 2, v32
	v_mul_hi_u32 v1, v0, v1
	scratch_store_dwordx2 off, v[2:3], off offset:156 ; 8-byte Folded Spill
	v_lshlrev_b32_e32 v2, 2, v34
	v_add_u32_e32 v0, v0, v1
	scratch_store_dwordx2 off, v[2:3], off offset:164 ; 8-byte Folded Spill
	v_lshlrev_b32_e32 v2, 2, v36
	s_add_i32 s18, s42, -1
	scratch_store_dword off, v0, off offset:40 ; 4-byte Folded Spill
	s_lshl_b64 s[0:1], s[26:27], 2
	v_and_b32_e32 v0, 7, v109
	scratch_store_dwordx2 off, v[2:3], off offset:172 ; 8-byte Folded Spill
	v_lshlrev_b32_e32 v2, 2, v38
	s_add_u32 s0, s24, s0
	v_lshlrev_b32_e32 v0, 4, v0
	scratch_store_dwordx2 off, v[2:3], off offset:180 ; 8-byte Folded Spill
	v_lshlrev_b32_e32 v2, 2, v40
	v_mov_b32_e32 v111, 0
	v_and_b32_e32 v110, 60, v51
	s_addc_u32 s1, s25, s1
	v_lshl_or_b32 v0, v104, 7, v0
	scratch_store_dwordx2 off, v[2:3], off offset:188 ; 8-byte Folded Spill
	v_lshlrev_b32_e32 v2, 2, v42
	v_lshl_add_u64 v[102:103], s[0:1], 0, v[110:111]
	v_add_u32_e32 v0, 0x310, v0
	s_mov_b64 s[8:9], 0
	v_lshlrev_b32_e32 v110, 2, v4
	scratch_store_dwordx2 off, v[2:3], off offset:196 ; 8-byte Folded Spill
	v_mov_b32_e32 v3, v111
	v_mov_b32_e32 v2, v111
	;; [unrolled: 1-line block ×16, first 2 shown]
	scratch_store_dwordx2 off, v[2:3], off  ; 8-byte Folded Spill
	scratch_store_dwordx2 off, v[2:3], off offset:8 ; 8-byte Folded Spill
	scratch_store_dwordx2 off, v[2:3], off offset:16 ; 8-byte Folded Spill
	;; [unrolled: 1-line block ×4, first 2 shown]
	s_branch .LBB43_48
.LBB43_46:                              ;   in Loop: Header=BB43_48 Depth=1
	s_or_b64 exec, exec, s[0:1]
	s_waitcnt lgkmcnt(0)
	v_mul_f32_e32 v1, v3, v99
	v_fmac_f32_e32 v1, v2, v98
	scratch_load_dwordx2 v[98:99], off, off ; 8-byte Folded Reload
	v_fmac_f32_e32 v1, v4, v100
	v_fmac_f32_e32 v1, v5, v101
	s_waitcnt vmcnt(0)
	v_add_f32_e32 v98, v98, v1
	v_mul_f32_e32 v1, v3, v95
	v_fmac_f32_e32 v1, v2, v94
	scratch_load_dwordx2 v[94:95], off, off offset:8 ; 8-byte Folded Reload
	v_fmac_f32_e32 v1, v4, v96
	v_fmac_f32_e32 v1, v5, v97
	s_waitcnt vmcnt(0)
	v_add_f32_e32 v95, v95, v1
	v_mul_f32_e32 v1, v3, v91
	v_fmac_f32_e32 v1, v2, v90
	v_fmac_f32_e32 v1, v4, v92
	v_fmac_f32_e32 v1, v5, v93
	v_add_f32_e32 v94, v94, v1
	v_mul_f32_e32 v1, v3, v87
	v_fmac_f32_e32 v1, v2, v86
	scratch_load_dwordx2 v[86:87], off, off offset:16 ; 8-byte Folded Reload
	v_fmac_f32_e32 v1, v4, v88
	v_fmac_f32_e32 v1, v5, v89
	scratch_store_dwordx2 off, v[94:95], off offset:8 ; 8-byte Folded Spill
	s_waitcnt vmcnt(1)
	v_add_f32_e32 v87, v87, v1
	v_mul_f32_e32 v1, v3, v79
	v_fmac_f32_e32 v1, v2, v78
	v_fmac_f32_e32 v1, v4, v80
	v_fmac_f32_e32 v1, v5, v81
	v_add_f32_e32 v86, v86, v1
	v_mul_f32_e32 v1, v3, v75
	v_fmac_f32_e32 v1, v2, v74
	scratch_load_dwordx2 v[74:75], off, off offset:24 ; 8-byte Folded Reload
	v_fmac_f32_e32 v1, v4, v76
	v_fmac_f32_e32 v1, v5, v77
	scratch_store_dwordx2 off, v[86:87], off offset:16 ; 8-byte Folded Spill
	;; [unrolled: 13-line block ×3, first 2 shown]
	s_waitcnt vmcnt(1)
	v_add_f32_e32 v67, v67, v1
	v_mul_f32_e32 v1, v3, v63
	v_fmac_f32_e32 v1, v2, v62
	v_fmac_f32_e32 v1, v4, v64
	v_fmac_f32_e32 v1, v5, v65
	v_add_f32_e32 v66, v66, v1
	v_mul_f32_e32 v1, v3, v59
	v_fmac_f32_e32 v1, v2, v58
	v_fmac_f32_e32 v1, v4, v60
	v_fmac_f32_e32 v1, v5, v61
	;; [unrolled: 5-line block ×16, first 2 shown]
	v_add_f32_e32 v99, v99, v1
	scratch_store_dwordx2 off, v[66:67], off offset:32 ; 8-byte Folded Spill
	scratch_store_dwordx2 off, v[98:99], off ; 8-byte Folded Spill
.LBB43_47:                              ;   in Loop: Header=BB43_48 Depth=1
	s_or_b64 exec, exec, s[12:13]
	v_add_u32_e32 v104, 2, v104
	v_cmp_le_i32_e32 vcc, s42, v104
	v_lshl_add_u64 v[102:103], v[102:103], 0, 8
	v_add_u32_e32 v105, 64, v105
	s_or_b64 s[8:9], vcc, s[8:9]
	v_add_u32_e32 v0, 0x100, v0
	s_andn2_b64 exec, exec, s[8:9]
	s_cbranch_execz .LBB43_97
.LBB43_48:                              ; =>This Inner Loop Header: Depth=1
	v_mul_hi_u32 v1, v105, s21
	v_mul_lo_u32 v2, v1, s16
	v_sub_u32_e32 v2, v105, v2
	v_add_u32_e32 v3, 1, v1
	v_cmp_le_u32_e32 vcc, s16, v2
	s_nop 1
	v_cndmask_b32_e32 v1, v1, v3, vcc
	v_subrev_u32_e32 v3, s16, v2
	v_cndmask_b32_e32 v2, v2, v3, vcc
	v_add_u32_e32 v3, 1, v1
	v_cmp_le_u32_e32 vcc, s16, v2
	s_nop 1
	v_cndmask_b32_e32 v1, v1, v3, vcc
	v_xor_b32_e32 v1, s41, v1
	v_subrev_u32_e32 v1, s41, v1
	v_add_u32_e32 v2, s40, v1
	v_sub_u32_e32 v4, 0, v2
	v_ashrrev_i32_e32 v3, 31, v2
	v_max_i32_e32 v2, v2, v4
	scratch_load_dword v4, off, off offset:40 ; 4-byte Folded Reload
	v_cmp_lt_i32_e64 s[0:1], s30, v1
	s_waitcnt vmcnt(0)
	v_mul_hi_u32 v4, v2, v4
	v_mul_lo_u32 v4, v4, s19
	v_sub_u32_e32 v2, v2, v4
	v_subrev_u32_e32 v4, s19, v2
	v_cmp_le_u32_e32 vcc, s19, v2
	s_nop 1
	v_cndmask_b32_e32 v2, v2, v4, vcc
	v_subrev_u32_e32 v4, s19, v2
	v_cmp_le_u32_e32 vcc, s19, v2
	s_nop 1
	v_cndmask_b32_e32 v2, v2, v4, vcc
	v_xor_b32_e32 v2, v2, v3
	v_sub_u32_e32 v2, v2, v3
	v_cmp_eq_u32_e32 vcc, 0, v2
	s_or_b64 s[0:1], vcc, s[0:1]
	s_and_saveexec_b64 s[12:13], s[0:1]
	s_cbranch_execz .LBB43_47
; %bb.49:                               ;   in Loop: Header=BB43_48 Depth=1
	global_load_dword v1, v[102:103], off
	v_cmp_eq_u32_e32 vcc, s18, v104
	s_waitcnt vmcnt(0)
	v_mad_i64_i32 v[2:3], s[0:1], v1, s17, 0
	v_lshl_add_u64 v[82:83], v[2:3], 2, s[6:7]
	scratch_load_dwordx2 v[2:3], off, off offset:44 ; 8-byte Folded Reload
	s_waitcnt vmcnt(0)
	v_mov_b32_e32 v3, v111
	v_mov_b32_e32 v4, v2
	scratch_store_dwordx2 off, v[4:5], off offset:44 ; 8-byte Folded Spill
	v_lshl_add_u64 v[18:19], v[82:83], 0, v[2:3]
	global_load_dwordx4 v[6:9], v[18:19], off
	scratch_load_dword v1, off, off offset:204 ; 4-byte Folded Reload
	ds_read_b128 v[2:5], v0
	s_waitcnt vmcnt(0)
	v_add_u32_e32 v1, v1, v105
	v_add_u32_e32 v108, 1, v1
	;; [unrolled: 1-line block ×4, first 2 shown]
	s_and_saveexec_b64 s[14:15], vcc
	s_cbranch_execnz .LBB43_94
; %bb.50:                               ;   in Loop: Header=BB43_48 Depth=1
	s_or_b64 exec, exec, s[14:15]
	global_load_dwordx4 v[10:13], v[18:19], off offset:1024
	s_and_saveexec_b64 s[14:15], vcc
	s_cbranch_execnz .LBB43_95
.LBB43_51:                              ;   in Loop: Header=BB43_48 Depth=1
	s_or_b64 exec, exec, s[14:15]
	global_load_dwordx4 v[14:17], v[18:19], off offset:2048
	s_and_saveexec_b64 s[14:15], vcc
	s_cbranch_execnz .LBB43_96
.LBB43_52:                              ;   in Loop: Header=BB43_48 Depth=1
	s_or_b64 exec, exec, s[14:15]
	global_load_dwordx4 v[18:21], v[18:19], off offset:3072
	s_and_saveexec_b64 s[14:15], vcc
	s_cbranch_execz .LBB43_54
.LBB43_53:                              ;   in Loop: Header=BB43_48 Depth=1
	v_cmp_gt_i32_e64 s[0:1], s33, v1
	s_waitcnt vmcnt(0)
	s_nop 0
	v_cndmask_b32_e64 v18, 0, v18, s[0:1]
	v_cmp_gt_i32_e64 s[0:1], s33, v108
	s_nop 1
	v_cndmask_b32_e64 v19, 0, v19, s[0:1]
	v_cmp_gt_i32_e64 s[0:1], s33, v107
	;; [unrolled: 3-line block ×3, first 2 shown]
	s_nop 1
	v_cndmask_b32_e64 v21, 0, v21, s[0:1]
.LBB43_54:                              ;   in Loop: Header=BB43_48 Depth=1
	s_or_b64 exec, exec, s[14:15]
	v_lshl_add_u64 v[22:23], v[82:83], 0, v[110:111]
	global_load_dwordx4 v[22:25], v[22:23], off
	s_and_saveexec_b64 s[14:15], vcc
	s_cbranch_execz .LBB43_56
; %bb.55:                               ;   in Loop: Header=BB43_48 Depth=1
	v_cmp_gt_i32_e64 s[0:1], s33, v1
	s_waitcnt vmcnt(0)
	s_nop 0
	v_cndmask_b32_e64 v22, 0, v22, s[0:1]
	v_cmp_gt_i32_e64 s[0:1], s33, v108
	s_nop 1
	v_cndmask_b32_e64 v23, 0, v23, s[0:1]
	v_cmp_gt_i32_e64 s[0:1], s33, v107
	s_nop 1
	v_cndmask_b32_e64 v24, 0, v24, s[0:1]
	v_cmp_gt_i32_e64 s[0:1], s33, v106
	s_nop 1
	v_cndmask_b32_e64 v25, 0, v25, s[0:1]
.LBB43_56:                              ;   in Loop: Header=BB43_48 Depth=1
	s_or_b64 exec, exec, s[14:15]
	scratch_load_dwordx2 v[26:27], off, off offset:52 ; 8-byte Folded Reload
	s_waitcnt vmcnt(0)
	v_mov_b32_e32 v27, v111
	v_mov_b32_e32 v28, v26
	v_lshl_add_u64 v[26:27], v[82:83], 0, v[26:27]
	scratch_store_dwordx2 off, v[28:29], off offset:52 ; 8-byte Folded Spill
	global_load_dwordx4 v[26:29], v[26:27], off
	s_and_saveexec_b64 s[14:15], vcc
	s_cbranch_execz .LBB43_58
; %bb.57:                               ;   in Loop: Header=BB43_48 Depth=1
	v_cmp_gt_i32_e64 s[0:1], s33, v1
	s_waitcnt vmcnt(0)
	s_nop 0
	v_cndmask_b32_e64 v26, 0, v26, s[0:1]
	v_cmp_gt_i32_e64 s[0:1], s33, v108
	s_nop 1
	v_cndmask_b32_e64 v27, 0, v27, s[0:1]
	v_cmp_gt_i32_e64 s[0:1], s33, v107
	s_nop 1
	v_cndmask_b32_e64 v28, 0, v28, s[0:1]
	v_cmp_gt_i32_e64 s[0:1], s33, v106
	s_nop 1
	v_cndmask_b32_e64 v29, 0, v29, s[0:1]
.LBB43_58:                              ;   in Loop: Header=BB43_48 Depth=1
	s_or_b64 exec, exec, s[14:15]
	scratch_load_dwordx2 v[30:31], off, off offset:60 ; 8-byte Folded Reload
	s_waitcnt vmcnt(0)
	v_mov_b32_e32 v31, v111
	v_mov_b32_e32 v32, v30
	v_lshl_add_u64 v[30:31], v[82:83], 0, v[30:31]
	scratch_store_dwordx2 off, v[32:33], off offset:60 ; 8-byte Folded Spill
	;; [unrolled: 25-line block ×18, first 2 shown]
	global_load_dwordx4 v[98:101], v[84:85], off
	s_and_saveexec_b64 s[14:15], vcc
	s_cbranch_execz .LBB43_92
; %bb.91:                               ;   in Loop: Header=BB43_48 Depth=1
	v_cmp_gt_i32_e64 s[0:1], s33, v1
	s_waitcnt vmcnt(0)
	s_nop 0
	v_cndmask_b32_e64 v98, 0, v98, s[0:1]
	v_cmp_gt_i32_e64 s[0:1], s33, v108
	s_nop 1
	v_cndmask_b32_e64 v99, 0, v99, s[0:1]
	v_cmp_gt_i32_e64 s[0:1], s33, v107
	;; [unrolled: 3-line block ×3, first 2 shown]
	s_nop 1
	v_cndmask_b32_e64 v101, 0, v101, s[0:1]
.LBB43_92:                              ;   in Loop: Header=BB43_48 Depth=1
	s_or_b64 exec, exec, s[14:15]
	scratch_load_dwordx2 v[84:85], off, off offset:196 ; 8-byte Folded Reload
	v_mov_b32_e32 v123, v111
	s_waitcnt vmcnt(0)
	v_mov_b32_e32 v122, v84
	v_lshl_add_u64 v[82:83], v[82:83], 0, v[122:123]
	scratch_store_dwordx2 off, v[84:85], off offset:196 ; 8-byte Folded Spill
	global_load_dwordx4 v[82:85], v[82:83], off
	s_and_saveexec_b64 s[0:1], vcc
	s_cbranch_execz .LBB43_46
; %bb.93:                               ;   in Loop: Header=BB43_48 Depth=1
	v_cmp_gt_i32_e32 vcc, s33, v1
	s_waitcnt vmcnt(0)
	s_nop 0
	v_cndmask_b32_e32 v82, 0, v82, vcc
	v_cmp_gt_i32_e32 vcc, s33, v108
	s_nop 1
	v_cndmask_b32_e32 v83, 0, v83, vcc
	v_cmp_gt_i32_e32 vcc, s33, v107
	;; [unrolled: 3-line block ×3, first 2 shown]
	s_nop 1
	v_cndmask_b32_e32 v85, 0, v85, vcc
	s_branch .LBB43_46
.LBB43_94:                              ;   in Loop: Header=BB43_48 Depth=1
	v_cmp_gt_i32_e64 s[0:1], s33, v1
	s_nop 1
	v_cndmask_b32_e64 v6, 0, v6, s[0:1]
	v_cmp_gt_i32_e64 s[0:1], s33, v108
	s_nop 1
	v_cndmask_b32_e64 v7, 0, v7, s[0:1]
	;; [unrolled: 3-line block ×4, first 2 shown]
	s_or_b64 exec, exec, s[14:15]
	global_load_dwordx4 v[10:13], v[18:19], off offset:1024
	s_and_saveexec_b64 s[14:15], vcc
	s_cbranch_execz .LBB43_51
.LBB43_95:                              ;   in Loop: Header=BB43_48 Depth=1
	v_cmp_gt_i32_e64 s[0:1], s33, v1
	s_waitcnt vmcnt(0)
	s_nop 0
	v_cndmask_b32_e64 v10, 0, v10, s[0:1]
	v_cmp_gt_i32_e64 s[0:1], s33, v108
	s_nop 1
	v_cndmask_b32_e64 v11, 0, v11, s[0:1]
	v_cmp_gt_i32_e64 s[0:1], s33, v107
	s_nop 1
	v_cndmask_b32_e64 v12, 0, v12, s[0:1]
	v_cmp_gt_i32_e64 s[0:1], s33, v106
	s_nop 1
	v_cndmask_b32_e64 v13, 0, v13, s[0:1]
	s_or_b64 exec, exec, s[14:15]
	global_load_dwordx4 v[14:17], v[18:19], off offset:2048
	s_and_saveexec_b64 s[14:15], vcc
	s_cbranch_execz .LBB43_52
.LBB43_96:                              ;   in Loop: Header=BB43_48 Depth=1
	v_cmp_gt_i32_e64 s[0:1], s33, v1
	s_waitcnt vmcnt(0)
	s_nop 0
	v_cndmask_b32_e64 v14, 0, v14, s[0:1]
	v_cmp_gt_i32_e64 s[0:1], s33, v108
	s_nop 1
	v_cndmask_b32_e64 v15, 0, v15, s[0:1]
	v_cmp_gt_i32_e64 s[0:1], s33, v107
	;; [unrolled: 3-line block ×3, first 2 shown]
	s_nop 1
	v_cndmask_b32_e64 v17, 0, v17, s[0:1]
	s_or_b64 exec, exec, s[14:15]
	global_load_dwordx4 v[18:21], v[18:19], off offset:3072
	s_and_saveexec_b64 s[14:15], vcc
	s_cbranch_execnz .LBB43_53
	s_branch .LBB43_54
.LBB43_97:
	s_or_b64 exec, exec, s[8:9]
	scratch_load_dword v35, off, off offset:208 ; 4-byte Folded Reload
	scratch_load_dword v31, off, off offset:212 ; 4-byte Folded Reload
	;; [unrolled: 1-line block ×3, first 2 shown]
	scratch_load_dwordx2 v[38:39], off, off ; 8-byte Folded Reload
	scratch_load_dwordx2 v[32:33], off, off offset:8 ; 8-byte Folded Reload
	scratch_load_dwordx2 v[40:41], off, off offset:16 ; 8-byte Folded Reload
	;; [unrolled: 1-line block ×4, first 2 shown]
	v_and_b32_e32 v36, 63, v109
.LBB43_98:
	s_or_b64 exec, exec, s[2:3]
	s_waitcnt vmcnt(6)
	ds_bpermute_b32 v2, v31, v124
	ds_bpermute_b32 v3, v31, v125
	;; [unrolled: 1-line block ×6, first 2 shown]
	s_waitcnt lgkmcnt(4)
	v_pk_add_f32 v[2:3], v[124:125], v[2:3]
	ds_bpermute_b32 v6, v35, v2
	ds_bpermute_b32 v7, v35, v3
	s_waitcnt lgkmcnt(4)
	v_pk_add_f32 v[0:1], v[126:127], v[0:1]
	ds_bpermute_b32 v4, v35, v0
	ds_bpermute_b32 v5, v35, v1
	;; [unrolled: 1-line block ×3, first 2 shown]
	s_waitcnt lgkmcnt(3)
	v_pk_add_f32 v[2:3], v[2:3], v[6:7]
	v_pk_add_f32 v[6:7], v[120:121], v[8:9]
	ds_bpermute_b32 v8, v35, v6
	ds_bpermute_b32 v9, v35, v7
	;; [unrolled: 1-line block ×3, first 2 shown]
	s_waitcnt lgkmcnt(4)
	v_pk_add_f32 v[0:1], v[0:1], v[4:5]
	s_waitcnt vmcnt(5)
	ds_bpermute_b32 v4, v37, v0
	ds_bpermute_b32 v5, v37, v1
	s_waitcnt lgkmcnt(3)
	v_pk_add_f32 v[8:9], v[6:7], v[8:9]
	s_waitcnt lgkmcnt(2)
	v_pk_add_f32 v[12:13], v[118:119], v[12:13]
	ds_bpermute_b32 v10, v37, v2
	ds_bpermute_b32 v11, v37, v3
	ds_bpermute_b32 v14, v37, v8
	ds_bpermute_b32 v15, v37, v9
	ds_bpermute_b32 v16, v35, v12
	ds_bpermute_b32 v17, v35, v13
	s_waitcnt lgkmcnt(6)
	v_pk_add_f32 v[6:7], v[0:1], v[4:5]
	s_waitcnt lgkmcnt(4)
	v_pk_add_f32 v[4:5], v[2:3], v[10:11]
	;; [unrolled: 2-line block ×3, first 2 shown]
	ds_bpermute_b32 v8, v31, v116
	s_waitcnt lgkmcnt(1)
	v_pk_add_f32 v[0:1], v[12:13], v[16:17]
	ds_bpermute_b32 v9, v31, v117
	ds_bpermute_b32 v12, v31, v114
	;; [unrolled: 1-line block ×5, first 2 shown]
	s_waitcnt lgkmcnt(4)
	v_pk_add_f32 v[8:9], v[116:117], v[8:9]
	ds_bpermute_b32 v14, v35, v8
	s_waitcnt lgkmcnt(3)
	v_pk_add_f32 v[12:13], v[114:115], v[12:13]
	ds_bpermute_b32 v15, v35, v9
	ds_bpermute_b32 v16, v35, v12
	;; [unrolled: 1-line block ×5, first 2 shown]
	s_waitcnt lgkmcnt(4)
	v_pk_add_f32 v[8:9], v[8:9], v[14:15]
	ds_bpermute_b32 v20, v37, v8
	s_waitcnt lgkmcnt(3)
	v_pk_add_f32 v[16:17], v[12:13], v[16:17]
	v_pk_add_f32 v[12:13], v[112:113], v[18:19]
	ds_bpermute_b32 v21, v37, v9
	ds_bpermute_b32 v14, v35, v12
	;; [unrolled: 1-line block ×4, first 2 shown]
	s_waitcnt vmcnt(0)
	ds_bpermute_b32 v22, v31, v28
	ds_bpermute_b32 v23, v31, v29
	;; [unrolled: 1-line block ×3, first 2 shown]
	s_waitcnt lgkmcnt(4)
	v_pk_add_f32 v[24:25], v[12:13], v[14:15]
	v_pk_add_f32 v[12:13], v[8:9], v[20:21]
	ds_bpermute_b32 v20, v31, v40
	ds_bpermute_b32 v21, v31, v41
	;; [unrolled: 1-line block ×4, first 2 shown]
	s_waitcnt lgkmcnt(5)
	v_pk_add_f32 v[22:23], v[28:29], v[22:23]
	v_pk_add_f32 v[14:15], v[0:1], v[10:11]
	s_waitcnt lgkmcnt(4)
	v_pk_add_f32 v[10:11], v[16:17], v[18:19]
	ds_bpermute_b32 v16, v31, v42
	ds_bpermute_b32 v17, v31, v43
	ds_bpermute_b32 v28, v35, v22
	ds_bpermute_b32 v29, v35, v23
	s_waitcnt lgkmcnt(6)
	v_pk_add_f32 v[20:21], v[40:41], v[20:21]
	s_waitcnt lgkmcnt(4)
	v_pk_add_f32 v[8:9], v[24:25], v[26:27]
	ds_bpermute_b32 v24, v35, v20
	ds_bpermute_b32 v25, v35, v21
	ds_bpermute_b32 v26, v31, v32
	ds_bpermute_b32 v27, v31, v33
	s_waitcnt lgkmcnt(6)
	;; [unrolled: 8-line block ×3, first 2 shown]
	v_pk_add_f32 v[24:25], v[20:21], v[24:25]
	s_waitcnt lgkmcnt(4)
	v_pk_add_f32 v[20:21], v[32:33], v[26:27]
	ds_bpermute_b32 v26, v35, v20
	ds_bpermute_b32 v27, v35, v21
	s_waitcnt lgkmcnt(4)
	v_pk_add_f32 v[16:17], v[16:17], v[22:23]
	s_waitcnt lgkmcnt(2)
	v_pk_add_f32 v[30:31], v[38:39], v[30:31]
	ds_bpermute_b32 v18, v37, v0
	ds_bpermute_b32 v19, v37, v1
	;; [unrolled: 1-line block ×8, first 2 shown]
	s_waitcnt lgkmcnt(8)
	v_pk_add_f32 v[26:27], v[20:21], v[26:27]
	ds_bpermute_b32 v32, v37, v26
	ds_bpermute_b32 v33, v37, v27
	s_waitcnt lgkmcnt(8)
	v_pk_add_f32 v[20:21], v[0:1], v[18:19]
	s_waitcnt lgkmcnt(6)
	v_pk_add_f32 v[18:19], v[16:17], v[22:23]
	;; [unrolled: 2-line block ×4, first 2 shown]
	ds_bpermute_b32 v24, v37, v22
	ds_bpermute_b32 v25, v37, v23
	s_waitcnt lgkmcnt(2)
	v_pk_add_f32 v[0:1], v[26:27], v[32:33]
	v_and_b32_e32 v26, 0x3c7, v109
	v_cmp_ne_u32_e32 vcc, 64, v26
	s_waitcnt lgkmcnt(0)
	s_barrier
	s_and_saveexec_b64 s[0:1], vcc
	s_xor_b64 s[0:1], exec, s[0:1]
; %bb.99:
                                        ; implicit-def: $vgpr36
; %bb.100:
	s_or_saveexec_b64 s[0:1], s[0:1]
	v_pk_add_f32 v[22:23], v[22:23], v[24:25]
	s_xor_b64 exec, exec, s[0:1]
	s_cbranch_execz .LBB43_102
; %bb.101:
	v_lshrrev_b32_e32 v24, 1, v36
	v_add_u32_e32 v24, 0x310, v24
	ds_write2_b32 v24, v6, v7 offset1:8
	ds_write2_b32 v24, v4, v5 offset0:16 offset1:24
	ds_write2_b32 v24, v2, v3 offset0:32 offset1:40
	;; [unrolled: 1-line block ×11, first 2 shown]
.LBB43_102:
	s_or_b64 exec, exec, s[0:1]
	v_cmp_gt_u32_e32 vcc, 64, v109
	s_waitcnt lgkmcnt(0)
	s_barrier
	s_and_saveexec_b64 s[0:1], vcc
	s_cbranch_execz .LBB43_129
; %bb.103:
	v_and_b32_e32 v24, 7, v109
	v_cmp_eq_u32_e32 vcc, 0, v24
	v_lshrrev_b32_e32 v24, 3, v109
	s_and_saveexec_b64 s[2:3], vcc
	s_cbranch_execnz .LBB43_132
; %bb.104:
	s_or_b64 exec, exec, s[2:3]
	s_and_saveexec_b64 s[2:3], vcc
	s_cbranch_execnz .LBB43_133
.LBB43_105:
	s_or_b64 exec, exec, s[2:3]
	s_and_saveexec_b64 s[2:3], vcc
	s_cbranch_execnz .LBB43_134
.LBB43_106:
	s_or_b64 exec, exec, s[2:3]
	s_and_saveexec_b64 s[2:3], vcc
	s_cbranch_execnz .LBB43_135
.LBB43_107:
	s_or_b64 exec, exec, s[2:3]
	s_and_saveexec_b64 s[2:3], vcc
	s_cbranch_execnz .LBB43_136
.LBB43_108:
	s_or_b64 exec, exec, s[2:3]
	s_and_saveexec_b64 s[2:3], vcc
	s_cbranch_execnz .LBB43_137
.LBB43_109:
	s_or_b64 exec, exec, s[2:3]
	s_and_saveexec_b64 s[2:3], vcc
	s_cbranch_execnz .LBB43_138
.LBB43_110:
	s_or_b64 exec, exec, s[2:3]
	s_and_saveexec_b64 s[2:3], vcc
	s_cbranch_execnz .LBB43_139
.LBB43_111:
	s_or_b64 exec, exec, s[2:3]
	s_and_saveexec_b64 s[2:3], vcc
	s_cbranch_execnz .LBB43_140
.LBB43_112:
	s_or_b64 exec, exec, s[2:3]
	s_and_saveexec_b64 s[2:3], vcc
	s_cbranch_execnz .LBB43_141
.LBB43_113:
	s_or_b64 exec, exec, s[2:3]
	s_and_saveexec_b64 s[2:3], vcc
	s_cbranch_execnz .LBB43_142
.LBB43_114:
	s_or_b64 exec, exec, s[2:3]
	s_and_saveexec_b64 s[2:3], vcc
	s_cbranch_execnz .LBB43_143
.LBB43_115:
	s_or_b64 exec, exec, s[2:3]
	s_and_saveexec_b64 s[2:3], vcc
	s_cbranch_execnz .LBB43_144
.LBB43_116:
	s_or_b64 exec, exec, s[2:3]
	s_and_saveexec_b64 s[2:3], vcc
	s_cbranch_execnz .LBB43_145
.LBB43_117:
	s_or_b64 exec, exec, s[2:3]
	s_and_saveexec_b64 s[2:3], vcc
	s_cbranch_execnz .LBB43_146
.LBB43_118:
	s_or_b64 exec, exec, s[2:3]
	s_and_saveexec_b64 s[2:3], vcc
	s_cbranch_execnz .LBB43_147
.LBB43_119:
	s_or_b64 exec, exec, s[2:3]
	s_and_saveexec_b64 s[2:3], vcc
	s_cbranch_execnz .LBB43_148
.LBB43_120:
	s_or_b64 exec, exec, s[2:3]
	s_and_saveexec_b64 s[2:3], vcc
	s_cbranch_execnz .LBB43_149
.LBB43_121:
	s_or_b64 exec, exec, s[2:3]
	s_and_saveexec_b64 s[2:3], vcc
	s_cbranch_execnz .LBB43_150
.LBB43_122:
	s_or_b64 exec, exec, s[2:3]
	s_and_saveexec_b64 s[2:3], vcc
	s_cbranch_execnz .LBB43_151
.LBB43_123:
	s_or_b64 exec, exec, s[2:3]
	s_and_saveexec_b64 s[2:3], vcc
	s_cbranch_execnz .LBB43_152
.LBB43_124:
	s_or_b64 exec, exec, s[2:3]
	s_and_saveexec_b64 s[2:3], vcc
	s_cbranch_execnz .LBB43_153
.LBB43_125:
	s_or_b64 exec, exec, s[2:3]
	s_and_saveexec_b64 s[2:3], vcc
	s_cbranch_execnz .LBB43_154
.LBB43_126:
	s_or_b64 exec, exec, s[2:3]
	s_and_saveexec_b64 s[2:3], vcc
	s_cbranch_execz .LBB43_128
.LBB43_127:
	v_mov_b32_e32 v25, 0x310
	v_lshl_add_u32 v24, v24, 2, v25
	ds_read_b32 v24, v24 offset:736
	s_waitcnt lgkmcnt(0)
	v_add_f32_e32 v23, v23, v24
.LBB43_128:
	s_or_b64 exec, exec, s[2:3]
.LBB43_129:
	s_or_b64 exec, exec, s[0:1]
	v_cmp_eq_u32_e32 vcc, 0, v26
	s_barrier
	s_and_saveexec_b64 s[0:1], vcc
	s_cbranch_execz .LBB43_131
; %bb.130:
	s_mul_i32 s0, s10, s11
	s_mul_i32 s0, s0, s5
	s_mulk_i32 s0, 0xc0
	s_ashr_i32 s1, s0, 31
	s_lshl_b64 s[0:1], s[0:1], 2
	s_add_u32 s2, s22, s0
	s_mul_i32 s0, s11, s20
	s_addc_u32 s3, s23, s1
	s_ashr_i32 s1, s0, 31
	s_lshl_b64 s[0:1], s[0:1], 2
	s_add_u32 s2, s2, s0
	s_mul_i32 s0, s4, 0xc0
	s_addc_u32 s3, s3, s1
	s_ashr_i32 s1, s0, 31
	s_lshl_b64 s[0:1], s[0:1], 2
	s_add_u32 s0, s2, s0
	s_addc_u32 s1, s3, s1
	v_lshrrev_b32_e32 v24, 1, v109
	global_store_dword v24, v6, s[0:1]
	global_store_dword v24, v7, s[0:1] offset:32
	global_store_dword v24, v4, s[0:1] offset:64
	;; [unrolled: 1-line block ×23, first 2 shown]
.LBB43_131:
	s_endpgm
.LBB43_132:
	v_mov_b32_e32 v25, 0x310
	v_lshl_add_u32 v25, v24, 2, v25
	ds_read_b32 v25, v25
	s_waitcnt lgkmcnt(0)
	v_add_f32_e32 v6, v6, v25
	s_or_b64 exec, exec, s[2:3]
	s_and_saveexec_b64 s[2:3], vcc
	s_cbranch_execz .LBB43_105
.LBB43_133:
	v_mov_b32_e32 v25, 0x310
	v_lshl_add_u32 v25, v24, 2, v25
	ds_read_b32 v25, v25 offset:32
	s_waitcnt lgkmcnt(0)
	v_add_f32_e32 v7, v7, v25
	s_or_b64 exec, exec, s[2:3]
	s_and_saveexec_b64 s[2:3], vcc
	s_cbranch_execz .LBB43_106
.LBB43_134:
	v_mov_b32_e32 v25, 0x310
	v_lshl_add_u32 v25, v24, 2, v25
	ds_read_b32 v25, v25 offset:64
	s_waitcnt lgkmcnt(0)
	v_add_f32_e32 v4, v4, v25
	s_or_b64 exec, exec, s[2:3]
	s_and_saveexec_b64 s[2:3], vcc
	s_cbranch_execz .LBB43_107
.LBB43_135:
	v_mov_b32_e32 v25, 0x310
	v_lshl_add_u32 v25, v24, 2, v25
	ds_read_b32 v25, v25 offset:96
	s_waitcnt lgkmcnt(0)
	v_add_f32_e32 v5, v5, v25
	s_or_b64 exec, exec, s[2:3]
	s_and_saveexec_b64 s[2:3], vcc
	s_cbranch_execz .LBB43_108
.LBB43_136:
	v_mov_b32_e32 v25, 0x310
	v_lshl_add_u32 v25, v24, 2, v25
	ds_read_b32 v25, v25 offset:128
	s_waitcnt lgkmcnt(0)
	v_add_f32_e32 v2, v2, v25
	s_or_b64 exec, exec, s[2:3]
	s_and_saveexec_b64 s[2:3], vcc
	s_cbranch_execz .LBB43_109
.LBB43_137:
	v_mov_b32_e32 v25, 0x310
	v_lshl_add_u32 v25, v24, 2, v25
	ds_read_b32 v25, v25 offset:160
	s_waitcnt lgkmcnt(0)
	v_add_f32_e32 v3, v3, v25
	s_or_b64 exec, exec, s[2:3]
	s_and_saveexec_b64 s[2:3], vcc
	s_cbranch_execz .LBB43_110
.LBB43_138:
	v_mov_b32_e32 v25, 0x310
	v_lshl_add_u32 v25, v24, 2, v25
	ds_read_b32 v25, v25 offset:192
	s_waitcnt lgkmcnt(0)
	v_add_f32_e32 v14, v14, v25
	s_or_b64 exec, exec, s[2:3]
	s_and_saveexec_b64 s[2:3], vcc
	s_cbranch_execz .LBB43_111
.LBB43_139:
	v_mov_b32_e32 v25, 0x310
	v_lshl_add_u32 v25, v24, 2, v25
	ds_read_b32 v25, v25 offset:224
	s_waitcnt lgkmcnt(0)
	v_add_f32_e32 v15, v15, v25
	s_or_b64 exec, exec, s[2:3]
	s_and_saveexec_b64 s[2:3], vcc
	s_cbranch_execz .LBB43_112
.LBB43_140:
	v_mov_b32_e32 v25, 0x310
	v_lshl_add_u32 v25, v24, 2, v25
	ds_read_b32 v25, v25 offset:256
	s_waitcnt lgkmcnt(0)
	v_add_f32_e32 v12, v12, v25
	s_or_b64 exec, exec, s[2:3]
	s_and_saveexec_b64 s[2:3], vcc
	s_cbranch_execz .LBB43_113
.LBB43_141:
	v_mov_b32_e32 v25, 0x310
	v_lshl_add_u32 v25, v24, 2, v25
	ds_read_b32 v25, v25 offset:288
	s_waitcnt lgkmcnt(0)
	v_add_f32_e32 v13, v13, v25
	s_or_b64 exec, exec, s[2:3]
	s_and_saveexec_b64 s[2:3], vcc
	s_cbranch_execz .LBB43_114
.LBB43_142:
	v_mov_b32_e32 v25, 0x310
	v_lshl_add_u32 v25, v24, 2, v25
	ds_read_b32 v25, v25 offset:320
	s_waitcnt lgkmcnt(0)
	v_add_f32_e32 v10, v10, v25
	s_or_b64 exec, exec, s[2:3]
	s_and_saveexec_b64 s[2:3], vcc
	s_cbranch_execz .LBB43_115
.LBB43_143:
	v_mov_b32_e32 v25, 0x310
	v_lshl_add_u32 v25, v24, 2, v25
	ds_read_b32 v25, v25 offset:352
	s_waitcnt lgkmcnt(0)
	v_add_f32_e32 v11, v11, v25
	s_or_b64 exec, exec, s[2:3]
	s_and_saveexec_b64 s[2:3], vcc
	s_cbranch_execz .LBB43_116
.LBB43_144:
	v_mov_b32_e32 v25, 0x310
	v_lshl_add_u32 v25, v24, 2, v25
	ds_read_b32 v25, v25 offset:384
	s_waitcnt lgkmcnt(0)
	v_add_f32_e32 v8, v8, v25
	s_or_b64 exec, exec, s[2:3]
	s_and_saveexec_b64 s[2:3], vcc
	s_cbranch_execz .LBB43_117
.LBB43_145:
	v_mov_b32_e32 v25, 0x310
	v_lshl_add_u32 v25, v24, 2, v25
	ds_read_b32 v25, v25 offset:416
	s_waitcnt lgkmcnt(0)
	v_add_f32_e32 v9, v9, v25
	s_or_b64 exec, exec, s[2:3]
	s_and_saveexec_b64 s[2:3], vcc
	s_cbranch_execz .LBB43_118
.LBB43_146:
	v_mov_b32_e32 v25, 0x310
	v_lshl_add_u32 v25, v24, 2, v25
	ds_read_b32 v25, v25 offset:448
	s_waitcnt lgkmcnt(0)
	v_add_f32_e32 v20, v20, v25
	s_or_b64 exec, exec, s[2:3]
	s_and_saveexec_b64 s[2:3], vcc
	s_cbranch_execz .LBB43_119
.LBB43_147:
	v_mov_b32_e32 v25, 0x310
	v_lshl_add_u32 v25, v24, 2, v25
	ds_read_b32 v25, v25 offset:480
	s_waitcnt lgkmcnt(0)
	v_add_f32_e32 v21, v21, v25
	s_or_b64 exec, exec, s[2:3]
	s_and_saveexec_b64 s[2:3], vcc
	s_cbranch_execz .LBB43_120
.LBB43_148:
	v_mov_b32_e32 v25, 0x310
	v_lshl_add_u32 v25, v24, 2, v25
	ds_read_b32 v25, v25 offset:512
	s_waitcnt lgkmcnt(0)
	v_add_f32_e32 v18, v18, v25
	s_or_b64 exec, exec, s[2:3]
	s_and_saveexec_b64 s[2:3], vcc
	s_cbranch_execz .LBB43_121
.LBB43_149:
	v_mov_b32_e32 v25, 0x310
	v_lshl_add_u32 v25, v24, 2, v25
	ds_read_b32 v25, v25 offset:544
	s_waitcnt lgkmcnt(0)
	v_add_f32_e32 v19, v19, v25
	s_or_b64 exec, exec, s[2:3]
	s_and_saveexec_b64 s[2:3], vcc
	s_cbranch_execz .LBB43_122
.LBB43_150:
	v_mov_b32_e32 v25, 0x310
	v_lshl_add_u32 v25, v24, 2, v25
	ds_read_b32 v25, v25 offset:576
	s_waitcnt lgkmcnt(0)
	v_add_f32_e32 v16, v16, v25
	s_or_b64 exec, exec, s[2:3]
	s_and_saveexec_b64 s[2:3], vcc
	s_cbranch_execz .LBB43_123
.LBB43_151:
	v_mov_b32_e32 v25, 0x310
	v_lshl_add_u32 v25, v24, 2, v25
	ds_read_b32 v25, v25 offset:608
	s_waitcnt lgkmcnt(0)
	v_add_f32_e32 v17, v17, v25
	s_or_b64 exec, exec, s[2:3]
	s_and_saveexec_b64 s[2:3], vcc
	s_cbranch_execz .LBB43_124
.LBB43_152:
	v_mov_b32_e32 v25, 0x310
	v_lshl_add_u32 v25, v24, 2, v25
	ds_read_b32 v25, v25 offset:640
	s_waitcnt lgkmcnt(0)
	v_add_f32_e32 v0, v0, v25
	s_or_b64 exec, exec, s[2:3]
	s_and_saveexec_b64 s[2:3], vcc
	s_cbranch_execz .LBB43_125
.LBB43_153:
	v_mov_b32_e32 v25, 0x310
	v_lshl_add_u32 v25, v24, 2, v25
	ds_read_b32 v25, v25 offset:672
	s_waitcnt lgkmcnt(0)
	v_add_f32_e32 v1, v1, v25
	s_or_b64 exec, exec, s[2:3]
	s_and_saveexec_b64 s[2:3], vcc
	s_cbranch_execz .LBB43_126
.LBB43_154:
	v_mov_b32_e32 v25, 0x310
	v_lshl_add_u32 v25, v24, 2, v25
	ds_read_b32 v25, v25 offset:704
	s_waitcnt lgkmcnt(0)
	v_add_f32_e32 v22, v22, v25
	s_or_b64 exec, exec, s[2:3]
	s_and_saveexec_b64 s[2:3], vcc
	s_cbranch_execnz .LBB43_127
	s_branch .LBB43_128
	.section	.rodata,"a",@progbits
	.p2align	6, 0x0
	.amdhsa_kernel _ZN4vllm25paged_attention_v1_kernelIffLi192ELi32ELi128ELNS_18Fp8KVCacheDataTypeE0ELb1EEEvPT_PKS2_PKT0_S8_ifPKiSA_iPKfiiiSC_SC_iiiii
		.amdhsa_group_segment_fixed_size 784
		.amdhsa_private_segment_fixed_size 224
		.amdhsa_kernarg_size 384
		.amdhsa_user_sgpr_count 2
		.amdhsa_user_sgpr_dispatch_ptr 0
		.amdhsa_user_sgpr_queue_ptr 0
		.amdhsa_user_sgpr_kernarg_segment_ptr 1
		.amdhsa_user_sgpr_dispatch_id 0
		.amdhsa_user_sgpr_kernarg_preload_length 0
		.amdhsa_user_sgpr_kernarg_preload_offset 0
		.amdhsa_user_sgpr_private_segment_size 0
		.amdhsa_uses_dynamic_stack 0
		.amdhsa_enable_private_segment 1
		.amdhsa_system_sgpr_workgroup_id_x 1
		.amdhsa_system_sgpr_workgroup_id_y 1
		.amdhsa_system_sgpr_workgroup_id_z 1
		.amdhsa_system_sgpr_workgroup_info 0
		.amdhsa_system_vgpr_workitem_id 0
		.amdhsa_next_free_vgpr 128
		.amdhsa_next_free_sgpr 49
		.amdhsa_accum_offset 128
		.amdhsa_reserve_vcc 1
		.amdhsa_float_round_mode_32 0
		.amdhsa_float_round_mode_16_64 0
		.amdhsa_float_denorm_mode_32 3
		.amdhsa_float_denorm_mode_16_64 3
		.amdhsa_dx10_clamp 1
		.amdhsa_ieee_mode 1
		.amdhsa_fp16_overflow 0
		.amdhsa_tg_split 0
		.amdhsa_exception_fp_ieee_invalid_op 0
		.amdhsa_exception_fp_denorm_src 0
		.amdhsa_exception_fp_ieee_div_zero 0
		.amdhsa_exception_fp_ieee_overflow 0
		.amdhsa_exception_fp_ieee_underflow 0
		.amdhsa_exception_fp_ieee_inexact 0
		.amdhsa_exception_int_div_zero 0
	.end_amdhsa_kernel
	.section	.text._ZN4vllm25paged_attention_v1_kernelIffLi192ELi32ELi128ELNS_18Fp8KVCacheDataTypeE0ELb1EEEvPT_PKS2_PKT0_S8_ifPKiSA_iPKfiiiSC_SC_iiiii,"axG",@progbits,_ZN4vllm25paged_attention_v1_kernelIffLi192ELi32ELi128ELNS_18Fp8KVCacheDataTypeE0ELb1EEEvPT_PKS2_PKT0_S8_ifPKiSA_iPKfiiiSC_SC_iiiii,comdat
.Lfunc_end43:
	.size	_ZN4vllm25paged_attention_v1_kernelIffLi192ELi32ELi128ELNS_18Fp8KVCacheDataTypeE0ELb1EEEvPT_PKS2_PKT0_S8_ifPKiSA_iPKfiiiSC_SC_iiiii, .Lfunc_end43-_ZN4vllm25paged_attention_v1_kernelIffLi192ELi32ELi128ELNS_18Fp8KVCacheDataTypeE0ELb1EEEvPT_PKS2_PKT0_S8_ifPKiSA_iPKfiiiSC_SC_iiiii
                                        ; -- End function
	.section	.AMDGPU.csdata,"",@progbits
; Kernel info:
; codeLenInByte = 11924
; NumSgprs: 55
; NumVgprs: 128
; NumAgprs: 0
; TotalNumVgprs: 128
; ScratchSize: 224
; MemoryBound: 0
; FloatMode: 240
; IeeeMode: 1
; LDSByteSize: 784 bytes/workgroup (compile time only)
; SGPRBlocks: 6
; VGPRBlocks: 15
; NumSGPRsForWavesPerEU: 55
; NumVGPRsForWavesPerEU: 128
; AccumOffset: 128
; Occupancy: 4
; WaveLimiterHint : 1
; COMPUTE_PGM_RSRC2:SCRATCH_EN: 1
; COMPUTE_PGM_RSRC2:USER_SGPR: 2
; COMPUTE_PGM_RSRC2:TRAP_HANDLER: 0
; COMPUTE_PGM_RSRC2:TGID_X_EN: 1
; COMPUTE_PGM_RSRC2:TGID_Y_EN: 1
; COMPUTE_PGM_RSRC2:TGID_Z_EN: 1
; COMPUTE_PGM_RSRC2:TIDIG_COMP_CNT: 0
; COMPUTE_PGM_RSRC3_GFX90A:ACCUM_OFFSET: 31
; COMPUTE_PGM_RSRC3_GFX90A:TG_SPLIT: 0
	.section	.text._ZN4vllm25paged_attention_v1_kernelIffLi256ELi32ELi128ELNS_18Fp8KVCacheDataTypeE0ELb1EEEvPT_PKS2_PKT0_S8_ifPKiSA_iPKfiiiSC_SC_iiiii,"axG",@progbits,_ZN4vllm25paged_attention_v1_kernelIffLi256ELi32ELi128ELNS_18Fp8KVCacheDataTypeE0ELb1EEEvPT_PKS2_PKT0_S8_ifPKiSA_iPKfiiiSC_SC_iiiii,comdat
	.protected	_ZN4vllm25paged_attention_v1_kernelIffLi256ELi32ELi128ELNS_18Fp8KVCacheDataTypeE0ELb1EEEvPT_PKS2_PKT0_S8_ifPKiSA_iPKfiiiSC_SC_iiiii ; -- Begin function _ZN4vllm25paged_attention_v1_kernelIffLi256ELi32ELi128ELNS_18Fp8KVCacheDataTypeE0ELb1EEEvPT_PKS2_PKT0_S8_ifPKiSA_iPKfiiiSC_SC_iiiii
	.globl	_ZN4vllm25paged_attention_v1_kernelIffLi256ELi32ELi128ELNS_18Fp8KVCacheDataTypeE0ELb1EEEvPT_PKS2_PKT0_S8_ifPKiSA_iPKfiiiSC_SC_iiiii
	.p2align	8
	.type	_ZN4vllm25paged_attention_v1_kernelIffLi256ELi32ELi128ELNS_18Fp8KVCacheDataTypeE0ELb1EEEvPT_PKS2_PKT0_S8_ifPKiSA_iPKfiiiSC_SC_iiiii,@function
_ZN4vllm25paged_attention_v1_kernelIffLi256ELi32ELi128ELNS_18Fp8KVCacheDataTypeE0ELb1EEEvPT_PKS2_PKT0_S8_ifPKiSA_iPKfiiiSC_SC_iiiii: ; @_ZN4vllm25paged_attention_v1_kernelIffLi256ELi32ELi128ELNS_18Fp8KVCacheDataTypeE0ELb1EEEvPT_PKS2_PKT0_S8_ifPKiSA_iPKfiiiSC_SC_iiiii
; %bb.0:
	s_load_dword s5, s[0:1], 0x80
	s_load_dwordx2 s[6:7], s[0:1], 0x30
	s_load_dwordx2 s[30:31], s[0:1], 0x20
	s_mov_b32 s10, s3
	s_ashr_i32 s11, s3, 31
	s_lshl_b64 s[8:9], s[10:11], 2
	s_waitcnt lgkmcnt(0)
	s_add_u32 s6, s6, s8
	s_addc_u32 s7, s7, s9
	s_abs_i32 s3, s30
	v_mov_b32_e32 v75, v0
	v_cvt_f32_u32_e32 v0, s3
	s_sub_i32 s11, 0, s3
	s_abs_i32 s9, s5
	s_xor_b32 s8, s5, s30
	v_rcp_iflag_f32_e32 v0, v0
	s_ashr_i32 s8, s8, 31
	s_mov_b32 s43, 0
	v_mul_f32_e32 v0, 0x4f7ffffe, v0
	v_cvt_u32_f32_e32 v0, v0
	s_nop 0
	v_readfirstlane_b32 s12, v0
	s_mul_i32 s11, s11, s12
	s_mul_hi_u32 s11, s12, s11
	s_add_i32 s12, s12, s11
	s_mul_hi_u32 s11, s9, s12
	s_mul_i32 s12, s11, s3
	s_sub_i32 s9, s9, s12
	s_add_i32 s12, s11, 1
	s_sub_i32 s13, s9, s3
	s_cmp_ge_u32 s9, s3
	s_cselect_b32 s11, s12, s11
	s_cselect_b32 s9, s13, s9
	s_add_i32 s12, s11, 1
	s_cmp_ge_u32 s9, s3
	s_cselect_b32 s3, s12, s11
	s_xor_b32 s3, s3, s8
	s_sub_i32 s12, s3, s8
	s_abs_i32 s11, s12
	v_cvt_f32_u32_e32 v0, s11
	s_load_dwordx2 s[8:9], s[0:1], 0x40
	s_sub_i32 s3, 0, s11
	s_abs_i32 s22, s2
	v_rcp_iflag_f32_e32 v0, v0
	s_nop 0
	v_mul_f32_e32 v0, 0x4f7ffffe, v0
	v_cvt_u32_f32_e32 v0, v0
	s_nop 0
	v_readfirstlane_b32 s13, v0
	s_mul_i32 s3, s3, s13
	s_mul_hi_u32 s3, s13, s3
	s_add_i32 s13, s13, s3
	s_waitcnt lgkmcnt(0)
	s_cmp_eq_u64 s[8:9], 0
	s_mul_hi_u32 s23, s22, s13
	s_cbranch_scc1 .LBB44_2
; %bb.1:
	s_ashr_i32 s3, s2, 31
	s_lshl_b64 s[14:15], s[2:3], 2
	s_add_u32 s8, s8, s14
	s_addc_u32 s9, s9, s15
	s_load_dword s43, s[8:9], 0x0
.LBB44_2:
	s_load_dword s33, s[6:7], 0x0
	s_load_dwordx4 s[16:19], s[0:1], 0x48
	s_movk_i32 s6, 0x80
	s_ashr_i32 s3, s2, 31
	s_ashr_i32 s9, s12, 31
	v_and_b32_e32 v2, 1, v75
	s_lshl_b32 s20, s2, 8
	v_cmp_gt_u32_e32 vcc, s6, v75
	v_lshlrev_b32_e32 v0, 3, v75
	v_lshlrev_b32_e32 v58, 2, v75
	s_and_saveexec_b64 s[6:7], vcc
	s_cbranch_execz .LBB44_4
; %bb.3:
	s_load_dwordx2 s[12:13], s[0:1], 0x8
	s_waitcnt lgkmcnt(0)
	s_mul_i32 s14, s10, s16
	s_ashr_i32 s15, s14, 31
	s_lshl_b64 s[14:15], s[14:15], 2
	v_and_b32_e32 v1, 0xff8, v58
	s_add_u32 s8, s12, s14
	s_addc_u32 s14, s13, s15
	s_ashr_i32 s21, s20, 31
	s_lshl_b64 s[12:13], s[20:21], 2
	s_add_u32 s12, s8, s12
	s_addc_u32 s13, s14, s13
	global_load_dwordx2 v[4:5], v0, s[12:13]
	v_lshl_add_u32 v1, v2, 9, v1
	s_waitcnt vmcnt(0)
	ds_write_b64 v1, v[4:5]
.LBB44_4:
	s_or_b64 exec, exec, s[6:7]
	s_mul_i32 s6, s23, s11
	s_sub_i32 s6, s22, s6
	s_xor_b32 s3, s3, s9
	s_add_i32 s7, s23, 1
	s_sub_i32 s9, s6, s11
	s_load_dwordx4 s[12:15], s[0:1], 0x68
	s_load_dword s8, s[0:1], 0x78
	s_cmp_ge_u32 s6, s11
	s_cselect_b32 s7, s7, s23
	s_cselect_b32 s6, s9, s6
	s_add_i32 s9, s7, 1
	s_cmp_ge_u32 s6, s11
	s_cselect_b32 s6, s9, s7
	s_waitcnt lgkmcnt(0)
	s_abs_i32 s16, s15
	v_cvt_f32_u32_e32 v1, s16
	s_xor_b32 s6, s6, s3
	s_sub_i32 s3, s6, s3
	s_sub_i32 s6, 0, s16
	v_rcp_iflag_f32_e32 v1, v1
	s_add_i32 s11, s33, -1
	s_abs_i32 s9, s11
	v_mul_f32_e32 v1, 0x4f7ffffe, v1
	v_cvt_u32_f32_e32 v1, v1
	s_barrier
	v_readfirstlane_b32 s21, v1
	s_mul_i32 s6, s6, s21
	s_mul_hi_u32 s6, s21, s6
	s_add_i32 s21, s21, s6
	s_cmp_lt_i32 s8, 0
	s_mul_hi_u32 s19, s9, s21
	s_cbranch_scc0 .LBB44_6
; %bb.5:
	s_mul_i32 s6, s12, s30
	s_add_i32 s6, s3, s6
	s_mul_i32 s6, s6, s8
	s_sub_i32 s40, 1, s6
	s_mov_b64 s[6:7], 0
	s_branch .LBB44_7
.LBB44_6:
	s_mov_b64 s[6:7], -1
                                        ; implicit-def: $sgpr40
.LBB44_7:
	s_load_dwordx2 s[24:25], s[0:1], 0x28
	s_ashr_i32 s26, s11, 31
	s_andn2_b64 vcc, exec, s[6:7]
	s_ashr_i32 s41, s15, 31
	s_cbranch_vccnz .LBB44_9
; %bb.8:
	s_mul_i32 s6, s5, s12
	s_add_i32 s2, s6, s2
	s_mul_i32 s2, s2, s8
	s_add_i32 s40, s2, 1
.LBB44_9:
	s_load_dword s2, s[0:1], 0x38
	s_load_dwordx2 s[22:23], s[0:1], 0x0
	s_load_dwordx2 s[28:29], s[0:1], 0x18
	s_load_dword s11, s[0:1], 0x88
	s_xor_b32 s6, s26, s41
	s_waitcnt lgkmcnt(0)
	s_mul_i32 s26, s10, s2
	s_mul_i32 s2, s19, s16
	s_sub_i32 s2, s9, s2
	s_ashr_i32 s27, s26, 31
	s_add_i32 s7, s19, 1
	s_sub_i32 s8, s2, s16
	s_cmp_ge_u32 s2, s16
	s_cselect_b32 s7, s7, s19
	s_cselect_b32 s2, s8, s2
	s_add_i32 s8, s7, 1
	s_cmp_ge_u32 s2, s16
	s_cselect_b32 s2, s8, s7
	s_xor_b32 s2, s2, s6
	s_sub_i32 s12, s2, s6
	s_add_i32 s2, s33, 31
	s_ashr_i32 s6, s2, 31
	s_lshr_b32 s6, s6, 27
	s_add_i32 s2, s2, s6
	s_ashr_i32 s42, s2, 5
	v_lshrrev_b32_e32 v1, 6, v75
	v_cmp_gt_i32_e64 s[6:7], s42, v1
	v_mov_b32_e32 v64, 0xff7fffff
	s_mul_i32 s18, s3, s18
	v_lshrrev_b32_e32 v59, 4, v75
	v_lshlrev_b32_e32 v84, 5, v1
	v_mbcnt_lo_u32_b32 v60, -1, 0
	scratch_store_dword off, v1, off        ; 4-byte Folded Spill
	s_and_saveexec_b64 s[34:35], s[6:7]
	s_cbranch_execz .LBB44_19
; %bb.10:
	s_load_dwordx2 s[0:1], s[0:1], 0x10
	s_ashr_i32 s19, s18, 31
	s_sub_i32 s15, s12, s13
	s_lshl_b64 s[2:3], s[18:19], 2
	v_bfe_u32 v61, v75, 1, 5
	s_waitcnt lgkmcnt(0)
	s_add_u32 s0, s0, s2
	s_addc_u32 s1, s1, s3
	s_abs_i32 s19, s14
	v_cvt_f32_u32_e32 v1, s19
	v_lshlrev_b32_e32 v4, 4, v61
	v_mov_b32_e32 v5, 0
	v_lshl_add_u64 v[6:7], s[0:1], 0, v[4:5]
	v_rcp_iflag_f32_e32 v8, v1
	v_and_b32_e32 v4, 8, v0
	v_lshl_add_u64 v[0:1], v[6:7], 0, v[4:5]
	s_sub_i32 s0, 0, s19
	v_mul_f32_e32 v4, 0x4f7ffffe, v8
	v_cvt_u32_f32_e32 v4, v4
	v_cmp_eq_u32_e32 vcc, 0, v2
	v_lshlrev_b32_e32 v62, 9, v2
	v_lshlrev_b32_e32 v3, 2, v61
	v_mul_lo_u32 v2, s0, v4
	v_mul_hi_u32 v2, v4, v2
	v_lshrrev_b32_e32 v72, 6, v75
	v_add_u32_e32 v63, v4, v2
	s_lshl_b64 s[0:1], s[26:27], 2
	v_lshl_or_b32 v2, v72, 7, v3
	s_add_u32 s0, s24, s0
	v_add_u32_e32 v66, 0x410, v2
	v_subrev_u32_e32 v2, s33, v61
	v_mbcnt_hi_u32_b32 v69, -1, v60
	v_and_b32_e32 v4, 60, v59
	s_addc_u32 s1, s25, s1
	v_add_u32_e32 v67, 1, v2
	v_and_b32_e32 v2, 64, v69
	s_mov_b32 s30, s17
	v_cmp_neq_f32_e64 s[2:3], s43, 0
	v_lshl_add_u64 v[6:7], s[0:1], 0, v[4:5]
	v_lshlrev_b32_e32 v65, 5, v72
	s_mov_b64 s[36:37], 0
	v_mov_b32_e32 v68, 0xff7fffff
	s_movk_i32 s44, 0x1000
	s_movk_i32 s45, 0x2000
	s_movk_i32 s46, 0x3000
	s_movk_i32 s47, 0x4000
	s_movk_i32 s48, 0x5000
	s_movk_i32 s49, 0x6000
	s_movk_i32 s50, 0x7000
	v_xor_b32_e32 v70, 1, v69
	v_add_u32_e32 v71, 64, v2
	v_mov_b32_e32 v64, 0xff7fffff
	s_branch .LBB44_13
.LBB44_11:                              ;   in Loop: Header=BB44_13 Depth=1
	s_or_b64 exec, exec, s[38:39]
.LBB44_12:                              ;   in Loop: Header=BB44_13 Depth=1
	s_or_b64 exec, exec, s[8:9]
	v_add_u32_e32 v72, 2, v72
	v_cmp_le_i32_e64 s[0:1], s42, v72
	v_lshl_add_u64 v[6:7], v[6:7], 0, 8
	v_add_u32_e32 v65, 64, v65
	s_or_b64 s[36:37], s[0:1], s[36:37]
	v_add_u32_e32 v66, 0x100, v66
	s_andn2_b64 exec, exec, s[36:37]
	s_cbranch_execz .LBB44_18
.LBB44_13:                              ; =>This Inner Loop Header: Depth=1
	v_mul_hi_u32 v2, v65, s21
	s_waitcnt lgkmcnt(0)
	v_mul_lo_u32 v3, v2, s16
	v_sub_u32_e32 v3, v65, v3
	v_add_u32_e32 v4, 1, v2
	v_cmp_le_u32_e64 s[0:1], s16, v3
	s_nop 1
	v_cndmask_b32_e64 v2, v2, v4, s[0:1]
	v_subrev_u32_e32 v4, s16, v3
	v_cndmask_b32_e64 v3, v3, v4, s[0:1]
	v_add_u32_e32 v4, 1, v2
	v_cmp_le_u32_e64 s[0:1], s16, v3
	s_nop 1
	v_cndmask_b32_e64 v2, v2, v4, s[0:1]
	v_xor_b32_e32 v2, s41, v2
	v_subrev_u32_e32 v2, s41, v2
	v_add_u32_e32 v3, s40, v2
	v_sub_u32_e32 v5, 0, v3
	v_ashrrev_i32_e32 v4, 31, v3
	v_max_i32_e32 v3, v3, v5
	v_mul_hi_u32 v5, v3, v63
	v_mul_lo_u32 v5, v5, s19
	v_sub_u32_e32 v3, v3, v5
	v_subrev_u32_e32 v5, s19, v3
	v_cmp_le_u32_e64 s[0:1], s19, v3
	v_cmp_ge_i32_e64 s[8:9], s15, v2
	s_nop 0
	v_cndmask_b32_e64 v3, v3, v5, s[0:1]
	v_subrev_u32_e32 v5, s19, v3
	v_cmp_le_u32_e64 s[0:1], s19, v3
	s_nop 1
	v_cndmask_b32_e64 v3, v3, v5, s[0:1]
	v_xor_b32_e32 v3, v3, v4
	v_sub_u32_e32 v3, v3, v4
	v_cmp_ne_u32_e64 s[0:1], 0, v3
	s_and_b64 s[0:1], s[0:1], s[8:9]
	s_and_b64 s[38:39], vcc, s[0:1]
	s_and_saveexec_b64 s[8:9], s[38:39]
	s_cbranch_execz .LBB44_15
; %bb.14:                               ;   in Loop: Header=BB44_13 Depth=1
	ds_write_b32 v66, v68
.LBB44_15:                              ;   in Loop: Header=BB44_13 Depth=1
	s_or_b64 exec, exec, s[8:9]
	s_xor_b64 s[0:1], s[0:1], -1
	s_and_saveexec_b64 s[8:9], s[0:1]
	s_cbranch_execz .LBB44_12
; %bb.16:                               ;   in Loop: Header=BB44_13 Depth=1
	global_load_dword v2, v[6:7], off
	s_waitcnt vmcnt(0)
	v_mad_i64_i32 v[2:3], s[0:1], v2, s30, 0
	v_lshl_add_u64 v[2:3], v[2:3], 2, v[0:1]
	global_load_dwordx2 v[4:5], v[2:3], off offset:512
	global_load_dwordx2 v[16:17], v[2:3], off
	global_load_dwordx2 v[50:51], v[2:3], off offset:1024
	global_load_dwordx2 v[52:53], v[2:3], off offset:1536
	;; [unrolled: 1-line block ×6, first 2 shown]
	v_add_co_u32_e64 v54, s[0:1], s45, v2
	s_nop 1
	v_addc_co_u32_e64 v55, s[0:1], 0, v3, s[0:1]
	global_load_dwordx2 v[44:45], v[54:55], off offset:-4096
	v_add_co_u32_e64 v12, s[0:1], s44, v2
	s_nop 1
	v_addc_co_u32_e64 v13, s[0:1], 0, v3, s[0:1]
	global_load_dwordx2 v[38:39], v[12:13], off offset:512
	global_load_dwordx2 v[36:37], v[12:13], off offset:1024
	;; [unrolled: 1-line block ×7, first 2 shown]
	global_load_dwordx2 v[20:21], v[54:55], off
	ds_read_b128 v[12:15], v62
	global_load_dwordx2 v[26:27], v[54:55], off offset:512
	global_load_dwordx2 v[24:25], v[54:55], off offset:1024
	ds_read_b128 v[46:49], v62 offset:16
	global_load_dwordx2 v[18:19], v[54:55], off offset:1536
	s_waitcnt vmcnt(19) lgkmcnt(1)
	v_mul_f32_e32 v73, v14, v4
	v_mul_f32_e32 v74, v15, v5
	s_waitcnt vmcnt(18)
	v_fmac_f32_e32 v73, v12, v16
	v_fmac_f32_e32 v74, v13, v17
	global_load_dwordx2 v[16:17], v[54:55], off offset:2048
	global_load_dwordx2 v[14:15], v[54:55], off offset:2560
	;; [unrolled: 1-line block ×4, first 2 shown]
	s_waitcnt vmcnt(21) lgkmcnt(0)
	v_fmac_f32_e32 v73, v46, v50
	v_fmac_f32_e32 v74, v47, v51
	s_waitcnt vmcnt(20)
	v_fmac_f32_e32 v73, v48, v52
	v_fmac_f32_e32 v74, v49, v53
	ds_read_b128 v[46:49], v62 offset:32
	ds_read_b128 v[50:53], v62 offset:48
	s_waitcnt vmcnt(19) lgkmcnt(1)
	v_fmac_f32_e32 v73, v46, v40
	v_add_co_u32_e64 v40, s[0:1], s47, v2
	v_fmac_f32_e32 v74, v47, v41
	s_nop 0
	v_addc_co_u32_e64 v41, s[0:1], 0, v3, s[0:1]
	s_waitcnt vmcnt(18)
	v_fmac_f32_e32 v73, v48, v42
	v_fmac_f32_e32 v74, v49, v43
	global_load_dwordx2 v[42:43], v[40:41], off offset:-4096
	s_waitcnt vmcnt(18) lgkmcnt(0)
	v_fmac_f32_e32 v73, v50, v10
	v_fmac_f32_e32 v74, v51, v11
	s_waitcnt vmcnt(17)
	v_fmac_f32_e32 v73, v52, v8
	v_fmac_f32_e32 v74, v53, v9
	ds_read_b128 v[46:49], v62 offset:64
	ds_read_b128 v[50:53], v62 offset:80
	v_add_co_u32_e64 v10, s[0:1], s50, v2
	s_waitcnt vmcnt(16) lgkmcnt(1)
	v_fmac_f32_e32 v73, v46, v44
	v_addc_co_u32_e64 v11, s[0:1], 0, v3, s[0:1]
	v_add_co_u32_e64 v76, s[0:1], s46, v2
	v_fmac_f32_e32 v74, v47, v45
	s_nop 0
	v_addc_co_u32_e64 v77, s[0:1], 0, v3, s[0:1]
	global_load_dwordx2 v[8:9], v[10:11], off offset:3584
	global_load_dwordx2 v[54:55], v[76:77], off offset:512
	;; [unrolled: 1-line block ×3, first 2 shown]
	s_waitcnt vmcnt(18)
	v_fmac_f32_e32 v73, v48, v38
	v_fmac_f32_e32 v74, v49, v39
	s_waitcnt vmcnt(17) lgkmcnt(0)
	v_fmac_f32_e32 v73, v50, v36
	v_fmac_f32_e32 v74, v51, v37
	ds_read_b128 v[36:39], v62 offset:96
	ds_read_b128 v[44:47], v62 offset:112
	s_waitcnt vmcnt(16)
	v_fmac_f32_e32 v73, v52, v34
	v_fmac_f32_e32 v74, v53, v35
	global_load_dwordx2 v[52:53], v[76:77], off offset:1536
	s_waitcnt vmcnt(16) lgkmcnt(1)
	v_fmac_f32_e32 v73, v36, v32
	v_fmac_f32_e32 v74, v37, v33
	s_waitcnt vmcnt(15)
	v_fmac_f32_e32 v73, v38, v30
	v_fmac_f32_e32 v74, v39, v31
	global_load_dwordx2 v[50:51], v[76:77], off offset:2048
	global_load_dwordx2 v[48:49], v[76:77], off offset:2560
	;; [unrolled: 1-line block ×3, first 2 shown]
	s_waitcnt vmcnt(17) lgkmcnt(0)
	v_fmac_f32_e32 v73, v44, v28
	v_fmac_f32_e32 v74, v45, v29
	s_waitcnt vmcnt(16)
	v_fmac_f32_e32 v73, v46, v22
	ds_read_b128 v[32:35], v62 offset:128
	ds_read_b128 v[36:39], v62 offset:144
	v_fmac_f32_e32 v74, v47, v23
	global_load_dwordx2 v[22:23], v[76:77], off offset:3584
	global_load_dwordx2 v[44:45], v[40:41], off
	global_load_dwordx2 v[46:47], v[40:41], off offset:512
	s_waitcnt vmcnt(18) lgkmcnt(1)
	v_fmac_f32_e32 v73, v32, v20
	v_fmac_f32_e32 v74, v33, v21
	s_waitcnt vmcnt(17)
	v_fmac_f32_e32 v73, v34, v26
	v_fmac_f32_e32 v74, v35, v27
	s_waitcnt vmcnt(16) lgkmcnt(0)
	v_fmac_f32_e32 v73, v36, v24
	v_fmac_f32_e32 v74, v37, v25
	ds_read_b128 v[34:37], v62 offset:160
	ds_read_b128 v[76:79], v62 offset:176
	s_waitcnt vmcnt(15)
	v_fmac_f32_e32 v73, v38, v18
	v_fmac_f32_e32 v74, v39, v19
	global_load_dwordx2 v[32:33], v[40:41], off offset:1024
	global_load_dwordx2 v[26:27], v[40:41], off offset:1536
	global_load_dwordx2 v[24:25], v[40:41], off offset:2048
	v_add_co_u32_e64 v20, s[0:1], s48, v2
	s_waitcnt vmcnt(17) lgkmcnt(1)
	v_fmac_f32_e32 v73, v34, v16
	v_fmac_f32_e32 v74, v35, v17
	s_waitcnt vmcnt(16)
	v_fmac_f32_e32 v73, v36, v14
	v_fmac_f32_e32 v74, v37, v15
	ds_read_b128 v[14:17], v62 offset:192
	ds_read_b128 v[80:83], v62 offset:208
	global_load_dwordx2 v[38:39], v[40:41], off offset:2560
	global_load_dwordx2 v[36:37], v[40:41], off offset:3072
	v_addc_co_u32_e64 v21, s[0:1], 0, v3, s[0:1]
	global_load_dwordx2 v[34:35], v[40:41], off offset:3584
	v_add_co_u32_e64 v40, s[0:1], s49, v2
	s_waitcnt vmcnt(18) lgkmcnt(2)
	v_fmac_f32_e32 v73, v76, v12
	v_addc_co_u32_e64 v41, s[0:1], 0, v3, s[0:1]
	global_load_dwordx2 v[18:19], v[40:41], off offset:-4096
	v_fmac_f32_e32 v74, v77, v13
	s_waitcnt vmcnt(18)
	v_fmac_f32_e32 v73, v78, v4
	v_fmac_f32_e32 v74, v79, v5
	v_cmp_lt_i32_e64 s[0:1], v70, v71
	s_waitcnt vmcnt(17) lgkmcnt(1)
	v_fmac_f32_e32 v73, v14, v42
	v_fmac_f32_e32 v74, v15, v43
	global_load_dwordx2 v[14:15], v[20:21], off offset:512
	s_waitcnt vmcnt(16)
	v_fmac_f32_e32 v73, v54, v16
	v_fmac_f32_e32 v74, v55, v17
	s_waitcnt vmcnt(15) lgkmcnt(0)
	v_fmac_f32_e32 v73, v56, v80
	v_fmac_f32_e32 v74, v57, v81
	ds_read_b128 v[2:5], v62 offset:224
	ds_read_b128 v[54:57], v62 offset:240
	global_load_dwordx2 v[16:17], v[20:21], off offset:1024
	global_load_dwordx2 v[12:13], v[20:21], off offset:1536
	s_waitcnt vmcnt(16)
	v_fmac_f32_e32 v73, v52, v82
	v_fmac_f32_e32 v74, v53, v83
	s_waitcnt vmcnt(15) lgkmcnt(1)
	v_fmac_f32_e32 v73, v50, v2
	v_fmac_f32_e32 v74, v51, v3
	s_waitcnt vmcnt(14)
	v_fmac_f32_e32 v73, v48, v4
	v_fmac_f32_e32 v74, v49, v5
	ds_read_b128 v[48:51], v62 offset:256
	ds_read_b128 v[2:5], v62 offset:272
	s_waitcnt vmcnt(13) lgkmcnt(2)
	v_fmac_f32_e32 v73, v30, v54
	v_fmac_f32_e32 v74, v31, v55
	s_waitcnt vmcnt(12)
	v_fmac_f32_e32 v73, v22, v56
	v_fmac_f32_e32 v74, v23, v57
	global_load_dwordx2 v[30:31], v[20:21], off offset:2048
	global_load_dwordx2 v[28:29], v[20:21], off offset:2560
	;; [unrolled: 1-line block ×3, first 2 shown]
	s_nop 0
	global_load_dwordx2 v[20:21], v[20:21], off offset:3584
	s_waitcnt vmcnt(15) lgkmcnt(1)
	v_fmac_f32_e32 v73, v44, v48
	v_fmac_f32_e32 v74, v45, v49
	ds_read_b128 v[52:55], v62 offset:288
	ds_read_b128 v[76:79], v62 offset:304
	global_load_dwordx2 v[48:49], v[40:41], off
	s_waitcnt vmcnt(15)
	v_fmac_f32_e32 v73, v46, v50
	v_fmac_f32_e32 v74, v47, v51
	global_load_dwordx2 v[50:51], v[40:41], off offset:512
	global_load_dwordx2 v[44:45], v[40:41], off offset:1024
	;; [unrolled: 1-line block ×3, first 2 shown]
	s_waitcnt vmcnt(17) lgkmcnt(2)
	v_fmac_f32_e32 v73, v32, v2
	v_fmac_f32_e32 v74, v33, v3
	s_waitcnt vmcnt(16)
	v_fmac_f32_e32 v73, v26, v4
	v_fmac_f32_e32 v74, v27, v5
	s_waitcnt vmcnt(15) lgkmcnt(1)
	v_fmac_f32_e32 v73, v24, v52
	v_fmac_f32_e32 v74, v25, v53
	global_load_dwordx2 v[42:43], v[40:41], off offset:2048
	global_load_dwordx2 v[32:33], v[40:41], off offset:2560
	;; [unrolled: 1-line block ×4, first 2 shown]
	global_load_dwordx2 v[4:5], v[10:11], off
	global_load_dwordx2 v[2:3], v[10:11], off offset:512
	s_waitcnt vmcnt(20)
	v_fmac_f32_e32 v73, v38, v54
	v_fmac_f32_e32 v74, v39, v55
	s_waitcnt vmcnt(19) lgkmcnt(0)
	v_fmac_f32_e32 v73, v36, v76
	v_fmac_f32_e32 v74, v37, v77
	ds_read_b128 v[36:39], v62 offset:320
	ds_read_b128 v[52:55], v62 offset:336
	s_waitcnt vmcnt(18)
	v_fmac_f32_e32 v73, v34, v78
	v_fmac_f32_e32 v74, v35, v79
	global_load_dwordx2 v[34:35], v[10:11], off offset:1024
	s_waitcnt vmcnt(18) lgkmcnt(1)
	v_fmac_f32_e32 v73, v18, v36
	v_fmac_f32_e32 v74, v19, v37
	global_load_dwordx2 v[36:37], v[10:11], off offset:1536
	s_waitcnt vmcnt(18)
	v_fmac_f32_e32 v73, v14, v38
	v_fmac_f32_e32 v74, v15, v39
	global_load_dwordx2 v[18:19], v[10:11], off offset:2048
	global_load_dwordx2 v[14:15], v[10:11], off offset:2560
	s_nop 0
	global_load_dwordx2 v[10:11], v[10:11], off offset:3072
	ds_read_b128 v[38:41], v62 offset:352
	s_waitcnt vmcnt(20) lgkmcnt(1)
	v_fmac_f32_e32 v73, v16, v52
	v_fmac_f32_e32 v74, v17, v53
	s_waitcnt vmcnt(19)
	v_fmac_f32_e32 v73, v12, v54
	v_fmac_f32_e32 v74, v13, v55
	ds_read_b128 v[52:55], v62 offset:368
	v_cndmask_b32_e64 v12, v69, v70, s[0:1]
	v_lshlrev_b32_e32 v12, 2, v12
	s_waitcnt vmcnt(18) lgkmcnt(1)
	v_fmac_f32_e32 v73, v30, v38
	v_fmac_f32_e32 v74, v31, v39
	s_waitcnt vmcnt(17)
	v_fmac_f32_e32 v73, v28, v40
	v_fmac_f32_e32 v74, v29, v41
	ds_read_b128 v[28:31], v62 offset:384
	s_waitcnt vmcnt(16) lgkmcnt(1)
	v_fmac_f32_e32 v73, v22, v52
	v_fmac_f32_e32 v74, v23, v53
	s_waitcnt vmcnt(15)
	v_fmac_f32_e32 v73, v20, v54
	v_fmac_f32_e32 v74, v21, v55
	ds_read_b128 v[20:23], v62 offset:400
	;; [unrolled: 7-line block ×8, first 2 shown]
	s_waitcnt vmcnt(2) lgkmcnt(1)
	v_fmac_f32_e32 v73, v18, v2
	v_fmac_f32_e32 v74, v19, v3
	s_waitcnt vmcnt(1)
	v_fmac_f32_e32 v73, v14, v4
	v_fmac_f32_e32 v74, v15, v5
	s_waitcnt vmcnt(0) lgkmcnt(0)
	v_fmac_f32_e32 v73, v10, v20
	v_fmac_f32_e32 v74, v11, v21
	v_fmac_f32_e32 v73, v8, v22
	v_fmac_f32_e32 v74, v9, v23
	v_add_f32_e32 v2, v73, v74
	ds_bpermute_b32 v3, v12, v2
	s_and_saveexec_b64 s[38:39], vcc
	s_cbranch_execz .LBB44_11
; %bb.17:                               ;   in Loop: Header=BB44_13 Depth=1
	v_add_u32_e32 v4, v67, v65
	v_cvt_f32_i32_e32 v4, v4
	s_waitcnt lgkmcnt(0)
	v_add_f32_e32 v2, v2, v3
	v_add_u32_e32 v5, v61, v65
	v_cmp_gt_i32_e64 s[0:1], s33, v5
	v_mul_f32_e32 v3, s43, v4
	v_cndmask_b32_e64 v3, 0, v3, s[2:3]
	v_fmac_f32_e32 v3, s31, v2
	v_cndmask_b32_e64 v2, 0, v3, s[0:1]
	ds_write_b32 v66, v2
	v_max_f32_e32 v2, v64, v64
	v_max_f32_e32 v2, v2, v3
	v_cndmask_b32_e64 v64, v64, v2, s[0:1]
	s_branch .LBB44_11
.LBB44_18:
	s_or_b64 exec, exec, s[36:37]
.LBB44_19:
	s_or_b64 exec, exec, s[34:35]
	v_mbcnt_hi_u32_b32 v5, -1, v60
	v_and_b32_e32 v0, 64, v5
	v_add_u32_e32 v6, 64, v0
	v_xor_b32_e32 v0, 32, v5
	v_cmp_lt_i32_e32 vcc, v0, v6
	s_waitcnt lgkmcnt(0)
	v_xor_b32_e32 v3, 16, v5
	v_max_f32_e32 v2, v64, v64
	v_cndmask_b32_e32 v0, v5, v0, vcc
	v_lshlrev_b32_e32 v0, 2, v0
	ds_bpermute_b32 v1, v0, v64
	v_cmp_lt_i32_e32 vcc, v3, v6
	v_xor_b32_e32 v4, 8, v5
	v_xor_b32_e32 v7, 4, v5
	v_and_b32_e32 v44, 63, v75
	s_waitcnt lgkmcnt(0)
	v_max_f32_e32 v1, v1, v1
	v_max_f32_e32 v2, v2, v1
	v_cndmask_b32_e32 v1, v5, v3, vcc
	v_lshlrev_b32_e32 v1, 2, v1
	ds_bpermute_b32 v3, v1, v2
	v_cmp_lt_i32_e32 vcc, v4, v6
	s_waitcnt lgkmcnt(0)
	v_max_f32_e32 v3, v3, v3
	v_max_f32_e32 v3, v2, v3
	v_cndmask_b32_e32 v2, v5, v4, vcc
	v_lshlrev_b32_e32 v2, 2, v2
	ds_bpermute_b32 v4, v2, v3
	v_cmp_lt_i32_e32 vcc, v7, v6
	s_waitcnt lgkmcnt(0)
	v_max_f32_e32 v4, v4, v4
	v_max_f32_e32 v3, v3, v4
	v_cndmask_b32_e32 v4, v5, v7, vcc
	v_lshlrev_b32_e32 v37, 2, v4
	ds_bpermute_b32 v4, v37, v3
	v_xor_b32_e32 v7, 2, v5
	v_cmp_lt_i32_e32 vcc, v7, v6
	s_waitcnt lgkmcnt(0)
	v_max_f32_e32 v4, v4, v4
	v_max_f32_e32 v4, v3, v4
	v_cndmask_b32_e32 v3, v5, v7, vcc
	v_lshlrev_b32_e32 v43, 2, v3
	ds_bpermute_b32 v7, v43, v4
	v_lshrrev_b32_e32 v3, 6, v75
	v_cmp_eq_u32_e32 vcc, 0, v44
	v_lshlrev_b32_e32 v3, 2, v3
	s_and_saveexec_b64 s[0:1], vcc
	s_cbranch_execz .LBB44_21
; %bb.20:
	s_waitcnt lgkmcnt(0)
	v_max_f32_e32 v7, v7, v7
	v_max_f32_e32 v4, v4, v4
	;; [unrolled: 1-line block ×3, first 2 shown]
	ds_write_b32 v3, v4 offset:1024
.LBB44_21:
	s_or_b64 exec, exec, s[0:1]
	v_cmp_gt_u32_e64 s[0:1], 2, v44
	s_waitcnt lgkmcnt(0)
	v_mov_b32_e32 v7, 0xff7fffff
	v_lshlrev_b32_e32 v4, 2, v44
	s_barrier
	s_and_saveexec_b64 s[2:3], s[0:1]
	s_cbranch_execz .LBB44_23
; %bb.22:
	ds_read_b32 v7, v4 offset:1024
.LBB44_23:
	s_or_b64 exec, exec, s[2:3]
	v_xor_b32_e32 v8, 1, v5
	v_cmp_lt_i32_e64 s[2:3], v8, v6
	s_nop 1
	v_cndmask_b32_e64 v6, v5, v8, s[2:3]
	v_lshlrev_b32_e32 v45, 2, v6
	s_waitcnt lgkmcnt(0)
	ds_bpermute_b32 v6, v45, v7
	v_max_f32_e32 v7, v7, v7
	v_lshlrev_b32_e32 v5, 2, v5
	v_and_b32_e32 v5, 0x100, v5
	s_lshl_b32 s2, s42, 5
	s_waitcnt lgkmcnt(0)
	v_max_f32_e32 v6, v6, v6
	v_max_f32_e32 v6, v7, v6
	ds_bpermute_b32 v7, v5, v6
	s_min_i32 s15, s2, s33
	v_cmp_gt_i32_e64 s[2:3], s15, v75
	v_mov_b32_e32 v6, 0
	s_and_saveexec_b64 s[30:31], s[2:3]
	s_cbranch_execz .LBB44_27
; %bb.24:
	v_mov_b32_e32 v6, 0x410
	v_lshl_add_u32 v8, v75, 2, v6
	s_mov_b64 s[34:35], 0
	v_mov_b32_e32 v6, 0
	v_mov_b32_e32 v9, v75
.LBB44_25:                              ; =>This Inner Loop Header: Depth=1
	ds_read_b32 v10, v8
	v_add_u32_e32 v9, 0x80, v9
	v_cmp_le_i32_e64 s[8:9], s15, v9
	s_or_b64 s[34:35], s[8:9], s[34:35]
	s_waitcnt lgkmcnt(0)
	v_sub_f32_e32 v10, v10, v7
	v_mul_f32_e32 v10, 0x3fb8aa3b, v10
	v_exp_f32_e32 v10, v10
	ds_write_b32 v8, v10
	v_add_f32_e32 v6, v6, v10
	v_add_u32_e32 v8, 0x200, v8
	s_andn2_b64 exec, exec, s[34:35]
	s_cbranch_execnz .LBB44_25
; %bb.26:
	s_or_b64 exec, exec, s[34:35]
.LBB44_27:
	s_or_b64 exec, exec, s[30:31]
	ds_bpermute_b32 v0, v0, v6
	s_waitcnt lgkmcnt(0)
	v_add_f32_e32 v0, v6, v0
	ds_bpermute_b32 v1, v1, v0
	s_waitcnt lgkmcnt(0)
	v_add_f32_e32 v0, v0, v1
	;; [unrolled: 3-line block ×6, first 2 shown]
	s_and_saveexec_b64 s[8:9], vcc
	s_cbranch_execz .LBB44_29
; %bb.28:
	ds_write_b32 v3, v0 offset:1032
.LBB44_29:
	s_or_b64 exec, exec, s[8:9]
	s_waitcnt lgkmcnt(0)
	s_barrier
	s_and_saveexec_b64 s[8:9], s[0:1]
	s_cbranch_execz .LBB44_31
; %bb.30:
	ds_read_b32 v0, v4 offset:1032
.LBB44_31:
	s_or_b64 exec, exec, s[8:9]
	s_waitcnt lgkmcnt(0)
	ds_bpermute_b32 v1, v45, v0
	s_waitcnt lgkmcnt(0)
	v_add_f32_e32 v0, v0, v1
	ds_bpermute_b32 v0, v5, v0
	s_and_saveexec_b64 s[0:1], s[2:3]
	s_cbranch_execz .LBB44_44
; %bb.32:
	s_waitcnt lgkmcnt(0)
	v_add_f32_e32 v0, 0x358637bd, v0
	v_div_scale_f32 v1, s[2:3], v0, v0, 1.0
	v_rcp_f32_e32 v2, v1
	v_div_scale_f32 v3, vcc, 1.0, v0, 1.0
	s_movk_i32 s2, 0x7f
	v_fma_f32 v4, -v1, v2, 1.0
	v_fmac_f32_e32 v2, v4, v2
	v_mul_f32_e32 v4, v3, v2
	v_fma_f32 v5, -v1, v4, v3
	v_fmac_f32_e32 v4, v5, v2
	v_fma_f32 v1, -v1, v4, v3
	v_div_fmas_f32 v1, v1, v2, v4
	v_xad_u32 v2, v75, -1, s15
	v_div_fixup_f32 v0, v1, v0, 1.0
	v_cmp_lt_u32_e32 vcc, s2, v2
	s_mov_b64 s[8:9], -1
	v_mov_b32_e32 v1, v75
	s_and_saveexec_b64 s[2:3], vcc
	s_cbranch_execz .LBB44_41
; %bb.33:
	v_lshrrev_b32_e32 v2, 7, v2
	v_add_u32_e32 v4, -1, v2
	v_lshrrev_b32_e32 v3, 1, v4
	v_mov_b32_e32 v1, v0
	v_add_u32_e32 v3, 1, v3
	v_cmp_lt_u32_e32 vcc, 13, v4
	v_mov_b32_e32 v6, 0
	s_and_saveexec_b64 s[8:9], vcc
	s_cbranch_execz .LBB44_37
; %bb.34:
	v_mov_b32_e32 v5, 0x410
	v_and_b32_e32 v4, -8, v3
	v_lshl_add_u32 v5, v75, 2, v5
	s_mov_b32 s19, 0
	s_mov_b64 s[30:31], 0
.LBB44_35:                              ; =>This Inner Loop Header: Depth=1
	ds_read2st64_b32 v[6:7], v5 offset1:2
	ds_read2st64_b32 v[8:9], v5 offset0:4 offset1:6
	ds_read2st64_b32 v[10:11], v5 offset0:8 offset1:10
	;; [unrolled: 1-line block ×3, first 2 shown]
	v_add_u32_e32 v4, -8, v4
	s_waitcnt lgkmcnt(3)
	v_pk_mul_f32 v[6:7], v[0:1], v[6:7]
	s_waitcnt lgkmcnt(2)
	v_pk_mul_f32 v[8:9], v[0:1], v[8:9]
	ds_write2st64_b32 v5, v6, v7 offset1:2
	ds_write2st64_b32 v5, v8, v9 offset0:4 offset1:6
	ds_read2st64_b32 v[8:9], v5 offset0:16 offset1:18
	s_waitcnt lgkmcnt(4)
	v_pk_mul_f32 v[6:7], v[0:1], v[10:11]
	ds_write2st64_b32 v5, v6, v7 offset0:8 offset1:10
	s_waitcnt lgkmcnt(4)
	v_pk_mul_f32 v[6:7], v[0:1], v[12:13]
	ds_write2st64_b32 v5, v6, v7 offset0:12 offset1:14
	ds_read2st64_b32 v[6:7], v5 offset0:20 offset1:22
	s_waitcnt lgkmcnt(3)
	v_pk_mul_f32 v[8:9], v[0:1], v[8:9]
	ds_read2st64_b32 v[10:11], v5 offset0:24 offset1:26
	ds_write2st64_b32 v5, v8, v9 offset0:16 offset1:18
	ds_read2st64_b32 v[8:9], v5 offset0:28 offset1:30
	s_waitcnt lgkmcnt(3)
	v_pk_mul_f32 v[6:7], v[0:1], v[6:7]
	ds_write2st64_b32 v5, v6, v7 offset0:20 offset1:22
	s_waitcnt lgkmcnt(3)
	v_pk_mul_f32 v[6:7], v[0:1], v[10:11]
	ds_write2st64_b32 v5, v6, v7 offset0:24 offset1:26
	s_waitcnt lgkmcnt(2)
	v_pk_mul_f32 v[6:7], v[0:1], v[8:9]
	s_add_i32 s19, s19, 16
	v_cmp_eq_u32_e32 vcc, 0, v4
	ds_write2st64_b32 v5, v6, v7 offset0:28 offset1:30
	v_add_u32_e32 v5, 0x2000, v5
	s_or_b64 s[30:31], vcc, s[30:31]
	v_mov_b32_e32 v6, s19
	s_andn2_b64 exec, exec, s[30:31]
	s_cbranch_execnz .LBB44_35
; %bb.36:
	s_or_b64 exec, exec, s[30:31]
.LBB44_37:
	s_or_b64 exec, exec, s[8:9]
	v_and_b32_e32 v3, 7, v3
	v_cmp_ne_u32_e32 vcc, 0, v3
	s_and_saveexec_b64 s[8:9], vcc
	s_cbranch_execz .LBB44_40
; %bb.38:
	v_lshlrev_b32_e32 v4, 9, v6
	s_movk_i32 s19, 0x410
	v_add3_u32 v4, v4, v58, s19
	s_mov_b64 s[30:31], 0
.LBB44_39:                              ; =>This Inner Loop Header: Depth=1
	ds_read2st64_b32 v[6:7], v4 offset1:2
	v_add_u32_e32 v3, -1, v3
	v_cmp_eq_u32_e32 vcc, 0, v3
	s_or_b64 s[30:31], vcc, s[30:31]
	s_waitcnt lgkmcnt(0)
	v_pk_mul_f32 v[6:7], v[0:1], v[6:7]
	ds_write2st64_b32 v4, v6, v7 offset1:2
	v_add_u32_e32 v4, 0x400, v4
	s_andn2_b64 exec, exec, s[30:31]
	s_cbranch_execnz .LBB44_39
.LBB44_40:
	s_or_b64 exec, exec, s[8:9]
	v_add_u32_e32 v2, 1, v2
	v_and_b32_e32 v3, 0x3fffffe, v2
	v_cmp_ne_u32_e32 vcc, v2, v3
	v_lshl_add_u32 v1, v3, 7, v75
	s_orn2_b64 s[8:9], vcc, exec
.LBB44_41:
	s_or_b64 exec, exec, s[2:3]
	s_and_b64 exec, exec, s[8:9]
	s_cbranch_execz .LBB44_44
; %bb.42:
	v_mov_b32_e32 v2, 0x410
	v_lshl_add_u32 v2, v1, 2, v2
	s_mov_b64 s[2:3], 0
.LBB44_43:                              ; =>This Inner Loop Header: Depth=1
	ds_read_b32 v3, v2
	v_add_u32_e32 v1, 0x80, v1
	v_cmp_le_i32_e32 vcc, s15, v1
	s_or_b64 s[2:3], vcc, s[2:3]
	s_waitcnt lgkmcnt(0)
	v_mul_f32_e32 v3, v0, v3
	ds_write_b32 v2, v3
	v_add_u32_e32 v2, 0x200, v2
	s_andn2_b64 exec, exec, s[2:3]
	s_cbranch_execnz .LBB44_43
.LBB44_44:
	s_or_b64 exec, exec, s[0:1]
	v_mov_b32_e32 v4, 0
	s_waitcnt lgkmcnt(0)
	v_and_b32_e32 v0, 7, v75
	v_mov_b32_e32 v5, 0
	v_mov_b32_e32 v6, 0
	;; [unrolled: 1-line block ×31, first 2 shown]
	s_barrier
	scratch_store_dword off, v0, off offset:428 ; 4-byte Folded Spill
	s_and_saveexec_b64 s[2:3], s[6:7]
	s_cbranch_execz .LBB44_114
; %bb.45:
	s_ashr_i32 s19, s18, 31
	s_sub_i32 s30, s12, s13
	s_lshl_b64 s[0:1], s[18:19], 2
	s_add_u32 s6, s28, s0
	v_and_b32_e32 v0, 28, v58
	s_addc_u32 s7, s29, s1
	s_abs_i32 s19, s14
	scratch_store_dword off, v45, off offset:448 ; 4-byte Folded Spill
	scratch_store_dword off, v37, off offset:444 ; 4-byte Folded Spill
	;; [unrolled: 1-line block ×6, first 2 shown]
	v_cvt_f32_u32_e32 v0, s19
	s_sub_i32 s0, 0, s19
	s_add_i32 s18, s42, -1
	v_mov_b32_e32 v1, 0
	v_rcp_iflag_f32_e32 v0, v0
	v_and_b32_e32 v2, 0xfc, v58
	v_or_b32_e32 v6, 0x500, v2
	v_or_b32_e32 v4, 0x400, v2
	v_mul_f32_e32 v0, 0x4f7ffffe, v0
	v_cvt_u32_f32_e32 v0, v0
	v_or_b32_e32 v8, 0x600, v2
	v_or_b32_e32 v10, 0x700, v2
	;; [unrolled: 1-line block ×3, first 2 shown]
	v_mul_lo_u32 v3, s0, v0
	v_mul_hi_u32 v3, v0, v3
	s_lshl_b64 s[0:1], s[26:27], 2
	v_add_u32_e32 v0, v0, v3
	s_add_u32 s0, s24, s0
	scratch_store_dword off, v0, off offset:180 ; 4-byte Folded Spill
	v_and_b32_e32 v0, 60, v59
	s_addc_u32 s1, s25, s1
	v_lshl_add_u64 v[126:127], s[0:1], 0, v[0:1]
	scratch_load_dword v0, off, off offset:428 ; 4-byte Folded Reload
	scratch_load_dword v3, off, off         ; 4-byte Folded Reload
	v_or_b32_e32 v16, 0x900, v2
	v_or_b32_e32 v18, 0xa00, v2
	;; [unrolled: 1-line block ×23, first 2 shown]
	s_mov_b64 s[8:9], 0
	v_mov_b32_e32 v17, v1
	v_mov_b32_e32 v9, v1
	s_waitcnt vmcnt(1)
	v_lshlrev_b32_e32 v0, 4, v0
	s_waitcnt vmcnt(0)
	v_lshl_or_b32 v0, v3, 7, v0
	v_add_u32_e32 v14, 0x410, v0
	v_lshlrev_b32_e32 v0, 2, v2
	v_lshlrev_b32_e32 v2, 2, v6
	scratch_store_dwordx2 off, v[2:3], off offset:192 ; 8-byte Folded Spill
	v_lshlrev_b32_e32 v2, 2, v8
	scratch_store_dwordx2 off, v[2:3], off offset:200 ; 8-byte Folded Spill
	;; [unrolled: 2-line block ×28, first 2 shown]
	v_mov_b32_e32 v3, v1
	v_mov_b32_e32 v2, v1
	;; [unrolled: 1-line block ×4, first 2 shown]
	scratch_store_dwordx2 off, v[2:3], off offset:68 ; 8-byte Folded Spill
	scratch_store_dwordx2 off, v[2:3], off offset:76 ; 8-byte Folded Spill
	scratch_store_dwordx2 off, v[2:3], off offset:84 ; 8-byte Folded Spill
	scratch_store_dwordx2 off, v[2:3], off offset:92 ; 8-byte Folded Spill
	scratch_store_dwordx2 off, v[2:3], off offset:100 ; 8-byte Folded Spill
	scratch_store_dwordx2 off, v[2:3], off offset:108 ; 8-byte Folded Spill
	scratch_store_dwordx2 off, v[2:3], off offset:116 ; 8-byte Folded Spill
	scratch_store_dwordx2 off, v[2:3], off offset:124 ; 8-byte Folded Spill
	scratch_store_dwordx2 off, v[2:3], off offset:132 ; 8-byte Folded Spill
	scratch_store_dwordx2 off, v[2:3], off offset:140 ; 8-byte Folded Spill
	scratch_store_dwordx2 off, v[2:3], off offset:148 ; 8-byte Folded Spill
	scratch_store_dwordx2 off, v[2:3], off offset:156 ; 8-byte Folded Spill
	scratch_store_dwordx2 off, v[2:3], off offset:164 ; 8-byte Folded Spill
	scratch_store_dwordx2 off, v[2:3], off offset:172 ; 8-byte Folded Spill
	s_branch .LBB44_48
.LBB44_46:                              ;   in Loop: Header=BB44_48 Depth=1
	s_or_b64 exec, exec, s[0:1]
	s_waitcnt lgkmcnt(0)
	v_mul_f32_e32 v17, v3, v87
	v_fmac_f32_e32 v17, v2, v86
	scratch_load_dwordx2 v[20:21], off, off offset:68 ; 8-byte Folded Reload
	scratch_load_dwordx2 v[86:87], off, off offset:76 ; 8-byte Folded Reload
	v_mul_f32_e32 v7, v3, v7
	v_fmac_f32_e32 v7, v2, v6
	v_mul_f32_e32 v6, v3, v123
	v_fmac_f32_e32 v6, v2, v122
	v_fmac_f32_e32 v7, v4, v8
	;; [unrolled: 1-line block ×5, first 2 shown]
	v_mul_f32_e32 v8, v3, v119
	v_mul_f32_e32 v9, v3, v115
	v_fmac_f32_e32 v8, v2, v118
	v_fmac_f32_e32 v9, v2, v114
	;; [unrolled: 1-line block ×6, first 2 shown]
	v_mul_f32_e32 v11, v3, v11
	v_fmac_f32_e32 v11, v2, v10
	v_fmac_f32_e32 v11, v4, v12
	v_mul_f32_e32 v10, v3, v111
	v_mul_f32_e32 v12, v3, v103
	v_fmac_f32_e32 v10, v2, v110
	v_fmac_f32_e32 v12, v2, v102
	;; [unrolled: 1-line block ×7, first 2 shown]
	v_mul_f32_e32 v13, v3, v99
	v_mul_f32_e32 v15, v3, v95
	v_fmac_f32_e32 v13, v2, v98
	v_fmac_f32_e32 v15, v2, v94
	;; [unrolled: 1-line block ×6, first 2 shown]
	v_mul_f32_e32 v16, v3, v91
	v_fmac_f32_e32 v16, v2, v90
	v_fmac_f32_e32 v16, v4, v92
	;; [unrolled: 1-line block ×5, first 2 shown]
	s_waitcnt vmcnt(1)
	v_add_f32_e32 v20, v20, v11
	s_waitcnt vmcnt(0)
	v_add_f32_e32 v87, v87, v7
	v_add_f32_e32 v86, v86, v6
	scratch_load_dwordx2 v[6:7], off, off offset:84 ; 8-byte Folded Reload
	s_waitcnt vmcnt(0)
	v_add_f32_e32 v7, v7, v8
	v_add_f32_e32 v6, v6, v9
	scratch_store_dwordx2 off, v[6:7], off offset:84 ; 8-byte Folded Spill
	scratch_load_dwordx2 v[6:7], off, off offset:92 ; 8-byte Folded Reload
	s_nop 0
	scratch_load_dwordx2 v[8:9], off, off offset:116 ; 8-byte Folded Reload
	s_waitcnt vmcnt(1)
	v_add_f32_e32 v7, v7, v10
	v_add_f32_e32 v6, v6, v12
	scratch_store_dwordx2 off, v[6:7], off offset:92 ; 8-byte Folded Spill
	scratch_load_dwordx2 v[6:7], off, off offset:100 ; 8-byte Folded Reload
	s_waitcnt vmcnt(0)
	v_add_f32_e32 v7, v7, v13
	v_add_f32_e32 v6, v6, v15
	scratch_store_dwordx2 off, v[6:7], off offset:100 ; 8-byte Folded Spill
	;; [unrolled: 5-line block ×3, first 2 shown]
	v_mul_f32_e32 v6, v3, v83
	v_fmac_f32_e32 v6, v2, v82
	v_fmac_f32_e32 v6, v4, v84
	;; [unrolled: 1-line block ×3, first 2 shown]
	v_add_f32_e32 v9, v9, v6
	v_mul_f32_e32 v6, v3, v79
	v_fmac_f32_e32 v6, v2, v78
	v_fmac_f32_e32 v6, v4, v80
	;; [unrolled: 1-line block ×3, first 2 shown]
	v_add_f32_e32 v8, v8, v6
	scratch_store_dwordx2 off, v[8:9], off offset:116 ; 8-byte Folded Spill
	scratch_load_dwordx2 v[8:9], off, off offset:124 ; 8-byte Folded Reload
	v_mul_f32_e32 v6, v3, v75
	scratch_load_dwordx2 v[16:17], off, off offset:408 ; 8-byte Folded Reload
	v_fmac_f32_e32 v6, v2, v74
	v_fmac_f32_e32 v6, v4, v76
	;; [unrolled: 1-line block ×3, first 2 shown]
	scratch_load_dwordx4 v[10:13], off, off offset:52 ; 16-byte Folded Reload
	s_waitcnt vmcnt(2)
	v_add_f32_e32 v9, v9, v6
	v_mul_f32_e32 v6, v3, v71
	v_fmac_f32_e32 v6, v2, v70
	v_fmac_f32_e32 v6, v4, v72
	;; [unrolled: 1-line block ×3, first 2 shown]
	v_add_f32_e32 v8, v8, v6
	scratch_store_dwordx2 off, v[8:9], off offset:124 ; 8-byte Folded Spill
	scratch_load_dwordx2 v[8:9], off, off offset:132 ; 8-byte Folded Reload
	v_mul_f32_e32 v6, v3, v67
	v_fmac_f32_e32 v6, v2, v66
	v_fmac_f32_e32 v6, v4, v68
	;; [unrolled: 1-line block ×3, first 2 shown]
	scratch_store_dwordx2 off, v[86:87], off offset:76 ; 8-byte Folded Spill
	s_waitcnt vmcnt(1)
	v_add_f32_e32 v9, v9, v6
	v_mul_f32_e32 v6, v3, v63
	v_fmac_f32_e32 v6, v2, v62
	v_fmac_f32_e32 v6, v4, v64
	;; [unrolled: 1-line block ×3, first 2 shown]
	v_add_f32_e32 v8, v8, v6
	scratch_store_dwordx2 off, v[8:9], off offset:132 ; 8-byte Folded Spill
	scratch_load_dwordx2 v[8:9], off, off offset:140 ; 8-byte Folded Reload
	v_mul_f32_e32 v6, v3, v59
	v_fmac_f32_e32 v6, v2, v58
	v_fmac_f32_e32 v6, v4, v60
	;; [unrolled: 1-line block ×3, first 2 shown]
	s_waitcnt vmcnt(0)
	v_add_f32_e32 v9, v9, v6
	v_mul_f32_e32 v6, v3, v55
	v_fmac_f32_e32 v6, v2, v54
	v_fmac_f32_e32 v6, v4, v56
	;; [unrolled: 1-line block ×3, first 2 shown]
	v_add_f32_e32 v8, v8, v6
	scratch_store_dwordx2 off, v[8:9], off offset:140 ; 8-byte Folded Spill
	scratch_load_dwordx2 v[8:9], off, off offset:148 ; 8-byte Folded Reload
	v_mul_f32_e32 v6, v3, v51
	v_fmac_f32_e32 v6, v2, v50
	v_fmac_f32_e32 v6, v4, v52
	v_fmac_f32_e32 v6, v5, v53
	v_add_f32_e32 v17, v17, v6
	v_mul_f32_e32 v6, v3, v47
	v_fmac_f32_e32 v6, v2, v46
	v_fmac_f32_e32 v6, v4, v48
	v_fmac_f32_e32 v6, v5, v49
	v_add_f32_e32 v16, v16, v6
	v_mul_f32_e32 v6, v3, v43
	v_fmac_f32_e32 v6, v2, v42
	v_fmac_f32_e32 v6, v4, v44
	;; [unrolled: 1-line block ×3, first 2 shown]
	s_waitcnt vmcnt(0)
	v_add_f32_e32 v9, v9, v6
	v_mul_f32_e32 v6, v3, v39
	v_fmac_f32_e32 v6, v2, v38
	v_fmac_f32_e32 v6, v4, v40
	;; [unrolled: 1-line block ×3, first 2 shown]
	v_add_f32_e32 v8, v8, v6
	scratch_store_dwordx2 off, v[8:9], off offset:148 ; 8-byte Folded Spill
	scratch_load_dwordx2 v[8:9], off, off offset:156 ; 8-byte Folded Reload
	v_mul_f32_e32 v6, v3, v35
	v_fmac_f32_e32 v6, v2, v34
	v_fmac_f32_e32 v6, v4, v36
	v_fmac_f32_e32 v6, v5, v37
	s_waitcnt vmcnt(0)
	v_add_f32_e32 v9, v9, v6
	v_mul_f32_e32 v6, v3, v31
	v_fmac_f32_e32 v6, v2, v30
	v_fmac_f32_e32 v6, v4, v32
	;; [unrolled: 1-line block ×3, first 2 shown]
	v_add_f32_e32 v8, v8, v6
	scratch_store_dwordx2 off, v[8:9], off offset:156 ; 8-byte Folded Spill
	scratch_load_dwordx2 v[8:9], off, off offset:416 ; 8-byte Folded Reload
	v_mul_f32_e32 v6, v3, v27
	v_fmac_f32_e32 v6, v2, v26
	v_fmac_f32_e32 v6, v4, v28
	;; [unrolled: 1-line block ×3, first 2 shown]
	s_waitcnt vmcnt(0)
	v_add_f32_e32 v9, v9, v6
	v_mul_f32_e32 v6, v3, v23
	v_fmac_f32_e32 v6, v2, v22
	v_fmac_f32_e32 v6, v4, v24
	;; [unrolled: 1-line block ×3, first 2 shown]
	scratch_load_dwordx4 v[22:25], off, off offset:36 ; 16-byte Folded Reload
	v_add_f32_e32 v8, v8, v6
	v_mul_f32_e32 v6, v3, v11
	v_fmac_f32_e32 v6, v2, v10
	scratch_load_dwordx2 v[10:11], off, off offset:164 ; 8-byte Folded Reload
	v_fmac_f32_e32 v6, v4, v12
	v_fmac_f32_e32 v6, v5, v13
	s_waitcnt vmcnt(0)
	v_add_f32_e32 v11, v11, v6
	v_mul_f32_e32 v6, v3, v23
	v_fmac_f32_e32 v6, v2, v22
	v_fmac_f32_e32 v6, v4, v24
	v_fmac_f32_e32 v6, v5, v25
	v_add_f32_e32 v10, v10, v6
	scratch_store_dwordx2 off, v[10:11], off offset:164 ; 8-byte Folded Spill
	scratch_load_dwordx4 v[10:13], off, off offset:20 ; 16-byte Folded Reload
	s_nop 0
	scratch_load_dwordx4 v[22:25], off, off offset:4 ; 16-byte Folded Reload
	s_waitcnt vmcnt(1)
	v_mul_f32_e32 v6, v3, v11
	v_fmac_f32_e32 v6, v2, v10
	scratch_load_dwordx2 v[10:11], off, off offset:172 ; 8-byte Folded Reload
	v_fmac_f32_e32 v6, v4, v12
	v_fmac_f32_e32 v6, v5, v13
	s_waitcnt vmcnt(0)
	v_add_f32_e32 v11, v11, v6
	v_mul_f32_e32 v6, v3, v23
	v_mul_f32_e32 v3, v3, v107
	v_fmac_f32_e32 v6, v2, v22
	v_fmac_f32_e32 v3, v2, v106
	;; [unrolled: 1-line block ×6, first 2 shown]
	v_add_f32_e32 v10, v10, v6
	v_add_f32_e32 v21, v21, v3
	scratch_store_dwordx2 off, v[10:11], off offset:172 ; 8-byte Folded Spill
	scratch_store_dwordx2 off, v[20:21], off offset:68 ; 8-byte Folded Spill
.LBB44_47:                              ;   in Loop: Header=BB44_48 Depth=1
	s_or_b64 exec, exec, s[12:13]
	scratch_load_dword v2, off, off         ; 4-byte Folded Reload
	v_mov_b32_e32 v84, v19
	v_lshl_add_u64 v[126:127], v[126:127], 0, 8
	v_add_u32_e32 v84, 64, v84
	v_add_u32_e32 v14, 0x100, v14
	s_waitcnt vmcnt(0)
	v_add_u32_e32 v2, 2, v2
	v_cmp_le_i32_e32 vcc, s42, v2
	s_or_b64 s[8:9], vcc, s[8:9]
	scratch_store_dword off, v2, off        ; 4-byte Folded Spill
	s_andn2_b64 exec, exec, s[8:9]
	s_cbranch_execz .LBB44_113
.LBB44_48:                              ; =>This Inner Loop Header: Depth=1
	v_mul_hi_u32 v2, v84, s21
	v_mul_lo_u32 v3, v2, s16
	v_sub_u32_e32 v3, v84, v3
	v_add_u32_e32 v4, 1, v2
	v_cmp_le_u32_e32 vcc, s16, v3
	v_mov_b32_e32 v19, v84
	s_nop 0
	v_cndmask_b32_e32 v2, v2, v4, vcc
	v_subrev_u32_e32 v4, s16, v3
	v_cndmask_b32_e32 v3, v3, v4, vcc
	v_add_u32_e32 v4, 1, v2
	v_cmp_le_u32_e32 vcc, s16, v3
	s_nop 1
	v_cndmask_b32_e32 v2, v2, v4, vcc
	v_xor_b32_e32 v2, s41, v2
	v_subrev_u32_e32 v2, s41, v2
	v_add_u32_e32 v3, s40, v2
	v_sub_u32_e32 v5, 0, v3
	v_ashrrev_i32_e32 v4, 31, v3
	v_max_i32_e32 v3, v3, v5
	scratch_load_dword v5, off, off offset:180 ; 4-byte Folded Reload
	v_cmp_lt_i32_e64 s[0:1], s30, v2
	s_waitcnt vmcnt(0)
	v_mul_hi_u32 v5, v3, v5
	v_mul_lo_u32 v5, v5, s19
	v_sub_u32_e32 v3, v3, v5
	v_subrev_u32_e32 v5, s19, v3
	v_cmp_le_u32_e32 vcc, s19, v3
	s_nop 1
	v_cndmask_b32_e32 v3, v3, v5, vcc
	v_subrev_u32_e32 v5, s19, v3
	v_cmp_le_u32_e32 vcc, s19, v3
	s_nop 1
	v_cndmask_b32_e32 v3, v3, v5, vcc
	v_xor_b32_e32 v3, v3, v4
	v_sub_u32_e32 v3, v3, v4
	v_cmp_eq_u32_e32 vcc, 0, v3
	s_or_b64 s[0:1], vcc, s[0:1]
	s_and_saveexec_b64 s[12:13], s[0:1]
	s_cbranch_execz .LBB44_47
; %bb.49:                               ;   in Loop: Header=BB44_48 Depth=1
	scratch_store_dwordx2 off, v[8:9], off offset:416 ; 8-byte Folded Spill
	scratch_store_dwordx2 off, v[16:17], off offset:408 ; 8-byte Folded Spill
	global_load_dword v2, v[126:127], off
	s_waitcnt vmcnt(0)
	v_mad_i64_i32 v[2:3], s[0:1], v2, s17, 0
	v_lshl_add_u64 v[106:107], v[2:3], 2, s[6:7]
	scratch_load_dwordx2 v[2:3], off, off offset:184 ; 8-byte Folded Reload
	scratch_load_dword v8, off, off         ; 4-byte Folded Reload
	s_waitcnt vmcnt(1)
	v_mov_b32_e32 v3, v1
	v_mov_b32_e32 v4, v2
	v_lshl_add_u64 v[6:7], v[106:107], 0, v[2:3]
	scratch_store_dwordx2 off, v[4:5], off offset:184 ; 8-byte Folded Spill
	global_load_dwordx4 v[2:5], v[6:7], off
	s_waitcnt vmcnt(2)
	v_cmp_eq_u32_e32 vcc, s18, v8
	s_waitcnt vmcnt(0)
	scratch_store_dwordx4 off, v[2:5], off offset:4 ; 16-byte Folded Spill
	scratch_load_dword v2, off, off offset:424 ; 4-byte Folded Reload
	s_waitcnt vmcnt(0)
	v_add_u32_e32 v15, v2, v19
	ds_read_b128 v[2:5], v14
	v_add_u32_e32 v18, 1, v15
	v_add_u32_e32 v17, 2, v15
	;; [unrolled: 1-line block ×3, first 2 shown]
	s_and_saveexec_b64 s[14:15], vcc
	s_cbranch_execz .LBB44_51
; %bb.50:                               ;   in Loop: Header=BB44_48 Depth=1
	scratch_load_dwordx4 v[8:11], off, off offset:4 ; 16-byte Folded Reload
	v_cmp_gt_i32_e64 s[0:1], s33, v15
	s_waitcnt vmcnt(0)
	s_nop 0
	v_cndmask_b32_e64 v8, 0, v8, s[0:1]
	v_cmp_gt_i32_e64 s[0:1], s33, v18
	s_nop 1
	v_cndmask_b32_e64 v9, 0, v9, s[0:1]
	v_cmp_gt_i32_e64 s[0:1], s33, v17
	s_nop 1
	v_cndmask_b32_e64 v10, 0, v10, s[0:1]
	v_cmp_gt_i32_e64 s[0:1], s33, v16
	s_nop 1
	v_cndmask_b32_e64 v11, 0, v11, s[0:1]
	scratch_store_dwordx4 off, v[8:11], off offset:4 ; 16-byte Folded Spill
.LBB44_51:                              ;   in Loop: Header=BB44_48 Depth=1
	s_or_b64 exec, exec, s[14:15]
	global_load_dwordx4 v[8:11], v[6:7], off offset:1024
	s_waitcnt vmcnt(0)
	scratch_store_dwordx4 off, v[8:11], off offset:20 ; 16-byte Folded Spill
	s_and_saveexec_b64 s[14:15], vcc
	s_cbranch_execz .LBB44_53
; %bb.52:                               ;   in Loop: Header=BB44_48 Depth=1
	scratch_load_dwordx4 v[8:11], off, off offset:20 ; 16-byte Folded Reload
	v_cmp_gt_i32_e64 s[0:1], s33, v15
	s_waitcnt vmcnt(0)
	s_nop 0
	v_cndmask_b32_e64 v8, 0, v8, s[0:1]
	v_cmp_gt_i32_e64 s[0:1], s33, v18
	s_nop 1
	v_cndmask_b32_e64 v9, 0, v9, s[0:1]
	v_cmp_gt_i32_e64 s[0:1], s33, v17
	s_nop 1
	v_cndmask_b32_e64 v10, 0, v10, s[0:1]
	v_cmp_gt_i32_e64 s[0:1], s33, v16
	s_nop 1
	v_cndmask_b32_e64 v11, 0, v11, s[0:1]
	scratch_store_dwordx4 off, v[8:11], off offset:20 ; 16-byte Folded Spill
.LBB44_53:                              ;   in Loop: Header=BB44_48 Depth=1
	s_or_b64 exec, exec, s[14:15]
	global_load_dwordx4 v[8:11], v[6:7], off offset:2048
	s_waitcnt vmcnt(0)
	scratch_store_dwordx4 off, v[8:11], off offset:36 ; 16-byte Folded Spill
	;; [unrolled: 23-line block ×3, first 2 shown]
	s_and_saveexec_b64 s[14:15], vcc
	s_cbranch_execz .LBB44_57
; %bb.56:                               ;   in Loop: Header=BB44_48 Depth=1
	scratch_load_dwordx4 v[6:9], off, off offset:52 ; 16-byte Folded Reload
	v_cmp_gt_i32_e64 s[0:1], s33, v15
	s_waitcnt vmcnt(0)
	s_nop 0
	v_cndmask_b32_e64 v6, 0, v6, s[0:1]
	v_cmp_gt_i32_e64 s[0:1], s33, v18
	s_nop 1
	v_cndmask_b32_e64 v7, 0, v7, s[0:1]
	v_cmp_gt_i32_e64 s[0:1], s33, v17
	;; [unrolled: 3-line block ×3, first 2 shown]
	s_nop 1
	v_cndmask_b32_e64 v9, 0, v9, s[0:1]
	scratch_store_dwordx4 off, v[6:9], off offset:52 ; 16-byte Folded Spill
.LBB44_57:                              ;   in Loop: Header=BB44_48 Depth=1
	s_or_b64 exec, exec, s[14:15]
	s_nop 0
	v_lshl_add_u64 v[6:7], v[106:107], 0, v[0:1]
	global_load_dwordx4 v[22:25], v[6:7], off
	s_and_saveexec_b64 s[14:15], vcc
	s_cbranch_execz .LBB44_59
; %bb.58:                               ;   in Loop: Header=BB44_48 Depth=1
	v_cmp_gt_i32_e64 s[0:1], s33, v15
	s_waitcnt vmcnt(0)
	s_nop 0
	v_cndmask_b32_e64 v22, 0, v22, s[0:1]
	v_cmp_gt_i32_e64 s[0:1], s33, v18
	s_nop 1
	v_cndmask_b32_e64 v23, 0, v23, s[0:1]
	v_cmp_gt_i32_e64 s[0:1], s33, v17
	s_nop 1
	v_cndmask_b32_e64 v24, 0, v24, s[0:1]
	v_cmp_gt_i32_e64 s[0:1], s33, v16
	s_nop 1
	v_cndmask_b32_e64 v25, 0, v25, s[0:1]
.LBB44_59:                              ;   in Loop: Header=BB44_48 Depth=1
	s_or_b64 exec, exec, s[14:15]
	scratch_load_dwordx2 v[6:7], off, off offset:192 ; 8-byte Folded Reload
	s_waitcnt vmcnt(0)
	v_mov_b32_e32 v7, v1
	v_mov_b32_e32 v8, v6
	v_lshl_add_u64 v[6:7], v[106:107], 0, v[6:7]
	global_load_dwordx4 v[26:29], v[6:7], off
	s_nop 0
	scratch_store_dwordx2 off, v[8:9], off offset:192 ; 8-byte Folded Spill
	s_and_saveexec_b64 s[14:15], vcc
	s_cbranch_execz .LBB44_61
; %bb.60:                               ;   in Loop: Header=BB44_48 Depth=1
	v_cmp_gt_i32_e64 s[0:1], s33, v15
	s_waitcnt vmcnt(1)
	s_nop 0
	v_cndmask_b32_e64 v26, 0, v26, s[0:1]
	v_cmp_gt_i32_e64 s[0:1], s33, v18
	s_nop 1
	v_cndmask_b32_e64 v27, 0, v27, s[0:1]
	v_cmp_gt_i32_e64 s[0:1], s33, v17
	s_nop 1
	v_cndmask_b32_e64 v28, 0, v28, s[0:1]
	v_cmp_gt_i32_e64 s[0:1], s33, v16
	s_nop 1
	v_cndmask_b32_e64 v29, 0, v29, s[0:1]
.LBB44_61:                              ;   in Loop: Header=BB44_48 Depth=1
	s_or_b64 exec, exec, s[14:15]
	scratch_load_dwordx2 v[6:7], off, off offset:200 ; 8-byte Folded Reload
	s_waitcnt vmcnt(0)
	v_mov_b32_e32 v7, v1
	v_mov_b32_e32 v8, v6
	v_lshl_add_u64 v[6:7], v[106:107], 0, v[6:7]
	global_load_dwordx4 v[30:33], v[6:7], off
	s_nop 0
	scratch_store_dwordx2 off, v[8:9], off offset:200 ; 8-byte Folded Spill
	;; [unrolled: 26-line block ×21, first 2 shown]
	s_and_saveexec_b64 s[14:15], vcc
	s_cbranch_execz .LBB44_101
; %bb.100:                              ;   in Loop: Header=BB44_48 Depth=1
	v_cmp_gt_i32_e64 s[0:1], s33, v15
	s_waitcnt vmcnt(1)
	s_nop 0
	v_cndmask_b32_e64 v110, 0, v110, s[0:1]
	v_cmp_gt_i32_e64 s[0:1], s33, v18
	s_nop 1
	v_cndmask_b32_e64 v111, 0, v111, s[0:1]
	v_cmp_gt_i32_e64 s[0:1], s33, v17
	s_nop 1
	v_cndmask_b32_e64 v112, 0, v112, s[0:1]
	v_cmp_gt_i32_e64 s[0:1], s33, v16
	s_nop 1
	v_cndmask_b32_e64 v113, 0, v113, s[0:1]
.LBB44_101:                             ;   in Loop: Header=BB44_48 Depth=1
	s_or_b64 exec, exec, s[14:15]
	scratch_load_dwordx2 v[6:7], off, off offset:360 ; 8-byte Folded Reload
	s_waitcnt vmcnt(0)
	v_mov_b32_e32 v7, v1
	v_mov_b32_e32 v8, v6
	v_lshl_add_u64 v[6:7], v[106:107], 0, v[6:7]
	global_load_dwordx4 v[114:117], v[6:7], off
	s_nop 0
	scratch_store_dwordx2 off, v[8:9], off offset:360 ; 8-byte Folded Spill
	s_and_saveexec_b64 s[14:15], vcc
	s_cbranch_execz .LBB44_103
; %bb.102:                              ;   in Loop: Header=BB44_48 Depth=1
	v_cmp_gt_i32_e64 s[0:1], s33, v15
	s_waitcnt vmcnt(1)
	s_nop 0
	v_cndmask_b32_e64 v114, 0, v114, s[0:1]
	v_cmp_gt_i32_e64 s[0:1], s33, v18
	s_nop 1
	v_cndmask_b32_e64 v115, 0, v115, s[0:1]
	v_cmp_gt_i32_e64 s[0:1], s33, v17
	s_nop 1
	v_cndmask_b32_e64 v116, 0, v116, s[0:1]
	v_cmp_gt_i32_e64 s[0:1], s33, v16
	s_nop 1
	v_cndmask_b32_e64 v117, 0, v117, s[0:1]
.LBB44_103:                             ;   in Loop: Header=BB44_48 Depth=1
	s_or_b64 exec, exec, s[14:15]
	scratch_load_dwordx2 v[6:7], off, off offset:368 ; 8-byte Folded Reload
	s_waitcnt vmcnt(0)
	v_mov_b32_e32 v7, v1
	v_mov_b32_e32 v8, v6
	v_lshl_add_u64 v[6:7], v[106:107], 0, v[6:7]
	global_load_dwordx4 v[118:121], v[6:7], off
	s_nop 0
	scratch_store_dwordx2 off, v[8:9], off offset:368 ; 8-byte Folded Spill
	s_and_saveexec_b64 s[14:15], vcc
	s_cbranch_execz .LBB44_105
; %bb.104:                              ;   in Loop: Header=BB44_48 Depth=1
	v_cmp_gt_i32_e64 s[0:1], s33, v15
	s_waitcnt vmcnt(1)
	s_nop 0
	v_cndmask_b32_e64 v118, 0, v118, s[0:1]
	v_cmp_gt_i32_e64 s[0:1], s33, v18
	s_nop 1
	v_cndmask_b32_e64 v119, 0, v119, s[0:1]
	v_cmp_gt_i32_e64 s[0:1], s33, v17
	s_nop 1
	v_cndmask_b32_e64 v120, 0, v120, s[0:1]
	v_cmp_gt_i32_e64 s[0:1], s33, v16
	s_nop 1
	v_cndmask_b32_e64 v121, 0, v121, s[0:1]
.LBB44_105:                             ;   in Loop: Header=BB44_48 Depth=1
	s_or_b64 exec, exec, s[14:15]
	scratch_load_dwordx2 v[6:7], off, off offset:376 ; 8-byte Folded Reload
	s_waitcnt vmcnt(0)
	v_mov_b32_e32 v7, v1
	v_mov_b32_e32 v8, v6
	v_lshl_add_u64 v[6:7], v[106:107], 0, v[6:7]
	global_load_dwordx4 v[122:125], v[6:7], off
	s_nop 0
	scratch_store_dwordx2 off, v[8:9], off offset:376 ; 8-byte Folded Spill
	s_and_saveexec_b64 s[14:15], vcc
	s_cbranch_execz .LBB44_107
; %bb.106:                              ;   in Loop: Header=BB44_48 Depth=1
	v_cmp_gt_i32_e64 s[0:1], s33, v15
	s_waitcnt vmcnt(1)
	s_nop 0
	v_cndmask_b32_e64 v122, 0, v122, s[0:1]
	v_cmp_gt_i32_e64 s[0:1], s33, v18
	s_nop 1
	v_cndmask_b32_e64 v123, 0, v123, s[0:1]
	v_cmp_gt_i32_e64 s[0:1], s33, v17
	s_nop 1
	v_cndmask_b32_e64 v124, 0, v124, s[0:1]
	v_cmp_gt_i32_e64 s[0:1], s33, v16
	s_nop 1
	v_cndmask_b32_e64 v125, 0, v125, s[0:1]
.LBB44_107:                             ;   in Loop: Header=BB44_48 Depth=1
	s_or_b64 exec, exec, s[14:15]
	scratch_load_dwordx2 v[6:7], off, off offset:384 ; 8-byte Folded Reload
	s_waitcnt vmcnt(0)
	v_mov_b32_e32 v7, v1
	v_mov_b32_e32 v8, v6
	v_lshl_add_u64 v[6:7], v[106:107], 0, v[6:7]
	scratch_store_dwordx2 off, v[8:9], off offset:384 ; 8-byte Folded Spill
	global_load_dwordx4 v[6:9], v[6:7], off
	s_and_saveexec_b64 s[14:15], vcc
	s_cbranch_execz .LBB44_109
; %bb.108:                              ;   in Loop: Header=BB44_48 Depth=1
	v_cmp_gt_i32_e64 s[0:1], s33, v15
	s_waitcnt vmcnt(0)
	s_nop 0
	v_cndmask_b32_e64 v6, 0, v6, s[0:1]
	v_cmp_gt_i32_e64 s[0:1], s33, v18
	s_nop 1
	v_cndmask_b32_e64 v7, 0, v7, s[0:1]
	v_cmp_gt_i32_e64 s[0:1], s33, v17
	s_nop 1
	v_cndmask_b32_e64 v8, 0, v8, s[0:1]
	v_cmp_gt_i32_e64 s[0:1], s33, v16
	s_nop 1
	v_cndmask_b32_e64 v9, 0, v9, s[0:1]
.LBB44_109:                             ;   in Loop: Header=BB44_48 Depth=1
	s_or_b64 exec, exec, s[14:15]
	scratch_load_dwordx2 v[10:11], off, off offset:392 ; 8-byte Folded Reload
	s_waitcnt vmcnt(0)
	v_mov_b32_e32 v11, v1
	v_mov_b32_e32 v12, v10
	v_lshl_add_u64 v[10:11], v[106:107], 0, v[10:11]
	scratch_store_dwordx2 off, v[12:13], off offset:392 ; 8-byte Folded Spill
	global_load_dwordx4 v[10:13], v[10:11], off
	;; [unrolled: 25-line block ×3, first 2 shown]
	s_and_saveexec_b64 s[0:1], vcc
	s_cbranch_execz .LBB44_46
; %bb.112:                              ;   in Loop: Header=BB44_48 Depth=1
	v_cmp_gt_i32_e32 vcc, s33, v15
	s_waitcnt vmcnt(0)
	s_nop 0
	v_cndmask_b32_e32 v106, 0, v106, vcc
	v_cmp_gt_i32_e32 vcc, s33, v18
	s_nop 1
	v_cndmask_b32_e32 v107, 0, v107, vcc
	v_cmp_gt_i32_e32 vcc, s33, v17
	;; [unrolled: 3-line block ×3, first 2 shown]
	s_nop 1
	v_cndmask_b32_e32 v109, 0, v109, vcc
	s_branch .LBB44_46
.LBB44_113:
	s_or_b64 exec, exec, s[8:9]
	scratch_load_dword v75, off, off offset:432 ; 4-byte Folded Reload
	scratch_load_dword v44, off, off offset:436 ; 4-byte Folded Reload
	;; [unrolled: 1-line block ×5, first 2 shown]
	scratch_load_dwordx2 v[46:47], off, off offset:68 ; 8-byte Folded Reload
	scratch_load_dwordx2 v[38:39], off, off offset:76 ; 8-byte Folded Reload
	;; [unrolled: 1-line block ×14, first 2 shown]
.LBB44_114:
	s_or_b64 exec, exec, s[2:3]
	s_waitcnt vmcnt(1)
	ds_bpermute_b32 v2, v37, v6
	ds_bpermute_b32 v3, v37, v7
	v_mov_b64_e32 v[10:11], v[8:9]
	s_waitcnt vmcnt(0)
	ds_bpermute_b32 v0, v37, v4
	ds_bpermute_b32 v1, v37, v5
	;; [unrolled: 1-line block ×3, first 2 shown]
	s_waitcnt lgkmcnt(3)
	v_pk_add_f32 v[2:3], v[6:7], v[2:3]
	ds_bpermute_b32 v6, v43, v2
	ds_bpermute_b32 v7, v43, v3
	;; [unrolled: 1-line block ×3, first 2 shown]
	s_waitcnt lgkmcnt(4)
	v_pk_add_f32 v[0:1], v[4:5], v[0:1]
	ds_bpermute_b32 v4, v43, v0
	ds_bpermute_b32 v5, v43, v1
	s_waitcnt lgkmcnt(3)
	v_pk_add_f32 v[2:3], v[2:3], v[6:7]
	s_waitcnt lgkmcnt(2)
	v_pk_add_f32 v[6:7], v[10:11], v[8:9]
	ds_bpermute_b32 v8, v43, v6
	ds_bpermute_b32 v9, v43, v7
	;; [unrolled: 1-line block ×4, first 2 shown]
	s_waitcnt lgkmcnt(4)
	v_pk_add_f32 v[0:1], v[0:1], v[4:5]
	ds_bpermute_b32 v4, v45, v0
	s_waitcnt lgkmcnt(3)
	v_pk_add_f32 v[6:7], v[6:7], v[8:9]
	ds_bpermute_b32 v5, v45, v1
	;; [unrolled: 3-line block ×3, first 2 shown]
	ds_bpermute_b32 v9, v45, v7
	ds_bpermute_b32 v14, v43, v12
	;; [unrolled: 1-line block ×3, first 2 shown]
	s_waitcnt lgkmcnt(4)
	v_pk_add_f32 v[4:5], v[0:1], v[4:5]
	ds_bpermute_b32 v10, v45, v2
	s_waitcnt lgkmcnt(3)
	v_pk_add_f32 v[0:1], v[6:7], v[8:9]
	ds_bpermute_b32 v8, v37, v18
	;; [unrolled: 3-line block ×3, first 2 shown]
	ds_bpermute_b32 v12, v37, v16
	ds_bpermute_b32 v13, v37, v17
	;; [unrolled: 1-line block ×4, first 2 shown]
	s_waitcnt lgkmcnt(4)
	v_pk_add_f32 v[8:9], v[18:19], v[8:9]
	ds_bpermute_b32 v14, v43, v8
	s_waitcnt lgkmcnt(3)
	v_pk_add_f32 v[12:13], v[16:17], v[12:13]
	ds_bpermute_b32 v15, v43, v9
	ds_bpermute_b32 v16, v43, v12
	ds_bpermute_b32 v17, v43, v13
	ds_bpermute_b32 v18, v37, v20
	ds_bpermute_b32 v19, v37, v21
	s_waitcnt lgkmcnt(4)
	v_pk_add_f32 v[8:9], v[8:9], v[14:15]
	v_pk_add_f32 v[2:3], v[2:3], v[10:11]
	s_waitcnt lgkmcnt(2)
	v_pk_add_f32 v[16:17], v[12:13], v[16:17]
	ds_bpermute_b32 v10, v45, v6
	s_waitcnt lgkmcnt(1)
	v_pk_add_f32 v[12:13], v[20:21], v[18:19]
	ds_bpermute_b32 v11, v45, v7
	ds_bpermute_b32 v14, v45, v8
	;; [unrolled: 1-line block ×8, first 2 shown]
	s_waitcnt lgkmcnt(0)
	v_pk_add_f32 v[18:19], v[12:13], v[18:19]
	v_pk_add_f32 v[12:13], v[6:7], v[10:11]
	;; [unrolled: 1-line block ×5, first 2 shown]
	ds_bpermute_b32 v16, v37, v32
	ds_bpermute_b32 v17, v37, v33
	;; [unrolled: 1-line block ×8, first 2 shown]
	s_waitcnt lgkmcnt(6)
	v_pk_add_f32 v[16:17], v[32:33], v[16:17]
	s_waitcnt lgkmcnt(4)
	v_pk_add_f32 v[20:21], v[30:31], v[20:21]
	;; [unrolled: 2-line block ×3, first 2 shown]
	ds_bpermute_b32 v24, v43, v20
	s_waitcnt lgkmcnt(1)
	v_pk_add_f32 v[14:15], v[22:23], v[26:27]
	ds_bpermute_b32 v22, v43, v16
	ds_bpermute_b32 v23, v43, v17
	;; [unrolled: 1-line block ×6, first 2 shown]
	s_waitcnt lgkmcnt(4)
	v_pk_add_f32 v[16:17], v[16:17], v[22:23]
	s_waitcnt lgkmcnt(3)
	v_pk_add_f32 v[24:25], v[20:21], v[24:25]
	ds_bpermute_b32 v19, v45, v15
	s_waitcnt lgkmcnt(2)
	v_pk_add_f32 v[20:21], v[28:29], v[26:27]
	ds_bpermute_b32 v22, v45, v16
	ds_bpermute_b32 v23, v45, v17
	;; [unrolled: 1-line block ×8, first 2 shown]
	s_waitcnt lgkmcnt(4)
	v_pk_add_f32 v[26:27], v[20:21], v[26:27]
	v_pk_add_f32 v[20:21], v[14:15], v[18:19]
	;; [unrolled: 1-line block ×3, first 2 shown]
	s_waitcnt lgkmcnt(1)
	v_pk_add_f32 v[30:31], v[34:35], v[30:31]
	s_waitcnt lgkmcnt(0)
	v_pk_add_f32 v[16:17], v[24:25], v[28:29]
	ds_bpermute_b32 v28, v37, v40
	ds_bpermute_b32 v29, v37, v41
	;; [unrolled: 1-line block ×8, first 2 shown]
	s_waitcnt lgkmcnt(6)
	v_pk_add_f32 v[28:29], v[40:41], v[28:29]
	s_waitcnt lgkmcnt(4)
	v_pk_add_f32 v[14:15], v[26:27], v[32:33]
	s_waitcnt lgkmcnt(2)
	v_pk_add_f32 v[22:23], v[30:31], v[34:35]
	ds_bpermute_b32 v32, v43, v28
	ds_bpermute_b32 v33, v43, v29
	;; [unrolled: 1-line block ×4, first 2 shown]
	s_waitcnt lgkmcnt(4)
	v_pk_add_f32 v[24:25], v[48:49], v[24:25]
	ds_bpermute_b32 v30, v43, v24
	ds_bpermute_b32 v31, v43, v25
	s_waitcnt lgkmcnt(4)
	v_pk_add_f32 v[32:33], v[28:29], v[32:33]
	s_waitcnt lgkmcnt(2)
	v_pk_add_f32 v[28:29], v[38:39], v[34:35]
	ds_bpermute_b32 v38, v37, v46
	ds_bpermute_b32 v39, v37, v47
	;; [unrolled: 1-line block ×4, first 2 shown]
	s_waitcnt lgkmcnt(4)
	v_pk_add_f32 v[24:25], v[24:25], v[30:31]
	ds_bpermute_b32 v26, v45, v22
	s_waitcnt lgkmcnt(3)
	v_pk_add_f32 v[38:39], v[46:47], v[38:39]
	ds_bpermute_b32 v27, v45, v23
	ds_bpermute_b32 v30, v45, v24
	;; [unrolled: 1-line block ×7, first 2 shown]
	s_waitcnt lgkmcnt(8)
	v_pk_add_f32 v[34:35], v[28:29], v[34:35]
	ds_bpermute_b32 v40, v45, v34
	ds_bpermute_b32 v41, v45, v35
	s_waitcnt lgkmcnt(8)
	v_pk_add_f32 v[28:29], v[22:23], v[26:27]
	s_waitcnt lgkmcnt(6)
	v_pk_add_f32 v[26:27], v[24:25], v[30:31]
	;; [unrolled: 2-line block ×4, first 2 shown]
	ds_bpermute_b32 v32, v45, v30
	ds_bpermute_b32 v33, v45, v31
	s_waitcnt lgkmcnt(2)
	v_pk_add_f32 v[22:23], v[34:35], v[40:41]
	v_and_b32_e32 v34, 0x3c7, v75
	v_cmp_ne_u32_e32 vcc, 64, v34
	s_barrier
	s_waitcnt lgkmcnt(0)
	s_and_saveexec_b64 s[0:1], vcc
	s_xor_b64 s[0:1], exec, s[0:1]
; %bb.115:
                                        ; implicit-def: $vgpr44
; %bb.116:
	s_or_saveexec_b64 s[0:1], s[0:1]
	v_pk_add_f32 v[30:31], v[30:31], v[32:33]
	s_xor_b64 exec, exec, s[0:1]
	s_cbranch_execz .LBB44_118
; %bb.117:
	v_lshrrev_b32_e32 v32, 1, v44
	v_add_u32_e32 v32, 0x410, v32
	ds_write2_b32 v32, v4, v5 offset1:8
	ds_write2_b32 v32, v2, v3 offset0:16 offset1:24
	ds_write2_b32 v32, v0, v1 offset0:32 offset1:40
	;; [unrolled: 1-line block ×15, first 2 shown]
.LBB44_118:
	s_or_b64 exec, exec, s[0:1]
	v_cmp_gt_u32_e32 vcc, 64, v75
	s_waitcnt lgkmcnt(0)
	s_barrier
	s_and_saveexec_b64 s[0:1], vcc
	s_cbranch_execz .LBB44_153
; %bb.119:
	scratch_load_dword v32, off, off offset:428 ; 4-byte Folded Reload
	s_waitcnt vmcnt(0)
	v_cmp_eq_u32_e32 vcc, 0, v32
	v_lshrrev_b32_e32 v32, 3, v75
	s_and_saveexec_b64 s[2:3], vcc
	s_cbranch_execnz .LBB44_156
; %bb.120:
	s_or_b64 exec, exec, s[2:3]
	s_and_saveexec_b64 s[2:3], vcc
	s_cbranch_execnz .LBB44_157
.LBB44_121:
	s_or_b64 exec, exec, s[2:3]
	s_and_saveexec_b64 s[2:3], vcc
	s_cbranch_execnz .LBB44_158
.LBB44_122:
	s_or_b64 exec, exec, s[2:3]
	s_and_saveexec_b64 s[2:3], vcc
	s_cbranch_execnz .LBB44_159
.LBB44_123:
	s_or_b64 exec, exec, s[2:3]
	s_and_saveexec_b64 s[2:3], vcc
	s_cbranch_execnz .LBB44_160
.LBB44_124:
	s_or_b64 exec, exec, s[2:3]
	s_and_saveexec_b64 s[2:3], vcc
	s_cbranch_execnz .LBB44_161
.LBB44_125:
	s_or_b64 exec, exec, s[2:3]
	s_and_saveexec_b64 s[2:3], vcc
	s_cbranch_execnz .LBB44_162
.LBB44_126:
	s_or_b64 exec, exec, s[2:3]
	s_and_saveexec_b64 s[2:3], vcc
	s_cbranch_execnz .LBB44_163
.LBB44_127:
	s_or_b64 exec, exec, s[2:3]
	s_and_saveexec_b64 s[2:3], vcc
	s_cbranch_execnz .LBB44_164
.LBB44_128:
	s_or_b64 exec, exec, s[2:3]
	s_and_saveexec_b64 s[2:3], vcc
	s_cbranch_execnz .LBB44_165
.LBB44_129:
	s_or_b64 exec, exec, s[2:3]
	s_and_saveexec_b64 s[2:3], vcc
	s_cbranch_execnz .LBB44_166
.LBB44_130:
	s_or_b64 exec, exec, s[2:3]
	s_and_saveexec_b64 s[2:3], vcc
	s_cbranch_execnz .LBB44_167
.LBB44_131:
	s_or_b64 exec, exec, s[2:3]
	s_and_saveexec_b64 s[2:3], vcc
	s_cbranch_execnz .LBB44_168
.LBB44_132:
	s_or_b64 exec, exec, s[2:3]
	s_and_saveexec_b64 s[2:3], vcc
	s_cbranch_execnz .LBB44_169
.LBB44_133:
	s_or_b64 exec, exec, s[2:3]
	s_and_saveexec_b64 s[2:3], vcc
	s_cbranch_execnz .LBB44_170
.LBB44_134:
	s_or_b64 exec, exec, s[2:3]
	s_and_saveexec_b64 s[2:3], vcc
	s_cbranch_execnz .LBB44_171
.LBB44_135:
	s_or_b64 exec, exec, s[2:3]
	s_and_saveexec_b64 s[2:3], vcc
	s_cbranch_execnz .LBB44_172
.LBB44_136:
	s_or_b64 exec, exec, s[2:3]
	s_and_saveexec_b64 s[2:3], vcc
	s_cbranch_execnz .LBB44_173
.LBB44_137:
	s_or_b64 exec, exec, s[2:3]
	s_and_saveexec_b64 s[2:3], vcc
	s_cbranch_execnz .LBB44_174
.LBB44_138:
	s_or_b64 exec, exec, s[2:3]
	s_and_saveexec_b64 s[2:3], vcc
	s_cbranch_execnz .LBB44_175
.LBB44_139:
	s_or_b64 exec, exec, s[2:3]
	s_and_saveexec_b64 s[2:3], vcc
	s_cbranch_execnz .LBB44_176
.LBB44_140:
	s_or_b64 exec, exec, s[2:3]
	s_and_saveexec_b64 s[2:3], vcc
	s_cbranch_execnz .LBB44_177
.LBB44_141:
	s_or_b64 exec, exec, s[2:3]
	s_and_saveexec_b64 s[2:3], vcc
	s_cbranch_execnz .LBB44_178
.LBB44_142:
	s_or_b64 exec, exec, s[2:3]
	s_and_saveexec_b64 s[2:3], vcc
	s_cbranch_execnz .LBB44_179
.LBB44_143:
	s_or_b64 exec, exec, s[2:3]
	s_and_saveexec_b64 s[2:3], vcc
	s_cbranch_execnz .LBB44_180
.LBB44_144:
	s_or_b64 exec, exec, s[2:3]
	s_and_saveexec_b64 s[2:3], vcc
	s_cbranch_execnz .LBB44_181
.LBB44_145:
	s_or_b64 exec, exec, s[2:3]
	s_and_saveexec_b64 s[2:3], vcc
	s_cbranch_execnz .LBB44_182
.LBB44_146:
	s_or_b64 exec, exec, s[2:3]
	s_and_saveexec_b64 s[2:3], vcc
	s_cbranch_execnz .LBB44_183
.LBB44_147:
	s_or_b64 exec, exec, s[2:3]
	s_and_saveexec_b64 s[2:3], vcc
	s_cbranch_execnz .LBB44_184
.LBB44_148:
	s_or_b64 exec, exec, s[2:3]
	s_and_saveexec_b64 s[2:3], vcc
	s_cbranch_execnz .LBB44_185
.LBB44_149:
	s_or_b64 exec, exec, s[2:3]
	s_and_saveexec_b64 s[2:3], vcc
	s_cbranch_execnz .LBB44_186
.LBB44_150:
	s_or_b64 exec, exec, s[2:3]
	s_and_saveexec_b64 s[2:3], vcc
	s_cbranch_execz .LBB44_152
.LBB44_151:
	v_mov_b32_e32 v33, 0x410
	v_lshl_add_u32 v32, v32, 2, v33
	ds_read_b32 v32, v32 offset:992
	s_waitcnt lgkmcnt(0)
	v_add_f32_e32 v31, v31, v32
.LBB44_152:
	s_or_b64 exec, exec, s[2:3]
.LBB44_153:
	s_or_b64 exec, exec, s[0:1]
	v_cmp_eq_u32_e32 vcc, 0, v34
	s_barrier
	s_and_saveexec_b64 s[0:1], vcc
	s_cbranch_execz .LBB44_155
; %bb.154:
	s_mul_i32 s0, s10, s11
	s_mul_i32 s0, s0, s5
	s_lshl_b32 s0, s0, 8
	s_ashr_i32 s1, s0, 31
	s_lshl_b64 s[0:1], s[0:1], 2
	s_add_u32 s2, s22, s0
	s_mul_i32 s0, s11, s20
	s_addc_u32 s3, s23, s1
	s_ashr_i32 s1, s0, 31
	s_lshl_b64 s[0:1], s[0:1], 2
	s_add_u32 s2, s2, s0
	s_addc_u32 s3, s3, s1
	s_lshl_b32 s0, s4, 8
	s_ashr_i32 s1, s0, 31
	s_lshl_b64 s[0:1], s[0:1], 2
	s_add_u32 s0, s2, s0
	s_addc_u32 s1, s3, s1
	v_lshrrev_b32_e32 v32, 1, v75
	global_store_dword v32, v4, s[0:1]
	global_store_dword v32, v5, s[0:1] offset:32
	global_store_dword v32, v2, s[0:1] offset:64
	;; [unrolled: 1-line block ×31, first 2 shown]
.LBB44_155:
	s_endpgm
.LBB44_156:
	v_mov_b32_e32 v33, 0x410
	v_lshl_add_u32 v33, v32, 2, v33
	ds_read_b32 v33, v33
	s_waitcnt lgkmcnt(0)
	v_add_f32_e32 v4, v4, v33
	s_or_b64 exec, exec, s[2:3]
	s_and_saveexec_b64 s[2:3], vcc
	s_cbranch_execz .LBB44_121
.LBB44_157:
	v_mov_b32_e32 v33, 0x410
	v_lshl_add_u32 v33, v32, 2, v33
	ds_read_b32 v33, v33 offset:32
	s_waitcnt lgkmcnt(0)
	v_add_f32_e32 v5, v5, v33
	s_or_b64 exec, exec, s[2:3]
	s_and_saveexec_b64 s[2:3], vcc
	s_cbranch_execz .LBB44_122
.LBB44_158:
	v_mov_b32_e32 v33, 0x410
	v_lshl_add_u32 v33, v32, 2, v33
	ds_read_b32 v33, v33 offset:64
	s_waitcnt lgkmcnt(0)
	v_add_f32_e32 v2, v2, v33
	s_or_b64 exec, exec, s[2:3]
	s_and_saveexec_b64 s[2:3], vcc
	s_cbranch_execz .LBB44_123
.LBB44_159:
	v_mov_b32_e32 v33, 0x410
	v_lshl_add_u32 v33, v32, 2, v33
	ds_read_b32 v33, v33 offset:96
	s_waitcnt lgkmcnt(0)
	v_add_f32_e32 v3, v3, v33
	s_or_b64 exec, exec, s[2:3]
	s_and_saveexec_b64 s[2:3], vcc
	s_cbranch_execz .LBB44_124
.LBB44_160:
	v_mov_b32_e32 v33, 0x410
	v_lshl_add_u32 v33, v32, 2, v33
	ds_read_b32 v33, v33 offset:128
	s_waitcnt lgkmcnt(0)
	v_add_f32_e32 v0, v0, v33
	s_or_b64 exec, exec, s[2:3]
	s_and_saveexec_b64 s[2:3], vcc
	s_cbranch_execz .LBB44_125
.LBB44_161:
	v_mov_b32_e32 v33, 0x410
	v_lshl_add_u32 v33, v32, 2, v33
	ds_read_b32 v33, v33 offset:160
	s_waitcnt lgkmcnt(0)
	v_add_f32_e32 v1, v1, v33
	s_or_b64 exec, exec, s[2:3]
	s_and_saveexec_b64 s[2:3], vcc
	s_cbranch_execz .LBB44_126
.LBB44_162:
	v_mov_b32_e32 v33, 0x410
	v_lshl_add_u32 v33, v32, 2, v33
	ds_read_b32 v33, v33 offset:192
	s_waitcnt lgkmcnt(0)
	v_add_f32_e32 v12, v12, v33
	s_or_b64 exec, exec, s[2:3]
	s_and_saveexec_b64 s[2:3], vcc
	s_cbranch_execz .LBB44_127
.LBB44_163:
	v_mov_b32_e32 v33, 0x410
	v_lshl_add_u32 v33, v32, 2, v33
	ds_read_b32 v33, v33 offset:224
	s_waitcnt lgkmcnt(0)
	v_add_f32_e32 v13, v13, v33
	s_or_b64 exec, exec, s[2:3]
	s_and_saveexec_b64 s[2:3], vcc
	s_cbranch_execz .LBB44_128
.LBB44_164:
	v_mov_b32_e32 v33, 0x410
	v_lshl_add_u32 v33, v32, 2, v33
	ds_read_b32 v33, v33 offset:256
	s_waitcnt lgkmcnt(0)
	v_add_f32_e32 v10, v10, v33
	s_or_b64 exec, exec, s[2:3]
	s_and_saveexec_b64 s[2:3], vcc
	s_cbranch_execz .LBB44_129
.LBB44_165:
	v_mov_b32_e32 v33, 0x410
	v_lshl_add_u32 v33, v32, 2, v33
	ds_read_b32 v33, v33 offset:288
	s_waitcnt lgkmcnt(0)
	v_add_f32_e32 v11, v11, v33
	s_or_b64 exec, exec, s[2:3]
	s_and_saveexec_b64 s[2:3], vcc
	s_cbranch_execz .LBB44_130
.LBB44_166:
	v_mov_b32_e32 v33, 0x410
	v_lshl_add_u32 v33, v32, 2, v33
	ds_read_b32 v33, v33 offset:320
	s_waitcnt lgkmcnt(0)
	v_add_f32_e32 v8, v8, v33
	s_or_b64 exec, exec, s[2:3]
	s_and_saveexec_b64 s[2:3], vcc
	s_cbranch_execz .LBB44_131
.LBB44_167:
	v_mov_b32_e32 v33, 0x410
	v_lshl_add_u32 v33, v32, 2, v33
	ds_read_b32 v33, v33 offset:352
	s_waitcnt lgkmcnt(0)
	v_add_f32_e32 v9, v9, v33
	s_or_b64 exec, exec, s[2:3]
	s_and_saveexec_b64 s[2:3], vcc
	s_cbranch_execz .LBB44_132
.LBB44_168:
	v_mov_b32_e32 v33, 0x410
	v_lshl_add_u32 v33, v32, 2, v33
	ds_read_b32 v33, v33 offset:384
	s_waitcnt lgkmcnt(0)
	v_add_f32_e32 v6, v6, v33
	s_or_b64 exec, exec, s[2:3]
	s_and_saveexec_b64 s[2:3], vcc
	s_cbranch_execz .LBB44_133
.LBB44_169:
	v_mov_b32_e32 v33, 0x410
	v_lshl_add_u32 v33, v32, 2, v33
	ds_read_b32 v33, v33 offset:416
	s_waitcnt lgkmcnt(0)
	v_add_f32_e32 v7, v7, v33
	s_or_b64 exec, exec, s[2:3]
	s_and_saveexec_b64 s[2:3], vcc
	s_cbranch_execz .LBB44_134
.LBB44_170:
	v_mov_b32_e32 v33, 0x410
	v_lshl_add_u32 v33, v32, 2, v33
	ds_read_b32 v33, v33 offset:448
	s_waitcnt lgkmcnt(0)
	v_add_f32_e32 v20, v20, v33
	s_or_b64 exec, exec, s[2:3]
	s_and_saveexec_b64 s[2:3], vcc
	s_cbranch_execz .LBB44_135
.LBB44_171:
	v_mov_b32_e32 v33, 0x410
	v_lshl_add_u32 v33, v32, 2, v33
	ds_read_b32 v33, v33 offset:480
	s_waitcnt lgkmcnt(0)
	v_add_f32_e32 v21, v21, v33
	s_or_b64 exec, exec, s[2:3]
	s_and_saveexec_b64 s[2:3], vcc
	s_cbranch_execz .LBB44_136
.LBB44_172:
	v_mov_b32_e32 v33, 0x410
	v_lshl_add_u32 v33, v32, 2, v33
	ds_read_b32 v33, v33 offset:512
	s_waitcnt lgkmcnt(0)
	v_add_f32_e32 v18, v18, v33
	s_or_b64 exec, exec, s[2:3]
	s_and_saveexec_b64 s[2:3], vcc
	s_cbranch_execz .LBB44_137
.LBB44_173:
	v_mov_b32_e32 v33, 0x410
	v_lshl_add_u32 v33, v32, 2, v33
	ds_read_b32 v33, v33 offset:544
	s_waitcnt lgkmcnt(0)
	v_add_f32_e32 v19, v19, v33
	s_or_b64 exec, exec, s[2:3]
	s_and_saveexec_b64 s[2:3], vcc
	s_cbranch_execz .LBB44_138
.LBB44_174:
	v_mov_b32_e32 v33, 0x410
	v_lshl_add_u32 v33, v32, 2, v33
	ds_read_b32 v33, v33 offset:576
	s_waitcnt lgkmcnt(0)
	v_add_f32_e32 v16, v16, v33
	s_or_b64 exec, exec, s[2:3]
	s_and_saveexec_b64 s[2:3], vcc
	s_cbranch_execz .LBB44_139
.LBB44_175:
	v_mov_b32_e32 v33, 0x410
	v_lshl_add_u32 v33, v32, 2, v33
	ds_read_b32 v33, v33 offset:608
	s_waitcnt lgkmcnt(0)
	v_add_f32_e32 v17, v17, v33
	s_or_b64 exec, exec, s[2:3]
	s_and_saveexec_b64 s[2:3], vcc
	s_cbranch_execz .LBB44_140
.LBB44_176:
	v_mov_b32_e32 v33, 0x410
	v_lshl_add_u32 v33, v32, 2, v33
	ds_read_b32 v33, v33 offset:640
	s_waitcnt lgkmcnt(0)
	v_add_f32_e32 v14, v14, v33
	s_or_b64 exec, exec, s[2:3]
	s_and_saveexec_b64 s[2:3], vcc
	s_cbranch_execz .LBB44_141
.LBB44_177:
	v_mov_b32_e32 v33, 0x410
	v_lshl_add_u32 v33, v32, 2, v33
	ds_read_b32 v33, v33 offset:672
	s_waitcnt lgkmcnt(0)
	v_add_f32_e32 v15, v15, v33
	s_or_b64 exec, exec, s[2:3]
	s_and_saveexec_b64 s[2:3], vcc
	s_cbranch_execz .LBB44_142
.LBB44_178:
	v_mov_b32_e32 v33, 0x410
	v_lshl_add_u32 v33, v32, 2, v33
	ds_read_b32 v33, v33 offset:704
	s_waitcnt lgkmcnt(0)
	v_add_f32_e32 v28, v28, v33
	s_or_b64 exec, exec, s[2:3]
	s_and_saveexec_b64 s[2:3], vcc
	s_cbranch_execz .LBB44_143
.LBB44_179:
	v_mov_b32_e32 v33, 0x410
	v_lshl_add_u32 v33, v32, 2, v33
	ds_read_b32 v33, v33 offset:736
	s_waitcnt lgkmcnt(0)
	v_add_f32_e32 v29, v29, v33
	s_or_b64 exec, exec, s[2:3]
	s_and_saveexec_b64 s[2:3], vcc
	s_cbranch_execz .LBB44_144
.LBB44_180:
	v_mov_b32_e32 v33, 0x410
	v_lshl_add_u32 v33, v32, 2, v33
	ds_read_b32 v33, v33 offset:768
	s_waitcnt lgkmcnt(0)
	v_add_f32_e32 v26, v26, v33
	s_or_b64 exec, exec, s[2:3]
	s_and_saveexec_b64 s[2:3], vcc
	s_cbranch_execz .LBB44_145
.LBB44_181:
	v_mov_b32_e32 v33, 0x410
	v_lshl_add_u32 v33, v32, 2, v33
	ds_read_b32 v33, v33 offset:800
	s_waitcnt lgkmcnt(0)
	v_add_f32_e32 v27, v27, v33
	s_or_b64 exec, exec, s[2:3]
	s_and_saveexec_b64 s[2:3], vcc
	s_cbranch_execz .LBB44_146
.LBB44_182:
	v_mov_b32_e32 v33, 0x410
	v_lshl_add_u32 v33, v32, 2, v33
	ds_read_b32 v33, v33 offset:832
	s_waitcnt lgkmcnt(0)
	v_add_f32_e32 v24, v24, v33
	s_or_b64 exec, exec, s[2:3]
	s_and_saveexec_b64 s[2:3], vcc
	s_cbranch_execz .LBB44_147
.LBB44_183:
	v_mov_b32_e32 v33, 0x410
	v_lshl_add_u32 v33, v32, 2, v33
	ds_read_b32 v33, v33 offset:864
	s_waitcnt lgkmcnt(0)
	v_add_f32_e32 v25, v25, v33
	s_or_b64 exec, exec, s[2:3]
	s_and_saveexec_b64 s[2:3], vcc
	s_cbranch_execz .LBB44_148
.LBB44_184:
	v_mov_b32_e32 v33, 0x410
	v_lshl_add_u32 v33, v32, 2, v33
	ds_read_b32 v33, v33 offset:896
	s_waitcnt lgkmcnt(0)
	v_add_f32_e32 v22, v22, v33
	s_or_b64 exec, exec, s[2:3]
	s_and_saveexec_b64 s[2:3], vcc
	s_cbranch_execz .LBB44_149
.LBB44_185:
	v_mov_b32_e32 v33, 0x410
	v_lshl_add_u32 v33, v32, 2, v33
	ds_read_b32 v33, v33 offset:928
	s_waitcnt lgkmcnt(0)
	v_add_f32_e32 v23, v23, v33
	s_or_b64 exec, exec, s[2:3]
	s_and_saveexec_b64 s[2:3], vcc
	s_cbranch_execz .LBB44_150
.LBB44_186:
	v_mov_b32_e32 v33, 0x410
	v_lshl_add_u32 v33, v32, 2, v33
	ds_read_b32 v33, v33 offset:960
	s_waitcnt lgkmcnt(0)
	v_add_f32_e32 v30, v30, v33
	s_or_b64 exec, exec, s[2:3]
	s_and_saveexec_b64 s[2:3], vcc
	s_cbranch_execnz .LBB44_151
	s_branch .LBB44_152
	.section	.rodata,"a",@progbits
	.p2align	6, 0x0
	.amdhsa_kernel _ZN4vllm25paged_attention_v1_kernelIffLi256ELi32ELi128ELNS_18Fp8KVCacheDataTypeE0ELb1EEEvPT_PKS2_PKT0_S8_ifPKiSA_iPKfiiiSC_SC_iiiii
		.amdhsa_group_segment_fixed_size 1040
		.amdhsa_private_segment_fixed_size 456
		.amdhsa_kernarg_size 384
		.amdhsa_user_sgpr_count 2
		.amdhsa_user_sgpr_dispatch_ptr 0
		.amdhsa_user_sgpr_queue_ptr 0
		.amdhsa_user_sgpr_kernarg_segment_ptr 1
		.amdhsa_user_sgpr_dispatch_id 0
		.amdhsa_user_sgpr_kernarg_preload_length 0
		.amdhsa_user_sgpr_kernarg_preload_offset 0
		.amdhsa_user_sgpr_private_segment_size 0
		.amdhsa_uses_dynamic_stack 0
		.amdhsa_enable_private_segment 1
		.amdhsa_system_sgpr_workgroup_id_x 1
		.amdhsa_system_sgpr_workgroup_id_y 1
		.amdhsa_system_sgpr_workgroup_id_z 1
		.amdhsa_system_sgpr_workgroup_info 0
		.amdhsa_system_vgpr_workitem_id 0
		.amdhsa_next_free_vgpr 128
		.amdhsa_next_free_sgpr 51
		.amdhsa_accum_offset 128
		.amdhsa_reserve_vcc 1
		.amdhsa_float_round_mode_32 0
		.amdhsa_float_round_mode_16_64 0
		.amdhsa_float_denorm_mode_32 3
		.amdhsa_float_denorm_mode_16_64 3
		.amdhsa_dx10_clamp 1
		.amdhsa_ieee_mode 1
		.amdhsa_fp16_overflow 0
		.amdhsa_tg_split 0
		.amdhsa_exception_fp_ieee_invalid_op 0
		.amdhsa_exception_fp_denorm_src 0
		.amdhsa_exception_fp_ieee_div_zero 0
		.amdhsa_exception_fp_ieee_overflow 0
		.amdhsa_exception_fp_ieee_underflow 0
		.amdhsa_exception_fp_ieee_inexact 0
		.amdhsa_exception_int_div_zero 0
	.end_amdhsa_kernel
	.section	.text._ZN4vllm25paged_attention_v1_kernelIffLi256ELi32ELi128ELNS_18Fp8KVCacheDataTypeE0ELb1EEEvPT_PKS2_PKT0_S8_ifPKiSA_iPKfiiiSC_SC_iiiii,"axG",@progbits,_ZN4vllm25paged_attention_v1_kernelIffLi256ELi32ELi128ELNS_18Fp8KVCacheDataTypeE0ELb1EEEvPT_PKS2_PKT0_S8_ifPKiSA_iPKfiiiSC_SC_iiiii,comdat
.Lfunc_end44:
	.size	_ZN4vllm25paged_attention_v1_kernelIffLi256ELi32ELi128ELNS_18Fp8KVCacheDataTypeE0ELb1EEEvPT_PKS2_PKT0_S8_ifPKiSA_iPKfiiiSC_SC_iiiii, .Lfunc_end44-_ZN4vllm25paged_attention_v1_kernelIffLi256ELi32ELi128ELNS_18Fp8KVCacheDataTypeE0ELb1EEEvPT_PKS2_PKT0_S8_ifPKiSA_iPKfiiiSC_SC_iiiii
                                        ; -- End function
	.section	.AMDGPU.csdata,"",@progbits
; Kernel info:
; codeLenInByte = 15312
; NumSgprs: 57
; NumVgprs: 128
; NumAgprs: 0
; TotalNumVgprs: 128
; ScratchSize: 456
; MemoryBound: 0
; FloatMode: 240
; IeeeMode: 1
; LDSByteSize: 1040 bytes/workgroup (compile time only)
; SGPRBlocks: 7
; VGPRBlocks: 15
; NumSGPRsForWavesPerEU: 57
; NumVGPRsForWavesPerEU: 128
; AccumOffset: 128
; Occupancy: 4
; WaveLimiterHint : 1
; COMPUTE_PGM_RSRC2:SCRATCH_EN: 1
; COMPUTE_PGM_RSRC2:USER_SGPR: 2
; COMPUTE_PGM_RSRC2:TRAP_HANDLER: 0
; COMPUTE_PGM_RSRC2:TGID_X_EN: 1
; COMPUTE_PGM_RSRC2:TGID_Y_EN: 1
; COMPUTE_PGM_RSRC2:TGID_Z_EN: 1
; COMPUTE_PGM_RSRC2:TIDIG_COMP_CNT: 0
; COMPUTE_PGM_RSRC3_GFX90A:ACCUM_OFFSET: 31
; COMPUTE_PGM_RSRC3_GFX90A:TG_SPLIT: 0
	.section	.text._ZN4vllm25paged_attention_v1_kernelIffLi32ELi32ELi128ELNS_18Fp8KVCacheDataTypeE0ELb0EEEvPT_PKS2_PKT0_S8_ifPKiSA_iPKfiiiSC_SC_iiiii,"axG",@progbits,_ZN4vllm25paged_attention_v1_kernelIffLi32ELi32ELi128ELNS_18Fp8KVCacheDataTypeE0ELb0EEEvPT_PKS2_PKT0_S8_ifPKiSA_iPKfiiiSC_SC_iiiii,comdat
	.protected	_ZN4vllm25paged_attention_v1_kernelIffLi32ELi32ELi128ELNS_18Fp8KVCacheDataTypeE0ELb0EEEvPT_PKS2_PKT0_S8_ifPKiSA_iPKfiiiSC_SC_iiiii ; -- Begin function _ZN4vllm25paged_attention_v1_kernelIffLi32ELi32ELi128ELNS_18Fp8KVCacheDataTypeE0ELb0EEEvPT_PKS2_PKT0_S8_ifPKiSA_iPKfiiiSC_SC_iiiii
	.globl	_ZN4vllm25paged_attention_v1_kernelIffLi32ELi32ELi128ELNS_18Fp8KVCacheDataTypeE0ELb0EEEvPT_PKS2_PKT0_S8_ifPKiSA_iPKfiiiSC_SC_iiiii
	.p2align	8
	.type	_ZN4vllm25paged_attention_v1_kernelIffLi32ELi32ELi128ELNS_18Fp8KVCacheDataTypeE0ELb0EEEvPT_PKS2_PKT0_S8_ifPKiSA_iPKfiiiSC_SC_iiiii,@function
_ZN4vllm25paged_attention_v1_kernelIffLi32ELi32ELi128ELNS_18Fp8KVCacheDataTypeE0ELb0EEEvPT_PKS2_PKT0_S8_ifPKiSA_iPKfiiiSC_SC_iiiii: ; @_ZN4vllm25paged_attention_v1_kernelIffLi32ELi32ELi128ELNS_18Fp8KVCacheDataTypeE0ELb0EEEvPT_PKS2_PKT0_S8_ifPKiSA_iPKfiiiSC_SC_iiiii
; %bb.0:
	s_load_dword s5, s[0:1], 0x80
	s_load_dwordx2 s[6:7], s[0:1], 0x30
	s_load_dwordx2 s[8:9], s[0:1], 0x20
	s_mov_b32 s10, s3
	s_ashr_i32 s11, s3, 31
	s_lshl_b64 s[12:13], s[10:11], 2
	s_waitcnt lgkmcnt(0)
	s_add_u32 s6, s6, s12
	s_addc_u32 s7, s7, s13
	s_abs_i32 s3, s8
	v_cvt_f32_u32_e32 v1, s3
	s_sub_i32 s12, 0, s3
	s_abs_i32 s11, s5
	s_xor_b32 s8, s5, s8
	v_rcp_iflag_f32_e32 v1, v1
	s_ashr_i32 s8, s8, 31
	v_mul_f32_e32 v1, 0x4f7ffffe, v1
	v_cvt_u32_f32_e32 v1, v1
	s_nop 0
	v_readfirstlane_b32 s13, v1
	s_mul_i32 s12, s12, s13
	s_mul_hi_u32 s12, s13, s12
	s_add_i32 s13, s13, s12
	s_mul_hi_u32 s12, s11, s13
	s_mul_i32 s13, s12, s3
	s_sub_i32 s11, s11, s13
	s_add_i32 s13, s12, 1
	s_sub_i32 s14, s11, s3
	s_cmp_ge_u32 s11, s3
	s_cselect_b32 s12, s13, s12
	s_cselect_b32 s11, s14, s11
	s_add_i32 s13, s12, 1
	s_cmp_ge_u32 s11, s3
	s_cselect_b32 s3, s13, s12
	s_xor_b32 s3, s3, s8
	s_sub_i32 s14, s3, s8
	s_abs_i32 s11, s14
	v_cvt_f32_u32_e32 v1, s11
	s_load_dwordx2 s[12:13], s[0:1], 0x40
	s_sub_i32 s3, 0, s11
	s_abs_i32 s18, s2
	v_rcp_iflag_f32_e32 v1, v1
	s_mov_b32 s8, 0
	v_mul_f32_e32 v1, 0x4f7ffffe, v1
	v_cvt_u32_f32_e32 v1, v1
	s_nop 0
	v_readfirstlane_b32 s15, v1
	s_mul_i32 s3, s3, s15
	s_mul_hi_u32 s3, s15, s3
	s_add_i32 s15, s15, s3
	s_waitcnt lgkmcnt(0)
	s_cmp_eq_u64 s[12:13], 0
	s_mul_hi_u32 s19, s18, s15
	s_cbranch_scc1 .LBB45_2
; %bb.1:
	s_ashr_i32 s3, s2, 31
	s_lshl_b64 s[16:17], s[2:3], 2
	s_add_u32 s12, s12, s16
	s_addc_u32 s13, s13, s17
	s_load_dword s8, s[12:13], 0x0
.LBB45_2:
	s_load_dword s33, s[6:7], 0x0
	s_ashr_i32 s7, s14, 31
	s_load_dwordx4 s[12:15], s[0:1], 0x48
	s_ashr_i32 s6, s2, 31
	v_and_b32_e32 v20, 1, v0
	s_lshl_b32 s16, s2, 5
	v_cmp_gt_u32_e32 vcc, 16, v0
	v_lshlrev_b32_e32 v2, 3, v0
	v_lshlrev_b32_e32 v26, 2, v0
	s_and_saveexec_b64 s[2:3], vcc
	s_cbranch_execz .LBB45_4
; %bb.3:
	s_load_dwordx2 s[20:21], s[0:1], 0x8
	s_waitcnt lgkmcnt(0)
	s_mul_i32 s22, s10, s12
	s_ashr_i32 s23, s22, 31
	s_lshl_b64 s[22:23], s[22:23], 2
	v_and_b32_e32 v1, 0xff8, v26
	s_add_u32 s12, s20, s22
	s_addc_u32 s15, s21, s23
	s_ashr_i32 s17, s16, 31
	s_lshl_b64 s[20:21], s[16:17], 2
	s_add_u32 s20, s12, s20
	s_addc_u32 s21, s15, s21
	global_load_dwordx2 v[4:5], v2, s[20:21]
	v_lshl_add_u32 v1, v20, 6, v1
	s_waitcnt vmcnt(0)
	ds_write_b64 v1, v[4:5]
.LBB45_4:
	s_or_b64 exec, exec, s[2:3]
	s_waitcnt lgkmcnt(0)
	s_add_i32 s3, s33, 31
	s_ashr_i32 s12, s3, 31
	s_lshr_b32 s12, s12, 27
	s_add_i32 s3, s3, s12
	s_ashr_i32 s12, s3, 5
	s_xor_b32 s3, s6, s7
	s_mul_i32 s6, s19, s11
	s_sub_i32 s6, s18, s6
	s_add_i32 s7, s19, 1
	s_sub_i32 s15, s6, s11
	s_load_dwordx2 s[20:21], s[0:1], 0x28
	s_load_dword s2, s[0:1], 0x38
	s_cmp_ge_u32 s6, s11
	s_cselect_b32 s7, s7, s19
	s_cselect_b32 s6, s15, s6
	s_add_i32 s15, s7, 1
	s_cmp_ge_u32 s6, s11
	s_cselect_b32 s6, s15, s7
	v_lshrrev_b32_e32 v1, 6, v0
	s_xor_b32 s6, s6, s3
	s_waitcnt lgkmcnt(0)
	s_mul_i32 s22, s10, s2
	s_sub_i32 s15, s6, s3
	s_ashr_i32 s23, s22, 31
	v_cmp_gt_i32_e64 s[2:3], s12, v1
	v_cmp_le_i32_e32 vcc, s12, v1
	v_mbcnt_lo_u32_b32 v21, -1, 0
	s_barrier
	s_waitcnt lgkmcnt(0)
                                        ; implicit-def: $sgpr17
                                        ; implicit-def: $vgpr22
                                        ; implicit-def: $vgpr23
	s_and_saveexec_b64 s[6:7], vcc
	s_xor_b64 s[6:7], exec, s[6:7]
; %bb.5:
	v_mbcnt_hi_u32_b32 v22, -1, v21
	v_and_b32_e32 v2, 64, v22
	v_add_u32_e32 v23, 64, v2
	s_mov_b32 s17, 0xff7fffff
                                        ; implicit-def: $vgpr2
                                        ; implicit-def: $vgpr20
                                        ; implicit-def: $vgpr21
; %bb.6:
	s_or_saveexec_b64 s[26:27], s[6:7]
	s_load_dwordx2 s[18:19], s[0:1], 0x0
	s_load_dwordx2 s[24:25], s[0:1], 0x18
	s_load_dword s11, s[0:1], 0x88
	v_mov_b32_e32 v24, s17
	s_mul_i32 s14, s15, s14
	v_lshrrev_b32_e32 v28, 4, v0
	s_xor_b64 exec, exec, s[26:27]
	s_cbranch_execz .LBB45_12
; %bb.7:
	s_load_dwordx2 s[0:1], s[0:1], 0x10
	s_ashr_i32 s15, s14, 31
	s_lshl_b64 s[6:7], s[14:15], 2
	v_bfe_u32 v24, v0, 1, 5
	v_lshlrev_b32_e32 v30, 4, v24
	s_waitcnt lgkmcnt(0)
	s_add_u32 s0, s0, s6
	s_addc_u32 s1, s1, s7
	v_mov_b32_e32 v31, 0
	v_lshl_add_u64 v[4:5], s[0:1], 0, v[30:31]
	v_and_b32_e32 v30, 8, v2
	v_lshlrev_b32_e32 v14, 6, v20
	v_lshl_add_u64 v[18:19], v[4:5], 0, v[30:31]
	ds_read_b128 v[2:5], v14
	ds_read_b128 v[6:9], v14 offset:16
	ds_read_b128 v[10:13], v14 offset:32
	;; [unrolled: 1-line block ×3, first 2 shown]
	v_mbcnt_hi_u32_b32 v22, -1, v21
	v_and_b32_e32 v23, 64, v22
	v_xor_b32_e32 v21, 1, v22
	v_add_u32_e32 v23, 64, v23
	s_sub_i32 s15, 1, s33
	s_lshl_b64 s[6:7], s[22:23], 2
	v_lshlrev_b32_e32 v29, 2, v24
	v_cmp_lt_i32_e32 vcc, v21, v23
	s_add_u32 s6, s20, s6
	v_and_b32_e32 v30, 60, v28
	v_cndmask_b32_e32 v21, v22, v21, vcc
	v_cmp_eq_u32_e32 vcc, 0, v20
	v_lshl_or_b32 v20, v1, 7, v29
	s_addc_u32 s7, s21, s7
	s_mov_b32 s17, s13
	v_lshlrev_b32_e32 v25, 2, v21
	v_cmp_neq_f32_e64 s[0:1], s8, 0
	v_lshl_or_b32 v27, v1, 5, v24
	v_add_u32_e32 v29, 0x90, v20
	v_lshl_add_u64 v[20:21], s[6:7], 0, v[30:31]
	s_mov_b64 s[28:29], 0
	v_mov_b32_e32 v24, 0xff7fffff
	v_mov_b32_e32 v30, v1
	s_branch .LBB45_9
.LBB45_8:                               ;   in Loop: Header=BB45_9 Depth=1
	s_or_b64 exec, exec, s[30:31]
	v_add_u32_e32 v30, 2, v30
	v_cmp_le_i32_e64 s[6:7], s12, v30
	v_add_u32_e32 v27, 64, v27
	v_add_u32_e32 v29, 0x100, v29
	s_or_b64 s[28:29], s[6:7], s[28:29]
	v_lshl_add_u64 v[20:21], v[20:21], 0, 8
	s_andn2_b64 exec, exec, s[28:29]
	s_cbranch_execz .LBB45_11
.LBB45_9:                               ; =>This Inner Loop Header: Depth=1
	global_load_dword v31, v[20:21], off
	s_waitcnt vmcnt(0) lgkmcnt(0)
	v_mad_i64_i32 v[32:33], s[6:7], v31, s17, 0
	v_lshl_add_u64 v[32:33], v[32:33], 2, v[18:19]
	global_load_dwordx2 v[34:35], v[32:33], off offset:512
	global_load_dwordx2 v[36:37], v[32:33], off
	global_load_dwordx2 v[38:39], v[32:33], off offset:1024
	global_load_dwordx2 v[40:41], v[32:33], off offset:1536
	;; [unrolled: 1-line block ×6, first 2 shown]
	s_waitcnt vmcnt(7) lgkmcnt(3)
	v_mul_f32_e32 v31, v4, v34
	v_mul_f32_e32 v32, v5, v35
	s_waitcnt vmcnt(6)
	v_fmac_f32_e32 v31, v2, v36
	v_fmac_f32_e32 v32, v3, v37
	s_waitcnt vmcnt(5) lgkmcnt(2)
	v_fmac_f32_e32 v31, v6, v38
	v_fmac_f32_e32 v32, v7, v39
	s_waitcnt vmcnt(4)
	v_fmac_f32_e32 v31, v8, v40
	v_fmac_f32_e32 v32, v9, v41
	s_waitcnt vmcnt(3) lgkmcnt(1)
	v_fmac_f32_e32 v31, v10, v42
	v_fmac_f32_e32 v32, v11, v43
	;; [unrolled: 6-line block ×3, first 2 shown]
	s_waitcnt vmcnt(0)
	v_fmac_f32_e32 v31, v16, v48
	v_fmac_f32_e32 v32, v17, v49
	v_add_f32_e32 v31, v31, v32
	ds_bpermute_b32 v32, v25, v31
	s_and_saveexec_b64 s[30:31], vcc
	s_cbranch_execz .LBB45_8
; %bb.10:                               ;   in Loop: Header=BB45_9 Depth=1
	v_add_u32_e32 v33, s15, v27
	v_cvt_f32_i32_e32 v33, v33
	s_waitcnt lgkmcnt(0)
	v_add_f32_e32 v31, v31, v32
	v_cmp_gt_i32_e64 s[6:7], s33, v27
	v_max_f32_e32 v32, v24, v24
	v_mul_f32_e32 v33, s8, v33
	v_cndmask_b32_e64 v33, 0, v33, s[0:1]
	v_fmac_f32_e32 v33, s9, v31
	v_cndmask_b32_e64 v31, 0, v33, s[6:7]
	ds_write_b32 v29, v31
	v_max_f32_e32 v31, v32, v33
	v_cndmask_b32_e64 v24, v24, v31, s[6:7]
	s_branch .LBB45_8
.LBB45_11:
	s_or_b64 exec, exec, s[28:29]
.LBB45_12:
	s_or_b64 exec, exec, s[26:27]
	v_xor_b32_e32 v2, 32, v22
	v_cmp_lt_i32_e32 vcc, v2, v23
	v_xor_b32_e32 v5, 16, v22
	v_max_f32_e32 v4, v24, v24
	v_cndmask_b32_e32 v2, v22, v2, vcc
	v_lshlrev_b32_e32 v2, 2, v2
	ds_bpermute_b32 v3, v2, v24
	v_cmp_lt_i32_e32 vcc, v5, v23
	v_xor_b32_e32 v6, 8, v22
	v_xor_b32_e32 v7, 4, v22
	v_and_b32_e32 v30, 63, v0
	s_waitcnt lgkmcnt(0)
	v_max_f32_e32 v3, v3, v3
	v_max_f32_e32 v4, v4, v3
	v_cndmask_b32_e32 v3, v22, v5, vcc
	v_lshlrev_b32_e32 v3, 2, v3
	ds_bpermute_b32 v5, v3, v4
	v_cmp_lt_i32_e32 vcc, v6, v23
	s_waitcnt lgkmcnt(0)
	v_max_f32_e32 v5, v5, v5
	v_max_f32_e32 v5, v4, v5
	v_cndmask_b32_e32 v4, v22, v6, vcc
	v_lshlrev_b32_e32 v4, 2, v4
	ds_bpermute_b32 v6, v4, v5
	v_cmp_lt_i32_e32 vcc, v7, v23
	s_waitcnt lgkmcnt(0)
	v_max_f32_e32 v6, v6, v6
	v_max_f32_e32 v5, v5, v6
	v_cndmask_b32_e32 v6, v22, v7, vcc
	v_lshlrev_b32_e32 v32, 2, v6
	ds_bpermute_b32 v6, v32, v5
	v_xor_b32_e32 v7, 2, v22
	v_cmp_lt_i32_e32 vcc, v7, v23
	s_waitcnt lgkmcnt(0)
	v_max_f32_e32 v6, v6, v6
	v_max_f32_e32 v6, v5, v6
	v_cndmask_b32_e32 v5, v22, v7, vcc
	v_lshlrev_b32_e32 v31, 2, v5
	ds_bpermute_b32 v7, v31, v6
	v_cmp_eq_u32_e32 vcc, 0, v30
	v_lshlrev_b32_e32 v5, 2, v1
	s_and_saveexec_b64 s[0:1], vcc
	s_cbranch_execz .LBB45_14
; %bb.13:
	s_waitcnt lgkmcnt(0)
	v_max_f32_e32 v7, v7, v7
	v_max_f32_e32 v6, v6, v6
	;; [unrolled: 1-line block ×3, first 2 shown]
	ds_write_b32 v5, v6 offset:128
.LBB45_14:
	s_or_b64 exec, exec, s[0:1]
	v_cmp_gt_u32_e64 s[0:1], 2, v30
	s_waitcnt lgkmcnt(0)
	v_mov_b32_e32 v7, 0xff7fffff
	v_lshlrev_b32_e32 v6, 2, v30
	s_barrier
	s_and_saveexec_b64 s[6:7], s[0:1]
	s_cbranch_execz .LBB45_16
; %bb.15:
	ds_read_b32 v7, v6 offset:128
.LBB45_16:
	s_or_b64 exec, exec, s[6:7]
	v_xor_b32_e32 v8, 1, v22
	v_cmp_lt_i32_e64 s[6:7], v8, v23
	v_lshlrev_b32_e32 v9, 2, v22
	s_nop 0
	v_cndmask_b32_e64 v8, v22, v8, s[6:7]
	v_lshlrev_b32_e32 v33, 2, v8
	s_waitcnt lgkmcnt(0)
	ds_bpermute_b32 v8, v33, v7
	v_max_f32_e32 v7, v7, v7
	s_lshl_b32 s6, s12, 5
	s_min_i32 s15, s6, s33
	v_cmp_gt_i32_e64 s[6:7], s15, v0
	s_waitcnt lgkmcnt(0)
	v_max_f32_e32 v8, v8, v8
	v_max_f32_e32 v8, v7, v8
	v_and_b32_e32 v7, 0xffffff00, v9
	ds_bpermute_b32 v9, v7, v8
	v_mov_b32_e32 v8, 0
	s_and_saveexec_b64 s[26:27], s[6:7]
	s_cbranch_execz .LBB45_20
; %bb.17:
	v_mov_b32_e32 v8, 0x90
	v_lshl_add_u32 v10, v0, 2, v8
	s_mov_b64 s[28:29], 0
	v_mov_b32_e32 v8, 0
	v_mov_b32_e32 v11, v0
.LBB45_18:                              ; =>This Inner Loop Header: Depth=1
	ds_read_b32 v12, v10
	v_add_u32_e32 v11, 0x80, v11
	v_cmp_le_i32_e64 s[8:9], s15, v11
	s_or_b64 s[28:29], s[8:9], s[28:29]
	s_waitcnt lgkmcnt(0)
	v_sub_f32_e32 v12, v12, v9
	v_mul_f32_e32 v12, 0x3fb8aa3b, v12
	v_exp_f32_e32 v12, v12
	ds_write_b32 v10, v12
	v_add_f32_e32 v8, v8, v12
	v_add_u32_e32 v10, 0x200, v10
	s_andn2_b64 exec, exec, s[28:29]
	s_cbranch_execnz .LBB45_18
; %bb.19:
	s_or_b64 exec, exec, s[28:29]
.LBB45_20:
	s_or_b64 exec, exec, s[26:27]
	ds_bpermute_b32 v2, v2, v8
	s_waitcnt lgkmcnt(0)
	v_add_f32_e32 v2, v8, v2
	ds_bpermute_b32 v3, v3, v2
	s_waitcnt lgkmcnt(0)
	v_add_f32_e32 v2, v2, v3
	;; [unrolled: 3-line block ×6, first 2 shown]
	s_and_saveexec_b64 s[8:9], vcc
	s_cbranch_execz .LBB45_22
; %bb.21:
	ds_write_b32 v5, v2 offset:136
.LBB45_22:
	s_or_b64 exec, exec, s[8:9]
	s_waitcnt lgkmcnt(0)
	s_barrier
	s_and_saveexec_b64 s[8:9], s[0:1]
	s_cbranch_execz .LBB45_24
; %bb.23:
	ds_read_b32 v2, v6 offset:136
.LBB45_24:
	s_or_b64 exec, exec, s[8:9]
	s_waitcnt lgkmcnt(0)
	ds_bpermute_b32 v3, v33, v2
	s_waitcnt lgkmcnt(0)
	v_add_f32_e32 v2, v2, v3
	ds_bpermute_b32 v2, v7, v2
	s_and_saveexec_b64 s[0:1], s[6:7]
	s_cbranch_execz .LBB45_37
; %bb.25:
	s_waitcnt lgkmcnt(0)
	v_add_f32_e32 v2, 0x358637bd, v2
	v_div_scale_f32 v3, s[6:7], v2, v2, 1.0
	v_rcp_f32_e32 v4, v3
	v_div_scale_f32 v5, vcc, 1.0, v2, 1.0
	s_movk_i32 s6, 0x7f
	v_fma_f32 v6, -v3, v4, 1.0
	v_fmac_f32_e32 v4, v6, v4
	v_mul_f32_e32 v6, v5, v4
	v_fma_f32 v7, -v3, v6, v5
	v_fmac_f32_e32 v6, v7, v4
	v_fma_f32 v3, -v3, v6, v5
	v_div_fmas_f32 v3, v3, v4, v6
	v_xad_u32 v4, v0, -1, s15
	v_div_fixup_f32 v2, v3, v2, 1.0
	v_cmp_lt_u32_e32 vcc, s6, v4
	s_mov_b64 s[8:9], -1
	v_mov_b32_e32 v3, v0
	s_and_saveexec_b64 s[6:7], vcc
	s_cbranch_execz .LBB45_34
; %bb.26:
	v_lshrrev_b32_e32 v4, 7, v4
	v_add_u32_e32 v6, -1, v4
	v_lshrrev_b32_e32 v5, 1, v6
	v_mov_b32_e32 v3, v2
	v_add_u32_e32 v5, 1, v5
	v_cmp_lt_u32_e32 vcc, 13, v6
	v_mov_b32_e32 v8, 0
	s_and_saveexec_b64 s[8:9], vcc
	s_cbranch_execz .LBB45_30
; %bb.27:
	v_mov_b32_e32 v7, 0x90
	v_and_b32_e32 v6, -8, v5
	v_lshl_add_u32 v7, v0, 2, v7
	s_mov_b32 s17, 0
	s_mov_b64 s[26:27], 0
.LBB45_28:                              ; =>This Inner Loop Header: Depth=1
	ds_read2st64_b32 v[8:9], v7 offset1:2
	ds_read2st64_b32 v[10:11], v7 offset0:4 offset1:6
	ds_read2st64_b32 v[12:13], v7 offset0:8 offset1:10
	ds_read2st64_b32 v[14:15], v7 offset0:12 offset1:14
	v_add_u32_e32 v6, -8, v6
	s_waitcnt lgkmcnt(3)
	v_pk_mul_f32 v[8:9], v[2:3], v[8:9]
	s_waitcnt lgkmcnt(2)
	v_pk_mul_f32 v[10:11], v[2:3], v[10:11]
	ds_write2st64_b32 v7, v8, v9 offset1:2
	ds_write2st64_b32 v7, v10, v11 offset0:4 offset1:6
	ds_read2st64_b32 v[10:11], v7 offset0:16 offset1:18
	s_waitcnt lgkmcnt(4)
	v_pk_mul_f32 v[8:9], v[2:3], v[12:13]
	ds_write2st64_b32 v7, v8, v9 offset0:8 offset1:10
	s_waitcnt lgkmcnt(4)
	v_pk_mul_f32 v[8:9], v[2:3], v[14:15]
	ds_write2st64_b32 v7, v8, v9 offset0:12 offset1:14
	ds_read2st64_b32 v[8:9], v7 offset0:20 offset1:22
	s_waitcnt lgkmcnt(3)
	v_pk_mul_f32 v[10:11], v[2:3], v[10:11]
	ds_read2st64_b32 v[12:13], v7 offset0:24 offset1:26
	ds_write2st64_b32 v7, v10, v11 offset0:16 offset1:18
	ds_read2st64_b32 v[10:11], v7 offset0:28 offset1:30
	s_waitcnt lgkmcnt(3)
	v_pk_mul_f32 v[8:9], v[2:3], v[8:9]
	ds_write2st64_b32 v7, v8, v9 offset0:20 offset1:22
	s_waitcnt lgkmcnt(3)
	v_pk_mul_f32 v[8:9], v[2:3], v[12:13]
	ds_write2st64_b32 v7, v8, v9 offset0:24 offset1:26
	s_waitcnt lgkmcnt(2)
	v_pk_mul_f32 v[8:9], v[2:3], v[10:11]
	s_add_i32 s17, s17, 16
	v_cmp_eq_u32_e32 vcc, 0, v6
	ds_write2st64_b32 v7, v8, v9 offset0:28 offset1:30
	v_add_u32_e32 v7, 0x2000, v7
	s_or_b64 s[26:27], vcc, s[26:27]
	v_mov_b32_e32 v8, s17
	s_andn2_b64 exec, exec, s[26:27]
	s_cbranch_execnz .LBB45_28
; %bb.29:
	s_or_b64 exec, exec, s[26:27]
.LBB45_30:
	s_or_b64 exec, exec, s[8:9]
	v_and_b32_e32 v5, 7, v5
	v_cmp_ne_u32_e32 vcc, 0, v5
	s_and_saveexec_b64 s[8:9], vcc
	s_cbranch_execz .LBB45_33
; %bb.31:
	v_lshlrev_b32_e32 v6, 9, v8
	s_movk_i32 s17, 0x90
	v_add3_u32 v6, v6, v26, s17
	s_mov_b64 s[26:27], 0
.LBB45_32:                              ; =>This Inner Loop Header: Depth=1
	ds_read2st64_b32 v[8:9], v6 offset1:2
	v_add_u32_e32 v5, -1, v5
	v_cmp_eq_u32_e32 vcc, 0, v5
	s_or_b64 s[26:27], vcc, s[26:27]
	s_waitcnt lgkmcnt(0)
	v_pk_mul_f32 v[8:9], v[2:3], v[8:9]
	ds_write2st64_b32 v6, v8, v9 offset1:2
	v_add_u32_e32 v6, 0x400, v6
	s_andn2_b64 exec, exec, s[26:27]
	s_cbranch_execnz .LBB45_32
.LBB45_33:
	s_or_b64 exec, exec, s[8:9]
	v_add_u32_e32 v4, 1, v4
	v_and_b32_e32 v5, 0x3fffffe, v4
	v_cmp_ne_u32_e32 vcc, v4, v5
	v_lshl_add_u32 v3, v5, 7, v0
	s_orn2_b64 s[8:9], vcc, exec
.LBB45_34:
	s_or_b64 exec, exec, s[6:7]
	s_and_b64 exec, exec, s[8:9]
	s_cbranch_execz .LBB45_37
; %bb.35:
	v_mov_b32_e32 v4, 0x90
	v_lshl_add_u32 v4, v3, 2, v4
	s_mov_b64 s[6:7], 0
.LBB45_36:                              ; =>This Inner Loop Header: Depth=1
	ds_read_b32 v5, v4
	v_add_u32_e32 v3, 0x80, v3
	v_cmp_le_i32_e32 vcc, s15, v3
	s_or_b64 s[6:7], vcc, s[6:7]
	s_waitcnt lgkmcnt(0)
	v_mul_f32_e32 v5, v2, v5
	ds_write_b32 v4, v5
	v_add_u32_e32 v4, 0x200, v4
	s_andn2_b64 exec, exec, s[6:7]
	s_cbranch_execnz .LBB45_36
.LBB45_37:
	s_or_b64 exec, exec, s[0:1]
	v_mov_b32_e32 v25, 0
	v_and_b32_e32 v34, 7, v0
	v_mov_b32_e32 v24, 0
	v_mov_b32_e32 v23, 0
	;; [unrolled: 1-line block ×3, first 2 shown]
	s_waitcnt lgkmcnt(0)
	s_barrier
	s_and_saveexec_b64 s[6:7], s[2:3]
	s_cbranch_execz .LBB45_49
; %bb.38:
	s_ashr_i32 s15, s14, 31
	s_lshl_b64 s[0:1], s[14:15], 2
	s_add_u32 s0, s24, s0
	v_lshlrev_b32_e32 v3, 4, v0
	s_addc_u32 s1, s25, s1
	v_and_b32_e32 v22, 0x3f0, v3
	v_mov_b32_e32 v23, 0
	v_and_b32_e32 v2, 28, v26
	s_add_i32 s14, s12, -1
	v_lshl_add_u64 v[26:27], s[0:1], 0, v[22:23]
	v_lshlrev_b32_e32 v3, 5, v1
	s_lshl_b64 s[0:1], s[22:23], 2
	v_or3_b32 v35, v3, v2, 3
	v_lshlrev_b32_e32 v2, 4, v34
	s_add_u32 s0, s20, s0
	v_lshl_or_b32 v2, v1, 7, v2
	v_and_b32_e32 v22, 60, v28
	s_addc_u32 s1, s21, s1
	v_add_u32_e32 v36, 0x90, v2
	v_lshl_add_u64 v[28:29], s[0:1], 0, v[22:23]
	s_mov_b64 s[2:3], 0
	v_mov_b32_e32 v22, v23
	v_mov_b32_e32 v24, v23
	;; [unrolled: 1-line block ×3, first 2 shown]
	s_branch .LBB45_40
.LBB45_39:                              ;   in Loop: Header=BB45_40 Depth=1
	s_or_b64 exec, exec, s[0:1]
	s_waitcnt vmcnt(3) lgkmcnt(0)
	v_mul_f32_e32 v7, v3, v7
	v_fmac_f32_e32 v7, v2, v6
	s_waitcnt vmcnt(2)
	v_mul_f32_e32 v6, v3, v11
	v_fmac_f32_e32 v6, v2, v10
	v_fmac_f32_e32 v6, v4, v12
	v_fmac_f32_e32 v6, v5, v13
	v_add_f32_e32 v23, v23, v6
	s_waitcnt vmcnt(1)
	v_mul_f32_e32 v6, v3, v15
	s_waitcnt vmcnt(0)
	v_mul_f32_e32 v3, v3, v19
	v_fmac_f32_e32 v6, v2, v14
	v_fmac_f32_e32 v3, v2, v18
	;; [unrolled: 1-line block ×5, first 2 shown]
	v_add_u32_e32 v1, 2, v1
	v_fmac_f32_e32 v7, v5, v9
	v_fmac_f32_e32 v6, v5, v17
	;; [unrolled: 1-line block ×3, first 2 shown]
	v_cmp_le_i32_e32 vcc, s12, v1
	v_add_f32_e32 v22, v22, v7
	v_add_f32_e32 v24, v24, v6
	;; [unrolled: 1-line block ×3, first 2 shown]
	v_add_u32_e32 v35, 64, v35
	v_add_u32_e32 v36, 0x100, v36
	s_or_b64 s[2:3], vcc, s[2:3]
	v_lshl_add_u64 v[28:29], v[28:29], 0, 8
	s_andn2_b64 exec, exec, s[2:3]
	s_cbranch_execz .LBB45_48
.LBB45_40:                              ; =>This Inner Loop Header: Depth=1
	global_load_dword v2, v[28:29], off
	v_add_u32_e32 v37, -3, v35
	v_cmp_eq_u32_e32 vcc, s14, v1
	v_add_u32_e32 v39, -2, v35
	v_add_u32_e32 v38, -1, v35
	s_waitcnt vmcnt(0)
	v_mad_i64_i32 v[2:3], s[0:1], v2, s13, 0
	v_lshl_add_u64 v[18:19], v[2:3], 2, v[26:27]
	global_load_dwordx4 v[6:9], v[18:19], off
	ds_read_b128 v[2:5], v36
	s_and_saveexec_b64 s[8:9], vcc
	s_cbranch_execnz .LBB45_44
; %bb.41:                               ;   in Loop: Header=BB45_40 Depth=1
	s_or_b64 exec, exec, s[8:9]
	global_load_dwordx4 v[10:13], v[18:19], off offset:1024
	s_and_saveexec_b64 s[8:9], vcc
	s_cbranch_execnz .LBB45_45
.LBB45_42:                              ;   in Loop: Header=BB45_40 Depth=1
	s_or_b64 exec, exec, s[8:9]
	global_load_dwordx4 v[14:17], v[18:19], off offset:2048
	s_and_saveexec_b64 s[8:9], vcc
	s_cbranch_execnz .LBB45_46
.LBB45_43:                              ;   in Loop: Header=BB45_40 Depth=1
	s_or_b64 exec, exec, s[8:9]
	global_load_dwordx4 v[18:21], v[18:19], off offset:3072
	s_and_saveexec_b64 s[0:1], vcc
	s_cbranch_execz .LBB45_39
	s_branch .LBB45_47
.LBB45_44:                              ;   in Loop: Header=BB45_40 Depth=1
	v_cmp_gt_i32_e64 s[0:1], s33, v37
	s_waitcnt vmcnt(0)
	s_nop 0
	v_cndmask_b32_e64 v6, 0, v6, s[0:1]
	v_cmp_gt_i32_e64 s[0:1], s33, v39
	s_nop 1
	v_cndmask_b32_e64 v7, 0, v7, s[0:1]
	v_cmp_gt_i32_e64 s[0:1], s33, v38
	s_nop 1
	v_cndmask_b32_e64 v8, 0, v8, s[0:1]
	v_cmp_gt_i32_e64 s[0:1], s33, v35
	s_nop 1
	v_cndmask_b32_e64 v9, 0, v9, s[0:1]
	s_or_b64 exec, exec, s[8:9]
	global_load_dwordx4 v[10:13], v[18:19], off offset:1024
	s_and_saveexec_b64 s[8:9], vcc
	s_cbranch_execz .LBB45_42
.LBB45_45:                              ;   in Loop: Header=BB45_40 Depth=1
	v_cmp_gt_i32_e64 s[0:1], s33, v37
	s_waitcnt vmcnt(0)
	s_nop 0
	v_cndmask_b32_e64 v10, 0, v10, s[0:1]
	v_cmp_gt_i32_e64 s[0:1], s33, v39
	s_nop 1
	v_cndmask_b32_e64 v11, 0, v11, s[0:1]
	v_cmp_gt_i32_e64 s[0:1], s33, v38
	;; [unrolled: 3-line block ×3, first 2 shown]
	s_nop 1
	v_cndmask_b32_e64 v13, 0, v13, s[0:1]
	s_or_b64 exec, exec, s[8:9]
	global_load_dwordx4 v[14:17], v[18:19], off offset:2048
	s_and_saveexec_b64 s[8:9], vcc
	s_cbranch_execz .LBB45_43
.LBB45_46:                              ;   in Loop: Header=BB45_40 Depth=1
	v_cmp_gt_i32_e64 s[0:1], s33, v37
	s_waitcnt vmcnt(0)
	s_nop 0
	v_cndmask_b32_e64 v14, 0, v14, s[0:1]
	v_cmp_gt_i32_e64 s[0:1], s33, v39
	s_nop 1
	v_cndmask_b32_e64 v15, 0, v15, s[0:1]
	v_cmp_gt_i32_e64 s[0:1], s33, v38
	;; [unrolled: 3-line block ×3, first 2 shown]
	s_nop 1
	v_cndmask_b32_e64 v17, 0, v17, s[0:1]
	s_or_b64 exec, exec, s[8:9]
	global_load_dwordx4 v[18:21], v[18:19], off offset:3072
	s_and_saveexec_b64 s[0:1], vcc
	s_cbranch_execz .LBB45_39
.LBB45_47:                              ;   in Loop: Header=BB45_40 Depth=1
	v_cmp_gt_i32_e32 vcc, s33, v37
	s_waitcnt vmcnt(0)
	s_nop 0
	v_cndmask_b32_e32 v18, 0, v18, vcc
	v_cmp_gt_i32_e32 vcc, s33, v39
	s_nop 1
	v_cndmask_b32_e32 v19, 0, v19, vcc
	v_cmp_gt_i32_e32 vcc, s33, v38
	;; [unrolled: 3-line block ×3, first 2 shown]
	s_nop 1
	v_cndmask_b32_e32 v21, 0, v21, vcc
	s_branch .LBB45_39
.LBB45_48:
	s_or_b64 exec, exec, s[2:3]
.LBB45_49:
	s_or_b64 exec, exec, s[6:7]
	ds_bpermute_b32 v2, v32, v22
	ds_bpermute_b32 v3, v32, v23
	;; [unrolled: 1-line block ×4, first 2 shown]
	v_and_b32_e32 v1, 0x3c7, v0
	v_cmp_eq_u32_e32 vcc, 64, v1
	s_waitcnt lgkmcnt(2)
	v_pk_add_f32 v[2:3], v[22:23], v[2:3]
	ds_bpermute_b32 v6, v31, v2
	s_waitcnt lgkmcnt(1)
	v_pk_add_f32 v[4:5], v[24:25], v[4:5]
	ds_bpermute_b32 v7, v31, v3
	ds_bpermute_b32 v8, v31, v4
	;; [unrolled: 1-line block ×3, first 2 shown]
	s_waitcnt lgkmcnt(0)
	s_barrier
	v_pk_add_f32 v[2:3], v[2:3], v[6:7]
	ds_bpermute_b32 v6, v33, v2
	v_pk_add_f32 v[4:5], v[4:5], v[8:9]
	ds_bpermute_b32 v7, v33, v3
	ds_bpermute_b32 v8, v33, v4
	;; [unrolled: 1-line block ×3, first 2 shown]
	s_waitcnt lgkmcnt(0)
	v_pk_add_f32 v[2:3], v[2:3], v[6:7]
	v_pk_add_f32 v[4:5], v[4:5], v[8:9]
	s_and_saveexec_b64 s[0:1], vcc
	s_cbranch_execz .LBB45_51
; %bb.50:
	v_lshrrev_b32_e32 v6, 1, v30
	v_add_u32_e32 v6, 0x90, v6
	ds_write2_b32 v6, v2, v3 offset1:8
	ds_write2_b32 v6, v4, v5 offset0:16 offset1:24
.LBB45_51:
	s_or_b64 exec, exec, s[0:1]
	v_cmp_gt_u32_e32 vcc, 64, v0
	s_waitcnt lgkmcnt(0)
	s_barrier
	s_and_saveexec_b64 s[0:1], vcc
	s_cbranch_execz .LBB45_58
; %bb.52:
	v_cmp_eq_u32_e32 vcc, 0, v34
	v_lshrrev_b32_e32 v6, 3, v0
	s_and_saveexec_b64 s[2:3], vcc
	s_cbranch_execnz .LBB45_61
; %bb.53:
	s_or_b64 exec, exec, s[2:3]
	s_and_saveexec_b64 s[2:3], vcc
	s_cbranch_execnz .LBB45_62
.LBB45_54:
	s_or_b64 exec, exec, s[2:3]
	s_and_saveexec_b64 s[2:3], vcc
	s_cbranch_execnz .LBB45_63
.LBB45_55:
	s_or_b64 exec, exec, s[2:3]
	s_and_saveexec_b64 s[2:3], vcc
	s_cbranch_execz .LBB45_57
.LBB45_56:
	v_mov_b32_e32 v7, 0x90
	v_lshl_add_u32 v6, v6, 2, v7
	ds_read_b32 v6, v6 offset:96
	s_waitcnt lgkmcnt(0)
	v_add_f32_e32 v5, v5, v6
.LBB45_57:
	s_or_b64 exec, exec, s[2:3]
.LBB45_58:
	s_or_b64 exec, exec, s[0:1]
	v_cmp_eq_u32_e32 vcc, 0, v1
	s_barrier
	s_and_saveexec_b64 s[0:1], vcc
	s_cbranch_execz .LBB45_60
; %bb.59:
	s_mul_i32 s0, s10, s11
	s_mul_i32 s0, s0, s5
	s_lshl_b32 s0, s0, 5
	s_ashr_i32 s1, s0, 31
	s_lshl_b64 s[0:1], s[0:1], 2
	s_add_u32 s2, s18, s0
	s_mul_i32 s0, s11, s16
	s_addc_u32 s3, s19, s1
	s_ashr_i32 s1, s0, 31
	s_lshl_b64 s[0:1], s[0:1], 2
	s_add_u32 s2, s2, s0
	s_addc_u32 s3, s3, s1
	s_lshl_b32 s0, s4, 5
	s_ashr_i32 s1, s0, 31
	s_lshl_b64 s[0:1], s[0:1], 2
	s_add_u32 s0, s2, s0
	s_addc_u32 s1, s3, s1
	v_lshrrev_b32_e32 v0, 1, v0
	global_store_dword v0, v2, s[0:1]
	global_store_dword v0, v3, s[0:1] offset:32
	global_store_dword v0, v4, s[0:1] offset:64
	;; [unrolled: 1-line block ×3, first 2 shown]
.LBB45_60:
	s_endpgm
.LBB45_61:
	v_mov_b32_e32 v7, 0x90
	v_lshl_add_u32 v7, v6, 2, v7
	ds_read_b32 v7, v7
	s_waitcnt lgkmcnt(0)
	v_add_f32_e32 v2, v2, v7
	s_or_b64 exec, exec, s[2:3]
	s_and_saveexec_b64 s[2:3], vcc
	s_cbranch_execz .LBB45_54
.LBB45_62:
	v_mov_b32_e32 v7, 0x90
	v_lshl_add_u32 v7, v6, 2, v7
	ds_read_b32 v7, v7 offset:32
	s_waitcnt lgkmcnt(0)
	v_add_f32_e32 v3, v3, v7
	s_or_b64 exec, exec, s[2:3]
	s_and_saveexec_b64 s[2:3], vcc
	s_cbranch_execz .LBB45_55
.LBB45_63:
	v_mov_b32_e32 v7, 0x90
	v_lshl_add_u32 v7, v6, 2, v7
	ds_read_b32 v7, v7 offset:64
	s_waitcnt lgkmcnt(0)
	v_add_f32_e32 v4, v4, v7
	s_or_b64 exec, exec, s[2:3]
	s_and_saveexec_b64 s[2:3], vcc
	s_cbranch_execnz .LBB45_56
	s_branch .LBB45_57
	.section	.rodata,"a",@progbits
	.p2align	6, 0x0
	.amdhsa_kernel _ZN4vllm25paged_attention_v1_kernelIffLi32ELi32ELi128ELNS_18Fp8KVCacheDataTypeE0ELb0EEEvPT_PKS2_PKT0_S8_ifPKiSA_iPKfiiiSC_SC_iiiii
		.amdhsa_group_segment_fixed_size 144
		.amdhsa_private_segment_fixed_size 0
		.amdhsa_kernarg_size 384
		.amdhsa_user_sgpr_count 2
		.amdhsa_user_sgpr_dispatch_ptr 0
		.amdhsa_user_sgpr_queue_ptr 0
		.amdhsa_user_sgpr_kernarg_segment_ptr 1
		.amdhsa_user_sgpr_dispatch_id 0
		.amdhsa_user_sgpr_kernarg_preload_length 0
		.amdhsa_user_sgpr_kernarg_preload_offset 0
		.amdhsa_user_sgpr_private_segment_size 0
		.amdhsa_uses_dynamic_stack 0
		.amdhsa_enable_private_segment 0
		.amdhsa_system_sgpr_workgroup_id_x 1
		.amdhsa_system_sgpr_workgroup_id_y 1
		.amdhsa_system_sgpr_workgroup_id_z 1
		.amdhsa_system_sgpr_workgroup_info 0
		.amdhsa_system_vgpr_workitem_id 0
		.amdhsa_next_free_vgpr 50
		.amdhsa_next_free_sgpr 34
		.amdhsa_accum_offset 52
		.amdhsa_reserve_vcc 1
		.amdhsa_float_round_mode_32 0
		.amdhsa_float_round_mode_16_64 0
		.amdhsa_float_denorm_mode_32 3
		.amdhsa_float_denorm_mode_16_64 3
		.amdhsa_dx10_clamp 1
		.amdhsa_ieee_mode 1
		.amdhsa_fp16_overflow 0
		.amdhsa_tg_split 0
		.amdhsa_exception_fp_ieee_invalid_op 0
		.amdhsa_exception_fp_denorm_src 0
		.amdhsa_exception_fp_ieee_div_zero 0
		.amdhsa_exception_fp_ieee_overflow 0
		.amdhsa_exception_fp_ieee_underflow 0
		.amdhsa_exception_fp_ieee_inexact 0
		.amdhsa_exception_int_div_zero 0
	.end_amdhsa_kernel
	.section	.text._ZN4vllm25paged_attention_v1_kernelIffLi32ELi32ELi128ELNS_18Fp8KVCacheDataTypeE0ELb0EEEvPT_PKS2_PKT0_S8_ifPKiSA_iPKfiiiSC_SC_iiiii,"axG",@progbits,_ZN4vllm25paged_attention_v1_kernelIffLi32ELi32ELi128ELNS_18Fp8KVCacheDataTypeE0ELb0EEEvPT_PKS2_PKT0_S8_ifPKiSA_iPKfiiiSC_SC_iiiii,comdat
.Lfunc_end45:
	.size	_ZN4vllm25paged_attention_v1_kernelIffLi32ELi32ELi128ELNS_18Fp8KVCacheDataTypeE0ELb0EEEvPT_PKS2_PKT0_S8_ifPKiSA_iPKfiiiSC_SC_iiiii, .Lfunc_end45-_ZN4vllm25paged_attention_v1_kernelIffLi32ELi32ELi128ELNS_18Fp8KVCacheDataTypeE0ELb0EEEvPT_PKS2_PKT0_S8_ifPKiSA_iPKfiiiSC_SC_iiiii
                                        ; -- End function
	.section	.AMDGPU.csdata,"",@progbits
; Kernel info:
; codeLenInByte = 3908
; NumSgprs: 40
; NumVgprs: 50
; NumAgprs: 0
; TotalNumVgprs: 50
; ScratchSize: 0
; MemoryBound: 0
; FloatMode: 240
; IeeeMode: 1
; LDSByteSize: 144 bytes/workgroup (compile time only)
; SGPRBlocks: 4
; VGPRBlocks: 6
; NumSGPRsForWavesPerEU: 40
; NumVGPRsForWavesPerEU: 50
; AccumOffset: 52
; Occupancy: 8
; WaveLimiterHint : 1
; COMPUTE_PGM_RSRC2:SCRATCH_EN: 0
; COMPUTE_PGM_RSRC2:USER_SGPR: 2
; COMPUTE_PGM_RSRC2:TRAP_HANDLER: 0
; COMPUTE_PGM_RSRC2:TGID_X_EN: 1
; COMPUTE_PGM_RSRC2:TGID_Y_EN: 1
; COMPUTE_PGM_RSRC2:TGID_Z_EN: 1
; COMPUTE_PGM_RSRC2:TIDIG_COMP_CNT: 0
; COMPUTE_PGM_RSRC3_GFX90A:ACCUM_OFFSET: 12
; COMPUTE_PGM_RSRC3_GFX90A:TG_SPLIT: 0
	.section	.text._ZN4vllm25paged_attention_v1_kernelIffLi64ELi32ELi128ELNS_18Fp8KVCacheDataTypeE0ELb0EEEvPT_PKS2_PKT0_S8_ifPKiSA_iPKfiiiSC_SC_iiiii,"axG",@progbits,_ZN4vllm25paged_attention_v1_kernelIffLi64ELi32ELi128ELNS_18Fp8KVCacheDataTypeE0ELb0EEEvPT_PKS2_PKT0_S8_ifPKiSA_iPKfiiiSC_SC_iiiii,comdat
	.protected	_ZN4vllm25paged_attention_v1_kernelIffLi64ELi32ELi128ELNS_18Fp8KVCacheDataTypeE0ELb0EEEvPT_PKS2_PKT0_S8_ifPKiSA_iPKfiiiSC_SC_iiiii ; -- Begin function _ZN4vllm25paged_attention_v1_kernelIffLi64ELi32ELi128ELNS_18Fp8KVCacheDataTypeE0ELb0EEEvPT_PKS2_PKT0_S8_ifPKiSA_iPKfiiiSC_SC_iiiii
	.globl	_ZN4vllm25paged_attention_v1_kernelIffLi64ELi32ELi128ELNS_18Fp8KVCacheDataTypeE0ELb0EEEvPT_PKS2_PKT0_S8_ifPKiSA_iPKfiiiSC_SC_iiiii
	.p2align	8
	.type	_ZN4vllm25paged_attention_v1_kernelIffLi64ELi32ELi128ELNS_18Fp8KVCacheDataTypeE0ELb0EEEvPT_PKS2_PKT0_S8_ifPKiSA_iPKfiiiSC_SC_iiiii,@function
_ZN4vllm25paged_attention_v1_kernelIffLi64ELi32ELi128ELNS_18Fp8KVCacheDataTypeE0ELb0EEEvPT_PKS2_PKT0_S8_ifPKiSA_iPKfiiiSC_SC_iiiii: ; @_ZN4vllm25paged_attention_v1_kernelIffLi64ELi32ELi128ELNS_18Fp8KVCacheDataTypeE0ELb0EEEvPT_PKS2_PKT0_S8_ifPKiSA_iPKfiiiSC_SC_iiiii
; %bb.0:
	s_load_dword s5, s[0:1], 0x80
	s_load_dwordx2 s[6:7], s[0:1], 0x30
	s_load_dwordx2 s[8:9], s[0:1], 0x20
	s_mov_b32 s10, s3
	s_ashr_i32 s11, s3, 31
	s_lshl_b64 s[12:13], s[10:11], 2
	s_waitcnt lgkmcnt(0)
	s_add_u32 s6, s6, s12
	s_addc_u32 s7, s7, s13
	s_abs_i32 s3, s8
	v_cvt_f32_u32_e32 v1, s3
	s_sub_i32 s12, 0, s3
	s_abs_i32 s11, s5
	s_xor_b32 s8, s5, s8
	v_rcp_iflag_f32_e32 v1, v1
	s_ashr_i32 s8, s8, 31
	v_mul_f32_e32 v1, 0x4f7ffffe, v1
	v_cvt_u32_f32_e32 v1, v1
	s_nop 0
	v_readfirstlane_b32 s13, v1
	s_mul_i32 s12, s12, s13
	s_mul_hi_u32 s12, s13, s12
	s_add_i32 s13, s13, s12
	s_mul_hi_u32 s12, s11, s13
	s_mul_i32 s13, s12, s3
	s_sub_i32 s11, s11, s13
	s_add_i32 s13, s12, 1
	s_sub_i32 s14, s11, s3
	s_cmp_ge_u32 s11, s3
	s_cselect_b32 s12, s13, s12
	s_cselect_b32 s11, s14, s11
	s_add_i32 s13, s12, 1
	s_cmp_ge_u32 s11, s3
	s_cselect_b32 s3, s13, s12
	s_xor_b32 s3, s3, s8
	s_sub_i32 s14, s3, s8
	s_abs_i32 s11, s14
	v_cvt_f32_u32_e32 v1, s11
	s_load_dwordx2 s[12:13], s[0:1], 0x40
	s_sub_i32 s3, 0, s11
	s_abs_i32 s18, s2
	v_rcp_iflag_f32_e32 v1, v1
	s_mov_b32 s8, 0
	v_mul_f32_e32 v1, 0x4f7ffffe, v1
	v_cvt_u32_f32_e32 v1, v1
	s_nop 0
	v_readfirstlane_b32 s15, v1
	s_mul_i32 s3, s3, s15
	s_mul_hi_u32 s3, s15, s3
	s_add_i32 s15, s15, s3
	s_waitcnt lgkmcnt(0)
	s_cmp_eq_u64 s[12:13], 0
	s_mul_hi_u32 s19, s18, s15
	s_cbranch_scc1 .LBB46_2
; %bb.1:
	s_ashr_i32 s3, s2, 31
	s_lshl_b64 s[16:17], s[2:3], 2
	s_add_u32 s12, s12, s16
	s_addc_u32 s13, s13, s17
	s_load_dword s8, s[12:13], 0x0
.LBB46_2:
	s_load_dword s33, s[6:7], 0x0
	s_ashr_i32 s7, s14, 31
	s_load_dwordx4 s[12:15], s[0:1], 0x48
	s_ashr_i32 s6, s2, 31
	v_and_b32_e32 v36, 1, v0
	s_lshl_b32 s16, s2, 6
	v_cmp_gt_u32_e32 vcc, 32, v0
	v_lshlrev_b32_e32 v2, 3, v0
	v_lshlrev_b32_e32 v46, 2, v0
	s_and_saveexec_b64 s[2:3], vcc
	s_cbranch_execz .LBB46_4
; %bb.3:
	s_load_dwordx2 s[20:21], s[0:1], 0x8
	s_waitcnt lgkmcnt(0)
	s_mul_i32 s22, s10, s12
	s_ashr_i32 s23, s22, 31
	s_lshl_b64 s[22:23], s[22:23], 2
	v_and_b32_e32 v1, 0xff8, v46
	s_add_u32 s12, s20, s22
	s_addc_u32 s15, s21, s23
	s_ashr_i32 s17, s16, 31
	s_lshl_b64 s[20:21], s[16:17], 2
	s_add_u32 s20, s12, s20
	s_addc_u32 s21, s15, s21
	global_load_dwordx2 v[4:5], v2, s[20:21]
	v_lshl_add_u32 v1, v36, 7, v1
	s_waitcnt vmcnt(0)
	ds_write_b64 v1, v[4:5]
.LBB46_4:
	s_or_b64 exec, exec, s[2:3]
	s_waitcnt lgkmcnt(0)
	s_add_i32 s3, s33, 31
	s_ashr_i32 s12, s3, 31
	s_lshr_b32 s12, s12, 27
	s_add_i32 s3, s3, s12
	s_ashr_i32 s17, s3, 5
	s_xor_b32 s3, s6, s7
	s_mul_i32 s6, s19, s11
	s_sub_i32 s6, s18, s6
	s_add_i32 s7, s19, 1
	s_sub_i32 s12, s6, s11
	s_load_dwordx2 s[20:21], s[0:1], 0x28
	s_load_dword s2, s[0:1], 0x38
	s_cmp_ge_u32 s6, s11
	s_cselect_b32 s7, s7, s19
	s_cselect_b32 s6, s12, s6
	s_add_i32 s12, s7, 1
	s_cmp_ge_u32 s6, s11
	s_cselect_b32 s6, s12, s7
	v_lshrrev_b32_e32 v1, 6, v0
	s_xor_b32 s6, s6, s3
	s_waitcnt lgkmcnt(0)
	s_mul_i32 s22, s10, s2
	s_sub_i32 s12, s6, s3
	s_ashr_i32 s23, s22, 31
	v_cmp_gt_i32_e64 s[6:7], s17, v1
	v_cmp_le_i32_e32 vcc, s17, v1
	v_mbcnt_lo_u32_b32 v37, -1, 0
	s_barrier
	s_waitcnt lgkmcnt(0)
                                        ; implicit-def: $sgpr15
                                        ; implicit-def: $vgpr38
                                        ; implicit-def: $vgpr39
	s_and_saveexec_b64 s[2:3], vcc
	s_xor_b64 s[2:3], exec, s[2:3]
; %bb.5:
	v_mbcnt_hi_u32_b32 v38, -1, v37
	v_and_b32_e32 v2, 64, v38
	v_add_u32_e32 v39, 64, v2
	s_mov_b32 s15, 0xff7fffff
                                        ; implicit-def: $vgpr2
                                        ; implicit-def: $vgpr36
                                        ; implicit-def: $vgpr37
; %bb.6:
	s_or_saveexec_b64 s[26:27], s[2:3]
	s_load_dwordx2 s[18:19], s[0:1], 0x0
	s_load_dwordx2 s[24:25], s[0:1], 0x18
	s_load_dword s11, s[0:1], 0x88
	v_mov_b32_e32 v40, s15
	s_mul_i32 s14, s12, s14
	v_lshrrev_b32_e32 v48, 4, v0
	s_xor_b64 exec, exec, s[26:27]
	s_cbranch_execz .LBB46_12
; %bb.7:
	s_load_dwordx2 s[0:1], s[0:1], 0x10
	s_ashr_i32 s15, s14, 31
	s_lshl_b64 s[2:3], s[14:15], 2
	v_bfe_u32 v40, v0, 1, 5
	v_lshlrev_b32_e32 v44, 4, v40
	s_waitcnt lgkmcnt(0)
	s_add_u32 s0, s0, s2
	s_addc_u32 s1, s1, s3
	v_mov_b32_e32 v45, 0
	v_lshl_add_u64 v[4:5], s[0:1], 0, v[44:45]
	v_and_b32_e32 v44, 8, v2
	v_lshlrev_b32_e32 v30, 7, v36
	v_lshl_add_u64 v[34:35], v[4:5], 0, v[44:45]
	ds_read_b128 v[2:5], v30
	ds_read_b128 v[6:9], v30 offset:16
	ds_read_b128 v[10:13], v30 offset:32
	;; [unrolled: 1-line block ×7, first 2 shown]
	v_mbcnt_hi_u32_b32 v38, -1, v37
	v_and_b32_e32 v39, 64, v38
	v_xor_b32_e32 v37, 1, v38
	v_add_u32_e32 v39, 64, v39
	s_sub_i32 s15, 1, s33
	s_lshl_b64 s[0:1], s[22:23], 2
	v_lshlrev_b32_e32 v43, 2, v40
	v_cmp_lt_i32_e32 vcc, v37, v39
	s_add_u32 s0, s20, s0
	v_and_b32_e32 v44, 60, v48
	v_cndmask_b32_e32 v37, v38, v37, vcc
	v_cmp_eq_u32_e32 vcc, 0, v36
	v_lshl_or_b32 v36, v1, 7, v43
	s_addc_u32 s1, s21, s1
	s_mov_b32 s12, s13
	v_lshlrev_b32_e32 v41, 2, v37
	v_cmp_neq_f32_e64 s[2:3], s8, 0
	v_lshl_or_b32 v42, v1, 5, v40
	v_add_u32_e32 v43, 0x110, v36
	v_lshl_add_u64 v[36:37], s[0:1], 0, v[44:45]
	s_mov_b64 s[28:29], 0
	v_mov_b32_e32 v40, 0xff7fffff
	s_movk_i32 s34, 0x1000
	v_mov_b32_e32 v44, v1
	s_branch .LBB46_9
.LBB46_8:                               ;   in Loop: Header=BB46_9 Depth=1
	s_or_b64 exec, exec, s[30:31]
	v_add_u32_e32 v44, 2, v44
	v_cmp_le_i32_e64 s[0:1], s17, v44
	v_add_u32_e32 v42, 64, v42
	v_add_u32_e32 v43, 0x100, v43
	s_or_b64 s[28:29], s[0:1], s[28:29]
	v_lshl_add_u64 v[36:37], v[36:37], 0, 8
	s_andn2_b64 exec, exec, s[28:29]
	s_cbranch_execz .LBB46_11
.LBB46_9:                               ; =>This Inner Loop Header: Depth=1
	global_load_dword v45, v[36:37], off
	s_waitcnt vmcnt(0)
	v_mad_i64_i32 v[50:51], s[0:1], v45, s12, 0
	v_lshl_add_u64 v[50:51], v[50:51], 2, v[34:35]
	global_load_dwordx2 v[52:53], v[50:51], off offset:512
	global_load_dwordx2 v[54:55], v[50:51], off offset:1024
	;; [unrolled: 1-line block ×3, first 2 shown]
	global_load_dwordx2 v[58:59], v[50:51], off
	global_load_dwordx2 v[60:61], v[50:51], off offset:2048
	global_load_dwordx2 v[62:63], v[50:51], off offset:2560
	;; [unrolled: 1-line block ×4, first 2 shown]
	v_add_co_u32_e64 v50, s[0:1], s34, v50
	s_waitcnt vmcnt(7) lgkmcnt(7)
	v_mul_f32_e32 v45, v4, v52
	v_addc_co_u32_e64 v51, s[0:1], 0, v51, s[0:1]
	global_load_dwordx2 v[68:69], v[50:51], off
	global_load_dwordx2 v[70:71], v[50:51], off offset:512
	global_load_dwordx2 v[72:73], v[50:51], off offset:1024
	;; [unrolled: 1-line block ×3, first 2 shown]
	s_waitcnt lgkmcnt(0)
	v_mul_f32_e32 v47, v5, v53
	global_load_dwordx2 v[52:53], v[50:51], off offset:2048
	global_load_dwordx2 v[76:77], v[50:51], off offset:2560
	s_waitcnt vmcnt(10)
	v_fmac_f32_e32 v45, v2, v58
	v_fmac_f32_e32 v47, v3, v59
	global_load_dwordx2 v[58:59], v[50:51], off offset:3072
	s_nop 0
	global_load_dwordx2 v[50:51], v[50:51], off offset:3584
	s_waitcnt lgkmcnt(6)
	v_fmac_f32_e32 v45, v6, v54
	v_fmac_f32_e32 v47, v7, v55
	;; [unrolled: 1-line block ×4, first 2 shown]
	s_waitcnt vmcnt(11) lgkmcnt(5)
	v_fmac_f32_e32 v45, v10, v60
	v_fmac_f32_e32 v47, v11, v61
	s_waitcnt vmcnt(10)
	v_fmac_f32_e32 v45, v12, v62
	v_fmac_f32_e32 v47, v13, v63
	s_waitcnt vmcnt(9) lgkmcnt(4)
	v_fmac_f32_e32 v45, v14, v64
	v_fmac_f32_e32 v47, v15, v65
	s_waitcnt vmcnt(8)
	v_fmac_f32_e32 v45, v16, v66
	v_fmac_f32_e32 v47, v17, v67
	;; [unrolled: 6-line block ×6, first 2 shown]
	v_add_f32_e32 v45, v45, v47
	ds_bpermute_b32 v47, v41, v45
	s_and_saveexec_b64 s[30:31], vcc
	s_cbranch_execz .LBB46_8
; %bb.10:                               ;   in Loop: Header=BB46_9 Depth=1
	v_add_u32_e32 v49, s15, v42
	v_cvt_f32_i32_e32 v49, v49
	s_waitcnt lgkmcnt(0)
	v_add_f32_e32 v45, v45, v47
	v_cmp_gt_i32_e64 s[0:1], s33, v42
	v_max_f32_e32 v47, v40, v40
	v_mul_f32_e32 v49, s8, v49
	v_cndmask_b32_e64 v49, 0, v49, s[2:3]
	v_fmac_f32_e32 v49, s9, v45
	v_cndmask_b32_e64 v45, 0, v49, s[0:1]
	ds_write_b32 v43, v45
	v_max_f32_e32 v45, v47, v49
	v_cndmask_b32_e64 v40, v40, v45, s[0:1]
	s_branch .LBB46_8
.LBB46_11:
	s_or_b64 exec, exec, s[28:29]
.LBB46_12:
	s_or_b64 exec, exec, s[26:27]
	v_xor_b32_e32 v2, 32, v38
	v_cmp_lt_i32_e32 vcc, v2, v39
	v_xor_b32_e32 v5, 16, v38
	v_max_f32_e32 v4, v40, v40
	v_cndmask_b32_e32 v2, v38, v2, vcc
	v_lshlrev_b32_e32 v2, 2, v2
	ds_bpermute_b32 v3, v2, v40
	v_cmp_lt_i32_e32 vcc, v5, v39
	v_xor_b32_e32 v6, 8, v38
	v_xor_b32_e32 v7, 4, v38
	v_and_b32_e32 v58, 63, v0
	s_waitcnt lgkmcnt(0)
	v_max_f32_e32 v3, v3, v3
	v_max_f32_e32 v4, v4, v3
	v_cndmask_b32_e32 v3, v38, v5, vcc
	v_lshlrev_b32_e32 v3, 2, v3
	ds_bpermute_b32 v5, v3, v4
	v_cmp_lt_i32_e32 vcc, v6, v39
	s_waitcnt lgkmcnt(0)
	v_max_f32_e32 v5, v5, v5
	v_max_f32_e32 v5, v4, v5
	v_cndmask_b32_e32 v4, v38, v6, vcc
	v_lshlrev_b32_e32 v4, 2, v4
	ds_bpermute_b32 v6, v4, v5
	v_cmp_lt_i32_e32 vcc, v7, v39
	s_waitcnt lgkmcnt(0)
	v_max_f32_e32 v6, v6, v6
	v_max_f32_e32 v5, v5, v6
	v_cndmask_b32_e32 v6, v38, v7, vcc
	v_lshlrev_b32_e32 v60, 2, v6
	ds_bpermute_b32 v6, v60, v5
	v_xor_b32_e32 v7, 2, v38
	v_cmp_lt_i32_e32 vcc, v7, v39
	s_waitcnt lgkmcnt(0)
	v_max_f32_e32 v6, v6, v6
	v_max_f32_e32 v6, v5, v6
	v_cndmask_b32_e32 v5, v38, v7, vcc
	v_lshlrev_b32_e32 v59, 2, v5
	ds_bpermute_b32 v7, v59, v6
	v_cmp_eq_u32_e32 vcc, 0, v58
	v_lshlrev_b32_e32 v5, 2, v1
	s_and_saveexec_b64 s[0:1], vcc
	s_cbranch_execz .LBB46_14
; %bb.13:
	s_waitcnt lgkmcnt(0)
	v_max_f32_e32 v7, v7, v7
	v_max_f32_e32 v6, v6, v6
	;; [unrolled: 1-line block ×3, first 2 shown]
	ds_write_b32 v5, v6 offset:256
.LBB46_14:
	s_or_b64 exec, exec, s[0:1]
	v_cmp_gt_u32_e64 s[0:1], 2, v58
	s_waitcnt lgkmcnt(0)
	v_mov_b32_e32 v7, 0xff7fffff
	v_lshlrev_b32_e32 v6, 2, v58
	s_barrier
	s_and_saveexec_b64 s[2:3], s[0:1]
	s_cbranch_execz .LBB46_16
; %bb.15:
	ds_read_b32 v7, v6 offset:256
.LBB46_16:
	s_or_b64 exec, exec, s[2:3]
	v_xor_b32_e32 v8, 1, v38
	v_cmp_lt_i32_e64 s[2:3], v8, v39
	v_lshlrev_b32_e32 v9, 2, v38
	s_nop 0
	v_cndmask_b32_e64 v8, v38, v8, s[2:3]
	v_lshlrev_b32_e32 v61, 2, v8
	s_waitcnt lgkmcnt(0)
	ds_bpermute_b32 v8, v61, v7
	v_max_f32_e32 v7, v7, v7
	s_lshl_b32 s2, s17, 5
	s_min_i32 s12, s2, s33
	v_cmp_gt_i32_e64 s[2:3], s12, v0
	s_waitcnt lgkmcnt(0)
	v_max_f32_e32 v8, v8, v8
	v_max_f32_e32 v8, v7, v8
	v_and_b32_e32 v7, 0xffffff00, v9
	ds_bpermute_b32 v9, v7, v8
	v_mov_b32_e32 v8, 0
	s_and_saveexec_b64 s[26:27], s[2:3]
	s_cbranch_execz .LBB46_20
; %bb.17:
	v_mov_b32_e32 v8, 0x110
	v_lshl_add_u32 v10, v0, 2, v8
	s_mov_b64 s[28:29], 0
	v_mov_b32_e32 v8, 0
	v_mov_b32_e32 v11, v0
.LBB46_18:                              ; =>This Inner Loop Header: Depth=1
	ds_read_b32 v12, v10
	v_add_u32_e32 v11, 0x80, v11
	v_cmp_le_i32_e64 s[8:9], s12, v11
	s_or_b64 s[28:29], s[8:9], s[28:29]
	s_waitcnt lgkmcnt(0)
	v_sub_f32_e32 v12, v12, v9
	v_mul_f32_e32 v12, 0x3fb8aa3b, v12
	v_exp_f32_e32 v12, v12
	ds_write_b32 v10, v12
	v_add_f32_e32 v8, v8, v12
	v_add_u32_e32 v10, 0x200, v10
	s_andn2_b64 exec, exec, s[28:29]
	s_cbranch_execnz .LBB46_18
; %bb.19:
	s_or_b64 exec, exec, s[28:29]
.LBB46_20:
	s_or_b64 exec, exec, s[26:27]
	ds_bpermute_b32 v2, v2, v8
	s_waitcnt lgkmcnt(0)
	v_add_f32_e32 v2, v8, v2
	ds_bpermute_b32 v3, v3, v2
	s_waitcnt lgkmcnt(0)
	v_add_f32_e32 v2, v2, v3
	;; [unrolled: 3-line block ×6, first 2 shown]
	s_and_saveexec_b64 s[8:9], vcc
	s_cbranch_execz .LBB46_22
; %bb.21:
	ds_write_b32 v5, v2 offset:264
.LBB46_22:
	s_or_b64 exec, exec, s[8:9]
	s_waitcnt lgkmcnt(0)
	s_barrier
	s_and_saveexec_b64 s[8:9], s[0:1]
	s_cbranch_execz .LBB46_24
; %bb.23:
	ds_read_b32 v2, v6 offset:264
.LBB46_24:
	s_or_b64 exec, exec, s[8:9]
	s_waitcnt lgkmcnt(0)
	ds_bpermute_b32 v3, v61, v2
	s_waitcnt lgkmcnt(0)
	v_add_f32_e32 v2, v2, v3
	ds_bpermute_b32 v2, v7, v2
	s_and_saveexec_b64 s[0:1], s[2:3]
	s_cbranch_execz .LBB46_37
; %bb.25:
	s_waitcnt lgkmcnt(0)
	v_add_f32_e32 v2, 0x358637bd, v2
	v_div_scale_f32 v3, s[2:3], v2, v2, 1.0
	v_rcp_f32_e32 v4, v3
	v_div_scale_f32 v5, vcc, 1.0, v2, 1.0
	s_movk_i32 s2, 0x7f
	v_fma_f32 v6, -v3, v4, 1.0
	v_fmac_f32_e32 v4, v6, v4
	v_mul_f32_e32 v6, v5, v4
	v_fma_f32 v7, -v3, v6, v5
	v_fmac_f32_e32 v6, v7, v4
	v_fma_f32 v3, -v3, v6, v5
	v_div_fmas_f32 v3, v3, v4, v6
	v_xad_u32 v4, v0, -1, s12
	v_div_fixup_f32 v2, v3, v2, 1.0
	v_cmp_lt_u32_e32 vcc, s2, v4
	s_mov_b64 s[8:9], -1
	v_mov_b32_e32 v3, v0
	s_and_saveexec_b64 s[2:3], vcc
	s_cbranch_execz .LBB46_34
; %bb.26:
	v_lshrrev_b32_e32 v4, 7, v4
	v_add_u32_e32 v6, -1, v4
	v_lshrrev_b32_e32 v5, 1, v6
	v_mov_b32_e32 v3, v2
	v_add_u32_e32 v5, 1, v5
	v_cmp_lt_u32_e32 vcc, 13, v6
	v_mov_b32_e32 v8, 0
	s_and_saveexec_b64 s[8:9], vcc
	s_cbranch_execz .LBB46_30
; %bb.27:
	v_mov_b32_e32 v7, 0x110
	v_and_b32_e32 v6, -8, v5
	v_lshl_add_u32 v7, v0, 2, v7
	s_mov_b32 s15, 0
	s_mov_b64 s[26:27], 0
.LBB46_28:                              ; =>This Inner Loop Header: Depth=1
	ds_read2st64_b32 v[8:9], v7 offset1:2
	ds_read2st64_b32 v[10:11], v7 offset0:4 offset1:6
	ds_read2st64_b32 v[12:13], v7 offset0:8 offset1:10
	;; [unrolled: 1-line block ×3, first 2 shown]
	v_add_u32_e32 v6, -8, v6
	s_waitcnt lgkmcnt(3)
	v_pk_mul_f32 v[8:9], v[2:3], v[8:9]
	s_waitcnt lgkmcnt(2)
	v_pk_mul_f32 v[10:11], v[2:3], v[10:11]
	ds_write2st64_b32 v7, v8, v9 offset1:2
	ds_write2st64_b32 v7, v10, v11 offset0:4 offset1:6
	ds_read2st64_b32 v[10:11], v7 offset0:16 offset1:18
	s_waitcnt lgkmcnt(4)
	v_pk_mul_f32 v[8:9], v[2:3], v[12:13]
	ds_write2st64_b32 v7, v8, v9 offset0:8 offset1:10
	s_waitcnt lgkmcnt(4)
	v_pk_mul_f32 v[8:9], v[2:3], v[14:15]
	ds_write2st64_b32 v7, v8, v9 offset0:12 offset1:14
	ds_read2st64_b32 v[8:9], v7 offset0:20 offset1:22
	s_waitcnt lgkmcnt(3)
	v_pk_mul_f32 v[10:11], v[2:3], v[10:11]
	ds_read2st64_b32 v[12:13], v7 offset0:24 offset1:26
	ds_write2st64_b32 v7, v10, v11 offset0:16 offset1:18
	ds_read2st64_b32 v[10:11], v7 offset0:28 offset1:30
	s_waitcnt lgkmcnt(3)
	v_pk_mul_f32 v[8:9], v[2:3], v[8:9]
	ds_write2st64_b32 v7, v8, v9 offset0:20 offset1:22
	s_waitcnt lgkmcnt(3)
	v_pk_mul_f32 v[8:9], v[2:3], v[12:13]
	ds_write2st64_b32 v7, v8, v9 offset0:24 offset1:26
	s_waitcnt lgkmcnt(2)
	v_pk_mul_f32 v[8:9], v[2:3], v[10:11]
	s_add_i32 s15, s15, 16
	v_cmp_eq_u32_e32 vcc, 0, v6
	ds_write2st64_b32 v7, v8, v9 offset0:28 offset1:30
	v_add_u32_e32 v7, 0x2000, v7
	s_or_b64 s[26:27], vcc, s[26:27]
	v_mov_b32_e32 v8, s15
	s_andn2_b64 exec, exec, s[26:27]
	s_cbranch_execnz .LBB46_28
; %bb.29:
	s_or_b64 exec, exec, s[26:27]
.LBB46_30:
	s_or_b64 exec, exec, s[8:9]
	v_and_b32_e32 v5, 7, v5
	v_cmp_ne_u32_e32 vcc, 0, v5
	s_and_saveexec_b64 s[8:9], vcc
	s_cbranch_execz .LBB46_33
; %bb.31:
	v_lshlrev_b32_e32 v6, 9, v8
	s_movk_i32 s15, 0x110
	v_add3_u32 v6, v6, v46, s15
	s_mov_b64 s[26:27], 0
.LBB46_32:                              ; =>This Inner Loop Header: Depth=1
	ds_read2st64_b32 v[8:9], v6 offset1:2
	v_add_u32_e32 v5, -1, v5
	v_cmp_eq_u32_e32 vcc, 0, v5
	s_or_b64 s[26:27], vcc, s[26:27]
	s_waitcnt lgkmcnt(0)
	v_pk_mul_f32 v[8:9], v[2:3], v[8:9]
	ds_write2st64_b32 v6, v8, v9 offset1:2
	v_add_u32_e32 v6, 0x400, v6
	s_andn2_b64 exec, exec, s[26:27]
	s_cbranch_execnz .LBB46_32
.LBB46_33:
	s_or_b64 exec, exec, s[8:9]
	v_add_u32_e32 v4, 1, v4
	v_and_b32_e32 v5, 0x3fffffe, v4
	v_cmp_ne_u32_e32 vcc, v4, v5
	v_lshl_add_u32 v3, v5, 7, v0
	s_orn2_b64 s[8:9], vcc, exec
.LBB46_34:
	s_or_b64 exec, exec, s[2:3]
	s_and_b64 exec, exec, s[8:9]
	s_cbranch_execz .LBB46_37
; %bb.35:
	v_mov_b32_e32 v4, 0x110
	v_lshl_add_u32 v4, v3, 2, v4
	s_mov_b64 s[2:3], 0
.LBB46_36:                              ; =>This Inner Loop Header: Depth=1
	ds_read_b32 v5, v4
	v_add_u32_e32 v3, 0x80, v3
	v_cmp_le_i32_e32 vcc, s12, v3
	s_or_b64 s[2:3], vcc, s[2:3]
	s_waitcnt lgkmcnt(0)
	v_mul_f32_e32 v5, v2, v5
	ds_write_b32 v4, v5
	v_add_u32_e32 v4, 0x200, v4
	s_andn2_b64 exec, exec, s[2:3]
	s_cbranch_execnz .LBB46_36
.LBB46_37:
	s_or_b64 exec, exec, s[0:1]
	v_mov_b32_e32 v39, 0
	v_and_b32_e32 v62, 7, v0
	v_mov_b32_e32 v38, 0
	v_mov_b32_e32 v41, 0
	;; [unrolled: 1-line block ×7, first 2 shown]
	s_waitcnt lgkmcnt(0)
	s_barrier
	s_and_saveexec_b64 s[2:3], s[6:7]
	s_cbranch_execz .LBB46_57
; %bb.38:
	s_ashr_i32 s15, s14, 31
	s_lshl_b64 s[0:1], s[14:15], 2
	s_add_u32 s6, s24, s0
	v_and_b32_e32 v3, 28, v46
	s_addc_u32 s7, s25, s1
	s_add_i32 s14, s17, -1
	v_lshlrev_b32_e32 v5, 5, v1
	s_lshl_b64 s[0:1], s[22:23], 2
	v_and_b32_e32 v2, 0xfc, v46
	v_or3_b32 v63, v5, v3, 3
	v_lshlrev_b32_e32 v3, 4, v62
	s_add_u32 s0, s20, s0
	v_mov_b32_e32 v47, 0
	v_or_b32_e32 v4, 0x400, v2
	v_or_b32_e32 v6, 0x500, v2
	;; [unrolled: 1-line block ×4, first 2 shown]
	v_lshl_or_b32 v3, v1, 7, v3
	v_and_b32_e32 v46, 60, v48
	s_addc_u32 s1, s21, s1
	s_mov_b32 s26, s13
	v_add_u32_e32 v64, 0x110, v3
	v_lshl_add_u64 v[48:49], s[0:1], 0, v[46:47]
	s_mov_b64 s[8:9], 0
	v_lshlrev_b32_e32 v50, 2, v2
	v_mov_b32_e32 v51, v47
	v_lshlrev_b32_e32 v46, 2, v4
	v_lshlrev_b32_e32 v52, 2, v6
	;; [unrolled: 1-line block ×4, first 2 shown]
	v_mov_b32_e32 v44, v47
	v_mov_b32_e32 v45, v47
	;; [unrolled: 1-line block ×8, first 2 shown]
	s_branch .LBB46_40
.LBB46_39:                              ;   in Loop: Header=BB46_40 Depth=1
	s_or_b64 exec, exec, s[0:1]
	s_waitcnt vmcnt(7) lgkmcnt(0)
	v_mul_f32_e32 v7, v3, v7
	v_fmac_f32_e32 v7, v2, v6
	s_waitcnt vmcnt(6)
	v_mul_f32_e32 v6, v3, v11
	v_fmac_f32_e32 v6, v2, v10
	v_fmac_f32_e32 v6, v4, v12
	v_fmac_f32_e32 v6, v5, v13
	v_add_f32_e32 v45, v45, v6
	s_waitcnt vmcnt(5)
	v_mul_f32_e32 v6, v3, v15
	v_fmac_f32_e32 v6, v2, v14
	v_fmac_f32_e32 v6, v4, v16
	v_fmac_f32_e32 v6, v5, v17
	v_add_f32_e32 v42, v42, v6
	;; [unrolled: 6-line block ×5, first 2 shown]
	s_waitcnt vmcnt(1)
	v_mul_f32_e32 v6, v3, v31
	s_waitcnt vmcnt(0)
	v_mul_f32_e32 v3, v3, v35
	v_fmac_f32_e32 v6, v2, v30
	v_fmac_f32_e32 v3, v2, v34
	;; [unrolled: 1-line block ×5, first 2 shown]
	v_add_u32_e32 v1, 2, v1
	v_fmac_f32_e32 v7, v5, v9
	v_fmac_f32_e32 v6, v5, v33
	;; [unrolled: 1-line block ×3, first 2 shown]
	v_cmp_le_i32_e32 vcc, s17, v1
	v_add_f32_e32 v44, v44, v7
	v_add_f32_e32 v38, v38, v6
	;; [unrolled: 1-line block ×3, first 2 shown]
	v_add_u32_e32 v63, 64, v63
	v_add_u32_e32 v64, 0x100, v64
	s_or_b64 s[8:9], vcc, s[8:9]
	v_lshl_add_u64 v[48:49], v[48:49], 0, 8
	s_andn2_b64 exec, exec, s[8:9]
	s_cbranch_execz .LBB46_56
.LBB46_40:                              ; =>This Inner Loop Header: Depth=1
	global_load_dword v2, v[48:49], off
	v_add_u32_e32 v65, -3, v63
	v_cmp_eq_u32_e32 vcc, s14, v1
	v_add_u32_e32 v67, -2, v63
	v_add_u32_e32 v66, -1, v63
	s_waitcnt vmcnt(0)
	v_mad_i64_i32 v[2:3], s[0:1], v2, s26, 0
	v_lshl_add_u64 v[34:35], v[2:3], 2, s[6:7]
	v_lshl_add_u64 v[18:19], v[34:35], 0, v[50:51]
	global_load_dwordx4 v[6:9], v[18:19], off
	ds_read_b128 v[2:5], v64
	s_and_saveexec_b64 s[12:13], vcc
	s_cbranch_execnz .LBB46_53
; %bb.41:                               ;   in Loop: Header=BB46_40 Depth=1
	s_or_b64 exec, exec, s[12:13]
	global_load_dwordx4 v[10:13], v[18:19], off offset:1024
	s_and_saveexec_b64 s[12:13], vcc
	s_cbranch_execnz .LBB46_54
.LBB46_42:                              ;   in Loop: Header=BB46_40 Depth=1
	s_or_b64 exec, exec, s[12:13]
	global_load_dwordx4 v[14:17], v[18:19], off offset:2048
	s_and_saveexec_b64 s[12:13], vcc
	s_cbranch_execnz .LBB46_55
.LBB46_43:                              ;   in Loop: Header=BB46_40 Depth=1
	s_or_b64 exec, exec, s[12:13]
	global_load_dwordx4 v[18:21], v[18:19], off offset:3072
	s_and_saveexec_b64 s[12:13], vcc
	s_cbranch_execz .LBB46_45
.LBB46_44:                              ;   in Loop: Header=BB46_40 Depth=1
	v_cmp_gt_i32_e64 s[0:1], s33, v65
	s_waitcnt vmcnt(0)
	s_nop 0
	v_cndmask_b32_e64 v18, 0, v18, s[0:1]
	v_cmp_gt_i32_e64 s[0:1], s33, v67
	s_nop 1
	v_cndmask_b32_e64 v19, 0, v19, s[0:1]
	v_cmp_gt_i32_e64 s[0:1], s33, v66
	;; [unrolled: 3-line block ×3, first 2 shown]
	s_nop 1
	v_cndmask_b32_e64 v21, 0, v21, s[0:1]
.LBB46_45:                              ;   in Loop: Header=BB46_40 Depth=1
	s_or_b64 exec, exec, s[12:13]
	v_lshl_add_u64 v[22:23], v[34:35], 0, v[46:47]
	global_load_dwordx4 v[22:25], v[22:23], off
	s_and_saveexec_b64 s[12:13], vcc
	s_cbranch_execz .LBB46_47
; %bb.46:                               ;   in Loop: Header=BB46_40 Depth=1
	v_cmp_gt_i32_e64 s[0:1], s33, v65
	s_waitcnt vmcnt(0)
	s_nop 0
	v_cndmask_b32_e64 v22, 0, v22, s[0:1]
	v_cmp_gt_i32_e64 s[0:1], s33, v67
	s_nop 1
	v_cndmask_b32_e64 v23, 0, v23, s[0:1]
	v_cmp_gt_i32_e64 s[0:1], s33, v66
	s_nop 1
	v_cndmask_b32_e64 v24, 0, v24, s[0:1]
	v_cmp_gt_i32_e64 s[0:1], s33, v63
	s_nop 1
	v_cndmask_b32_e64 v25, 0, v25, s[0:1]
.LBB46_47:                              ;   in Loop: Header=BB46_40 Depth=1
	s_or_b64 exec, exec, s[12:13]
	v_mov_b32_e32 v53, v47
	v_lshl_add_u64 v[26:27], v[34:35], 0, v[52:53]
	global_load_dwordx4 v[26:29], v[26:27], off
	s_and_saveexec_b64 s[12:13], vcc
	s_cbranch_execz .LBB46_49
; %bb.48:                               ;   in Loop: Header=BB46_40 Depth=1
	v_cmp_gt_i32_e64 s[0:1], s33, v65
	s_waitcnt vmcnt(0)
	s_nop 0
	v_cndmask_b32_e64 v26, 0, v26, s[0:1]
	v_cmp_gt_i32_e64 s[0:1], s33, v67
	s_nop 1
	v_cndmask_b32_e64 v27, 0, v27, s[0:1]
	v_cmp_gt_i32_e64 s[0:1], s33, v66
	s_nop 1
	v_cndmask_b32_e64 v28, 0, v28, s[0:1]
	v_cmp_gt_i32_e64 s[0:1], s33, v63
	s_nop 1
	v_cndmask_b32_e64 v29, 0, v29, s[0:1]
.LBB46_49:                              ;   in Loop: Header=BB46_40 Depth=1
	s_or_b64 exec, exec, s[12:13]
	v_mov_b32_e32 v55, v47
	;; [unrolled: 21-line block ×3, first 2 shown]
	v_lshl_add_u64 v[34:35], v[34:35], 0, v[56:57]
	global_load_dwordx4 v[34:37], v[34:35], off
	s_and_saveexec_b64 s[0:1], vcc
	s_cbranch_execz .LBB46_39
; %bb.52:                               ;   in Loop: Header=BB46_40 Depth=1
	v_cmp_gt_i32_e32 vcc, s33, v65
	s_waitcnt vmcnt(0)
	s_nop 0
	v_cndmask_b32_e32 v34, 0, v34, vcc
	v_cmp_gt_i32_e32 vcc, s33, v67
	s_nop 1
	v_cndmask_b32_e32 v35, 0, v35, vcc
	v_cmp_gt_i32_e32 vcc, s33, v66
	;; [unrolled: 3-line block ×3, first 2 shown]
	s_nop 1
	v_cndmask_b32_e32 v37, 0, v37, vcc
	s_branch .LBB46_39
.LBB46_53:                              ;   in Loop: Header=BB46_40 Depth=1
	v_cmp_gt_i32_e64 s[0:1], s33, v65
	s_waitcnt vmcnt(0)
	s_nop 0
	v_cndmask_b32_e64 v6, 0, v6, s[0:1]
	v_cmp_gt_i32_e64 s[0:1], s33, v67
	s_nop 1
	v_cndmask_b32_e64 v7, 0, v7, s[0:1]
	v_cmp_gt_i32_e64 s[0:1], s33, v66
	s_nop 1
	v_cndmask_b32_e64 v8, 0, v8, s[0:1]
	v_cmp_gt_i32_e64 s[0:1], s33, v63
	s_nop 1
	v_cndmask_b32_e64 v9, 0, v9, s[0:1]
	s_or_b64 exec, exec, s[12:13]
	global_load_dwordx4 v[10:13], v[18:19], off offset:1024
	s_and_saveexec_b64 s[12:13], vcc
	s_cbranch_execz .LBB46_42
.LBB46_54:                              ;   in Loop: Header=BB46_40 Depth=1
	v_cmp_gt_i32_e64 s[0:1], s33, v65
	s_waitcnt vmcnt(0)
	s_nop 0
	v_cndmask_b32_e64 v10, 0, v10, s[0:1]
	v_cmp_gt_i32_e64 s[0:1], s33, v67
	s_nop 1
	v_cndmask_b32_e64 v11, 0, v11, s[0:1]
	v_cmp_gt_i32_e64 s[0:1], s33, v66
	;; [unrolled: 3-line block ×3, first 2 shown]
	s_nop 1
	v_cndmask_b32_e64 v13, 0, v13, s[0:1]
	s_or_b64 exec, exec, s[12:13]
	global_load_dwordx4 v[14:17], v[18:19], off offset:2048
	s_and_saveexec_b64 s[12:13], vcc
	s_cbranch_execz .LBB46_43
.LBB46_55:                              ;   in Loop: Header=BB46_40 Depth=1
	v_cmp_gt_i32_e64 s[0:1], s33, v65
	s_waitcnt vmcnt(0)
	s_nop 0
	v_cndmask_b32_e64 v14, 0, v14, s[0:1]
	v_cmp_gt_i32_e64 s[0:1], s33, v67
	s_nop 1
	v_cndmask_b32_e64 v15, 0, v15, s[0:1]
	v_cmp_gt_i32_e64 s[0:1], s33, v66
	;; [unrolled: 3-line block ×3, first 2 shown]
	s_nop 1
	v_cndmask_b32_e64 v17, 0, v17, s[0:1]
	s_or_b64 exec, exec, s[12:13]
	global_load_dwordx4 v[18:21], v[18:19], off offset:3072
	s_and_saveexec_b64 s[12:13], vcc
	s_cbranch_execnz .LBB46_44
	s_branch .LBB46_45
.LBB46_56:
	s_or_b64 exec, exec, s[8:9]
.LBB46_57:
	s_or_b64 exec, exec, s[2:3]
	ds_bpermute_b32 v4, v60, v42
	ds_bpermute_b32 v5, v60, v43
	;; [unrolled: 1-line block ×6, first 2 shown]
	s_waitcnt lgkmcnt(4)
	v_pk_add_f32 v[4:5], v[42:43], v[4:5]
	ds_bpermute_b32 v8, v59, v4
	ds_bpermute_b32 v9, v59, v5
	s_waitcnt lgkmcnt(4)
	v_pk_add_f32 v[2:3], v[44:45], v[2:3]
	s_waitcnt lgkmcnt(2)
	v_pk_add_f32 v[10:11], v[40:41], v[10:11]
	ds_bpermute_b32 v6, v59, v2
	ds_bpermute_b32 v7, v59, v3
	s_waitcnt lgkmcnt(2)
	v_pk_add_f32 v[4:5], v[4:5], v[8:9]
	ds_bpermute_b32 v8, v60, v38
	ds_bpermute_b32 v9, v60, v39
	;; [unrolled: 1-line block ×4, first 2 shown]
	s_waitcnt lgkmcnt(4)
	v_pk_add_f32 v[2:3], v[2:3], v[6:7]
	ds_bpermute_b32 v6, v61, v2
	s_waitcnt lgkmcnt(3)
	v_pk_add_f32 v[8:9], v[38:39], v[8:9]
	ds_bpermute_b32 v16, v59, v8
	ds_bpermute_b32 v17, v59, v9
	s_waitcnt lgkmcnt(3)
	v_pk_add_f32 v[10:11], v[10:11], v[14:15]
	ds_bpermute_b32 v7, v61, v3
	ds_bpermute_b32 v12, v61, v4
	;; [unrolled: 1-line block ×3, first 2 shown]
	s_waitcnt lgkmcnt(3)
	v_pk_add_f32 v[16:17], v[8:9], v[16:17]
	ds_bpermute_b32 v14, v61, v10
	ds_bpermute_b32 v15, v61, v11
	;; [unrolled: 1-line block ×4, first 2 shown]
	v_and_b32_e32 v1, 0x3c7, v0
	s_waitcnt lgkmcnt(6)
	v_pk_add_f32 v[8:9], v[2:3], v[6:7]
	s_waitcnt lgkmcnt(4)
	v_pk_add_f32 v[6:7], v[4:5], v[12:13]
	;; [unrolled: 2-line block ×4, first 2 shown]
	v_cmp_eq_u32_e32 vcc, 64, v1
	s_barrier
	s_and_saveexec_b64 s[0:1], vcc
	s_cbranch_execz .LBB46_59
; %bb.58:
	v_lshrrev_b32_e32 v10, 1, v58
	v_add_u32_e32 v10, 0x110, v10
	ds_write2_b32 v10, v8, v9 offset1:8
	ds_write2_b32 v10, v6, v7 offset0:16 offset1:24
	ds_write2_b32 v10, v2, v3 offset0:32 offset1:40
	;; [unrolled: 1-line block ×3, first 2 shown]
.LBB46_59:
	s_or_b64 exec, exec, s[0:1]
	v_cmp_gt_u32_e32 vcc, 64, v0
	s_waitcnt lgkmcnt(0)
	s_barrier
	s_and_saveexec_b64 s[0:1], vcc
	s_cbranch_execz .LBB46_70
; %bb.60:
	v_cmp_eq_u32_e32 vcc, 0, v62
	v_lshrrev_b32_e32 v10, 3, v0
	s_and_saveexec_b64 s[2:3], vcc
	s_cbranch_execnz .LBB46_73
; %bb.61:
	s_or_b64 exec, exec, s[2:3]
	s_and_saveexec_b64 s[2:3], vcc
	s_cbranch_execnz .LBB46_74
.LBB46_62:
	s_or_b64 exec, exec, s[2:3]
	s_and_saveexec_b64 s[2:3], vcc
	s_cbranch_execnz .LBB46_75
.LBB46_63:
	s_or_b64 exec, exec, s[2:3]
	s_and_saveexec_b64 s[2:3], vcc
	s_cbranch_execnz .LBB46_76
.LBB46_64:
	s_or_b64 exec, exec, s[2:3]
	s_and_saveexec_b64 s[2:3], vcc
	s_cbranch_execnz .LBB46_77
.LBB46_65:
	s_or_b64 exec, exec, s[2:3]
	s_and_saveexec_b64 s[2:3], vcc
	s_cbranch_execnz .LBB46_78
.LBB46_66:
	s_or_b64 exec, exec, s[2:3]
	s_and_saveexec_b64 s[2:3], vcc
	s_cbranch_execnz .LBB46_79
.LBB46_67:
	s_or_b64 exec, exec, s[2:3]
	s_and_saveexec_b64 s[2:3], vcc
	s_cbranch_execz .LBB46_69
.LBB46_68:
	v_mov_b32_e32 v11, 0x110
	v_lshl_add_u32 v10, v10, 2, v11
	ds_read_b32 v10, v10 offset:224
	s_waitcnt lgkmcnt(0)
	v_add_f32_e32 v5, v5, v10
.LBB46_69:
	s_or_b64 exec, exec, s[2:3]
.LBB46_70:
	s_or_b64 exec, exec, s[0:1]
	v_cmp_eq_u32_e32 vcc, 0, v1
	s_barrier
	s_and_saveexec_b64 s[0:1], vcc
	s_cbranch_execz .LBB46_72
; %bb.71:
	s_mul_i32 s0, s10, s11
	s_mul_i32 s0, s0, s5
	s_lshl_b32 s0, s0, 6
	s_ashr_i32 s1, s0, 31
	s_lshl_b64 s[0:1], s[0:1], 2
	s_add_u32 s2, s18, s0
	s_mul_i32 s0, s11, s16
	s_addc_u32 s3, s19, s1
	s_ashr_i32 s1, s0, 31
	s_lshl_b64 s[0:1], s[0:1], 2
	s_add_u32 s2, s2, s0
	s_addc_u32 s3, s3, s1
	s_lshl_b32 s0, s4, 6
	s_ashr_i32 s1, s0, 31
	s_lshl_b64 s[0:1], s[0:1], 2
	s_add_u32 s0, s2, s0
	s_addc_u32 s1, s3, s1
	v_lshrrev_b32_e32 v0, 1, v0
	global_store_dword v0, v8, s[0:1]
	global_store_dword v0, v9, s[0:1] offset:32
	global_store_dword v0, v6, s[0:1] offset:64
	;; [unrolled: 1-line block ×7, first 2 shown]
.LBB46_72:
	s_endpgm
.LBB46_73:
	v_mov_b32_e32 v11, 0x110
	v_lshl_add_u32 v11, v10, 2, v11
	ds_read_b32 v11, v11
	s_waitcnt lgkmcnt(0)
	v_add_f32_e32 v8, v8, v11
	s_or_b64 exec, exec, s[2:3]
	s_and_saveexec_b64 s[2:3], vcc
	s_cbranch_execz .LBB46_62
.LBB46_74:
	v_mov_b32_e32 v11, 0x110
	v_lshl_add_u32 v11, v10, 2, v11
	ds_read_b32 v11, v11 offset:32
	s_waitcnt lgkmcnt(0)
	v_add_f32_e32 v9, v9, v11
	s_or_b64 exec, exec, s[2:3]
	s_and_saveexec_b64 s[2:3], vcc
	s_cbranch_execz .LBB46_63
.LBB46_75:
	v_mov_b32_e32 v11, 0x110
	v_lshl_add_u32 v11, v10, 2, v11
	ds_read_b32 v11, v11 offset:64
	s_waitcnt lgkmcnt(0)
	v_add_f32_e32 v6, v6, v11
	s_or_b64 exec, exec, s[2:3]
	s_and_saveexec_b64 s[2:3], vcc
	s_cbranch_execz .LBB46_64
.LBB46_76:
	v_mov_b32_e32 v11, 0x110
	v_lshl_add_u32 v11, v10, 2, v11
	ds_read_b32 v11, v11 offset:96
	s_waitcnt lgkmcnt(0)
	v_add_f32_e32 v7, v7, v11
	s_or_b64 exec, exec, s[2:3]
	s_and_saveexec_b64 s[2:3], vcc
	s_cbranch_execz .LBB46_65
.LBB46_77:
	v_mov_b32_e32 v11, 0x110
	v_lshl_add_u32 v11, v10, 2, v11
	ds_read_b32 v11, v11 offset:128
	s_waitcnt lgkmcnt(0)
	v_add_f32_e32 v2, v2, v11
	s_or_b64 exec, exec, s[2:3]
	s_and_saveexec_b64 s[2:3], vcc
	s_cbranch_execz .LBB46_66
.LBB46_78:
	v_mov_b32_e32 v11, 0x110
	v_lshl_add_u32 v11, v10, 2, v11
	ds_read_b32 v11, v11 offset:160
	s_waitcnt lgkmcnt(0)
	v_add_f32_e32 v3, v3, v11
	s_or_b64 exec, exec, s[2:3]
	s_and_saveexec_b64 s[2:3], vcc
	s_cbranch_execz .LBB46_67
.LBB46_79:
	v_mov_b32_e32 v11, 0x110
	v_lshl_add_u32 v11, v10, 2, v11
	ds_read_b32 v11, v11 offset:192
	s_waitcnt lgkmcnt(0)
	v_add_f32_e32 v4, v4, v11
	s_or_b64 exec, exec, s[2:3]
	s_and_saveexec_b64 s[2:3], vcc
	s_cbranch_execnz .LBB46_68
	s_branch .LBB46_69
	.section	.rodata,"a",@progbits
	.p2align	6, 0x0
	.amdhsa_kernel _ZN4vllm25paged_attention_v1_kernelIffLi64ELi32ELi128ELNS_18Fp8KVCacheDataTypeE0ELb0EEEvPT_PKS2_PKT0_S8_ifPKiSA_iPKfiiiSC_SC_iiiii
		.amdhsa_group_segment_fixed_size 272
		.amdhsa_private_segment_fixed_size 0
		.amdhsa_kernarg_size 384
		.amdhsa_user_sgpr_count 2
		.amdhsa_user_sgpr_dispatch_ptr 0
		.amdhsa_user_sgpr_queue_ptr 0
		.amdhsa_user_sgpr_kernarg_segment_ptr 1
		.amdhsa_user_sgpr_dispatch_id 0
		.amdhsa_user_sgpr_kernarg_preload_length 0
		.amdhsa_user_sgpr_kernarg_preload_offset 0
		.amdhsa_user_sgpr_private_segment_size 0
		.amdhsa_uses_dynamic_stack 0
		.amdhsa_enable_private_segment 0
		.amdhsa_system_sgpr_workgroup_id_x 1
		.amdhsa_system_sgpr_workgroup_id_y 1
		.amdhsa_system_sgpr_workgroup_id_z 1
		.amdhsa_system_sgpr_workgroup_info 0
		.amdhsa_system_vgpr_workitem_id 0
		.amdhsa_next_free_vgpr 78
		.amdhsa_next_free_sgpr 35
		.amdhsa_accum_offset 80
		.amdhsa_reserve_vcc 1
		.amdhsa_float_round_mode_32 0
		.amdhsa_float_round_mode_16_64 0
		.amdhsa_float_denorm_mode_32 3
		.amdhsa_float_denorm_mode_16_64 3
		.amdhsa_dx10_clamp 1
		.amdhsa_ieee_mode 1
		.amdhsa_fp16_overflow 0
		.amdhsa_tg_split 0
		.amdhsa_exception_fp_ieee_invalid_op 0
		.amdhsa_exception_fp_denorm_src 0
		.amdhsa_exception_fp_ieee_div_zero 0
		.amdhsa_exception_fp_ieee_overflow 0
		.amdhsa_exception_fp_ieee_underflow 0
		.amdhsa_exception_fp_ieee_inexact 0
		.amdhsa_exception_int_div_zero 0
	.end_amdhsa_kernel
	.section	.text._ZN4vllm25paged_attention_v1_kernelIffLi64ELi32ELi128ELNS_18Fp8KVCacheDataTypeE0ELb0EEEvPT_PKS2_PKT0_S8_ifPKiSA_iPKfiiiSC_SC_iiiii,"axG",@progbits,_ZN4vllm25paged_attention_v1_kernelIffLi64ELi32ELi128ELNS_18Fp8KVCacheDataTypeE0ELb0EEEvPT_PKS2_PKT0_S8_ifPKiSA_iPKfiiiSC_SC_iiiii,comdat
.Lfunc_end46:
	.size	_ZN4vllm25paged_attention_v1_kernelIffLi64ELi32ELi128ELNS_18Fp8KVCacheDataTypeE0ELb0EEEvPT_PKS2_PKT0_S8_ifPKiSA_iPKfiiiSC_SC_iiiii, .Lfunc_end46-_ZN4vllm25paged_attention_v1_kernelIffLi64ELi32ELi128ELNS_18Fp8KVCacheDataTypeE0ELb0EEEvPT_PKS2_PKT0_S8_ifPKiSA_iPKfiiiSC_SC_iiiii
                                        ; -- End function
	.section	.AMDGPU.csdata,"",@progbits
; Kernel info:
; codeLenInByte = 5220
; NumSgprs: 41
; NumVgprs: 78
; NumAgprs: 0
; TotalNumVgprs: 78
; ScratchSize: 0
; MemoryBound: 0
; FloatMode: 240
; IeeeMode: 1
; LDSByteSize: 272 bytes/workgroup (compile time only)
; SGPRBlocks: 5
; VGPRBlocks: 9
; NumSGPRsForWavesPerEU: 41
; NumVGPRsForWavesPerEU: 78
; AccumOffset: 80
; Occupancy: 6
; WaveLimiterHint : 1
; COMPUTE_PGM_RSRC2:SCRATCH_EN: 0
; COMPUTE_PGM_RSRC2:USER_SGPR: 2
; COMPUTE_PGM_RSRC2:TRAP_HANDLER: 0
; COMPUTE_PGM_RSRC2:TGID_X_EN: 1
; COMPUTE_PGM_RSRC2:TGID_Y_EN: 1
; COMPUTE_PGM_RSRC2:TGID_Z_EN: 1
; COMPUTE_PGM_RSRC2:TIDIG_COMP_CNT: 0
; COMPUTE_PGM_RSRC3_GFX90A:ACCUM_OFFSET: 19
; COMPUTE_PGM_RSRC3_GFX90A:TG_SPLIT: 0
	.section	.text._ZN4vllm25paged_attention_v1_kernelIffLi80ELi32ELi128ELNS_18Fp8KVCacheDataTypeE0ELb0EEEvPT_PKS2_PKT0_S8_ifPKiSA_iPKfiiiSC_SC_iiiii,"axG",@progbits,_ZN4vllm25paged_attention_v1_kernelIffLi80ELi32ELi128ELNS_18Fp8KVCacheDataTypeE0ELb0EEEvPT_PKS2_PKT0_S8_ifPKiSA_iPKfiiiSC_SC_iiiii,comdat
	.protected	_ZN4vllm25paged_attention_v1_kernelIffLi80ELi32ELi128ELNS_18Fp8KVCacheDataTypeE0ELb0EEEvPT_PKS2_PKT0_S8_ifPKiSA_iPKfiiiSC_SC_iiiii ; -- Begin function _ZN4vllm25paged_attention_v1_kernelIffLi80ELi32ELi128ELNS_18Fp8KVCacheDataTypeE0ELb0EEEvPT_PKS2_PKT0_S8_ifPKiSA_iPKfiiiSC_SC_iiiii
	.globl	_ZN4vllm25paged_attention_v1_kernelIffLi80ELi32ELi128ELNS_18Fp8KVCacheDataTypeE0ELb0EEEvPT_PKS2_PKT0_S8_ifPKiSA_iPKfiiiSC_SC_iiiii
	.p2align	8
	.type	_ZN4vllm25paged_attention_v1_kernelIffLi80ELi32ELi128ELNS_18Fp8KVCacheDataTypeE0ELb0EEEvPT_PKS2_PKT0_S8_ifPKiSA_iPKfiiiSC_SC_iiiii,@function
_ZN4vllm25paged_attention_v1_kernelIffLi80ELi32ELi128ELNS_18Fp8KVCacheDataTypeE0ELb0EEEvPT_PKS2_PKT0_S8_ifPKiSA_iPKfiiiSC_SC_iiiii: ; @_ZN4vllm25paged_attention_v1_kernelIffLi80ELi32ELi128ELNS_18Fp8KVCacheDataTypeE0ELb0EEEvPT_PKS2_PKT0_S8_ifPKiSA_iPKfiiiSC_SC_iiiii
; %bb.0:
	s_load_dword s5, s[0:1], 0x80
	s_load_dwordx2 s[6:7], s[0:1], 0x30
	s_load_dwordx2 s[8:9], s[0:1], 0x20
	s_mov_b32 s10, s3
	s_ashr_i32 s11, s3, 31
	s_lshl_b64 s[12:13], s[10:11], 2
	s_waitcnt lgkmcnt(0)
	s_add_u32 s6, s6, s12
	s_addc_u32 s7, s7, s13
	s_abs_i32 s3, s8
	v_cvt_f32_u32_e32 v1, s3
	s_sub_i32 s12, 0, s3
	s_abs_i32 s11, s5
	s_xor_b32 s8, s5, s8
	v_rcp_iflag_f32_e32 v1, v1
	s_ashr_i32 s8, s8, 31
	v_mul_f32_e32 v1, 0x4f7ffffe, v1
	v_cvt_u32_f32_e32 v1, v1
	s_nop 0
	v_readfirstlane_b32 s13, v1
	s_mul_i32 s12, s12, s13
	s_mul_hi_u32 s12, s13, s12
	s_add_i32 s13, s13, s12
	s_mul_hi_u32 s12, s11, s13
	s_mul_i32 s13, s12, s3
	s_sub_i32 s11, s11, s13
	s_add_i32 s13, s12, 1
	s_sub_i32 s14, s11, s3
	s_cmp_ge_u32 s11, s3
	s_cselect_b32 s12, s13, s12
	s_cselect_b32 s11, s14, s11
	s_add_i32 s13, s12, 1
	s_cmp_ge_u32 s11, s3
	s_cselect_b32 s3, s13, s12
	s_xor_b32 s3, s3, s8
	s_sub_i32 s14, s3, s8
	s_abs_i32 s11, s14
	v_cvt_f32_u32_e32 v1, s11
	s_load_dwordx2 s[12:13], s[0:1], 0x40
	s_sub_i32 s3, 0, s11
	s_abs_i32 s18, s2
	v_rcp_iflag_f32_e32 v1, v1
	s_mov_b32 s8, 0
	v_mul_f32_e32 v1, 0x4f7ffffe, v1
	v_cvt_u32_f32_e32 v1, v1
	s_nop 0
	v_readfirstlane_b32 s15, v1
	s_mul_i32 s3, s3, s15
	s_mul_hi_u32 s3, s15, s3
	s_add_i32 s15, s15, s3
	s_waitcnt lgkmcnt(0)
	s_cmp_eq_u64 s[12:13], 0
	s_mul_hi_u32 s19, s18, s15
	s_cbranch_scc1 .LBB47_2
; %bb.1:
	s_ashr_i32 s3, s2, 31
	s_lshl_b64 s[16:17], s[2:3], 2
	s_add_u32 s12, s12, s16
	s_addc_u32 s13, s13, s17
	s_load_dword s8, s[12:13], 0x0
.LBB47_2:
	s_load_dword s33, s[6:7], 0x0
	s_ashr_i32 s7, s14, 31
	s_load_dwordx4 s[12:15], s[0:1], 0x48
	s_ashr_i32 s6, s2, 31
	v_and_b32_e32 v44, 1, v0
	s_mul_i32 s16, s2, 0x50
	v_cmp_gt_u32_e32 vcc, 40, v0
	v_lshlrev_b32_e32 v2, 3, v0
	v_lshlrev_b32_e32 v56, 2, v0
	s_and_saveexec_b64 s[2:3], vcc
	s_cbranch_execz .LBB47_4
; %bb.3:
	s_load_dwordx2 s[20:21], s[0:1], 0x8
	s_waitcnt lgkmcnt(0)
	s_mul_i32 s22, s10, s12
	s_ashr_i32 s23, s22, 31
	s_lshl_b64 s[22:23], s[22:23], 2
	v_and_b32_e32 v1, 0xff8, v56
	s_add_u32 s12, s20, s22
	s_addc_u32 s15, s21, s23
	s_ashr_i32 s17, s16, 31
	s_lshl_b64 s[20:21], s[16:17], 2
	s_add_u32 s20, s12, s20
	s_addc_u32 s21, s15, s21
	global_load_dwordx2 v[4:5], v2, s[20:21]
	s_movk_i32 s12, 0xa0
	v_mad_u32_u24 v1, v44, s12, v1
	s_waitcnt vmcnt(0)
	ds_write_b64 v1, v[4:5]
.LBB47_4:
	s_or_b64 exec, exec, s[2:3]
	s_waitcnt lgkmcnt(0)
	s_add_i32 s3, s33, 31
	s_ashr_i32 s12, s3, 31
	s_lshr_b32 s12, s12, 27
	s_add_i32 s3, s3, s12
	s_ashr_i32 s17, s3, 5
	s_xor_b32 s3, s6, s7
	s_mul_i32 s6, s19, s11
	s_sub_i32 s6, s18, s6
	s_add_i32 s7, s19, 1
	s_sub_i32 s12, s6, s11
	s_load_dwordx2 s[20:21], s[0:1], 0x28
	s_load_dword s2, s[0:1], 0x38
	s_cmp_ge_u32 s6, s11
	s_cselect_b32 s7, s7, s19
	s_cselect_b32 s6, s12, s6
	s_add_i32 s12, s7, 1
	s_cmp_ge_u32 s6, s11
	s_cselect_b32 s6, s12, s7
	v_lshrrev_b32_e32 v1, 6, v0
	s_xor_b32 s6, s6, s3
	s_waitcnt lgkmcnt(0)
	s_mul_i32 s22, s10, s2
	s_sub_i32 s12, s6, s3
	s_ashr_i32 s23, s22, 31
	v_cmp_gt_i32_e64 s[6:7], s17, v1
	v_cmp_le_i32_e32 vcc, s17, v1
	v_mbcnt_lo_u32_b32 v45, -1, 0
	s_barrier
	s_waitcnt lgkmcnt(0)
                                        ; implicit-def: $sgpr15
                                        ; implicit-def: $vgpr46
                                        ; implicit-def: $vgpr47
	s_and_saveexec_b64 s[2:3], vcc
	s_xor_b64 s[2:3], exec, s[2:3]
; %bb.5:
	v_mbcnt_hi_u32_b32 v46, -1, v45
	v_and_b32_e32 v2, 64, v46
	v_add_u32_e32 v47, 64, v2
	s_mov_b32 s15, 0xff7fffff
                                        ; implicit-def: $vgpr2
                                        ; implicit-def: $vgpr44
                                        ; implicit-def: $vgpr45
; %bb.6:
	s_or_saveexec_b64 s[26:27], s[2:3]
	s_load_dwordx2 s[18:19], s[0:1], 0x0
	s_load_dwordx2 s[24:25], s[0:1], 0x18
	s_load_dword s11, s[0:1], 0x88
	v_mov_b32_e32 v48, s15
	s_mul_i32 s14, s12, s14
	v_lshrrev_b32_e32 v58, 4, v0
	s_xor_b64 exec, exec, s[26:27]
	s_cbranch_execz .LBB47_12
; %bb.7:
	s_load_dwordx2 s[0:1], s[0:1], 0x10
	s_ashr_i32 s15, s14, 31
	s_lshl_b64 s[2:3], s[14:15], 2
	v_bfe_u32 v48, v0, 1, 5
	v_lshlrev_b32_e32 v52, 4, v48
	s_waitcnt lgkmcnt(0)
	s_add_u32 s0, s0, s2
	s_addc_u32 s1, s1, s3
	v_mov_b32_e32 v53, 0
	v_lshl_add_u64 v[4:5], s[0:1], 0, v[52:53]
	v_and_b32_e32 v52, 8, v2
	v_mul_u32_u24_e32 v38, 0xa0, v44
	v_lshl_add_u64 v[42:43], v[4:5], 0, v[52:53]
	ds_read_b128 v[2:5], v38
	ds_read_b128 v[6:9], v38 offset:16
	ds_read_b128 v[10:13], v38 offset:32
	ds_read_b128 v[14:17], v38 offset:48
	ds_read_b128 v[18:21], v38 offset:64
	ds_read_b128 v[22:25], v38 offset:80
	ds_read_b128 v[26:29], v38 offset:96
	ds_read_b128 v[30:33], v38 offset:112
	ds_read_b128 v[34:37], v38 offset:128
	ds_read_b128 v[38:41], v38 offset:144
	v_mbcnt_hi_u32_b32 v46, -1, v45
	v_and_b32_e32 v47, 64, v46
	v_xor_b32_e32 v45, 1, v46
	v_add_u32_e32 v47, 64, v47
	s_sub_i32 s15, 1, s33
	s_lshl_b64 s[0:1], s[22:23], 2
	v_lshlrev_b32_e32 v51, 2, v48
	v_cmp_lt_i32_e32 vcc, v45, v47
	s_add_u32 s0, s20, s0
	v_and_b32_e32 v52, 60, v58
	v_cndmask_b32_e32 v45, v46, v45, vcc
	v_cmp_eq_u32_e32 vcc, 0, v44
	v_lshl_or_b32 v44, v1, 7, v51
	s_addc_u32 s1, s21, s1
	s_mov_b32 s12, s13
	v_lshlrev_b32_e32 v49, 2, v45
	v_cmp_neq_f32_e64 s[2:3], s8, 0
	v_lshl_or_b32 v50, v1, 5, v48
	v_add_u32_e32 v51, 0x150, v44
	v_lshl_add_u64 v[44:45], s[0:1], 0, v[52:53]
	s_mov_b64 s[28:29], 0
	v_mov_b32_e32 v48, 0xff7fffff
	s_movk_i32 s34, 0x1000
	s_movk_i32 s35, 0x2000
	v_mov_b32_e32 v52, v1
	s_branch .LBB47_9
.LBB47_8:                               ;   in Loop: Header=BB47_9 Depth=1
	s_or_b64 exec, exec, s[30:31]
	v_add_u32_e32 v52, 2, v52
	v_cmp_le_i32_e64 s[0:1], s17, v52
	v_add_u32_e32 v50, 64, v50
	v_add_u32_e32 v51, 0x100, v51
	s_or_b64 s[28:29], s[0:1], s[28:29]
	v_lshl_add_u64 v[44:45], v[44:45], 0, 8
	s_andn2_b64 exec, exec, s[28:29]
	s_cbranch_execz .LBB47_11
.LBB47_9:                               ; =>This Inner Loop Header: Depth=1
	global_load_dword v53, v[44:45], off
	s_waitcnt vmcnt(0) lgkmcnt(0)
	v_mad_i64_i32 v[54:55], s[0:1], v53, s12, 0
	v_lshl_add_u64 v[54:55], v[54:55], 2, v[42:43]
	global_load_dwordx2 v[60:61], v[54:55], off offset:512
	global_load_dwordx2 v[62:63], v[54:55], off offset:1024
	;; [unrolled: 1-line block ×3, first 2 shown]
	global_load_dwordx2 v[66:67], v[54:55], off
	global_load_dwordx2 v[68:69], v[54:55], off offset:2048
	global_load_dwordx2 v[70:71], v[54:55], off offset:2560
	v_add_co_u32_e64 v72, s[0:1], s34, v54
	s_waitcnt vmcnt(5) lgkmcnt(9)
	v_mul_f32_e32 v53, v4, v60
	v_addc_co_u32_e64 v73, s[0:1], 0, v55, s[0:1]
	v_add_co_u32_e64 v74, s[0:1], s35, v54
	v_mul_f32_e32 v57, v5, v61
	s_nop 0
	v_addc_co_u32_e64 v75, s[0:1], 0, v55, s[0:1]
	global_load_dwordx2 v[76:77], v[54:55], off offset:3072
	s_nop 0
	global_load_dwordx2 v[54:55], v[54:55], off offset:3584
	s_nop 0
	global_load_dwordx2 v[78:79], v[74:75], off offset:-4096
	global_load_dwordx2 v[80:81], v[72:73], off offset:512
	global_load_dwordx2 v[82:83], v[72:73], off offset:1024
	;; [unrolled: 1-line block ×4, first 2 shown]
	s_waitcnt vmcnt(9)
	v_fmac_f32_e32 v53, v2, v66
	v_fmac_f32_e32 v57, v3, v67
	global_load_dwordx2 v[60:61], v[72:73], off offset:2560
	s_waitcnt lgkmcnt(8)
	v_fmac_f32_e32 v53, v6, v62
	v_fmac_f32_e32 v57, v7, v63
	global_load_dwordx2 v[62:63], v[72:73], off offset:3584
	global_load_dwordx2 v[66:67], v[72:73], off offset:3072
	v_fmac_f32_e32 v53, v8, v64
	v_fmac_f32_e32 v57, v9, v65
	global_load_dwordx2 v[64:65], v[74:75], off
	s_waitcnt vmcnt(12) lgkmcnt(7)
	v_fmac_f32_e32 v53, v10, v68
	v_fmac_f32_e32 v57, v11, v69
	global_load_dwordx2 v[68:69], v[74:75], off offset:512
	s_waitcnt vmcnt(12)
	v_fmac_f32_e32 v53, v12, v70
	v_fmac_f32_e32 v57, v13, v71
	global_load_dwordx2 v[70:71], v[74:75], off offset:1024
	global_load_dwordx2 v[72:73], v[74:75], off offset:1536
	s_waitcnt vmcnt(13) lgkmcnt(6)
	v_fmac_f32_e32 v53, v14, v76
	v_fmac_f32_e32 v57, v15, v77
	s_waitcnt vmcnt(12)
	v_fmac_f32_e32 v53, v16, v54
	v_fmac_f32_e32 v57, v17, v55
	s_waitcnt vmcnt(11) lgkmcnt(5)
	v_fmac_f32_e32 v53, v18, v78
	v_fmac_f32_e32 v57, v19, v79
	s_waitcnt vmcnt(10)
	v_fmac_f32_e32 v53, v20, v80
	v_fmac_f32_e32 v57, v21, v81
	;; [unrolled: 6-line block ×4, first 2 shown]
	s_waitcnt vmcnt(4) lgkmcnt(2)
	v_fmac_f32_e32 v53, v30, v66
	v_fmac_f32_e32 v57, v31, v67
	;; [unrolled: 1-line block ×4, first 2 shown]
	s_waitcnt vmcnt(3) lgkmcnt(1)
	v_fmac_f32_e32 v53, v34, v64
	v_fmac_f32_e32 v57, v35, v65
	s_waitcnt vmcnt(2)
	v_fmac_f32_e32 v53, v36, v68
	v_fmac_f32_e32 v57, v37, v69
	s_waitcnt vmcnt(1) lgkmcnt(0)
	v_fmac_f32_e32 v53, v38, v70
	v_fmac_f32_e32 v57, v39, v71
	s_waitcnt vmcnt(0)
	v_fmac_f32_e32 v53, v40, v72
	v_fmac_f32_e32 v57, v41, v73
	v_add_f32_e32 v53, v53, v57
	ds_bpermute_b32 v54, v49, v53
	s_and_saveexec_b64 s[30:31], vcc
	s_cbranch_execz .LBB47_8
; %bb.10:                               ;   in Loop: Header=BB47_9 Depth=1
	v_add_u32_e32 v55, s15, v50
	v_cvt_f32_i32_e32 v55, v55
	s_waitcnt lgkmcnt(0)
	v_add_f32_e32 v53, v53, v54
	v_cmp_gt_i32_e64 s[0:1], s33, v50
	v_max_f32_e32 v54, v48, v48
	v_mul_f32_e32 v55, s8, v55
	v_cndmask_b32_e64 v55, 0, v55, s[2:3]
	v_fmac_f32_e32 v55, s9, v53
	v_cndmask_b32_e64 v53, 0, v55, s[0:1]
	ds_write_b32 v51, v53
	v_max_f32_e32 v53, v54, v55
	v_cndmask_b32_e64 v48, v48, v53, s[0:1]
	s_branch .LBB47_8
.LBB47_11:
	s_or_b64 exec, exec, s[28:29]
.LBB47_12:
	s_or_b64 exec, exec, s[26:27]
	v_xor_b32_e32 v2, 32, v46
	v_cmp_lt_i32_e32 vcc, v2, v47
	v_xor_b32_e32 v5, 16, v46
	v_max_f32_e32 v4, v48, v48
	v_cndmask_b32_e32 v2, v46, v2, vcc
	v_lshlrev_b32_e32 v2, 2, v2
	ds_bpermute_b32 v3, v2, v48
	v_cmp_lt_i32_e32 vcc, v5, v47
	v_xor_b32_e32 v6, 8, v46
	v_xor_b32_e32 v7, 4, v46
	v_and_b32_e32 v72, 63, v0
	s_waitcnt lgkmcnt(0)
	v_max_f32_e32 v3, v3, v3
	v_max_f32_e32 v4, v4, v3
	v_cndmask_b32_e32 v3, v46, v5, vcc
	v_lshlrev_b32_e32 v3, 2, v3
	ds_bpermute_b32 v5, v3, v4
	v_cmp_lt_i32_e32 vcc, v6, v47
	s_waitcnt lgkmcnt(0)
	v_max_f32_e32 v5, v5, v5
	v_max_f32_e32 v5, v4, v5
	v_cndmask_b32_e32 v4, v46, v6, vcc
	v_lshlrev_b32_e32 v4, 2, v4
	ds_bpermute_b32 v6, v4, v5
	v_cmp_lt_i32_e32 vcc, v7, v47
	s_waitcnt lgkmcnt(0)
	v_max_f32_e32 v6, v6, v6
	v_max_f32_e32 v5, v5, v6
	v_cndmask_b32_e32 v6, v46, v7, vcc
	v_lshlrev_b32_e32 v73, 2, v6
	ds_bpermute_b32 v6, v73, v5
	v_xor_b32_e32 v7, 2, v46
	v_cmp_lt_i32_e32 vcc, v7, v47
	s_waitcnt lgkmcnt(0)
	v_max_f32_e32 v6, v6, v6
	v_max_f32_e32 v6, v5, v6
	v_cndmask_b32_e32 v5, v46, v7, vcc
	v_lshlrev_b32_e32 v74, 2, v5
	ds_bpermute_b32 v7, v74, v6
	v_cmp_eq_u32_e32 vcc, 0, v72
	v_lshlrev_b32_e32 v5, 2, v1
	s_and_saveexec_b64 s[0:1], vcc
	s_cbranch_execz .LBB47_14
; %bb.13:
	s_waitcnt lgkmcnt(0)
	v_max_f32_e32 v7, v7, v7
	v_max_f32_e32 v6, v6, v6
	;; [unrolled: 1-line block ×3, first 2 shown]
	ds_write_b32 v5, v6 offset:320
.LBB47_14:
	s_or_b64 exec, exec, s[0:1]
	v_cmp_gt_u32_e64 s[0:1], 2, v72
	s_waitcnt lgkmcnt(0)
	v_mov_b32_e32 v7, 0xff7fffff
	v_lshlrev_b32_e32 v6, 2, v72
	s_barrier
	s_and_saveexec_b64 s[2:3], s[0:1]
	s_cbranch_execz .LBB47_16
; %bb.15:
	ds_read_b32 v7, v6 offset:320
.LBB47_16:
	s_or_b64 exec, exec, s[2:3]
	v_xor_b32_e32 v8, 1, v46
	v_cmp_lt_i32_e64 s[2:3], v8, v47
	v_lshlrev_b32_e32 v9, 2, v46
	s_nop 0
	v_cndmask_b32_e64 v8, v46, v8, s[2:3]
	v_lshlrev_b32_e32 v75, 2, v8
	s_waitcnt lgkmcnt(0)
	ds_bpermute_b32 v8, v75, v7
	v_max_f32_e32 v7, v7, v7
	s_lshl_b32 s2, s17, 5
	s_min_i32 s12, s2, s33
	v_cmp_gt_i32_e64 s[2:3], s12, v0
	s_waitcnt lgkmcnt(0)
	v_max_f32_e32 v8, v8, v8
	v_max_f32_e32 v8, v7, v8
	v_and_b32_e32 v7, 0xffffff00, v9
	ds_bpermute_b32 v9, v7, v8
	v_mov_b32_e32 v8, 0
	s_and_saveexec_b64 s[26:27], s[2:3]
	s_cbranch_execz .LBB47_20
; %bb.17:
	v_mov_b32_e32 v8, 0x150
	v_lshl_add_u32 v10, v0, 2, v8
	s_mov_b64 s[28:29], 0
	v_mov_b32_e32 v8, 0
	v_mov_b32_e32 v11, v0
.LBB47_18:                              ; =>This Inner Loop Header: Depth=1
	ds_read_b32 v12, v10
	v_add_u32_e32 v11, 0x80, v11
	v_cmp_le_i32_e64 s[8:9], s12, v11
	s_or_b64 s[28:29], s[8:9], s[28:29]
	s_waitcnt lgkmcnt(0)
	v_sub_f32_e32 v12, v12, v9
	v_mul_f32_e32 v12, 0x3fb8aa3b, v12
	v_exp_f32_e32 v12, v12
	ds_write_b32 v10, v12
	v_add_f32_e32 v8, v8, v12
	v_add_u32_e32 v10, 0x200, v10
	s_andn2_b64 exec, exec, s[28:29]
	s_cbranch_execnz .LBB47_18
; %bb.19:
	s_or_b64 exec, exec, s[28:29]
.LBB47_20:
	s_or_b64 exec, exec, s[26:27]
	ds_bpermute_b32 v2, v2, v8
	s_waitcnt lgkmcnt(0)
	v_add_f32_e32 v2, v8, v2
	ds_bpermute_b32 v3, v3, v2
	s_waitcnt lgkmcnt(0)
	v_add_f32_e32 v2, v2, v3
	;; [unrolled: 3-line block ×6, first 2 shown]
	s_and_saveexec_b64 s[8:9], vcc
	s_cbranch_execz .LBB47_22
; %bb.21:
	ds_write_b32 v5, v2 offset:328
.LBB47_22:
	s_or_b64 exec, exec, s[8:9]
	s_waitcnt lgkmcnt(0)
	s_barrier
	s_and_saveexec_b64 s[8:9], s[0:1]
	s_cbranch_execz .LBB47_24
; %bb.23:
	ds_read_b32 v2, v6 offset:328
.LBB47_24:
	s_or_b64 exec, exec, s[8:9]
	s_waitcnt lgkmcnt(0)
	ds_bpermute_b32 v3, v75, v2
	s_waitcnt lgkmcnt(0)
	v_add_f32_e32 v2, v2, v3
	ds_bpermute_b32 v2, v7, v2
	s_and_saveexec_b64 s[0:1], s[2:3]
	s_cbranch_execz .LBB47_37
; %bb.25:
	s_waitcnt lgkmcnt(0)
	v_add_f32_e32 v2, 0x358637bd, v2
	v_div_scale_f32 v3, s[2:3], v2, v2, 1.0
	v_rcp_f32_e32 v4, v3
	v_div_scale_f32 v5, vcc, 1.0, v2, 1.0
	s_movk_i32 s2, 0x7f
	v_fma_f32 v6, -v3, v4, 1.0
	v_fmac_f32_e32 v4, v6, v4
	v_mul_f32_e32 v6, v5, v4
	v_fma_f32 v7, -v3, v6, v5
	v_fmac_f32_e32 v6, v7, v4
	v_fma_f32 v3, -v3, v6, v5
	v_div_fmas_f32 v3, v3, v4, v6
	v_xad_u32 v4, v0, -1, s12
	v_div_fixup_f32 v2, v3, v2, 1.0
	v_cmp_lt_u32_e32 vcc, s2, v4
	s_mov_b64 s[8:9], -1
	v_mov_b32_e32 v3, v0
	s_and_saveexec_b64 s[2:3], vcc
	s_cbranch_execz .LBB47_34
; %bb.26:
	v_lshrrev_b32_e32 v4, 7, v4
	v_add_u32_e32 v6, -1, v4
	v_lshrrev_b32_e32 v5, 1, v6
	v_mov_b32_e32 v3, v2
	v_add_u32_e32 v5, 1, v5
	v_cmp_lt_u32_e32 vcc, 13, v6
	v_mov_b32_e32 v8, 0
	s_and_saveexec_b64 s[8:9], vcc
	s_cbranch_execz .LBB47_30
; %bb.27:
	v_mov_b32_e32 v7, 0x150
	v_and_b32_e32 v6, -8, v5
	v_lshl_add_u32 v7, v0, 2, v7
	s_mov_b32 s15, 0
	s_mov_b64 s[26:27], 0
.LBB47_28:                              ; =>This Inner Loop Header: Depth=1
	ds_read2st64_b32 v[8:9], v7 offset1:2
	ds_read2st64_b32 v[10:11], v7 offset0:4 offset1:6
	ds_read2st64_b32 v[12:13], v7 offset0:8 offset1:10
	;; [unrolled: 1-line block ×3, first 2 shown]
	v_add_u32_e32 v6, -8, v6
	s_waitcnt lgkmcnt(3)
	v_pk_mul_f32 v[8:9], v[2:3], v[8:9]
	s_waitcnt lgkmcnt(2)
	v_pk_mul_f32 v[10:11], v[2:3], v[10:11]
	ds_write2st64_b32 v7, v8, v9 offset1:2
	ds_write2st64_b32 v7, v10, v11 offset0:4 offset1:6
	ds_read2st64_b32 v[10:11], v7 offset0:16 offset1:18
	s_waitcnt lgkmcnt(4)
	v_pk_mul_f32 v[8:9], v[2:3], v[12:13]
	ds_write2st64_b32 v7, v8, v9 offset0:8 offset1:10
	s_waitcnt lgkmcnt(4)
	v_pk_mul_f32 v[8:9], v[2:3], v[14:15]
	ds_write2st64_b32 v7, v8, v9 offset0:12 offset1:14
	ds_read2st64_b32 v[8:9], v7 offset0:20 offset1:22
	s_waitcnt lgkmcnt(3)
	v_pk_mul_f32 v[10:11], v[2:3], v[10:11]
	ds_read2st64_b32 v[12:13], v7 offset0:24 offset1:26
	ds_write2st64_b32 v7, v10, v11 offset0:16 offset1:18
	ds_read2st64_b32 v[10:11], v7 offset0:28 offset1:30
	s_waitcnt lgkmcnt(3)
	v_pk_mul_f32 v[8:9], v[2:3], v[8:9]
	ds_write2st64_b32 v7, v8, v9 offset0:20 offset1:22
	s_waitcnt lgkmcnt(3)
	v_pk_mul_f32 v[8:9], v[2:3], v[12:13]
	ds_write2st64_b32 v7, v8, v9 offset0:24 offset1:26
	s_waitcnt lgkmcnt(2)
	v_pk_mul_f32 v[8:9], v[2:3], v[10:11]
	s_add_i32 s15, s15, 16
	v_cmp_eq_u32_e32 vcc, 0, v6
	ds_write2st64_b32 v7, v8, v9 offset0:28 offset1:30
	v_add_u32_e32 v7, 0x2000, v7
	s_or_b64 s[26:27], vcc, s[26:27]
	v_mov_b32_e32 v8, s15
	s_andn2_b64 exec, exec, s[26:27]
	s_cbranch_execnz .LBB47_28
; %bb.29:
	s_or_b64 exec, exec, s[26:27]
.LBB47_30:
	s_or_b64 exec, exec, s[8:9]
	v_and_b32_e32 v5, 7, v5
	v_cmp_ne_u32_e32 vcc, 0, v5
	s_and_saveexec_b64 s[8:9], vcc
	s_cbranch_execz .LBB47_33
; %bb.31:
	v_lshlrev_b32_e32 v6, 9, v8
	s_movk_i32 s15, 0x150
	v_add3_u32 v6, v6, v56, s15
	s_mov_b64 s[26:27], 0
.LBB47_32:                              ; =>This Inner Loop Header: Depth=1
	ds_read2st64_b32 v[8:9], v6 offset1:2
	v_add_u32_e32 v5, -1, v5
	v_cmp_eq_u32_e32 vcc, 0, v5
	s_or_b64 s[26:27], vcc, s[26:27]
	s_waitcnt lgkmcnt(0)
	v_pk_mul_f32 v[8:9], v[2:3], v[8:9]
	ds_write2st64_b32 v6, v8, v9 offset1:2
	v_add_u32_e32 v6, 0x400, v6
	s_andn2_b64 exec, exec, s[26:27]
	s_cbranch_execnz .LBB47_32
.LBB47_33:
	s_or_b64 exec, exec, s[8:9]
	v_add_u32_e32 v4, 1, v4
	v_and_b32_e32 v5, 0x3fffffe, v4
	v_cmp_ne_u32_e32 vcc, v4, v5
	v_lshl_add_u32 v3, v5, 7, v0
	s_orn2_b64 s[8:9], vcc, exec
.LBB47_34:
	s_or_b64 exec, exec, s[2:3]
	s_and_b64 exec, exec, s[8:9]
	s_cbranch_execz .LBB47_37
; %bb.35:
	v_mov_b32_e32 v4, 0x150
	v_lshl_add_u32 v4, v3, 2, v4
	s_mov_b64 s[2:3], 0
.LBB47_36:                              ; =>This Inner Loop Header: Depth=1
	ds_read_b32 v5, v4
	v_add_u32_e32 v3, 0x80, v3
	v_cmp_le_i32_e32 vcc, s12, v3
	s_or_b64 s[2:3], vcc, s[2:3]
	s_waitcnt lgkmcnt(0)
	v_mul_f32_e32 v5, v2, v5
	ds_write_b32 v4, v5
	v_add_u32_e32 v4, 0x200, v4
	s_andn2_b64 exec, exec, s[2:3]
	s_cbranch_execnz .LBB47_36
.LBB47_37:
	s_or_b64 exec, exec, s[0:1]
	v_mov_b32_e32 v47, 0
	v_and_b32_e32 v76, 7, v0
	v_mov_b32_e32 v46, 0
	v_mov_b32_e32 v49, 0
	;; [unrolled: 1-line block ×9, first 2 shown]
	s_waitcnt lgkmcnt(0)
	s_barrier
	s_and_saveexec_b64 s[2:3], s[6:7]
	s_cbranch_execz .LBB47_61
; %bb.38:
	s_ashr_i32 s15, s14, 31
	s_lshl_b64 s[0:1], s[14:15], 2
	s_add_u32 s6, s24, s0
	v_and_b32_e32 v3, 28, v56
	s_addc_u32 s7, s25, s1
	s_add_i32 s14, s17, -1
	v_lshlrev_b32_e32 v5, 5, v1
	s_lshl_b64 s[0:1], s[22:23], 2
	v_and_b32_e32 v2, 0xfc, v56
	v_or3_b32 v77, v5, v3, 3
	v_lshlrev_b32_e32 v3, 4, v76
	s_add_u32 s0, s20, s0
	v_mov_b32_e32 v57, 0
	v_or_b32_e32 v4, 0x400, v2
	v_or_b32_e32 v6, 0x500, v2
	v_or_b32_e32 v8, 0x600, v2
	v_or_b32_e32 v10, 0x700, v2
	v_or_b32_e32 v12, 0x800, v2
	v_or_b32_e32 v14, 0x900, v2
	v_lshl_or_b32 v3, v1, 7, v3
	v_and_b32_e32 v56, 60, v58
	s_addc_u32 s1, s21, s1
	s_mov_b32 s26, s13
	v_add_u32_e32 v78, 0x150, v3
	v_lshl_add_u64 v[58:59], s[0:1], 0, v[56:57]
	s_mov_b64 s[8:9], 0
	v_lshlrev_b32_e32 v60, 2, v2
	v_mov_b32_e32 v61, v57
	v_lshlrev_b32_e32 v56, 2, v4
	v_lshlrev_b32_e32 v62, 2, v6
	;; [unrolled: 1-line block ×6, first 2 shown]
	v_mov_b32_e32 v47, v57
	v_mov_b32_e32 v46, v57
	;; [unrolled: 1-line block ×10, first 2 shown]
	s_branch .LBB47_40
.LBB47_39:                              ;   in Loop: Header=BB47_40 Depth=1
	s_or_b64 exec, exec, s[0:1]
	s_waitcnt vmcnt(1) lgkmcnt(0)
	v_mul_f32_e32 v43, v3, v43
	v_mul_f32_e32 v35, v3, v35
	;; [unrolled: 1-line block ×9, first 2 shown]
	s_waitcnt vmcnt(0)
	v_mul_f32_e32 v3, v3, v39
	v_fmac_f32_e32 v43, v2, v42
	v_fmac_f32_e32 v35, v2, v34
	;; [unrolled: 1-line block ×20, first 2 shown]
	v_add_u32_e32 v1, 2, v1
	v_fmac_f32_e32 v43, v5, v45
	v_fmac_f32_e32 v35, v5, v37
	;; [unrolled: 1-line block ×10, first 2 shown]
	v_cmp_le_i32_e32 vcc, s17, v1
	v_add_f32_e32 v46, v46, v43
	v_add_f32_e32 v49, v49, v35
	;; [unrolled: 1-line block ×10, first 2 shown]
	v_add_u32_e32 v77, 64, v77
	v_add_u32_e32 v78, 0x100, v78
	s_or_b64 s[8:9], vcc, s[8:9]
	v_lshl_add_u64 v[58:59], v[58:59], 0, 8
	s_andn2_b64 exec, exec, s[8:9]
	s_cbranch_execz .LBB47_60
.LBB47_40:                              ; =>This Inner Loop Header: Depth=1
	global_load_dword v2, v[58:59], off
	v_add_u32_e32 v79, -3, v77
	v_cmp_eq_u32_e32 vcc, s14, v1
	v_add_u32_e32 v81, -2, v77
	v_add_u32_e32 v80, -1, v77
	s_waitcnt vmcnt(0)
	v_mad_i64_i32 v[2:3], s[0:1], v2, s26, 0
	v_lshl_add_u64 v[38:39], v[2:3], 2, s[6:7]
	v_lshl_add_u64 v[18:19], v[38:39], 0, v[60:61]
	global_load_dwordx4 v[6:9], v[18:19], off
	ds_read_b128 v[2:5], v78
	s_and_saveexec_b64 s[12:13], vcc
	s_cbranch_execnz .LBB47_57
; %bb.41:                               ;   in Loop: Header=BB47_40 Depth=1
	s_or_b64 exec, exec, s[12:13]
	global_load_dwordx4 v[10:13], v[18:19], off offset:1024
	s_and_saveexec_b64 s[12:13], vcc
	s_cbranch_execnz .LBB47_58
.LBB47_42:                              ;   in Loop: Header=BB47_40 Depth=1
	s_or_b64 exec, exec, s[12:13]
	global_load_dwordx4 v[14:17], v[18:19], off offset:2048
	s_and_saveexec_b64 s[12:13], vcc
	s_cbranch_execnz .LBB47_59
.LBB47_43:                              ;   in Loop: Header=BB47_40 Depth=1
	s_or_b64 exec, exec, s[12:13]
	global_load_dwordx4 v[18:21], v[18:19], off offset:3072
	s_and_saveexec_b64 s[12:13], vcc
	s_cbranch_execz .LBB47_45
.LBB47_44:                              ;   in Loop: Header=BB47_40 Depth=1
	v_cmp_gt_i32_e64 s[0:1], s33, v79
	s_waitcnt vmcnt(0)
	s_nop 0
	v_cndmask_b32_e64 v18, 0, v18, s[0:1]
	v_cmp_gt_i32_e64 s[0:1], s33, v81
	s_nop 1
	v_cndmask_b32_e64 v19, 0, v19, s[0:1]
	v_cmp_gt_i32_e64 s[0:1], s33, v80
	;; [unrolled: 3-line block ×3, first 2 shown]
	s_nop 1
	v_cndmask_b32_e64 v21, 0, v21, s[0:1]
.LBB47_45:                              ;   in Loop: Header=BB47_40 Depth=1
	s_or_b64 exec, exec, s[12:13]
	v_lshl_add_u64 v[22:23], v[38:39], 0, v[56:57]
	global_load_dwordx4 v[22:25], v[22:23], off
	s_and_saveexec_b64 s[12:13], vcc
	s_cbranch_execz .LBB47_47
; %bb.46:                               ;   in Loop: Header=BB47_40 Depth=1
	v_cmp_gt_i32_e64 s[0:1], s33, v79
	s_waitcnt vmcnt(0)
	s_nop 0
	v_cndmask_b32_e64 v22, 0, v22, s[0:1]
	v_cmp_gt_i32_e64 s[0:1], s33, v81
	s_nop 1
	v_cndmask_b32_e64 v23, 0, v23, s[0:1]
	v_cmp_gt_i32_e64 s[0:1], s33, v80
	s_nop 1
	v_cndmask_b32_e64 v24, 0, v24, s[0:1]
	v_cmp_gt_i32_e64 s[0:1], s33, v77
	s_nop 1
	v_cndmask_b32_e64 v25, 0, v25, s[0:1]
.LBB47_47:                              ;   in Loop: Header=BB47_40 Depth=1
	s_or_b64 exec, exec, s[12:13]
	v_mov_b32_e32 v63, v57
	v_lshl_add_u64 v[26:27], v[38:39], 0, v[62:63]
	global_load_dwordx4 v[26:29], v[26:27], off
	s_and_saveexec_b64 s[12:13], vcc
	s_cbranch_execz .LBB47_49
; %bb.48:                               ;   in Loop: Header=BB47_40 Depth=1
	v_cmp_gt_i32_e64 s[0:1], s33, v79
	s_waitcnt vmcnt(0)
	s_nop 0
	v_cndmask_b32_e64 v26, 0, v26, s[0:1]
	v_cmp_gt_i32_e64 s[0:1], s33, v81
	s_nop 1
	v_cndmask_b32_e64 v27, 0, v27, s[0:1]
	v_cmp_gt_i32_e64 s[0:1], s33, v80
	s_nop 1
	v_cndmask_b32_e64 v28, 0, v28, s[0:1]
	v_cmp_gt_i32_e64 s[0:1], s33, v77
	s_nop 1
	v_cndmask_b32_e64 v29, 0, v29, s[0:1]
.LBB47_49:                              ;   in Loop: Header=BB47_40 Depth=1
	s_or_b64 exec, exec, s[12:13]
	v_mov_b32_e32 v65, v57
	;; [unrolled: 21-line block ×5, first 2 shown]
	v_lshl_add_u64 v[38:39], v[38:39], 0, v[70:71]
	global_load_dwordx4 v[38:41], v[38:39], off
	s_and_saveexec_b64 s[0:1], vcc
	s_cbranch_execz .LBB47_39
; %bb.56:                               ;   in Loop: Header=BB47_40 Depth=1
	v_cmp_gt_i32_e32 vcc, s33, v79
	s_waitcnt vmcnt(0)
	s_nop 0
	v_cndmask_b32_e32 v38, 0, v38, vcc
	v_cmp_gt_i32_e32 vcc, s33, v81
	s_nop 1
	v_cndmask_b32_e32 v39, 0, v39, vcc
	v_cmp_gt_i32_e32 vcc, s33, v80
	;; [unrolled: 3-line block ×3, first 2 shown]
	s_nop 1
	v_cndmask_b32_e32 v41, 0, v41, vcc
	s_branch .LBB47_39
.LBB47_57:                              ;   in Loop: Header=BB47_40 Depth=1
	v_cmp_gt_i32_e64 s[0:1], s33, v79
	s_waitcnt vmcnt(0)
	s_nop 0
	v_cndmask_b32_e64 v6, 0, v6, s[0:1]
	v_cmp_gt_i32_e64 s[0:1], s33, v81
	s_nop 1
	v_cndmask_b32_e64 v7, 0, v7, s[0:1]
	v_cmp_gt_i32_e64 s[0:1], s33, v80
	;; [unrolled: 3-line block ×3, first 2 shown]
	s_nop 1
	v_cndmask_b32_e64 v9, 0, v9, s[0:1]
	s_or_b64 exec, exec, s[12:13]
	global_load_dwordx4 v[10:13], v[18:19], off offset:1024
	s_and_saveexec_b64 s[12:13], vcc
	s_cbranch_execz .LBB47_42
.LBB47_58:                              ;   in Loop: Header=BB47_40 Depth=1
	v_cmp_gt_i32_e64 s[0:1], s33, v79
	s_waitcnt vmcnt(0)
	s_nop 0
	v_cndmask_b32_e64 v10, 0, v10, s[0:1]
	v_cmp_gt_i32_e64 s[0:1], s33, v81
	s_nop 1
	v_cndmask_b32_e64 v11, 0, v11, s[0:1]
	v_cmp_gt_i32_e64 s[0:1], s33, v80
	;; [unrolled: 3-line block ×3, first 2 shown]
	s_nop 1
	v_cndmask_b32_e64 v13, 0, v13, s[0:1]
	s_or_b64 exec, exec, s[12:13]
	global_load_dwordx4 v[14:17], v[18:19], off offset:2048
	s_and_saveexec_b64 s[12:13], vcc
	s_cbranch_execz .LBB47_43
.LBB47_59:                              ;   in Loop: Header=BB47_40 Depth=1
	v_cmp_gt_i32_e64 s[0:1], s33, v79
	s_waitcnt vmcnt(0)
	s_nop 0
	v_cndmask_b32_e64 v14, 0, v14, s[0:1]
	v_cmp_gt_i32_e64 s[0:1], s33, v81
	s_nop 1
	v_cndmask_b32_e64 v15, 0, v15, s[0:1]
	v_cmp_gt_i32_e64 s[0:1], s33, v80
	s_nop 1
	v_cndmask_b32_e64 v16, 0, v16, s[0:1]
	v_cmp_gt_i32_e64 s[0:1], s33, v77
	s_nop 1
	v_cndmask_b32_e64 v17, 0, v17, s[0:1]
	s_or_b64 exec, exec, s[12:13]
	global_load_dwordx4 v[18:21], v[18:19], off offset:3072
	s_and_saveexec_b64 s[12:13], vcc
	s_cbranch_execnz .LBB47_44
	s_branch .LBB47_45
.LBB47_60:
	s_or_b64 exec, exec, s[8:9]
.LBB47_61:
	s_or_b64 exec, exec, s[2:3]
	ds_bpermute_b32 v8, v73, v50
	ds_bpermute_b32 v9, v73, v51
	;; [unrolled: 1-line block ×6, first 2 shown]
	s_waitcnt lgkmcnt(4)
	v_pk_add_f32 v[8:9], v[50:51], v[8:9]
	ds_bpermute_b32 v12, v74, v8
	s_waitcnt lgkmcnt(3)
	v_pk_add_f32 v[2:3], v[54:55], v[2:3]
	ds_bpermute_b32 v13, v74, v9
	;; [unrolled: 3-line block ×3, first 2 shown]
	ds_bpermute_b32 v15, v73, v49
	ds_bpermute_b32 v6, v74, v2
	;; [unrolled: 1-line block ×7, first 2 shown]
	s_waitcnt lgkmcnt(8)
	v_pk_add_f32 v[12:13], v[8:9], v[12:13]
	s_waitcnt lgkmcnt(6)
	v_pk_add_f32 v[8:9], v[48:49], v[14:15]
	s_waitcnt lgkmcnt(4)
	v_pk_add_f32 v[2:3], v[2:3], v[6:7]
	s_waitcnt lgkmcnt(2)
	v_pk_add_f32 v[4:5], v[4:5], v[10:11]
	ds_bpermute_b32 v14, v74, v8
	ds_bpermute_b32 v15, v74, v9
	s_waitcnt lgkmcnt(2)
	v_pk_add_f32 v[18:19], v[46:47], v[18:19]
	ds_bpermute_b32 v6, v75, v2
	ds_bpermute_b32 v7, v75, v3
	;; [unrolled: 1-line block ×8, first 2 shown]
	s_waitcnt lgkmcnt(8)
	v_pk_add_f32 v[14:15], v[8:9], v[14:15]
	ds_bpermute_b32 v20, v75, v14
	ds_bpermute_b32 v21, v75, v15
	s_waitcnt lgkmcnt(8)
	v_pk_add_f32 v[8:9], v[2:3], v[6:7]
	s_waitcnt lgkmcnt(6)
	v_pk_add_f32 v[6:7], v[4:5], v[10:11]
	;; [unrolled: 2-line block ×4, first 2 shown]
	ds_bpermute_b32 v12, v75, v10
	ds_bpermute_b32 v13, v75, v11
	v_and_b32_e32 v1, 0x3c7, v0
	s_waitcnt lgkmcnt(2)
	v_pk_add_f32 v[2:3], v[14:15], v[20:21]
	v_cmp_ne_u32_e32 vcc, 64, v1
	s_waitcnt lgkmcnt(0)
	s_barrier
	s_and_saveexec_b64 s[0:1], vcc
	s_xor_b64 s[0:1], exec, s[0:1]
; %bb.62:
                                        ; implicit-def: $vgpr72
; %bb.63:
	s_or_saveexec_b64 s[0:1], s[0:1]
	v_pk_add_f32 v[10:11], v[10:11], v[12:13]
	s_xor_b64 exec, exec, s[0:1]
	s_cbranch_execz .LBB47_65
; %bb.64:
	v_lshrrev_b32_e32 v12, 1, v72
	v_add_u32_e32 v12, 0x150, v12
	ds_write2_b32 v12, v8, v9 offset1:8
	ds_write2_b32 v12, v6, v7 offset0:16 offset1:24
	ds_write2_b32 v12, v4, v5 offset0:32 offset1:40
	;; [unrolled: 1-line block ×4, first 2 shown]
.LBB47_65:
	s_or_b64 exec, exec, s[0:1]
	v_cmp_gt_u32_e32 vcc, 64, v0
	s_waitcnt lgkmcnt(0)
	s_barrier
	s_and_saveexec_b64 s[0:1], vcc
	s_cbranch_execz .LBB47_78
; %bb.66:
	v_cmp_eq_u32_e32 vcc, 0, v76
	v_lshrrev_b32_e32 v12, 3, v0
	s_and_saveexec_b64 s[2:3], vcc
	s_cbranch_execnz .LBB47_81
; %bb.67:
	s_or_b64 exec, exec, s[2:3]
	s_and_saveexec_b64 s[2:3], vcc
	s_cbranch_execnz .LBB47_82
.LBB47_68:
	s_or_b64 exec, exec, s[2:3]
	s_and_saveexec_b64 s[2:3], vcc
	s_cbranch_execnz .LBB47_83
.LBB47_69:
	s_or_b64 exec, exec, s[2:3]
	s_and_saveexec_b64 s[2:3], vcc
	s_cbranch_execnz .LBB47_84
.LBB47_70:
	s_or_b64 exec, exec, s[2:3]
	s_and_saveexec_b64 s[2:3], vcc
	s_cbranch_execnz .LBB47_85
.LBB47_71:
	s_or_b64 exec, exec, s[2:3]
	s_and_saveexec_b64 s[2:3], vcc
	s_cbranch_execnz .LBB47_86
.LBB47_72:
	s_or_b64 exec, exec, s[2:3]
	s_and_saveexec_b64 s[2:3], vcc
	s_cbranch_execnz .LBB47_87
.LBB47_73:
	s_or_b64 exec, exec, s[2:3]
	s_and_saveexec_b64 s[2:3], vcc
	s_cbranch_execnz .LBB47_88
.LBB47_74:
	s_or_b64 exec, exec, s[2:3]
	s_and_saveexec_b64 s[2:3], vcc
	s_cbranch_execnz .LBB47_89
.LBB47_75:
	s_or_b64 exec, exec, s[2:3]
	s_and_saveexec_b64 s[2:3], vcc
	s_cbranch_execz .LBB47_77
.LBB47_76:
	v_mov_b32_e32 v13, 0x150
	v_lshl_add_u32 v12, v12, 2, v13
	ds_read_b32 v12, v12 offset:288
	s_waitcnt lgkmcnt(0)
	v_add_f32_e32 v11, v11, v12
.LBB47_77:
	s_or_b64 exec, exec, s[2:3]
.LBB47_78:
	s_or_b64 exec, exec, s[0:1]
	v_cmp_eq_u32_e32 vcc, 0, v1
	s_barrier
	s_and_saveexec_b64 s[0:1], vcc
	s_cbranch_execz .LBB47_80
; %bb.79:
	s_mul_i32 s0, s10, s11
	s_mul_i32 s0, s0, s5
	s_mulk_i32 s0, 0x50
	s_ashr_i32 s1, s0, 31
	s_lshl_b64 s[0:1], s[0:1], 2
	s_add_u32 s2, s18, s0
	s_mul_i32 s0, s11, s16
	s_addc_u32 s3, s19, s1
	s_ashr_i32 s1, s0, 31
	s_lshl_b64 s[0:1], s[0:1], 2
	s_add_u32 s2, s2, s0
	s_mul_i32 s0, s4, 0x50
	s_addc_u32 s3, s3, s1
	s_ashr_i32 s1, s0, 31
	s_lshl_b64 s[0:1], s[0:1], 2
	s_add_u32 s0, s2, s0
	s_addc_u32 s1, s3, s1
	v_lshrrev_b32_e32 v0, 1, v0
	global_store_dword v0, v8, s[0:1]
	global_store_dword v0, v9, s[0:1] offset:32
	global_store_dword v0, v6, s[0:1] offset:64
	;; [unrolled: 1-line block ×9, first 2 shown]
.LBB47_80:
	s_endpgm
.LBB47_81:
	v_mov_b32_e32 v13, 0x150
	v_lshl_add_u32 v13, v12, 2, v13
	ds_read_b32 v13, v13
	s_waitcnt lgkmcnt(0)
	v_add_f32_e32 v8, v8, v13
	s_or_b64 exec, exec, s[2:3]
	s_and_saveexec_b64 s[2:3], vcc
	s_cbranch_execz .LBB47_68
.LBB47_82:
	v_mov_b32_e32 v13, 0x150
	v_lshl_add_u32 v13, v12, 2, v13
	ds_read_b32 v13, v13 offset:32
	s_waitcnt lgkmcnt(0)
	v_add_f32_e32 v9, v9, v13
	s_or_b64 exec, exec, s[2:3]
	s_and_saveexec_b64 s[2:3], vcc
	s_cbranch_execz .LBB47_69
.LBB47_83:
	v_mov_b32_e32 v13, 0x150
	v_lshl_add_u32 v13, v12, 2, v13
	ds_read_b32 v13, v13 offset:64
	s_waitcnt lgkmcnt(0)
	v_add_f32_e32 v6, v6, v13
	s_or_b64 exec, exec, s[2:3]
	s_and_saveexec_b64 s[2:3], vcc
	s_cbranch_execz .LBB47_70
.LBB47_84:
	v_mov_b32_e32 v13, 0x150
	v_lshl_add_u32 v13, v12, 2, v13
	ds_read_b32 v13, v13 offset:96
	s_waitcnt lgkmcnt(0)
	v_add_f32_e32 v7, v7, v13
	s_or_b64 exec, exec, s[2:3]
	s_and_saveexec_b64 s[2:3], vcc
	s_cbranch_execz .LBB47_71
.LBB47_85:
	v_mov_b32_e32 v13, 0x150
	v_lshl_add_u32 v13, v12, 2, v13
	ds_read_b32 v13, v13 offset:128
	s_waitcnt lgkmcnt(0)
	v_add_f32_e32 v4, v4, v13
	s_or_b64 exec, exec, s[2:3]
	s_and_saveexec_b64 s[2:3], vcc
	s_cbranch_execz .LBB47_72
.LBB47_86:
	v_mov_b32_e32 v13, 0x150
	v_lshl_add_u32 v13, v12, 2, v13
	ds_read_b32 v13, v13 offset:160
	s_waitcnt lgkmcnt(0)
	v_add_f32_e32 v5, v5, v13
	s_or_b64 exec, exec, s[2:3]
	s_and_saveexec_b64 s[2:3], vcc
	s_cbranch_execz .LBB47_73
.LBB47_87:
	v_mov_b32_e32 v13, 0x150
	v_lshl_add_u32 v13, v12, 2, v13
	ds_read_b32 v13, v13 offset:192
	s_waitcnt lgkmcnt(0)
	v_add_f32_e32 v2, v2, v13
	s_or_b64 exec, exec, s[2:3]
	s_and_saveexec_b64 s[2:3], vcc
	s_cbranch_execz .LBB47_74
.LBB47_88:
	v_mov_b32_e32 v13, 0x150
	v_lshl_add_u32 v13, v12, 2, v13
	ds_read_b32 v13, v13 offset:224
	s_waitcnt lgkmcnt(0)
	v_add_f32_e32 v3, v3, v13
	s_or_b64 exec, exec, s[2:3]
	s_and_saveexec_b64 s[2:3], vcc
	s_cbranch_execz .LBB47_75
.LBB47_89:
	v_mov_b32_e32 v13, 0x150
	v_lshl_add_u32 v13, v12, 2, v13
	ds_read_b32 v13, v13 offset:256
	s_waitcnt lgkmcnt(0)
	v_add_f32_e32 v10, v10, v13
	s_or_b64 exec, exec, s[2:3]
	s_and_saveexec_b64 s[2:3], vcc
	s_cbranch_execnz .LBB47_76
	s_branch .LBB47_77
	.section	.rodata,"a",@progbits
	.p2align	6, 0x0
	.amdhsa_kernel _ZN4vllm25paged_attention_v1_kernelIffLi80ELi32ELi128ELNS_18Fp8KVCacheDataTypeE0ELb0EEEvPT_PKS2_PKT0_S8_ifPKiSA_iPKfiiiSC_SC_iiiii
		.amdhsa_group_segment_fixed_size 336
		.amdhsa_private_segment_fixed_size 0
		.amdhsa_kernarg_size 384
		.amdhsa_user_sgpr_count 2
		.amdhsa_user_sgpr_dispatch_ptr 0
		.amdhsa_user_sgpr_queue_ptr 0
		.amdhsa_user_sgpr_kernarg_segment_ptr 1
		.amdhsa_user_sgpr_dispatch_id 0
		.amdhsa_user_sgpr_kernarg_preload_length 0
		.amdhsa_user_sgpr_kernarg_preload_offset 0
		.amdhsa_user_sgpr_private_segment_size 0
		.amdhsa_uses_dynamic_stack 0
		.amdhsa_enable_private_segment 0
		.amdhsa_system_sgpr_workgroup_id_x 1
		.amdhsa_system_sgpr_workgroup_id_y 1
		.amdhsa_system_sgpr_workgroup_id_z 1
		.amdhsa_system_sgpr_workgroup_info 0
		.amdhsa_system_vgpr_workitem_id 0
		.amdhsa_next_free_vgpr 88
		.amdhsa_next_free_sgpr 36
		.amdhsa_accum_offset 88
		.amdhsa_reserve_vcc 1
		.amdhsa_float_round_mode_32 0
		.amdhsa_float_round_mode_16_64 0
		.amdhsa_float_denorm_mode_32 3
		.amdhsa_float_denorm_mode_16_64 3
		.amdhsa_dx10_clamp 1
		.amdhsa_ieee_mode 1
		.amdhsa_fp16_overflow 0
		.amdhsa_tg_split 0
		.amdhsa_exception_fp_ieee_invalid_op 0
		.amdhsa_exception_fp_denorm_src 0
		.amdhsa_exception_fp_ieee_div_zero 0
		.amdhsa_exception_fp_ieee_overflow 0
		.amdhsa_exception_fp_ieee_underflow 0
		.amdhsa_exception_fp_ieee_inexact 0
		.amdhsa_exception_int_div_zero 0
	.end_amdhsa_kernel
	.section	.text._ZN4vllm25paged_attention_v1_kernelIffLi80ELi32ELi128ELNS_18Fp8KVCacheDataTypeE0ELb0EEEvPT_PKS2_PKT0_S8_ifPKiSA_iPKfiiiSC_SC_iiiii,"axG",@progbits,_ZN4vllm25paged_attention_v1_kernelIffLi80ELi32ELi128ELNS_18Fp8KVCacheDataTypeE0ELb0EEEvPT_PKS2_PKT0_S8_ifPKiSA_iPKfiiiSC_SC_iiiii,comdat
.Lfunc_end47:
	.size	_ZN4vllm25paged_attention_v1_kernelIffLi80ELi32ELi128ELNS_18Fp8KVCacheDataTypeE0ELb0EEEvPT_PKS2_PKT0_S8_ifPKiSA_iPKfiiiSC_SC_iiiii, .Lfunc_end47-_ZN4vllm25paged_attention_v1_kernelIffLi80ELi32ELi128ELNS_18Fp8KVCacheDataTypeE0ELb0EEEvPT_PKS2_PKT0_S8_ifPKiSA_iPKfiiiSC_SC_iiiii
                                        ; -- End function
	.section	.AMDGPU.csdata,"",@progbits
; Kernel info:
; codeLenInByte = 5872
; NumSgprs: 42
; NumVgprs: 88
; NumAgprs: 0
; TotalNumVgprs: 88
; ScratchSize: 0
; MemoryBound: 0
; FloatMode: 240
; IeeeMode: 1
; LDSByteSize: 336 bytes/workgroup (compile time only)
; SGPRBlocks: 5
; VGPRBlocks: 10
; NumSGPRsForWavesPerEU: 42
; NumVGPRsForWavesPerEU: 88
; AccumOffset: 88
; Occupancy: 5
; WaveLimiterHint : 1
; COMPUTE_PGM_RSRC2:SCRATCH_EN: 0
; COMPUTE_PGM_RSRC2:USER_SGPR: 2
; COMPUTE_PGM_RSRC2:TRAP_HANDLER: 0
; COMPUTE_PGM_RSRC2:TGID_X_EN: 1
; COMPUTE_PGM_RSRC2:TGID_Y_EN: 1
; COMPUTE_PGM_RSRC2:TGID_Z_EN: 1
; COMPUTE_PGM_RSRC2:TIDIG_COMP_CNT: 0
; COMPUTE_PGM_RSRC3_GFX90A:ACCUM_OFFSET: 21
; COMPUTE_PGM_RSRC3_GFX90A:TG_SPLIT: 0
	.section	.text._ZN4vllm25paged_attention_v1_kernelIffLi96ELi32ELi128ELNS_18Fp8KVCacheDataTypeE0ELb0EEEvPT_PKS2_PKT0_S8_ifPKiSA_iPKfiiiSC_SC_iiiii,"axG",@progbits,_ZN4vllm25paged_attention_v1_kernelIffLi96ELi32ELi128ELNS_18Fp8KVCacheDataTypeE0ELb0EEEvPT_PKS2_PKT0_S8_ifPKiSA_iPKfiiiSC_SC_iiiii,comdat
	.protected	_ZN4vllm25paged_attention_v1_kernelIffLi96ELi32ELi128ELNS_18Fp8KVCacheDataTypeE0ELb0EEEvPT_PKS2_PKT0_S8_ifPKiSA_iPKfiiiSC_SC_iiiii ; -- Begin function _ZN4vllm25paged_attention_v1_kernelIffLi96ELi32ELi128ELNS_18Fp8KVCacheDataTypeE0ELb0EEEvPT_PKS2_PKT0_S8_ifPKiSA_iPKfiiiSC_SC_iiiii
	.globl	_ZN4vllm25paged_attention_v1_kernelIffLi96ELi32ELi128ELNS_18Fp8KVCacheDataTypeE0ELb0EEEvPT_PKS2_PKT0_S8_ifPKiSA_iPKfiiiSC_SC_iiiii
	.p2align	8
	.type	_ZN4vllm25paged_attention_v1_kernelIffLi96ELi32ELi128ELNS_18Fp8KVCacheDataTypeE0ELb0EEEvPT_PKS2_PKT0_S8_ifPKiSA_iPKfiiiSC_SC_iiiii,@function
_ZN4vllm25paged_attention_v1_kernelIffLi96ELi32ELi128ELNS_18Fp8KVCacheDataTypeE0ELb0EEEvPT_PKS2_PKT0_S8_ifPKiSA_iPKfiiiSC_SC_iiiii: ; @_ZN4vllm25paged_attention_v1_kernelIffLi96ELi32ELi128ELNS_18Fp8KVCacheDataTypeE0ELb0EEEvPT_PKS2_PKT0_S8_ifPKiSA_iPKfiiiSC_SC_iiiii
; %bb.0:
	s_load_dword s5, s[0:1], 0x80
	s_load_dwordx2 s[6:7], s[0:1], 0x30
	s_load_dwordx2 s[8:9], s[0:1], 0x20
	s_mov_b32 s10, s3
	s_ashr_i32 s11, s3, 31
	s_lshl_b64 s[12:13], s[10:11], 2
	s_waitcnt lgkmcnt(0)
	s_add_u32 s6, s6, s12
	s_addc_u32 s7, s7, s13
	s_abs_i32 s3, s8
	v_cvt_f32_u32_e32 v1, s3
	s_sub_i32 s12, 0, s3
	s_abs_i32 s11, s5
	s_xor_b32 s8, s5, s8
	v_rcp_iflag_f32_e32 v1, v1
	s_ashr_i32 s8, s8, 31
	v_mul_f32_e32 v1, 0x4f7ffffe, v1
	v_cvt_u32_f32_e32 v1, v1
	s_nop 0
	v_readfirstlane_b32 s13, v1
	s_mul_i32 s12, s12, s13
	s_mul_hi_u32 s12, s13, s12
	s_add_i32 s13, s13, s12
	s_mul_hi_u32 s12, s11, s13
	s_mul_i32 s13, s12, s3
	s_sub_i32 s11, s11, s13
	s_add_i32 s13, s12, 1
	s_sub_i32 s14, s11, s3
	s_cmp_ge_u32 s11, s3
	s_cselect_b32 s12, s13, s12
	s_cselect_b32 s11, s14, s11
	s_add_i32 s13, s12, 1
	s_cmp_ge_u32 s11, s3
	s_cselect_b32 s3, s13, s12
	s_xor_b32 s3, s3, s8
	s_sub_i32 s14, s3, s8
	s_abs_i32 s11, s14
	v_cvt_f32_u32_e32 v1, s11
	s_load_dwordx2 s[12:13], s[0:1], 0x40
	s_sub_i32 s3, 0, s11
	s_abs_i32 s18, s2
	v_rcp_iflag_f32_e32 v1, v1
	s_mov_b32 s8, 0
	v_mul_f32_e32 v1, 0x4f7ffffe, v1
	v_cvt_u32_f32_e32 v1, v1
	s_nop 0
	v_readfirstlane_b32 s15, v1
	s_mul_i32 s3, s3, s15
	s_mul_hi_u32 s3, s15, s3
	s_add_i32 s15, s15, s3
	s_waitcnt lgkmcnt(0)
	s_cmp_eq_u64 s[12:13], 0
	s_mul_hi_u32 s19, s18, s15
	s_cbranch_scc1 .LBB48_2
; %bb.1:
	s_ashr_i32 s3, s2, 31
	s_lshl_b64 s[16:17], s[2:3], 2
	s_add_u32 s12, s12, s16
	s_addc_u32 s13, s13, s17
	s_load_dword s8, s[12:13], 0x0
.LBB48_2:
	s_load_dword s33, s[6:7], 0x0
	s_ashr_i32 s7, s14, 31
	s_load_dwordx4 s[12:15], s[0:1], 0x48
	s_ashr_i32 s6, s2, 31
	v_and_b32_e32 v42, 1, v0
	s_mul_i32 s16, s2, 0x60
	v_cmp_gt_u32_e32 vcc, 48, v0
	v_lshlrev_b32_e32 v2, 3, v0
	v_lshlrev_b32_e32 v66, 2, v0
	s_and_saveexec_b64 s[2:3], vcc
	s_cbranch_execz .LBB48_4
; %bb.3:
	s_load_dwordx2 s[20:21], s[0:1], 0x8
	s_waitcnt lgkmcnt(0)
	s_mul_i32 s22, s10, s12
	s_ashr_i32 s23, s22, 31
	s_lshl_b64 s[22:23], s[22:23], 2
	v_and_b32_e32 v1, 0xff8, v66
	s_add_u32 s12, s20, s22
	s_addc_u32 s15, s21, s23
	s_ashr_i32 s17, s16, 31
	s_lshl_b64 s[20:21], s[16:17], 2
	s_add_u32 s20, s12, s20
	s_addc_u32 s21, s15, s21
	global_load_dwordx2 v[4:5], v2, s[20:21]
	s_movk_i32 s12, 0xc0
	v_mad_u32_u24 v1, v42, s12, v1
	s_waitcnt vmcnt(0)
	ds_write_b64 v1, v[4:5]
.LBB48_4:
	s_or_b64 exec, exec, s[2:3]
	s_waitcnt lgkmcnt(0)
	s_add_i32 s3, s33, 31
	s_ashr_i32 s12, s3, 31
	s_lshr_b32 s12, s12, 27
	s_add_i32 s3, s3, s12
	s_ashr_i32 s17, s3, 5
	s_xor_b32 s3, s6, s7
	s_mul_i32 s6, s19, s11
	s_sub_i32 s6, s18, s6
	s_add_i32 s7, s19, 1
	s_sub_i32 s12, s6, s11
	s_load_dwordx2 s[20:21], s[0:1], 0x28
	s_load_dword s2, s[0:1], 0x38
	s_cmp_ge_u32 s6, s11
	s_cselect_b32 s7, s7, s19
	s_cselect_b32 s6, s12, s6
	s_add_i32 s12, s7, 1
	s_cmp_ge_u32 s6, s11
	s_cselect_b32 s6, s12, s7
	v_lshrrev_b32_e32 v1, 6, v0
	s_xor_b32 s6, s6, s3
	s_waitcnt lgkmcnt(0)
	s_mul_i32 s22, s10, s2
	s_sub_i32 s12, s6, s3
	s_ashr_i32 s23, s22, 31
	v_cmp_gt_i32_e64 s[6:7], s17, v1
	v_cmp_le_i32_e32 vcc, s17, v1
	v_mbcnt_lo_u32_b32 v43, -1, 0
	s_barrier
	s_waitcnt lgkmcnt(0)
                                        ; implicit-def: $sgpr15
                                        ; implicit-def: $vgpr54
                                        ; implicit-def: $vgpr55
	s_and_saveexec_b64 s[2:3], vcc
	s_xor_b64 s[2:3], exec, s[2:3]
; %bb.5:
	v_mbcnt_hi_u32_b32 v54, -1, v43
	v_and_b32_e32 v2, 64, v54
	v_add_u32_e32 v55, 64, v2
	s_mov_b32 s15, 0xff7fffff
                                        ; implicit-def: $vgpr2
                                        ; implicit-def: $vgpr42
                                        ; implicit-def: $vgpr43
; %bb.6:
	s_or_saveexec_b64 s[26:27], s[2:3]
	s_load_dwordx2 s[18:19], s[0:1], 0x0
	s_load_dwordx2 s[24:25], s[0:1], 0x18
	s_load_dword s11, s[0:1], 0x88
	v_mov_b32_e32 v56, s15
	s_mul_i32 s14, s12, s14
	v_lshrrev_b32_e32 v68, 4, v0
	s_xor_b64 exec, exec, s[26:27]
	s_cbranch_execz .LBB48_12
; %bb.7:
	s_load_dwordx2 s[0:1], s[0:1], 0x10
	s_ashr_i32 s15, s14, 31
	s_lshl_b64 s[2:3], s[14:15], 2
	v_bfe_u32 v46, v0, 1, 5
	v_lshlrev_b32_e32 v44, 4, v46
	s_waitcnt lgkmcnt(0)
	s_add_u32 s0, s0, s2
	s_addc_u32 s1, s1, s3
	v_mov_b32_e32 v45, 0
	v_lshl_add_u64 v[4:5], s[0:1], 0, v[44:45]
	v_and_b32_e32 v44, 8, v2
	v_mul_u32_u24_e32 v48, 0xc0, v42
	v_lshl_add_u64 v[50:51], v[4:5], 0, v[44:45]
	ds_read_b128 v[2:5], v48
	ds_read_b128 v[6:9], v48 offset:16
	ds_read_b128 v[10:13], v48 offset:32
	ds_read_b128 v[14:17], v48 offset:48
	ds_read_b128 v[18:21], v48 offset:64
	ds_read_b128 v[22:25], v48 offset:80
	ds_read_b128 v[26:29], v48 offset:96
	ds_read_b128 v[30:33], v48 offset:112
	ds_read_b128 v[34:37], v48 offset:128
	ds_read_b128 v[38:41], v48 offset:144
	v_mbcnt_hi_u32_b32 v54, -1, v43
	v_and_b32_e32 v44, 64, v54
	v_xor_b32_e32 v43, 1, v54
	v_add_u32_e32 v55, 64, v44
	s_sub_i32 s15, 1, s33
	s_lshl_b64 s[0:1], s[22:23], 2
	v_lshlrev_b32_e32 v47, 2, v46
	v_cmp_lt_i32_e32 vcc, v43, v55
	s_add_u32 s0, s20, s0
	v_and_b32_e32 v44, 60, v68
	v_cndmask_b32_e32 v43, v54, v43, vcc
	v_cmp_eq_u32_e32 vcc, 0, v42
	v_lshl_or_b32 v42, v1, 7, v47
	s_addc_u32 s1, s21, s1
	v_lshlrev_b32_e32 v57, 2, v43
	v_lshl_or_b32 v58, v1, 5, v46
	v_add_u32_e32 v59, 0x190, v42
	v_lshl_add_u64 v[52:53], s[0:1], 0, v[44:45]
	ds_read_b128 v[42:45], v48 offset:160
	ds_read_b128 v[46:49], v48 offset:176
	s_mov_b32 s12, s13
	v_cmp_neq_f32_e64 s[2:3], s8, 0
	s_mov_b64 s[28:29], 0
	v_mov_b32_e32 v56, 0xff7fffff
	s_movk_i32 s34, 0x1000
	s_movk_i32 s35, 0x2000
	v_mov_b32_e32 v60, v1
	s_branch .LBB48_9
.LBB48_8:                               ;   in Loop: Header=BB48_9 Depth=1
	s_or_b64 exec, exec, s[30:31]
	v_add_u32_e32 v60, 2, v60
	v_cmp_le_i32_e64 s[0:1], s17, v60
	v_add_u32_e32 v58, 64, v58
	v_add_u32_e32 v59, 0x100, v59
	s_or_b64 s[28:29], s[0:1], s[28:29]
	v_lshl_add_u64 v[52:53], v[52:53], 0, 8
	s_andn2_b64 exec, exec, s[28:29]
	s_cbranch_execz .LBB48_11
.LBB48_9:                               ; =>This Inner Loop Header: Depth=1
	global_load_dword v61, v[52:53], off
	s_waitcnt vmcnt(0) lgkmcnt(0)
	v_mad_i64_i32 v[62:63], s[0:1], v61, s12, 0
	v_lshl_add_u64 v[62:63], v[62:63], 2, v[50:51]
	global_load_dwordx2 v[64:65], v[62:63], off offset:512
	global_load_dwordx2 v[70:71], v[62:63], off offset:1024
	;; [unrolled: 1-line block ×3, first 2 shown]
	global_load_dwordx2 v[74:75], v[62:63], off
	global_load_dwordx2 v[76:77], v[62:63], off offset:2048
	global_load_dwordx2 v[78:79], v[62:63], off offset:2560
	v_add_co_u32_e64 v80, s[0:1], s35, v62
	s_waitcnt vmcnt(5) lgkmcnt(11)
	v_mul_f32_e32 v61, v4, v64
	v_addc_co_u32_e64 v81, s[0:1], 0, v63, s[0:1]
	global_load_dwordx2 v[82:83], v[62:63], off offset:3072
	global_load_dwordx2 v[84:85], v[62:63], off offset:3584
	global_load_dwordx2 v[86:87], v[80:81], off offset:-4096
	v_add_co_u32_e64 v62, s[0:1], s34, v62
	v_mul_f32_e32 v67, v5, v65
	s_nop 0
	v_addc_co_u32_e64 v63, s[0:1], 0, v63, s[0:1]
	global_load_dwordx2 v[88:89], v[62:63], off offset:512
	global_load_dwordx2 v[90:91], v[62:63], off offset:1024
	;; [unrolled: 1-line block ×6, first 2 shown]
	s_nop 0
	global_load_dwordx2 v[62:63], v[62:63], off offset:3072
	s_waitcnt vmcnt(12)
	v_fmac_f32_e32 v61, v2, v74
	v_fmac_f32_e32 v67, v3, v75
	s_waitcnt lgkmcnt(10)
	v_fmac_f32_e32 v61, v6, v70
	v_fmac_f32_e32 v67, v7, v71
	global_load_dwordx2 v[64:65], v[80:81], off
	global_load_dwordx2 v[70:71], v[80:81], off offset:512
	global_load_dwordx2 v[74:75], v[80:81], off offset:1024
	;; [unrolled: 1-line block ×3, first 2 shown]
	v_fmac_f32_e32 v61, v8, v72
	v_fmac_f32_e32 v67, v9, v73
	global_load_dwordx2 v[72:73], v[80:81], off offset:2048
	s_waitcnt vmcnt(16) lgkmcnt(9)
	v_fmac_f32_e32 v61, v10, v76
	v_fmac_f32_e32 v67, v11, v77
	global_load_dwordx2 v[76:77], v[80:81], off offset:2560
	s_waitcnt vmcnt(16)
	v_fmac_f32_e32 v61, v12, v78
	v_fmac_f32_e32 v67, v13, v79
	global_load_dwordx2 v[78:79], v[80:81], off offset:3072
	s_nop 0
	global_load_dwordx2 v[80:81], v[80:81], off offset:3584
	s_waitcnt vmcnt(17) lgkmcnt(8)
	v_fmac_f32_e32 v61, v14, v82
	v_fmac_f32_e32 v67, v15, v83
	s_waitcnt vmcnt(16)
	v_fmac_f32_e32 v61, v16, v84
	v_fmac_f32_e32 v67, v17, v85
	s_waitcnt vmcnt(15) lgkmcnt(7)
	v_fmac_f32_e32 v61, v18, v86
	v_fmac_f32_e32 v67, v19, v87
	s_waitcnt vmcnt(14)
	v_fmac_f32_e32 v61, v20, v88
	v_fmac_f32_e32 v67, v21, v89
	;; [unrolled: 6-line block ×4, first 2 shown]
	s_waitcnt vmcnt(8) lgkmcnt(4)
	v_fmac_f32_e32 v61, v30, v62
	v_fmac_f32_e32 v67, v31, v63
	;; [unrolled: 1-line block ×4, first 2 shown]
	s_waitcnt vmcnt(7) lgkmcnt(3)
	v_fmac_f32_e32 v61, v34, v64
	v_fmac_f32_e32 v67, v35, v65
	s_waitcnt vmcnt(6)
	v_fmac_f32_e32 v61, v36, v70
	v_fmac_f32_e32 v67, v37, v71
	s_waitcnt vmcnt(5) lgkmcnt(2)
	v_fmac_f32_e32 v61, v38, v74
	v_fmac_f32_e32 v67, v39, v75
	s_waitcnt vmcnt(4)
	v_fmac_f32_e32 v61, v40, v100
	v_fmac_f32_e32 v67, v41, v101
	;; [unrolled: 6-line block ×4, first 2 shown]
	v_add_f32_e32 v61, v61, v67
	ds_bpermute_b32 v62, v57, v61
	s_and_saveexec_b64 s[30:31], vcc
	s_cbranch_execz .LBB48_8
; %bb.10:                               ;   in Loop: Header=BB48_9 Depth=1
	v_add_u32_e32 v63, s15, v58
	v_cvt_f32_i32_e32 v63, v63
	s_waitcnt lgkmcnt(0)
	v_add_f32_e32 v61, v61, v62
	v_cmp_gt_i32_e64 s[0:1], s33, v58
	v_max_f32_e32 v62, v56, v56
	v_mul_f32_e32 v63, s8, v63
	v_cndmask_b32_e64 v63, 0, v63, s[2:3]
	v_fmac_f32_e32 v63, s9, v61
	v_cndmask_b32_e64 v61, 0, v63, s[0:1]
	ds_write_b32 v59, v61
	v_max_f32_e32 v61, v62, v63
	v_cndmask_b32_e64 v56, v56, v61, s[0:1]
	s_branch .LBB48_8
.LBB48_11:
	s_or_b64 exec, exec, s[28:29]
.LBB48_12:
	s_or_b64 exec, exec, s[26:27]
	v_xor_b32_e32 v2, 32, v54
	v_cmp_lt_i32_e32 vcc, v2, v55
	v_xor_b32_e32 v5, 16, v54
	v_max_f32_e32 v4, v56, v56
	v_cndmask_b32_e32 v2, v54, v2, vcc
	v_lshlrev_b32_e32 v2, 2, v2
	ds_bpermute_b32 v3, v2, v56
	v_cmp_lt_i32_e32 vcc, v5, v55
	v_xor_b32_e32 v6, 8, v54
	v_xor_b32_e32 v7, 4, v54
	v_and_b32_e32 v86, 63, v0
	s_waitcnt lgkmcnt(0)
	v_max_f32_e32 v3, v3, v3
	v_max_f32_e32 v4, v4, v3
	v_cndmask_b32_e32 v3, v54, v5, vcc
	v_lshlrev_b32_e32 v3, 2, v3
	ds_bpermute_b32 v5, v3, v4
	v_cmp_lt_i32_e32 vcc, v6, v55
	s_waitcnt lgkmcnt(0)
	v_max_f32_e32 v5, v5, v5
	v_max_f32_e32 v5, v4, v5
	v_cndmask_b32_e32 v4, v54, v6, vcc
	v_lshlrev_b32_e32 v4, 2, v4
	ds_bpermute_b32 v6, v4, v5
	v_cmp_lt_i32_e32 vcc, v7, v55
	s_waitcnt lgkmcnt(0)
	v_max_f32_e32 v6, v6, v6
	v_max_f32_e32 v5, v5, v6
	v_cndmask_b32_e32 v6, v54, v7, vcc
	v_lshlrev_b32_e32 v87, 2, v6
	ds_bpermute_b32 v6, v87, v5
	v_xor_b32_e32 v7, 2, v54
	v_cmp_lt_i32_e32 vcc, v7, v55
	s_waitcnt lgkmcnt(0)
	v_max_f32_e32 v6, v6, v6
	v_max_f32_e32 v6, v5, v6
	v_cndmask_b32_e32 v5, v54, v7, vcc
	v_lshlrev_b32_e32 v88, 2, v5
	ds_bpermute_b32 v7, v88, v6
	v_cmp_eq_u32_e32 vcc, 0, v86
	v_lshlrev_b32_e32 v5, 2, v1
	s_and_saveexec_b64 s[0:1], vcc
	s_cbranch_execz .LBB48_14
; %bb.13:
	s_waitcnt lgkmcnt(0)
	v_max_f32_e32 v7, v7, v7
	v_max_f32_e32 v6, v6, v6
	;; [unrolled: 1-line block ×3, first 2 shown]
	ds_write_b32 v5, v6 offset:384
.LBB48_14:
	s_or_b64 exec, exec, s[0:1]
	v_cmp_gt_u32_e64 s[0:1], 2, v86
	s_waitcnt lgkmcnt(0)
	v_mov_b32_e32 v7, 0xff7fffff
	v_lshlrev_b32_e32 v6, 2, v86
	s_barrier
	s_and_saveexec_b64 s[2:3], s[0:1]
	s_cbranch_execz .LBB48_16
; %bb.15:
	ds_read_b32 v7, v6 offset:384
.LBB48_16:
	s_or_b64 exec, exec, s[2:3]
	v_xor_b32_e32 v8, 1, v54
	v_cmp_lt_i32_e64 s[2:3], v8, v55
	v_lshlrev_b32_e32 v9, 2, v54
	s_nop 0
	v_cndmask_b32_e64 v8, v54, v8, s[2:3]
	v_lshlrev_b32_e32 v89, 2, v8
	s_waitcnt lgkmcnt(0)
	ds_bpermute_b32 v8, v89, v7
	v_max_f32_e32 v7, v7, v7
	s_lshl_b32 s2, s17, 5
	s_min_i32 s12, s2, s33
	v_cmp_gt_i32_e64 s[2:3], s12, v0
	s_waitcnt lgkmcnt(0)
	v_max_f32_e32 v8, v8, v8
	v_max_f32_e32 v8, v7, v8
	v_and_b32_e32 v7, 0xffffff00, v9
	ds_bpermute_b32 v9, v7, v8
	v_mov_b32_e32 v8, 0
	s_and_saveexec_b64 s[26:27], s[2:3]
	s_cbranch_execz .LBB48_20
; %bb.17:
	v_mov_b32_e32 v8, 0x190
	v_lshl_add_u32 v10, v0, 2, v8
	s_mov_b64 s[28:29], 0
	v_mov_b32_e32 v8, 0
	v_mov_b32_e32 v11, v0
.LBB48_18:                              ; =>This Inner Loop Header: Depth=1
	ds_read_b32 v12, v10
	v_add_u32_e32 v11, 0x80, v11
	v_cmp_le_i32_e64 s[8:9], s12, v11
	s_or_b64 s[28:29], s[8:9], s[28:29]
	s_waitcnt lgkmcnt(0)
	v_sub_f32_e32 v12, v12, v9
	v_mul_f32_e32 v12, 0x3fb8aa3b, v12
	v_exp_f32_e32 v12, v12
	ds_write_b32 v10, v12
	v_add_f32_e32 v8, v8, v12
	v_add_u32_e32 v10, 0x200, v10
	s_andn2_b64 exec, exec, s[28:29]
	s_cbranch_execnz .LBB48_18
; %bb.19:
	s_or_b64 exec, exec, s[28:29]
.LBB48_20:
	s_or_b64 exec, exec, s[26:27]
	ds_bpermute_b32 v2, v2, v8
	s_waitcnt lgkmcnt(0)
	v_add_f32_e32 v2, v8, v2
	ds_bpermute_b32 v3, v3, v2
	s_waitcnt lgkmcnt(0)
	v_add_f32_e32 v2, v2, v3
	;; [unrolled: 3-line block ×6, first 2 shown]
	s_and_saveexec_b64 s[8:9], vcc
	s_cbranch_execz .LBB48_22
; %bb.21:
	ds_write_b32 v5, v2 offset:392
.LBB48_22:
	s_or_b64 exec, exec, s[8:9]
	s_waitcnt lgkmcnt(0)
	s_barrier
	s_and_saveexec_b64 s[8:9], s[0:1]
	s_cbranch_execz .LBB48_24
; %bb.23:
	ds_read_b32 v2, v6 offset:392
.LBB48_24:
	s_or_b64 exec, exec, s[8:9]
	s_waitcnt lgkmcnt(0)
	ds_bpermute_b32 v3, v89, v2
	s_waitcnt lgkmcnt(0)
	v_add_f32_e32 v2, v2, v3
	ds_bpermute_b32 v2, v7, v2
	s_and_saveexec_b64 s[0:1], s[2:3]
	s_cbranch_execz .LBB48_37
; %bb.25:
	s_waitcnt lgkmcnt(0)
	v_add_f32_e32 v2, 0x358637bd, v2
	v_div_scale_f32 v3, s[2:3], v2, v2, 1.0
	v_rcp_f32_e32 v4, v3
	v_div_scale_f32 v5, vcc, 1.0, v2, 1.0
	s_movk_i32 s2, 0x7f
	v_fma_f32 v6, -v3, v4, 1.0
	v_fmac_f32_e32 v4, v6, v4
	v_mul_f32_e32 v6, v5, v4
	v_fma_f32 v7, -v3, v6, v5
	v_fmac_f32_e32 v6, v7, v4
	v_fma_f32 v3, -v3, v6, v5
	v_div_fmas_f32 v3, v3, v4, v6
	v_xad_u32 v4, v0, -1, s12
	v_div_fixup_f32 v2, v3, v2, 1.0
	v_cmp_lt_u32_e32 vcc, s2, v4
	s_mov_b64 s[8:9], -1
	v_mov_b32_e32 v3, v0
	s_and_saveexec_b64 s[2:3], vcc
	s_cbranch_execz .LBB48_34
; %bb.26:
	v_lshrrev_b32_e32 v4, 7, v4
	v_add_u32_e32 v6, -1, v4
	v_lshrrev_b32_e32 v5, 1, v6
	v_mov_b32_e32 v3, v2
	v_add_u32_e32 v5, 1, v5
	v_cmp_lt_u32_e32 vcc, 13, v6
	v_mov_b32_e32 v8, 0
	s_and_saveexec_b64 s[8:9], vcc
	s_cbranch_execz .LBB48_30
; %bb.27:
	v_mov_b32_e32 v7, 0x190
	v_and_b32_e32 v6, -8, v5
	v_lshl_add_u32 v7, v0, 2, v7
	s_mov_b32 s15, 0
	s_mov_b64 s[26:27], 0
.LBB48_28:                              ; =>This Inner Loop Header: Depth=1
	ds_read2st64_b32 v[8:9], v7 offset1:2
	ds_read2st64_b32 v[10:11], v7 offset0:4 offset1:6
	ds_read2st64_b32 v[12:13], v7 offset0:8 offset1:10
	;; [unrolled: 1-line block ×3, first 2 shown]
	v_add_u32_e32 v6, -8, v6
	s_waitcnt lgkmcnt(3)
	v_pk_mul_f32 v[8:9], v[2:3], v[8:9]
	s_waitcnt lgkmcnt(2)
	v_pk_mul_f32 v[10:11], v[2:3], v[10:11]
	ds_write2st64_b32 v7, v8, v9 offset1:2
	ds_write2st64_b32 v7, v10, v11 offset0:4 offset1:6
	ds_read2st64_b32 v[10:11], v7 offset0:16 offset1:18
	s_waitcnt lgkmcnt(4)
	v_pk_mul_f32 v[8:9], v[2:3], v[12:13]
	ds_write2st64_b32 v7, v8, v9 offset0:8 offset1:10
	s_waitcnt lgkmcnt(4)
	v_pk_mul_f32 v[8:9], v[2:3], v[14:15]
	ds_write2st64_b32 v7, v8, v9 offset0:12 offset1:14
	ds_read2st64_b32 v[8:9], v7 offset0:20 offset1:22
	s_waitcnt lgkmcnt(3)
	v_pk_mul_f32 v[10:11], v[2:3], v[10:11]
	ds_read2st64_b32 v[12:13], v7 offset0:24 offset1:26
	ds_write2st64_b32 v7, v10, v11 offset0:16 offset1:18
	ds_read2st64_b32 v[10:11], v7 offset0:28 offset1:30
	s_waitcnt lgkmcnt(3)
	v_pk_mul_f32 v[8:9], v[2:3], v[8:9]
	ds_write2st64_b32 v7, v8, v9 offset0:20 offset1:22
	s_waitcnt lgkmcnt(3)
	v_pk_mul_f32 v[8:9], v[2:3], v[12:13]
	ds_write2st64_b32 v7, v8, v9 offset0:24 offset1:26
	s_waitcnt lgkmcnt(2)
	v_pk_mul_f32 v[8:9], v[2:3], v[10:11]
	s_add_i32 s15, s15, 16
	v_cmp_eq_u32_e32 vcc, 0, v6
	ds_write2st64_b32 v7, v8, v9 offset0:28 offset1:30
	v_add_u32_e32 v7, 0x2000, v7
	s_or_b64 s[26:27], vcc, s[26:27]
	v_mov_b32_e32 v8, s15
	s_andn2_b64 exec, exec, s[26:27]
	s_cbranch_execnz .LBB48_28
; %bb.29:
	s_or_b64 exec, exec, s[26:27]
.LBB48_30:
	s_or_b64 exec, exec, s[8:9]
	v_and_b32_e32 v5, 7, v5
	v_cmp_ne_u32_e32 vcc, 0, v5
	s_and_saveexec_b64 s[8:9], vcc
	s_cbranch_execz .LBB48_33
; %bb.31:
	v_lshlrev_b32_e32 v6, 9, v8
	s_movk_i32 s15, 0x190
	v_add3_u32 v6, v6, v66, s15
	s_mov_b64 s[26:27], 0
.LBB48_32:                              ; =>This Inner Loop Header: Depth=1
	ds_read2st64_b32 v[8:9], v6 offset1:2
	v_add_u32_e32 v5, -1, v5
	v_cmp_eq_u32_e32 vcc, 0, v5
	s_or_b64 s[26:27], vcc, s[26:27]
	s_waitcnt lgkmcnt(0)
	v_pk_mul_f32 v[8:9], v[2:3], v[8:9]
	ds_write2st64_b32 v6, v8, v9 offset1:2
	v_add_u32_e32 v6, 0x400, v6
	s_andn2_b64 exec, exec, s[26:27]
	s_cbranch_execnz .LBB48_32
.LBB48_33:
	s_or_b64 exec, exec, s[8:9]
	v_add_u32_e32 v4, 1, v4
	v_and_b32_e32 v5, 0x3fffffe, v4
	v_cmp_ne_u32_e32 vcc, v4, v5
	v_lshl_add_u32 v3, v5, 7, v0
	s_orn2_b64 s[8:9], vcc, exec
.LBB48_34:
	s_or_b64 exec, exec, s[2:3]
	s_and_b64 exec, exec, s[8:9]
	s_cbranch_execz .LBB48_37
; %bb.35:
	v_mov_b32_e32 v4, 0x190
	v_lshl_add_u32 v4, v3, 2, v4
	s_mov_b64 s[2:3], 0
.LBB48_36:                              ; =>This Inner Loop Header: Depth=1
	ds_read_b32 v5, v4
	v_add_u32_e32 v3, 0x80, v3
	v_cmp_le_i32_e32 vcc, s12, v3
	s_or_b64 s[2:3], vcc, s[2:3]
	s_waitcnt lgkmcnt(0)
	v_mul_f32_e32 v5, v2, v5
	ds_write_b32 v4, v5
	v_add_u32_e32 v4, 0x200, v4
	s_andn2_b64 exec, exec, s[2:3]
	s_cbranch_execnz .LBB48_36
.LBB48_37:
	s_or_b64 exec, exec, s[0:1]
	v_mov_b32_e32 v55, 0
	v_and_b32_e32 v90, 7, v0
	v_mov_b32_e32 v54, 0
	v_mov_b32_e32 v57, 0
	;; [unrolled: 1-line block ×11, first 2 shown]
	s_waitcnt lgkmcnt(0)
	s_barrier
	s_and_saveexec_b64 s[2:3], s[6:7]
	s_cbranch_execz .LBB48_65
; %bb.38:
	s_ashr_i32 s15, s14, 31
	s_lshl_b64 s[0:1], s[14:15], 2
	s_add_u32 s6, s24, s0
	v_and_b32_e32 v3, 28, v66
	s_addc_u32 s7, s25, s1
	s_add_i32 s14, s17, -1
	v_lshlrev_b32_e32 v5, 5, v1
	s_lshl_b64 s[0:1], s[22:23], 2
	v_and_b32_e32 v2, 0xfc, v66
	v_or3_b32 v91, v5, v3, 3
	v_lshlrev_b32_e32 v3, 4, v90
	s_add_u32 s0, s20, s0
	v_mov_b32_e32 v67, 0
	v_or_b32_e32 v4, 0x400, v2
	v_or_b32_e32 v6, 0x500, v2
	;; [unrolled: 1-line block ×8, first 2 shown]
	v_lshl_or_b32 v3, v1, 7, v3
	v_and_b32_e32 v66, 60, v68
	s_addc_u32 s1, s21, s1
	s_mov_b32 s26, s13
	v_add_u32_e32 v92, 0x190, v3
	v_lshl_add_u64 v[68:69], s[0:1], 0, v[66:67]
	s_mov_b64 s[8:9], 0
	v_lshlrev_b32_e32 v70, 2, v2
	v_mov_b32_e32 v71, v67
	v_lshlrev_b32_e32 v66, 2, v4
	v_lshlrev_b32_e32 v72, 2, v6
	;; [unrolled: 1-line block ×8, first 2 shown]
	v_mov_b32_e32 v55, v67
	v_mov_b32_e32 v54, v67
	;; [unrolled: 1-line block ×12, first 2 shown]
	s_branch .LBB48_40
.LBB48_39:                              ;   in Loop: Header=BB48_40 Depth=1
	s_or_b64 exec, exec, s[0:1]
	s_waitcnt vmcnt(1) lgkmcnt(0)
	v_mul_f32_e32 v51, v3, v51
	v_mul_f32_e32 v47, v3, v47
	;; [unrolled: 1-line block ×11, first 2 shown]
	s_waitcnt vmcnt(0)
	v_mul_f32_e32 v3, v3, v43
	v_fmac_f32_e32 v51, v2, v50
	v_fmac_f32_e32 v47, v2, v46
	;; [unrolled: 1-line block ×24, first 2 shown]
	v_add_u32_e32 v1, 2, v1
	v_fmac_f32_e32 v51, v5, v53
	v_fmac_f32_e32 v47, v5, v49
	;; [unrolled: 1-line block ×12, first 2 shown]
	v_cmp_le_i32_e32 vcc, s17, v1
	v_add_f32_e32 v54, v54, v51
	v_add_f32_e32 v57, v57, v47
	;; [unrolled: 1-line block ×12, first 2 shown]
	v_add_u32_e32 v91, 64, v91
	v_add_u32_e32 v92, 0x100, v92
	s_or_b64 s[8:9], vcc, s[8:9]
	v_lshl_add_u64 v[68:69], v[68:69], 0, 8
	s_andn2_b64 exec, exec, s[8:9]
	s_cbranch_execz .LBB48_64
.LBB48_40:                              ; =>This Inner Loop Header: Depth=1
	global_load_dword v2, v[68:69], off
	v_add_u32_e32 v93, -3, v91
	v_cmp_eq_u32_e32 vcc, s14, v1
	v_add_u32_e32 v95, -2, v91
	v_add_u32_e32 v94, -1, v91
	s_waitcnt vmcnt(0)
	v_mad_i64_i32 v[2:3], s[0:1], v2, s26, 0
	v_lshl_add_u64 v[42:43], v[2:3], 2, s[6:7]
	v_lshl_add_u64 v[18:19], v[42:43], 0, v[70:71]
	global_load_dwordx4 v[6:9], v[18:19], off
	ds_read_b128 v[2:5], v92
	s_and_saveexec_b64 s[12:13], vcc
	s_cbranch_execnz .LBB48_61
; %bb.41:                               ;   in Loop: Header=BB48_40 Depth=1
	s_or_b64 exec, exec, s[12:13]
	global_load_dwordx4 v[10:13], v[18:19], off offset:1024
	s_and_saveexec_b64 s[12:13], vcc
	s_cbranch_execnz .LBB48_62
.LBB48_42:                              ;   in Loop: Header=BB48_40 Depth=1
	s_or_b64 exec, exec, s[12:13]
	global_load_dwordx4 v[14:17], v[18:19], off offset:2048
	s_and_saveexec_b64 s[12:13], vcc
	s_cbranch_execnz .LBB48_63
.LBB48_43:                              ;   in Loop: Header=BB48_40 Depth=1
	s_or_b64 exec, exec, s[12:13]
	global_load_dwordx4 v[18:21], v[18:19], off offset:3072
	s_and_saveexec_b64 s[12:13], vcc
	s_cbranch_execz .LBB48_45
.LBB48_44:                              ;   in Loop: Header=BB48_40 Depth=1
	v_cmp_gt_i32_e64 s[0:1], s33, v93
	s_waitcnt vmcnt(0)
	s_nop 0
	v_cndmask_b32_e64 v18, 0, v18, s[0:1]
	v_cmp_gt_i32_e64 s[0:1], s33, v95
	s_nop 1
	v_cndmask_b32_e64 v19, 0, v19, s[0:1]
	v_cmp_gt_i32_e64 s[0:1], s33, v94
	s_nop 1
	v_cndmask_b32_e64 v20, 0, v20, s[0:1]
	v_cmp_gt_i32_e64 s[0:1], s33, v91
	s_nop 1
	v_cndmask_b32_e64 v21, 0, v21, s[0:1]
.LBB48_45:                              ;   in Loop: Header=BB48_40 Depth=1
	s_or_b64 exec, exec, s[12:13]
	v_lshl_add_u64 v[22:23], v[42:43], 0, v[66:67]
	global_load_dwordx4 v[22:25], v[22:23], off
	s_and_saveexec_b64 s[12:13], vcc
	s_cbranch_execz .LBB48_47
; %bb.46:                               ;   in Loop: Header=BB48_40 Depth=1
	v_cmp_gt_i32_e64 s[0:1], s33, v93
	s_waitcnt vmcnt(0)
	s_nop 0
	v_cndmask_b32_e64 v22, 0, v22, s[0:1]
	v_cmp_gt_i32_e64 s[0:1], s33, v95
	s_nop 1
	v_cndmask_b32_e64 v23, 0, v23, s[0:1]
	v_cmp_gt_i32_e64 s[0:1], s33, v94
	s_nop 1
	v_cndmask_b32_e64 v24, 0, v24, s[0:1]
	v_cmp_gt_i32_e64 s[0:1], s33, v91
	s_nop 1
	v_cndmask_b32_e64 v25, 0, v25, s[0:1]
.LBB48_47:                              ;   in Loop: Header=BB48_40 Depth=1
	s_or_b64 exec, exec, s[12:13]
	v_mov_b32_e32 v73, v67
	v_lshl_add_u64 v[26:27], v[42:43], 0, v[72:73]
	global_load_dwordx4 v[26:29], v[26:27], off
	s_and_saveexec_b64 s[12:13], vcc
	s_cbranch_execz .LBB48_49
; %bb.48:                               ;   in Loop: Header=BB48_40 Depth=1
	v_cmp_gt_i32_e64 s[0:1], s33, v93
	s_waitcnt vmcnt(0)
	s_nop 0
	v_cndmask_b32_e64 v26, 0, v26, s[0:1]
	v_cmp_gt_i32_e64 s[0:1], s33, v95
	s_nop 1
	v_cndmask_b32_e64 v27, 0, v27, s[0:1]
	v_cmp_gt_i32_e64 s[0:1], s33, v94
	s_nop 1
	v_cndmask_b32_e64 v28, 0, v28, s[0:1]
	v_cmp_gt_i32_e64 s[0:1], s33, v91
	s_nop 1
	v_cndmask_b32_e64 v29, 0, v29, s[0:1]
.LBB48_49:                              ;   in Loop: Header=BB48_40 Depth=1
	s_or_b64 exec, exec, s[12:13]
	v_mov_b32_e32 v75, v67
	;; [unrolled: 21-line block ×7, first 2 shown]
	v_lshl_add_u64 v[42:43], v[42:43], 0, v[84:85]
	global_load_dwordx4 v[42:45], v[42:43], off
	s_and_saveexec_b64 s[0:1], vcc
	s_cbranch_execz .LBB48_39
; %bb.60:                               ;   in Loop: Header=BB48_40 Depth=1
	v_cmp_gt_i32_e32 vcc, s33, v93
	s_waitcnt vmcnt(0)
	s_nop 0
	v_cndmask_b32_e32 v42, 0, v42, vcc
	v_cmp_gt_i32_e32 vcc, s33, v95
	s_nop 1
	v_cndmask_b32_e32 v43, 0, v43, vcc
	v_cmp_gt_i32_e32 vcc, s33, v94
	;; [unrolled: 3-line block ×3, first 2 shown]
	s_nop 1
	v_cndmask_b32_e32 v45, 0, v45, vcc
	s_branch .LBB48_39
.LBB48_61:                              ;   in Loop: Header=BB48_40 Depth=1
	v_cmp_gt_i32_e64 s[0:1], s33, v93
	s_waitcnt vmcnt(0)
	s_nop 0
	v_cndmask_b32_e64 v6, 0, v6, s[0:1]
	v_cmp_gt_i32_e64 s[0:1], s33, v95
	s_nop 1
	v_cndmask_b32_e64 v7, 0, v7, s[0:1]
	v_cmp_gt_i32_e64 s[0:1], s33, v94
	;; [unrolled: 3-line block ×3, first 2 shown]
	s_nop 1
	v_cndmask_b32_e64 v9, 0, v9, s[0:1]
	s_or_b64 exec, exec, s[12:13]
	global_load_dwordx4 v[10:13], v[18:19], off offset:1024
	s_and_saveexec_b64 s[12:13], vcc
	s_cbranch_execz .LBB48_42
.LBB48_62:                              ;   in Loop: Header=BB48_40 Depth=1
	v_cmp_gt_i32_e64 s[0:1], s33, v93
	s_waitcnt vmcnt(0)
	s_nop 0
	v_cndmask_b32_e64 v10, 0, v10, s[0:1]
	v_cmp_gt_i32_e64 s[0:1], s33, v95
	s_nop 1
	v_cndmask_b32_e64 v11, 0, v11, s[0:1]
	v_cmp_gt_i32_e64 s[0:1], s33, v94
	;; [unrolled: 3-line block ×3, first 2 shown]
	s_nop 1
	v_cndmask_b32_e64 v13, 0, v13, s[0:1]
	s_or_b64 exec, exec, s[12:13]
	global_load_dwordx4 v[14:17], v[18:19], off offset:2048
	s_and_saveexec_b64 s[12:13], vcc
	s_cbranch_execz .LBB48_43
.LBB48_63:                              ;   in Loop: Header=BB48_40 Depth=1
	v_cmp_gt_i32_e64 s[0:1], s33, v93
	s_waitcnt vmcnt(0)
	s_nop 0
	v_cndmask_b32_e64 v14, 0, v14, s[0:1]
	v_cmp_gt_i32_e64 s[0:1], s33, v95
	s_nop 1
	v_cndmask_b32_e64 v15, 0, v15, s[0:1]
	v_cmp_gt_i32_e64 s[0:1], s33, v94
	;; [unrolled: 3-line block ×3, first 2 shown]
	s_nop 1
	v_cndmask_b32_e64 v17, 0, v17, s[0:1]
	s_or_b64 exec, exec, s[12:13]
	global_load_dwordx4 v[18:21], v[18:19], off offset:3072
	s_and_saveexec_b64 s[12:13], vcc
	s_cbranch_execnz .LBB48_44
	s_branch .LBB48_45
.LBB48_64:
	s_or_b64 exec, exec, s[8:9]
.LBB48_65:
	s_or_b64 exec, exec, s[2:3]
	ds_bpermute_b32 v2, v87, v64
	ds_bpermute_b32 v3, v87, v65
	;; [unrolled: 1-line block ×6, first 2 shown]
	s_waitcnt lgkmcnt(4)
	v_pk_add_f32 v[2:3], v[64:65], v[2:3]
	ds_bpermute_b32 v6, v88, v2
	ds_bpermute_b32 v7, v88, v3
	s_waitcnt lgkmcnt(4)
	v_pk_add_f32 v[10:11], v[60:61], v[10:11]
	ds_bpermute_b32 v12, v88, v10
	ds_bpermute_b32 v13, v88, v11
	;; [unrolled: 1-line block ×3, first 2 shown]
	s_waitcnt lgkmcnt(3)
	v_pk_add_f32 v[2:3], v[2:3], v[6:7]
	ds_bpermute_b32 v6, v89, v2
	ds_bpermute_b32 v7, v89, v3
	;; [unrolled: 1-line block ×3, first 2 shown]
	v_pk_add_f32 v[4:5], v[62:63], v[4:5]
	ds_bpermute_b32 v8, v88, v4
	ds_bpermute_b32 v9, v88, v5
	s_waitcnt lgkmcnt(3)
	v_pk_add_f32 v[2:3], v[2:3], v[6:7]
	ds_bpermute_b32 v6, v87, v58
	ds_bpermute_b32 v7, v87, v59
	v_pk_add_f32 v[12:13], v[10:11], v[12:13]
	s_waitcnt lgkmcnt(4)
	v_pk_add_f32 v[10:11], v[56:57], v[16:17]
	ds_bpermute_b32 v20, v87, v54
	ds_bpermute_b32 v21, v87, v55
	s_waitcnt lgkmcnt(2)
	v_pk_add_f32 v[6:7], v[58:59], v[6:7]
	ds_bpermute_b32 v14, v88, v6
	ds_bpermute_b32 v15, v88, v7
	v_pk_add_f32 v[4:5], v[4:5], v[8:9]
	s_waitcnt lgkmcnt(2)
	v_pk_add_f32 v[20:21], v[54:55], v[20:21]
	ds_bpermute_b32 v8, v89, v4
	ds_bpermute_b32 v9, v89, v5
	s_waitcnt lgkmcnt(2)
	v_pk_add_f32 v[6:7], v[6:7], v[14:15]
	ds_bpermute_b32 v14, v88, v10
	ds_bpermute_b32 v15, v88, v11
	;; [unrolled: 1-line block ×6, first 2 shown]
	s_waitcnt lgkmcnt(4)
	v_pk_add_f32 v[14:15], v[10:11], v[14:15]
	ds_bpermute_b32 v22, v89, v14
	ds_bpermute_b32 v23, v89, v15
	;; [unrolled: 1-line block ×4, first 2 shown]
	v_pk_add_f32 v[10:11], v[4:5], v[8:9]
	s_waitcnt lgkmcnt(6)
	v_pk_add_f32 v[8:9], v[12:13], v[18:19]
	s_waitcnt lgkmcnt(4)
	;; [unrolled: 2-line block ×3, first 2 shown]
	v_pk_add_f32 v[4:5], v[14:15], v[22:23]
	ds_bpermute_b32 v14, v89, v12
	ds_bpermute_b32 v15, v89, v13
	v_and_b32_e32 v1, 0x3c7, v0
	s_waitcnt lgkmcnt(2)
	v_pk_add_f32 v[6:7], v[6:7], v[16:17]
	v_cmp_ne_u32_e32 vcc, 64, v1
	s_waitcnt lgkmcnt(0)
	s_barrier
	s_and_saveexec_b64 s[0:1], vcc
	s_xor_b64 s[0:1], exec, s[0:1]
; %bb.66:
                                        ; implicit-def: $vgpr86
; %bb.67:
	s_or_saveexec_b64 s[0:1], s[0:1]
	v_pk_add_f32 v[12:13], v[12:13], v[14:15]
	s_xor_b64 exec, exec, s[0:1]
	s_cbranch_execz .LBB48_69
; %bb.68:
	v_lshrrev_b32_e32 v14, 1, v86
	v_add_u32_e32 v14, 0x190, v14
	ds_write2_b32 v14, v2, v3 offset1:8
	ds_write2_b32 v14, v10, v11 offset0:16 offset1:24
	ds_write2_b32 v14, v8, v9 offset0:32 offset1:40
	;; [unrolled: 1-line block ×5, first 2 shown]
.LBB48_69:
	s_or_b64 exec, exec, s[0:1]
	v_cmp_gt_u32_e32 vcc, 64, v0
	s_waitcnt lgkmcnt(0)
	s_barrier
	s_and_saveexec_b64 s[0:1], vcc
	s_cbranch_execz .LBB48_84
; %bb.70:
	v_cmp_eq_u32_e32 vcc, 0, v90
	v_lshrrev_b32_e32 v14, 3, v0
	s_and_saveexec_b64 s[2:3], vcc
	s_cbranch_execnz .LBB48_87
; %bb.71:
	s_or_b64 exec, exec, s[2:3]
	s_and_saveexec_b64 s[2:3], vcc
	s_cbranch_execnz .LBB48_88
.LBB48_72:
	s_or_b64 exec, exec, s[2:3]
	s_and_saveexec_b64 s[2:3], vcc
	s_cbranch_execnz .LBB48_89
.LBB48_73:
	s_or_b64 exec, exec, s[2:3]
	s_and_saveexec_b64 s[2:3], vcc
	s_cbranch_execnz .LBB48_90
.LBB48_74:
	s_or_b64 exec, exec, s[2:3]
	s_and_saveexec_b64 s[2:3], vcc
	s_cbranch_execnz .LBB48_91
.LBB48_75:
	s_or_b64 exec, exec, s[2:3]
	s_and_saveexec_b64 s[2:3], vcc
	s_cbranch_execnz .LBB48_92
.LBB48_76:
	s_or_b64 exec, exec, s[2:3]
	s_and_saveexec_b64 s[2:3], vcc
	s_cbranch_execnz .LBB48_93
.LBB48_77:
	s_or_b64 exec, exec, s[2:3]
	s_and_saveexec_b64 s[2:3], vcc
	s_cbranch_execnz .LBB48_94
.LBB48_78:
	s_or_b64 exec, exec, s[2:3]
	s_and_saveexec_b64 s[2:3], vcc
	s_cbranch_execnz .LBB48_95
.LBB48_79:
	s_or_b64 exec, exec, s[2:3]
	s_and_saveexec_b64 s[2:3], vcc
	s_cbranch_execnz .LBB48_96
.LBB48_80:
	s_or_b64 exec, exec, s[2:3]
	s_and_saveexec_b64 s[2:3], vcc
	s_cbranch_execnz .LBB48_97
.LBB48_81:
	s_or_b64 exec, exec, s[2:3]
	s_and_saveexec_b64 s[2:3], vcc
	s_cbranch_execz .LBB48_83
.LBB48_82:
	v_mov_b32_e32 v15, 0x190
	v_lshl_add_u32 v14, v14, 2, v15
	ds_read_b32 v14, v14 offset:352
	s_waitcnt lgkmcnt(0)
	v_add_f32_e32 v13, v13, v14
.LBB48_83:
	s_or_b64 exec, exec, s[2:3]
.LBB48_84:
	s_or_b64 exec, exec, s[0:1]
	v_cmp_eq_u32_e32 vcc, 0, v1
	s_barrier
	s_and_saveexec_b64 s[0:1], vcc
	s_cbranch_execz .LBB48_86
; %bb.85:
	s_mul_i32 s0, s10, s11
	s_mul_i32 s0, s0, s5
	s_mulk_i32 s0, 0x60
	s_ashr_i32 s1, s0, 31
	s_lshl_b64 s[0:1], s[0:1], 2
	s_add_u32 s2, s18, s0
	s_mul_i32 s0, s11, s16
	s_addc_u32 s3, s19, s1
	s_ashr_i32 s1, s0, 31
	s_lshl_b64 s[0:1], s[0:1], 2
	s_add_u32 s2, s2, s0
	s_mul_i32 s0, s4, 0x60
	s_addc_u32 s3, s3, s1
	s_ashr_i32 s1, s0, 31
	s_lshl_b64 s[0:1], s[0:1], 2
	s_add_u32 s0, s2, s0
	s_addc_u32 s1, s3, s1
	v_lshrrev_b32_e32 v0, 1, v0
	global_store_dword v0, v2, s[0:1]
	global_store_dword v0, v3, s[0:1] offset:32
	global_store_dword v0, v10, s[0:1] offset:64
	;; [unrolled: 1-line block ×11, first 2 shown]
.LBB48_86:
	s_endpgm
.LBB48_87:
	v_mov_b32_e32 v15, 0x190
	v_lshl_add_u32 v15, v14, 2, v15
	ds_read_b32 v15, v15
	s_waitcnt lgkmcnt(0)
	v_add_f32_e32 v2, v2, v15
	s_or_b64 exec, exec, s[2:3]
	s_and_saveexec_b64 s[2:3], vcc
	s_cbranch_execz .LBB48_72
.LBB48_88:
	v_mov_b32_e32 v15, 0x190
	v_lshl_add_u32 v15, v14, 2, v15
	ds_read_b32 v15, v15 offset:32
	s_waitcnt lgkmcnt(0)
	v_add_f32_e32 v3, v3, v15
	s_or_b64 exec, exec, s[2:3]
	s_and_saveexec_b64 s[2:3], vcc
	s_cbranch_execz .LBB48_73
.LBB48_89:
	v_mov_b32_e32 v15, 0x190
	v_lshl_add_u32 v15, v14, 2, v15
	ds_read_b32 v15, v15 offset:64
	s_waitcnt lgkmcnt(0)
	v_add_f32_e32 v10, v10, v15
	s_or_b64 exec, exec, s[2:3]
	s_and_saveexec_b64 s[2:3], vcc
	s_cbranch_execz .LBB48_74
.LBB48_90:
	v_mov_b32_e32 v15, 0x190
	v_lshl_add_u32 v15, v14, 2, v15
	ds_read_b32 v15, v15 offset:96
	s_waitcnt lgkmcnt(0)
	v_add_f32_e32 v11, v11, v15
	s_or_b64 exec, exec, s[2:3]
	s_and_saveexec_b64 s[2:3], vcc
	s_cbranch_execz .LBB48_75
.LBB48_91:
	v_mov_b32_e32 v15, 0x190
	v_lshl_add_u32 v15, v14, 2, v15
	ds_read_b32 v15, v15 offset:128
	s_waitcnt lgkmcnt(0)
	v_add_f32_e32 v8, v8, v15
	s_or_b64 exec, exec, s[2:3]
	s_and_saveexec_b64 s[2:3], vcc
	s_cbranch_execz .LBB48_76
.LBB48_92:
	v_mov_b32_e32 v15, 0x190
	v_lshl_add_u32 v15, v14, 2, v15
	ds_read_b32 v15, v15 offset:160
	s_waitcnt lgkmcnt(0)
	v_add_f32_e32 v9, v9, v15
	s_or_b64 exec, exec, s[2:3]
	s_and_saveexec_b64 s[2:3], vcc
	s_cbranch_execz .LBB48_77
.LBB48_93:
	v_mov_b32_e32 v15, 0x190
	v_lshl_add_u32 v15, v14, 2, v15
	ds_read_b32 v15, v15 offset:192
	s_waitcnt lgkmcnt(0)
	v_add_f32_e32 v6, v6, v15
	s_or_b64 exec, exec, s[2:3]
	s_and_saveexec_b64 s[2:3], vcc
	s_cbranch_execz .LBB48_78
.LBB48_94:
	v_mov_b32_e32 v15, 0x190
	v_lshl_add_u32 v15, v14, 2, v15
	ds_read_b32 v15, v15 offset:224
	s_waitcnt lgkmcnt(0)
	v_add_f32_e32 v7, v7, v15
	s_or_b64 exec, exec, s[2:3]
	s_and_saveexec_b64 s[2:3], vcc
	s_cbranch_execz .LBB48_79
.LBB48_95:
	v_mov_b32_e32 v15, 0x190
	v_lshl_add_u32 v15, v14, 2, v15
	ds_read_b32 v15, v15 offset:256
	s_waitcnt lgkmcnt(0)
	v_add_f32_e32 v4, v4, v15
	s_or_b64 exec, exec, s[2:3]
	s_and_saveexec_b64 s[2:3], vcc
	s_cbranch_execz .LBB48_80
.LBB48_96:
	v_mov_b32_e32 v15, 0x190
	v_lshl_add_u32 v15, v14, 2, v15
	ds_read_b32 v15, v15 offset:288
	s_waitcnt lgkmcnt(0)
	v_add_f32_e32 v5, v5, v15
	s_or_b64 exec, exec, s[2:3]
	s_and_saveexec_b64 s[2:3], vcc
	s_cbranch_execz .LBB48_81
.LBB48_97:
	v_mov_b32_e32 v15, 0x190
	v_lshl_add_u32 v15, v14, 2, v15
	ds_read_b32 v15, v15 offset:320
	s_waitcnt lgkmcnt(0)
	v_add_f32_e32 v12, v12, v15
	s_or_b64 exec, exec, s[2:3]
	s_and_saveexec_b64 s[2:3], vcc
	s_cbranch_execnz .LBB48_82
	s_branch .LBB48_83
	.section	.rodata,"a",@progbits
	.p2align	6, 0x0
	.amdhsa_kernel _ZN4vllm25paged_attention_v1_kernelIffLi96ELi32ELi128ELNS_18Fp8KVCacheDataTypeE0ELb0EEEvPT_PKS2_PKT0_S8_ifPKiSA_iPKfiiiSC_SC_iiiii
		.amdhsa_group_segment_fixed_size 400
		.amdhsa_private_segment_fixed_size 0
		.amdhsa_kernarg_size 384
		.amdhsa_user_sgpr_count 2
		.amdhsa_user_sgpr_dispatch_ptr 0
		.amdhsa_user_sgpr_queue_ptr 0
		.amdhsa_user_sgpr_kernarg_segment_ptr 1
		.amdhsa_user_sgpr_dispatch_id 0
		.amdhsa_user_sgpr_kernarg_preload_length 0
		.amdhsa_user_sgpr_kernarg_preload_offset 0
		.amdhsa_user_sgpr_private_segment_size 0
		.amdhsa_uses_dynamic_stack 0
		.amdhsa_enable_private_segment 0
		.amdhsa_system_sgpr_workgroup_id_x 1
		.amdhsa_system_sgpr_workgroup_id_y 1
		.amdhsa_system_sgpr_workgroup_id_z 1
		.amdhsa_system_sgpr_workgroup_info 0
		.amdhsa_system_vgpr_workitem_id 0
		.amdhsa_next_free_vgpr 102
		.amdhsa_next_free_sgpr 36
		.amdhsa_accum_offset 104
		.amdhsa_reserve_vcc 1
		.amdhsa_float_round_mode_32 0
		.amdhsa_float_round_mode_16_64 0
		.amdhsa_float_denorm_mode_32 3
		.amdhsa_float_denorm_mode_16_64 3
		.amdhsa_dx10_clamp 1
		.amdhsa_ieee_mode 1
		.amdhsa_fp16_overflow 0
		.amdhsa_tg_split 0
		.amdhsa_exception_fp_ieee_invalid_op 0
		.amdhsa_exception_fp_denorm_src 0
		.amdhsa_exception_fp_ieee_div_zero 0
		.amdhsa_exception_fp_ieee_overflow 0
		.amdhsa_exception_fp_ieee_underflow 0
		.amdhsa_exception_fp_ieee_inexact 0
		.amdhsa_exception_int_div_zero 0
	.end_amdhsa_kernel
	.section	.text._ZN4vllm25paged_attention_v1_kernelIffLi96ELi32ELi128ELNS_18Fp8KVCacheDataTypeE0ELb0EEEvPT_PKS2_PKT0_S8_ifPKiSA_iPKfiiiSC_SC_iiiii,"axG",@progbits,_ZN4vllm25paged_attention_v1_kernelIffLi96ELi32ELi128ELNS_18Fp8KVCacheDataTypeE0ELb0EEEvPT_PKS2_PKT0_S8_ifPKiSA_iPKfiiiSC_SC_iiiii,comdat
.Lfunc_end48:
	.size	_ZN4vllm25paged_attention_v1_kernelIffLi96ELi32ELi128ELNS_18Fp8KVCacheDataTypeE0ELb0EEEvPT_PKS2_PKT0_S8_ifPKiSA_iPKfiiiSC_SC_iiiii, .Lfunc_end48-_ZN4vllm25paged_attention_v1_kernelIffLi96ELi32ELi128ELNS_18Fp8KVCacheDataTypeE0ELb0EEEvPT_PKS2_PKT0_S8_ifPKiSA_iPKfiiiSC_SC_iiiii
                                        ; -- End function
	.section	.AMDGPU.csdata,"",@progbits
; Kernel info:
; codeLenInByte = 6484
; NumSgprs: 42
; NumVgprs: 102
; NumAgprs: 0
; TotalNumVgprs: 102
; ScratchSize: 0
; MemoryBound: 0
; FloatMode: 240
; IeeeMode: 1
; LDSByteSize: 400 bytes/workgroup (compile time only)
; SGPRBlocks: 5
; VGPRBlocks: 12
; NumSGPRsForWavesPerEU: 42
; NumVGPRsForWavesPerEU: 102
; AccumOffset: 104
; Occupancy: 4
; WaveLimiterHint : 1
; COMPUTE_PGM_RSRC2:SCRATCH_EN: 0
; COMPUTE_PGM_RSRC2:USER_SGPR: 2
; COMPUTE_PGM_RSRC2:TRAP_HANDLER: 0
; COMPUTE_PGM_RSRC2:TGID_X_EN: 1
; COMPUTE_PGM_RSRC2:TGID_Y_EN: 1
; COMPUTE_PGM_RSRC2:TGID_Z_EN: 1
; COMPUTE_PGM_RSRC2:TIDIG_COMP_CNT: 0
; COMPUTE_PGM_RSRC3_GFX90A:ACCUM_OFFSET: 25
; COMPUTE_PGM_RSRC3_GFX90A:TG_SPLIT: 0
	.section	.text._ZN4vllm25paged_attention_v1_kernelIffLi112ELi32ELi128ELNS_18Fp8KVCacheDataTypeE0ELb0EEEvPT_PKS2_PKT0_S8_ifPKiSA_iPKfiiiSC_SC_iiiii,"axG",@progbits,_ZN4vllm25paged_attention_v1_kernelIffLi112ELi32ELi128ELNS_18Fp8KVCacheDataTypeE0ELb0EEEvPT_PKS2_PKT0_S8_ifPKiSA_iPKfiiiSC_SC_iiiii,comdat
	.protected	_ZN4vllm25paged_attention_v1_kernelIffLi112ELi32ELi128ELNS_18Fp8KVCacheDataTypeE0ELb0EEEvPT_PKS2_PKT0_S8_ifPKiSA_iPKfiiiSC_SC_iiiii ; -- Begin function _ZN4vllm25paged_attention_v1_kernelIffLi112ELi32ELi128ELNS_18Fp8KVCacheDataTypeE0ELb0EEEvPT_PKS2_PKT0_S8_ifPKiSA_iPKfiiiSC_SC_iiiii
	.globl	_ZN4vllm25paged_attention_v1_kernelIffLi112ELi32ELi128ELNS_18Fp8KVCacheDataTypeE0ELb0EEEvPT_PKS2_PKT0_S8_ifPKiSA_iPKfiiiSC_SC_iiiii
	.p2align	8
	.type	_ZN4vllm25paged_attention_v1_kernelIffLi112ELi32ELi128ELNS_18Fp8KVCacheDataTypeE0ELb0EEEvPT_PKS2_PKT0_S8_ifPKiSA_iPKfiiiSC_SC_iiiii,@function
_ZN4vllm25paged_attention_v1_kernelIffLi112ELi32ELi128ELNS_18Fp8KVCacheDataTypeE0ELb0EEEvPT_PKS2_PKT0_S8_ifPKiSA_iPKfiiiSC_SC_iiiii: ; @_ZN4vllm25paged_attention_v1_kernelIffLi112ELi32ELi128ELNS_18Fp8KVCacheDataTypeE0ELb0EEEvPT_PKS2_PKT0_S8_ifPKiSA_iPKfiiiSC_SC_iiiii
; %bb.0:
	s_load_dword s5, s[0:1], 0x80
	s_load_dwordx2 s[6:7], s[0:1], 0x30
	s_load_dwordx2 s[8:9], s[0:1], 0x20
	s_mov_b32 s10, s3
	s_ashr_i32 s11, s3, 31
	s_lshl_b64 s[12:13], s[10:11], 2
	s_waitcnt lgkmcnt(0)
	s_add_u32 s6, s6, s12
	s_addc_u32 s7, s7, s13
	s_abs_i32 s3, s8
	v_cvt_f32_u32_e32 v1, s3
	s_sub_i32 s12, 0, s3
	s_abs_i32 s11, s5
	s_xor_b32 s8, s5, s8
	v_rcp_iflag_f32_e32 v1, v1
	s_ashr_i32 s8, s8, 31
	v_mul_f32_e32 v1, 0x4f7ffffe, v1
	v_cvt_u32_f32_e32 v1, v1
	s_nop 0
	v_readfirstlane_b32 s13, v1
	s_mul_i32 s12, s12, s13
	s_mul_hi_u32 s12, s13, s12
	s_add_i32 s13, s13, s12
	s_mul_hi_u32 s12, s11, s13
	s_mul_i32 s13, s12, s3
	s_sub_i32 s11, s11, s13
	s_add_i32 s13, s12, 1
	s_sub_i32 s14, s11, s3
	s_cmp_ge_u32 s11, s3
	s_cselect_b32 s12, s13, s12
	s_cselect_b32 s11, s14, s11
	s_add_i32 s13, s12, 1
	s_cmp_ge_u32 s11, s3
	s_cselect_b32 s3, s13, s12
	s_xor_b32 s3, s3, s8
	s_sub_i32 s14, s3, s8
	s_abs_i32 s11, s14
	v_cvt_f32_u32_e32 v1, s11
	s_load_dwordx2 s[12:13], s[0:1], 0x40
	s_sub_i32 s3, 0, s11
	s_abs_i32 s18, s2
	v_rcp_iflag_f32_e32 v1, v1
	s_mov_b32 s8, 0
	v_mul_f32_e32 v1, 0x4f7ffffe, v1
	v_cvt_u32_f32_e32 v1, v1
	s_nop 0
	v_readfirstlane_b32 s15, v1
	s_mul_i32 s3, s3, s15
	s_mul_hi_u32 s3, s15, s3
	s_add_i32 s15, s15, s3
	s_waitcnt lgkmcnt(0)
	s_cmp_eq_u64 s[12:13], 0
	s_mul_hi_u32 s19, s18, s15
	s_cbranch_scc1 .LBB49_2
; %bb.1:
	s_ashr_i32 s3, s2, 31
	s_lshl_b64 s[16:17], s[2:3], 2
	s_add_u32 s12, s12, s16
	s_addc_u32 s13, s13, s17
	s_load_dword s8, s[12:13], 0x0
.LBB49_2:
	s_load_dword s33, s[6:7], 0x0
	s_ashr_i32 s7, s14, 31
	s_load_dwordx4 s[12:15], s[0:1], 0x48
	s_ashr_i32 s6, s2, 31
	v_and_b32_e32 v42, 1, v0
	s_mul_i32 s16, s2, 0x70
	v_cmp_gt_u32_e32 vcc, 56, v0
	v_lshlrev_b32_e32 v2, 3, v0
	v_lshlrev_b32_e32 v76, 2, v0
	s_and_saveexec_b64 s[2:3], vcc
	s_cbranch_execz .LBB49_4
; %bb.3:
	s_load_dwordx2 s[20:21], s[0:1], 0x8
	s_waitcnt lgkmcnt(0)
	s_mul_i32 s22, s10, s12
	s_ashr_i32 s23, s22, 31
	s_lshl_b64 s[22:23], s[22:23], 2
	v_and_b32_e32 v1, 0xff8, v76
	s_add_u32 s12, s20, s22
	s_addc_u32 s15, s21, s23
	s_ashr_i32 s17, s16, 31
	s_lshl_b64 s[20:21], s[16:17], 2
	s_add_u32 s20, s12, s20
	s_addc_u32 s21, s15, s21
	global_load_dwordx2 v[4:5], v2, s[20:21]
	s_movk_i32 s12, 0xe0
	v_mad_u32_u24 v1, v42, s12, v1
	s_waitcnt vmcnt(0)
	ds_write_b64 v1, v[4:5]
.LBB49_4:
	s_or_b64 exec, exec, s[2:3]
	s_waitcnt lgkmcnt(0)
	s_add_i32 s3, s33, 31
	s_ashr_i32 s12, s3, 31
	s_lshr_b32 s12, s12, 27
	s_add_i32 s3, s3, s12
	s_ashr_i32 s17, s3, 5
	s_xor_b32 s3, s6, s7
	s_mul_i32 s6, s19, s11
	s_sub_i32 s6, s18, s6
	s_add_i32 s7, s19, 1
	s_sub_i32 s12, s6, s11
	s_load_dwordx2 s[20:21], s[0:1], 0x28
	s_load_dword s2, s[0:1], 0x38
	s_cmp_ge_u32 s6, s11
	s_cselect_b32 s7, s7, s19
	s_cselect_b32 s6, s12, s6
	s_add_i32 s12, s7, 1
	s_cmp_ge_u32 s6, s11
	s_cselect_b32 s6, s12, s7
	v_lshrrev_b32_e32 v1, 6, v0
	s_xor_b32 s6, s6, s3
	s_waitcnt lgkmcnt(0)
	s_mul_i32 s22, s10, s2
	s_sub_i32 s12, s6, s3
	s_ashr_i32 s23, s22, 31
	v_cmp_gt_i32_e64 s[6:7], s17, v1
	v_cmp_le_i32_e32 vcc, s17, v1
	v_mbcnt_lo_u32_b32 v43, -1, 0
	s_barrier
	s_waitcnt lgkmcnt(0)
                                        ; implicit-def: $sgpr15
                                        ; implicit-def: $vgpr68
                                        ; implicit-def: $vgpr69
	s_and_saveexec_b64 s[2:3], vcc
	s_xor_b64 s[2:3], exec, s[2:3]
; %bb.5:
	v_mbcnt_hi_u32_b32 v68, -1, v43
	v_and_b32_e32 v2, 64, v68
	v_add_u32_e32 v69, 64, v2
	s_mov_b32 s15, 0xff7fffff
                                        ; implicit-def: $vgpr2
                                        ; implicit-def: $vgpr42
                                        ; implicit-def: $vgpr43
; %bb.6:
	s_or_saveexec_b64 s[26:27], s[2:3]
	s_load_dwordx2 s[18:19], s[0:1], 0x0
	s_load_dwordx2 s[24:25], s[0:1], 0x18
	s_load_dword s11, s[0:1], 0x88
	v_mov_b32_e32 v70, s15
	s_mul_i32 s14, s12, s14
	v_lshrrev_b32_e32 v78, 4, v0
	s_xor_b64 exec, exec, s[26:27]
	s_cbranch_execz .LBB49_12
; %bb.7:
	s_load_dwordx2 s[0:1], s[0:1], 0x10
	s_ashr_i32 s15, s14, 31
	s_lshl_b64 s[2:3], s[14:15], 2
	v_bfe_u32 v46, v0, 1, 5
	v_lshlrev_b32_e32 v44, 4, v46
	s_waitcnt lgkmcnt(0)
	s_add_u32 s0, s0, s2
	s_addc_u32 s1, s1, s3
	v_mov_b32_e32 v45, 0
	v_lshl_add_u64 v[4:5], s[0:1], 0, v[44:45]
	v_and_b32_e32 v44, 8, v2
	v_mul_u32_u24_e32 v54, 0xe0, v42
	v_lshl_add_u64 v[58:59], v[4:5], 0, v[44:45]
	ds_read_b128 v[2:5], v54
	ds_read_b128 v[6:9], v54 offset:16
	ds_read_b128 v[10:13], v54 offset:32
	;; [unrolled: 1-line block ×9, first 2 shown]
	v_mbcnt_hi_u32_b32 v68, -1, v43
	v_and_b32_e32 v44, 64, v68
	v_xor_b32_e32 v43, 1, v68
	v_add_u32_e32 v69, 64, v44
	s_sub_i32 s15, 1, s33
	s_lshl_b64 s[0:1], s[22:23], 2
	v_lshlrev_b32_e32 v47, 2, v46
	v_cmp_lt_i32_e32 vcc, v43, v69
	s_add_u32 s0, s20, s0
	v_and_b32_e32 v44, 60, v78
	v_cndmask_b32_e32 v43, v68, v43, vcc
	v_cmp_eq_u32_e32 vcc, 0, v42
	v_lshl_or_b32 v42, v1, 7, v47
	s_addc_u32 s1, s21, s1
	v_lshlrev_b32_e32 v71, 2, v43
	v_lshl_or_b32 v72, v1, 5, v46
	v_add_u32_e32 v73, 0x1d0, v42
	v_lshl_add_u64 v[60:61], s[0:1], 0, v[44:45]
	ds_read_b128 v[42:45], v54 offset:160
	ds_read_b128 v[46:49], v54 offset:176
	;; [unrolled: 1-line block ×4, first 2 shown]
	s_mov_b32 s12, s13
	v_cmp_neq_f32_e64 s[2:3], s8, 0
	s_mov_b64 s[28:29], 0
	v_mov_b32_e32 v70, 0xff7fffff
	s_movk_i32 s34, 0x1000
	s_movk_i32 s35, 0x2000
	;; [unrolled: 1-line block ×3, first 2 shown]
	v_mov_b32_e32 v74, v1
	s_branch .LBB49_9
.LBB49_8:                               ;   in Loop: Header=BB49_9 Depth=1
	s_or_b64 exec, exec, s[30:31]
	v_add_u32_e32 v74, 2, v74
	v_cmp_le_i32_e64 s[0:1], s17, v74
	v_add_u32_e32 v72, 64, v72
	v_add_u32_e32 v73, 0x100, v73
	s_or_b64 s[28:29], s[0:1], s[28:29]
	v_lshl_add_u64 v[60:61], v[60:61], 0, 8
	s_andn2_b64 exec, exec, s[28:29]
	s_cbranch_execz .LBB49_11
.LBB49_9:                               ; =>This Inner Loop Header: Depth=1
	global_load_dword v62, v[60:61], off
	s_waitcnt vmcnt(0) lgkmcnt(0)
	v_mad_i64_i32 v[62:63], s[0:1], v62, s12, 0
	v_lshl_add_u64 v[62:63], v[62:63], 2, v[58:59]
	global_load_dwordx2 v[64:65], v[62:63], off offset:512
	global_load_dwordx2 v[66:67], v[62:63], off offset:1024
	global_load_dwordx2 v[80:81], v[62:63], off offset:1536
	s_waitcnt vmcnt(2) lgkmcnt(13)
	v_mul_f32_e32 v75, v4, v64
	v_mul_f32_e32 v77, v5, v65
	global_load_dwordx2 v[64:65], v[62:63], off
	s_waitcnt vmcnt(0)
	v_fmac_f32_e32 v75, v2, v64
	v_fmac_f32_e32 v77, v3, v65
	s_waitcnt lgkmcnt(12)
	v_fmac_f32_e32 v75, v6, v66
	v_fmac_f32_e32 v77, v7, v67
	;; [unrolled: 1-line block ×3, first 2 shown]
	v_add_co_u32_e64 v80, s[0:1], s34, v62
	v_fmac_f32_e32 v77, v9, v81
	s_nop 0
	v_addc_co_u32_e64 v81, s[0:1], 0, v63, s[0:1]
	v_add_co_u32_e64 v66, s[0:1], s35, v62
	s_nop 1
	v_addc_co_u32_e64 v67, s[0:1], 0, v63, s[0:1]
	v_add_co_u32_e64 v64, s[0:1], s36, v62
	s_nop 1
	v_addc_co_u32_e64 v65, s[0:1], 0, v63, s[0:1]
	global_load_dwordx2 v[82:83], v[62:63], off offset:2048
	global_load_dwordx2 v[84:85], v[62:63], off offset:2560
	;; [unrolled: 1-line block ×3, first 2 shown]
	s_nop 0
	global_load_dwordx2 v[62:63], v[62:63], off offset:3584
	s_waitcnt vmcnt(3) lgkmcnt(11)
	v_fmac_f32_e32 v75, v10, v82
	v_fmac_f32_e32 v77, v11, v83
	s_waitcnt vmcnt(2)
	v_fmac_f32_e32 v75, v12, v84
	v_fmac_f32_e32 v77, v13, v85
	s_waitcnt vmcnt(1) lgkmcnt(10)
	v_fmac_f32_e32 v75, v14, v86
	v_fmac_f32_e32 v77, v15, v87
	s_waitcnt vmcnt(0)
	v_fmac_f32_e32 v75, v16, v62
	v_fmac_f32_e32 v77, v17, v63
	global_load_dwordx2 v[82:83], v[66:67], off offset:-4096
	global_load_dwordx2 v[62:63], v[64:65], off offset:1536
	s_waitcnt vmcnt(1) lgkmcnt(9)
	v_fmac_f32_e32 v75, v18, v82
	v_fmac_f32_e32 v77, v19, v83
	global_load_dwordx2 v[82:83], v[80:81], off offset:512
	global_load_dwordx2 v[84:85], v[80:81], off offset:1024
	;; [unrolled: 1-line block ×4, first 2 shown]
	s_waitcnt vmcnt(3)
	v_fmac_f32_e32 v75, v20, v82
	v_fmac_f32_e32 v77, v21, v83
	s_waitcnt vmcnt(2) lgkmcnt(8)
	v_fmac_f32_e32 v75, v22, v84
	v_fmac_f32_e32 v77, v23, v85
	s_waitcnt vmcnt(1)
	v_fmac_f32_e32 v75, v24, v86
	v_fmac_f32_e32 v77, v25, v87
	global_load_dwordx2 v[82:83], v[80:81], off offset:2560
	global_load_dwordx2 v[84:85], v[80:81], off offset:3072
	s_nop 0
	global_load_dwordx2 v[80:81], v[80:81], off offset:3584
	s_nop 0
	global_load_dwordx2 v[86:87], v[64:65], off
	s_waitcnt vmcnt(4) lgkmcnt(7)
	v_fmac_f32_e32 v75, v26, v88
	v_fmac_f32_e32 v77, v27, v89
	s_waitcnt vmcnt(3)
	v_fmac_f32_e32 v75, v28, v82
	v_fmac_f32_e32 v77, v29, v83
	s_waitcnt vmcnt(2) lgkmcnt(6)
	v_fmac_f32_e32 v75, v30, v84
	v_fmac_f32_e32 v77, v31, v85
	s_waitcnt vmcnt(1)
	v_fmac_f32_e32 v75, v32, v80
	v_fmac_f32_e32 v77, v33, v81
	global_load_dwordx2 v[80:81], v[66:67], off
	global_load_dwordx2 v[82:83], v[66:67], off offset:512
	global_load_dwordx2 v[84:85], v[66:67], off offset:1024
	;; [unrolled: 1-line block ×3, first 2 shown]
	s_waitcnt vmcnt(3) lgkmcnt(5)
	v_fmac_f32_e32 v75, v34, v80
	v_fmac_f32_e32 v77, v35, v81
	s_waitcnt vmcnt(2)
	v_fmac_f32_e32 v75, v36, v82
	v_fmac_f32_e32 v77, v37, v83
	s_waitcnt vmcnt(1) lgkmcnt(4)
	v_fmac_f32_e32 v75, v38, v84
	v_fmac_f32_e32 v77, v39, v85
	global_load_dwordx2 v[80:81], v[66:67], off offset:2048
	global_load_dwordx2 v[82:83], v[66:67], off offset:2560
	;; [unrolled: 1-line block ×3, first 2 shown]
	s_nop 0
	global_load_dwordx2 v[66:67], v[66:67], off offset:3584
	s_waitcnt vmcnt(4)
	v_fmac_f32_e32 v75, v40, v88
	v_fmac_f32_e32 v77, v41, v89
	s_waitcnt vmcnt(3) lgkmcnt(3)
	v_fmac_f32_e32 v75, v42, v80
	v_fmac_f32_e32 v77, v43, v81
	s_waitcnt vmcnt(2)
	v_fmac_f32_e32 v75, v44, v82
	v_fmac_f32_e32 v77, v45, v83
	s_waitcnt vmcnt(1) lgkmcnt(2)
	v_fmac_f32_e32 v75, v46, v84
	v_fmac_f32_e32 v77, v47, v85
	s_waitcnt vmcnt(0)
	v_fmac_f32_e32 v75, v48, v66
	v_fmac_f32_e32 v77, v49, v67
	global_load_dwordx2 v[66:67], v[64:65], off offset:512
	s_nop 0
	global_load_dwordx2 v[64:65], v[64:65], off offset:1024
	s_waitcnt lgkmcnt(1)
	v_fmac_f32_e32 v75, v50, v86
	v_fmac_f32_e32 v77, v51, v87
	s_waitcnt vmcnt(1)
	v_fmac_f32_e32 v75, v52, v66
	v_fmac_f32_e32 v77, v53, v67
	s_waitcnt vmcnt(0) lgkmcnt(0)
	v_fmac_f32_e32 v75, v54, v64
	v_fmac_f32_e32 v77, v55, v65
	;; [unrolled: 1-line block ×4, first 2 shown]
	v_add_f32_e32 v62, v75, v77
	ds_bpermute_b32 v63, v71, v62
	s_and_saveexec_b64 s[30:31], vcc
	s_cbranch_execz .LBB49_8
; %bb.10:                               ;   in Loop: Header=BB49_9 Depth=1
	v_add_u32_e32 v64, s15, v72
	v_cvt_f32_i32_e32 v64, v64
	s_waitcnt lgkmcnt(0)
	v_add_f32_e32 v62, v62, v63
	v_cmp_gt_i32_e64 s[0:1], s33, v72
	v_max_f32_e32 v63, v70, v70
	v_mul_f32_e32 v64, s8, v64
	v_cndmask_b32_e64 v64, 0, v64, s[2:3]
	v_fmac_f32_e32 v64, s9, v62
	v_cndmask_b32_e64 v62, 0, v64, s[0:1]
	ds_write_b32 v73, v62
	v_max_f32_e32 v62, v63, v64
	v_cndmask_b32_e64 v70, v70, v62, s[0:1]
	s_branch .LBB49_8
.LBB49_11:
	s_or_b64 exec, exec, s[28:29]
.LBB49_12:
	s_or_b64 exec, exec, s[26:27]
	v_xor_b32_e32 v2, 32, v68
	v_cmp_lt_i32_e32 vcc, v2, v69
	v_xor_b32_e32 v5, 16, v68
	v_max_f32_e32 v4, v70, v70
	v_cndmask_b32_e32 v2, v68, v2, vcc
	v_lshlrev_b32_e32 v2, 2, v2
	ds_bpermute_b32 v3, v2, v70
	v_cmp_lt_i32_e32 vcc, v5, v69
	v_xor_b32_e32 v6, 8, v68
	v_xor_b32_e32 v7, 4, v68
	v_and_b32_e32 v100, 63, v0
	s_waitcnt lgkmcnt(0)
	v_max_f32_e32 v3, v3, v3
	v_max_f32_e32 v4, v4, v3
	v_cndmask_b32_e32 v3, v68, v5, vcc
	v_lshlrev_b32_e32 v3, 2, v3
	ds_bpermute_b32 v5, v3, v4
	v_cmp_lt_i32_e32 vcc, v6, v69
	s_waitcnt lgkmcnt(0)
	v_max_f32_e32 v5, v5, v5
	v_max_f32_e32 v5, v4, v5
	v_cndmask_b32_e32 v4, v68, v6, vcc
	v_lshlrev_b32_e32 v4, 2, v4
	ds_bpermute_b32 v6, v4, v5
	v_cmp_lt_i32_e32 vcc, v7, v69
	s_waitcnt lgkmcnt(0)
	v_max_f32_e32 v6, v6, v6
	v_max_f32_e32 v5, v5, v6
	v_cndmask_b32_e32 v6, v68, v7, vcc
	v_lshlrev_b32_e32 v102, 2, v6
	ds_bpermute_b32 v6, v102, v5
	v_xor_b32_e32 v7, 2, v68
	v_cmp_lt_i32_e32 vcc, v7, v69
	s_waitcnt lgkmcnt(0)
	v_max_f32_e32 v6, v6, v6
	v_max_f32_e32 v6, v5, v6
	v_cndmask_b32_e32 v5, v68, v7, vcc
	v_lshlrev_b32_e32 v101, 2, v5
	ds_bpermute_b32 v7, v101, v6
	v_cmp_eq_u32_e32 vcc, 0, v100
	v_lshlrev_b32_e32 v5, 2, v1
	s_and_saveexec_b64 s[0:1], vcc
	s_cbranch_execz .LBB49_14
; %bb.13:
	s_waitcnt lgkmcnt(0)
	v_max_f32_e32 v7, v7, v7
	v_max_f32_e32 v6, v6, v6
	;; [unrolled: 1-line block ×3, first 2 shown]
	ds_write_b32 v5, v6 offset:448
.LBB49_14:
	s_or_b64 exec, exec, s[0:1]
	v_cmp_gt_u32_e64 s[0:1], 2, v100
	s_waitcnt lgkmcnt(0)
	v_mov_b32_e32 v7, 0xff7fffff
	v_lshlrev_b32_e32 v6, 2, v100
	s_barrier
	s_and_saveexec_b64 s[2:3], s[0:1]
	s_cbranch_execz .LBB49_16
; %bb.15:
	ds_read_b32 v7, v6 offset:448
.LBB49_16:
	s_or_b64 exec, exec, s[2:3]
	v_xor_b32_e32 v8, 1, v68
	v_cmp_lt_i32_e64 s[2:3], v8, v69
	v_lshlrev_b32_e32 v9, 2, v68
	s_nop 0
	v_cndmask_b32_e64 v8, v68, v8, s[2:3]
	v_lshlrev_b32_e32 v103, 2, v8
	s_waitcnt lgkmcnt(0)
	ds_bpermute_b32 v8, v103, v7
	v_max_f32_e32 v7, v7, v7
	s_lshl_b32 s2, s17, 5
	s_min_i32 s12, s2, s33
	v_cmp_gt_i32_e64 s[2:3], s12, v0
	s_waitcnt lgkmcnt(0)
	v_max_f32_e32 v8, v8, v8
	v_max_f32_e32 v8, v7, v8
	v_and_b32_e32 v7, 0xffffff00, v9
	ds_bpermute_b32 v9, v7, v8
	v_mov_b32_e32 v8, 0
	s_and_saveexec_b64 s[26:27], s[2:3]
	s_cbranch_execz .LBB49_20
; %bb.17:
	v_mov_b32_e32 v8, 0x1d0
	v_lshl_add_u32 v10, v0, 2, v8
	s_mov_b64 s[28:29], 0
	v_mov_b32_e32 v8, 0
	v_mov_b32_e32 v11, v0
.LBB49_18:                              ; =>This Inner Loop Header: Depth=1
	ds_read_b32 v12, v10
	v_add_u32_e32 v11, 0x80, v11
	v_cmp_le_i32_e64 s[8:9], s12, v11
	s_or_b64 s[28:29], s[8:9], s[28:29]
	s_waitcnt lgkmcnt(0)
	v_sub_f32_e32 v12, v12, v9
	v_mul_f32_e32 v12, 0x3fb8aa3b, v12
	v_exp_f32_e32 v12, v12
	ds_write_b32 v10, v12
	v_add_f32_e32 v8, v8, v12
	v_add_u32_e32 v10, 0x200, v10
	s_andn2_b64 exec, exec, s[28:29]
	s_cbranch_execnz .LBB49_18
; %bb.19:
	s_or_b64 exec, exec, s[28:29]
.LBB49_20:
	s_or_b64 exec, exec, s[26:27]
	ds_bpermute_b32 v2, v2, v8
	s_waitcnt lgkmcnt(0)
	v_add_f32_e32 v2, v8, v2
	ds_bpermute_b32 v3, v3, v2
	s_waitcnt lgkmcnt(0)
	v_add_f32_e32 v2, v2, v3
	;; [unrolled: 3-line block ×6, first 2 shown]
	s_and_saveexec_b64 s[8:9], vcc
	s_cbranch_execz .LBB49_22
; %bb.21:
	ds_write_b32 v5, v2 offset:456
.LBB49_22:
	s_or_b64 exec, exec, s[8:9]
	s_waitcnt lgkmcnt(0)
	s_barrier
	s_and_saveexec_b64 s[8:9], s[0:1]
	s_cbranch_execz .LBB49_24
; %bb.23:
	ds_read_b32 v2, v6 offset:456
.LBB49_24:
	s_or_b64 exec, exec, s[8:9]
	s_waitcnt lgkmcnt(0)
	ds_bpermute_b32 v3, v103, v2
	s_waitcnt lgkmcnt(0)
	v_add_f32_e32 v2, v2, v3
	ds_bpermute_b32 v2, v7, v2
	s_and_saveexec_b64 s[0:1], s[2:3]
	s_cbranch_execz .LBB49_37
; %bb.25:
	s_waitcnt lgkmcnt(0)
	v_add_f32_e32 v2, 0x358637bd, v2
	v_div_scale_f32 v3, s[2:3], v2, v2, 1.0
	v_rcp_f32_e32 v4, v3
	v_div_scale_f32 v5, vcc, 1.0, v2, 1.0
	s_movk_i32 s2, 0x7f
	v_fma_f32 v6, -v3, v4, 1.0
	v_fmac_f32_e32 v4, v6, v4
	v_mul_f32_e32 v6, v5, v4
	v_fma_f32 v7, -v3, v6, v5
	v_fmac_f32_e32 v6, v7, v4
	v_fma_f32 v3, -v3, v6, v5
	v_div_fmas_f32 v3, v3, v4, v6
	v_xad_u32 v4, v0, -1, s12
	v_div_fixup_f32 v2, v3, v2, 1.0
	v_cmp_lt_u32_e32 vcc, s2, v4
	s_mov_b64 s[8:9], -1
	v_mov_b32_e32 v3, v0
	s_and_saveexec_b64 s[2:3], vcc
	s_cbranch_execz .LBB49_34
; %bb.26:
	v_lshrrev_b32_e32 v4, 7, v4
	v_add_u32_e32 v6, -1, v4
	v_lshrrev_b32_e32 v5, 1, v6
	v_mov_b32_e32 v3, v2
	v_add_u32_e32 v5, 1, v5
	v_cmp_lt_u32_e32 vcc, 13, v6
	v_mov_b32_e32 v8, 0
	s_and_saveexec_b64 s[8:9], vcc
	s_cbranch_execz .LBB49_30
; %bb.27:
	v_mov_b32_e32 v7, 0x1d0
	v_and_b32_e32 v6, -8, v5
	v_lshl_add_u32 v7, v0, 2, v7
	s_mov_b32 s15, 0
	s_mov_b64 s[26:27], 0
.LBB49_28:                              ; =>This Inner Loop Header: Depth=1
	ds_read2st64_b32 v[8:9], v7 offset1:2
	ds_read2st64_b32 v[10:11], v7 offset0:4 offset1:6
	ds_read2st64_b32 v[12:13], v7 offset0:8 offset1:10
	ds_read2st64_b32 v[14:15], v7 offset0:12 offset1:14
	v_add_u32_e32 v6, -8, v6
	s_waitcnt lgkmcnt(3)
	v_pk_mul_f32 v[8:9], v[2:3], v[8:9]
	s_waitcnt lgkmcnt(2)
	v_pk_mul_f32 v[10:11], v[2:3], v[10:11]
	ds_write2st64_b32 v7, v8, v9 offset1:2
	ds_write2st64_b32 v7, v10, v11 offset0:4 offset1:6
	ds_read2st64_b32 v[10:11], v7 offset0:16 offset1:18
	s_waitcnt lgkmcnt(4)
	v_pk_mul_f32 v[8:9], v[2:3], v[12:13]
	ds_write2st64_b32 v7, v8, v9 offset0:8 offset1:10
	s_waitcnt lgkmcnt(4)
	v_pk_mul_f32 v[8:9], v[2:3], v[14:15]
	ds_write2st64_b32 v7, v8, v9 offset0:12 offset1:14
	ds_read2st64_b32 v[8:9], v7 offset0:20 offset1:22
	s_waitcnt lgkmcnt(3)
	v_pk_mul_f32 v[10:11], v[2:3], v[10:11]
	ds_read2st64_b32 v[12:13], v7 offset0:24 offset1:26
	ds_write2st64_b32 v7, v10, v11 offset0:16 offset1:18
	ds_read2st64_b32 v[10:11], v7 offset0:28 offset1:30
	s_waitcnt lgkmcnt(3)
	v_pk_mul_f32 v[8:9], v[2:3], v[8:9]
	ds_write2st64_b32 v7, v8, v9 offset0:20 offset1:22
	s_waitcnt lgkmcnt(3)
	v_pk_mul_f32 v[8:9], v[2:3], v[12:13]
	ds_write2st64_b32 v7, v8, v9 offset0:24 offset1:26
	s_waitcnt lgkmcnt(2)
	v_pk_mul_f32 v[8:9], v[2:3], v[10:11]
	s_add_i32 s15, s15, 16
	v_cmp_eq_u32_e32 vcc, 0, v6
	ds_write2st64_b32 v7, v8, v9 offset0:28 offset1:30
	v_add_u32_e32 v7, 0x2000, v7
	s_or_b64 s[26:27], vcc, s[26:27]
	v_mov_b32_e32 v8, s15
	s_andn2_b64 exec, exec, s[26:27]
	s_cbranch_execnz .LBB49_28
; %bb.29:
	s_or_b64 exec, exec, s[26:27]
.LBB49_30:
	s_or_b64 exec, exec, s[8:9]
	v_and_b32_e32 v5, 7, v5
	v_cmp_ne_u32_e32 vcc, 0, v5
	s_and_saveexec_b64 s[8:9], vcc
	s_cbranch_execz .LBB49_33
; %bb.31:
	v_lshlrev_b32_e32 v6, 9, v8
	s_movk_i32 s15, 0x1d0
	v_add3_u32 v6, v6, v76, s15
	s_mov_b64 s[26:27], 0
.LBB49_32:                              ; =>This Inner Loop Header: Depth=1
	ds_read2st64_b32 v[8:9], v6 offset1:2
	v_add_u32_e32 v5, -1, v5
	v_cmp_eq_u32_e32 vcc, 0, v5
	s_or_b64 s[26:27], vcc, s[26:27]
	s_waitcnt lgkmcnt(0)
	v_pk_mul_f32 v[8:9], v[2:3], v[8:9]
	ds_write2st64_b32 v6, v8, v9 offset1:2
	v_add_u32_e32 v6, 0x400, v6
	s_andn2_b64 exec, exec, s[26:27]
	s_cbranch_execnz .LBB49_32
.LBB49_33:
	s_or_b64 exec, exec, s[8:9]
	v_add_u32_e32 v4, 1, v4
	v_and_b32_e32 v5, 0x3fffffe, v4
	v_cmp_ne_u32_e32 vcc, v4, v5
	v_lshl_add_u32 v3, v5, 7, v0
	s_orn2_b64 s[8:9], vcc, exec
.LBB49_34:
	s_or_b64 exec, exec, s[2:3]
	s_and_b64 exec, exec, s[8:9]
	s_cbranch_execz .LBB49_37
; %bb.35:
	v_mov_b32_e32 v4, 0x1d0
	v_lshl_add_u32 v4, v3, 2, v4
	s_mov_b64 s[2:3], 0
.LBB49_36:                              ; =>This Inner Loop Header: Depth=1
	ds_read_b32 v5, v4
	v_add_u32_e32 v3, 0x80, v3
	v_cmp_le_i32_e32 vcc, s12, v3
	s_or_b64 s[2:3], vcc, s[2:3]
	s_waitcnt lgkmcnt(0)
	v_mul_f32_e32 v5, v2, v5
	ds_write_b32 v4, v5
	v_add_u32_e32 v4, 0x200, v4
	s_andn2_b64 exec, exec, s[2:3]
	s_cbranch_execnz .LBB49_36
.LBB49_37:
	s_or_b64 exec, exec, s[0:1]
	v_mov_b32_e32 v74, 0
	v_and_b32_e32 v104, 7, v0
	v_mov_b32_e32 v75, 0
	v_mov_b32_e32 v72, 0
	;; [unrolled: 1-line block ×13, first 2 shown]
	s_waitcnt lgkmcnt(0)
	s_barrier
	s_and_saveexec_b64 s[2:3], s[6:7]
	s_cbranch_execz .LBB49_69
; %bb.38:
	s_ashr_i32 s15, s14, 31
	s_lshl_b64 s[0:1], s[14:15], 2
	s_add_u32 s6, s24, s0
	v_and_b32_e32 v3, 28, v76
	s_addc_u32 s7, s25, s1
	s_add_i32 s14, s17, -1
	v_lshlrev_b32_e32 v5, 5, v1
	s_lshl_b64 s[0:1], s[22:23], 2
	v_and_b32_e32 v2, 0xfc, v76
	v_or3_b32 v105, v5, v3, 3
	v_lshlrev_b32_e32 v3, 4, v104
	s_add_u32 s0, s20, s0
	v_mov_b32_e32 v77, 0
	v_or_b32_e32 v4, 0x400, v2
	v_or_b32_e32 v6, 0x500, v2
	;; [unrolled: 1-line block ×10, first 2 shown]
	v_lshl_or_b32 v3, v1, 7, v3
	v_and_b32_e32 v76, 60, v78
	s_addc_u32 s1, s21, s1
	s_mov_b32 s26, s13
	v_add_u32_e32 v106, 0x1d0, v3
	v_lshl_add_u64 v[78:79], s[0:1], 0, v[76:77]
	s_mov_b64 s[8:9], 0
	v_lshlrev_b32_e32 v80, 2, v2
	v_lshlrev_b32_e32 v76, 2, v4
	;; [unrolled: 1-line block ×11, first 2 shown]
	v_mov_b32_e32 v81, v77
	v_mov_b32_e32 v63, v77
	;; [unrolled: 1-line block ×15, first 2 shown]
	s_branch .LBB49_40
.LBB49_39:                              ;   in Loop: Header=BB49_40 Depth=1
	s_or_b64 exec, exec, s[0:1]
	s_waitcnt vmcnt(1) lgkmcnt(0)
	v_mul_f32_e32 v59, v3, v59
	v_mul_f32_e32 v55, v3, v55
	v_mul_f32_e32 v47, v3, v47
	v_mul_f32_e32 v43, v3, v43
	v_mul_f32_e32 v39, v3, v39
	v_mul_f32_e32 v35, v3, v35
	v_mul_f32_e32 v31, v3, v31
	v_mul_f32_e32 v27, v3, v27
	v_mul_f32_e32 v23, v3, v23
	v_mul_f32_e32 v19, v3, v19
	v_mul_f32_e32 v15, v3, v15
	v_mul_f32_e32 v11, v3, v11
	v_mul_f32_e32 v7, v3, v7
	s_waitcnt vmcnt(0)
	v_mul_f32_e32 v3, v3, v51
	v_fmac_f32_e32 v59, v2, v58
	v_fmac_f32_e32 v55, v2, v54
	;; [unrolled: 1-line block ×28, first 2 shown]
	v_add_u32_e32 v1, 2, v1
	v_fmac_f32_e32 v59, v5, v61
	v_fmac_f32_e32 v55, v5, v57
	;; [unrolled: 1-line block ×14, first 2 shown]
	v_cmp_le_i32_e32 vcc, s17, v1
	v_add_f32_e32 v62, v62, v59
	v_add_f32_e32 v65, v65, v55
	;; [unrolled: 1-line block ×14, first 2 shown]
	v_add_u32_e32 v105, 64, v105
	v_add_u32_e32 v106, 0x100, v106
	s_or_b64 s[8:9], vcc, s[8:9]
	v_lshl_add_u64 v[78:79], v[78:79], 0, 8
	s_andn2_b64 exec, exec, s[8:9]
	s_cbranch_execz .LBB49_68
.LBB49_40:                              ; =>This Inner Loop Header: Depth=1
	global_load_dword v2, v[78:79], off
	v_add_u32_e32 v107, -3, v105
	v_cmp_eq_u32_e32 vcc, s14, v1
	v_add_u32_e32 v109, -2, v105
	v_add_u32_e32 v108, -1, v105
	s_waitcnt vmcnt(0)
	v_mad_i64_i32 v[2:3], s[0:1], v2, s26, 0
	v_lshl_add_u64 v[50:51], v[2:3], 2, s[6:7]
	v_lshl_add_u64 v[18:19], v[50:51], 0, v[80:81]
	global_load_dwordx4 v[6:9], v[18:19], off
	ds_read_b128 v[2:5], v106
	s_and_saveexec_b64 s[12:13], vcc
	s_cbranch_execnz .LBB49_65
; %bb.41:                               ;   in Loop: Header=BB49_40 Depth=1
	s_or_b64 exec, exec, s[12:13]
	global_load_dwordx4 v[10:13], v[18:19], off offset:1024
	s_and_saveexec_b64 s[12:13], vcc
	s_cbranch_execnz .LBB49_66
.LBB49_42:                              ;   in Loop: Header=BB49_40 Depth=1
	s_or_b64 exec, exec, s[12:13]
	global_load_dwordx4 v[14:17], v[18:19], off offset:2048
	s_and_saveexec_b64 s[12:13], vcc
	s_cbranch_execnz .LBB49_67
.LBB49_43:                              ;   in Loop: Header=BB49_40 Depth=1
	s_or_b64 exec, exec, s[12:13]
	global_load_dwordx4 v[18:21], v[18:19], off offset:3072
	s_and_saveexec_b64 s[12:13], vcc
	s_cbranch_execz .LBB49_45
.LBB49_44:                              ;   in Loop: Header=BB49_40 Depth=1
	v_cmp_gt_i32_e64 s[0:1], s33, v107
	s_waitcnt vmcnt(0)
	s_nop 0
	v_cndmask_b32_e64 v18, 0, v18, s[0:1]
	v_cmp_gt_i32_e64 s[0:1], s33, v109
	s_nop 1
	v_cndmask_b32_e64 v19, 0, v19, s[0:1]
	v_cmp_gt_i32_e64 s[0:1], s33, v108
	;; [unrolled: 3-line block ×3, first 2 shown]
	s_nop 1
	v_cndmask_b32_e64 v21, 0, v21, s[0:1]
.LBB49_45:                              ;   in Loop: Header=BB49_40 Depth=1
	s_or_b64 exec, exec, s[12:13]
	v_lshl_add_u64 v[22:23], v[50:51], 0, v[76:77]
	global_load_dwordx4 v[22:25], v[22:23], off
	s_and_saveexec_b64 s[12:13], vcc
	s_cbranch_execz .LBB49_47
; %bb.46:                               ;   in Loop: Header=BB49_40 Depth=1
	v_cmp_gt_i32_e64 s[0:1], s33, v107
	s_waitcnt vmcnt(0)
	s_nop 0
	v_cndmask_b32_e64 v22, 0, v22, s[0:1]
	v_cmp_gt_i32_e64 s[0:1], s33, v109
	s_nop 1
	v_cndmask_b32_e64 v23, 0, v23, s[0:1]
	v_cmp_gt_i32_e64 s[0:1], s33, v108
	s_nop 1
	v_cndmask_b32_e64 v24, 0, v24, s[0:1]
	v_cmp_gt_i32_e64 s[0:1], s33, v105
	s_nop 1
	v_cndmask_b32_e64 v25, 0, v25, s[0:1]
.LBB49_47:                              ;   in Loop: Header=BB49_40 Depth=1
	s_or_b64 exec, exec, s[12:13]
	v_mov_b32_e32 v83, v77
	v_lshl_add_u64 v[26:27], v[50:51], 0, v[82:83]
	global_load_dwordx4 v[26:29], v[26:27], off
	s_and_saveexec_b64 s[12:13], vcc
	s_cbranch_execz .LBB49_49
; %bb.48:                               ;   in Loop: Header=BB49_40 Depth=1
	v_cmp_gt_i32_e64 s[0:1], s33, v107
	s_waitcnt vmcnt(0)
	s_nop 0
	v_cndmask_b32_e64 v26, 0, v26, s[0:1]
	v_cmp_gt_i32_e64 s[0:1], s33, v109
	s_nop 1
	v_cndmask_b32_e64 v27, 0, v27, s[0:1]
	v_cmp_gt_i32_e64 s[0:1], s33, v108
	s_nop 1
	v_cndmask_b32_e64 v28, 0, v28, s[0:1]
	v_cmp_gt_i32_e64 s[0:1], s33, v105
	s_nop 1
	v_cndmask_b32_e64 v29, 0, v29, s[0:1]
.LBB49_49:                              ;   in Loop: Header=BB49_40 Depth=1
	s_or_b64 exec, exec, s[12:13]
	v_mov_b32_e32 v85, v77
	;; [unrolled: 21-line block ×9, first 2 shown]
	v_lshl_add_u64 v[50:51], v[50:51], 0, v[98:99]
	global_load_dwordx4 v[50:53], v[50:51], off
	s_and_saveexec_b64 s[0:1], vcc
	s_cbranch_execz .LBB49_39
; %bb.64:                               ;   in Loop: Header=BB49_40 Depth=1
	v_cmp_gt_i32_e32 vcc, s33, v107
	s_waitcnt vmcnt(0)
	s_nop 0
	v_cndmask_b32_e32 v50, 0, v50, vcc
	v_cmp_gt_i32_e32 vcc, s33, v109
	s_nop 1
	v_cndmask_b32_e32 v51, 0, v51, vcc
	v_cmp_gt_i32_e32 vcc, s33, v108
	s_nop 1
	v_cndmask_b32_e32 v52, 0, v52, vcc
	v_cmp_gt_i32_e32 vcc, s33, v105
	s_nop 1
	v_cndmask_b32_e32 v53, 0, v53, vcc
	s_branch .LBB49_39
.LBB49_65:                              ;   in Loop: Header=BB49_40 Depth=1
	v_cmp_gt_i32_e64 s[0:1], s33, v107
	s_waitcnt vmcnt(0)
	s_nop 0
	v_cndmask_b32_e64 v6, 0, v6, s[0:1]
	v_cmp_gt_i32_e64 s[0:1], s33, v109
	s_nop 1
	v_cndmask_b32_e64 v7, 0, v7, s[0:1]
	v_cmp_gt_i32_e64 s[0:1], s33, v108
	;; [unrolled: 3-line block ×3, first 2 shown]
	s_nop 1
	v_cndmask_b32_e64 v9, 0, v9, s[0:1]
	s_or_b64 exec, exec, s[12:13]
	global_load_dwordx4 v[10:13], v[18:19], off offset:1024
	s_and_saveexec_b64 s[12:13], vcc
	s_cbranch_execz .LBB49_42
.LBB49_66:                              ;   in Loop: Header=BB49_40 Depth=1
	v_cmp_gt_i32_e64 s[0:1], s33, v107
	s_waitcnt vmcnt(0)
	s_nop 0
	v_cndmask_b32_e64 v10, 0, v10, s[0:1]
	v_cmp_gt_i32_e64 s[0:1], s33, v109
	s_nop 1
	v_cndmask_b32_e64 v11, 0, v11, s[0:1]
	v_cmp_gt_i32_e64 s[0:1], s33, v108
	;; [unrolled: 3-line block ×3, first 2 shown]
	s_nop 1
	v_cndmask_b32_e64 v13, 0, v13, s[0:1]
	s_or_b64 exec, exec, s[12:13]
	global_load_dwordx4 v[14:17], v[18:19], off offset:2048
	s_and_saveexec_b64 s[12:13], vcc
	s_cbranch_execz .LBB49_43
.LBB49_67:                              ;   in Loop: Header=BB49_40 Depth=1
	v_cmp_gt_i32_e64 s[0:1], s33, v107
	s_waitcnt vmcnt(0)
	s_nop 0
	v_cndmask_b32_e64 v14, 0, v14, s[0:1]
	v_cmp_gt_i32_e64 s[0:1], s33, v109
	s_nop 1
	v_cndmask_b32_e64 v15, 0, v15, s[0:1]
	v_cmp_gt_i32_e64 s[0:1], s33, v108
	s_nop 1
	v_cndmask_b32_e64 v16, 0, v16, s[0:1]
	v_cmp_gt_i32_e64 s[0:1], s33, v105
	s_nop 1
	v_cndmask_b32_e64 v17, 0, v17, s[0:1]
	s_or_b64 exec, exec, s[12:13]
	global_load_dwordx4 v[18:21], v[18:19], off offset:3072
	s_and_saveexec_b64 s[12:13], vcc
	s_cbranch_execnz .LBB49_44
	s_branch .LBB49_45
.LBB49_68:
	s_or_b64 exec, exec, s[8:9]
.LBB49_69:
	s_or_b64 exec, exec, s[2:3]
	ds_bpermute_b32 v2, v102, v74
	ds_bpermute_b32 v3, v102, v75
	;; [unrolled: 1-line block ×6, first 2 shown]
	s_waitcnt lgkmcnt(4)
	v_pk_add_f32 v[2:3], v[74:75], v[2:3]
	ds_bpermute_b32 v6, v101, v2
	s_waitcnt lgkmcnt(3)
	v_pk_add_f32 v[4:5], v[72:73], v[4:5]
	ds_bpermute_b32 v7, v101, v3
	ds_bpermute_b32 v10, v101, v4
	;; [unrolled: 1-line block ×3, first 2 shown]
	s_waitcnt lgkmcnt(4)
	v_pk_add_f32 v[8:9], v[70:71], v[8:9]
	ds_bpermute_b32 v14, v101, v8
	s_waitcnt lgkmcnt(3)
	v_pk_add_f32 v[2:3], v[2:3], v[6:7]
	ds_bpermute_b32 v6, v103, v2
	;; [unrolled: 3-line block ×3, first 2 shown]
	ds_bpermute_b32 v12, v103, v10
	ds_bpermute_b32 v13, v103, v11
	;; [unrolled: 1-line block ×4, first 2 shown]
	s_waitcnt lgkmcnt(4)
	v_pk_add_f32 v[4:5], v[2:3], v[6:7]
	ds_bpermute_b32 v19, v102, v65
	s_waitcnt lgkmcnt(3)
	v_pk_add_f32 v[2:3], v[10:11], v[12:13]
	ds_bpermute_b32 v12, v102, v66
	ds_bpermute_b32 v13, v102, v67
	s_waitcnt lgkmcnt(4)
	v_pk_add_f32 v[6:7], v[8:9], v[14:15]
	ds_bpermute_b32 v8, v102, v68
	ds_bpermute_b32 v9, v102, v69
	;; [unrolled: 1-line block ×3, first 2 shown]
	s_waitcnt lgkmcnt(3)
	v_pk_add_f32 v[12:13], v[66:67], v[12:13]
	ds_bpermute_b32 v16, v101, v12
	ds_bpermute_b32 v17, v101, v13
	s_waitcnt lgkmcnt(3)
	v_pk_add_f32 v[8:9], v[68:69], v[8:9]
	ds_bpermute_b32 v14, v101, v8
	ds_bpermute_b32 v15, v101, v9
	;; [unrolled: 1-line block ×3, first 2 shown]
	s_waitcnt lgkmcnt(3)
	v_pk_add_f32 v[16:17], v[12:13], v[16:17]
	v_pk_add_f32 v[12:13], v[64:65], v[18:19]
	ds_bpermute_b32 v18, v101, v12
	s_waitcnt lgkmcnt(2)
	v_pk_add_f32 v[8:9], v[8:9], v[14:15]
	ds_bpermute_b32 v19, v101, v13
	s_waitcnt lgkmcnt(2)
	v_pk_add_f32 v[22:23], v[62:63], v[22:23]
	ds_bpermute_b32 v10, v103, v6
	ds_bpermute_b32 v11, v103, v7
	;; [unrolled: 1-line block ×8, first 2 shown]
	s_waitcnt lgkmcnt(8)
	v_pk_add_f32 v[18:19], v[12:13], v[18:19]
	ds_bpermute_b32 v24, v103, v18
	ds_bpermute_b32 v25, v103, v19
	s_waitcnt lgkmcnt(8)
	v_pk_add_f32 v[12:13], v[6:7], v[10:11]
	s_waitcnt lgkmcnt(6)
	v_pk_add_f32 v[10:11], v[8:9], v[14:15]
	;; [unrolled: 2-line block ×4, first 2 shown]
	ds_bpermute_b32 v16, v103, v14
	ds_bpermute_b32 v17, v103, v15
	v_and_b32_e32 v1, 0x3c7, v0
	s_waitcnt lgkmcnt(2)
	v_pk_add_f32 v[6:7], v[18:19], v[24:25]
	v_cmp_ne_u32_e32 vcc, 64, v1
	s_waitcnt lgkmcnt(0)
	s_barrier
	s_and_saveexec_b64 s[0:1], vcc
	s_xor_b64 s[0:1], exec, s[0:1]
; %bb.70:
                                        ; implicit-def: $vgpr100
; %bb.71:
	s_or_saveexec_b64 s[0:1], s[0:1]
	v_pk_add_f32 v[14:15], v[14:15], v[16:17]
	s_xor_b64 exec, exec, s[0:1]
	s_cbranch_execz .LBB49_73
; %bb.72:
	v_lshrrev_b32_e32 v16, 1, v100
	v_add_u32_e32 v16, 0x1d0, v16
	ds_write2_b32 v16, v4, v5 offset1:8
	ds_write2_b32 v16, v2, v3 offset0:16 offset1:24
	ds_write2_b32 v16, v12, v13 offset0:32 offset1:40
	;; [unrolled: 1-line block ×6, first 2 shown]
.LBB49_73:
	s_or_b64 exec, exec, s[0:1]
	v_cmp_gt_u32_e32 vcc, 64, v0
	s_waitcnt lgkmcnt(0)
	s_barrier
	s_and_saveexec_b64 s[0:1], vcc
	s_cbranch_execz .LBB49_90
; %bb.74:
	v_cmp_eq_u32_e32 vcc, 0, v104
	v_lshrrev_b32_e32 v16, 3, v0
	s_and_saveexec_b64 s[2:3], vcc
	s_cbranch_execnz .LBB49_93
; %bb.75:
	s_or_b64 exec, exec, s[2:3]
	s_and_saveexec_b64 s[2:3], vcc
	s_cbranch_execnz .LBB49_94
.LBB49_76:
	s_or_b64 exec, exec, s[2:3]
	s_and_saveexec_b64 s[2:3], vcc
	s_cbranch_execnz .LBB49_95
.LBB49_77:
	s_or_b64 exec, exec, s[2:3]
	s_and_saveexec_b64 s[2:3], vcc
	s_cbranch_execnz .LBB49_96
.LBB49_78:
	s_or_b64 exec, exec, s[2:3]
	s_and_saveexec_b64 s[2:3], vcc
	s_cbranch_execnz .LBB49_97
.LBB49_79:
	s_or_b64 exec, exec, s[2:3]
	s_and_saveexec_b64 s[2:3], vcc
	s_cbranch_execnz .LBB49_98
.LBB49_80:
	s_or_b64 exec, exec, s[2:3]
	s_and_saveexec_b64 s[2:3], vcc
	s_cbranch_execnz .LBB49_99
.LBB49_81:
	s_or_b64 exec, exec, s[2:3]
	s_and_saveexec_b64 s[2:3], vcc
	s_cbranch_execnz .LBB49_100
.LBB49_82:
	s_or_b64 exec, exec, s[2:3]
	s_and_saveexec_b64 s[2:3], vcc
	s_cbranch_execnz .LBB49_101
.LBB49_83:
	s_or_b64 exec, exec, s[2:3]
	s_and_saveexec_b64 s[2:3], vcc
	s_cbranch_execnz .LBB49_102
.LBB49_84:
	s_or_b64 exec, exec, s[2:3]
	s_and_saveexec_b64 s[2:3], vcc
	s_cbranch_execnz .LBB49_103
.LBB49_85:
	s_or_b64 exec, exec, s[2:3]
	s_and_saveexec_b64 s[2:3], vcc
	s_cbranch_execnz .LBB49_104
.LBB49_86:
	s_or_b64 exec, exec, s[2:3]
	s_and_saveexec_b64 s[2:3], vcc
	s_cbranch_execnz .LBB49_105
.LBB49_87:
	s_or_b64 exec, exec, s[2:3]
	s_and_saveexec_b64 s[2:3], vcc
	s_cbranch_execz .LBB49_89
.LBB49_88:
	v_mov_b32_e32 v17, 0x1d0
	v_lshl_add_u32 v16, v16, 2, v17
	ds_read_b32 v16, v16 offset:416
	s_waitcnt lgkmcnt(0)
	v_add_f32_e32 v15, v15, v16
.LBB49_89:
	s_or_b64 exec, exec, s[2:3]
.LBB49_90:
	s_or_b64 exec, exec, s[0:1]
	v_cmp_eq_u32_e32 vcc, 0, v1
	s_barrier
	s_and_saveexec_b64 s[0:1], vcc
	s_cbranch_execz .LBB49_92
; %bb.91:
	s_mul_i32 s0, s10, s11
	s_mul_i32 s0, s0, s5
	s_mulk_i32 s0, 0x70
	s_ashr_i32 s1, s0, 31
	s_lshl_b64 s[0:1], s[0:1], 2
	s_add_u32 s2, s18, s0
	s_mul_i32 s0, s11, s16
	s_addc_u32 s3, s19, s1
	s_ashr_i32 s1, s0, 31
	s_lshl_b64 s[0:1], s[0:1], 2
	s_add_u32 s2, s2, s0
	s_mul_i32 s0, s4, 0x70
	s_addc_u32 s3, s3, s1
	s_ashr_i32 s1, s0, 31
	s_lshl_b64 s[0:1], s[0:1], 2
	s_add_u32 s0, s2, s0
	s_addc_u32 s1, s3, s1
	v_lshrrev_b32_e32 v0, 1, v0
	global_store_dword v0, v4, s[0:1]
	global_store_dword v0, v5, s[0:1] offset:32
	global_store_dword v0, v2, s[0:1] offset:64
	;; [unrolled: 1-line block ×13, first 2 shown]
.LBB49_92:
	s_endpgm
.LBB49_93:
	v_mov_b32_e32 v17, 0x1d0
	v_lshl_add_u32 v17, v16, 2, v17
	ds_read_b32 v17, v17
	s_waitcnt lgkmcnt(0)
	v_add_f32_e32 v4, v4, v17
	s_or_b64 exec, exec, s[2:3]
	s_and_saveexec_b64 s[2:3], vcc
	s_cbranch_execz .LBB49_76
.LBB49_94:
	v_mov_b32_e32 v17, 0x1d0
	v_lshl_add_u32 v17, v16, 2, v17
	ds_read_b32 v17, v17 offset:32
	s_waitcnt lgkmcnt(0)
	v_add_f32_e32 v5, v5, v17
	s_or_b64 exec, exec, s[2:3]
	s_and_saveexec_b64 s[2:3], vcc
	s_cbranch_execz .LBB49_77
.LBB49_95:
	v_mov_b32_e32 v17, 0x1d0
	v_lshl_add_u32 v17, v16, 2, v17
	ds_read_b32 v17, v17 offset:64
	s_waitcnt lgkmcnt(0)
	v_add_f32_e32 v2, v2, v17
	s_or_b64 exec, exec, s[2:3]
	s_and_saveexec_b64 s[2:3], vcc
	s_cbranch_execz .LBB49_78
.LBB49_96:
	v_mov_b32_e32 v17, 0x1d0
	v_lshl_add_u32 v17, v16, 2, v17
	ds_read_b32 v17, v17 offset:96
	s_waitcnt lgkmcnt(0)
	v_add_f32_e32 v3, v3, v17
	s_or_b64 exec, exec, s[2:3]
	s_and_saveexec_b64 s[2:3], vcc
	s_cbranch_execz .LBB49_79
.LBB49_97:
	v_mov_b32_e32 v17, 0x1d0
	v_lshl_add_u32 v17, v16, 2, v17
	ds_read_b32 v17, v17 offset:128
	s_waitcnt lgkmcnt(0)
	v_add_f32_e32 v12, v12, v17
	s_or_b64 exec, exec, s[2:3]
	s_and_saveexec_b64 s[2:3], vcc
	s_cbranch_execz .LBB49_80
.LBB49_98:
	v_mov_b32_e32 v17, 0x1d0
	v_lshl_add_u32 v17, v16, 2, v17
	ds_read_b32 v17, v17 offset:160
	s_waitcnt lgkmcnt(0)
	v_add_f32_e32 v13, v13, v17
	s_or_b64 exec, exec, s[2:3]
	s_and_saveexec_b64 s[2:3], vcc
	s_cbranch_execz .LBB49_81
.LBB49_99:
	v_mov_b32_e32 v17, 0x1d0
	v_lshl_add_u32 v17, v16, 2, v17
	ds_read_b32 v17, v17 offset:192
	s_waitcnt lgkmcnt(0)
	v_add_f32_e32 v10, v10, v17
	s_or_b64 exec, exec, s[2:3]
	s_and_saveexec_b64 s[2:3], vcc
	s_cbranch_execz .LBB49_82
.LBB49_100:
	v_mov_b32_e32 v17, 0x1d0
	v_lshl_add_u32 v17, v16, 2, v17
	ds_read_b32 v17, v17 offset:224
	s_waitcnt lgkmcnt(0)
	v_add_f32_e32 v11, v11, v17
	s_or_b64 exec, exec, s[2:3]
	s_and_saveexec_b64 s[2:3], vcc
	s_cbranch_execz .LBB49_83
.LBB49_101:
	v_mov_b32_e32 v17, 0x1d0
	v_lshl_add_u32 v17, v16, 2, v17
	ds_read_b32 v17, v17 offset:256
	s_waitcnt lgkmcnt(0)
	v_add_f32_e32 v8, v8, v17
	s_or_b64 exec, exec, s[2:3]
	s_and_saveexec_b64 s[2:3], vcc
	s_cbranch_execz .LBB49_84
.LBB49_102:
	v_mov_b32_e32 v17, 0x1d0
	v_lshl_add_u32 v17, v16, 2, v17
	ds_read_b32 v17, v17 offset:288
	s_waitcnt lgkmcnt(0)
	v_add_f32_e32 v9, v9, v17
	s_or_b64 exec, exec, s[2:3]
	s_and_saveexec_b64 s[2:3], vcc
	s_cbranch_execz .LBB49_85
.LBB49_103:
	v_mov_b32_e32 v17, 0x1d0
	v_lshl_add_u32 v17, v16, 2, v17
	ds_read_b32 v17, v17 offset:320
	s_waitcnt lgkmcnt(0)
	v_add_f32_e32 v6, v6, v17
	s_or_b64 exec, exec, s[2:3]
	s_and_saveexec_b64 s[2:3], vcc
	s_cbranch_execz .LBB49_86
.LBB49_104:
	v_mov_b32_e32 v17, 0x1d0
	v_lshl_add_u32 v17, v16, 2, v17
	ds_read_b32 v17, v17 offset:352
	s_waitcnt lgkmcnt(0)
	v_add_f32_e32 v7, v7, v17
	s_or_b64 exec, exec, s[2:3]
	s_and_saveexec_b64 s[2:3], vcc
	s_cbranch_execz .LBB49_87
.LBB49_105:
	v_mov_b32_e32 v17, 0x1d0
	v_lshl_add_u32 v17, v16, 2, v17
	ds_read_b32 v17, v17 offset:384
	s_waitcnt lgkmcnt(0)
	v_add_f32_e32 v14, v14, v17
	s_or_b64 exec, exec, s[2:3]
	s_and_saveexec_b64 s[2:3], vcc
	s_cbranch_execnz .LBB49_88
	s_branch .LBB49_89
	.section	.rodata,"a",@progbits
	.p2align	6, 0x0
	.amdhsa_kernel _ZN4vllm25paged_attention_v1_kernelIffLi112ELi32ELi128ELNS_18Fp8KVCacheDataTypeE0ELb0EEEvPT_PKS2_PKT0_S8_ifPKiSA_iPKfiiiSC_SC_iiiii
		.amdhsa_group_segment_fixed_size 464
		.amdhsa_private_segment_fixed_size 0
		.amdhsa_kernarg_size 384
		.amdhsa_user_sgpr_count 2
		.amdhsa_user_sgpr_dispatch_ptr 0
		.amdhsa_user_sgpr_queue_ptr 0
		.amdhsa_user_sgpr_kernarg_segment_ptr 1
		.amdhsa_user_sgpr_dispatch_id 0
		.amdhsa_user_sgpr_kernarg_preload_length 0
		.amdhsa_user_sgpr_kernarg_preload_offset 0
		.amdhsa_user_sgpr_private_segment_size 0
		.amdhsa_uses_dynamic_stack 0
		.amdhsa_enable_private_segment 0
		.amdhsa_system_sgpr_workgroup_id_x 1
		.amdhsa_system_sgpr_workgroup_id_y 1
		.amdhsa_system_sgpr_workgroup_id_z 1
		.amdhsa_system_sgpr_workgroup_info 0
		.amdhsa_system_vgpr_workitem_id 0
		.amdhsa_next_free_vgpr 110
		.amdhsa_next_free_sgpr 37
		.amdhsa_accum_offset 112
		.amdhsa_reserve_vcc 1
		.amdhsa_float_round_mode_32 0
		.amdhsa_float_round_mode_16_64 0
		.amdhsa_float_denorm_mode_32 3
		.amdhsa_float_denorm_mode_16_64 3
		.amdhsa_dx10_clamp 1
		.amdhsa_ieee_mode 1
		.amdhsa_fp16_overflow 0
		.amdhsa_tg_split 0
		.amdhsa_exception_fp_ieee_invalid_op 0
		.amdhsa_exception_fp_denorm_src 0
		.amdhsa_exception_fp_ieee_div_zero 0
		.amdhsa_exception_fp_ieee_overflow 0
		.amdhsa_exception_fp_ieee_underflow 0
		.amdhsa_exception_fp_ieee_inexact 0
		.amdhsa_exception_int_div_zero 0
	.end_amdhsa_kernel
	.section	.text._ZN4vllm25paged_attention_v1_kernelIffLi112ELi32ELi128ELNS_18Fp8KVCacheDataTypeE0ELb0EEEvPT_PKS2_PKT0_S8_ifPKiSA_iPKfiiiSC_SC_iiiii,"axG",@progbits,_ZN4vllm25paged_attention_v1_kernelIffLi112ELi32ELi128ELNS_18Fp8KVCacheDataTypeE0ELb0EEEvPT_PKS2_PKT0_S8_ifPKiSA_iPKfiiiSC_SC_iiiii,comdat
.Lfunc_end49:
	.size	_ZN4vllm25paged_attention_v1_kernelIffLi112ELi32ELi128ELNS_18Fp8KVCacheDataTypeE0ELb0EEEvPT_PKS2_PKT0_S8_ifPKiSA_iPKfiiiSC_SC_iiiii, .Lfunc_end49-_ZN4vllm25paged_attention_v1_kernelIffLi112ELi32ELi128ELNS_18Fp8KVCacheDataTypeE0ELb0EEEvPT_PKS2_PKT0_S8_ifPKiSA_iPKfiiiSC_SC_iiiii
                                        ; -- End function
	.section	.AMDGPU.csdata,"",@progbits
; Kernel info:
; codeLenInByte = 7164
; NumSgprs: 43
; NumVgprs: 110
; NumAgprs: 0
; TotalNumVgprs: 110
; ScratchSize: 0
; MemoryBound: 0
; FloatMode: 240
; IeeeMode: 1
; LDSByteSize: 464 bytes/workgroup (compile time only)
; SGPRBlocks: 5
; VGPRBlocks: 13
; NumSGPRsForWavesPerEU: 43
; NumVGPRsForWavesPerEU: 110
; AccumOffset: 112
; Occupancy: 4
; WaveLimiterHint : 1
; COMPUTE_PGM_RSRC2:SCRATCH_EN: 0
; COMPUTE_PGM_RSRC2:USER_SGPR: 2
; COMPUTE_PGM_RSRC2:TRAP_HANDLER: 0
; COMPUTE_PGM_RSRC2:TGID_X_EN: 1
; COMPUTE_PGM_RSRC2:TGID_Y_EN: 1
; COMPUTE_PGM_RSRC2:TGID_Z_EN: 1
; COMPUTE_PGM_RSRC2:TIDIG_COMP_CNT: 0
; COMPUTE_PGM_RSRC3_GFX90A:ACCUM_OFFSET: 27
; COMPUTE_PGM_RSRC3_GFX90A:TG_SPLIT: 0
	.section	.text._ZN4vllm25paged_attention_v1_kernelIffLi120ELi32ELi128ELNS_18Fp8KVCacheDataTypeE0ELb0EEEvPT_PKS2_PKT0_S8_ifPKiSA_iPKfiiiSC_SC_iiiii,"axG",@progbits,_ZN4vllm25paged_attention_v1_kernelIffLi120ELi32ELi128ELNS_18Fp8KVCacheDataTypeE0ELb0EEEvPT_PKS2_PKT0_S8_ifPKiSA_iPKfiiiSC_SC_iiiii,comdat
	.protected	_ZN4vllm25paged_attention_v1_kernelIffLi120ELi32ELi128ELNS_18Fp8KVCacheDataTypeE0ELb0EEEvPT_PKS2_PKT0_S8_ifPKiSA_iPKfiiiSC_SC_iiiii ; -- Begin function _ZN4vllm25paged_attention_v1_kernelIffLi120ELi32ELi128ELNS_18Fp8KVCacheDataTypeE0ELb0EEEvPT_PKS2_PKT0_S8_ifPKiSA_iPKfiiiSC_SC_iiiii
	.globl	_ZN4vllm25paged_attention_v1_kernelIffLi120ELi32ELi128ELNS_18Fp8KVCacheDataTypeE0ELb0EEEvPT_PKS2_PKT0_S8_ifPKiSA_iPKfiiiSC_SC_iiiii
	.p2align	8
	.type	_ZN4vllm25paged_attention_v1_kernelIffLi120ELi32ELi128ELNS_18Fp8KVCacheDataTypeE0ELb0EEEvPT_PKS2_PKT0_S8_ifPKiSA_iPKfiiiSC_SC_iiiii,@function
_ZN4vllm25paged_attention_v1_kernelIffLi120ELi32ELi128ELNS_18Fp8KVCacheDataTypeE0ELb0EEEvPT_PKS2_PKT0_S8_ifPKiSA_iPKfiiiSC_SC_iiiii: ; @_ZN4vllm25paged_attention_v1_kernelIffLi120ELi32ELi128ELNS_18Fp8KVCacheDataTypeE0ELb0EEEvPT_PKS2_PKT0_S8_ifPKiSA_iPKfiiiSC_SC_iiiii
; %bb.0:
	s_load_dword s5, s[0:1], 0x80
	s_load_dwordx2 s[6:7], s[0:1], 0x30
	s_load_dwordx2 s[28:29], s[0:1], 0x20
	s_mov_b32 s16, s3
	s_ashr_i32 s17, s3, 31
	s_lshl_b64 s[8:9], s[16:17], 2
	s_waitcnt lgkmcnt(0)
	s_add_u32 s6, s6, s8
	s_addc_u32 s7, s7, s9
	s_abs_i32 s3, s28
	v_cvt_f32_u32_e32 v1, s3
	s_sub_i32 s10, 0, s3
	s_abs_i32 s9, s5
	s_xor_b32 s8, s5, s28
	v_rcp_iflag_f32_e32 v1, v1
	s_ashr_i32 s8, s8, 31
	s_mov_b32 s28, 0
	v_mul_f32_e32 v1, 0x4f7ffffe, v1
	v_cvt_u32_f32_e32 v1, v1
	s_nop 0
	v_readfirstlane_b32 s11, v1
	s_mul_i32 s10, s10, s11
	s_mul_hi_u32 s10, s11, s10
	s_add_i32 s11, s11, s10
	s_mul_hi_u32 s10, s9, s11
	s_mul_i32 s11, s10, s3
	s_sub_i32 s9, s9, s11
	s_add_i32 s11, s10, 1
	s_sub_i32 s12, s9, s3
	s_cmp_ge_u32 s9, s3
	s_cselect_b32 s10, s11, s10
	s_cselect_b32 s9, s12, s9
	s_add_i32 s11, s10, 1
	s_cmp_ge_u32 s9, s3
	s_cselect_b32 s3, s11, s10
	s_xor_b32 s3, s3, s8
	s_sub_i32 s12, s3, s8
	s_abs_i32 s10, s12
	v_cvt_f32_u32_e32 v1, s10
	s_load_dwordx2 s[8:9], s[0:1], 0x40
	s_sub_i32 s3, 0, s10
	s_abs_i32 s11, s2
	v_rcp_iflag_f32_e32 v1, v1
	s_nop 0
	v_mul_f32_e32 v1, 0x4f7ffffe, v1
	v_cvt_u32_f32_e32 v1, v1
	s_nop 0
	v_readfirstlane_b32 s13, v1
	s_mul_i32 s3, s3, s13
	s_mul_hi_u32 s3, s13, s3
	s_add_i32 s13, s13, s3
	s_waitcnt lgkmcnt(0)
	s_cmp_eq_u64 s[8:9], 0
	s_mul_hi_u32 s20, s11, s13
	s_cbranch_scc1 .LBB50_2
; %bb.1:
	s_ashr_i32 s3, s2, 31
	s_lshl_b64 s[14:15], s[2:3], 2
	s_add_u32 s8, s8, s14
	s_addc_u32 s9, s9, s15
	s_load_dword s28, s[8:9], 0x0
.LBB50_2:
	s_load_dword s17, s[6:7], 0x0
	s_ashr_i32 s7, s12, 31
	s_load_dwordx4 s[12:15], s[0:1], 0x48
	s_ashr_i32 s6, s2, 31
	v_and_b32_e32 v42, 1, v0
	s_mul_i32 s18, s2, 0x78
	v_cmp_gt_u32_e32 vcc, 60, v0
	v_lshlrev_b32_e32 v2, 3, v0
	v_lshlrev_b32_e32 v80, 2, v0
	s_and_saveexec_b64 s[2:3], vcc
	s_cbranch_execz .LBB50_4
; %bb.3:
	s_load_dwordx2 s[8:9], s[0:1], 0x8
	s_waitcnt lgkmcnt(0)
	s_mul_i32 s22, s16, s12
	s_ashr_i32 s23, s22, 31
	s_lshl_b64 s[22:23], s[22:23], 2
	v_and_b32_e32 v1, 0xff8, v80
	s_add_u32 s12, s8, s22
	s_addc_u32 s15, s9, s23
	s_ashr_i32 s19, s18, 31
	s_lshl_b64 s[8:9], s[18:19], 2
	s_add_u32 s8, s12, s8
	s_addc_u32 s9, s15, s9
	global_load_dwordx2 v[4:5], v2, s[8:9]
	s_movk_i32 s8, 0xf0
	v_mad_u32_u24 v1, v42, s8, v1
	s_waitcnt vmcnt(0)
	ds_write_b64 v1, v[4:5]
.LBB50_4:
	s_or_b64 exec, exec, s[2:3]
	s_waitcnt lgkmcnt(0)
	s_add_i32 s3, s17, 31
	s_ashr_i32 s8, s3, 31
	s_lshr_b32 s8, s8, 27
	s_add_i32 s3, s3, s8
	s_ashr_i32 s19, s3, 5
	s_xor_b32 s3, s6, s7
	s_mul_i32 s6, s20, s10
	s_sub_i32 s6, s11, s6
	s_add_i32 s7, s20, 1
	s_sub_i32 s8, s6, s10
	s_load_dwordx2 s[22:23], s[0:1], 0x28
	s_load_dword s2, s[0:1], 0x38
	s_cmp_ge_u32 s6, s10
	s_cselect_b32 s7, s7, s20
	s_cselect_b32 s6, s8, s6
	s_add_i32 s8, s7, 1
	s_cmp_ge_u32 s6, s10
	s_cselect_b32 s6, s8, s7
	v_lshrrev_b32_e32 v1, 6, v0
	s_xor_b32 s6, s6, s3
	s_waitcnt lgkmcnt(0)
	s_mul_i32 s24, s16, s2
	s_sub_i32 s8, s6, s3
	s_ashr_i32 s25, s24, 31
	v_cmp_gt_i32_e64 s[6:7], s19, v1
	v_cmp_le_i32_e32 vcc, s19, v1
	v_mbcnt_lo_u32_b32 v43, -1, 0
	s_barrier
	s_waitcnt lgkmcnt(0)
                                        ; implicit-def: $sgpr9
                                        ; implicit-def: $vgpr72
                                        ; implicit-def: $vgpr73
	s_and_saveexec_b64 s[2:3], vcc
	s_xor_b64 s[2:3], exec, s[2:3]
; %bb.5:
	v_mbcnt_hi_u32_b32 v72, -1, v43
	v_and_b32_e32 v2, 64, v72
	v_add_u32_e32 v73, 64, v2
	s_mov_b32 s9, 0xff7fffff
                                        ; implicit-def: $vgpr2
                                        ; implicit-def: $vgpr42
                                        ; implicit-def: $vgpr43
; %bb.6:
	s_or_saveexec_b64 s[30:31], s[2:3]
	s_load_dwordx2 s[20:21], s[0:1], 0x0
	s_load_dwordx2 s[26:27], s[0:1], 0x18
	s_load_dword s12, s[0:1], 0x88
	v_mov_b32_e32 v74, s9
	s_mul_i32 s14, s8, s14
	v_lshrrev_b32_e32 v82, 4, v0
	s_xor_b64 exec, exec, s[30:31]
	s_cbranch_execz .LBB50_12
; %bb.7:
	s_load_dwordx2 s[0:1], s[0:1], 0x10
	s_ashr_i32 s15, s14, 31
	s_lshl_b64 s[2:3], s[14:15], 2
	v_bfe_u32 v46, v0, 1, 5
	v_lshlrev_b32_e32 v44, 4, v46
	s_waitcnt lgkmcnt(0)
	s_add_u32 s0, s0, s2
	s_addc_u32 s1, s1, s3
	v_mov_b32_e32 v45, 0
	v_lshl_add_u64 v[4:5], s[0:1], 0, v[44:45]
	v_and_b32_e32 v44, 8, v2
	v_mul_u32_u24_e32 v58, 0xf0, v42
	v_lshl_add_u64 v[62:63], v[4:5], 0, v[44:45]
	ds_read_b128 v[2:5], v58
	ds_read_b128 v[6:9], v58 offset:16
	ds_read_b128 v[10:13], v58 offset:32
	;; [unrolled: 1-line block ×9, first 2 shown]
	v_mbcnt_hi_u32_b32 v72, -1, v43
	v_and_b32_e32 v44, 64, v72
	v_xor_b32_e32 v43, 1, v72
	v_add_u32_e32 v73, 64, v44
	s_sub_i32 s15, 1, s17
	s_lshl_b64 s[0:1], s[24:25], 2
	v_lshlrev_b32_e32 v47, 2, v46
	v_cmp_lt_i32_e32 vcc, v43, v73
	s_add_u32 s0, s22, s0
	v_and_b32_e32 v44, 60, v82
	v_cndmask_b32_e32 v43, v72, v43, vcc
	v_cmp_eq_u32_e32 vcc, 0, v42
	v_lshl_or_b32 v42, v1, 7, v47
	s_addc_u32 s1, s23, s1
	v_lshlrev_b32_e32 v75, 2, v43
	v_lshl_or_b32 v76, v1, 5, v46
	v_add_u32_e32 v77, 0x1f0, v42
	v_lshl_add_u64 v[64:65], s[0:1], 0, v[44:45]
	ds_read_b128 v[42:45], v58 offset:160
	ds_read_b128 v[46:49], v58 offset:176
	;; [unrolled: 1-line block ×5, first 2 shown]
	s_mov_b32 s33, s13
	v_cmp_neq_f32_e64 s[2:3], s28, 0
	s_mov_b64 s[34:35], 0
	v_mov_b32_e32 v74, 0xff7fffff
	s_movk_i32 s36, 0x1000
	s_movk_i32 s37, 0x2000
	;; [unrolled: 1-line block ×3, first 2 shown]
	v_mov_b32_e32 v78, v1
	s_branch .LBB50_9
.LBB50_8:                               ;   in Loop: Header=BB50_9 Depth=1
	s_or_b64 exec, exec, s[8:9]
	v_add_u32_e32 v78, 2, v78
	v_cmp_le_i32_e64 s[0:1], s19, v78
	v_add_u32_e32 v76, 64, v76
	v_add_u32_e32 v77, 0x100, v77
	s_or_b64 s[34:35], s[0:1], s[34:35]
	v_lshl_add_u64 v[64:65], v[64:65], 0, 8
	s_andn2_b64 exec, exec, s[34:35]
	s_cbranch_execz .LBB50_11
.LBB50_9:                               ; =>This Inner Loop Header: Depth=1
	global_load_dword v66, v[64:65], off
	s_waitcnt vmcnt(0) lgkmcnt(0)
	v_mad_i64_i32 v[66:67], s[0:1], v66, s33, 0
	v_lshl_add_u64 v[84:85], v[66:67], 2, v[62:63]
	global_load_dwordx2 v[86:87], v[84:85], off offset:512
	global_load_dwordx2 v[88:89], v[84:85], off
	global_load_dwordx2 v[90:91], v[84:85], off offset:1024
	global_load_dwordx2 v[92:93], v[84:85], off offset:1536
	;; [unrolled: 1-line block ×3, first 2 shown]
	v_add_co_u32_e64 v70, s[0:1], s36, v84
	v_add_co_u32_e64 v68, s[8:9], s37, v84
	;; [unrolled: 1-line block ×3, first 2 shown]
	v_addc_co_u32_e64 v71, s[0:1], 0, v85, s[0:1]
	v_addc_co_u32_e64 v69, s[0:1], 0, v85, s[8:9]
	;; [unrolled: 1-line block ×3, first 2 shown]
	s_waitcnt vmcnt(4) lgkmcnt(14)
	v_mul_f32_e32 v79, v4, v86
	v_mul_f32_e32 v81, v5, v87
	global_load_dwordx2 v[86:87], v[84:85], off offset:2560
	s_waitcnt vmcnt(4)
	v_fmac_f32_e32 v79, v2, v88
	v_fmac_f32_e32 v81, v3, v89
	global_load_dwordx2 v[88:89], v[84:85], off offset:3072
	s_waitcnt vmcnt(4) lgkmcnt(13)
	v_fmac_f32_e32 v79, v6, v90
	global_load_dwordx2 v[84:85], v[84:85], off offset:3584
	v_fmac_f32_e32 v81, v7, v91
	global_load_dwordx2 v[90:91], v[68:69], off offset:-4096
	s_waitcnt vmcnt(5)
	v_fmac_f32_e32 v79, v8, v92
	v_fmac_f32_e32 v81, v9, v93
	global_load_dwordx2 v[92:93], v[70:71], off offset:512
	s_waitcnt vmcnt(5) lgkmcnt(12)
	v_fmac_f32_e32 v79, v10, v94
	v_fmac_f32_e32 v81, v11, v95
	global_load_dwordx2 v[94:95], v[70:71], off offset:1024
	s_waitcnt vmcnt(5)
	v_fmac_f32_e32 v79, v12, v86
	v_fmac_f32_e32 v81, v13, v87
	global_load_dwordx2 v[86:87], v[70:71], off offset:1536
	s_waitcnt vmcnt(5) lgkmcnt(11)
	v_fmac_f32_e32 v79, v14, v88
	v_fmac_f32_e32 v81, v15, v89
	global_load_dwordx2 v[88:89], v[70:71], off offset:2048
	;; [unrolled: 8-line block ×3, first 2 shown]
	s_nop 0
	global_load_dwordx2 v[70:71], v[70:71], off offset:3584
	s_waitcnt vmcnt(6)
	v_fmac_f32_e32 v79, v20, v92
	v_fmac_f32_e32 v81, v21, v93
	global_load_dwordx2 v[92:93], v[68:69], off
	s_waitcnt vmcnt(6) lgkmcnt(9)
	v_fmac_f32_e32 v79, v22, v94
	v_fmac_f32_e32 v81, v23, v95
	global_load_dwordx2 v[94:95], v[68:69], off offset:512
	s_waitcnt vmcnt(6)
	v_fmac_f32_e32 v79, v24, v86
	v_fmac_f32_e32 v81, v25, v87
	global_load_dwordx2 v[86:87], v[68:69], off offset:1024
	s_waitcnt vmcnt(6) lgkmcnt(8)
	v_fmac_f32_e32 v79, v26, v88
	v_fmac_f32_e32 v81, v27, v89
	global_load_dwordx2 v[88:89], v[68:69], off offset:1536
	s_waitcnt vmcnt(6)
	v_fmac_f32_e32 v79, v28, v84
	v_fmac_f32_e32 v81, v29, v85
	global_load_dwordx2 v[84:85], v[68:69], off offset:2048
	s_waitcnt vmcnt(6) lgkmcnt(7)
	v_fmac_f32_e32 v79, v30, v90
	v_fmac_f32_e32 v81, v31, v91
	s_waitcnt vmcnt(5)
	v_fmac_f32_e32 v79, v32, v70
	v_fmac_f32_e32 v81, v33, v71
	global_load_dwordx2 v[70:71], v[68:69], off offset:2560
	global_load_dwordx2 v[90:91], v[66:67], off
	s_waitcnt vmcnt(6) lgkmcnt(6)
	v_fmac_f32_e32 v79, v34, v92
	v_fmac_f32_e32 v81, v35, v93
	global_load_dwordx2 v[92:93], v[68:69], off offset:3072
	s_nop 0
	global_load_dwordx2 v[68:69], v[68:69], off offset:3584
	s_waitcnt vmcnt(7)
	v_fmac_f32_e32 v79, v36, v94
	v_fmac_f32_e32 v81, v37, v95
	global_load_dwordx2 v[94:95], v[66:67], off offset:512
	s_waitcnt vmcnt(7) lgkmcnt(5)
	v_fmac_f32_e32 v79, v38, v86
	v_fmac_f32_e32 v81, v39, v87
	global_load_dwordx2 v[86:87], v[66:67], off offset:1024
	s_waitcnt vmcnt(7)
	v_fmac_f32_e32 v79, v40, v88
	v_fmac_f32_e32 v81, v41, v89
	global_load_dwordx2 v[88:89], v[66:67], off offset:1536
	s_waitcnt vmcnt(7) lgkmcnt(4)
	v_fmac_f32_e32 v79, v42, v84
	v_fmac_f32_e32 v81, v43, v85
	global_load_dwordx2 v[84:85], v[66:67], off offset:2048
	s_nop 0
	global_load_dwordx2 v[66:67], v[66:67], off offset:2560
	s_waitcnt vmcnt(8)
	v_fmac_f32_e32 v79, v44, v70
	v_fmac_f32_e32 v81, v45, v71
	s_waitcnt vmcnt(6) lgkmcnt(3)
	v_fmac_f32_e32 v79, v46, v92
	v_fmac_f32_e32 v81, v47, v93
	s_waitcnt vmcnt(5)
	v_fmac_f32_e32 v79, v48, v68
	v_fmac_f32_e32 v81, v49, v69
	s_waitcnt lgkmcnt(2)
	v_fmac_f32_e32 v79, v50, v90
	v_fmac_f32_e32 v81, v51, v91
	s_waitcnt vmcnt(4)
	v_fmac_f32_e32 v79, v52, v94
	v_fmac_f32_e32 v81, v53, v95
	s_waitcnt vmcnt(3) lgkmcnt(1)
	v_fmac_f32_e32 v79, v54, v86
	v_fmac_f32_e32 v81, v55, v87
	s_waitcnt vmcnt(2)
	v_fmac_f32_e32 v79, v56, v88
	v_fmac_f32_e32 v81, v57, v89
	s_waitcnt vmcnt(1) lgkmcnt(0)
	v_fmac_f32_e32 v79, v58, v84
	v_fmac_f32_e32 v81, v59, v85
	s_waitcnt vmcnt(0)
	v_fmac_f32_e32 v79, v60, v66
	v_fmac_f32_e32 v81, v61, v67
	v_add_f32_e32 v66, v79, v81
	ds_bpermute_b32 v67, v75, v66
	s_and_saveexec_b64 s[8:9], vcc
	s_cbranch_execz .LBB50_8
; %bb.10:                               ;   in Loop: Header=BB50_9 Depth=1
	v_add_u32_e32 v68, s15, v76
	v_cvt_f32_i32_e32 v68, v68
	s_waitcnt lgkmcnt(0)
	v_add_f32_e32 v66, v66, v67
	v_cmp_gt_i32_e64 s[0:1], s17, v76
	v_max_f32_e32 v67, v74, v74
	v_mul_f32_e32 v68, s28, v68
	v_cndmask_b32_e64 v68, 0, v68, s[2:3]
	v_fmac_f32_e32 v68, s29, v66
	v_cndmask_b32_e64 v66, 0, v68, s[0:1]
	ds_write_b32 v77, v66
	v_max_f32_e32 v66, v67, v68
	v_cndmask_b32_e64 v74, v74, v66, s[0:1]
	s_branch .LBB50_8
.LBB50_11:
	s_or_b64 exec, exec, s[34:35]
.LBB50_12:
	s_or_b64 exec, exec, s[30:31]
	v_xor_b32_e32 v2, 32, v72
	v_cmp_lt_i32_e32 vcc, v2, v73
	v_xor_b32_e32 v5, 16, v72
	v_max_f32_e32 v4, v74, v74
	v_cndmask_b32_e32 v2, v72, v2, vcc
	v_lshlrev_b32_e32 v2, 2, v2
	ds_bpermute_b32 v3, v2, v74
	v_cmp_lt_i32_e32 vcc, v5, v73
	v_xor_b32_e32 v6, 8, v72
	v_xor_b32_e32 v7, 4, v72
	v_and_b32_e32 v106, 63, v0
	s_waitcnt lgkmcnt(0)
	v_max_f32_e32 v3, v3, v3
	v_max_f32_e32 v4, v4, v3
	v_cndmask_b32_e32 v3, v72, v5, vcc
	v_lshlrev_b32_e32 v3, 2, v3
	ds_bpermute_b32 v5, v3, v4
	v_cmp_lt_i32_e32 vcc, v6, v73
	s_waitcnt lgkmcnt(0)
	v_max_f32_e32 v5, v5, v5
	v_max_f32_e32 v5, v4, v5
	v_cndmask_b32_e32 v4, v72, v6, vcc
	v_lshlrev_b32_e32 v4, 2, v4
	ds_bpermute_b32 v6, v4, v5
	v_cmp_lt_i32_e32 vcc, v7, v73
	s_waitcnt lgkmcnt(0)
	v_max_f32_e32 v6, v6, v6
	v_max_f32_e32 v5, v5, v6
	v_cndmask_b32_e32 v6, v72, v7, vcc
	v_lshlrev_b32_e32 v107, 2, v6
	ds_bpermute_b32 v6, v107, v5
	v_xor_b32_e32 v7, 2, v72
	v_cmp_lt_i32_e32 vcc, v7, v73
	s_waitcnt lgkmcnt(0)
	v_max_f32_e32 v6, v6, v6
	v_max_f32_e32 v6, v5, v6
	v_cndmask_b32_e32 v5, v72, v7, vcc
	v_lshlrev_b32_e32 v108, 2, v5
	ds_bpermute_b32 v7, v108, v6
	v_cmp_eq_u32_e32 vcc, 0, v106
	v_lshlrev_b32_e32 v5, 2, v1
	s_and_saveexec_b64 s[0:1], vcc
	s_cbranch_execz .LBB50_14
; %bb.13:
	s_waitcnt lgkmcnt(0)
	v_max_f32_e32 v7, v7, v7
	v_max_f32_e32 v6, v6, v6
	;; [unrolled: 1-line block ×3, first 2 shown]
	ds_write_b32 v5, v6 offset:480
.LBB50_14:
	s_or_b64 exec, exec, s[0:1]
	v_cmp_gt_u32_e64 s[0:1], 2, v106
	s_waitcnt lgkmcnt(0)
	v_mov_b32_e32 v7, 0xff7fffff
	v_lshlrev_b32_e32 v6, 2, v106
	s_barrier
	s_and_saveexec_b64 s[2:3], s[0:1]
	s_cbranch_execz .LBB50_16
; %bb.15:
	ds_read_b32 v7, v6 offset:480
.LBB50_16:
	s_or_b64 exec, exec, s[2:3]
	v_xor_b32_e32 v8, 1, v72
	v_cmp_lt_i32_e64 s[2:3], v8, v73
	v_lshlrev_b32_e32 v9, 2, v72
	s_nop 0
	v_cndmask_b32_e64 v8, v72, v8, s[2:3]
	v_lshlrev_b32_e32 v109, 2, v8
	s_waitcnt lgkmcnt(0)
	ds_bpermute_b32 v8, v109, v7
	v_max_f32_e32 v7, v7, v7
	s_lshl_b32 s2, s19, 5
	s_min_i32 s15, s2, s17
	v_cmp_gt_i32_e64 s[2:3], s15, v0
	s_waitcnt lgkmcnt(0)
	v_max_f32_e32 v8, v8, v8
	v_max_f32_e32 v8, v7, v8
	v_and_b32_e32 v7, 0xffffff00, v9
	ds_bpermute_b32 v9, v7, v8
	v_mov_b32_e32 v8, 0
	s_and_saveexec_b64 s[10:11], s[2:3]
	s_cbranch_execz .LBB50_20
; %bb.17:
	v_mov_b32_e32 v8, 0x1f0
	v_lshl_add_u32 v10, v0, 2, v8
	s_mov_b64 s[28:29], 0
	v_mov_b32_e32 v8, 0
	v_mov_b32_e32 v11, v0
.LBB50_18:                              ; =>This Inner Loop Header: Depth=1
	ds_read_b32 v12, v10
	v_add_u32_e32 v11, 0x80, v11
	v_cmp_le_i32_e64 s[8:9], s15, v11
	s_or_b64 s[28:29], s[8:9], s[28:29]
	s_waitcnt lgkmcnt(0)
	v_sub_f32_e32 v12, v12, v9
	v_mul_f32_e32 v12, 0x3fb8aa3b, v12
	v_exp_f32_e32 v12, v12
	ds_write_b32 v10, v12
	v_add_f32_e32 v8, v8, v12
	v_add_u32_e32 v10, 0x200, v10
	s_andn2_b64 exec, exec, s[28:29]
	s_cbranch_execnz .LBB50_18
; %bb.19:
	s_or_b64 exec, exec, s[28:29]
.LBB50_20:
	s_or_b64 exec, exec, s[10:11]
	ds_bpermute_b32 v2, v2, v8
	s_waitcnt lgkmcnt(0)
	v_add_f32_e32 v2, v8, v2
	ds_bpermute_b32 v3, v3, v2
	s_waitcnt lgkmcnt(0)
	v_add_f32_e32 v2, v2, v3
	;; [unrolled: 3-line block ×6, first 2 shown]
	s_and_saveexec_b64 s[8:9], vcc
	s_cbranch_execz .LBB50_22
; %bb.21:
	ds_write_b32 v5, v2 offset:488
.LBB50_22:
	s_or_b64 exec, exec, s[8:9]
	s_waitcnt lgkmcnt(0)
	s_barrier
	s_and_saveexec_b64 s[8:9], s[0:1]
	s_cbranch_execz .LBB50_24
; %bb.23:
	ds_read_b32 v2, v6 offset:488
.LBB50_24:
	s_or_b64 exec, exec, s[8:9]
	s_waitcnt lgkmcnt(0)
	ds_bpermute_b32 v3, v109, v2
	s_waitcnt lgkmcnt(0)
	v_add_f32_e32 v2, v2, v3
	ds_bpermute_b32 v2, v7, v2
	s_and_saveexec_b64 s[0:1], s[2:3]
	s_cbranch_execz .LBB50_37
; %bb.25:
	s_waitcnt lgkmcnt(0)
	v_add_f32_e32 v2, 0x358637bd, v2
	v_div_scale_f32 v3, s[2:3], v2, v2, 1.0
	v_rcp_f32_e32 v4, v3
	v_div_scale_f32 v5, vcc, 1.0, v2, 1.0
	s_movk_i32 s2, 0x7f
	v_fma_f32 v6, -v3, v4, 1.0
	v_fmac_f32_e32 v4, v6, v4
	v_mul_f32_e32 v6, v5, v4
	v_fma_f32 v7, -v3, v6, v5
	v_fmac_f32_e32 v6, v7, v4
	v_fma_f32 v3, -v3, v6, v5
	v_div_fmas_f32 v3, v3, v4, v6
	v_xad_u32 v4, v0, -1, s15
	v_div_fixup_f32 v2, v3, v2, 1.0
	v_cmp_lt_u32_e32 vcc, s2, v4
	s_mov_b64 s[8:9], -1
	v_mov_b32_e32 v3, v0
	s_and_saveexec_b64 s[2:3], vcc
	s_cbranch_execz .LBB50_34
; %bb.26:
	v_lshrrev_b32_e32 v4, 7, v4
	v_add_u32_e32 v6, -1, v4
	v_lshrrev_b32_e32 v5, 1, v6
	v_mov_b32_e32 v3, v2
	v_add_u32_e32 v5, 1, v5
	v_cmp_lt_u32_e32 vcc, 13, v6
	v_mov_b32_e32 v8, 0
	s_and_saveexec_b64 s[8:9], vcc
	s_cbranch_execz .LBB50_30
; %bb.27:
	v_mov_b32_e32 v7, 0x1f0
	v_and_b32_e32 v6, -8, v5
	v_lshl_add_u32 v7, v0, 2, v7
	s_mov_b32 s28, 0
	s_mov_b64 s[10:11], 0
.LBB50_28:                              ; =>This Inner Loop Header: Depth=1
	ds_read2st64_b32 v[8:9], v7 offset1:2
	ds_read2st64_b32 v[10:11], v7 offset0:4 offset1:6
	ds_read2st64_b32 v[12:13], v7 offset0:8 offset1:10
	;; [unrolled: 1-line block ×3, first 2 shown]
	v_add_u32_e32 v6, -8, v6
	s_waitcnt lgkmcnt(3)
	v_pk_mul_f32 v[8:9], v[2:3], v[8:9]
	s_waitcnt lgkmcnt(2)
	v_pk_mul_f32 v[10:11], v[2:3], v[10:11]
	ds_write2st64_b32 v7, v8, v9 offset1:2
	ds_write2st64_b32 v7, v10, v11 offset0:4 offset1:6
	ds_read2st64_b32 v[10:11], v7 offset0:16 offset1:18
	s_waitcnt lgkmcnt(4)
	v_pk_mul_f32 v[8:9], v[2:3], v[12:13]
	ds_write2st64_b32 v7, v8, v9 offset0:8 offset1:10
	s_waitcnt lgkmcnt(4)
	v_pk_mul_f32 v[8:9], v[2:3], v[14:15]
	ds_write2st64_b32 v7, v8, v9 offset0:12 offset1:14
	ds_read2st64_b32 v[8:9], v7 offset0:20 offset1:22
	s_waitcnt lgkmcnt(3)
	v_pk_mul_f32 v[10:11], v[2:3], v[10:11]
	ds_read2st64_b32 v[12:13], v7 offset0:24 offset1:26
	ds_write2st64_b32 v7, v10, v11 offset0:16 offset1:18
	ds_read2st64_b32 v[10:11], v7 offset0:28 offset1:30
	s_waitcnt lgkmcnt(3)
	v_pk_mul_f32 v[8:9], v[2:3], v[8:9]
	ds_write2st64_b32 v7, v8, v9 offset0:20 offset1:22
	s_waitcnt lgkmcnt(3)
	v_pk_mul_f32 v[8:9], v[2:3], v[12:13]
	ds_write2st64_b32 v7, v8, v9 offset0:24 offset1:26
	s_waitcnt lgkmcnt(2)
	v_pk_mul_f32 v[8:9], v[2:3], v[10:11]
	s_add_i32 s28, s28, 16
	v_cmp_eq_u32_e32 vcc, 0, v6
	ds_write2st64_b32 v7, v8, v9 offset0:28 offset1:30
	v_add_u32_e32 v7, 0x2000, v7
	s_or_b64 s[10:11], vcc, s[10:11]
	v_mov_b32_e32 v8, s28
	s_andn2_b64 exec, exec, s[10:11]
	s_cbranch_execnz .LBB50_28
; %bb.29:
	s_or_b64 exec, exec, s[10:11]
.LBB50_30:
	s_or_b64 exec, exec, s[8:9]
	v_and_b32_e32 v5, 7, v5
	v_cmp_ne_u32_e32 vcc, 0, v5
	s_and_saveexec_b64 s[8:9], vcc
	s_cbranch_execz .LBB50_33
; %bb.31:
	v_lshlrev_b32_e32 v6, 9, v8
	s_movk_i32 s10, 0x1f0
	v_add3_u32 v6, v6, v80, s10
	s_mov_b64 s[10:11], 0
.LBB50_32:                              ; =>This Inner Loop Header: Depth=1
	ds_read2st64_b32 v[8:9], v6 offset1:2
	v_add_u32_e32 v5, -1, v5
	v_cmp_eq_u32_e32 vcc, 0, v5
	s_or_b64 s[10:11], vcc, s[10:11]
	s_waitcnt lgkmcnt(0)
	v_pk_mul_f32 v[8:9], v[2:3], v[8:9]
	ds_write2st64_b32 v6, v8, v9 offset1:2
	v_add_u32_e32 v6, 0x400, v6
	s_andn2_b64 exec, exec, s[10:11]
	s_cbranch_execnz .LBB50_32
.LBB50_33:
	s_or_b64 exec, exec, s[8:9]
	v_add_u32_e32 v4, 1, v4
	v_and_b32_e32 v5, 0x3fffffe, v4
	v_cmp_ne_u32_e32 vcc, v4, v5
	v_lshl_add_u32 v3, v5, 7, v0
	s_orn2_b64 s[8:9], vcc, exec
.LBB50_34:
	s_or_b64 exec, exec, s[2:3]
	s_and_b64 exec, exec, s[8:9]
	s_cbranch_execz .LBB50_37
; %bb.35:
	v_mov_b32_e32 v4, 0x1f0
	v_lshl_add_u32 v4, v3, 2, v4
	s_mov_b64 s[2:3], 0
.LBB50_36:                              ; =>This Inner Loop Header: Depth=1
	ds_read_b32 v5, v4
	v_add_u32_e32 v3, 0x80, v3
	v_cmp_le_i32_e32 vcc, s15, v3
	s_or_b64 s[2:3], vcc, s[2:3]
	s_waitcnt lgkmcnt(0)
	v_mul_f32_e32 v5, v2, v5
	ds_write_b32 v4, v5
	v_add_u32_e32 v4, 0x200, v4
	s_andn2_b64 exec, exec, s[2:3]
	s_cbranch_execnz .LBB50_36
.LBB50_37:
	s_or_b64 exec, exec, s[0:1]
	v_mov_b32_e32 v78, 0
	v_and_b32_e32 v110, 7, v0
	v_mov_b32_e32 v79, 0
	v_mov_b32_e32 v76, 0
	;; [unrolled: 1-line block ×14, first 2 shown]
	s_waitcnt lgkmcnt(0)
	s_barrier
	s_and_saveexec_b64 s[2:3], s[6:7]
	s_cbranch_execz .LBB50_71
; %bb.38:
	s_ashr_i32 s15, s14, 31
	s_lshl_b64 s[0:1], s[14:15], 2
	s_add_u32 s6, s26, s0
	v_and_b32_e32 v3, 28, v80
	s_addc_u32 s7, s27, s1
	s_add_i32 s14, s19, -1
	v_lshlrev_b32_e32 v5, 5, v1
	s_lshl_b64 s[0:1], s[24:25], 2
	v_and_b32_e32 v2, 0xfc, v80
	v_or3_b32 v112, v5, v3, 3
	v_lshlrev_b32_e32 v3, 4, v110
	s_add_u32 s0, s22, s0
	v_mov_b32_e32 v81, 0
	v_or_b32_e32 v4, 0x400, v2
	v_or_b32_e32 v6, 0x500, v2
	;; [unrolled: 1-line block ×11, first 2 shown]
	v_lshl_or_b32 v3, v1, 7, v3
	v_and_b32_e32 v80, 60, v82
	s_addc_u32 s1, s23, s1
	v_add_u32_e32 v113, 0x1f0, v3
	v_lshl_add_u64 v[82:83], s[0:1], 0, v[80:81]
	s_mov_b64 s[8:9], 0
	v_lshlrev_b32_e32 v84, 2, v2
	v_lshlrev_b32_e32 v80, 2, v4
	;; [unrolled: 1-line block ×12, first 2 shown]
	v_mov_b32_e32 v85, v81
	v_mov_b32_e32 v111, v81
	;; [unrolled: 1-line block ×16, first 2 shown]
	s_branch .LBB50_40
.LBB50_39:                              ;   in Loop: Header=BB50_40 Depth=1
	s_or_b64 exec, exec, s[0:1]
	s_waitcnt vmcnt(1) lgkmcnt(0)
	v_mul_f32_e32 v63, v3, v63
	v_mul_f32_e32 v59, v3, v59
	;; [unrolled: 1-line block ×14, first 2 shown]
	s_waitcnt vmcnt(0)
	v_mul_f32_e32 v3, v3, v55
	v_fmac_f32_e32 v63, v2, v62
	v_fmac_f32_e32 v59, v2, v58
	;; [unrolled: 1-line block ×30, first 2 shown]
	v_add_u32_e32 v1, 2, v1
	v_fmac_f32_e32 v63, v5, v65
	v_fmac_f32_e32 v59, v5, v61
	;; [unrolled: 1-line block ×15, first 2 shown]
	v_cmp_le_i32_e32 vcc, s19, v1
	v_add_f32_e32 v67, v67, v63
	v_add_f32_e32 v66, v66, v59
	;; [unrolled: 1-line block ×15, first 2 shown]
	v_add_u32_e32 v112, 64, v112
	v_add_u32_e32 v113, 0x100, v113
	s_or_b64 s[8:9], vcc, s[8:9]
	v_lshl_add_u64 v[82:83], v[82:83], 0, 8
	s_andn2_b64 exec, exec, s[8:9]
	s_cbranch_execz .LBB50_70
.LBB50_40:                              ; =>This Inner Loop Header: Depth=1
	global_load_dword v2, v[82:83], off
	v_add_u32_e32 v114, -3, v112
	v_cmp_eq_u32_e32 vcc, s14, v1
	v_add_u32_e32 v116, -2, v112
	v_add_u32_e32 v115, -1, v112
	s_waitcnt vmcnt(0)
	v_mad_i64_i32 v[2:3], s[0:1], v2, s13, 0
	v_lshl_add_u64 v[54:55], v[2:3], 2, s[6:7]
	v_lshl_add_u64 v[18:19], v[54:55], 0, v[84:85]
	global_load_dwordx4 v[6:9], v[18:19], off
	ds_read_b128 v[2:5], v113
	s_and_saveexec_b64 s[10:11], vcc
	s_cbranch_execnz .LBB50_67
; %bb.41:                               ;   in Loop: Header=BB50_40 Depth=1
	s_or_b64 exec, exec, s[10:11]
	global_load_dwordx4 v[10:13], v[18:19], off offset:1024
	s_and_saveexec_b64 s[10:11], vcc
	s_cbranch_execnz .LBB50_68
.LBB50_42:                              ;   in Loop: Header=BB50_40 Depth=1
	s_or_b64 exec, exec, s[10:11]
	global_load_dwordx4 v[14:17], v[18:19], off offset:2048
	s_and_saveexec_b64 s[10:11], vcc
	s_cbranch_execnz .LBB50_69
.LBB50_43:                              ;   in Loop: Header=BB50_40 Depth=1
	s_or_b64 exec, exec, s[10:11]
	global_load_dwordx4 v[18:21], v[18:19], off offset:3072
	s_and_saveexec_b64 s[10:11], vcc
	s_cbranch_execz .LBB50_45
.LBB50_44:                              ;   in Loop: Header=BB50_40 Depth=1
	v_cmp_gt_i32_e64 s[0:1], s17, v114
	s_waitcnt vmcnt(0)
	s_nop 0
	v_cndmask_b32_e64 v18, 0, v18, s[0:1]
	v_cmp_gt_i32_e64 s[0:1], s17, v116
	s_nop 1
	v_cndmask_b32_e64 v19, 0, v19, s[0:1]
	v_cmp_gt_i32_e64 s[0:1], s17, v115
	;; [unrolled: 3-line block ×3, first 2 shown]
	s_nop 1
	v_cndmask_b32_e64 v21, 0, v21, s[0:1]
.LBB50_45:                              ;   in Loop: Header=BB50_40 Depth=1
	s_or_b64 exec, exec, s[10:11]
	v_lshl_add_u64 v[22:23], v[54:55], 0, v[80:81]
	global_load_dwordx4 v[22:25], v[22:23], off
	s_and_saveexec_b64 s[10:11], vcc
	s_cbranch_execz .LBB50_47
; %bb.46:                               ;   in Loop: Header=BB50_40 Depth=1
	v_cmp_gt_i32_e64 s[0:1], s17, v114
	s_waitcnt vmcnt(0)
	s_nop 0
	v_cndmask_b32_e64 v22, 0, v22, s[0:1]
	v_cmp_gt_i32_e64 s[0:1], s17, v116
	s_nop 1
	v_cndmask_b32_e64 v23, 0, v23, s[0:1]
	v_cmp_gt_i32_e64 s[0:1], s17, v115
	s_nop 1
	v_cndmask_b32_e64 v24, 0, v24, s[0:1]
	v_cmp_gt_i32_e64 s[0:1], s17, v112
	s_nop 1
	v_cndmask_b32_e64 v25, 0, v25, s[0:1]
.LBB50_47:                              ;   in Loop: Header=BB50_40 Depth=1
	s_or_b64 exec, exec, s[10:11]
	v_mov_b32_e32 v87, v81
	v_lshl_add_u64 v[26:27], v[54:55], 0, v[86:87]
	global_load_dwordx4 v[26:29], v[26:27], off
	s_and_saveexec_b64 s[10:11], vcc
	s_cbranch_execz .LBB50_49
; %bb.48:                               ;   in Loop: Header=BB50_40 Depth=1
	v_cmp_gt_i32_e64 s[0:1], s17, v114
	s_waitcnt vmcnt(0)
	s_nop 0
	v_cndmask_b32_e64 v26, 0, v26, s[0:1]
	v_cmp_gt_i32_e64 s[0:1], s17, v116
	s_nop 1
	v_cndmask_b32_e64 v27, 0, v27, s[0:1]
	v_cmp_gt_i32_e64 s[0:1], s17, v115
	s_nop 1
	v_cndmask_b32_e64 v28, 0, v28, s[0:1]
	v_cmp_gt_i32_e64 s[0:1], s17, v112
	s_nop 1
	v_cndmask_b32_e64 v29, 0, v29, s[0:1]
.LBB50_49:                              ;   in Loop: Header=BB50_40 Depth=1
	s_or_b64 exec, exec, s[10:11]
	v_mov_b32_e32 v89, v81
	;; [unrolled: 21-line block ×10, first 2 shown]
	v_lshl_add_u64 v[54:55], v[54:55], 0, v[104:105]
	global_load_dwordx4 v[54:57], v[54:55], off
	s_and_saveexec_b64 s[0:1], vcc
	s_cbranch_execz .LBB50_39
; %bb.66:                               ;   in Loop: Header=BB50_40 Depth=1
	v_cmp_gt_i32_e32 vcc, s17, v114
	s_waitcnt vmcnt(0)
	s_nop 0
	v_cndmask_b32_e32 v54, 0, v54, vcc
	v_cmp_gt_i32_e32 vcc, s17, v116
	s_nop 1
	v_cndmask_b32_e32 v55, 0, v55, vcc
	v_cmp_gt_i32_e32 vcc, s17, v115
	;; [unrolled: 3-line block ×3, first 2 shown]
	s_nop 1
	v_cndmask_b32_e32 v57, 0, v57, vcc
	s_branch .LBB50_39
.LBB50_67:                              ;   in Loop: Header=BB50_40 Depth=1
	v_cmp_gt_i32_e64 s[0:1], s17, v114
	s_waitcnt vmcnt(0)
	s_nop 0
	v_cndmask_b32_e64 v6, 0, v6, s[0:1]
	v_cmp_gt_i32_e64 s[0:1], s17, v116
	s_nop 1
	v_cndmask_b32_e64 v7, 0, v7, s[0:1]
	v_cmp_gt_i32_e64 s[0:1], s17, v115
	;; [unrolled: 3-line block ×3, first 2 shown]
	s_nop 1
	v_cndmask_b32_e64 v9, 0, v9, s[0:1]
	s_or_b64 exec, exec, s[10:11]
	global_load_dwordx4 v[10:13], v[18:19], off offset:1024
	s_and_saveexec_b64 s[10:11], vcc
	s_cbranch_execz .LBB50_42
.LBB50_68:                              ;   in Loop: Header=BB50_40 Depth=1
	v_cmp_gt_i32_e64 s[0:1], s17, v114
	s_waitcnt vmcnt(0)
	s_nop 0
	v_cndmask_b32_e64 v10, 0, v10, s[0:1]
	v_cmp_gt_i32_e64 s[0:1], s17, v116
	s_nop 1
	v_cndmask_b32_e64 v11, 0, v11, s[0:1]
	v_cmp_gt_i32_e64 s[0:1], s17, v115
	;; [unrolled: 3-line block ×3, first 2 shown]
	s_nop 1
	v_cndmask_b32_e64 v13, 0, v13, s[0:1]
	s_or_b64 exec, exec, s[10:11]
	global_load_dwordx4 v[14:17], v[18:19], off offset:2048
	s_and_saveexec_b64 s[10:11], vcc
	s_cbranch_execz .LBB50_43
.LBB50_69:                              ;   in Loop: Header=BB50_40 Depth=1
	v_cmp_gt_i32_e64 s[0:1], s17, v114
	s_waitcnt vmcnt(0)
	s_nop 0
	v_cndmask_b32_e64 v14, 0, v14, s[0:1]
	v_cmp_gt_i32_e64 s[0:1], s17, v116
	s_nop 1
	v_cndmask_b32_e64 v15, 0, v15, s[0:1]
	v_cmp_gt_i32_e64 s[0:1], s17, v115
	;; [unrolled: 3-line block ×3, first 2 shown]
	s_nop 1
	v_cndmask_b32_e64 v17, 0, v17, s[0:1]
	s_or_b64 exec, exec, s[10:11]
	global_load_dwordx4 v[18:21], v[18:19], off offset:3072
	s_and_saveexec_b64 s[10:11], vcc
	s_cbranch_execnz .LBB50_44
	s_branch .LBB50_45
.LBB50_70:
	s_or_b64 exec, exec, s[8:9]
.LBB50_71:
	s_or_b64 exec, exec, s[2:3]
	ds_bpermute_b32 v4, v107, v76
	ds_bpermute_b32 v5, v107, v77
	;; [unrolled: 1-line block ×6, first 2 shown]
	s_waitcnt lgkmcnt(4)
	v_pk_add_f32 v[4:5], v[76:77], v[4:5]
	ds_bpermute_b32 v8, v108, v4
	ds_bpermute_b32 v9, v108, v5
	s_waitcnt lgkmcnt(4)
	v_pk_add_f32 v[2:3], v[78:79], v[2:3]
	ds_bpermute_b32 v6, v108, v2
	ds_bpermute_b32 v7, v108, v3
	;; [unrolled: 1-line block ×3, first 2 shown]
	s_waitcnt lgkmcnt(3)
	v_pk_add_f32 v[4:5], v[4:5], v[8:9]
	v_pk_add_f32 v[8:9], v[74:75], v[10:11]
	ds_bpermute_b32 v10, v108, v8
	ds_bpermute_b32 v11, v108, v9
	;; [unrolled: 1-line block ×3, first 2 shown]
	s_waitcnt lgkmcnt(4)
	v_pk_add_f32 v[2:3], v[2:3], v[6:7]
	ds_bpermute_b32 v6, v109, v2
	ds_bpermute_b32 v7, v109, v3
	s_waitcnt lgkmcnt(3)
	v_pk_add_f32 v[8:9], v[8:9], v[10:11]
	s_waitcnt lgkmcnt(2)
	v_pk_add_f32 v[14:15], v[72:73], v[14:15]
	ds_bpermute_b32 v10, v109, v8
	ds_bpermute_b32 v11, v109, v9
	;; [unrolled: 1-line block ×6, first 2 shown]
	s_waitcnt lgkmcnt(6)
	v_pk_add_f32 v[6:7], v[2:3], v[6:7]
	s_waitcnt lgkmcnt(4)
	v_pk_add_f32 v[2:3], v[8:9], v[10:11]
	;; [unrolled: 2-line block ×3, first 2 shown]
	ds_bpermute_b32 v16, v107, v68
	ds_bpermute_b32 v17, v107, v69
	;; [unrolled: 1-line block ×4, first 2 shown]
	s_waitcnt lgkmcnt(4)
	v_pk_add_f32 v[10:11], v[70:71], v[18:19]
	ds_bpermute_b32 v18, v107, v66
	ds_bpermute_b32 v19, v107, v67
	s_waitcnt lgkmcnt(4)
	v_pk_add_f32 v[16:17], v[68:69], v[16:17]
	s_waitcnt lgkmcnt(2)
	v_pk_add_f32 v[4:5], v[4:5], v[12:13]
	ds_bpermute_b32 v12, v108, v10
	ds_bpermute_b32 v13, v108, v11
	;; [unrolled: 1-line block ×5, first 2 shown]
	s_waitcnt lgkmcnt(5)
	v_pk_add_f32 v[18:19], v[66:67], v[18:19]
	s_waitcnt lgkmcnt(3)
	v_pk_add_f32 v[10:11], v[10:11], v[12:13]
	ds_bpermute_b32 v22, v108, v18
	ds_bpermute_b32 v23, v108, v19
	s_waitcnt lgkmcnt(3)
	v_pk_add_f32 v[16:17], v[16:17], v[20:21]
	s_waitcnt lgkmcnt(2)
	v_add_f32_e32 v1, v111, v1
	ds_bpermute_b32 v12, v109, v10
	ds_bpermute_b32 v13, v109, v11
	;; [unrolled: 1-line block ×5, first 2 shown]
	s_waitcnt lgkmcnt(5)
	v_pk_add_f32 v[18:19], v[18:19], v[22:23]
	ds_bpermute_b32 v14, v109, v8
	ds_bpermute_b32 v15, v109, v9
	;; [unrolled: 1-line block ×4, first 2 shown]
	s_waitcnt lgkmcnt(7)
	v_pk_add_f32 v[12:13], v[10:11], v[12:13]
	s_waitcnt lgkmcnt(5)
	v_pk_add_f32 v[10:11], v[16:17], v[20:21]
	s_waitcnt lgkmcnt(4)
	v_add_f32_e32 v16, v1, v24
	ds_bpermute_b32 v17, v109, v16
	v_and_b32_e32 v1, 0x3c7, v0
	s_waitcnt lgkmcnt(3)
	v_pk_add_f32 v[14:15], v[8:9], v[14:15]
	s_waitcnt lgkmcnt(1)
	v_pk_add_f32 v[8:9], v[18:19], v[22:23]
	v_cmp_ne_u32_e32 vcc, 64, v1
	s_waitcnt lgkmcnt(0)
	s_barrier
	s_and_saveexec_b64 s[0:1], vcc
	s_xor_b64 s[0:1], exec, s[0:1]
; %bb.72:
                                        ; implicit-def: $vgpr106
; %bb.73:
	s_or_saveexec_b64 s[0:1], s[0:1]
	v_add_f32_e32 v16, v16, v17
	s_xor_b64 exec, exec, s[0:1]
	s_cbranch_execz .LBB50_75
; %bb.74:
	v_lshrrev_b32_e32 v17, 1, v106
	v_add_u32_e32 v17, 0x1f0, v17
	ds_write2_b32 v17, v6, v7 offset1:8
	ds_write2_b32 v17, v4, v5 offset0:16 offset1:24
	ds_write2_b32 v17, v2, v3 offset0:32 offset1:40
	ds_write2_b32 v17, v14, v15 offset0:48 offset1:56
	ds_write2_b32 v17, v12, v13 offset0:64 offset1:72
	ds_write2_b32 v17, v10, v11 offset0:80 offset1:88
	ds_write2_b32 v17, v8, v9 offset0:96 offset1:104
	ds_write_b32 v17, v16 offset:448
.LBB50_75:
	s_or_b64 exec, exec, s[0:1]
	v_cmp_gt_u32_e32 vcc, 64, v0
	s_waitcnt lgkmcnt(0)
	s_barrier
	s_and_saveexec_b64 s[0:1], vcc
	s_cbranch_execz .LBB50_93
; %bb.76:
	v_cmp_eq_u32_e32 vcc, 0, v110
	v_lshrrev_b32_e32 v17, 3, v0
	s_and_saveexec_b64 s[2:3], vcc
	s_cbranch_execnz .LBB50_96
; %bb.77:
	s_or_b64 exec, exec, s[2:3]
	s_and_saveexec_b64 s[2:3], vcc
	s_cbranch_execnz .LBB50_97
.LBB50_78:
	s_or_b64 exec, exec, s[2:3]
	s_and_saveexec_b64 s[2:3], vcc
	s_cbranch_execnz .LBB50_98
.LBB50_79:
	s_or_b64 exec, exec, s[2:3]
	s_and_saveexec_b64 s[2:3], vcc
	s_cbranch_execnz .LBB50_99
.LBB50_80:
	s_or_b64 exec, exec, s[2:3]
	s_and_saveexec_b64 s[2:3], vcc
	s_cbranch_execnz .LBB50_100
.LBB50_81:
	s_or_b64 exec, exec, s[2:3]
	s_and_saveexec_b64 s[2:3], vcc
	s_cbranch_execnz .LBB50_101
.LBB50_82:
	s_or_b64 exec, exec, s[2:3]
	s_and_saveexec_b64 s[2:3], vcc
	s_cbranch_execnz .LBB50_102
.LBB50_83:
	s_or_b64 exec, exec, s[2:3]
	s_and_saveexec_b64 s[2:3], vcc
	s_cbranch_execnz .LBB50_103
.LBB50_84:
	s_or_b64 exec, exec, s[2:3]
	s_and_saveexec_b64 s[2:3], vcc
	s_cbranch_execnz .LBB50_104
.LBB50_85:
	s_or_b64 exec, exec, s[2:3]
	s_and_saveexec_b64 s[2:3], vcc
	s_cbranch_execnz .LBB50_105
.LBB50_86:
	s_or_b64 exec, exec, s[2:3]
	s_and_saveexec_b64 s[2:3], vcc
	s_cbranch_execnz .LBB50_106
.LBB50_87:
	s_or_b64 exec, exec, s[2:3]
	s_and_saveexec_b64 s[2:3], vcc
	s_cbranch_execnz .LBB50_107
.LBB50_88:
	s_or_b64 exec, exec, s[2:3]
	s_and_saveexec_b64 s[2:3], vcc
	s_cbranch_execnz .LBB50_108
.LBB50_89:
	s_or_b64 exec, exec, s[2:3]
	s_and_saveexec_b64 s[2:3], vcc
	s_cbranch_execnz .LBB50_109
.LBB50_90:
	s_or_b64 exec, exec, s[2:3]
	s_and_saveexec_b64 s[2:3], vcc
	s_cbranch_execz .LBB50_92
.LBB50_91:
	v_mov_b32_e32 v18, 0x1f0
	v_lshl_add_u32 v17, v17, 2, v18
	ds_read_b32 v17, v17 offset:448
	s_waitcnt lgkmcnt(0)
	v_add_f32_e32 v16, v16, v17
.LBB50_92:
	s_or_b64 exec, exec, s[2:3]
.LBB50_93:
	s_or_b64 exec, exec, s[0:1]
	v_cmp_eq_u32_e32 vcc, 0, v1
	s_barrier
	s_and_saveexec_b64 s[0:1], vcc
	s_cbranch_execz .LBB50_95
; %bb.94:
	s_mul_i32 s0, s16, s12
	s_mul_i32 s0, s0, s5
	s_mulk_i32 s0, 0x78
	s_ashr_i32 s1, s0, 31
	s_lshl_b64 s[0:1], s[0:1], 2
	s_add_u32 s2, s20, s0
	s_mul_i32 s0, s12, s18
	s_addc_u32 s3, s21, s1
	s_ashr_i32 s1, s0, 31
	s_lshl_b64 s[0:1], s[0:1], 2
	s_add_u32 s2, s2, s0
	s_mul_i32 s0, s4, 0x78
	s_addc_u32 s3, s3, s1
	s_ashr_i32 s1, s0, 31
	s_lshl_b64 s[0:1], s[0:1], 2
	s_add_u32 s0, s2, s0
	s_addc_u32 s1, s3, s1
	v_lshrrev_b32_e32 v0, 1, v0
	global_store_dword v0, v6, s[0:1]
	global_store_dword v0, v7, s[0:1] offset:32
	global_store_dword v0, v4, s[0:1] offset:64
	;; [unrolled: 1-line block ×14, first 2 shown]
.LBB50_95:
	s_endpgm
.LBB50_96:
	v_mov_b32_e32 v18, 0x1f0
	v_lshl_add_u32 v18, v17, 2, v18
	ds_read_b32 v18, v18
	s_waitcnt lgkmcnt(0)
	v_add_f32_e32 v6, v6, v18
	s_or_b64 exec, exec, s[2:3]
	s_and_saveexec_b64 s[2:3], vcc
	s_cbranch_execz .LBB50_78
.LBB50_97:
	v_mov_b32_e32 v18, 0x1f0
	v_lshl_add_u32 v18, v17, 2, v18
	ds_read_b32 v18, v18 offset:32
	s_waitcnt lgkmcnt(0)
	v_add_f32_e32 v7, v7, v18
	s_or_b64 exec, exec, s[2:3]
	s_and_saveexec_b64 s[2:3], vcc
	s_cbranch_execz .LBB50_79
.LBB50_98:
	v_mov_b32_e32 v18, 0x1f0
	v_lshl_add_u32 v18, v17, 2, v18
	ds_read_b32 v18, v18 offset:64
	s_waitcnt lgkmcnt(0)
	v_add_f32_e32 v4, v4, v18
	s_or_b64 exec, exec, s[2:3]
	s_and_saveexec_b64 s[2:3], vcc
	s_cbranch_execz .LBB50_80
.LBB50_99:
	v_mov_b32_e32 v18, 0x1f0
	v_lshl_add_u32 v18, v17, 2, v18
	ds_read_b32 v18, v18 offset:96
	s_waitcnt lgkmcnt(0)
	v_add_f32_e32 v5, v5, v18
	s_or_b64 exec, exec, s[2:3]
	s_and_saveexec_b64 s[2:3], vcc
	s_cbranch_execz .LBB50_81
.LBB50_100:
	v_mov_b32_e32 v18, 0x1f0
	v_lshl_add_u32 v18, v17, 2, v18
	ds_read_b32 v18, v18 offset:128
	s_waitcnt lgkmcnt(0)
	v_add_f32_e32 v2, v2, v18
	s_or_b64 exec, exec, s[2:3]
	s_and_saveexec_b64 s[2:3], vcc
	s_cbranch_execz .LBB50_82
.LBB50_101:
	v_mov_b32_e32 v18, 0x1f0
	v_lshl_add_u32 v18, v17, 2, v18
	ds_read_b32 v18, v18 offset:160
	s_waitcnt lgkmcnt(0)
	v_add_f32_e32 v3, v3, v18
	s_or_b64 exec, exec, s[2:3]
	s_and_saveexec_b64 s[2:3], vcc
	s_cbranch_execz .LBB50_83
.LBB50_102:
	v_mov_b32_e32 v18, 0x1f0
	v_lshl_add_u32 v18, v17, 2, v18
	ds_read_b32 v18, v18 offset:192
	s_waitcnt lgkmcnt(0)
	v_add_f32_e32 v14, v14, v18
	s_or_b64 exec, exec, s[2:3]
	s_and_saveexec_b64 s[2:3], vcc
	s_cbranch_execz .LBB50_84
.LBB50_103:
	v_mov_b32_e32 v18, 0x1f0
	v_lshl_add_u32 v18, v17, 2, v18
	ds_read_b32 v18, v18 offset:224
	s_waitcnt lgkmcnt(0)
	v_add_f32_e32 v15, v15, v18
	s_or_b64 exec, exec, s[2:3]
	s_and_saveexec_b64 s[2:3], vcc
	s_cbranch_execz .LBB50_85
.LBB50_104:
	v_mov_b32_e32 v18, 0x1f0
	v_lshl_add_u32 v18, v17, 2, v18
	ds_read_b32 v18, v18 offset:256
	s_waitcnt lgkmcnt(0)
	v_add_f32_e32 v12, v12, v18
	s_or_b64 exec, exec, s[2:3]
	s_and_saveexec_b64 s[2:3], vcc
	s_cbranch_execz .LBB50_86
.LBB50_105:
	v_mov_b32_e32 v18, 0x1f0
	v_lshl_add_u32 v18, v17, 2, v18
	ds_read_b32 v18, v18 offset:288
	s_waitcnt lgkmcnt(0)
	v_add_f32_e32 v13, v13, v18
	s_or_b64 exec, exec, s[2:3]
	s_and_saveexec_b64 s[2:3], vcc
	s_cbranch_execz .LBB50_87
.LBB50_106:
	v_mov_b32_e32 v18, 0x1f0
	v_lshl_add_u32 v18, v17, 2, v18
	ds_read_b32 v18, v18 offset:320
	s_waitcnt lgkmcnt(0)
	v_add_f32_e32 v10, v10, v18
	s_or_b64 exec, exec, s[2:3]
	s_and_saveexec_b64 s[2:3], vcc
	s_cbranch_execz .LBB50_88
.LBB50_107:
	v_mov_b32_e32 v18, 0x1f0
	v_lshl_add_u32 v18, v17, 2, v18
	ds_read_b32 v18, v18 offset:352
	s_waitcnt lgkmcnt(0)
	v_add_f32_e32 v11, v11, v18
	s_or_b64 exec, exec, s[2:3]
	s_and_saveexec_b64 s[2:3], vcc
	s_cbranch_execz .LBB50_89
.LBB50_108:
	v_mov_b32_e32 v18, 0x1f0
	v_lshl_add_u32 v18, v17, 2, v18
	ds_read_b32 v18, v18 offset:384
	s_waitcnt lgkmcnt(0)
	v_add_f32_e32 v8, v8, v18
	s_or_b64 exec, exec, s[2:3]
	s_and_saveexec_b64 s[2:3], vcc
	s_cbranch_execz .LBB50_90
.LBB50_109:
	v_mov_b32_e32 v18, 0x1f0
	v_lshl_add_u32 v18, v17, 2, v18
	ds_read_b32 v18, v18 offset:416
	s_waitcnt lgkmcnt(0)
	v_add_f32_e32 v9, v9, v18
	s_or_b64 exec, exec, s[2:3]
	s_and_saveexec_b64 s[2:3], vcc
	s_cbranch_execnz .LBB50_91
	s_branch .LBB50_92
	.section	.rodata,"a",@progbits
	.p2align	6, 0x0
	.amdhsa_kernel _ZN4vllm25paged_attention_v1_kernelIffLi120ELi32ELi128ELNS_18Fp8KVCacheDataTypeE0ELb0EEEvPT_PKS2_PKT0_S8_ifPKiSA_iPKfiiiSC_SC_iiiii
		.amdhsa_group_segment_fixed_size 496
		.amdhsa_private_segment_fixed_size 0
		.amdhsa_kernarg_size 384
		.amdhsa_user_sgpr_count 2
		.amdhsa_user_sgpr_dispatch_ptr 0
		.amdhsa_user_sgpr_queue_ptr 0
		.amdhsa_user_sgpr_kernarg_segment_ptr 1
		.amdhsa_user_sgpr_dispatch_id 0
		.amdhsa_user_sgpr_kernarg_preload_length 0
		.amdhsa_user_sgpr_kernarg_preload_offset 0
		.amdhsa_user_sgpr_private_segment_size 0
		.amdhsa_uses_dynamic_stack 0
		.amdhsa_enable_private_segment 0
		.amdhsa_system_sgpr_workgroup_id_x 1
		.amdhsa_system_sgpr_workgroup_id_y 1
		.amdhsa_system_sgpr_workgroup_id_z 1
		.amdhsa_system_sgpr_workgroup_info 0
		.amdhsa_system_vgpr_workitem_id 0
		.amdhsa_next_free_vgpr 117
		.amdhsa_next_free_sgpr 39
		.amdhsa_accum_offset 120
		.amdhsa_reserve_vcc 1
		.amdhsa_float_round_mode_32 0
		.amdhsa_float_round_mode_16_64 0
		.amdhsa_float_denorm_mode_32 3
		.amdhsa_float_denorm_mode_16_64 3
		.amdhsa_dx10_clamp 1
		.amdhsa_ieee_mode 1
		.amdhsa_fp16_overflow 0
		.amdhsa_tg_split 0
		.amdhsa_exception_fp_ieee_invalid_op 0
		.amdhsa_exception_fp_denorm_src 0
		.amdhsa_exception_fp_ieee_div_zero 0
		.amdhsa_exception_fp_ieee_overflow 0
		.amdhsa_exception_fp_ieee_underflow 0
		.amdhsa_exception_fp_ieee_inexact 0
		.amdhsa_exception_int_div_zero 0
	.end_amdhsa_kernel
	.section	.text._ZN4vllm25paged_attention_v1_kernelIffLi120ELi32ELi128ELNS_18Fp8KVCacheDataTypeE0ELb0EEEvPT_PKS2_PKT0_S8_ifPKiSA_iPKfiiiSC_SC_iiiii,"axG",@progbits,_ZN4vllm25paged_attention_v1_kernelIffLi120ELi32ELi128ELNS_18Fp8KVCacheDataTypeE0ELb0EEEvPT_PKS2_PKT0_S8_ifPKiSA_iPKfiiiSC_SC_iiiii,comdat
.Lfunc_end50:
	.size	_ZN4vllm25paged_attention_v1_kernelIffLi120ELi32ELi128ELNS_18Fp8KVCacheDataTypeE0ELb0EEEvPT_PKS2_PKT0_S8_ifPKiSA_iPKfiiiSC_SC_iiiii, .Lfunc_end50-_ZN4vllm25paged_attention_v1_kernelIffLi120ELi32ELi128ELNS_18Fp8KVCacheDataTypeE0ELb0EEEvPT_PKS2_PKT0_S8_ifPKiSA_iPKfiiiSC_SC_iiiii
                                        ; -- End function
	.section	.AMDGPU.csdata,"",@progbits
; Kernel info:
; codeLenInByte = 7476
; NumSgprs: 45
; NumVgprs: 117
; NumAgprs: 0
; TotalNumVgprs: 117
; ScratchSize: 0
; MemoryBound: 0
; FloatMode: 240
; IeeeMode: 1
; LDSByteSize: 496 bytes/workgroup (compile time only)
; SGPRBlocks: 5
; VGPRBlocks: 14
; NumSGPRsForWavesPerEU: 45
; NumVGPRsForWavesPerEU: 117
; AccumOffset: 120
; Occupancy: 4
; WaveLimiterHint : 1
; COMPUTE_PGM_RSRC2:SCRATCH_EN: 0
; COMPUTE_PGM_RSRC2:USER_SGPR: 2
; COMPUTE_PGM_RSRC2:TRAP_HANDLER: 0
; COMPUTE_PGM_RSRC2:TGID_X_EN: 1
; COMPUTE_PGM_RSRC2:TGID_Y_EN: 1
; COMPUTE_PGM_RSRC2:TGID_Z_EN: 1
; COMPUTE_PGM_RSRC2:TIDIG_COMP_CNT: 0
; COMPUTE_PGM_RSRC3_GFX90A:ACCUM_OFFSET: 29
; COMPUTE_PGM_RSRC3_GFX90A:TG_SPLIT: 0
	.section	.text._ZN4vllm25paged_attention_v1_kernelIffLi128ELi32ELi128ELNS_18Fp8KVCacheDataTypeE0ELb0EEEvPT_PKS2_PKT0_S8_ifPKiSA_iPKfiiiSC_SC_iiiii,"axG",@progbits,_ZN4vllm25paged_attention_v1_kernelIffLi128ELi32ELi128ELNS_18Fp8KVCacheDataTypeE0ELb0EEEvPT_PKS2_PKT0_S8_ifPKiSA_iPKfiiiSC_SC_iiiii,comdat
	.protected	_ZN4vllm25paged_attention_v1_kernelIffLi128ELi32ELi128ELNS_18Fp8KVCacheDataTypeE0ELb0EEEvPT_PKS2_PKT0_S8_ifPKiSA_iPKfiiiSC_SC_iiiii ; -- Begin function _ZN4vllm25paged_attention_v1_kernelIffLi128ELi32ELi128ELNS_18Fp8KVCacheDataTypeE0ELb0EEEvPT_PKS2_PKT0_S8_ifPKiSA_iPKfiiiSC_SC_iiiii
	.globl	_ZN4vllm25paged_attention_v1_kernelIffLi128ELi32ELi128ELNS_18Fp8KVCacheDataTypeE0ELb0EEEvPT_PKS2_PKT0_S8_ifPKiSA_iPKfiiiSC_SC_iiiii
	.p2align	8
	.type	_ZN4vllm25paged_attention_v1_kernelIffLi128ELi32ELi128ELNS_18Fp8KVCacheDataTypeE0ELb0EEEvPT_PKS2_PKT0_S8_ifPKiSA_iPKfiiiSC_SC_iiiii,@function
_ZN4vllm25paged_attention_v1_kernelIffLi128ELi32ELi128ELNS_18Fp8KVCacheDataTypeE0ELb0EEEvPT_PKS2_PKT0_S8_ifPKiSA_iPKfiiiSC_SC_iiiii: ; @_ZN4vllm25paged_attention_v1_kernelIffLi128ELi32ELi128ELNS_18Fp8KVCacheDataTypeE0ELb0EEEvPT_PKS2_PKT0_S8_ifPKiSA_iPKfiiiSC_SC_iiiii
; %bb.0:
	s_load_dword s5, s[0:1], 0x80
	s_load_dwordx2 s[6:7], s[0:1], 0x30
	s_load_dwordx2 s[30:31], s[0:1], 0x20
	s_mov_b32 s14, s3
	s_ashr_i32 s15, s3, 31
	s_lshl_b64 s[8:9], s[14:15], 2
	s_waitcnt lgkmcnt(0)
	s_add_u32 s6, s6, s8
	s_addc_u32 s7, s7, s9
	s_abs_i32 s3, s30
	v_cvt_f32_u32_e32 v1, s3
	s_sub_i32 s10, 0, s3
	s_abs_i32 s9, s5
	s_xor_b32 s8, s5, s30
	v_rcp_iflag_f32_e32 v1, v1
	s_ashr_i32 s8, s8, 31
	s_mov_b32 s30, 0
	v_mul_f32_e32 v1, 0x4f7ffffe, v1
	v_cvt_u32_f32_e32 v1, v1
	s_nop 0
	v_readfirstlane_b32 s11, v1
	s_mul_i32 s10, s10, s11
	s_mul_hi_u32 s10, s11, s10
	s_add_i32 s11, s11, s10
	s_mul_hi_u32 s10, s9, s11
	s_mul_i32 s11, s10, s3
	s_sub_i32 s9, s9, s11
	s_add_i32 s11, s10, 1
	s_sub_i32 s12, s9, s3
	s_cmp_ge_u32 s9, s3
	s_cselect_b32 s10, s11, s10
	s_cselect_b32 s9, s12, s9
	s_add_i32 s11, s10, 1
	s_cmp_ge_u32 s9, s3
	s_cselect_b32 s3, s11, s10
	s_xor_b32 s3, s3, s8
	s_sub_i32 s13, s3, s8
	s_abs_i32 s10, s13
	v_cvt_f32_u32_e32 v1, s10
	s_load_dwordx2 s[8:9], s[0:1], 0x40
	s_sub_i32 s3, 0, s10
	s_abs_i32 s11, s2
	v_rcp_iflag_f32_e32 v1, v1
	s_nop 0
	v_mul_f32_e32 v1, 0x4f7ffffe, v1
	v_cvt_u32_f32_e32 v1, v1
	s_nop 0
	v_readfirstlane_b32 s12, v1
	s_mul_i32 s3, s3, s12
	s_mul_hi_u32 s3, s12, s3
	s_add_i32 s12, s12, s3
	s_waitcnt lgkmcnt(0)
	s_cmp_eq_u64 s[8:9], 0
	s_mul_hi_u32 s12, s11, s12
	s_cbranch_scc1 .LBB51_2
; %bb.1:
	s_ashr_i32 s3, s2, 31
	s_lshl_b64 s[16:17], s[2:3], 2
	s_add_u32 s8, s8, s16
	s_addc_u32 s9, s9, s17
	s_load_dword s30, s[8:9], 0x0
.LBB51_2:
	s_load_dword s33, s[6:7], 0x0
	s_load_dwordx4 s[16:19], s[0:1], 0x48
	s_ashr_i32 s8, s2, 31
	s_ashr_i32 s9, s13, 31
	v_and_b32_e32 v42, 1, v0
	s_lshl_b32 s20, s2, 7
	v_cmp_gt_u32_e64 s[6:7], 64, v0
	v_lshlrev_b32_e32 v2, 3, v0
	v_lshlrev_b32_e32 v86, 2, v0
	s_and_saveexec_b64 s[2:3], s[6:7]
	s_cbranch_execz .LBB51_4
; %bb.3:
	s_load_dwordx2 s[22:23], s[0:1], 0x8
	s_waitcnt lgkmcnt(0)
	s_mul_i32 s24, s14, s16
	s_ashr_i32 s25, s24, 31
	s_lshl_b64 s[24:25], s[24:25], 2
	v_and_b32_e32 v1, 0xff8, v86
	s_add_u32 s13, s22, s24
	s_addc_u32 s15, s23, s25
	s_ashr_i32 s21, s20, 31
	s_lshl_b64 s[22:23], s[20:21], 2
	s_add_u32 s22, s13, s22
	s_addc_u32 s23, s15, s23
	global_load_dwordx2 v[4:5], v2, s[22:23]
	v_lshl_add_u32 v1, v42, 8, v1
	s_waitcnt vmcnt(0)
	ds_write_b64 v1, v[4:5]
.LBB51_4:
	s_or_b64 exec, exec, s[2:3]
	s_waitcnt lgkmcnt(0)
	s_add_i32 s3, s33, 31
	s_ashr_i32 s13, s3, 31
	s_lshr_b32 s13, s13, 27
	s_add_i32 s3, s3, s13
	s_ashr_i32 s16, s3, 5
	s_xor_b32 s3, s8, s9
	s_mul_i32 s8, s12, s10
	s_sub_i32 s8, s11, s8
	s_add_i32 s9, s12, 1
	s_sub_i32 s11, s8, s10
	s_load_dwordx2 s[24:25], s[0:1], 0x28
	s_load_dword s2, s[0:1], 0x38
	s_cmp_ge_u32 s8, s10
	s_cselect_b32 s9, s9, s12
	s_cselect_b32 s8, s11, s8
	s_add_i32 s11, s9, 1
	s_cmp_ge_u32 s8, s10
	s_cselect_b32 s8, s11, s9
	v_lshrrev_b32_e32 v1, 6, v0
	s_xor_b32 s8, s8, s3
	s_waitcnt lgkmcnt(0)
	s_mul_i32 s26, s14, s2
	s_sub_i32 s10, s8, s3
	s_ashr_i32 s27, s26, 31
	v_cmp_gt_i32_e64 s[2:3], s16, v1
	v_cmp_le_i32_e32 vcc, s16, v1
	v_mbcnt_lo_u32_b32 v43, -1, 0
	s_barrier
	s_waitcnt lgkmcnt(0)
                                        ; implicit-def: $sgpr11
                                        ; implicit-def: $vgpr74
                                        ; implicit-def: $vgpr75
	s_and_saveexec_b64 s[8:9], vcc
	s_xor_b64 s[8:9], exec, s[8:9]
; %bb.5:
	v_mbcnt_hi_u32_b32 v74, -1, v43
	v_and_b32_e32 v2, 64, v74
	v_add_u32_e32 v75, 64, v2
	s_mov_b32 s11, 0xff7fffff
                                        ; implicit-def: $vgpr2
                                        ; implicit-def: $vgpr42
                                        ; implicit-def: $vgpr43
; %bb.6:
	s_or_saveexec_b64 s[34:35], s[8:9]
	s_load_dwordx2 s[22:23], s[0:1], 0x0
	s_load_dwordx2 s[28:29], s[0:1], 0x18
	s_load_dword s15, s[0:1], 0x88
	v_mov_b32_e32 v76, s11
	s_mul_i32 s18, s10, s18
	v_lshrrev_b32_e32 v88, 4, v0
	s_xor_b64 exec, exec, s[34:35]
	s_cbranch_execz .LBB51_12
; %bb.7:
	s_load_dwordx2 s[0:1], s[0:1], 0x10
	s_ashr_i32 s19, s18, 31
	s_lshl_b64 s[8:9], s[18:19], 2
	v_bfe_u32 v46, v0, 1, 5
	v_lshlrev_b32_e32 v44, 4, v46
	s_waitcnt lgkmcnt(0)
	s_add_u32 s0, s0, s8
	s_addc_u32 s1, s1, s9
	v_mov_b32_e32 v45, 0
	v_lshl_add_u64 v[4:5], s[0:1], 0, v[44:45]
	v_and_b32_e32 v44, 8, v2
	v_lshlrev_b32_e32 v62, 8, v42
	v_mbcnt_hi_u32_b32 v74, -1, v43
	v_lshl_add_u64 v[66:67], v[4:5], 0, v[44:45]
	ds_read_b128 v[2:5], v62
	ds_read_b128 v[6:9], v62 offset:16
	ds_read_b128 v[10:13], v62 offset:32
	;; [unrolled: 1-line block ×9, first 2 shown]
	v_and_b32_e32 v44, 64, v74
	v_xor_b32_e32 v43, 1, v74
	v_add_u32_e32 v75, 64, v44
	s_sub_i32 s19, 1, s33
	s_lshl_b64 s[8:9], s[26:27], 2
	v_lshlrev_b32_e32 v47, 2, v46
	v_cmp_lt_i32_e32 vcc, v43, v75
	s_add_u32 s8, s24, s8
	v_and_b32_e32 v44, 60, v88
	v_cndmask_b32_e32 v43, v74, v43, vcc
	v_cmp_eq_u32_e32 vcc, 0, v42
	v_lshl_or_b32 v42, v1, 7, v47
	s_addc_u32 s9, s25, s9
	v_lshlrev_b32_e32 v77, 2, v43
	v_lshl_or_b32 v78, v1, 5, v46
	v_add_u32_e32 v79, 0x210, v42
	v_lshl_add_u64 v[68:69], s[8:9], 0, v[44:45]
	ds_read_b128 v[42:45], v62 offset:160
	ds_read_b128 v[46:49], v62 offset:176
	;; [unrolled: 1-line block ×6, first 2 shown]
	s_mov_b32 s21, s17
	v_cmp_neq_f32_e64 s[0:1], s30, 0
	s_mov_b64 s[36:37], 0
	v_mov_b32_e32 v76, 0xff7fffff
	s_movk_i32 s38, 0x1000
	s_movk_i32 s39, 0x2000
	s_movk_i32 s40, 0x3000
	v_mov_b32_e32 v80, v1
	s_branch .LBB51_9
.LBB51_8:                               ;   in Loop: Header=BB51_9 Depth=1
	s_or_b64 exec, exec, s[10:11]
	v_add_u32_e32 v80, 2, v80
	v_cmp_le_i32_e64 s[8:9], s16, v80
	v_add_u32_e32 v78, 64, v78
	v_add_u32_e32 v79, 0x100, v79
	s_or_b64 s[36:37], s[8:9], s[36:37]
	v_lshl_add_u64 v[68:69], v[68:69], 0, 8
	s_andn2_b64 exec, exec, s[36:37]
	s_cbranch_execz .LBB51_11
.LBB51_9:                               ; =>This Inner Loop Header: Depth=1
	global_load_dword v70, v[68:69], off
	s_waitcnt vmcnt(0) lgkmcnt(0)
	v_mad_i64_i32 v[70:71], s[8:9], v70, s21, 0
	v_lshl_add_u64 v[84:85], v[70:71], 2, v[66:67]
	global_load_dwordx2 v[70:71], v[84:85], off offset:512
	global_load_dwordx2 v[72:73], v[84:85], off
	global_load_dwordx2 v[90:91], v[84:85], off offset:1024
	global_load_dwordx2 v[92:93], v[84:85], off offset:1536
	;; [unrolled: 1-line block ×4, first 2 shown]
	v_add_co_u32_e64 v98, s[8:9], s38, v84
	s_waitcnt vmcnt(5) lgkmcnt(14)
	v_mul_f32_e32 v81, v4, v70
	v_mul_f32_e32 v82, v5, v71
	s_waitcnt vmcnt(4)
	v_fmac_f32_e32 v81, v2, v72
	v_fmac_f32_e32 v82, v3, v73
	v_add_co_u32_e64 v72, s[10:11], s39, v84
	s_waitcnt vmcnt(3)
	v_fmac_f32_e32 v81, v6, v90
	v_fmac_f32_e32 v82, v7, v91
	v_add_co_u32_e64 v70, s[12:13], s40, v84
	s_waitcnt vmcnt(2)
	v_fmac_f32_e32 v81, v8, v92
	v_fmac_f32_e32 v82, v9, v93
	global_load_dwordx2 v[90:91], v[84:85], off offset:3072
	v_addc_co_u32_e64 v99, s[8:9], 0, v85, s[8:9]
	v_addc_co_u32_e64 v73, s[8:9], 0, v85, s[10:11]
	;; [unrolled: 1-line block ×3, first 2 shown]
	s_waitcnt vmcnt(2) lgkmcnt(13)
	v_fmac_f32_e32 v81, v10, v94
	v_fmac_f32_e32 v82, v11, v95
	global_load_dwordx2 v[94:95], v[98:99], off offset:512
	global_load_dwordx2 v[92:93], v[72:73], off offset:-4096
	s_waitcnt vmcnt(3)
	v_fmac_f32_e32 v81, v12, v96
	global_load_dwordx2 v[84:85], v[84:85], off offset:3584
	v_fmac_f32_e32 v82, v13, v97
	s_waitcnt vmcnt(3) lgkmcnt(12)
	v_fmac_f32_e32 v81, v14, v90
	v_fmac_f32_e32 v82, v15, v91
	global_load_dwordx2 v[90:91], v[98:99], off offset:1024
	s_waitcnt vmcnt(1)
	v_fmac_f32_e32 v81, v16, v84
	v_fmac_f32_e32 v82, v17, v85
	global_load_dwordx2 v[84:85], v[98:99], off offset:1536
	s_waitcnt lgkmcnt(11)
	v_fmac_f32_e32 v81, v18, v92
	v_fmac_f32_e32 v82, v19, v93
	global_load_dwordx2 v[92:93], v[98:99], off offset:2048
	v_fmac_f32_e32 v81, v20, v94
	v_fmac_f32_e32 v82, v21, v95
	global_load_dwordx2 v[94:95], v[98:99], off offset:2560
	s_waitcnt vmcnt(3) lgkmcnt(10)
	v_fmac_f32_e32 v81, v22, v90
	v_fmac_f32_e32 v82, v23, v91
	global_load_dwordx2 v[90:91], v[98:99], off offset:3072
	global_load_dwordx2 v[96:97], v[98:99], off offset:3584
	s_waitcnt vmcnt(4)
	v_fmac_f32_e32 v81, v24, v84
	v_fmac_f32_e32 v82, v25, v85
	global_load_dwordx2 v[84:85], v[72:73], off
	s_waitcnt vmcnt(4) lgkmcnt(9)
	v_fmac_f32_e32 v81, v26, v92
	v_fmac_f32_e32 v82, v27, v93
	global_load_dwordx2 v[92:93], v[72:73], off offset:512
	s_waitcnt vmcnt(4)
	v_fmac_f32_e32 v81, v28, v94
	v_fmac_f32_e32 v82, v29, v95
	global_load_dwordx2 v[94:95], v[72:73], off offset:1024
	s_waitcnt vmcnt(4) lgkmcnt(8)
	v_fmac_f32_e32 v81, v30, v90
	v_fmac_f32_e32 v82, v31, v91
	global_load_dwordx2 v[90:91], v[72:73], off offset:1536
	s_waitcnt vmcnt(4)
	v_fmac_f32_e32 v81, v32, v96
	v_fmac_f32_e32 v82, v33, v97
	global_load_dwordx2 v[96:97], v[72:73], off offset:2048
	;; [unrolled: 8-line block ×3, first 2 shown]
	s_nop 0
	global_load_dwordx2 v[72:73], v[72:73], off offset:3584
	s_waitcnt vmcnt(5) lgkmcnt(6)
	v_fmac_f32_e32 v81, v38, v94
	v_fmac_f32_e32 v82, v39, v95
	global_load_dwordx2 v[94:95], v[70:71], off
	s_waitcnt vmcnt(5)
	v_fmac_f32_e32 v81, v40, v90
	v_fmac_f32_e32 v82, v41, v91
	global_load_dwordx2 v[90:91], v[70:71], off offset:512
	s_waitcnt vmcnt(5) lgkmcnt(5)
	v_fmac_f32_e32 v81, v42, v96
	v_fmac_f32_e32 v82, v43, v97
	global_load_dwordx2 v[96:97], v[70:71], off offset:1024
	s_waitcnt vmcnt(5)
	v_fmac_f32_e32 v81, v44, v84
	v_fmac_f32_e32 v82, v45, v85
	global_load_dwordx2 v[84:85], v[70:71], off offset:1536
	s_waitcnt vmcnt(5) lgkmcnt(4)
	v_fmac_f32_e32 v81, v46, v92
	v_fmac_f32_e32 v82, v47, v93
	global_load_dwordx2 v[92:93], v[70:71], off offset:2048
	;; [unrolled: 8-line block ×3, first 2 shown]
	s_nop 0
	global_load_dwordx2 v[70:71], v[70:71], off offset:3584
	s_waitcnt vmcnt(6)
	v_fmac_f32_e32 v81, v52, v90
	v_fmac_f32_e32 v82, v53, v91
	s_waitcnt vmcnt(5) lgkmcnt(2)
	v_fmac_f32_e32 v81, v54, v96
	v_fmac_f32_e32 v82, v55, v97
	s_waitcnt vmcnt(4)
	v_fmac_f32_e32 v81, v56, v84
	v_fmac_f32_e32 v82, v57, v85
	s_waitcnt vmcnt(3) lgkmcnt(1)
	v_fmac_f32_e32 v81, v58, v92
	v_fmac_f32_e32 v82, v59, v93
	;; [unrolled: 6-line block ×3, first 2 shown]
	s_waitcnt vmcnt(0)
	v_fmac_f32_e32 v81, v64, v70
	v_fmac_f32_e32 v82, v65, v71
	v_add_f32_e32 v70, v81, v82
	ds_bpermute_b32 v71, v77, v70
	s_and_saveexec_b64 s[10:11], vcc
	s_cbranch_execz .LBB51_8
; %bb.10:                               ;   in Loop: Header=BB51_9 Depth=1
	v_add_u32_e32 v72, s19, v78
	v_cvt_f32_i32_e32 v72, v72
	s_waitcnt lgkmcnt(0)
	v_add_f32_e32 v70, v70, v71
	v_cmp_gt_i32_e64 s[8:9], s33, v78
	v_max_f32_e32 v71, v76, v76
	v_mul_f32_e32 v72, s30, v72
	v_cndmask_b32_e64 v72, 0, v72, s[0:1]
	v_fmac_f32_e32 v72, s31, v70
	v_cndmask_b32_e64 v70, 0, v72, s[8:9]
	ds_write_b32 v79, v70
	v_max_f32_e32 v70, v71, v72
	v_cndmask_b32_e64 v76, v76, v70, s[8:9]
	s_branch .LBB51_8
.LBB51_11:
	s_or_b64 exec, exec, s[36:37]
.LBB51_12:
	s_or_b64 exec, exec, s[34:35]
	v_xor_b32_e32 v2, 32, v74
	v_cmp_lt_i32_e32 vcc, v2, v75
	v_xor_b32_e32 v5, 16, v74
	v_max_f32_e32 v4, v76, v76
	v_cndmask_b32_e32 v2, v74, v2, vcc
	v_lshlrev_b32_e32 v2, 2, v2
	ds_bpermute_b32 v3, v2, v76
	v_cmp_lt_i32_e32 vcc, v5, v75
	v_xor_b32_e32 v6, 8, v74
	v_xor_b32_e32 v7, 4, v74
	v_and_b32_e32 v114, 63, v0
	s_waitcnt lgkmcnt(0)
	v_max_f32_e32 v3, v3, v3
	v_max_f32_e32 v4, v4, v3
	v_cndmask_b32_e32 v3, v74, v5, vcc
	v_lshlrev_b32_e32 v3, 2, v3
	ds_bpermute_b32 v5, v3, v4
	v_cmp_lt_i32_e32 vcc, v6, v75
	s_waitcnt lgkmcnt(0)
	v_max_f32_e32 v5, v5, v5
	v_max_f32_e32 v5, v4, v5
	v_cndmask_b32_e32 v4, v74, v6, vcc
	v_lshlrev_b32_e32 v4, 2, v4
	ds_bpermute_b32 v6, v4, v5
	v_cmp_lt_i32_e32 vcc, v7, v75
	s_waitcnt lgkmcnt(0)
	v_max_f32_e32 v6, v6, v6
	v_max_f32_e32 v5, v5, v6
	v_cndmask_b32_e32 v6, v74, v7, vcc
	v_lshlrev_b32_e32 v116, 2, v6
	ds_bpermute_b32 v6, v116, v5
	v_xor_b32_e32 v7, 2, v74
	v_cmp_lt_i32_e32 vcc, v7, v75
	s_waitcnt lgkmcnt(0)
	v_max_f32_e32 v6, v6, v6
	v_max_f32_e32 v6, v5, v6
	v_cndmask_b32_e32 v5, v74, v7, vcc
	v_lshlrev_b32_e32 v115, 2, v5
	ds_bpermute_b32 v7, v115, v6
	v_cmp_eq_u32_e32 vcc, 0, v114
	v_lshlrev_b32_e32 v5, 2, v1
	s_and_saveexec_b64 s[0:1], vcc
	s_cbranch_execz .LBB51_14
; %bb.13:
	s_waitcnt lgkmcnt(0)
	v_max_f32_e32 v7, v7, v7
	v_max_f32_e32 v6, v6, v6
	;; [unrolled: 1-line block ×3, first 2 shown]
	ds_write_b32 v5, v6 offset:512
.LBB51_14:
	s_or_b64 exec, exec, s[0:1]
	v_cmp_gt_u32_e64 s[0:1], 2, v114
	s_waitcnt lgkmcnt(0)
	v_mov_b32_e32 v7, 0xff7fffff
	v_lshlrev_b32_e32 v6, 2, v114
	s_barrier
	s_and_saveexec_b64 s[8:9], s[0:1]
	s_cbranch_execz .LBB51_16
; %bb.15:
	ds_read_b32 v7, v6 offset:512
.LBB51_16:
	s_or_b64 exec, exec, s[8:9]
	v_xor_b32_e32 v8, 1, v74
	v_cmp_lt_i32_e64 s[8:9], v8, v75
	v_lshlrev_b32_e32 v9, 2, v74
	s_nop 0
	v_cndmask_b32_e64 v8, v74, v8, s[8:9]
	v_lshlrev_b32_e32 v117, 2, v8
	s_waitcnt lgkmcnt(0)
	ds_bpermute_b32 v8, v117, v7
	v_max_f32_e32 v7, v7, v7
	s_lshl_b32 s8, s16, 5
	s_min_i32 s19, s8, s33
	v_cmp_gt_i32_e64 s[8:9], s19, v0
	s_waitcnt lgkmcnt(0)
	v_max_f32_e32 v8, v8, v8
	v_max_f32_e32 v8, v7, v8
	v_and_b32_e32 v7, 0xffffff00, v9
	ds_bpermute_b32 v9, v7, v8
	v_mov_b32_e32 v8, 0
	s_and_saveexec_b64 s[12:13], s[8:9]
	s_cbranch_execz .LBB51_20
; %bb.17:
	v_mov_b32_e32 v8, 0x210
	v_lshl_add_u32 v10, v0, 2, v8
	s_mov_b64 s[30:31], 0
	v_mov_b32_e32 v8, 0
	v_mov_b32_e32 v11, v0
.LBB51_18:                              ; =>This Inner Loop Header: Depth=1
	ds_read_b32 v12, v10
	v_add_u32_e32 v11, 0x80, v11
	v_cmp_le_i32_e64 s[10:11], s19, v11
	s_or_b64 s[30:31], s[10:11], s[30:31]
	s_waitcnt lgkmcnt(0)
	v_sub_f32_e32 v12, v12, v9
	v_mul_f32_e32 v12, 0x3fb8aa3b, v12
	v_exp_f32_e32 v12, v12
	ds_write_b32 v10, v12
	v_add_f32_e32 v8, v8, v12
	v_add_u32_e32 v10, 0x200, v10
	s_andn2_b64 exec, exec, s[30:31]
	s_cbranch_execnz .LBB51_18
; %bb.19:
	s_or_b64 exec, exec, s[30:31]
.LBB51_20:
	s_or_b64 exec, exec, s[12:13]
	ds_bpermute_b32 v2, v2, v8
	s_waitcnt lgkmcnt(0)
	v_add_f32_e32 v2, v8, v2
	ds_bpermute_b32 v3, v3, v2
	s_waitcnt lgkmcnt(0)
	v_add_f32_e32 v2, v2, v3
	;; [unrolled: 3-line block ×6, first 2 shown]
	s_and_saveexec_b64 s[10:11], vcc
	s_cbranch_execz .LBB51_22
; %bb.21:
	ds_write_b32 v5, v2 offset:520
.LBB51_22:
	s_or_b64 exec, exec, s[10:11]
	s_waitcnt lgkmcnt(0)
	s_barrier
	s_and_saveexec_b64 s[10:11], s[0:1]
	s_cbranch_execz .LBB51_24
; %bb.23:
	ds_read_b32 v2, v6 offset:520
.LBB51_24:
	s_or_b64 exec, exec, s[10:11]
	s_waitcnt lgkmcnt(0)
	ds_bpermute_b32 v3, v117, v2
	s_waitcnt lgkmcnt(0)
	v_add_f32_e32 v2, v2, v3
	ds_bpermute_b32 v2, v7, v2
	s_and_saveexec_b64 s[0:1], s[8:9]
	s_cbranch_execz .LBB51_37
; %bb.25:
	s_waitcnt lgkmcnt(0)
	v_add_f32_e32 v2, 0x358637bd, v2
	v_div_scale_f32 v3, s[8:9], v2, v2, 1.0
	v_rcp_f32_e32 v4, v3
	v_div_scale_f32 v5, vcc, 1.0, v2, 1.0
	s_movk_i32 s8, 0x7f
	v_fma_f32 v6, -v3, v4, 1.0
	v_fmac_f32_e32 v4, v6, v4
	v_mul_f32_e32 v6, v5, v4
	v_fma_f32 v7, -v3, v6, v5
	v_fmac_f32_e32 v6, v7, v4
	v_fma_f32 v3, -v3, v6, v5
	v_div_fmas_f32 v3, v3, v4, v6
	v_xad_u32 v4, v0, -1, s19
	v_div_fixup_f32 v2, v3, v2, 1.0
	v_cmp_lt_u32_e32 vcc, s8, v4
	s_mov_b64 s[10:11], -1
	v_mov_b32_e32 v3, v0
	s_and_saveexec_b64 s[8:9], vcc
	s_cbranch_execz .LBB51_34
; %bb.26:
	v_lshrrev_b32_e32 v4, 7, v4
	v_add_u32_e32 v6, -1, v4
	v_lshrrev_b32_e32 v5, 1, v6
	v_mov_b32_e32 v3, v2
	v_add_u32_e32 v5, 1, v5
	v_cmp_lt_u32_e32 vcc, 13, v6
	v_mov_b32_e32 v8, 0
	s_and_saveexec_b64 s[10:11], vcc
	s_cbranch_execz .LBB51_30
; %bb.27:
	v_mov_b32_e32 v7, 0x210
	v_and_b32_e32 v6, -8, v5
	v_lshl_add_u32 v7, v0, 2, v7
	s_mov_b32 s21, 0
	s_mov_b64 s[12:13], 0
.LBB51_28:                              ; =>This Inner Loop Header: Depth=1
	ds_read2st64_b32 v[8:9], v7 offset1:2
	ds_read2st64_b32 v[10:11], v7 offset0:4 offset1:6
	ds_read2st64_b32 v[12:13], v7 offset0:8 offset1:10
	ds_read2st64_b32 v[14:15], v7 offset0:12 offset1:14
	v_add_u32_e32 v6, -8, v6
	s_waitcnt lgkmcnt(3)
	v_pk_mul_f32 v[8:9], v[2:3], v[8:9]
	s_waitcnt lgkmcnt(2)
	v_pk_mul_f32 v[10:11], v[2:3], v[10:11]
	ds_write2st64_b32 v7, v8, v9 offset1:2
	ds_write2st64_b32 v7, v10, v11 offset0:4 offset1:6
	ds_read2st64_b32 v[10:11], v7 offset0:16 offset1:18
	s_waitcnt lgkmcnt(4)
	v_pk_mul_f32 v[8:9], v[2:3], v[12:13]
	ds_write2st64_b32 v7, v8, v9 offset0:8 offset1:10
	s_waitcnt lgkmcnt(4)
	v_pk_mul_f32 v[8:9], v[2:3], v[14:15]
	ds_write2st64_b32 v7, v8, v9 offset0:12 offset1:14
	ds_read2st64_b32 v[8:9], v7 offset0:20 offset1:22
	s_waitcnt lgkmcnt(3)
	v_pk_mul_f32 v[10:11], v[2:3], v[10:11]
	ds_read2st64_b32 v[12:13], v7 offset0:24 offset1:26
	ds_write2st64_b32 v7, v10, v11 offset0:16 offset1:18
	ds_read2st64_b32 v[10:11], v7 offset0:28 offset1:30
	s_waitcnt lgkmcnt(3)
	v_pk_mul_f32 v[8:9], v[2:3], v[8:9]
	ds_write2st64_b32 v7, v8, v9 offset0:20 offset1:22
	s_waitcnt lgkmcnt(3)
	v_pk_mul_f32 v[8:9], v[2:3], v[12:13]
	ds_write2st64_b32 v7, v8, v9 offset0:24 offset1:26
	s_waitcnt lgkmcnt(2)
	v_pk_mul_f32 v[8:9], v[2:3], v[10:11]
	s_add_i32 s21, s21, 16
	v_cmp_eq_u32_e32 vcc, 0, v6
	ds_write2st64_b32 v7, v8, v9 offset0:28 offset1:30
	v_add_u32_e32 v7, 0x2000, v7
	s_or_b64 s[12:13], vcc, s[12:13]
	v_mov_b32_e32 v8, s21
	s_andn2_b64 exec, exec, s[12:13]
	s_cbranch_execnz .LBB51_28
; %bb.29:
	s_or_b64 exec, exec, s[12:13]
.LBB51_30:
	s_or_b64 exec, exec, s[10:11]
	v_and_b32_e32 v5, 7, v5
	v_cmp_ne_u32_e32 vcc, 0, v5
	s_and_saveexec_b64 s[10:11], vcc
	s_cbranch_execz .LBB51_33
; %bb.31:
	v_lshlrev_b32_e32 v6, 9, v8
	s_movk_i32 s12, 0x210
	v_add3_u32 v6, v6, v86, s12
	s_mov_b64 s[12:13], 0
.LBB51_32:                              ; =>This Inner Loop Header: Depth=1
	ds_read2st64_b32 v[8:9], v6 offset1:2
	v_add_u32_e32 v5, -1, v5
	v_cmp_eq_u32_e32 vcc, 0, v5
	s_or_b64 s[12:13], vcc, s[12:13]
	s_waitcnt lgkmcnt(0)
	v_pk_mul_f32 v[8:9], v[2:3], v[8:9]
	ds_write2st64_b32 v6, v8, v9 offset1:2
	v_add_u32_e32 v6, 0x400, v6
	s_andn2_b64 exec, exec, s[12:13]
	s_cbranch_execnz .LBB51_32
.LBB51_33:
	s_or_b64 exec, exec, s[10:11]
	v_add_u32_e32 v4, 1, v4
	v_and_b32_e32 v5, 0x3fffffe, v4
	v_cmp_ne_u32_e32 vcc, v4, v5
	v_lshl_add_u32 v3, v5, 7, v0
	s_orn2_b64 s[10:11], vcc, exec
.LBB51_34:
	s_or_b64 exec, exec, s[8:9]
	s_and_b64 exec, exec, s[10:11]
	s_cbranch_execz .LBB51_37
; %bb.35:
	v_mov_b32_e32 v4, 0x210
	v_lshl_add_u32 v4, v3, 2, v4
	s_mov_b64 s[8:9], 0
.LBB51_36:                              ; =>This Inner Loop Header: Depth=1
	ds_read_b32 v5, v4
	v_add_u32_e32 v3, 0x80, v3
	v_cmp_le_i32_e32 vcc, s19, v3
	s_or_b64 s[8:9], vcc, s[8:9]
	s_waitcnt lgkmcnt(0)
	v_mul_f32_e32 v5, v2, v5
	ds_write_b32 v4, v5
	v_add_u32_e32 v4, 0x200, v4
	s_andn2_b64 exec, exec, s[8:9]
	s_cbranch_execnz .LBB51_36
.LBB51_37:
	s_or_b64 exec, exec, s[0:1]
	v_mov_b32_e32 v84, 0
	v_and_b32_e32 v118, 7, v0
	v_mov_b32_e32 v85, 0
	v_mov_b32_e32 v82, 0
	;; [unrolled: 1-line block ×15, first 2 shown]
	s_waitcnt lgkmcnt(0)
	s_barrier
	s_and_saveexec_b64 s[8:9], s[2:3]
	s_cbranch_execz .LBB51_73
; %bb.38:
	s_ashr_i32 s19, s18, 31
	s_lshl_b64 s[0:1], s[18:19], 2
	s_add_u32 s2, s28, s0
	v_and_b32_e32 v3, 28, v86
	s_addc_u32 s3, s29, s1
	s_add_i32 s18, s16, -1
	v_lshlrev_b32_e32 v5, 5, v1
	s_lshl_b64 s[0:1], s[26:27], 2
	v_and_b32_e32 v2, 0xfc, v86
	v_or3_b32 v119, v5, v3, 3
	v_lshlrev_b32_e32 v3, 4, v118
	s_add_u32 s0, s24, s0
	v_mov_b32_e32 v87, 0
	v_or_b32_e32 v4, 0x400, v2
	v_or_b32_e32 v6, 0x500, v2
	;; [unrolled: 1-line block ×12, first 2 shown]
	v_lshl_or_b32 v3, v1, 7, v3
	v_and_b32_e32 v86, 60, v88
	s_addc_u32 s1, s25, s1
	v_add_u32_e32 v120, 0x210, v3
	v_lshl_add_u64 v[88:89], s[0:1], 0, v[86:87]
	s_mov_b64 s[10:11], 0
	v_lshlrev_b32_e32 v90, 2, v2
	v_lshlrev_b32_e32 v86, 2, v4
	;; [unrolled: 1-line block ×13, first 2 shown]
	v_mov_b32_e32 v91, v87
	v_mov_b32_e32 v71, v87
	;; [unrolled: 1-line block ×17, first 2 shown]
	s_branch .LBB51_40
.LBB51_39:                              ;   in Loop: Header=BB51_40 Depth=1
	s_or_b64 exec, exec, s[0:1]
	s_waitcnt vmcnt(1) lgkmcnt(0)
	v_mul_f32_e32 v67, v3, v67
	v_mul_f32_e32 v63, v3, v63
	v_mul_f32_e32 v55, v3, v55
	v_mul_f32_e32 v51, v3, v51
	v_mul_f32_e32 v47, v3, v47
	v_mul_f32_e32 v43, v3, v43
	v_mul_f32_e32 v39, v3, v39
	v_mul_f32_e32 v35, v3, v35
	v_mul_f32_e32 v31, v3, v31
	v_mul_f32_e32 v27, v3, v27
	v_mul_f32_e32 v23, v3, v23
	v_mul_f32_e32 v19, v3, v19
	v_mul_f32_e32 v15, v3, v15
	v_mul_f32_e32 v11, v3, v11
	v_mul_f32_e32 v7, v3, v7
	s_waitcnt vmcnt(0)
	v_mul_f32_e32 v3, v3, v59
	v_fmac_f32_e32 v67, v2, v66
	v_fmac_f32_e32 v63, v2, v62
	;; [unrolled: 1-line block ×32, first 2 shown]
	v_add_u32_e32 v1, 2, v1
	v_fmac_f32_e32 v67, v5, v69
	v_fmac_f32_e32 v63, v5, v65
	;; [unrolled: 1-line block ×16, first 2 shown]
	v_cmp_le_i32_e32 vcc, s16, v1
	v_add_f32_e32 v70, v70, v67
	v_add_f32_e32 v73, v73, v63
	;; [unrolled: 1-line block ×16, first 2 shown]
	v_add_u32_e32 v119, 64, v119
	v_add_u32_e32 v120, 0x100, v120
	s_or_b64 s[10:11], vcc, s[10:11]
	v_lshl_add_u64 v[88:89], v[88:89], 0, 8
	s_andn2_b64 exec, exec, s[10:11]
	s_cbranch_execz .LBB51_72
.LBB51_40:                              ; =>This Inner Loop Header: Depth=1
	global_load_dword v2, v[88:89], off
	v_add_u32_e32 v121, -3, v119
	v_cmp_eq_u32_e32 vcc, s18, v1
	v_add_u32_e32 v123, -2, v119
	v_add_u32_e32 v122, -1, v119
	s_waitcnt vmcnt(0)
	v_mad_i64_i32 v[2:3], s[0:1], v2, s17, 0
	v_lshl_add_u64 v[58:59], v[2:3], 2, s[2:3]
	v_lshl_add_u64 v[18:19], v[58:59], 0, v[90:91]
	global_load_dwordx4 v[6:9], v[18:19], off
	ds_read_b128 v[2:5], v120
	s_and_saveexec_b64 s[12:13], vcc
	s_cbranch_execnz .LBB51_69
; %bb.41:                               ;   in Loop: Header=BB51_40 Depth=1
	s_or_b64 exec, exec, s[12:13]
	global_load_dwordx4 v[10:13], v[18:19], off offset:1024
	s_and_saveexec_b64 s[12:13], vcc
	s_cbranch_execnz .LBB51_70
.LBB51_42:                              ;   in Loop: Header=BB51_40 Depth=1
	s_or_b64 exec, exec, s[12:13]
	global_load_dwordx4 v[14:17], v[18:19], off offset:2048
	s_and_saveexec_b64 s[12:13], vcc
	s_cbranch_execnz .LBB51_71
.LBB51_43:                              ;   in Loop: Header=BB51_40 Depth=1
	s_or_b64 exec, exec, s[12:13]
	global_load_dwordx4 v[18:21], v[18:19], off offset:3072
	s_and_saveexec_b64 s[12:13], vcc
	s_cbranch_execz .LBB51_45
.LBB51_44:                              ;   in Loop: Header=BB51_40 Depth=1
	v_cmp_gt_i32_e64 s[0:1], s33, v121
	s_waitcnt vmcnt(0)
	s_nop 0
	v_cndmask_b32_e64 v18, 0, v18, s[0:1]
	v_cmp_gt_i32_e64 s[0:1], s33, v123
	s_nop 1
	v_cndmask_b32_e64 v19, 0, v19, s[0:1]
	v_cmp_gt_i32_e64 s[0:1], s33, v122
	;; [unrolled: 3-line block ×3, first 2 shown]
	s_nop 1
	v_cndmask_b32_e64 v21, 0, v21, s[0:1]
.LBB51_45:                              ;   in Loop: Header=BB51_40 Depth=1
	s_or_b64 exec, exec, s[12:13]
	v_lshl_add_u64 v[22:23], v[58:59], 0, v[86:87]
	global_load_dwordx4 v[22:25], v[22:23], off
	s_and_saveexec_b64 s[12:13], vcc
	s_cbranch_execz .LBB51_47
; %bb.46:                               ;   in Loop: Header=BB51_40 Depth=1
	v_cmp_gt_i32_e64 s[0:1], s33, v121
	s_waitcnt vmcnt(0)
	s_nop 0
	v_cndmask_b32_e64 v22, 0, v22, s[0:1]
	v_cmp_gt_i32_e64 s[0:1], s33, v123
	s_nop 1
	v_cndmask_b32_e64 v23, 0, v23, s[0:1]
	v_cmp_gt_i32_e64 s[0:1], s33, v122
	s_nop 1
	v_cndmask_b32_e64 v24, 0, v24, s[0:1]
	v_cmp_gt_i32_e64 s[0:1], s33, v119
	s_nop 1
	v_cndmask_b32_e64 v25, 0, v25, s[0:1]
.LBB51_47:                              ;   in Loop: Header=BB51_40 Depth=1
	s_or_b64 exec, exec, s[12:13]
	v_mov_b32_e32 v93, v87
	v_lshl_add_u64 v[26:27], v[58:59], 0, v[92:93]
	global_load_dwordx4 v[26:29], v[26:27], off
	s_and_saveexec_b64 s[12:13], vcc
	s_cbranch_execz .LBB51_49
; %bb.48:                               ;   in Loop: Header=BB51_40 Depth=1
	v_cmp_gt_i32_e64 s[0:1], s33, v121
	s_waitcnt vmcnt(0)
	s_nop 0
	v_cndmask_b32_e64 v26, 0, v26, s[0:1]
	v_cmp_gt_i32_e64 s[0:1], s33, v123
	s_nop 1
	v_cndmask_b32_e64 v27, 0, v27, s[0:1]
	v_cmp_gt_i32_e64 s[0:1], s33, v122
	s_nop 1
	v_cndmask_b32_e64 v28, 0, v28, s[0:1]
	v_cmp_gt_i32_e64 s[0:1], s33, v119
	s_nop 1
	v_cndmask_b32_e64 v29, 0, v29, s[0:1]
.LBB51_49:                              ;   in Loop: Header=BB51_40 Depth=1
	s_or_b64 exec, exec, s[12:13]
	v_mov_b32_e32 v95, v87
	v_lshl_add_u64 v[30:31], v[58:59], 0, v[94:95]
	global_load_dwordx4 v[30:33], v[30:31], off
	s_and_saveexec_b64 s[12:13], vcc
	s_cbranch_execz .LBB51_51
; %bb.50:                               ;   in Loop: Header=BB51_40 Depth=1
	v_cmp_gt_i32_e64 s[0:1], s33, v121
	s_waitcnt vmcnt(0)
	s_nop 0
	v_cndmask_b32_e64 v30, 0, v30, s[0:1]
	v_cmp_gt_i32_e64 s[0:1], s33, v123
	s_nop 1
	v_cndmask_b32_e64 v31, 0, v31, s[0:1]
	v_cmp_gt_i32_e64 s[0:1], s33, v122
	s_nop 1
	v_cndmask_b32_e64 v32, 0, v32, s[0:1]
	v_cmp_gt_i32_e64 s[0:1], s33, v119
	s_nop 1
	v_cndmask_b32_e64 v33, 0, v33, s[0:1]
.LBB51_51:                              ;   in Loop: Header=BB51_40 Depth=1
	s_or_b64 exec, exec, s[12:13]
	v_mov_b32_e32 v97, v87
	v_lshl_add_u64 v[34:35], v[58:59], 0, v[96:97]
	global_load_dwordx4 v[34:37], v[34:35], off
	s_and_saveexec_b64 s[12:13], vcc
	s_cbranch_execz .LBB51_53
; %bb.52:                               ;   in Loop: Header=BB51_40 Depth=1
	v_cmp_gt_i32_e64 s[0:1], s33, v121
	s_waitcnt vmcnt(0)
	s_nop 0
	v_cndmask_b32_e64 v34, 0, v34, s[0:1]
	v_cmp_gt_i32_e64 s[0:1], s33, v123
	s_nop 1
	v_cndmask_b32_e64 v35, 0, v35, s[0:1]
	v_cmp_gt_i32_e64 s[0:1], s33, v122
	s_nop 1
	v_cndmask_b32_e64 v36, 0, v36, s[0:1]
	v_cmp_gt_i32_e64 s[0:1], s33, v119
	s_nop 1
	v_cndmask_b32_e64 v37, 0, v37, s[0:1]
.LBB51_53:                              ;   in Loop: Header=BB51_40 Depth=1
	s_or_b64 exec, exec, s[12:13]
	v_mov_b32_e32 v99, v87
	v_lshl_add_u64 v[38:39], v[58:59], 0, v[98:99]
	global_load_dwordx4 v[38:41], v[38:39], off
	s_and_saveexec_b64 s[12:13], vcc
	s_cbranch_execz .LBB51_55
; %bb.54:                               ;   in Loop: Header=BB51_40 Depth=1
	v_cmp_gt_i32_e64 s[0:1], s33, v121
	s_waitcnt vmcnt(0)
	s_nop 0
	v_cndmask_b32_e64 v38, 0, v38, s[0:1]
	v_cmp_gt_i32_e64 s[0:1], s33, v123
	s_nop 1
	v_cndmask_b32_e64 v39, 0, v39, s[0:1]
	v_cmp_gt_i32_e64 s[0:1], s33, v122
	s_nop 1
	v_cndmask_b32_e64 v40, 0, v40, s[0:1]
	v_cmp_gt_i32_e64 s[0:1], s33, v119
	s_nop 1
	v_cndmask_b32_e64 v41, 0, v41, s[0:1]
.LBB51_55:                              ;   in Loop: Header=BB51_40 Depth=1
	s_or_b64 exec, exec, s[12:13]
	v_mov_b32_e32 v101, v87
	v_lshl_add_u64 v[42:43], v[58:59], 0, v[100:101]
	global_load_dwordx4 v[42:45], v[42:43], off
	s_and_saveexec_b64 s[12:13], vcc
	s_cbranch_execz .LBB51_57
; %bb.56:                               ;   in Loop: Header=BB51_40 Depth=1
	v_cmp_gt_i32_e64 s[0:1], s33, v121
	s_waitcnt vmcnt(0)
	s_nop 0
	v_cndmask_b32_e64 v42, 0, v42, s[0:1]
	v_cmp_gt_i32_e64 s[0:1], s33, v123
	s_nop 1
	v_cndmask_b32_e64 v43, 0, v43, s[0:1]
	v_cmp_gt_i32_e64 s[0:1], s33, v122
	s_nop 1
	v_cndmask_b32_e64 v44, 0, v44, s[0:1]
	v_cmp_gt_i32_e64 s[0:1], s33, v119
	s_nop 1
	v_cndmask_b32_e64 v45, 0, v45, s[0:1]
.LBB51_57:                              ;   in Loop: Header=BB51_40 Depth=1
	s_or_b64 exec, exec, s[12:13]
	v_mov_b32_e32 v103, v87
	v_lshl_add_u64 v[46:47], v[58:59], 0, v[102:103]
	global_load_dwordx4 v[46:49], v[46:47], off
	s_and_saveexec_b64 s[12:13], vcc
	s_cbranch_execz .LBB51_59
; %bb.58:                               ;   in Loop: Header=BB51_40 Depth=1
	v_cmp_gt_i32_e64 s[0:1], s33, v121
	s_waitcnt vmcnt(0)
	s_nop 0
	v_cndmask_b32_e64 v46, 0, v46, s[0:1]
	v_cmp_gt_i32_e64 s[0:1], s33, v123
	s_nop 1
	v_cndmask_b32_e64 v47, 0, v47, s[0:1]
	v_cmp_gt_i32_e64 s[0:1], s33, v122
	s_nop 1
	v_cndmask_b32_e64 v48, 0, v48, s[0:1]
	v_cmp_gt_i32_e64 s[0:1], s33, v119
	s_nop 1
	v_cndmask_b32_e64 v49, 0, v49, s[0:1]
.LBB51_59:                              ;   in Loop: Header=BB51_40 Depth=1
	s_or_b64 exec, exec, s[12:13]
	v_mov_b32_e32 v105, v87
	v_lshl_add_u64 v[50:51], v[58:59], 0, v[104:105]
	global_load_dwordx4 v[50:53], v[50:51], off
	s_and_saveexec_b64 s[12:13], vcc
	s_cbranch_execz .LBB51_61
; %bb.60:                               ;   in Loop: Header=BB51_40 Depth=1
	v_cmp_gt_i32_e64 s[0:1], s33, v121
	s_waitcnt vmcnt(0)
	s_nop 0
	v_cndmask_b32_e64 v50, 0, v50, s[0:1]
	v_cmp_gt_i32_e64 s[0:1], s33, v123
	s_nop 1
	v_cndmask_b32_e64 v51, 0, v51, s[0:1]
	v_cmp_gt_i32_e64 s[0:1], s33, v122
	s_nop 1
	v_cndmask_b32_e64 v52, 0, v52, s[0:1]
	v_cmp_gt_i32_e64 s[0:1], s33, v119
	s_nop 1
	v_cndmask_b32_e64 v53, 0, v53, s[0:1]
.LBB51_61:                              ;   in Loop: Header=BB51_40 Depth=1
	s_or_b64 exec, exec, s[12:13]
	v_mov_b32_e32 v107, v87
	v_lshl_add_u64 v[54:55], v[58:59], 0, v[106:107]
	global_load_dwordx4 v[54:57], v[54:55], off
	s_and_saveexec_b64 s[12:13], vcc
	s_cbranch_execz .LBB51_63
; %bb.62:                               ;   in Loop: Header=BB51_40 Depth=1
	v_cmp_gt_i32_e64 s[0:1], s33, v121
	s_waitcnt vmcnt(0)
	s_nop 0
	v_cndmask_b32_e64 v54, 0, v54, s[0:1]
	v_cmp_gt_i32_e64 s[0:1], s33, v123
	s_nop 1
	v_cndmask_b32_e64 v55, 0, v55, s[0:1]
	v_cmp_gt_i32_e64 s[0:1], s33, v122
	s_nop 1
	v_cndmask_b32_e64 v56, 0, v56, s[0:1]
	v_cmp_gt_i32_e64 s[0:1], s33, v119
	s_nop 1
	v_cndmask_b32_e64 v57, 0, v57, s[0:1]
.LBB51_63:                              ;   in Loop: Header=BB51_40 Depth=1
	s_or_b64 exec, exec, s[12:13]
	v_mov_b32_e32 v109, v87
	v_lshl_add_u64 v[60:61], v[58:59], 0, v[108:109]
	global_load_dwordx4 v[62:65], v[60:61], off
	s_and_saveexec_b64 s[12:13], vcc
	s_cbranch_execz .LBB51_65
; %bb.64:                               ;   in Loop: Header=BB51_40 Depth=1
	v_cmp_gt_i32_e64 s[0:1], s33, v121
	s_waitcnt vmcnt(0)
	s_nop 0
	v_cndmask_b32_e64 v62, 0, v62, s[0:1]
	v_cmp_gt_i32_e64 s[0:1], s33, v123
	s_nop 1
	v_cndmask_b32_e64 v63, 0, v63, s[0:1]
	v_cmp_gt_i32_e64 s[0:1], s33, v122
	s_nop 1
	v_cndmask_b32_e64 v64, 0, v64, s[0:1]
	v_cmp_gt_i32_e64 s[0:1], s33, v119
	s_nop 1
	v_cndmask_b32_e64 v65, 0, v65, s[0:1]
.LBB51_65:                              ;   in Loop: Header=BB51_40 Depth=1
	s_or_b64 exec, exec, s[12:13]
	v_mov_b32_e32 v111, v87
	v_lshl_add_u64 v[60:61], v[58:59], 0, v[110:111]
	global_load_dwordx4 v[66:69], v[60:61], off
	s_and_saveexec_b64 s[12:13], vcc
	s_cbranch_execz .LBB51_67
; %bb.66:                               ;   in Loop: Header=BB51_40 Depth=1
	v_cmp_gt_i32_e64 s[0:1], s33, v121
	s_waitcnt vmcnt(0)
	s_nop 0
	v_cndmask_b32_e64 v66, 0, v66, s[0:1]
	v_cmp_gt_i32_e64 s[0:1], s33, v123
	s_nop 1
	v_cndmask_b32_e64 v67, 0, v67, s[0:1]
	v_cmp_gt_i32_e64 s[0:1], s33, v122
	s_nop 1
	v_cndmask_b32_e64 v68, 0, v68, s[0:1]
	v_cmp_gt_i32_e64 s[0:1], s33, v119
	s_nop 1
	v_cndmask_b32_e64 v69, 0, v69, s[0:1]
.LBB51_67:                              ;   in Loop: Header=BB51_40 Depth=1
	s_or_b64 exec, exec, s[12:13]
	v_mov_b32_e32 v113, v87
	v_lshl_add_u64 v[58:59], v[58:59], 0, v[112:113]
	global_load_dwordx4 v[58:61], v[58:59], off
	s_and_saveexec_b64 s[0:1], vcc
	s_cbranch_execz .LBB51_39
; %bb.68:                               ;   in Loop: Header=BB51_40 Depth=1
	v_cmp_gt_i32_e32 vcc, s33, v121
	s_waitcnt vmcnt(0)
	s_nop 0
	v_cndmask_b32_e32 v58, 0, v58, vcc
	v_cmp_gt_i32_e32 vcc, s33, v123
	s_nop 1
	v_cndmask_b32_e32 v59, 0, v59, vcc
	v_cmp_gt_i32_e32 vcc, s33, v122
	;; [unrolled: 3-line block ×3, first 2 shown]
	s_nop 1
	v_cndmask_b32_e32 v61, 0, v61, vcc
	s_branch .LBB51_39
.LBB51_69:                              ;   in Loop: Header=BB51_40 Depth=1
	v_cmp_gt_i32_e64 s[0:1], s33, v121
	s_waitcnt vmcnt(0)
	s_nop 0
	v_cndmask_b32_e64 v6, 0, v6, s[0:1]
	v_cmp_gt_i32_e64 s[0:1], s33, v123
	s_nop 1
	v_cndmask_b32_e64 v7, 0, v7, s[0:1]
	v_cmp_gt_i32_e64 s[0:1], s33, v122
	;; [unrolled: 3-line block ×3, first 2 shown]
	s_nop 1
	v_cndmask_b32_e64 v9, 0, v9, s[0:1]
	s_or_b64 exec, exec, s[12:13]
	global_load_dwordx4 v[10:13], v[18:19], off offset:1024
	s_and_saveexec_b64 s[12:13], vcc
	s_cbranch_execz .LBB51_42
.LBB51_70:                              ;   in Loop: Header=BB51_40 Depth=1
	v_cmp_gt_i32_e64 s[0:1], s33, v121
	s_waitcnt vmcnt(0)
	s_nop 0
	v_cndmask_b32_e64 v10, 0, v10, s[0:1]
	v_cmp_gt_i32_e64 s[0:1], s33, v123
	s_nop 1
	v_cndmask_b32_e64 v11, 0, v11, s[0:1]
	v_cmp_gt_i32_e64 s[0:1], s33, v122
	s_nop 1
	v_cndmask_b32_e64 v12, 0, v12, s[0:1]
	v_cmp_gt_i32_e64 s[0:1], s33, v119
	s_nop 1
	v_cndmask_b32_e64 v13, 0, v13, s[0:1]
	s_or_b64 exec, exec, s[12:13]
	global_load_dwordx4 v[14:17], v[18:19], off offset:2048
	s_and_saveexec_b64 s[12:13], vcc
	s_cbranch_execz .LBB51_43
.LBB51_71:                              ;   in Loop: Header=BB51_40 Depth=1
	v_cmp_gt_i32_e64 s[0:1], s33, v121
	s_waitcnt vmcnt(0)
	s_nop 0
	v_cndmask_b32_e64 v14, 0, v14, s[0:1]
	v_cmp_gt_i32_e64 s[0:1], s33, v123
	s_nop 1
	v_cndmask_b32_e64 v15, 0, v15, s[0:1]
	v_cmp_gt_i32_e64 s[0:1], s33, v122
	;; [unrolled: 3-line block ×3, first 2 shown]
	s_nop 1
	v_cndmask_b32_e64 v17, 0, v17, s[0:1]
	s_or_b64 exec, exec, s[12:13]
	global_load_dwordx4 v[18:21], v[18:19], off offset:3072
	s_and_saveexec_b64 s[12:13], vcc
	s_cbranch_execnz .LBB51_44
	s_branch .LBB51_45
.LBB51_72:
	s_or_b64 exec, exec, s[10:11]
.LBB51_73:
	s_or_b64 exec, exec, s[8:9]
	ds_bpermute_b32 v4, v116, v82
	ds_bpermute_b32 v5, v116, v83
	;; [unrolled: 1-line block ×6, first 2 shown]
	s_waitcnt lgkmcnt(4)
	v_pk_add_f32 v[4:5], v[82:83], v[4:5]
	ds_bpermute_b32 v8, v115, v4
	ds_bpermute_b32 v9, v115, v5
	s_waitcnt lgkmcnt(4)
	v_pk_add_f32 v[2:3], v[84:85], v[2:3]
	ds_bpermute_b32 v6, v115, v2
	ds_bpermute_b32 v7, v115, v3
	;; [unrolled: 1-line block ×3, first 2 shown]
	s_waitcnt lgkmcnt(3)
	v_pk_add_f32 v[4:5], v[4:5], v[8:9]
	v_pk_add_f32 v[8:9], v[80:81], v[10:11]
	ds_bpermute_b32 v10, v115, v8
	ds_bpermute_b32 v11, v115, v9
	;; [unrolled: 1-line block ×3, first 2 shown]
	s_waitcnt lgkmcnt(4)
	v_pk_add_f32 v[2:3], v[2:3], v[6:7]
	ds_bpermute_b32 v6, v117, v2
	ds_bpermute_b32 v7, v117, v3
	s_waitcnt lgkmcnt(3)
	v_pk_add_f32 v[8:9], v[8:9], v[10:11]
	s_waitcnt lgkmcnt(2)
	v_pk_add_f32 v[14:15], v[78:79], v[14:15]
	ds_bpermute_b32 v10, v117, v8
	ds_bpermute_b32 v11, v117, v9
	ds_bpermute_b32 v16, v115, v14
	ds_bpermute_b32 v17, v115, v15
	s_waitcnt lgkmcnt(4)
	v_pk_add_f32 v[6:7], v[2:3], v[6:7]
	ds_bpermute_b32 v20, v116, v72
	s_waitcnt lgkmcnt(3)
	v_pk_add_f32 v[2:3], v[8:9], v[10:11]
	ds_bpermute_b32 v10, v116, v76
	;; [unrolled: 3-line block ×3, first 2 shown]
	ds_bpermute_b32 v15, v116, v75
	ds_bpermute_b32 v11, v116, v77
	ds_bpermute_b32 v21, v116, v73
	ds_bpermute_b32 v24, v116, v70
	ds_bpermute_b32 v25, v116, v71
	s_waitcnt lgkmcnt(4)
	v_pk_add_f32 v[14:15], v[74:75], v[14:15]
	s_waitcnt lgkmcnt(3)
	v_pk_add_f32 v[10:11], v[76:77], v[10:11]
	ds_bpermute_b32 v18, v115, v14
	ds_bpermute_b32 v19, v115, v15
	;; [unrolled: 1-line block ×6, first 2 shown]
	s_waitcnt lgkmcnt(4)
	v_pk_add_f32 v[18:19], v[14:15], v[18:19]
	v_pk_add_f32 v[14:15], v[72:73], v[20:21]
	s_waitcnt lgkmcnt(2)
	v_pk_add_f32 v[10:11], v[10:11], v[16:17]
	ds_bpermute_b32 v20, v115, v14
	ds_bpermute_b32 v21, v115, v15
	v_pk_add_f32 v[24:25], v[70:71], v[24:25]
	s_waitcnt lgkmcnt(2)
	v_pk_add_f32 v[4:5], v[4:5], v[12:13]
	ds_bpermute_b32 v12, v117, v8
	ds_bpermute_b32 v13, v117, v9
	;; [unrolled: 1-line block ×8, first 2 shown]
	s_waitcnt lgkmcnt(8)
	v_pk_add_f32 v[20:21], v[14:15], v[20:21]
	ds_bpermute_b32 v26, v117, v20
	ds_bpermute_b32 v27, v117, v21
	s_waitcnt lgkmcnt(8)
	v_pk_add_f32 v[14:15], v[8:9], v[12:13]
	s_waitcnt lgkmcnt(6)
	v_pk_add_f32 v[12:13], v[10:11], v[16:17]
	;; [unrolled: 2-line block ×4, first 2 shown]
	ds_bpermute_b32 v18, v117, v16
	ds_bpermute_b32 v19, v117, v17
	v_and_b32_e32 v1, 0x3c7, v0
	s_waitcnt lgkmcnt(2)
	v_pk_add_f32 v[8:9], v[20:21], v[26:27]
	v_cmp_ne_u32_e32 vcc, 64, v1
	s_waitcnt lgkmcnt(0)
	s_barrier
	s_and_saveexec_b64 s[0:1], vcc
	s_xor_b64 s[0:1], exec, s[0:1]
; %bb.74:
                                        ; implicit-def: $vgpr114
; %bb.75:
	s_or_saveexec_b64 s[0:1], s[0:1]
	v_pk_add_f32 v[16:17], v[16:17], v[18:19]
	s_xor_b64 exec, exec, s[0:1]
	s_cbranch_execz .LBB51_77
; %bb.76:
	v_lshrrev_b32_e32 v18, 1, v114
	v_add_u32_e32 v18, 0x210, v18
	ds_write2_b32 v18, v6, v7 offset1:8
	ds_write2_b32 v18, v4, v5 offset0:16 offset1:24
	ds_write2_b32 v18, v2, v3 offset0:32 offset1:40
	;; [unrolled: 1-line block ×7, first 2 shown]
.LBB51_77:
	s_or_b64 exec, exec, s[0:1]
	s_waitcnt lgkmcnt(0)
	s_barrier
	s_and_saveexec_b64 s[0:1], s[6:7]
	s_cbranch_execz .LBB51_96
; %bb.78:
	v_cmp_eq_u32_e32 vcc, 0, v118
	v_lshrrev_b32_e32 v18, 3, v0
	s_and_saveexec_b64 s[2:3], vcc
	s_cbranch_execnz .LBB51_99
; %bb.79:
	s_or_b64 exec, exec, s[2:3]
	s_and_saveexec_b64 s[2:3], vcc
	s_cbranch_execnz .LBB51_100
.LBB51_80:
	s_or_b64 exec, exec, s[2:3]
	s_and_saveexec_b64 s[2:3], vcc
	s_cbranch_execnz .LBB51_101
.LBB51_81:
	s_or_b64 exec, exec, s[2:3]
	s_and_saveexec_b64 s[2:3], vcc
	s_cbranch_execnz .LBB51_102
.LBB51_82:
	s_or_b64 exec, exec, s[2:3]
	s_and_saveexec_b64 s[2:3], vcc
	s_cbranch_execnz .LBB51_103
.LBB51_83:
	s_or_b64 exec, exec, s[2:3]
	s_and_saveexec_b64 s[2:3], vcc
	s_cbranch_execnz .LBB51_104
.LBB51_84:
	s_or_b64 exec, exec, s[2:3]
	s_and_saveexec_b64 s[2:3], vcc
	s_cbranch_execnz .LBB51_105
.LBB51_85:
	s_or_b64 exec, exec, s[2:3]
	s_and_saveexec_b64 s[2:3], vcc
	s_cbranch_execnz .LBB51_106
.LBB51_86:
	s_or_b64 exec, exec, s[2:3]
	s_and_saveexec_b64 s[2:3], vcc
	s_cbranch_execnz .LBB51_107
.LBB51_87:
	s_or_b64 exec, exec, s[2:3]
	s_and_saveexec_b64 s[2:3], vcc
	s_cbranch_execnz .LBB51_108
.LBB51_88:
	s_or_b64 exec, exec, s[2:3]
	s_and_saveexec_b64 s[2:3], vcc
	s_cbranch_execnz .LBB51_109
.LBB51_89:
	s_or_b64 exec, exec, s[2:3]
	s_and_saveexec_b64 s[2:3], vcc
	s_cbranch_execnz .LBB51_110
.LBB51_90:
	s_or_b64 exec, exec, s[2:3]
	s_and_saveexec_b64 s[2:3], vcc
	s_cbranch_execnz .LBB51_111
.LBB51_91:
	s_or_b64 exec, exec, s[2:3]
	s_and_saveexec_b64 s[2:3], vcc
	s_cbranch_execnz .LBB51_112
.LBB51_92:
	s_or_b64 exec, exec, s[2:3]
	s_and_saveexec_b64 s[2:3], vcc
	s_cbranch_execnz .LBB51_113
.LBB51_93:
	s_or_b64 exec, exec, s[2:3]
	s_and_saveexec_b64 s[2:3], vcc
	s_cbranch_execz .LBB51_95
.LBB51_94:
	v_mov_b32_e32 v19, 0x210
	v_lshl_add_u32 v18, v18, 2, v19
	ds_read_b32 v18, v18 offset:480
	s_waitcnt lgkmcnt(0)
	v_add_f32_e32 v17, v17, v18
.LBB51_95:
	s_or_b64 exec, exec, s[2:3]
.LBB51_96:
	s_or_b64 exec, exec, s[0:1]
	v_cmp_eq_u32_e32 vcc, 0, v1
	s_barrier
	s_and_saveexec_b64 s[0:1], vcc
	s_cbranch_execz .LBB51_98
; %bb.97:
	s_mul_i32 s0, s14, s15
	s_mul_i32 s0, s0, s5
	s_lshl_b32 s0, s0, 7
	s_ashr_i32 s1, s0, 31
	s_lshl_b64 s[0:1], s[0:1], 2
	s_add_u32 s2, s22, s0
	s_mul_i32 s0, s15, s20
	s_addc_u32 s3, s23, s1
	s_ashr_i32 s1, s0, 31
	s_lshl_b64 s[0:1], s[0:1], 2
	s_add_u32 s2, s2, s0
	s_addc_u32 s3, s3, s1
	s_lshl_b32 s0, s4, 7
	s_ashr_i32 s1, s0, 31
	s_lshl_b64 s[0:1], s[0:1], 2
	s_add_u32 s0, s2, s0
	s_addc_u32 s1, s3, s1
	v_lshrrev_b32_e32 v0, 1, v0
	global_store_dword v0, v6, s[0:1]
	global_store_dword v0, v7, s[0:1] offset:32
	global_store_dword v0, v4, s[0:1] offset:64
	;; [unrolled: 1-line block ×15, first 2 shown]
.LBB51_98:
	s_endpgm
.LBB51_99:
	v_mov_b32_e32 v19, 0x210
	v_lshl_add_u32 v19, v18, 2, v19
	ds_read_b32 v19, v19
	s_waitcnt lgkmcnt(0)
	v_add_f32_e32 v6, v6, v19
	s_or_b64 exec, exec, s[2:3]
	s_and_saveexec_b64 s[2:3], vcc
	s_cbranch_execz .LBB51_80
.LBB51_100:
	v_mov_b32_e32 v19, 0x210
	v_lshl_add_u32 v19, v18, 2, v19
	ds_read_b32 v19, v19 offset:32
	s_waitcnt lgkmcnt(0)
	v_add_f32_e32 v7, v7, v19
	s_or_b64 exec, exec, s[2:3]
	s_and_saveexec_b64 s[2:3], vcc
	s_cbranch_execz .LBB51_81
.LBB51_101:
	v_mov_b32_e32 v19, 0x210
	v_lshl_add_u32 v19, v18, 2, v19
	ds_read_b32 v19, v19 offset:64
	s_waitcnt lgkmcnt(0)
	v_add_f32_e32 v4, v4, v19
	s_or_b64 exec, exec, s[2:3]
	s_and_saveexec_b64 s[2:3], vcc
	s_cbranch_execz .LBB51_82
.LBB51_102:
	v_mov_b32_e32 v19, 0x210
	v_lshl_add_u32 v19, v18, 2, v19
	ds_read_b32 v19, v19 offset:96
	s_waitcnt lgkmcnt(0)
	v_add_f32_e32 v5, v5, v19
	s_or_b64 exec, exec, s[2:3]
	s_and_saveexec_b64 s[2:3], vcc
	s_cbranch_execz .LBB51_83
.LBB51_103:
	v_mov_b32_e32 v19, 0x210
	v_lshl_add_u32 v19, v18, 2, v19
	ds_read_b32 v19, v19 offset:128
	s_waitcnt lgkmcnt(0)
	v_add_f32_e32 v2, v2, v19
	s_or_b64 exec, exec, s[2:3]
	s_and_saveexec_b64 s[2:3], vcc
	s_cbranch_execz .LBB51_84
.LBB51_104:
	v_mov_b32_e32 v19, 0x210
	v_lshl_add_u32 v19, v18, 2, v19
	ds_read_b32 v19, v19 offset:160
	s_waitcnt lgkmcnt(0)
	v_add_f32_e32 v3, v3, v19
	s_or_b64 exec, exec, s[2:3]
	s_and_saveexec_b64 s[2:3], vcc
	s_cbranch_execz .LBB51_85
.LBB51_105:
	v_mov_b32_e32 v19, 0x210
	v_lshl_add_u32 v19, v18, 2, v19
	ds_read_b32 v19, v19 offset:192
	s_waitcnt lgkmcnt(0)
	v_add_f32_e32 v14, v14, v19
	s_or_b64 exec, exec, s[2:3]
	s_and_saveexec_b64 s[2:3], vcc
	s_cbranch_execz .LBB51_86
.LBB51_106:
	v_mov_b32_e32 v19, 0x210
	v_lshl_add_u32 v19, v18, 2, v19
	ds_read_b32 v19, v19 offset:224
	s_waitcnt lgkmcnt(0)
	v_add_f32_e32 v15, v15, v19
	s_or_b64 exec, exec, s[2:3]
	s_and_saveexec_b64 s[2:3], vcc
	s_cbranch_execz .LBB51_87
.LBB51_107:
	v_mov_b32_e32 v19, 0x210
	v_lshl_add_u32 v19, v18, 2, v19
	ds_read_b32 v19, v19 offset:256
	s_waitcnt lgkmcnt(0)
	v_add_f32_e32 v12, v12, v19
	s_or_b64 exec, exec, s[2:3]
	s_and_saveexec_b64 s[2:3], vcc
	s_cbranch_execz .LBB51_88
.LBB51_108:
	v_mov_b32_e32 v19, 0x210
	v_lshl_add_u32 v19, v18, 2, v19
	ds_read_b32 v19, v19 offset:288
	s_waitcnt lgkmcnt(0)
	v_add_f32_e32 v13, v13, v19
	s_or_b64 exec, exec, s[2:3]
	s_and_saveexec_b64 s[2:3], vcc
	s_cbranch_execz .LBB51_89
.LBB51_109:
	v_mov_b32_e32 v19, 0x210
	v_lshl_add_u32 v19, v18, 2, v19
	ds_read_b32 v19, v19 offset:320
	s_waitcnt lgkmcnt(0)
	v_add_f32_e32 v10, v10, v19
	s_or_b64 exec, exec, s[2:3]
	s_and_saveexec_b64 s[2:3], vcc
	s_cbranch_execz .LBB51_90
.LBB51_110:
	v_mov_b32_e32 v19, 0x210
	v_lshl_add_u32 v19, v18, 2, v19
	ds_read_b32 v19, v19 offset:352
	s_waitcnt lgkmcnt(0)
	v_add_f32_e32 v11, v11, v19
	s_or_b64 exec, exec, s[2:3]
	s_and_saveexec_b64 s[2:3], vcc
	s_cbranch_execz .LBB51_91
.LBB51_111:
	v_mov_b32_e32 v19, 0x210
	v_lshl_add_u32 v19, v18, 2, v19
	ds_read_b32 v19, v19 offset:384
	s_waitcnt lgkmcnt(0)
	v_add_f32_e32 v8, v8, v19
	s_or_b64 exec, exec, s[2:3]
	s_and_saveexec_b64 s[2:3], vcc
	s_cbranch_execz .LBB51_92
.LBB51_112:
	v_mov_b32_e32 v19, 0x210
	v_lshl_add_u32 v19, v18, 2, v19
	ds_read_b32 v19, v19 offset:416
	s_waitcnt lgkmcnt(0)
	v_add_f32_e32 v9, v9, v19
	s_or_b64 exec, exec, s[2:3]
	s_and_saveexec_b64 s[2:3], vcc
	s_cbranch_execz .LBB51_93
.LBB51_113:
	v_mov_b32_e32 v19, 0x210
	v_lshl_add_u32 v19, v18, 2, v19
	ds_read_b32 v19, v19 offset:448
	s_waitcnt lgkmcnt(0)
	v_add_f32_e32 v16, v16, v19
	s_or_b64 exec, exec, s[2:3]
	s_and_saveexec_b64 s[2:3], vcc
	s_cbranch_execnz .LBB51_94
	s_branch .LBB51_95
	.section	.rodata,"a",@progbits
	.p2align	6, 0x0
	.amdhsa_kernel _ZN4vllm25paged_attention_v1_kernelIffLi128ELi32ELi128ELNS_18Fp8KVCacheDataTypeE0ELb0EEEvPT_PKS2_PKT0_S8_ifPKiSA_iPKfiiiSC_SC_iiiii
		.amdhsa_group_segment_fixed_size 528
		.amdhsa_private_segment_fixed_size 0
		.amdhsa_kernarg_size 384
		.amdhsa_user_sgpr_count 2
		.amdhsa_user_sgpr_dispatch_ptr 0
		.amdhsa_user_sgpr_queue_ptr 0
		.amdhsa_user_sgpr_kernarg_segment_ptr 1
		.amdhsa_user_sgpr_dispatch_id 0
		.amdhsa_user_sgpr_kernarg_preload_length 0
		.amdhsa_user_sgpr_kernarg_preload_offset 0
		.amdhsa_user_sgpr_private_segment_size 0
		.amdhsa_uses_dynamic_stack 0
		.amdhsa_enable_private_segment 0
		.amdhsa_system_sgpr_workgroup_id_x 1
		.amdhsa_system_sgpr_workgroup_id_y 1
		.amdhsa_system_sgpr_workgroup_id_z 1
		.amdhsa_system_sgpr_workgroup_info 0
		.amdhsa_system_vgpr_workitem_id 0
		.amdhsa_next_free_vgpr 124
		.amdhsa_next_free_sgpr 41
		.amdhsa_accum_offset 124
		.amdhsa_reserve_vcc 1
		.amdhsa_float_round_mode_32 0
		.amdhsa_float_round_mode_16_64 0
		.amdhsa_float_denorm_mode_32 3
		.amdhsa_float_denorm_mode_16_64 3
		.amdhsa_dx10_clamp 1
		.amdhsa_ieee_mode 1
		.amdhsa_fp16_overflow 0
		.amdhsa_tg_split 0
		.amdhsa_exception_fp_ieee_invalid_op 0
		.amdhsa_exception_fp_denorm_src 0
		.amdhsa_exception_fp_ieee_div_zero 0
		.amdhsa_exception_fp_ieee_overflow 0
		.amdhsa_exception_fp_ieee_underflow 0
		.amdhsa_exception_fp_ieee_inexact 0
		.amdhsa_exception_int_div_zero 0
	.end_amdhsa_kernel
	.section	.text._ZN4vllm25paged_attention_v1_kernelIffLi128ELi32ELi128ELNS_18Fp8KVCacheDataTypeE0ELb0EEEvPT_PKS2_PKT0_S8_ifPKiSA_iPKfiiiSC_SC_iiiii,"axG",@progbits,_ZN4vllm25paged_attention_v1_kernelIffLi128ELi32ELi128ELNS_18Fp8KVCacheDataTypeE0ELb0EEEvPT_PKS2_PKT0_S8_ifPKiSA_iPKfiiiSC_SC_iiiii,comdat
.Lfunc_end51:
	.size	_ZN4vllm25paged_attention_v1_kernelIffLi128ELi32ELi128ELNS_18Fp8KVCacheDataTypeE0ELb0EEEvPT_PKS2_PKT0_S8_ifPKiSA_iPKfiiiSC_SC_iiiii, .Lfunc_end51-_ZN4vllm25paged_attention_v1_kernelIffLi128ELi32ELi128ELNS_18Fp8KVCacheDataTypeE0ELb0EEEvPT_PKS2_PKT0_S8_ifPKiSA_iPKfiiiSC_SC_iiiii
                                        ; -- End function
	.section	.AMDGPU.csdata,"",@progbits
; Kernel info:
; codeLenInByte = 7748
; NumSgprs: 47
; NumVgprs: 124
; NumAgprs: 0
; TotalNumVgprs: 124
; ScratchSize: 0
; MemoryBound: 0
; FloatMode: 240
; IeeeMode: 1
; LDSByteSize: 528 bytes/workgroup (compile time only)
; SGPRBlocks: 5
; VGPRBlocks: 15
; NumSGPRsForWavesPerEU: 47
; NumVGPRsForWavesPerEU: 124
; AccumOffset: 124
; Occupancy: 4
; WaveLimiterHint : 1
; COMPUTE_PGM_RSRC2:SCRATCH_EN: 0
; COMPUTE_PGM_RSRC2:USER_SGPR: 2
; COMPUTE_PGM_RSRC2:TRAP_HANDLER: 0
; COMPUTE_PGM_RSRC2:TGID_X_EN: 1
; COMPUTE_PGM_RSRC2:TGID_Y_EN: 1
; COMPUTE_PGM_RSRC2:TGID_Z_EN: 1
; COMPUTE_PGM_RSRC2:TIDIG_COMP_CNT: 0
; COMPUTE_PGM_RSRC3_GFX90A:ACCUM_OFFSET: 30
; COMPUTE_PGM_RSRC3_GFX90A:TG_SPLIT: 0
	.section	.text._ZN4vllm25paged_attention_v1_kernelIffLi192ELi32ELi128ELNS_18Fp8KVCacheDataTypeE0ELb0EEEvPT_PKS2_PKT0_S8_ifPKiSA_iPKfiiiSC_SC_iiiii,"axG",@progbits,_ZN4vllm25paged_attention_v1_kernelIffLi192ELi32ELi128ELNS_18Fp8KVCacheDataTypeE0ELb0EEEvPT_PKS2_PKT0_S8_ifPKiSA_iPKfiiiSC_SC_iiiii,comdat
	.protected	_ZN4vllm25paged_attention_v1_kernelIffLi192ELi32ELi128ELNS_18Fp8KVCacheDataTypeE0ELb0EEEvPT_PKS2_PKT0_S8_ifPKiSA_iPKfiiiSC_SC_iiiii ; -- Begin function _ZN4vllm25paged_attention_v1_kernelIffLi192ELi32ELi128ELNS_18Fp8KVCacheDataTypeE0ELb0EEEvPT_PKS2_PKT0_S8_ifPKiSA_iPKfiiiSC_SC_iiiii
	.globl	_ZN4vllm25paged_attention_v1_kernelIffLi192ELi32ELi128ELNS_18Fp8KVCacheDataTypeE0ELb0EEEvPT_PKS2_PKT0_S8_ifPKiSA_iPKfiiiSC_SC_iiiii
	.p2align	8
	.type	_ZN4vllm25paged_attention_v1_kernelIffLi192ELi32ELi128ELNS_18Fp8KVCacheDataTypeE0ELb0EEEvPT_PKS2_PKT0_S8_ifPKiSA_iPKfiiiSC_SC_iiiii,@function
_ZN4vllm25paged_attention_v1_kernelIffLi192ELi32ELi128ELNS_18Fp8KVCacheDataTypeE0ELb0EEEvPT_PKS2_PKT0_S8_ifPKiSA_iPKfiiiSC_SC_iiiii: ; @_ZN4vllm25paged_attention_v1_kernelIffLi192ELi32ELi128ELNS_18Fp8KVCacheDataTypeE0ELb0EEEvPT_PKS2_PKT0_S8_ifPKiSA_iPKfiiiSC_SC_iiiii
; %bb.0:
	s_load_dword s5, s[0:1], 0x80
	s_load_dwordx2 s[6:7], s[0:1], 0x30
	s_load_dwordx2 s[34:35], s[0:1], 0x20
	s_mov_b32 s20, s3
	s_ashr_i32 s21, s3, 31
	s_lshl_b64 s[8:9], s[20:21], 2
	s_waitcnt lgkmcnt(0)
	s_add_u32 s6, s6, s8
	s_addc_u32 s7, s7, s9
	s_abs_i32 s3, s34
	v_mov_b32_e32 v36, v0
	v_cvt_f32_u32_e32 v0, s3
	s_sub_i32 s10, 0, s3
	s_abs_i32 s9, s5
	s_xor_b32 s8, s5, s34
	v_rcp_iflag_f32_e32 v0, v0
	s_ashr_i32 s8, s8, 31
	s_mov_b32 s33, 0
	v_mul_f32_e32 v0, 0x4f7ffffe, v0
	v_cvt_u32_f32_e32 v0, v0
	s_nop 0
	v_readfirstlane_b32 s11, v0
	s_mul_i32 s10, s10, s11
	s_mul_hi_u32 s10, s11, s10
	s_add_i32 s11, s11, s10
	s_mul_hi_u32 s10, s9, s11
	s_mul_i32 s11, s10, s3
	s_sub_i32 s9, s9, s11
	s_add_i32 s11, s10, 1
	s_sub_i32 s12, s9, s3
	s_cmp_ge_u32 s9, s3
	s_cselect_b32 s10, s11, s10
	s_cselect_b32 s9, s12, s9
	s_add_i32 s11, s10, 1
	s_cmp_ge_u32 s9, s3
	s_cselect_b32 s3, s11, s10
	s_xor_b32 s3, s3, s8
	s_sub_i32 s13, s3, s8
	s_abs_i32 s10, s13
	v_cvt_f32_u32_e32 v0, s10
	s_load_dwordx2 s[8:9], s[0:1], 0x40
	s_sub_i32 s3, 0, s10
	s_abs_i32 s11, s2
	v_rcp_iflag_f32_e32 v0, v0
	s_nop 0
	v_mul_f32_e32 v0, 0x4f7ffffe, v0
	v_cvt_u32_f32_e32 v0, v0
	s_nop 0
	v_readfirstlane_b32 s12, v0
	s_mul_i32 s3, s3, s12
	s_mul_hi_u32 s3, s12, s3
	s_add_i32 s12, s12, s3
	s_waitcnt lgkmcnt(0)
	s_cmp_eq_u64 s[8:9], 0
	s_mul_hi_u32 s12, s11, s12
	s_cbranch_scc1 .LBB52_2
; %bb.1:
	s_ashr_i32 s3, s2, 31
	s_lshl_b64 s[14:15], s[2:3], 2
	s_add_u32 s8, s8, s14
	s_addc_u32 s9, s9, s15
	s_load_dword s33, s[8:9], 0x0
.LBB52_2:
	s_load_dword s21, s[6:7], 0x0
	s_load_dwordx4 s[16:19], s[0:1], 0x48
	s_ashr_i32 s6, s2, 31
	s_mul_i32 s22, s2, 0xc0
	s_movk_i32 s2, 0x60
	s_ashr_i32 s7, s13, 31
	v_and_b32_e32 v42, 1, v36
	v_cmp_gt_u32_e32 vcc, s2, v36
	v_lshlrev_b32_e32 v0, 3, v36
	v_lshlrev_b32_e32 v15, 2, v36
	s_and_saveexec_b64 s[2:3], vcc
	s_cbranch_execz .LBB52_4
; %bb.3:
	s_load_dwordx2 s[8:9], s[0:1], 0x8
	s_waitcnt lgkmcnt(0)
	s_mul_i32 s14, s20, s16
	s_ashr_i32 s15, s14, 31
	s_lshl_b64 s[14:15], s[14:15], 2
	v_and_b32_e32 v1, 0xff8, v15
	s_add_u32 s13, s8, s14
	s_addc_u32 s14, s9, s15
	s_ashr_i32 s23, s22, 31
	s_lshl_b64 s[8:9], s[22:23], 2
	s_add_u32 s8, s13, s8
	s_addc_u32 s9, s14, s9
	global_load_dwordx2 v[2:3], v0, s[8:9]
	s_movk_i32 s8, 0x180
	v_mad_u32_u24 v1, v42, s8, v1
	s_waitcnt vmcnt(0)
	ds_write_b64 v1, v[2:3]
.LBB52_4:
	s_or_b64 exec, exec, s[2:3]
	s_waitcnt lgkmcnt(0)
	s_add_i32 s3, s21, 31
	s_ashr_i32 s8, s3, 31
	s_lshr_b32 s8, s8, 27
	s_add_i32 s3, s3, s8
	s_ashr_i32 s23, s3, 5
	s_xor_b32 s3, s6, s7
	s_mul_i32 s6, s12, s10
	s_sub_i32 s6, s11, s6
	s_add_i32 s7, s12, 1
	s_sub_i32 s8, s6, s10
	s_load_dwordx2 s[26:27], s[0:1], 0x28
	s_load_dword s2, s[0:1], 0x38
	s_cmp_ge_u32 s6, s10
	s_cselect_b32 s7, s7, s12
	s_cselect_b32 s6, s8, s6
	s_add_i32 s8, s7, 1
	s_cmp_ge_u32 s6, s10
	s_cselect_b32 s6, s8, s7
	v_lshrrev_b32_e32 v82, 6, v36
	s_xor_b32 s6, s6, s3
	s_waitcnt lgkmcnt(0)
	s_mul_i32 s28, s20, s2
	s_sub_i32 s8, s6, s3
	s_ashr_i32 s29, s28, 31
	v_cmp_gt_i32_e64 s[6:7], s23, v82
	v_cmp_le_i32_e32 vcc, s23, v82
	v_mbcnt_lo_u32_b32 v43, -1, 0
	s_barrier
	s_waitcnt lgkmcnt(0)
                                        ; implicit-def: $sgpr9
                                        ; implicit-def: $vgpr123
                                        ; implicit-def: $vgpr7
	s_and_saveexec_b64 s[2:3], vcc
	s_xor_b64 s[2:3], exec, s[2:3]
; %bb.5:
	v_mbcnt_hi_u32_b32 v123, -1, v43
	v_and_b32_e32 v0, 64, v123
	v_add_u32_e32 v7, 64, v0
	s_mov_b32 s9, 0xff7fffff
                                        ; implicit-def: $vgpr0
                                        ; implicit-def: $vgpr42
                                        ; implicit-def: $vgpr43
; %bb.6:
	s_or_saveexec_b64 s[36:37], s[2:3]
	s_load_dwordx2 s[24:25], s[0:1], 0x0
	s_load_dwordx2 s[30:31], s[0:1], 0x18
	s_load_dword s16, s[0:1], 0x88
	v_mov_b32_e32 v116, s9
	s_mul_i32 s18, s8, s18
	v_lshrrev_b32_e32 v48, 4, v36
	scratch_store_dword off, v36, off offset:192 ; 4-byte Folded Spill
	s_xor_b64 exec, exec, s[36:37]
	s_cbranch_execz .LBB52_12
; %bb.7:
	s_load_dwordx2 s[0:1], s[0:1], 0x10
	s_ashr_i32 s19, s18, 31
	s_lshl_b64 s[2:3], s[18:19], 2
	v_bfe_u32 v46, v36, 1, 5
	v_lshlrev_b32_e32 v44, 4, v46
	s_waitcnt lgkmcnt(0)
	s_add_u32 s0, s0, s2
	s_addc_u32 s1, s1, s3
	v_mov_b32_e32 v45, 0
	v_lshl_add_u64 v[2:3], s[0:1], 0, v[44:45]
	v_and_b32_e32 v44, 8, v0
	v_mbcnt_hi_u32_b32 v123, -1, v43
	v_lshl_add_u64 v[0:1], v[2:3], 0, v[44:45]
	v_and_b32_e32 v44, 64, v123
	v_xor_b32_e32 v43, 1, v123
	v_add_u32_e32 v44, 64, v44
	s_sub_i32 s19, 1, s21
	s_lshl_b64 s[0:1], s[28:29], 2
	scratch_store_dword off, v15, off       ; 4-byte Folded Spill
	v_lshlrev_b32_e32 v47, 2, v46
	v_mul_u32_u24_e32 v94, 0x180, v42
	v_cmp_lt_i32_e32 vcc, v43, v44
	s_add_u32 s0, s26, s0
	ds_read_b128 v[2:5], v94
	ds_read_b128 v[6:9], v94 offset:16
	ds_read_b128 v[10:13], v94 offset:32
	;; [unrolled: 1-line block ×9, first 2 shown]
	scratch_store_dword off, v44, off offset:28 ; 4-byte Folded Spill
	v_cndmask_b32_e32 v43, v123, v43, vcc
	v_cmp_eq_u32_e32 vcc, 0, v42
	v_lshl_or_b32 v42, v82, 7, v47
	scratch_store_dword off, v48, off offset:20 ; 4-byte Folded Spill
	v_and_b32_e32 v44, 60, v48
	s_addc_u32 s1, s27, s1
	v_lshlrev_b32_e32 v117, 2, v43
	v_lshl_or_b32 v118, v82, 5, v46
	v_add_u32_e32 v119, 0x310, v42
	v_lshl_add_u64 v[98:99], s[0:1], 0, v[44:45]
	ds_read_b128 v[42:45], v94 offset:160
	ds_read_b128 v[46:49], v94 offset:176
	;; [unrolled: 1-line block ×10, first 2 shown]
	v_mov_b32_e32 v120, v82
	ds_read_b128 v[82:85], v94 offset:320
	ds_read_b128 v[86:89], v94 offset:336
	;; [unrolled: 1-line block ×4, first 2 shown]
	s_mov_b32 s34, s17
	v_cmp_neq_f32_e64 s[2:3], s33, 0
	s_mov_b64 s[38:39], 0
	v_mov_b32_e32 v116, 0xff7fffff
	s_movk_i32 s40, 0x1000
	s_movk_i32 s41, 0x2000
	;; [unrolled: 1-line block ×5, first 2 shown]
	scratch_store_dword off, v120, off offset:16 ; 4-byte Folded Spill
	s_branch .LBB52_9
.LBB52_8:                               ;   in Loop: Header=BB52_9 Depth=1
	s_or_b64 exec, exec, s[8:9]
	v_add_u32_e32 v120, 2, v120
	v_cmp_le_i32_e64 s[0:1], s23, v120
	v_add_u32_e32 v118, 64, v118
	v_add_u32_e32 v119, 0x100, v119
	s_or_b64 s[38:39], s[0:1], s[38:39]
	v_lshl_add_u64 v[98:99], v[98:99], 0, 8
	s_andn2_b64 exec, exec, s[38:39]
	s_cbranch_execz .LBB52_11
.LBB52_9:                               ; =>This Inner Loop Header: Depth=1
	global_load_dword v100, v[98:99], off
	s_waitcnt vmcnt(0) lgkmcnt(0)
	v_mad_i64_i32 v[100:101], s[0:1], v100, s34, 0
	v_lshl_add_u64 v[108:109], v[100:101], 2, v[0:1]
	global_load_dwordx2 v[100:101], v[108:109], off offset:512
	global_load_dwordx2 v[102:103], v[108:109], off
	global_load_dwordx2 v[104:105], v[108:109], off offset:1024
	global_load_dwordx2 v[110:111], v[108:109], off offset:1536
	;; [unrolled: 1-line block ×4, first 2 shown]
	v_add_co_u32_e64 v114, s[0:1], s40, v108
	v_add_co_u32_e64 v106, s[8:9], s41, v108
	global_load_dwordx2 v[124:125], v[108:109], off offset:3072
	v_addc_co_u32_e64 v115, s[0:1], 0, v109, s[0:1]
	v_addc_co_u32_e64 v107, s[0:1], 0, v109, s[8:9]
	s_waitcnt vmcnt(6) lgkmcnt(14)
	v_mul_f32_e32 v121, v4, v100
	v_mul_f32_e32 v122, v5, v101
	s_waitcnt vmcnt(5)
	v_fmac_f32_e32 v121, v2, v102
	v_fmac_f32_e32 v122, v3, v103
	s_waitcnt vmcnt(4)
	v_fmac_f32_e32 v121, v6, v104
	v_fmac_f32_e32 v122, v7, v105
	v_add_co_u32_e64 v104, s[10:11], s42, v108
	v_add_co_u32_e64 v102, s[12:13], s43, v108
	;; [unrolled: 1-line block ×3, first 2 shown]
	s_waitcnt vmcnt(3)
	v_fmac_f32_e32 v121, v8, v110
	v_fmac_f32_e32 v122, v9, v111
	global_load_dwordx2 v[110:111], v[106:107], off offset:-4096
	v_addc_co_u32_e64 v105, s[0:1], 0, v109, s[10:11]
	v_addc_co_u32_e64 v103, s[0:1], 0, v109, s[12:13]
	;; [unrolled: 1-line block ×3, first 2 shown]
	global_load_dwordx2 v[108:109], v[108:109], off offset:3584
	s_waitcnt vmcnt(4)
	v_fmac_f32_e32 v121, v10, v112
	v_fmac_f32_e32 v122, v11, v113
	s_waitcnt vmcnt(3)
	v_fmac_f32_e32 v121, v12, v126
	v_fmac_f32_e32 v122, v13, v127
	;; [unrolled: 3-line block ×4, first 2 shown]
	global_load_dwordx2 v[108:109], v[114:115], off offset:512
	v_fmac_f32_e32 v121, v18, v110
	v_fmac_f32_e32 v122, v19, v111
	global_load_dwordx2 v[110:111], v[114:115], off offset:1024
	s_waitcnt vmcnt(1)
	v_fmac_f32_e32 v121, v20, v108
	v_fmac_f32_e32 v122, v21, v109
	global_load_dwordx2 v[108:109], v[114:115], off offset:1536
	s_waitcnt vmcnt(1)
	;; [unrolled: 4-line block ×4, first 2 shown]
	v_fmac_f32_e32 v121, v26, v110
	v_fmac_f32_e32 v122, v27, v111
	global_load_dwordx2 v[110:111], v[114:115], off offset:3072
	global_load_dwordx2 v[112:113], v[114:115], off offset:3584
	s_waitcnt vmcnt(2)
	v_fmac_f32_e32 v121, v28, v108
	v_fmac_f32_e32 v122, v29, v109
	global_load_dwordx2 v[108:109], v[106:107], off
	s_waitcnt vmcnt(2)
	v_fmac_f32_e32 v121, v30, v110
	v_fmac_f32_e32 v122, v31, v111
	global_load_dwordx2 v[110:111], v[106:107], off offset:512
	s_waitcnt vmcnt(2)
	v_fmac_f32_e32 v121, v32, v112
	v_fmac_f32_e32 v122, v33, v113
	global_load_dwordx2 v[112:113], v[106:107], off offset:1024
	;; [unrolled: 4-line block ×6, first 2 shown]
	s_nop 0
	global_load_dwordx2 v[106:107], v[106:107], off offset:3584
	s_waitcnt vmcnt(3) lgkmcnt(13)
	v_fmac_f32_e32 v121, v42, v110
	v_fmac_f32_e32 v122, v43, v111
	global_load_dwordx2 v[110:111], v[102:103], off offset:-4096
	s_waitcnt vmcnt(3)
	v_fmac_f32_e32 v121, v44, v112
	v_fmac_f32_e32 v122, v45, v113
	global_load_dwordx2 v[112:113], v[104:105], off offset:512
	s_waitcnt vmcnt(3) lgkmcnt(12)
	v_fmac_f32_e32 v121, v46, v108
	v_fmac_f32_e32 v122, v47, v109
	global_load_dwordx2 v[108:109], v[104:105], off offset:1024
	s_waitcnt vmcnt(3)
	v_fmac_f32_e32 v121, v48, v106
	v_fmac_f32_e32 v122, v49, v107
	global_load_dwordx2 v[106:107], v[104:105], off offset:1536
	s_waitcnt vmcnt(3) lgkmcnt(11)
	v_fmac_f32_e32 v121, v50, v110
	v_fmac_f32_e32 v122, v51, v111
	global_load_dwordx2 v[110:111], v[104:105], off offset:2048
	;; [unrolled: 8-line block ×3, first 2 shown]
	s_nop 0
	global_load_dwordx2 v[104:105], v[104:105], off offset:3584
	s_waitcnt vmcnt(4)
	v_fmac_f32_e32 v121, v56, v106
	v_fmac_f32_e32 v122, v57, v107
	global_load_dwordx2 v[106:107], v[102:103], off
	s_waitcnt vmcnt(4) lgkmcnt(9)
	v_fmac_f32_e32 v121, v58, v110
	v_fmac_f32_e32 v122, v59, v111
	global_load_dwordx2 v[110:111], v[102:103], off offset:512
	s_waitcnt vmcnt(4)
	v_fmac_f32_e32 v121, v60, v112
	v_fmac_f32_e32 v122, v61, v113
	global_load_dwordx2 v[112:113], v[102:103], off offset:1024
	s_waitcnt vmcnt(4) lgkmcnt(8)
	v_fmac_f32_e32 v121, v62, v108
	v_fmac_f32_e32 v122, v63, v109
	global_load_dwordx2 v[108:109], v[102:103], off offset:1536
	s_waitcnt vmcnt(4)
	v_fmac_f32_e32 v121, v64, v104
	v_fmac_f32_e32 v122, v65, v105
	global_load_dwordx2 v[104:105], v[102:103], off offset:2048
	s_waitcnt vmcnt(4) lgkmcnt(7)
	v_fmac_f32_e32 v121, v66, v106
	v_fmac_f32_e32 v122, v67, v107
	global_load_dwordx2 v[106:107], v[102:103], off offset:2560
	global_load_dwordx2 v[114:115], v[102:103], off offset:3072
	s_nop 0
	global_load_dwordx2 v[102:103], v[102:103], off offset:3584
	s_waitcnt vmcnt(6)
	v_fmac_f32_e32 v121, v68, v110
	v_fmac_f32_e32 v122, v69, v111
	global_load_dwordx2 v[124:125], v[100:101], off
	s_waitcnt vmcnt(6) lgkmcnt(6)
	v_fmac_f32_e32 v121, v70, v112
	v_fmac_f32_e32 v122, v71, v113
	global_load_dwordx2 v[112:113], v[100:101], off offset:512
	global_load_dwordx2 v[110:111], v[100:101], off offset:1024
	s_waitcnt vmcnt(7)
	v_fmac_f32_e32 v121, v72, v108
	v_fmac_f32_e32 v122, v73, v109
	global_load_dwordx2 v[108:109], v[100:101], off offset:1536
	s_waitcnt vmcnt(7) lgkmcnt(5)
	v_fmac_f32_e32 v121, v74, v104
	v_fmac_f32_e32 v122, v75, v105
	global_load_dwordx2 v[104:105], v[100:101], off offset:2560
	s_waitcnt vmcnt(7)
	v_fmac_f32_e32 v121, v76, v106
	v_fmac_f32_e32 v122, v77, v107
	global_load_dwordx2 v[106:107], v[100:101], off offset:2048
	s_waitcnt vmcnt(7) lgkmcnt(4)
	v_fmac_f32_e32 v121, v78, v114
	v_fmac_f32_e32 v122, v79, v115
	s_waitcnt vmcnt(6)
	v_fmac_f32_e32 v121, v80, v102
	v_fmac_f32_e32 v122, v81, v103
	global_load_dwordx2 v[102:103], v[100:101], off offset:3072
	s_nop 0
	global_load_dwordx2 v[100:101], v[100:101], off offset:3584
	s_waitcnt vmcnt(7) lgkmcnt(3)
	v_fmac_f32_e32 v121, v82, v124
	v_fmac_f32_e32 v122, v83, v125
	s_waitcnt vmcnt(6)
	v_fmac_f32_e32 v121, v84, v112
	v_fmac_f32_e32 v122, v85, v113
	s_waitcnt vmcnt(5) lgkmcnt(2)
	v_fmac_f32_e32 v121, v86, v110
	v_fmac_f32_e32 v122, v87, v111
	s_waitcnt vmcnt(4)
	v_fmac_f32_e32 v121, v88, v108
	v_fmac_f32_e32 v122, v89, v109
	s_waitcnt vmcnt(2) lgkmcnt(1)
	v_fmac_f32_e32 v121, v90, v106
	v_fmac_f32_e32 v122, v91, v107
	;; [unrolled: 1-line block ×4, first 2 shown]
	s_waitcnt vmcnt(1) lgkmcnt(0)
	v_fmac_f32_e32 v121, v94, v102
	v_fmac_f32_e32 v122, v95, v103
	s_waitcnt vmcnt(0)
	v_fmac_f32_e32 v121, v96, v100
	v_fmac_f32_e32 v122, v97, v101
	v_add_f32_e32 v100, v121, v122
	ds_bpermute_b32 v101, v117, v100
	s_and_saveexec_b64 s[8:9], vcc
	s_cbranch_execz .LBB52_8
; %bb.10:                               ;   in Loop: Header=BB52_9 Depth=1
	v_add_u32_e32 v102, s19, v118
	v_cvt_f32_i32_e32 v102, v102
	s_waitcnt lgkmcnt(0)
	v_add_f32_e32 v100, v100, v101
	v_cmp_gt_i32_e64 s[0:1], s21, v118
	v_max_f32_e32 v101, v116, v116
	v_mul_f32_e32 v102, s33, v102
	v_cndmask_b32_e64 v102, 0, v102, s[2:3]
	v_fmac_f32_e32 v102, s35, v100
	v_cndmask_b32_e64 v100, 0, v102, s[0:1]
	ds_write_b32 v119, v100
	v_max_f32_e32 v100, v101, v102
	v_cndmask_b32_e64 v116, v116, v100, s[0:1]
	s_branch .LBB52_8
.LBB52_11:
	s_or_b64 exec, exec, s[38:39]
	scratch_load_dword v36, off, off offset:192 ; 4-byte Folded Reload
	scratch_load_dword v82, off, off offset:16 ; 4-byte Folded Reload
	scratch_load_dword v15, off, off        ; 4-byte Folded Reload
	scratch_load_dword v48, off, off offset:20 ; 4-byte Folded Reload
	scratch_load_dword v7, off, off offset:28 ; 4-byte Folded Reload
.LBB52_12:
	s_or_b64 exec, exec, s[36:37]
	v_xor_b32_e32 v0, 32, v123
	s_waitcnt vmcnt(0)
	v_cmp_lt_i32_e32 vcc, v0, v7
	v_xor_b32_e32 v3, 16, v123
	v_max_f32_e32 v2, v116, v116
	v_cndmask_b32_e32 v0, v123, v0, vcc
	v_lshlrev_b32_e32 v0, 2, v0
	ds_bpermute_b32 v1, v0, v116
	v_cmp_lt_i32_e32 vcc, v3, v7
	v_xor_b32_e32 v4, 8, v123
	v_xor_b32_e32 v5, 4, v123
	v_and_b32_e32 v37, 63, v36
	s_waitcnt lgkmcnt(0)
	v_max_f32_e32 v1, v1, v1
	v_max_f32_e32 v2, v2, v1
	v_cndmask_b32_e32 v1, v123, v3, vcc
	v_lshlrev_b32_e32 v1, 2, v1
	ds_bpermute_b32 v3, v1, v2
	v_cmp_lt_i32_e32 vcc, v4, v7
	s_waitcnt lgkmcnt(0)
	v_max_f32_e32 v3, v3, v3
	v_max_f32_e32 v3, v2, v3
	v_cndmask_b32_e32 v2, v123, v4, vcc
	v_lshlrev_b32_e32 v2, 2, v2
	ds_bpermute_b32 v4, v2, v3
	v_cmp_lt_i32_e32 vcc, v5, v7
	s_waitcnt lgkmcnt(0)
	v_max_f32_e32 v4, v4, v4
	v_max_f32_e32 v3, v3, v4
	v_cndmask_b32_e32 v4, v123, v5, vcc
	v_lshlrev_b32_e32 v29, 2, v4
	ds_bpermute_b32 v4, v29, v3
	v_xor_b32_e32 v5, 2, v123
	v_cmp_lt_i32_e32 vcc, v5, v7
	s_waitcnt lgkmcnt(0)
	v_max_f32_e32 v4, v4, v4
	v_max_f32_e32 v4, v3, v4
	v_cndmask_b32_e32 v3, v123, v5, vcc
	v_lshlrev_b32_e32 v35, 2, v3
	ds_bpermute_b32 v5, v35, v4
	v_cmp_eq_u32_e32 vcc, 0, v37
	v_lshlrev_b32_e32 v3, 2, v82
	s_and_saveexec_b64 s[0:1], vcc
	s_cbranch_execz .LBB52_14
; %bb.13:
	s_waitcnt lgkmcnt(0)
	v_max_f32_e32 v5, v5, v5
	v_max_f32_e32 v4, v4, v4
	;; [unrolled: 1-line block ×3, first 2 shown]
	ds_write_b32 v3, v4 offset:768
.LBB52_14:
	s_or_b64 exec, exec, s[0:1]
	v_cmp_gt_u32_e64 s[0:1], 2, v37
	s_waitcnt lgkmcnt(0)
	v_mov_b32_e32 v5, 0xff7fffff
	v_lshlrev_b32_e32 v4, 2, v37
	s_barrier
	s_and_saveexec_b64 s[2:3], s[0:1]
	s_cbranch_execz .LBB52_16
; %bb.15:
	ds_read_b32 v5, v4 offset:768
.LBB52_16:
	s_or_b64 exec, exec, s[2:3]
	v_xor_b32_e32 v6, 1, v123
	v_cmp_lt_i32_e64 s[2:3], v6, v7
	v_lshlrev_b32_e32 v7, 2, v123
	s_nop 0
	v_cndmask_b32_e64 v6, v123, v6, s[2:3]
	v_lshlrev_b32_e32 v38, 2, v6
	s_waitcnt lgkmcnt(0)
	ds_bpermute_b32 v6, v38, v5
	v_max_f32_e32 v5, v5, v5
	s_lshl_b32 s2, s23, 5
	s_min_i32 s14, s2, s21
	v_cmp_gt_i32_e64 s[2:3], s14, v36
	s_waitcnt lgkmcnt(0)
	v_max_f32_e32 v6, v6, v6
	v_max_f32_e32 v6, v5, v6
	v_and_b32_e32 v5, 0xffffff00, v7
	ds_bpermute_b32 v7, v5, v6
	v_mov_b32_e32 v6, 0
	s_and_saveexec_b64 s[10:11], s[2:3]
	s_cbranch_execz .LBB52_20
; %bb.17:
	v_mov_b32_e32 v6, 0x310
	v_lshl_add_u32 v8, v36, 2, v6
	s_mov_b64 s[12:13], 0
	v_mov_b32_e32 v6, 0
	v_mov_b32_e32 v9, v36
.LBB52_18:                              ; =>This Inner Loop Header: Depth=1
	ds_read_b32 v10, v8
	v_add_u32_e32 v9, 0x80, v9
	v_cmp_le_i32_e64 s[8:9], s14, v9
	s_or_b64 s[12:13], s[8:9], s[12:13]
	s_waitcnt lgkmcnt(0)
	v_sub_f32_e32 v10, v10, v7
	v_mul_f32_e32 v10, 0x3fb8aa3b, v10
	v_exp_f32_e32 v10, v10
	ds_write_b32 v8, v10
	v_add_f32_e32 v6, v6, v10
	v_add_u32_e32 v8, 0x200, v8
	s_andn2_b64 exec, exec, s[12:13]
	s_cbranch_execnz .LBB52_18
; %bb.19:
	s_or_b64 exec, exec, s[12:13]
.LBB52_20:
	s_or_b64 exec, exec, s[10:11]
	ds_bpermute_b32 v0, v0, v6
	s_waitcnt lgkmcnt(0)
	v_add_f32_e32 v0, v6, v0
	ds_bpermute_b32 v1, v1, v0
	s_waitcnt lgkmcnt(0)
	v_add_f32_e32 v0, v0, v1
	;; [unrolled: 3-line block ×6, first 2 shown]
	s_and_saveexec_b64 s[8:9], vcc
	s_cbranch_execz .LBB52_22
; %bb.21:
	ds_write_b32 v3, v0 offset:776
.LBB52_22:
	s_or_b64 exec, exec, s[8:9]
	s_waitcnt lgkmcnt(0)
	s_barrier
	s_and_saveexec_b64 s[8:9], s[0:1]
	s_cbranch_execz .LBB52_24
; %bb.23:
	ds_read_b32 v0, v4 offset:776
.LBB52_24:
	s_or_b64 exec, exec, s[8:9]
	s_waitcnt lgkmcnt(0)
	ds_bpermute_b32 v1, v38, v0
	s_waitcnt lgkmcnt(0)
	v_add_f32_e32 v0, v0, v1
	ds_bpermute_b32 v0, v5, v0
	s_and_saveexec_b64 s[0:1], s[2:3]
	s_cbranch_execz .LBB52_37
; %bb.25:
	s_waitcnt lgkmcnt(0)
	v_add_f32_e32 v0, 0x358637bd, v0
	v_div_scale_f32 v1, s[2:3], v0, v0, 1.0
	v_rcp_f32_e32 v2, v1
	v_div_scale_f32 v3, vcc, 1.0, v0, 1.0
	s_movk_i32 s2, 0x7f
	v_fma_f32 v4, -v1, v2, 1.0
	v_fmac_f32_e32 v2, v4, v2
	v_mul_f32_e32 v4, v3, v2
	v_fma_f32 v5, -v1, v4, v3
	v_fmac_f32_e32 v4, v5, v2
	v_fma_f32 v1, -v1, v4, v3
	v_div_fmas_f32 v1, v1, v2, v4
	v_xad_u32 v2, v36, -1, s14
	v_div_fixup_f32 v0, v1, v0, 1.0
	v_cmp_lt_u32_e32 vcc, s2, v2
	s_mov_b64 s[8:9], -1
	v_mov_b32_e32 v1, v36
	s_and_saveexec_b64 s[2:3], vcc
	s_cbranch_execz .LBB52_34
; %bb.26:
	v_lshrrev_b32_e32 v2, 7, v2
	v_add_u32_e32 v4, -1, v2
	v_lshrrev_b32_e32 v3, 1, v4
	v_mov_b32_e32 v1, v0
	v_add_u32_e32 v3, 1, v3
	v_cmp_lt_u32_e32 vcc, 13, v4
	v_mov_b32_e32 v6, 0
	s_and_saveexec_b64 s[8:9], vcc
	s_cbranch_execz .LBB52_30
; %bb.27:
	v_mov_b32_e32 v5, 0x310
	v_and_b32_e32 v4, -8, v3
	v_lshl_add_u32 v5, v36, 2, v5
	s_mov_b32 s12, 0
	s_mov_b64 s[10:11], 0
.LBB52_28:                              ; =>This Inner Loop Header: Depth=1
	ds_read2st64_b32 v[6:7], v5 offset1:2
	ds_read2st64_b32 v[8:9], v5 offset0:4 offset1:6
	ds_read2st64_b32 v[10:11], v5 offset0:8 offset1:10
	;; [unrolled: 1-line block ×3, first 2 shown]
	v_add_u32_e32 v4, -8, v4
	s_waitcnt lgkmcnt(3)
	v_pk_mul_f32 v[6:7], v[0:1], v[6:7]
	s_waitcnt lgkmcnt(2)
	v_pk_mul_f32 v[8:9], v[0:1], v[8:9]
	ds_write2st64_b32 v5, v6, v7 offset1:2
	ds_write2st64_b32 v5, v8, v9 offset0:4 offset1:6
	ds_read2st64_b32 v[8:9], v5 offset0:16 offset1:18
	s_waitcnt lgkmcnt(4)
	v_pk_mul_f32 v[6:7], v[0:1], v[10:11]
	ds_write2st64_b32 v5, v6, v7 offset0:8 offset1:10
	s_waitcnt lgkmcnt(4)
	v_pk_mul_f32 v[6:7], v[0:1], v[12:13]
	ds_write2st64_b32 v5, v6, v7 offset0:12 offset1:14
	ds_read2st64_b32 v[6:7], v5 offset0:20 offset1:22
	s_waitcnt lgkmcnt(3)
	v_pk_mul_f32 v[8:9], v[0:1], v[8:9]
	ds_read2st64_b32 v[10:11], v5 offset0:24 offset1:26
	ds_write2st64_b32 v5, v8, v9 offset0:16 offset1:18
	ds_read2st64_b32 v[8:9], v5 offset0:28 offset1:30
	s_waitcnt lgkmcnt(3)
	v_pk_mul_f32 v[6:7], v[0:1], v[6:7]
	ds_write2st64_b32 v5, v6, v7 offset0:20 offset1:22
	s_waitcnt lgkmcnt(3)
	v_pk_mul_f32 v[6:7], v[0:1], v[10:11]
	ds_write2st64_b32 v5, v6, v7 offset0:24 offset1:26
	s_waitcnt lgkmcnt(2)
	v_pk_mul_f32 v[6:7], v[0:1], v[8:9]
	s_add_i32 s12, s12, 16
	v_cmp_eq_u32_e32 vcc, 0, v4
	ds_write2st64_b32 v5, v6, v7 offset0:28 offset1:30
	v_add_u32_e32 v5, 0x2000, v5
	s_or_b64 s[10:11], vcc, s[10:11]
	v_mov_b32_e32 v6, s12
	s_andn2_b64 exec, exec, s[10:11]
	s_cbranch_execnz .LBB52_28
; %bb.29:
	s_or_b64 exec, exec, s[10:11]
.LBB52_30:
	s_or_b64 exec, exec, s[8:9]
	v_and_b32_e32 v3, 7, v3
	v_cmp_ne_u32_e32 vcc, 0, v3
	s_and_saveexec_b64 s[8:9], vcc
	s_cbranch_execz .LBB52_33
; %bb.31:
	v_lshlrev_b32_e32 v4, 9, v6
	s_movk_i32 s10, 0x310
	v_add3_u32 v4, v4, v15, s10
	s_mov_b64 s[10:11], 0
.LBB52_32:                              ; =>This Inner Loop Header: Depth=1
	ds_read2st64_b32 v[6:7], v4 offset1:2
	v_add_u32_e32 v3, -1, v3
	v_cmp_eq_u32_e32 vcc, 0, v3
	s_or_b64 s[10:11], vcc, s[10:11]
	s_waitcnt lgkmcnt(0)
	v_pk_mul_f32 v[6:7], v[0:1], v[6:7]
	ds_write2st64_b32 v4, v6, v7 offset1:2
	v_add_u32_e32 v4, 0x400, v4
	s_andn2_b64 exec, exec, s[10:11]
	s_cbranch_execnz .LBB52_32
.LBB52_33:
	s_or_b64 exec, exec, s[8:9]
	v_add_u32_e32 v2, 1, v2
	v_and_b32_e32 v3, 0x3fffffe, v2
	v_cmp_ne_u32_e32 vcc, v2, v3
	v_lshl_add_u32 v1, v3, 7, v36
	s_orn2_b64 s[8:9], vcc, exec
.LBB52_34:
	s_or_b64 exec, exec, s[2:3]
	s_and_b64 exec, exec, s[8:9]
	s_cbranch_execz .LBB52_37
; %bb.35:
	v_mov_b32_e32 v2, 0x310
	v_lshl_add_u32 v2, v1, 2, v2
	s_mov_b64 s[2:3], 0
.LBB52_36:                              ; =>This Inner Loop Header: Depth=1
	ds_read_b32 v3, v2
	v_add_u32_e32 v1, 0x80, v1
	v_cmp_le_i32_e32 vcc, s14, v1
	s_or_b64 s[2:3], vcc, s[2:3]
	s_waitcnt lgkmcnt(0)
	v_mul_f32_e32 v3, v0, v3
	ds_write_b32 v2, v3
	v_add_u32_e32 v2, 0x200, v2
	s_andn2_b64 exec, exec, s[2:3]
	s_cbranch_execnz .LBB52_36
.LBB52_37:
	s_or_b64 exec, exec, s[0:1]
	v_mov_b32_e32 v126, 0
	v_and_b32_e32 v39, 7, v36
	v_mov_b32_e32 v127, 0
	v_mov_b32_e32 v122, 0
	;; [unrolled: 1-line block ×23, first 2 shown]
	s_waitcnt lgkmcnt(0)
	s_barrier
	s_and_saveexec_b64 s[2:3], s[6:7]
	s_cbranch_execz .LBB52_89
; %bb.38:
	s_ashr_i32 s19, s18, 31
	s_lshl_b64 s[0:1], s[18:19], 2
	s_add_u32 s6, s30, s0
	v_and_b32_e32 v0, 28, v15
	s_addc_u32 s7, s31, s1
	s_add_i32 s13, s23, -1
	v_lshlrev_b32_e32 v1, 5, v82
	s_lshl_b64 s[0:1], s[28:29], 2
	v_and_b32_e32 v2, 0xfc, v15
	v_or3_b32 v0, v1, v0, 3
	v_lshlrev_b32_e32 v1, 4, v39
	s_add_u32 s0, s26, s0
	v_mov_b32_e32 v103, 0
	v_or_b32_e32 v4, 0x400, v2
	v_or_b32_e32 v6, 0x500, v2
	v_lshl_or_b32 v1, v82, 7, v1
	v_and_b32_e32 v102, 60, v48
	s_addc_u32 s1, s27, s1
	v_or_b32_e32 v8, 0x600, v2
	v_add_u32_e32 v5, 0x310, v1
	v_lshl_add_u64 v[44:45], s[0:1], 0, v[102:103]
	v_lshlrev_b32_e32 v102, 2, v4
	v_lshlrev_b32_e32 v4, 2, v6
	scratch_store_dword off, v38, off offset:208 ; 4-byte Folded Spill
	scratch_store_dword off, v29, off offset:204 ; 4-byte Folded Spill
	;; [unrolled: 1-line block ×4, first 2 shown]
	v_or_b32_e32 v10, 0x700, v2
	scratch_store_dwordx2 off, v[4:5], off offset:20 ; 8-byte Folded Spill
	v_lshlrev_b32_e32 v4, 2, v8
	v_or_b32_e32 v12, 0x800, v2
	scratch_store_dwordx2 off, v[4:5], off offset:28 ; 8-byte Folded Spill
	v_lshlrev_b32_e32 v4, 2, v10
	v_or_b32_e32 v14, 0x900, v2
	scratch_store_dwordx2 off, v[4:5], off offset:36 ; 8-byte Folded Spill
	v_lshlrev_b32_e32 v4, 2, v12
	v_or_b32_e32 v16, 0xa00, v2
	scratch_store_dwordx2 off, v[4:5], off offset:44 ; 8-byte Folded Spill
	v_lshlrev_b32_e32 v4, 2, v14
	v_or_b32_e32 v18, 0xb00, v2
	scratch_store_dwordx2 off, v[4:5], off offset:52 ; 8-byte Folded Spill
	v_lshlrev_b32_e32 v4, 2, v16
	v_or_b32_e32 v20, 0xc00, v2
	scratch_store_dwordx2 off, v[4:5], off offset:60 ; 8-byte Folded Spill
	v_lshlrev_b32_e32 v4, 2, v18
	v_or_b32_e32 v22, 0xd00, v2
	scratch_store_dwordx2 off, v[4:5], off offset:68 ; 8-byte Folded Spill
	v_lshlrev_b32_e32 v4, 2, v20
	v_or_b32_e32 v24, 0xe00, v2
	scratch_store_dwordx2 off, v[4:5], off offset:76 ; 8-byte Folded Spill
	v_lshlrev_b32_e32 v4, 2, v22
	v_or_b32_e32 v26, 0xf00, v15
	scratch_store_dwordx2 off, v[4:5], off offset:84 ; 8-byte Folded Spill
	v_lshlrev_b32_e32 v4, 2, v24
	v_or_b32_e32 v28, 0x1000, v2
	scratch_store_dwordx2 off, v[4:5], off offset:92 ; 8-byte Folded Spill
	v_lshlrev_b32_e32 v4, 2, v26
	v_or_b32_e32 v30, 0x1100, v2
	scratch_store_dwordx2 off, v[4:5], off offset:100 ; 8-byte Folded Spill
	v_lshlrev_b32_e32 v4, 2, v28
	v_or_b32_e32 v32, 0x1200, v2
	scratch_store_dwordx2 off, v[4:5], off offset:108 ; 8-byte Folded Spill
	v_lshlrev_b32_e32 v4, 2, v30
	v_or_b32_e32 v34, 0x1300, v2
	scratch_store_dwordx2 off, v[4:5], off offset:116 ; 8-byte Folded Spill
	v_lshlrev_b32_e32 v4, 2, v32
	v_or_b32_e32 v36, 0x1400, v2
	scratch_store_dwordx2 off, v[4:5], off offset:124 ; 8-byte Folded Spill
	v_lshlrev_b32_e32 v4, 2, v34
	v_or_b32_e32 v38, 0x1500, v2
	scratch_store_dwordx2 off, v[4:5], off offset:132 ; 8-byte Folded Spill
	v_lshlrev_b32_e32 v4, 2, v36
	v_or_b32_e32 v40, 0x1600, v2
	scratch_store_dwordx2 off, v[4:5], off offset:140 ; 8-byte Folded Spill
	v_lshlrev_b32_e32 v4, 2, v38
	v_or_b32_e32 v42, 0x1700, v2
	scratch_store_dwordx2 off, v[4:5], off offset:148 ; 8-byte Folded Spill
	v_lshlrev_b32_e32 v4, 2, v40
	s_mov_b32 s12, s17
	s_mov_b64 s[8:9], 0
	v_lshlrev_b32_e32 v46, 2, v2
	v_mov_b64_e32 v[2:3], v[44:45]
	scratch_store_dwordx2 off, v[4:5], off offset:156 ; 8-byte Folded Spill
	v_lshlrev_b32_e32 v4, 2, v42
	v_mov_b32_e32 v47, v103
	v_mov_b32_e32 v7, v103
	;; [unrolled: 1-line block ×25, first 2 shown]
	scratch_store_dword off, v39, off offset:212 ; 4-byte Folded Spill
	scratch_store_dwordx2 off, v[4:5], off offset:164 ; 8-byte Folded Spill
	scratch_store_dwordx2 off, v[46:47], off offset:184 ; 8-byte Folded Spill
	s_branch .LBB52_40
.LBB52_39:                              ;   in Loop: Header=BB52_40 Depth=1
	s_or_b64 exec, exec, s[0:1]
	s_waitcnt lgkmcnt(0)
	v_mul_f32_e32 v1, v3, v99
	v_fmac_f32_e32 v1, v2, v98
	v_fmac_f32_e32 v1, v4, v100
	v_fmac_f32_e32 v1, v5, v101
	v_add_f32_e32 v6, v6, v1
	v_mul_f32_e32 v1, v3, v91
	v_fmac_f32_e32 v1, v2, v90
	v_fmac_f32_e32 v1, v4, v92
	v_fmac_f32_e32 v1, v5, v93
	v_add_f32_e32 v104, v104, v1
	;; [unrolled: 5-line block ×20, first 2 shown]
	v_mul_f32_e32 v1, v3, v11
	v_fmac_f32_e32 v1, v2, v10
	scratch_load_dwordx4 v[8:11], off, off  ; 16-byte Folded Reload
	v_fmac_f32_e32 v1, v4, v12
	v_fmac_f32_e32 v1, v5, v13
	v_add_f32_e32 v127, v127, v1
	v_mul_f32_e32 v95, v3, v95
	v_fmac_f32_e32 v95, v2, v94
	v_fmac_f32_e32 v95, v4, v96
	;; [unrolled: 1-line block ×3, first 2 shown]
	v_add_f32_e32 v105, v105, v95
	v_add_u32_e32 v0, 64, v0
	s_waitcnt vmcnt(0)
	v_mul_f32_e32 v1, v3, v9
	v_fmac_f32_e32 v1, v2, v8
	v_fmac_f32_e32 v1, v4, v10
	v_fmac_f32_e32 v1, v5, v11
	v_add_f32_e32 v126, v126, v1
	v_mul_f32_e32 v1, v3, v83
	v_fmac_f32_e32 v1, v2, v82
	scratch_load_dword v82, off, off offset:16 ; 4-byte Folded Reload
	v_fmac_f32_e32 v1, v4, v84
	v_fmac_f32_e32 v1, v5, v85
	scratch_load_dword v5, off, off offset:172 ; 4-byte Folded Reload
	scratch_load_dwordx2 v[2:3], off, off offset:176 ; 8-byte Folded Reload
	v_add_f32_e32 v7, v7, v1
	s_waitcnt vmcnt(2)
	v_add_u32_e32 v82, 2, v82
	v_cmp_le_i32_e32 vcc, s23, v82
	s_or_b64 s[8:9], vcc, s[8:9]
	s_waitcnt vmcnt(1)
	v_add_u32_e32 v5, 0x100, v5
	s_waitcnt vmcnt(0)
	v_lshl_add_u64 v[2:3], v[2:3], 0, 8
	s_andn2_b64 exec, exec, s[8:9]
	s_cbranch_execz .LBB52_88
.LBB52_40:                              ; =>This Inner Loop Header: Depth=1
	global_load_dword v1, v[2:3], off
	s_nop 0
	scratch_store_dwordx2 off, v[2:3], off offset:176 ; 8-byte Folded Spill
	s_waitcnt vmcnt(1)
	v_mad_i64_i32 v[2:3], s[0:1], v1, s12, 0
	v_mov_b32_e32 v1, v82
	v_lshl_add_u64 v[82:83], v[2:3], 2, s[6:7]
	scratch_load_dwordx2 v[2:3], off, off offset:184 ; 8-byte Folded Reload
	v_cmp_eq_u32_e32 vcc, s13, v1
	s_waitcnt vmcnt(0)
	v_lshl_add_u64 v[18:19], v[82:83], 0, v[2:3]
	global_load_dwordx4 v[8:11], v[18:19], off
	s_waitcnt vmcnt(0)
	scratch_store_dwordx4 off, v[8:11], off ; 16-byte Folded Spill
	scratch_store_dword off, v5, off offset:172 ; 4-byte Folded Spill
	ds_read_b128 v[2:5], v5
	v_add_u32_e32 v8, -3, v0
	scratch_store_dword off, v1, off offset:16 ; 4-byte Folded Spill
	v_add_u32_e32 v1, -2, v0
	v_add_u32_e32 v9, -1, v0
	s_and_saveexec_b64 s[10:11], vcc
	s_cbranch_execnz .LBB52_85
; %bb.41:                               ;   in Loop: Header=BB52_40 Depth=1
	s_or_b64 exec, exec, s[10:11]
	global_load_dwordx4 v[10:13], v[18:19], off offset:1024
	s_and_saveexec_b64 s[10:11], vcc
	s_cbranch_execnz .LBB52_86
.LBB52_42:                              ;   in Loop: Header=BB52_40 Depth=1
	s_or_b64 exec, exec, s[10:11]
	global_load_dwordx4 v[14:17], v[18:19], off offset:2048
	s_and_saveexec_b64 s[10:11], vcc
	s_cbranch_execnz .LBB52_87
.LBB52_43:                              ;   in Loop: Header=BB52_40 Depth=1
	s_or_b64 exec, exec, s[10:11]
	global_load_dwordx4 v[18:21], v[18:19], off offset:3072
	s_and_saveexec_b64 s[10:11], vcc
	s_cbranch_execz .LBB52_45
.LBB52_44:                              ;   in Loop: Header=BB52_40 Depth=1
	v_cmp_gt_i32_e64 s[0:1], s21, v8
	s_waitcnt vmcnt(0)
	s_nop 0
	v_cndmask_b32_e64 v18, 0, v18, s[0:1]
	v_cmp_gt_i32_e64 s[0:1], s21, v1
	s_nop 1
	v_cndmask_b32_e64 v19, 0, v19, s[0:1]
	v_cmp_gt_i32_e64 s[0:1], s21, v9
	;; [unrolled: 3-line block ×3, first 2 shown]
	s_nop 1
	v_cndmask_b32_e64 v21, 0, v21, s[0:1]
.LBB52_45:                              ;   in Loop: Header=BB52_40 Depth=1
	s_or_b64 exec, exec, s[10:11]
	v_lshl_add_u64 v[22:23], v[82:83], 0, v[102:103]
	global_load_dwordx4 v[22:25], v[22:23], off
	s_and_saveexec_b64 s[10:11], vcc
	s_cbranch_execz .LBB52_47
; %bb.46:                               ;   in Loop: Header=BB52_40 Depth=1
	v_cmp_gt_i32_e64 s[0:1], s21, v8
	s_waitcnt vmcnt(0)
	s_nop 0
	v_cndmask_b32_e64 v22, 0, v22, s[0:1]
	v_cmp_gt_i32_e64 s[0:1], s21, v1
	s_nop 1
	v_cndmask_b32_e64 v23, 0, v23, s[0:1]
	v_cmp_gt_i32_e64 s[0:1], s21, v9
	s_nop 1
	v_cndmask_b32_e64 v24, 0, v24, s[0:1]
	v_cmp_gt_i32_e64 s[0:1], s21, v0
	s_nop 1
	v_cndmask_b32_e64 v25, 0, v25, s[0:1]
.LBB52_47:                              ;   in Loop: Header=BB52_40 Depth=1
	s_or_b64 exec, exec, s[10:11]
	scratch_load_dwordx2 v[26:27], off, off offset:20 ; 8-byte Folded Reload
	s_waitcnt vmcnt(0)
	v_mov_b32_e32 v27, v103
	v_mov_b32_e32 v28, v26
	v_lshl_add_u64 v[26:27], v[82:83], 0, v[26:27]
	scratch_store_dwordx2 off, v[28:29], off offset:20 ; 8-byte Folded Spill
	global_load_dwordx4 v[26:29], v[26:27], off
	s_and_saveexec_b64 s[10:11], vcc
	s_cbranch_execz .LBB52_49
; %bb.48:                               ;   in Loop: Header=BB52_40 Depth=1
	v_cmp_gt_i32_e64 s[0:1], s21, v8
	s_waitcnt vmcnt(0)
	s_nop 0
	v_cndmask_b32_e64 v26, 0, v26, s[0:1]
	v_cmp_gt_i32_e64 s[0:1], s21, v1
	s_nop 1
	v_cndmask_b32_e64 v27, 0, v27, s[0:1]
	v_cmp_gt_i32_e64 s[0:1], s21, v9
	s_nop 1
	v_cndmask_b32_e64 v28, 0, v28, s[0:1]
	v_cmp_gt_i32_e64 s[0:1], s21, v0
	s_nop 1
	v_cndmask_b32_e64 v29, 0, v29, s[0:1]
.LBB52_49:                              ;   in Loop: Header=BB52_40 Depth=1
	s_or_b64 exec, exec, s[10:11]
	scratch_load_dwordx2 v[30:31], off, off offset:28 ; 8-byte Folded Reload
	s_waitcnt vmcnt(0)
	v_mov_b32_e32 v31, v103
	v_mov_b32_e32 v32, v30
	v_lshl_add_u64 v[30:31], v[82:83], 0, v[30:31]
	scratch_store_dwordx2 off, v[32:33], off offset:28 ; 8-byte Folded Spill
	;; [unrolled: 25-line block ×18, first 2 shown]
	global_load_dwordx4 v[98:101], v[84:85], off
	s_and_saveexec_b64 s[10:11], vcc
	s_cbranch_execz .LBB52_83
; %bb.82:                               ;   in Loop: Header=BB52_40 Depth=1
	v_cmp_gt_i32_e64 s[0:1], s21, v8
	s_waitcnt vmcnt(0)
	s_nop 0
	v_cndmask_b32_e64 v98, 0, v98, s[0:1]
	v_cmp_gt_i32_e64 s[0:1], s21, v1
	s_nop 1
	v_cndmask_b32_e64 v99, 0, v99, s[0:1]
	v_cmp_gt_i32_e64 s[0:1], s21, v9
	s_nop 1
	v_cndmask_b32_e64 v100, 0, v100, s[0:1]
	v_cmp_gt_i32_e64 s[0:1], s21, v0
	s_nop 1
	v_cndmask_b32_e64 v101, 0, v101, s[0:1]
.LBB52_83:                              ;   in Loop: Header=BB52_40 Depth=1
	s_or_b64 exec, exec, s[10:11]
	scratch_load_dwordx2 v[84:85], off, off offset:164 ; 8-byte Folded Reload
	v_mov_b32_e32 v125, v103
	s_waitcnt vmcnt(0)
	v_mov_b32_e32 v124, v84
	v_lshl_add_u64 v[82:83], v[82:83], 0, v[124:125]
	scratch_store_dwordx2 off, v[84:85], off offset:164 ; 8-byte Folded Spill
	global_load_dwordx4 v[82:85], v[82:83], off
	s_and_saveexec_b64 s[0:1], vcc
	s_cbranch_execz .LBB52_39
; %bb.84:                               ;   in Loop: Header=BB52_40 Depth=1
	v_cmp_gt_i32_e32 vcc, s21, v8
	s_waitcnt vmcnt(0)
	s_nop 0
	v_cndmask_b32_e32 v82, 0, v82, vcc
	v_cmp_gt_i32_e32 vcc, s21, v1
	s_nop 1
	v_cndmask_b32_e32 v83, 0, v83, vcc
	v_cmp_gt_i32_e32 vcc, s21, v9
	;; [unrolled: 3-line block ×3, first 2 shown]
	s_nop 1
	v_cndmask_b32_e32 v85, 0, v85, vcc
	s_branch .LBB52_39
.LBB52_85:                              ;   in Loop: Header=BB52_40 Depth=1
	v_cmp_gt_i32_e64 s[0:1], s21, v8
	v_mov_b32_e32 v12, v8
	v_mov_b32_e32 v13, v9
	scratch_load_dwordx4 v[8:11], off, off  ; 16-byte Folded Reload
	s_waitcnt vmcnt(0)
	v_cndmask_b32_e64 v8, 0, v8, s[0:1]
	v_cmp_gt_i32_e64 s[0:1], s21, v1
	s_nop 1
	v_cndmask_b32_e64 v9, 0, v9, s[0:1]
	v_cmp_gt_i32_e64 s[0:1], s21, v13
	s_nop 1
	;; [unrolled: 3-line block ×3, first 2 shown]
	v_cndmask_b32_e64 v11, 0, v11, s[0:1]
	scratch_store_dwordx4 off, v[8:11], off ; 16-byte Folded Spill
	s_nop 1
	v_mov_b32_e32 v9, v13
	v_mov_b32_e32 v8, v12
	s_or_b64 exec, exec, s[10:11]
	global_load_dwordx4 v[10:13], v[18:19], off offset:1024
	s_and_saveexec_b64 s[10:11], vcc
	s_cbranch_execz .LBB52_42
.LBB52_86:                              ;   in Loop: Header=BB52_40 Depth=1
	v_cmp_gt_i32_e64 s[0:1], s21, v8
	s_waitcnt vmcnt(0)
	s_nop 0
	v_cndmask_b32_e64 v10, 0, v10, s[0:1]
	v_cmp_gt_i32_e64 s[0:1], s21, v1
	s_nop 1
	v_cndmask_b32_e64 v11, 0, v11, s[0:1]
	v_cmp_gt_i32_e64 s[0:1], s21, v9
	;; [unrolled: 3-line block ×3, first 2 shown]
	s_nop 1
	v_cndmask_b32_e64 v13, 0, v13, s[0:1]
	s_or_b64 exec, exec, s[10:11]
	global_load_dwordx4 v[14:17], v[18:19], off offset:2048
	s_and_saveexec_b64 s[10:11], vcc
	s_cbranch_execz .LBB52_43
.LBB52_87:                              ;   in Loop: Header=BB52_40 Depth=1
	v_cmp_gt_i32_e64 s[0:1], s21, v8
	s_waitcnt vmcnt(0)
	s_nop 0
	v_cndmask_b32_e64 v14, 0, v14, s[0:1]
	v_cmp_gt_i32_e64 s[0:1], s21, v1
	s_nop 1
	v_cndmask_b32_e64 v15, 0, v15, s[0:1]
	v_cmp_gt_i32_e64 s[0:1], s21, v9
	;; [unrolled: 3-line block ×3, first 2 shown]
	s_nop 1
	v_cndmask_b32_e64 v17, 0, v17, s[0:1]
	s_or_b64 exec, exec, s[10:11]
	global_load_dwordx4 v[18:21], v[18:19], off offset:3072
	s_and_saveexec_b64 s[10:11], vcc
	s_cbranch_execnz .LBB52_44
	s_branch .LBB52_45
.LBB52_88:
	s_or_b64 exec, exec, s[8:9]
	scratch_load_dword v36, off, off offset:192 ; 4-byte Folded Reload
	scratch_load_dword v37, off, off offset:196 ; 4-byte Folded Reload
	;; [unrolled: 1-line block ×6, first 2 shown]
.LBB52_89:
	s_or_b64 exec, exec, s[2:3]
	s_waitcnt vmcnt(2)
	ds_bpermute_b32 v0, v29, v126
	ds_bpermute_b32 v1, v29, v127
	ds_bpermute_b32 v8, v29, v120
	ds_bpermute_b32 v9, v29, v121
	ds_bpermute_b32 v12, v29, v118
	ds_bpermute_b32 v13, v29, v119
	s_waitcnt lgkmcnt(4)
	v_pk_add_f32 v[0:1], v[126:127], v[0:1]
	ds_bpermute_b32 v4, v35, v0
	s_waitcnt lgkmcnt(3)
	v_pk_add_f32 v[14:15], v[120:121], v[8:9]
	ds_bpermute_b32 v5, v35, v1
	ds_bpermute_b32 v8, v35, v14
	;; [unrolled: 1-line block ×3, first 2 shown]
	s_waitcnt lgkmcnt(4)
	v_pk_add_f32 v[12:13], v[118:119], v[12:13]
	ds_bpermute_b32 v2, v29, v122
	s_waitcnt lgkmcnt(3)
	v_pk_add_f32 v[0:1], v[0:1], v[4:5]
	ds_bpermute_b32 v3, v29, v123
	s_waitcnt lgkmcnt(2)
	v_pk_add_f32 v[16:17], v[14:15], v[8:9]
	s_waitcnt vmcnt(1)
	ds_bpermute_b32 v4, v38, v0
	ds_bpermute_b32 v5, v38, v1
	;; [unrolled: 1-line block ×6, first 2 shown]
	s_waitcnt lgkmcnt(6)
	v_pk_add_f32 v[2:3], v[122:123], v[2:3]
	s_waitcnt lgkmcnt(4)
	v_pk_add_f32 v[4:5], v[0:1], v[4:5]
	;; [unrolled: 2-line block ×3, first 2 shown]
	ds_bpermute_b32 v8, v29, v116
	s_waitcnt lgkmcnt(1)
	v_pk_add_f32 v[30:31], v[12:13], v[14:15]
	ds_bpermute_b32 v9, v29, v117
	ds_bpermute_b32 v12, v29, v114
	;; [unrolled: 1-line block ×5, first 2 shown]
	s_waitcnt lgkmcnt(4)
	v_pk_add_f32 v[8:9], v[116:117], v[8:9]
	ds_bpermute_b32 v14, v35, v8
	s_waitcnt lgkmcnt(3)
	v_pk_add_f32 v[12:13], v[114:115], v[12:13]
	ds_bpermute_b32 v15, v35, v9
	;; [unrolled: 3-line block ×3, first 2 shown]
	ds_bpermute_b32 v17, v35, v13
	ds_bpermute_b32 v18, v29, v112
	;; [unrolled: 1-line block ×5, first 2 shown]
	s_waitcnt lgkmcnt(6)
	v_pk_add_f32 v[8:9], v[8:9], v[14:15]
	s_waitcnt lgkmcnt(4)
	v_pk_add_f32 v[16:17], v[12:13], v[16:17]
	;; [unrolled: 2-line block ×3, first 2 shown]
	ds_bpermute_b32 v14, v38, v8
	s_waitcnt lgkmcnt(1)
	v_pk_add_f32 v[2:3], v[2:3], v[10:11]
	ds_bpermute_b32 v10, v38, v30
	ds_bpermute_b32 v11, v38, v31
	;; [unrolled: 1-line block ×9, first 2 shown]
	s_waitcnt lgkmcnt(4)
	v_pk_add_f32 v[18:19], v[12:13], v[18:19]
	v_pk_add_f32 v[12:13], v[30:31], v[10:11]
	;; [unrolled: 1-line block ×3, first 2 shown]
	s_waitcnt lgkmcnt(1)
	v_pk_add_f32 v[22:23], v[110:111], v[22:23]
	s_waitcnt lgkmcnt(0)
	v_pk_add_f32 v[8:9], v[16:17], v[20:21]
	ds_bpermute_b32 v20, v29, v106
	ds_bpermute_b32 v21, v29, v107
	;; [unrolled: 1-line block ×8, first 2 shown]
	s_waitcnt lgkmcnt(6)
	v_pk_add_f32 v[20:21], v[106:107], v[20:21]
	s_waitcnt lgkmcnt(4)
	v_pk_add_f32 v[40:41], v[18:19], v[24:25]
	;; [unrolled: 2-line block ×3, first 2 shown]
	ds_bpermute_b32 v24, v35, v20
	ds_bpermute_b32 v25, v35, v21
	;; [unrolled: 1-line block ×4, first 2 shown]
	s_waitcnt lgkmcnt(4)
	v_pk_add_f32 v[16:17], v[108:109], v[16:17]
	ds_bpermute_b32 v22, v35, v16
	ds_bpermute_b32 v23, v35, v17
	;; [unrolled: 1-line block ×4, first 2 shown]
	s_waitcnt lgkmcnt(6)
	v_pk_add_f32 v[24:25], v[20:21], v[24:25]
	s_waitcnt lgkmcnt(4)
	v_pk_add_f32 v[20:21], v[104:105], v[26:27]
	ds_bpermute_b32 v26, v35, v20
	ds_bpermute_b32 v27, v35, v21
	s_waitcnt lgkmcnt(4)
	v_pk_add_f32 v[16:17], v[16:17], v[22:23]
	s_waitcnt lgkmcnt(2)
	v_pk_add_f32 v[30:31], v[6:7], v[30:31]
	ds_bpermute_b32 v18, v38, v14
	ds_bpermute_b32 v19, v38, v15
	;; [unrolled: 1-line block ×8, first 2 shown]
	s_waitcnt lgkmcnt(8)
	v_pk_add_f32 v[26:27], v[20:21], v[26:27]
	ds_bpermute_b32 v32, v38, v26
	ds_bpermute_b32 v33, v38, v27
	s_waitcnt lgkmcnt(8)
	v_pk_add_f32 v[20:21], v[14:15], v[18:19]
	s_waitcnt lgkmcnt(6)
	v_pk_add_f32 v[18:19], v[16:17], v[22:23]
	;; [unrolled: 2-line block ×4, first 2 shown]
	ds_bpermute_b32 v24, v38, v22
	ds_bpermute_b32 v25, v38, v23
	s_waitcnt lgkmcnt(2)
	v_pk_add_f32 v[14:15], v[26:27], v[32:33]
	v_and_b32_e32 v26, 0x3c7, v36
	v_cmp_ne_u32_e32 vcc, 64, v26
	s_waitcnt lgkmcnt(0)
	s_barrier
	s_and_saveexec_b64 s[0:1], vcc
	s_xor_b64 s[0:1], exec, s[0:1]
; %bb.90:
                                        ; implicit-def: $vgpr37
; %bb.91:
	s_or_saveexec_b64 s[0:1], s[0:1]
	v_pk_add_f32 v[22:23], v[22:23], v[24:25]
	s_xor_b64 exec, exec, s[0:1]
	s_cbranch_execz .LBB52_93
; %bb.92:
	v_lshrrev_b32_e32 v24, 1, v37
	v_add_u32_e32 v24, 0x310, v24
	ds_write2_b32 v24, v4, v5 offset1:8
	ds_write2_b32 v24, v2, v3 offset0:16 offset1:24
	ds_write2_b32 v24, v0, v1 offset0:32 offset1:40
	;; [unrolled: 1-line block ×11, first 2 shown]
.LBB52_93:
	s_or_b64 exec, exec, s[0:1]
	v_cmp_gt_u32_e32 vcc, 64, v36
	s_waitcnt lgkmcnt(0)
	s_barrier
	s_and_saveexec_b64 s[0:1], vcc
	s_cbranch_execz .LBB52_120
; %bb.94:
	s_waitcnt vmcnt(0)
	v_cmp_eq_u32_e32 vcc, 0, v39
	v_lshrrev_b32_e32 v24, 3, v36
	s_and_saveexec_b64 s[2:3], vcc
	s_cbranch_execnz .LBB52_123
; %bb.95:
	s_or_b64 exec, exec, s[2:3]
	s_and_saveexec_b64 s[2:3], vcc
	s_cbranch_execnz .LBB52_124
.LBB52_96:
	s_or_b64 exec, exec, s[2:3]
	s_and_saveexec_b64 s[2:3], vcc
	s_cbranch_execnz .LBB52_125
.LBB52_97:
	s_or_b64 exec, exec, s[2:3]
	s_and_saveexec_b64 s[2:3], vcc
	s_cbranch_execnz .LBB52_126
.LBB52_98:
	s_or_b64 exec, exec, s[2:3]
	s_and_saveexec_b64 s[2:3], vcc
	s_cbranch_execnz .LBB52_127
.LBB52_99:
	s_or_b64 exec, exec, s[2:3]
	s_and_saveexec_b64 s[2:3], vcc
	s_cbranch_execnz .LBB52_128
.LBB52_100:
	s_or_b64 exec, exec, s[2:3]
	s_and_saveexec_b64 s[2:3], vcc
	s_cbranch_execnz .LBB52_129
.LBB52_101:
	s_or_b64 exec, exec, s[2:3]
	s_and_saveexec_b64 s[2:3], vcc
	s_cbranch_execnz .LBB52_130
.LBB52_102:
	s_or_b64 exec, exec, s[2:3]
	s_and_saveexec_b64 s[2:3], vcc
	s_cbranch_execnz .LBB52_131
.LBB52_103:
	s_or_b64 exec, exec, s[2:3]
	s_and_saveexec_b64 s[2:3], vcc
	s_cbranch_execnz .LBB52_132
.LBB52_104:
	s_or_b64 exec, exec, s[2:3]
	s_and_saveexec_b64 s[2:3], vcc
	s_cbranch_execnz .LBB52_133
.LBB52_105:
	s_or_b64 exec, exec, s[2:3]
	s_and_saveexec_b64 s[2:3], vcc
	s_cbranch_execnz .LBB52_134
.LBB52_106:
	s_or_b64 exec, exec, s[2:3]
	s_and_saveexec_b64 s[2:3], vcc
	s_cbranch_execnz .LBB52_135
.LBB52_107:
	s_or_b64 exec, exec, s[2:3]
	s_and_saveexec_b64 s[2:3], vcc
	s_cbranch_execnz .LBB52_136
.LBB52_108:
	s_or_b64 exec, exec, s[2:3]
	s_and_saveexec_b64 s[2:3], vcc
	s_cbranch_execnz .LBB52_137
.LBB52_109:
	s_or_b64 exec, exec, s[2:3]
	s_and_saveexec_b64 s[2:3], vcc
	s_cbranch_execnz .LBB52_138
.LBB52_110:
	s_or_b64 exec, exec, s[2:3]
	s_and_saveexec_b64 s[2:3], vcc
	s_cbranch_execnz .LBB52_139
.LBB52_111:
	s_or_b64 exec, exec, s[2:3]
	s_and_saveexec_b64 s[2:3], vcc
	s_cbranch_execnz .LBB52_140
.LBB52_112:
	s_or_b64 exec, exec, s[2:3]
	s_and_saveexec_b64 s[2:3], vcc
	s_cbranch_execnz .LBB52_141
.LBB52_113:
	s_or_b64 exec, exec, s[2:3]
	s_and_saveexec_b64 s[2:3], vcc
	s_cbranch_execnz .LBB52_142
.LBB52_114:
	s_or_b64 exec, exec, s[2:3]
	s_and_saveexec_b64 s[2:3], vcc
	s_cbranch_execnz .LBB52_143
.LBB52_115:
	s_or_b64 exec, exec, s[2:3]
	s_and_saveexec_b64 s[2:3], vcc
	s_cbranch_execnz .LBB52_144
.LBB52_116:
	s_or_b64 exec, exec, s[2:3]
	s_and_saveexec_b64 s[2:3], vcc
	s_cbranch_execnz .LBB52_145
.LBB52_117:
	s_or_b64 exec, exec, s[2:3]
	s_and_saveexec_b64 s[2:3], vcc
	s_cbranch_execz .LBB52_119
.LBB52_118:
	v_mov_b32_e32 v25, 0x310
	v_lshl_add_u32 v24, v24, 2, v25
	ds_read_b32 v24, v24 offset:736
	s_waitcnt lgkmcnt(0)
	v_add_f32_e32 v23, v23, v24
.LBB52_119:
	s_or_b64 exec, exec, s[2:3]
.LBB52_120:
	s_or_b64 exec, exec, s[0:1]
	v_cmp_eq_u32_e32 vcc, 0, v26
	s_barrier
	s_and_saveexec_b64 s[0:1], vcc
	s_cbranch_execz .LBB52_122
; %bb.121:
	s_mul_i32 s0, s20, s16
	s_mul_i32 s0, s0, s5
	s_mulk_i32 s0, 0xc0
	s_ashr_i32 s1, s0, 31
	s_lshl_b64 s[0:1], s[0:1], 2
	s_add_u32 s2, s24, s0
	s_mul_i32 s0, s16, s22
	s_addc_u32 s3, s25, s1
	s_ashr_i32 s1, s0, 31
	s_lshl_b64 s[0:1], s[0:1], 2
	s_add_u32 s2, s2, s0
	s_mul_i32 s0, s4, 0xc0
	s_addc_u32 s3, s3, s1
	s_ashr_i32 s1, s0, 31
	s_lshl_b64 s[0:1], s[0:1], 2
	s_add_u32 s0, s2, s0
	s_addc_u32 s1, s3, s1
	v_lshrrev_b32_e32 v24, 1, v36
	global_store_dword v24, v4, s[0:1]
	global_store_dword v24, v5, s[0:1] offset:32
	global_store_dword v24, v2, s[0:1] offset:64
	;; [unrolled: 1-line block ×23, first 2 shown]
.LBB52_122:
	s_endpgm
.LBB52_123:
	v_mov_b32_e32 v25, 0x310
	v_lshl_add_u32 v25, v24, 2, v25
	ds_read_b32 v25, v25
	s_waitcnt lgkmcnt(0)
	v_add_f32_e32 v4, v4, v25
	s_or_b64 exec, exec, s[2:3]
	s_and_saveexec_b64 s[2:3], vcc
	s_cbranch_execz .LBB52_96
.LBB52_124:
	v_mov_b32_e32 v25, 0x310
	v_lshl_add_u32 v25, v24, 2, v25
	ds_read_b32 v25, v25 offset:32
	s_waitcnt lgkmcnt(0)
	v_add_f32_e32 v5, v5, v25
	s_or_b64 exec, exec, s[2:3]
	s_and_saveexec_b64 s[2:3], vcc
	s_cbranch_execz .LBB52_97
.LBB52_125:
	v_mov_b32_e32 v25, 0x310
	v_lshl_add_u32 v25, v24, 2, v25
	ds_read_b32 v25, v25 offset:64
	s_waitcnt lgkmcnt(0)
	v_add_f32_e32 v2, v2, v25
	s_or_b64 exec, exec, s[2:3]
	s_and_saveexec_b64 s[2:3], vcc
	s_cbranch_execz .LBB52_98
.LBB52_126:
	v_mov_b32_e32 v25, 0x310
	v_lshl_add_u32 v25, v24, 2, v25
	ds_read_b32 v25, v25 offset:96
	s_waitcnt lgkmcnt(0)
	v_add_f32_e32 v3, v3, v25
	s_or_b64 exec, exec, s[2:3]
	s_and_saveexec_b64 s[2:3], vcc
	s_cbranch_execz .LBB52_99
.LBB52_127:
	v_mov_b32_e32 v25, 0x310
	v_lshl_add_u32 v25, v24, 2, v25
	ds_read_b32 v25, v25 offset:128
	s_waitcnt lgkmcnt(0)
	v_add_f32_e32 v0, v0, v25
	s_or_b64 exec, exec, s[2:3]
	s_and_saveexec_b64 s[2:3], vcc
	s_cbranch_execz .LBB52_100
.LBB52_128:
	v_mov_b32_e32 v25, 0x310
	v_lshl_add_u32 v25, v24, 2, v25
	ds_read_b32 v25, v25 offset:160
	s_waitcnt lgkmcnt(0)
	v_add_f32_e32 v1, v1, v25
	s_or_b64 exec, exec, s[2:3]
	s_and_saveexec_b64 s[2:3], vcc
	s_cbranch_execz .LBB52_101
.LBB52_129:
	v_mov_b32_e32 v25, 0x310
	v_lshl_add_u32 v25, v24, 2, v25
	ds_read_b32 v25, v25 offset:192
	s_waitcnt lgkmcnt(0)
	v_add_f32_e32 v12, v12, v25
	s_or_b64 exec, exec, s[2:3]
	s_and_saveexec_b64 s[2:3], vcc
	s_cbranch_execz .LBB52_102
.LBB52_130:
	v_mov_b32_e32 v25, 0x310
	v_lshl_add_u32 v25, v24, 2, v25
	ds_read_b32 v25, v25 offset:224
	s_waitcnt lgkmcnt(0)
	v_add_f32_e32 v13, v13, v25
	s_or_b64 exec, exec, s[2:3]
	s_and_saveexec_b64 s[2:3], vcc
	s_cbranch_execz .LBB52_103
.LBB52_131:
	v_mov_b32_e32 v25, 0x310
	v_lshl_add_u32 v25, v24, 2, v25
	ds_read_b32 v25, v25 offset:256
	s_waitcnt lgkmcnt(0)
	v_add_f32_e32 v10, v10, v25
	s_or_b64 exec, exec, s[2:3]
	s_and_saveexec_b64 s[2:3], vcc
	s_cbranch_execz .LBB52_104
.LBB52_132:
	v_mov_b32_e32 v25, 0x310
	v_lshl_add_u32 v25, v24, 2, v25
	ds_read_b32 v25, v25 offset:288
	s_waitcnt lgkmcnt(0)
	v_add_f32_e32 v11, v11, v25
	s_or_b64 exec, exec, s[2:3]
	s_and_saveexec_b64 s[2:3], vcc
	s_cbranch_execz .LBB52_105
.LBB52_133:
	v_mov_b32_e32 v25, 0x310
	v_lshl_add_u32 v25, v24, 2, v25
	ds_read_b32 v25, v25 offset:320
	s_waitcnt lgkmcnt(0)
	v_add_f32_e32 v8, v8, v25
	s_or_b64 exec, exec, s[2:3]
	s_and_saveexec_b64 s[2:3], vcc
	s_cbranch_execz .LBB52_106
.LBB52_134:
	v_mov_b32_e32 v25, 0x310
	v_lshl_add_u32 v25, v24, 2, v25
	ds_read_b32 v25, v25 offset:352
	s_waitcnt lgkmcnt(0)
	v_add_f32_e32 v9, v9, v25
	s_or_b64 exec, exec, s[2:3]
	s_and_saveexec_b64 s[2:3], vcc
	s_cbranch_execz .LBB52_107
.LBB52_135:
	v_mov_b32_e32 v25, 0x310
	v_lshl_add_u32 v25, v24, 2, v25
	ds_read_b32 v25, v25 offset:384
	s_waitcnt lgkmcnt(0)
	v_add_f32_e32 v40, v40, v25
	s_or_b64 exec, exec, s[2:3]
	s_and_saveexec_b64 s[2:3], vcc
	s_cbranch_execz .LBB52_108
.LBB52_136:
	v_mov_b32_e32 v25, 0x310
	v_lshl_add_u32 v25, v24, 2, v25
	ds_read_b32 v25, v25 offset:416
	s_waitcnt lgkmcnt(0)
	v_add_f32_e32 v41, v41, v25
	s_or_b64 exec, exec, s[2:3]
	s_and_saveexec_b64 s[2:3], vcc
	s_cbranch_execz .LBB52_109
.LBB52_137:
	v_mov_b32_e32 v25, 0x310
	v_lshl_add_u32 v25, v24, 2, v25
	ds_read_b32 v25, v25 offset:448
	s_waitcnt lgkmcnt(0)
	v_add_f32_e32 v20, v20, v25
	s_or_b64 exec, exec, s[2:3]
	s_and_saveexec_b64 s[2:3], vcc
	s_cbranch_execz .LBB52_110
.LBB52_138:
	v_mov_b32_e32 v25, 0x310
	v_lshl_add_u32 v25, v24, 2, v25
	ds_read_b32 v25, v25 offset:480
	s_waitcnt lgkmcnt(0)
	v_add_f32_e32 v21, v21, v25
	s_or_b64 exec, exec, s[2:3]
	s_and_saveexec_b64 s[2:3], vcc
	s_cbranch_execz .LBB52_111
.LBB52_139:
	v_mov_b32_e32 v25, 0x310
	v_lshl_add_u32 v25, v24, 2, v25
	ds_read_b32 v25, v25 offset:512
	s_waitcnt lgkmcnt(0)
	v_add_f32_e32 v18, v18, v25
	s_or_b64 exec, exec, s[2:3]
	s_and_saveexec_b64 s[2:3], vcc
	s_cbranch_execz .LBB52_112
.LBB52_140:
	v_mov_b32_e32 v25, 0x310
	v_lshl_add_u32 v25, v24, 2, v25
	ds_read_b32 v25, v25 offset:544
	s_waitcnt lgkmcnt(0)
	v_add_f32_e32 v19, v19, v25
	s_or_b64 exec, exec, s[2:3]
	s_and_saveexec_b64 s[2:3], vcc
	s_cbranch_execz .LBB52_113
.LBB52_141:
	v_mov_b32_e32 v25, 0x310
	v_lshl_add_u32 v25, v24, 2, v25
	ds_read_b32 v25, v25 offset:576
	s_waitcnt lgkmcnt(0)
	v_add_f32_e32 v16, v16, v25
	s_or_b64 exec, exec, s[2:3]
	s_and_saveexec_b64 s[2:3], vcc
	s_cbranch_execz .LBB52_114
.LBB52_142:
	v_mov_b32_e32 v25, 0x310
	v_lshl_add_u32 v25, v24, 2, v25
	ds_read_b32 v25, v25 offset:608
	s_waitcnt lgkmcnt(0)
	v_add_f32_e32 v17, v17, v25
	s_or_b64 exec, exec, s[2:3]
	s_and_saveexec_b64 s[2:3], vcc
	s_cbranch_execz .LBB52_115
.LBB52_143:
	v_mov_b32_e32 v25, 0x310
	v_lshl_add_u32 v25, v24, 2, v25
	ds_read_b32 v25, v25 offset:640
	s_waitcnt lgkmcnt(0)
	v_add_f32_e32 v14, v14, v25
	s_or_b64 exec, exec, s[2:3]
	s_and_saveexec_b64 s[2:3], vcc
	s_cbranch_execz .LBB52_116
.LBB52_144:
	v_mov_b32_e32 v25, 0x310
	v_lshl_add_u32 v25, v24, 2, v25
	ds_read_b32 v25, v25 offset:672
	s_waitcnt lgkmcnt(0)
	v_add_f32_e32 v15, v15, v25
	s_or_b64 exec, exec, s[2:3]
	s_and_saveexec_b64 s[2:3], vcc
	s_cbranch_execz .LBB52_117
.LBB52_145:
	v_mov_b32_e32 v25, 0x310
	v_lshl_add_u32 v25, v24, 2, v25
	ds_read_b32 v25, v25 offset:704
	s_waitcnt lgkmcnt(0)
	v_add_f32_e32 v22, v22, v25
	s_or_b64 exec, exec, s[2:3]
	s_and_saveexec_b64 s[2:3], vcc
	s_cbranch_execnz .LBB52_118
	s_branch .LBB52_119
	.section	.rodata,"a",@progbits
	.p2align	6, 0x0
	.amdhsa_kernel _ZN4vllm25paged_attention_v1_kernelIffLi192ELi32ELi128ELNS_18Fp8KVCacheDataTypeE0ELb0EEEvPT_PKS2_PKT0_S8_ifPKiSA_iPKfiiiSC_SC_iiiii
		.amdhsa_group_segment_fixed_size 784
		.amdhsa_private_segment_fixed_size 220
		.amdhsa_kernarg_size 384
		.amdhsa_user_sgpr_count 2
		.amdhsa_user_sgpr_dispatch_ptr 0
		.amdhsa_user_sgpr_queue_ptr 0
		.amdhsa_user_sgpr_kernarg_segment_ptr 1
		.amdhsa_user_sgpr_dispatch_id 0
		.amdhsa_user_sgpr_kernarg_preload_length 0
		.amdhsa_user_sgpr_kernarg_preload_offset 0
		.amdhsa_user_sgpr_private_segment_size 0
		.amdhsa_uses_dynamic_stack 0
		.amdhsa_enable_private_segment 1
		.amdhsa_system_sgpr_workgroup_id_x 1
		.amdhsa_system_sgpr_workgroup_id_y 1
		.amdhsa_system_sgpr_workgroup_id_z 1
		.amdhsa_system_sgpr_workgroup_info 0
		.amdhsa_system_vgpr_workitem_id 0
		.amdhsa_next_free_vgpr 128
		.amdhsa_next_free_sgpr 45
		.amdhsa_accum_offset 128
		.amdhsa_reserve_vcc 1
		.amdhsa_float_round_mode_32 0
		.amdhsa_float_round_mode_16_64 0
		.amdhsa_float_denorm_mode_32 3
		.amdhsa_float_denorm_mode_16_64 3
		.amdhsa_dx10_clamp 1
		.amdhsa_ieee_mode 1
		.amdhsa_fp16_overflow 0
		.amdhsa_tg_split 0
		.amdhsa_exception_fp_ieee_invalid_op 0
		.amdhsa_exception_fp_denorm_src 0
		.amdhsa_exception_fp_ieee_div_zero 0
		.amdhsa_exception_fp_ieee_overflow 0
		.amdhsa_exception_fp_ieee_underflow 0
		.amdhsa_exception_fp_ieee_inexact 0
		.amdhsa_exception_int_div_zero 0
	.end_amdhsa_kernel
	.section	.text._ZN4vllm25paged_attention_v1_kernelIffLi192ELi32ELi128ELNS_18Fp8KVCacheDataTypeE0ELb0EEEvPT_PKS2_PKT0_S8_ifPKiSA_iPKfiiiSC_SC_iiiii,"axG",@progbits,_ZN4vllm25paged_attention_v1_kernelIffLi192ELi32ELi128ELNS_18Fp8KVCacheDataTypeE0ELb0EEEvPT_PKS2_PKT0_S8_ifPKiSA_iPKfiiiSC_SC_iiiii,comdat
.Lfunc_end52:
	.size	_ZN4vllm25paged_attention_v1_kernelIffLi192ELi32ELi128ELNS_18Fp8KVCacheDataTypeE0ELb0EEEvPT_PKS2_PKT0_S8_ifPKiSA_iPKfiiiSC_SC_iiiii, .Lfunc_end52-_ZN4vllm25paged_attention_v1_kernelIffLi192ELi32ELi128ELNS_18Fp8KVCacheDataTypeE0ELb0EEEvPT_PKS2_PKT0_S8_ifPKiSA_iPKfiiiSC_SC_iiiii
                                        ; -- End function
	.section	.AMDGPU.csdata,"",@progbits
; Kernel info:
; codeLenInByte = 11272
; NumSgprs: 51
; NumVgprs: 128
; NumAgprs: 0
; TotalNumVgprs: 128
; ScratchSize: 220
; MemoryBound: 0
; FloatMode: 240
; IeeeMode: 1
; LDSByteSize: 784 bytes/workgroup (compile time only)
; SGPRBlocks: 6
; VGPRBlocks: 15
; NumSGPRsForWavesPerEU: 51
; NumVGPRsForWavesPerEU: 128
; AccumOffset: 128
; Occupancy: 4
; WaveLimiterHint : 1
; COMPUTE_PGM_RSRC2:SCRATCH_EN: 1
; COMPUTE_PGM_RSRC2:USER_SGPR: 2
; COMPUTE_PGM_RSRC2:TRAP_HANDLER: 0
; COMPUTE_PGM_RSRC2:TGID_X_EN: 1
; COMPUTE_PGM_RSRC2:TGID_Y_EN: 1
; COMPUTE_PGM_RSRC2:TGID_Z_EN: 1
; COMPUTE_PGM_RSRC2:TIDIG_COMP_CNT: 0
; COMPUTE_PGM_RSRC3_GFX90A:ACCUM_OFFSET: 31
; COMPUTE_PGM_RSRC3_GFX90A:TG_SPLIT: 0
	.section	.text._ZN4vllm25paged_attention_v1_kernelIffLi256ELi32ELi128ELNS_18Fp8KVCacheDataTypeE0ELb0EEEvPT_PKS2_PKT0_S8_ifPKiSA_iPKfiiiSC_SC_iiiii,"axG",@progbits,_ZN4vllm25paged_attention_v1_kernelIffLi256ELi32ELi128ELNS_18Fp8KVCacheDataTypeE0ELb0EEEvPT_PKS2_PKT0_S8_ifPKiSA_iPKfiiiSC_SC_iiiii,comdat
	.protected	_ZN4vllm25paged_attention_v1_kernelIffLi256ELi32ELi128ELNS_18Fp8KVCacheDataTypeE0ELb0EEEvPT_PKS2_PKT0_S8_ifPKiSA_iPKfiiiSC_SC_iiiii ; -- Begin function _ZN4vllm25paged_attention_v1_kernelIffLi256ELi32ELi128ELNS_18Fp8KVCacheDataTypeE0ELb0EEEvPT_PKS2_PKT0_S8_ifPKiSA_iPKfiiiSC_SC_iiiii
	.globl	_ZN4vllm25paged_attention_v1_kernelIffLi256ELi32ELi128ELNS_18Fp8KVCacheDataTypeE0ELb0EEEvPT_PKS2_PKT0_S8_ifPKiSA_iPKfiiiSC_SC_iiiii
	.p2align	8
	.type	_ZN4vllm25paged_attention_v1_kernelIffLi256ELi32ELi128ELNS_18Fp8KVCacheDataTypeE0ELb0EEEvPT_PKS2_PKT0_S8_ifPKiSA_iPKfiiiSC_SC_iiiii,@function
_ZN4vllm25paged_attention_v1_kernelIffLi256ELi32ELi128ELNS_18Fp8KVCacheDataTypeE0ELb0EEEvPT_PKS2_PKT0_S8_ifPKiSA_iPKfiiiSC_SC_iiiii: ; @_ZN4vllm25paged_attention_v1_kernelIffLi256ELi32ELi128ELNS_18Fp8KVCacheDataTypeE0ELb0EEEvPT_PKS2_PKT0_S8_ifPKiSA_iPKfiiiSC_SC_iiiii
; %bb.0:
	s_load_dword s5, s[0:1], 0x80
	s_load_dwordx2 s[6:7], s[0:1], 0x30
	s_load_dwordx2 s[8:9], s[0:1], 0x20
	s_mov_b32 s10, s3
	s_ashr_i32 s11, s3, 31
	s_lshl_b64 s[12:13], s[10:11], 2
	s_waitcnt lgkmcnt(0)
	s_add_u32 s6, s6, s12
	s_addc_u32 s7, s7, s13
	s_abs_i32 s3, s8
	v_mov_b32_e32 v44, v0
	v_cvt_f32_u32_e32 v0, s3
	s_sub_i32 s12, 0, s3
	s_abs_i32 s11, s5
	s_xor_b32 s8, s5, s8
	v_rcp_iflag_f32_e32 v0, v0
	s_ashr_i32 s8, s8, 31
	v_mul_f32_e32 v0, 0x4f7ffffe, v0
	v_cvt_u32_f32_e32 v0, v0
	s_nop 0
	v_readfirstlane_b32 s13, v0
	s_mul_i32 s12, s12, s13
	s_mul_hi_u32 s12, s13, s12
	s_add_i32 s13, s13, s12
	s_mul_hi_u32 s12, s11, s13
	s_mul_i32 s13, s12, s3
	s_sub_i32 s11, s11, s13
	s_add_i32 s13, s12, 1
	s_sub_i32 s14, s11, s3
	s_cmp_ge_u32 s11, s3
	s_cselect_b32 s12, s13, s12
	s_cselect_b32 s11, s14, s11
	s_add_i32 s13, s12, 1
	s_cmp_ge_u32 s11, s3
	s_cselect_b32 s3, s13, s12
	s_xor_b32 s3, s3, s8
	s_sub_i32 s14, s3, s8
	s_abs_i32 s11, s14
	v_cvt_f32_u32_e32 v0, s11
	s_load_dwordx2 s[12:13], s[0:1], 0x40
	s_sub_i32 s3, 0, s11
	s_abs_i32 s18, s2
	v_rcp_iflag_f32_e32 v0, v0
	s_mov_b32 s8, 0
	v_mul_f32_e32 v0, 0x4f7ffffe, v0
	v_cvt_u32_f32_e32 v0, v0
	s_nop 0
	v_readfirstlane_b32 s15, v0
	s_mul_i32 s3, s3, s15
	s_mul_hi_u32 s3, s15, s3
	s_add_i32 s15, s15, s3
	s_waitcnt lgkmcnt(0)
	s_cmp_eq_u64 s[12:13], 0
	s_mul_hi_u32 s19, s18, s15
	s_cbranch_scc1 .LBB53_2
; %bb.1:
	s_ashr_i32 s3, s2, 31
	s_lshl_b64 s[16:17], s[2:3], 2
	s_add_u32 s12, s12, s16
	s_addc_u32 s13, s13, s17
	s_load_dword s8, s[12:13], 0x0
.LBB53_2:
	s_load_dword s33, s[6:7], 0x0
	s_ashr_i32 s7, s14, 31
	s_load_dwordx4 s[12:15], s[0:1], 0x48
	s_ashr_i32 s6, s2, 31
	s_lshl_b32 s16, s2, 8
	s_movk_i32 s2, 0x80
	v_and_b32_e32 v0, 1, v44
	v_cmp_gt_u32_e32 vcc, s2, v44
	v_lshlrev_b32_e32 v1, 3, v44
	v_lshlrev_b32_e32 v47, 2, v44
	s_and_saveexec_b64 s[2:3], vcc
	s_cbranch_execz .LBB53_4
; %bb.3:
	s_load_dwordx2 s[20:21], s[0:1], 0x8
	s_waitcnt lgkmcnt(0)
	s_mul_i32 s22, s10, s12
	s_ashr_i32 s23, s22, 31
	s_lshl_b64 s[22:23], s[22:23], 2
	v_and_b32_e32 v4, 0xff8, v47
	s_add_u32 s12, s20, s22
	s_addc_u32 s15, s21, s23
	s_ashr_i32 s17, s16, 31
	s_lshl_b64 s[20:21], s[16:17], 2
	s_add_u32 s20, s12, s20
	s_addc_u32 s21, s15, s21
	global_load_dwordx2 v[2:3], v1, s[20:21]
	v_lshl_add_u32 v4, v0, 9, v4
	s_waitcnt vmcnt(0)
	ds_write_b64 v4, v[2:3]
.LBB53_4:
	s_or_b64 exec, exec, s[2:3]
	s_waitcnt lgkmcnt(0)
	s_add_i32 s3, s33, 31
	s_ashr_i32 s12, s3, 31
	s_lshr_b32 s12, s12, 27
	s_add_i32 s3, s3, s12
	s_ashr_i32 s17, s3, 5
	s_xor_b32 s3, s6, s7
	s_mul_i32 s6, s19, s11
	s_sub_i32 s6, s18, s6
	s_add_i32 s7, s19, 1
	s_sub_i32 s12, s6, s11
	s_load_dwordx2 s[20:21], s[0:1], 0x28
	s_load_dword s2, s[0:1], 0x38
	s_cmp_ge_u32 s6, s11
	s_cselect_b32 s7, s7, s19
	s_cselect_b32 s6, s12, s6
	s_add_i32 s12, s7, 1
	s_cmp_ge_u32 s6, s11
	s_cselect_b32 s6, s12, s7
	v_lshrrev_b32_e32 v15, 6, v44
	s_xor_b32 s6, s6, s3
	s_waitcnt lgkmcnt(0)
	s_mul_i32 s22, s10, s2
	s_sub_i32 s12, s6, s3
	s_ashr_i32 s23, s22, 31
	v_cmp_gt_i32_e64 s[6:7], s17, v15
	v_cmp_le_i32_e32 vcc, s17, v15
	v_mbcnt_lo_u32_b32 v2, -1, 0
	s_barrier
	s_waitcnt lgkmcnt(0)
                                        ; implicit-def: $sgpr15
                                        ; implicit-def: $vgpr7
                                        ; implicit-def: $vgpr8
	s_and_saveexec_b64 s[2:3], vcc
	s_xor_b64 s[2:3], exec, s[2:3]
; %bb.5:
	v_mbcnt_hi_u32_b32 v7, -1, v2
	v_and_b32_e32 v0, 64, v7
	v_add_u32_e32 v8, 64, v0
	s_mov_b32 s15, 0xff7fffff
                                        ; implicit-def: $vgpr1
                                        ; implicit-def: $vgpr0
                                        ; implicit-def: $vgpr2
; %bb.6:
	s_or_saveexec_b64 s[26:27], s[2:3]
	s_load_dwordx2 s[18:19], s[0:1], 0x0
	s_load_dwordx2 s[24:25], s[0:1], 0x18
	s_load_dword s11, s[0:1], 0x88
	v_mov_b32_e32 v21, s15
	s_mul_i32 s14, s12, s14
	v_lshrrev_b32_e32 v11, 4, v44
	scratch_store_dword off, v44, off offset:440 ; 4-byte Folded Spill
	s_xor_b64 exec, exec, s[26:27]
	s_cbranch_execz .LBB53_12
; %bb.7:
	s_load_dwordx2 s[0:1], s[0:1], 0x10
	s_ashr_i32 s15, s14, 31
	s_lshl_b64 s[2:3], s[14:15], 2
	v_bfe_u32 v8, v44, 1, 5
	v_lshlrev_b32_e32 v6, 4, v8
	s_waitcnt lgkmcnt(0)
	s_add_u32 s0, s0, s2
	s_addc_u32 s1, s1, s3
	v_mov_b32_e32 v7, 0
	v_lshl_add_u64 v[4:5], s[0:1], 0, v[6:7]
	v_and_b32_e32 v6, 8, v1
	v_lshlrev_b32_e32 v1, 9, v0
	ds_read_b128 v[16:19], v1
	v_lshl_add_u64 v[4:5], v[4:5], 0, v[6:7]
	scratch_store_dwordx2 off, v[4:5], off  ; 8-byte Folded Spill
	v_mbcnt_hi_u32_b32 v4, -1, v2
	v_and_b32_e32 v3, 64, v4
	s_waitcnt lgkmcnt(0)
	scratch_store_dwordx4 off, v[16:19], off offset:16 ; 16-byte Folded Spill
	ds_read_b128 v[16:19], v1 offset:16
	v_xor_b32_e32 v2, 1, v4
	v_add_u32_e32 v3, 64, v3
	v_cmp_lt_i32_e32 vcc, v2, v3
	scratch_store_dword off, v47, off offset:140 ; 4-byte Folded Spill
	s_waitcnt lgkmcnt(0)
	scratch_store_dwordx4 off, v[16:19], off offset:32 ; 16-byte Folded Spill
	ds_read_b128 v[16:19], v1 offset:32
	v_cndmask_b32_e32 v2, v4, v2, vcc
	v_lshlrev_b32_e32 v2, 2, v2
	s_sub_i32 s15, 1, s33
	s_lshl_b64 s[0:1], s[22:23], 2
	s_waitcnt lgkmcnt(0)
	scratch_store_dwordx4 off, v[16:19], off offset:48 ; 16-byte Folded Spill
	ds_read_b128 v[16:19], v1 offset:48
	v_lshlrev_b32_e32 v9, 2, v8
	s_add_u32 s0, s20, s0
	v_cmp_eq_u32_e32 vcc, 0, v0
	v_lshl_or_b32 v0, v15, 7, v9
	s_waitcnt lgkmcnt(0)
	scratch_store_dwordx4 off, v[16:19], off offset:64 ; 16-byte Folded Spill
	ds_read_b128 v[16:19], v1 offset:64
	v_and_b32_e32 v6, 60, v11
	s_addc_u32 s1, s21, s1
	s_mov_b32 s12, s13
	v_cmp_neq_f32_e64 s[2:3], s8, 0
	s_waitcnt lgkmcnt(0)
	scratch_store_dwordx4 off, v[16:19], off offset:80 ; 16-byte Folded Spill
	ds_read_b128 v[16:19], v1 offset:80
	v_lshl_add_u64 v[126:127], s[0:1], 0, v[6:7]
	s_mov_b64 s[28:29], 0
	v_mov_b32_e32 v21, 0xff7fffff
	s_movk_i32 s34, 0x1000
	s_waitcnt lgkmcnt(0)
	scratch_store_dwordx4 off, v[16:19], off offset:100 ; 16-byte Folded Spill
	ds_read_b128 v[16:19], v1 offset:96
	s_movk_i32 s35, 0x2000
	s_movk_i32 s36, 0x3000
	;; [unrolled: 1-line block ×4, first 2 shown]
	s_waitcnt lgkmcnt(0)
	scratch_store_dwordx4 off, v[16:19], off offset:116 ; 16-byte Folded Spill
	ds_read_b128 v[30:33], v1 offset:112
	ds_read_b128 v[34:37], v1 offset:128
	;; [unrolled: 1-line block ×6, first 2 shown]
	scratch_store_dword off, v3, off offset:164 ; 4-byte Folded Spill
	scratch_store_dword off, v4, off offset:156 ; 4-byte Folded Spill
	;; [unrolled: 1-line block ×3, first 2 shown]
	ds_read_b128 v[54:57], v1 offset:208
	ds_read_b128 v[58:61], v1 offset:224
	;; [unrolled: 1-line block ×19, first 2 shown]
	v_lshl_or_b32 v16, v15, 5, v8
	v_add_u32_e32 v17, 0x410, v0
	s_movk_i32 s39, 0x6000
	s_movk_i32 s40, 0x7000
	v_mov_b32_e32 v18, v15
	scratch_store_dword off, v11, off offset:148 ; 4-byte Folded Spill
	scratch_store_dword off, v15, off offset:96 ; 4-byte Folded Spill
	s_branch .LBB53_9
.LBB53_8:                               ;   in Loop: Header=BB53_9 Depth=1
	s_or_b64 exec, exec, s[30:31]
	v_add_u32_e32 v18, 2, v18
	v_cmp_le_i32_e64 s[0:1], s17, v18
	v_add_u32_e32 v16, 64, v16
	v_add_u32_e32 v17, 0x100, v17
	s_or_b64 s[28:29], s[0:1], s[28:29]
	v_lshl_add_u64 v[126:127], v[126:127], 0, 8
	s_andn2_b64 exec, exec, s[28:29]
	s_cbranch_execz .LBB53_11
.LBB53_9:                               ; =>This Inner Loop Header: Depth=1
	global_load_dword v0, v[126:127], off
	scratch_load_dwordx2 v[6:7], off, off   ; 8-byte Folded Reload
	s_waitcnt vmcnt(1) lgkmcnt(0)
	v_mad_i64_i32 v[0:1], s[0:1], v0, s12, 0
	s_waitcnt vmcnt(0)
	v_lshl_add_u64 v[10:11], v[0:1], 2, v[6:7]
	global_load_dwordx2 v[0:1], v[10:11], off offset:512
	scratch_load_dwordx4 v[6:9], off, off offset:16 ; 16-byte Folded Reload
	v_add_co_u32_e64 v22, s[0:1], s34, v10
	s_waitcnt vmcnt(0)
	v_mul_f32_e32 v19, v8, v0
	v_mul_f32_e32 v20, v9, v1
	global_load_dwordx2 v[0:1], v[10:11], off
	v_addc_co_u32_e64 v23, s[0:1], 0, v11, s[0:1]
	v_add_co_u32_e64 v24, s[0:1], s35, v10
	s_waitcnt vmcnt(0)
	v_fmac_f32_e32 v19, v6, v0
	v_fmac_f32_e32 v20, v7, v1
	global_load_dwordx2 v[0:1], v[10:11], off offset:1024
	scratch_load_dwordx4 v[6:9], off, off offset:32 ; 16-byte Folded Reload
	v_addc_co_u32_e64 v25, s[0:1], 0, v11, s[0:1]
	v_add_co_u32_e64 v14, s[0:1], s36, v10
	s_waitcnt vmcnt(0)
	v_fmac_f32_e32 v19, v6, v0
	v_fmac_f32_e32 v20, v7, v1
	global_load_dwordx2 v[0:1], v[10:11], off offset:1536
	v_addc_co_u32_e64 v15, s[0:1], 0, v11, s[0:1]
	v_add_co_u32_e64 v12, s[0:1], s37, v10
	s_waitcnt vmcnt(0)
	v_fmac_f32_e32 v19, v8, v0
	v_fmac_f32_e32 v20, v9, v1
	global_load_dwordx2 v[0:1], v[10:11], off offset:2048
	scratch_load_dwordx4 v[6:9], off, off offset:48 ; 16-byte Folded Reload
	v_addc_co_u32_e64 v13, s[0:1], 0, v11, s[0:1]
	s_waitcnt vmcnt(0)
	v_fmac_f32_e32 v19, v6, v0
	v_fmac_f32_e32 v20, v7, v1
	global_load_dwordx2 v[0:1], v[10:11], off offset:2560
	s_waitcnt vmcnt(0)
	v_fmac_f32_e32 v19, v8, v0
	v_fmac_f32_e32 v20, v9, v1
	global_load_dwordx2 v[0:1], v[10:11], off offset:3072
	scratch_load_dwordx4 v[26:29], off, off offset:64 ; 16-byte Folded Reload
	v_add_co_u32_e64 v8, s[0:1], s38, v10
	s_waitcnt vmcnt(0)
	v_fmac_f32_e32 v19, v26, v0
	v_addc_co_u32_e64 v9, s[0:1], 0, v11, s[0:1]
	v_add_co_u32_e64 v6, s[0:1], s39, v10
	v_fmac_f32_e32 v20, v27, v1
	s_nop 0
	v_addc_co_u32_e64 v7, s[0:1], 0, v11, s[0:1]
	v_add_co_u32_e64 v0, s[0:1], s40, v10
	s_nop 1
	v_addc_co_u32_e64 v1, s[0:1], 0, v11, s[0:1]
	global_load_dwordx2 v[10:11], v[10:11], off offset:3584
	s_waitcnt vmcnt(0)
	v_fmac_f32_e32 v19, v28, v10
	v_fmac_f32_e32 v20, v29, v11
	global_load_dwordx2 v[10:11], v[24:25], off offset:-4096
	scratch_load_dwordx4 v[26:29], off, off offset:80 ; 16-byte Folded Reload
	s_waitcnt vmcnt(0)
	v_fmac_f32_e32 v19, v26, v10
	v_fmac_f32_e32 v20, v27, v11
	global_load_dwordx2 v[10:11], v[22:23], off offset:512
	s_waitcnt vmcnt(0)
	v_fmac_f32_e32 v19, v28, v10
	v_fmac_f32_e32 v20, v29, v11
	global_load_dwordx2 v[10:11], v[22:23], off offset:1024
	scratch_load_dwordx4 v[26:29], off, off offset:100 ; 16-byte Folded Reload
	s_waitcnt vmcnt(0)
	v_fmac_f32_e32 v19, v26, v10
	v_fmac_f32_e32 v20, v27, v11
	global_load_dwordx2 v[10:11], v[22:23], off offset:1536
	s_waitcnt vmcnt(0)
	v_fmac_f32_e32 v19, v28, v10
	v_fmac_f32_e32 v20, v29, v11
	global_load_dwordx2 v[10:11], v[22:23], off offset:2048
	;; [unrolled: 9-line block ×3, first 2 shown]
	s_waitcnt vmcnt(0) lgkmcnt(14)
	v_fmac_f32_e32 v19, v30, v10
	v_fmac_f32_e32 v20, v31, v11
	global_load_dwordx2 v[10:11], v[22:23], off offset:3584
	s_waitcnt vmcnt(0)
	v_fmac_f32_e32 v19, v32, v10
	v_fmac_f32_e32 v20, v33, v11
	global_load_dwordx2 v[10:11], v[24:25], off
	s_waitcnt vmcnt(0)
	v_fmac_f32_e32 v19, v34, v10
	v_fmac_f32_e32 v20, v35, v11
	global_load_dwordx2 v[10:11], v[24:25], off offset:512
	s_waitcnt vmcnt(0)
	v_fmac_f32_e32 v19, v36, v10
	v_fmac_f32_e32 v20, v37, v11
	global_load_dwordx2 v[10:11], v[24:25], off offset:1024
	;; [unrolled: 4-line block ×7, first 2 shown]
	s_waitcnt vmcnt(0)
	v_fmac_f32_e32 v19, v48, v10
	v_fmac_f32_e32 v20, v49, v11
	global_load_dwordx2 v[10:11], v[12:13], off offset:-4096
	s_waitcnt vmcnt(0)
	v_fmac_f32_e32 v19, v50, v10
	v_fmac_f32_e32 v20, v51, v11
	global_load_dwordx2 v[10:11], v[14:15], off offset:512
	s_waitcnt vmcnt(0)
	v_fmac_f32_e32 v19, v52, v10
	v_fmac_f32_e32 v20, v53, v11
	global_load_dwordx2 v[10:11], v[14:15], off offset:1024
	;; [unrolled: 4-line block ×7, first 2 shown]
	s_waitcnt vmcnt(0)
	v_fmac_f32_e32 v19, v64, v10
	v_fmac_f32_e32 v20, v65, v11
	global_load_dwordx2 v[10:11], v[12:13], off
	s_waitcnt vmcnt(0)
	v_fmac_f32_e32 v19, v66, v10
	v_fmac_f32_e32 v20, v67, v11
	global_load_dwordx2 v[10:11], v[12:13], off offset:512
	s_waitcnt vmcnt(0)
	v_fmac_f32_e32 v19, v68, v10
	v_fmac_f32_e32 v20, v69, v11
	global_load_dwordx2 v[10:11], v[12:13], off offset:1024
	;; [unrolled: 4-line block ×4, first 2 shown]
	s_waitcnt vmcnt(0) lgkmcnt(13)
	v_fmac_f32_e32 v19, v74, v10
	v_fmac_f32_e32 v20, v75, v11
	global_load_dwordx2 v[10:11], v[12:13], off offset:2560
	s_waitcnt vmcnt(0)
	v_fmac_f32_e32 v19, v76, v10
	v_fmac_f32_e32 v20, v77, v11
	global_load_dwordx2 v[10:11], v[12:13], off offset:3072
	s_waitcnt vmcnt(0) lgkmcnt(12)
	v_fmac_f32_e32 v19, v78, v10
	v_fmac_f32_e32 v20, v79, v11
	global_load_dwordx2 v[10:11], v[12:13], off offset:3584
	s_waitcnt vmcnt(0)
	v_fmac_f32_e32 v19, v80, v10
	v_fmac_f32_e32 v20, v81, v11
	global_load_dwordx2 v[10:11], v[6:7], off offset:-4096
	s_waitcnt vmcnt(0) lgkmcnt(11)
	v_fmac_f32_e32 v19, v82, v10
	v_fmac_f32_e32 v20, v83, v11
	global_load_dwordx2 v[10:11], v[8:9], off offset:512
	s_waitcnt vmcnt(0)
	v_fmac_f32_e32 v19, v84, v10
	v_fmac_f32_e32 v20, v85, v11
	global_load_dwordx2 v[10:11], v[8:9], off offset:1024
	s_waitcnt vmcnt(0) lgkmcnt(10)
	v_fmac_f32_e32 v19, v86, v10
	v_fmac_f32_e32 v20, v87, v11
	global_load_dwordx2 v[10:11], v[8:9], off offset:1536
	s_waitcnt vmcnt(0)
	v_fmac_f32_e32 v19, v88, v10
	v_fmac_f32_e32 v20, v89, v11
	global_load_dwordx2 v[10:11], v[8:9], off offset:2048
	s_waitcnt vmcnt(0) lgkmcnt(9)
	v_fmac_f32_e32 v19, v90, v10
	v_fmac_f32_e32 v20, v91, v11
	global_load_dwordx2 v[10:11], v[8:9], off offset:2560
	s_waitcnt vmcnt(0)
	v_fmac_f32_e32 v19, v92, v10
	v_fmac_f32_e32 v20, v93, v11
	global_load_dwordx2 v[10:11], v[8:9], off offset:3072
	s_waitcnt vmcnt(0) lgkmcnt(8)
	v_fmac_f32_e32 v19, v94, v10
	global_load_dwordx2 v[8:9], v[8:9], off offset:3584
	v_fmac_f32_e32 v20, v95, v11
	s_waitcnt vmcnt(0)
	v_fmac_f32_e32 v19, v96, v8
	v_fmac_f32_e32 v20, v97, v9
	global_load_dwordx2 v[8:9], v[6:7], off
	s_waitcnt vmcnt(0) lgkmcnt(7)
	v_fmac_f32_e32 v19, v98, v8
	v_fmac_f32_e32 v20, v99, v9
	global_load_dwordx2 v[8:9], v[6:7], off offset:512
	s_waitcnt vmcnt(0)
	v_fmac_f32_e32 v19, v100, v8
	v_fmac_f32_e32 v20, v101, v9
	global_load_dwordx2 v[8:9], v[6:7], off offset:1024
	s_waitcnt vmcnt(0) lgkmcnt(6)
	v_fmac_f32_e32 v19, v102, v8
	v_fmac_f32_e32 v20, v103, v9
	global_load_dwordx2 v[8:9], v[6:7], off offset:1536
	s_waitcnt vmcnt(0)
	v_fmac_f32_e32 v19, v104, v8
	v_fmac_f32_e32 v20, v105, v9
	global_load_dwordx2 v[8:9], v[6:7], off offset:2048
	s_waitcnt vmcnt(0) lgkmcnt(5)
	v_fmac_f32_e32 v19, v106, v8
	v_fmac_f32_e32 v20, v107, v9
	global_load_dwordx2 v[8:9], v[6:7], off offset:2560
	s_waitcnt vmcnt(0)
	v_fmac_f32_e32 v19, v108, v8
	v_fmac_f32_e32 v20, v109, v9
	global_load_dwordx2 v[8:9], v[6:7], off offset:3072
	s_waitcnt vmcnt(0) lgkmcnt(4)
	v_fmac_f32_e32 v19, v110, v8
	global_load_dwordx2 v[6:7], v[6:7], off offset:3584
	v_fmac_f32_e32 v20, v111, v9
	s_waitcnt vmcnt(0)
	v_fmac_f32_e32 v19, v112, v6
	v_fmac_f32_e32 v20, v113, v7
	global_load_dwordx2 v[6:7], v[0:1], off
	s_waitcnt vmcnt(0) lgkmcnt(3)
	v_fmac_f32_e32 v19, v114, v6
	v_fmac_f32_e32 v20, v115, v7
	global_load_dwordx2 v[6:7], v[0:1], off offset:512
	s_waitcnt vmcnt(0)
	v_fmac_f32_e32 v19, v116, v6
	v_fmac_f32_e32 v20, v117, v7
	global_load_dwordx2 v[6:7], v[0:1], off offset:1024
	s_waitcnt vmcnt(0) lgkmcnt(2)
	v_fmac_f32_e32 v19, v118, v6
	v_fmac_f32_e32 v20, v119, v7
	global_load_dwordx2 v[6:7], v[0:1], off offset:1536
	s_waitcnt vmcnt(0)
	v_fmac_f32_e32 v19, v120, v6
	v_fmac_f32_e32 v20, v121, v7
	global_load_dwordx2 v[6:7], v[0:1], off offset:2048
	;; [unrolled: 8-line block ×3, first 2 shown]
	s_waitcnt vmcnt(0) lgkmcnt(0)
	v_fmac_f32_e32 v20, v3, v7
	global_load_dwordx2 v[0:1], v[0:1], off offset:3584
	v_fmac_f32_e32 v19, v2, v6
	s_waitcnt vmcnt(0)
	v_fmac_f32_e32 v20, v5, v1
	scratch_load_dword v1, off, off offset:132 ; 4-byte Folded Reload
	v_fmac_f32_e32 v19, v4, v0
	v_add_f32_e32 v0, v19, v20
	s_waitcnt vmcnt(0)
	ds_bpermute_b32 v1, v1, v0
	s_and_saveexec_b64 s[30:31], vcc
	s_cbranch_execz .LBB53_8
; %bb.10:                               ;   in Loop: Header=BB53_9 Depth=1
	v_add_u32_e32 v6, s15, v16
	v_cvt_f32_i32_e32 v6, v6
	s_waitcnt lgkmcnt(0)
	v_add_f32_e32 v0, v0, v1
	v_cmp_gt_i32_e64 s[0:1], s33, v16
	v_max_f32_e32 v1, v21, v21
	v_mul_f32_e32 v6, s8, v6
	v_cndmask_b32_e64 v6, 0, v6, s[2:3]
	v_fmac_f32_e32 v6, s9, v0
	v_cndmask_b32_e64 v0, 0, v6, s[0:1]
	ds_write_b32 v17, v0
	v_max_f32_e32 v0, v1, v6
	v_cndmask_b32_e64 v21, v21, v0, s[0:1]
	s_branch .LBB53_8
.LBB53_11:
	s_or_b64 exec, exec, s[28:29]
	scratch_load_dword v44, off, off offset:440 ; 4-byte Folded Reload
	scratch_load_dword v15, off, off offset:96 ; 4-byte Folded Reload
	;; [unrolled: 1-line block ×6, first 2 shown]
.LBB53_12:
	s_or_b64 exec, exec, s[26:27]
	s_waitcnt vmcnt(1)
	v_xor_b32_e32 v0, 32, v7
	s_waitcnt vmcnt(0)
	v_cmp_lt_i32_e32 vcc, v0, v8
	v_xor_b32_e32 v3, 16, v7
	v_max_f32_e32 v2, v21, v21
	v_cndmask_b32_e32 v0, v7, v0, vcc
	v_lshlrev_b32_e32 v0, 2, v0
	s_waitcnt lgkmcnt(0)
	ds_bpermute_b32 v1, v0, v21
	v_cmp_lt_i32_e32 vcc, v3, v8
	v_xor_b32_e32 v4, 8, v7
	v_xor_b32_e32 v5, 4, v7
	v_and_b32_e32 v45, 63, v44
	s_waitcnt lgkmcnt(0)
	v_max_f32_e32 v1, v1, v1
	v_max_f32_e32 v2, v2, v1
	v_cndmask_b32_e32 v1, v7, v3, vcc
	v_lshlrev_b32_e32 v1, 2, v1
	ds_bpermute_b32 v3, v1, v2
	v_cmp_lt_i32_e32 vcc, v4, v8
	s_waitcnt lgkmcnt(0)
	v_max_f32_e32 v3, v3, v3
	v_max_f32_e32 v3, v2, v3
	v_cndmask_b32_e32 v2, v7, v4, vcc
	v_lshlrev_b32_e32 v2, 2, v2
	ds_bpermute_b32 v4, v2, v3
	v_cmp_lt_i32_e32 vcc, v5, v8
	s_waitcnt lgkmcnt(0)
	v_max_f32_e32 v4, v4, v4
	v_max_f32_e32 v3, v3, v4
	v_cndmask_b32_e32 v4, v7, v5, vcc
	v_lshlrev_b32_e32 v37, 2, v4
	ds_bpermute_b32 v4, v37, v3
	v_xor_b32_e32 v5, 2, v7
	v_cmp_lt_i32_e32 vcc, v5, v8
	s_waitcnt lgkmcnt(0)
	v_max_f32_e32 v4, v4, v4
	v_max_f32_e32 v4, v3, v4
	v_cndmask_b32_e32 v3, v7, v5, vcc
	v_lshlrev_b32_e32 v43, 2, v3
	ds_bpermute_b32 v5, v43, v4
	v_cmp_eq_u32_e32 vcc, 0, v45
	v_lshlrev_b32_e32 v3, 2, v15
	s_and_saveexec_b64 s[0:1], vcc
	s_cbranch_execz .LBB53_14
; %bb.13:
	s_waitcnt lgkmcnt(0)
	v_max_f32_e32 v5, v5, v5
	v_max_f32_e32 v4, v4, v4
	;; [unrolled: 1-line block ×3, first 2 shown]
	ds_write_b32 v3, v4 offset:1024
.LBB53_14:
	s_or_b64 exec, exec, s[0:1]
	v_cmp_gt_u32_e64 s[0:1], 2, v45
	s_waitcnt lgkmcnt(0)
	v_mov_b32_e32 v5, 0xff7fffff
	v_lshlrev_b32_e32 v4, 2, v45
	s_barrier
	s_and_saveexec_b64 s[2:3], s[0:1]
	s_cbranch_execz .LBB53_16
; %bb.15:
	ds_read_b32 v5, v4 offset:1024
.LBB53_16:
	s_or_b64 exec, exec, s[2:3]
	v_xor_b32_e32 v6, 1, v7
	v_cmp_lt_i32_e64 s[2:3], v6, v8
	s_nop 1
	v_cndmask_b32_e64 v6, v7, v6, s[2:3]
	v_lshlrev_b32_e32 v46, 2, v6
	s_waitcnt lgkmcnt(0)
	ds_bpermute_b32 v6, v46, v5
	v_max_f32_e32 v5, v5, v5
	v_lshlrev_b32_e32 v7, 2, v7
	s_lshl_b32 s2, s17, 5
	s_min_i32 s12, s2, s33
	s_waitcnt lgkmcnt(0)
	v_max_f32_e32 v6, v6, v6
	v_max_f32_e32 v6, v5, v6
	v_and_b32_e32 v5, 0xffffff00, v7
	ds_bpermute_b32 v7, v5, v6
	v_cmp_gt_i32_e64 s[2:3], s12, v44
	v_mov_b32_e32 v6, 0
	s_and_saveexec_b64 s[26:27], s[2:3]
	s_cbranch_execz .LBB53_20
; %bb.17:
	v_mov_b32_e32 v6, 0x410
	v_lshl_add_u32 v8, v44, 2, v6
	s_mov_b64 s[28:29], 0
	v_mov_b32_e32 v6, 0
	v_mov_b32_e32 v9, v44
.LBB53_18:                              ; =>This Inner Loop Header: Depth=1
	ds_read_b32 v10, v8
	v_add_u32_e32 v9, 0x80, v9
	v_cmp_le_i32_e64 s[8:9], s12, v9
	s_or_b64 s[28:29], s[8:9], s[28:29]
	s_waitcnt lgkmcnt(0)
	v_sub_f32_e32 v10, v10, v7
	v_mul_f32_e32 v10, 0x3fb8aa3b, v10
	v_exp_f32_e32 v10, v10
	ds_write_b32 v8, v10
	v_add_f32_e32 v6, v6, v10
	v_add_u32_e32 v8, 0x200, v8
	s_andn2_b64 exec, exec, s[28:29]
	s_cbranch_execnz .LBB53_18
; %bb.19:
	s_or_b64 exec, exec, s[28:29]
.LBB53_20:
	s_or_b64 exec, exec, s[26:27]
	ds_bpermute_b32 v0, v0, v6
	s_waitcnt lgkmcnt(0)
	v_add_f32_e32 v0, v6, v0
	ds_bpermute_b32 v1, v1, v0
	s_waitcnt lgkmcnt(0)
	v_add_f32_e32 v0, v0, v1
	;; [unrolled: 3-line block ×6, first 2 shown]
	s_and_saveexec_b64 s[8:9], vcc
	s_cbranch_execz .LBB53_22
; %bb.21:
	ds_write_b32 v3, v0 offset:1032
.LBB53_22:
	s_or_b64 exec, exec, s[8:9]
	s_waitcnt lgkmcnt(0)
	s_barrier
	s_and_saveexec_b64 s[8:9], s[0:1]
	s_cbranch_execz .LBB53_24
; %bb.23:
	ds_read_b32 v0, v4 offset:1032
.LBB53_24:
	s_or_b64 exec, exec, s[8:9]
	s_waitcnt lgkmcnt(0)
	ds_bpermute_b32 v1, v46, v0
	s_waitcnt lgkmcnt(0)
	v_add_f32_e32 v0, v0, v1
	ds_bpermute_b32 v0, v5, v0
	s_and_saveexec_b64 s[0:1], s[2:3]
	s_cbranch_execz .LBB53_37
; %bb.25:
	s_waitcnt lgkmcnt(0)
	v_add_f32_e32 v0, 0x358637bd, v0
	v_div_scale_f32 v1, s[2:3], v0, v0, 1.0
	v_rcp_f32_e32 v2, v1
	v_div_scale_f32 v3, vcc, 1.0, v0, 1.0
	s_movk_i32 s2, 0x7f
	v_fma_f32 v4, -v1, v2, 1.0
	v_fmac_f32_e32 v2, v4, v2
	v_mul_f32_e32 v4, v3, v2
	v_fma_f32 v5, -v1, v4, v3
	v_fmac_f32_e32 v4, v5, v2
	v_fma_f32 v1, -v1, v4, v3
	v_div_fmas_f32 v1, v1, v2, v4
	v_xad_u32 v2, v44, -1, s12
	v_div_fixup_f32 v0, v1, v0, 1.0
	v_cmp_lt_u32_e32 vcc, s2, v2
	s_mov_b64 s[8:9], -1
	v_mov_b32_e32 v1, v44
	s_and_saveexec_b64 s[2:3], vcc
	s_cbranch_execz .LBB53_34
; %bb.26:
	v_lshrrev_b32_e32 v2, 7, v2
	v_add_u32_e32 v4, -1, v2
	v_lshrrev_b32_e32 v3, 1, v4
	v_mov_b32_e32 v1, v0
	v_add_u32_e32 v3, 1, v3
	v_cmp_lt_u32_e32 vcc, 13, v4
	v_mov_b32_e32 v6, 0
	s_and_saveexec_b64 s[8:9], vcc
	s_cbranch_execz .LBB53_30
; %bb.27:
	v_mov_b32_e32 v5, 0x410
	v_mov_b32_e32 v14, v11
	v_and_b32_e32 v4, -8, v3
	v_lshl_add_u32 v5, v44, 2, v5
	s_mov_b32 s15, 0
	s_mov_b64 s[26:27], 0
.LBB53_28:                              ; =>This Inner Loop Header: Depth=1
	ds_read2st64_b32 v[6:7], v5 offset1:2
	ds_read2st64_b32 v[8:9], v5 offset0:4 offset1:6
	ds_read2st64_b32 v[10:11], v5 offset0:8 offset1:10
	;; [unrolled: 1-line block ×3, first 2 shown]
	v_add_u32_e32 v4, -8, v4
	s_waitcnt lgkmcnt(3)
	v_pk_mul_f32 v[6:7], v[0:1], v[6:7]
	s_waitcnt lgkmcnt(2)
	v_pk_mul_f32 v[8:9], v[0:1], v[8:9]
	ds_write2st64_b32 v5, v6, v7 offset1:2
	ds_write2st64_b32 v5, v8, v9 offset0:4 offset1:6
	ds_read2st64_b32 v[8:9], v5 offset0:16 offset1:18
	s_waitcnt lgkmcnt(4)
	v_pk_mul_f32 v[6:7], v[0:1], v[10:11]
	ds_write2st64_b32 v5, v6, v7 offset0:8 offset1:10
	s_waitcnt lgkmcnt(4)
	v_pk_mul_f32 v[6:7], v[0:1], v[12:13]
	ds_write2st64_b32 v5, v6, v7 offset0:12 offset1:14
	ds_read2st64_b32 v[6:7], v5 offset0:20 offset1:22
	s_waitcnt lgkmcnt(3)
	v_pk_mul_f32 v[8:9], v[0:1], v[8:9]
	ds_read2st64_b32 v[10:11], v5 offset0:24 offset1:26
	ds_write2st64_b32 v5, v8, v9 offset0:16 offset1:18
	ds_read2st64_b32 v[8:9], v5 offset0:28 offset1:30
	s_waitcnt lgkmcnt(3)
	v_pk_mul_f32 v[6:7], v[0:1], v[6:7]
	ds_write2st64_b32 v5, v6, v7 offset0:20 offset1:22
	s_waitcnt lgkmcnt(3)
	v_pk_mul_f32 v[6:7], v[0:1], v[10:11]
	ds_write2st64_b32 v5, v6, v7 offset0:24 offset1:26
	s_waitcnt lgkmcnt(2)
	v_pk_mul_f32 v[6:7], v[0:1], v[8:9]
	s_add_i32 s15, s15, 16
	v_cmp_eq_u32_e32 vcc, 0, v4
	ds_write2st64_b32 v5, v6, v7 offset0:28 offset1:30
	v_add_u32_e32 v5, 0x2000, v5
	s_or_b64 s[26:27], vcc, s[26:27]
	v_mov_b32_e32 v6, s15
	s_andn2_b64 exec, exec, s[26:27]
	s_cbranch_execnz .LBB53_28
; %bb.29:
	s_or_b64 exec, exec, s[26:27]
	v_mov_b32_e32 v11, v14
.LBB53_30:
	s_or_b64 exec, exec, s[8:9]
	v_and_b32_e32 v3, 7, v3
	v_cmp_ne_u32_e32 vcc, 0, v3
	s_and_saveexec_b64 s[8:9], vcc
	s_cbranch_execz .LBB53_33
; %bb.31:
	v_lshlrev_b32_e32 v4, 9, v6
	s_movk_i32 s15, 0x410
	v_add3_u32 v4, v4, v47, s15
	s_mov_b64 s[26:27], 0
.LBB53_32:                              ; =>This Inner Loop Header: Depth=1
	ds_read2st64_b32 v[6:7], v4 offset1:2
	v_add_u32_e32 v3, -1, v3
	v_cmp_eq_u32_e32 vcc, 0, v3
	s_or_b64 s[26:27], vcc, s[26:27]
	s_waitcnt lgkmcnt(0)
	v_pk_mul_f32 v[6:7], v[0:1], v[6:7]
	ds_write2st64_b32 v4, v6, v7 offset1:2
	v_add_u32_e32 v4, 0x400, v4
	s_andn2_b64 exec, exec, s[26:27]
	s_cbranch_execnz .LBB53_32
.LBB53_33:
	s_or_b64 exec, exec, s[8:9]
	v_add_u32_e32 v2, 1, v2
	v_and_b32_e32 v3, 0x3fffffe, v2
	v_cmp_ne_u32_e32 vcc, v2, v3
	v_lshl_add_u32 v1, v3, 7, v44
	s_orn2_b64 s[8:9], vcc, exec
.LBB53_34:
	s_or_b64 exec, exec, s[2:3]
	s_and_b64 exec, exec, s[8:9]
	s_cbranch_execz .LBB53_37
; %bb.35:
	v_mov_b32_e32 v2, 0x410
	v_lshl_add_u32 v2, v1, 2, v2
	s_mov_b64 s[2:3], 0
.LBB53_36:                              ; =>This Inner Loop Header: Depth=1
	ds_read_b32 v3, v2
	v_add_u32_e32 v1, 0x80, v1
	v_cmp_le_i32_e32 vcc, s12, v1
	s_or_b64 s[2:3], vcc, s[2:3]
	s_waitcnt lgkmcnt(0)
	v_mul_f32_e32 v3, v0, v3
	ds_write_b32 v2, v3
	v_add_u32_e32 v2, 0x200, v2
	s_andn2_b64 exec, exec, s[2:3]
	s_cbranch_execnz .LBB53_36
.LBB53_37:
	s_or_b64 exec, exec, s[0:1]
	s_waitcnt lgkmcnt(0)
	v_and_b32_e32 v0, 7, v44
	s_barrier
	v_mov_b32_e32 v22, 0
	scratch_store_dword off, v0, off offset:444 ; 4-byte Folded Spill
	v_mov_b32_e32 v23, 0
	v_mov_b32_e32 v126, 0
	v_mov_b32_e32 v127, 0
	v_mov_b32_e32 v20, 0
	v_mov_b32_e32 v21, 0
	v_mov_b32_e32 v18, 0
	v_mov_b32_e32 v19, 0
	v_mov_b32_e32 v16, 0
	v_mov_b32_e32 v17, 0
	v_mov_b32_e32 v50, 0
	v_mov_b32_e32 v51, 0
	v_mov_b32_e32 v24, 0
	v_mov_b32_e32 v25, 0
	v_mov_b32_e32 v26, 0
	v_mov_b32_e32 v27, 0
	v_mov_b32_e32 v32, 0
	v_mov_b32_e32 v33, 0
	v_mov_b32_e32 v30, 0
	v_mov_b32_e32 v31, 0
	v_mov_b32_e32 v28, 0
	v_mov_b32_e32 v29, 0
	v_mov_b32_e32 v34, 0
	v_mov_b32_e32 v35, 0
	v_mov_b32_e32 v48, 0
	v_mov_b32_e32 v49, 0
	v_mov_b32_e32 v40, 0
	v_mov_b32_e32 v41, 0
	v_mov_b32_e32 v38, 0
	v_mov_b32_e32 v39, 0
	v_mov_b32_e32 v0, 0
	v_mov_b32_e32 v1, 0
	scratch_store_dwordx2 off, v[0:1], off offset:80 ; 8-byte Folded Spill
	s_and_saveexec_b64 s[2:3], s[6:7]
	s_cbranch_execz .LBB53_105
; %bb.38:
	scratch_store_dword off, v46, off offset:460 ; 4-byte Folded Spill
	scratch_store_dword off, v37, off offset:456 ; 4-byte Folded Spill
	;; [unrolled: 1-line block ×4, first 2 shown]
	v_and_b32_e32 v0, 28, v47
	v_lshlrev_b32_e32 v3, 5, v15
	v_or3_b32 v24, v3, v0, 3
	scratch_load_dword v0, off, off offset:444 ; 4-byte Folded Reload
	s_ashr_i32 s15, s14, 31
	s_lshl_b64 s[0:1], s[14:15], 2
	s_add_u32 s6, s24, s0
	s_addc_u32 s7, s25, s1
	s_add_i32 s14, s17, -1
	s_lshl_b64 s[0:1], s[22:23], 2
	v_and_b32_e32 v2, 0xfc, v47
	s_add_u32 s0, s20, s0
	v_mov_b32_e32 v17, 0
	v_or_b32_e32 v4, 0x400, v2
	v_or_b32_e32 v6, 0x500, v2
	v_and_b32_e32 v16, 60, v11
	s_addc_u32 s1, s21, s1
	v_or_b32_e32 v8, 0x600, v2
	v_lshl_add_u64 v[62:63], s[0:1], 0, v[16:17]
	v_lshlrev_b32_e32 v16, 2, v4
	v_lshlrev_b32_e32 v4, 2, v6
	v_or_b32_e32 v10, 0x700, v2
	v_or_b32_e32 v12, 0x800, v2
	;; [unrolled: 1-line block ×25, first 2 shown]
	v_lshlrev_b32_e32 v2, 2, v2
	v_mov_b32_e32 v3, v17
	s_mov_b32 s26, s13
	s_mov_b64 s[8:9], 0
	scratch_store_dwordx2 off, v[2:3], off offset:432 ; 8-byte Folded Spill
	v_mov_b32_e32 v2, v17
	v_mov_b32_e32 v19, v17
	;; [unrolled: 1-line block ×6, first 2 shown]
	s_waitcnt vmcnt(1)
	v_lshlrev_b32_e32 v0, 4, v0
	v_lshl_or_b32 v0, v15, 7, v0
	v_add_u32_e32 v5, 0x410, v0
	scratch_store_dwordx2 off, v[4:5], off offset:204 ; 8-byte Folded Spill
	v_lshlrev_b32_e32 v4, 2, v8
	scratch_store_dwordx2 off, v[4:5], off offset:212 ; 8-byte Folded Spill
	v_lshlrev_b32_e32 v4, 2, v10
	;; [unrolled: 2-line block ×24, first 2 shown]
	v_lshlrev_b32_e32 v0, 2, v60
	scratch_store_dwordx2 off, v[4:5], off offset:396 ; 8-byte Folded Spill
	v_lshlrev_b32_e32 v4, 2, v58
	scratch_store_dwordx2 off, v[0:1], off offset:412 ; 8-byte Folded Spill
	v_mov_b32_e32 v1, v17
	v_mov_b32_e32 v0, v17
	;; [unrolled: 1-line block ×5, first 2 shown]
	scratch_store_dwordx2 off, v[4:5], off offset:404 ; 8-byte Folded Spill
	scratch_store_dwordx2 off, v[2:3], off offset:80 ; 8-byte Folded Spill
	;; [unrolled: 1-line block ×13, first 2 shown]
	s_branch .LBB53_40
.LBB53_39:                              ;   in Loop: Header=BB53_40 Depth=1
	s_or_b64 exec, exec, s[0:1]
	s_waitcnt lgkmcnt(0)
	v_mul_f32_e32 v83, v3, v83
	v_fmac_f32_e32 v83, v2, v82
	v_mul_f32_e32 v25, v3, v87
	v_fmac_f32_e32 v83, v4, v84
	v_fmac_f32_e32 v25, v2, v86
	;; [unrolled: 1-line block ×3, first 2 shown]
	scratch_load_dwordx2 v[84:85], off, off offset:80 ; 8-byte Folded Reload
	scratch_load_dwordx2 v[86:87], off, off offset:100 ; 8-byte Folded Reload
	v_mul_f32_e32 v7, v3, v7
	v_fmac_f32_e32 v7, v2, v6
	v_mul_f32_e32 v6, v3, v123
	v_fmac_f32_e32 v6, v2, v122
	v_fmac_f32_e32 v7, v4, v8
	;; [unrolled: 1-line block ×5, first 2 shown]
	v_mul_f32_e32 v8, v3, v119
	v_mul_f32_e32 v9, v3, v115
	v_fmac_f32_e32 v8, v2, v118
	v_fmac_f32_e32 v9, v2, v114
	;; [unrolled: 1-line block ×6, first 2 shown]
	v_mul_f32_e32 v11, v3, v11
	v_fmac_f32_e32 v11, v2, v10
	v_fmac_f32_e32 v11, v4, v12
	v_mul_f32_e32 v10, v3, v111
	v_mul_f32_e32 v12, v3, v103
	v_fmac_f32_e32 v10, v2, v110
	v_fmac_f32_e32 v12, v2, v102
	v_fmac_f32_e32 v10, v4, v112
	v_fmac_f32_e32 v12, v4, v104
	v_fmac_f32_e32 v10, v5, v113
	v_fmac_f32_e32 v12, v5, v105
	v_fmac_f32_e32 v11, v5, v13
	v_mul_f32_e32 v13, v3, v99
	v_mul_f32_e32 v14, v3, v95
	v_fmac_f32_e32 v13, v2, v98
	v_fmac_f32_e32 v14, v2, v94
	;; [unrolled: 1-line block ×6, first 2 shown]
	v_mul_f32_e32 v15, v3, v91
	v_fmac_f32_e32 v15, v2, v90
	v_fmac_f32_e32 v15, v4, v92
	;; [unrolled: 1-line block ×5, first 2 shown]
	scratch_load_dwordx2 v[0:1], off, off offset:196 ; 8-byte Folded Reload
	v_add_u32_e32 v24, 64, v24
	s_waitcnt vmcnt(2)
	v_add_f32_e32 v84, v84, v11
	s_waitcnt vmcnt(1)
	v_add_f32_e32 v87, v87, v7
	v_add_f32_e32 v86, v86, v6
	scratch_load_dwordx2 v[6:7], off, off offset:116 ; 8-byte Folded Reload
	s_waitcnt vmcnt(0)
	v_add_f32_e32 v7, v7, v8
	v_add_f32_e32 v6, v6, v9
	scratch_store_dwordx2 off, v[6:7], off offset:116 ; 8-byte Folded Spill
	scratch_load_dwordx2 v[6:7], off, off offset:132 ; 8-byte Folded Reload
	s_nop 0
	scratch_load_dwordx2 v[8:9], off, off offset:156 ; 8-byte Folded Reload
	s_waitcnt vmcnt(1)
	v_add_f32_e32 v7, v7, v10
	v_add_f32_e32 v6, v6, v12
	scratch_store_dwordx2 off, v[6:7], off offset:132 ; 8-byte Folded Spill
	scratch_load_dwordx2 v[6:7], off, off offset:140 ; 8-byte Folded Reload
	s_waitcnt vmcnt(2)
	v_add_f32_e32 v9, v9, v83
	scratch_store_dwordx2 off, v[86:87], off offset:100 ; 8-byte Folded Spill
	s_waitcnt vmcnt(1)
	v_add_f32_e32 v7, v7, v13
	v_add_f32_e32 v6, v6, v14
	scratch_store_dwordx2 off, v[6:7], off offset:140 ; 8-byte Folded Spill
	scratch_load_dwordx2 v[6:7], off, off offset:148 ; 8-byte Folded Reload
	s_waitcnt vmcnt(0)
	v_add_f32_e32 v7, v7, v15
	v_add_f32_e32 v6, v6, v25
	scratch_store_dwordx2 off, v[6:7], off offset:148 ; 8-byte Folded Spill
	v_mul_f32_e32 v6, v3, v79
	v_fmac_f32_e32 v6, v2, v78
	v_fmac_f32_e32 v6, v4, v80
	;; [unrolled: 1-line block ×3, first 2 shown]
	v_add_f32_e32 v8, v8, v6
	scratch_store_dwordx2 off, v[8:9], off offset:156 ; 8-byte Folded Spill
	scratch_load_dwordx2 v[8:9], off, off offset:164 ; 8-byte Folded Reload
	v_mul_f32_e32 v6, v3, v75
	v_fmac_f32_e32 v6, v2, v74
	v_fmac_f32_e32 v6, v4, v76
	;; [unrolled: 1-line block ×3, first 2 shown]
	scratch_load_dword v15, off, off offset:96 ; 4-byte Folded Reload
	s_waitcnt vmcnt(1)
	v_add_f32_e32 v9, v9, v6
	v_mul_f32_e32 v6, v3, v71
	v_fmac_f32_e32 v6, v2, v70
	v_fmac_f32_e32 v6, v4, v72
	;; [unrolled: 1-line block ×3, first 2 shown]
	v_add_f32_e32 v8, v8, v6
	scratch_store_dwordx2 off, v[8:9], off offset:164 ; 8-byte Folded Spill
	scratch_load_dwordx2 v[8:9], off, off offset:172 ; 8-byte Folded Reload
	v_mul_f32_e32 v6, v3, v67
	v_fmac_f32_e32 v6, v2, v66
	v_fmac_f32_e32 v6, v4, v68
	;; [unrolled: 1-line block ×3, first 2 shown]
	s_waitcnt vmcnt(2)
	v_add_u32_e32 v15, 2, v15
	v_cmp_le_i32_e32 vcc, s17, v15
	s_or_b64 s[8:9], vcc, s[8:9]
	s_waitcnt vmcnt(0)
	v_add_f32_e32 v9, v9, v6
	v_mul_f32_e32 v6, v3, v63
	v_fmac_f32_e32 v6, v2, v62
	v_fmac_f32_e32 v6, v4, v64
	;; [unrolled: 1-line block ×3, first 2 shown]
	v_add_f32_e32 v8, v8, v6
	scratch_store_dwordx2 off, v[8:9], off offset:172 ; 8-byte Folded Spill
	scratch_load_dwordx2 v[8:9], off, off offset:180 ; 8-byte Folded Reload
	v_mul_f32_e32 v6, v3, v59
	v_fmac_f32_e32 v6, v2, v58
	v_fmac_f32_e32 v6, v4, v60
	;; [unrolled: 1-line block ×3, first 2 shown]
	scratch_load_dwordx2 v[62:63], off, off offset:424 ; 8-byte Folded Reload
	s_waitcnt vmcnt(1)
	v_add_f32_e32 v9, v9, v6
	v_mul_f32_e32 v6, v3, v55
	v_fmac_f32_e32 v6, v2, v54
	v_fmac_f32_e32 v6, v4, v56
	;; [unrolled: 1-line block ×3, first 2 shown]
	v_add_f32_e32 v8, v8, v6
	scratch_store_dwordx2 off, v[8:9], off offset:180 ; 8-byte Folded Spill
	scratch_load_dwordx2 v[8:9], off, off offset:188 ; 8-byte Folded Reload
	v_mul_f32_e32 v6, v3, v51
	v_fmac_f32_e32 v6, v2, v50
	v_fmac_f32_e32 v6, v4, v52
	;; [unrolled: 1-line block ×3, first 2 shown]
	s_waitcnt vmcnt(2)
	v_lshl_add_u64 v[62:63], v[62:63], 0, 8
	s_waitcnt vmcnt(0)
	v_add_f32_e32 v9, v9, v6
	v_mul_f32_e32 v6, v3, v47
	v_fmac_f32_e32 v6, v2, v46
	v_fmac_f32_e32 v6, v4, v48
	;; [unrolled: 1-line block ×3, first 2 shown]
	v_add_f32_e32 v8, v8, v6
	scratch_store_dwordx2 off, v[8:9], off offset:188 ; 8-byte Folded Spill
	scratch_load_dwordx4 v[8:11], off, off offset:64 ; 16-byte Folded Reload
	v_mul_f32_e32 v6, v3, v43
	v_fmac_f32_e32 v6, v2, v42
	v_fmac_f32_e32 v6, v4, v44
	v_fmac_f32_e32 v6, v5, v45
	v_add_f32_e32 v1, v1, v6
	v_mul_f32_e32 v6, v3, v39
	v_fmac_f32_e32 v6, v2, v38
	v_fmac_f32_e32 v6, v4, v40
	v_fmac_f32_e32 v6, v5, v41
	v_add_f32_e32 v0, v0, v6
	;; [unrolled: 5-line block ×5, first 2 shown]
	scratch_store_dwordx2 off, v[0:1], off offset:196 ; 8-byte Folded Spill
	s_waitcnt vmcnt(1)
	v_mul_f32_e32 v6, v3, v9
	v_fmac_f32_e32 v6, v2, v8
	v_fmac_f32_e32 v6, v4, v10
	v_fmac_f32_e32 v6, v5, v11
	scratch_load_dwordx4 v[8:11], off, off offset:48 ; 16-byte Folded Reload
	v_add_f32_e32 v20, v20, v6
	s_waitcnt vmcnt(0)
	v_mul_f32_e32 v6, v3, v9
	v_fmac_f32_e32 v6, v2, v8
	v_fmac_f32_e32 v6, v4, v10
	v_fmac_f32_e32 v6, v5, v11
	scratch_load_dwordx4 v[8:11], off, off offset:32 ; 16-byte Folded Reload
	v_add_f32_e32 v127, v127, v6
	s_waitcnt vmcnt(0)
	v_mul_f32_e32 v6, v3, v9
	v_fmac_f32_e32 v6, v2, v8
	v_fmac_f32_e32 v6, v4, v10
	v_fmac_f32_e32 v6, v5, v11
	scratch_load_dwordx4 v[8:11], off, off offset:16 ; 16-byte Folded Reload
	v_add_f32_e32 v126, v126, v6
	s_waitcnt vmcnt(0)
	v_mul_f32_e32 v6, v3, v9
	v_fmac_f32_e32 v6, v2, v8
	v_fmac_f32_e32 v6, v4, v10
	;; [unrolled: 1-line block ×3, first 2 shown]
	scratch_load_dwordx4 v[8:11], off, off  ; 16-byte Folded Reload
	v_add_f32_e32 v23, v23, v6
	s_waitcnt vmcnt(0)
	v_mul_f32_e32 v6, v3, v9
	v_mul_f32_e32 v3, v3, v107
	v_fmac_f32_e32 v6, v2, v8
	v_fmac_f32_e32 v3, v2, v106
	;; [unrolled: 1-line block ×6, first 2 shown]
	scratch_load_dword v5, off, off offset:420 ; 4-byte Folded Reload
	v_add_f32_e32 v22, v22, v6
	v_add_f32_e32 v85, v85, v3
	scratch_store_dwordx2 off, v[84:85], off offset:80 ; 8-byte Folded Spill
	s_waitcnt vmcnt(1)
	v_add_u32_e32 v5, 0x100, v5
	s_andn2_b64 exec, exec, s[8:9]
	s_cbranch_execz .LBB53_104
.LBB53_40:                              ; =>This Inner Loop Header: Depth=1
	global_load_dword v2, v[62:63], off
	v_add_u32_e32 v25, -3, v24
	scratch_store_dwordx2 off, v[62:63], off offset:424 ; 8-byte Folded Spill
	v_cmp_eq_u32_e32 vcc, s14, v15
	v_add_u32_e32 v14, -1, v24
	s_waitcnt vmcnt(1)
	v_mad_i64_i32 v[2:3], s[0:1], v2, s26, 0
	v_lshl_add_u64 v[106:107], v[2:3], 2, s[6:7]
	scratch_load_dwordx2 v[2:3], off, off offset:432 ; 8-byte Folded Reload
	s_waitcnt vmcnt(0)
	v_lshl_add_u64 v[6:7], v[106:107], 0, v[2:3]
	global_load_dwordx4 v[0:3], v[6:7], off
	s_waitcnt vmcnt(0)
	scratch_store_dwordx4 off, v[0:3], off  ; 16-byte Folded Spill
	scratch_store_dword off, v5, off offset:420 ; 4-byte Folded Spill
	ds_read_b128 v[2:5], v5
	scratch_store_dword off, v15, off offset:96 ; 4-byte Folded Spill
	v_add_u32_e32 v15, -2, v24
	s_and_saveexec_b64 s[12:13], vcc
	s_cbranch_execz .LBB53_42
; %bb.41:                               ;   in Loop: Header=BB53_40 Depth=1
	scratch_load_dwordx4 v[8:11], off, off  ; 16-byte Folded Reload
	v_cmp_gt_i32_e64 s[0:1], s33, v25
	s_waitcnt vmcnt(0)
	s_nop 0
	v_cndmask_b32_e64 v8, 0, v8, s[0:1]
	v_cmp_gt_i32_e64 s[0:1], s33, v15
	s_nop 1
	v_cndmask_b32_e64 v9, 0, v9, s[0:1]
	v_cmp_gt_i32_e64 s[0:1], s33, v14
	s_nop 1
	v_cndmask_b32_e64 v10, 0, v10, s[0:1]
	v_cmp_gt_i32_e64 s[0:1], s33, v24
	s_nop 1
	v_cndmask_b32_e64 v11, 0, v11, s[0:1]
	scratch_store_dwordx4 off, v[8:11], off ; 16-byte Folded Spill
.LBB53_42:                              ;   in Loop: Header=BB53_40 Depth=1
	s_or_b64 exec, exec, s[12:13]
	global_load_dwordx4 v[8:11], v[6:7], off offset:1024
	s_waitcnt vmcnt(0)
	scratch_store_dwordx4 off, v[8:11], off offset:16 ; 16-byte Folded Spill
	s_and_saveexec_b64 s[12:13], vcc
	s_cbranch_execz .LBB53_44
; %bb.43:                               ;   in Loop: Header=BB53_40 Depth=1
	scratch_load_dwordx4 v[8:11], off, off offset:16 ; 16-byte Folded Reload
	v_cmp_gt_i32_e64 s[0:1], s33, v25
	s_waitcnt vmcnt(0)
	s_nop 0
	v_cndmask_b32_e64 v8, 0, v8, s[0:1]
	v_cmp_gt_i32_e64 s[0:1], s33, v15
	s_nop 1
	v_cndmask_b32_e64 v9, 0, v9, s[0:1]
	v_cmp_gt_i32_e64 s[0:1], s33, v14
	s_nop 1
	v_cndmask_b32_e64 v10, 0, v10, s[0:1]
	v_cmp_gt_i32_e64 s[0:1], s33, v24
	s_nop 1
	v_cndmask_b32_e64 v11, 0, v11, s[0:1]
	scratch_store_dwordx4 off, v[8:11], off offset:16 ; 16-byte Folded Spill
.LBB53_44:                              ;   in Loop: Header=BB53_40 Depth=1
	s_or_b64 exec, exec, s[12:13]
	global_load_dwordx4 v[8:11], v[6:7], off offset:2048
	s_waitcnt vmcnt(0)
	scratch_store_dwordx4 off, v[8:11], off offset:32 ; 16-byte Folded Spill
	s_and_saveexec_b64 s[12:13], vcc
	s_cbranch_execz .LBB53_46
; %bb.45:                               ;   in Loop: Header=BB53_40 Depth=1
	scratch_load_dwordx4 v[8:11], off, off offset:32 ; 16-byte Folded Reload
	v_cmp_gt_i32_e64 s[0:1], s33, v25
	s_waitcnt vmcnt(0)
	s_nop 0
	v_cndmask_b32_e64 v8, 0, v8, s[0:1]
	v_cmp_gt_i32_e64 s[0:1], s33, v15
	s_nop 1
	v_cndmask_b32_e64 v9, 0, v9, s[0:1]
	v_cmp_gt_i32_e64 s[0:1], s33, v14
	s_nop 1
	v_cndmask_b32_e64 v10, 0, v10, s[0:1]
	v_cmp_gt_i32_e64 s[0:1], s33, v24
	s_nop 1
	v_cndmask_b32_e64 v11, 0, v11, s[0:1]
	scratch_store_dwordx4 off, v[8:11], off offset:32 ; 16-byte Folded Spill
.LBB53_46:                              ;   in Loop: Header=BB53_40 Depth=1
	;; [unrolled: 23-line block ×3, first 2 shown]
	s_or_b64 exec, exec, s[12:13]
	s_nop 0
	v_lshl_add_u64 v[6:7], v[106:107], 0, v[16:17]
	global_load_dwordx4 v[6:9], v[6:7], off
	s_waitcnt vmcnt(0)
	scratch_store_dwordx4 off, v[6:9], off offset:64 ; 16-byte Folded Spill
	s_and_saveexec_b64 s[12:13], vcc
	s_cbranch_execz .LBB53_50
; %bb.49:                               ;   in Loop: Header=BB53_40 Depth=1
	scratch_load_dwordx4 v[6:9], off, off offset:64 ; 16-byte Folded Reload
	v_cmp_gt_i32_e64 s[0:1], s33, v25
	s_waitcnt vmcnt(0)
	s_nop 0
	v_cndmask_b32_e64 v6, 0, v6, s[0:1]
	v_cmp_gt_i32_e64 s[0:1], s33, v15
	s_nop 1
	v_cndmask_b32_e64 v7, 0, v7, s[0:1]
	v_cmp_gt_i32_e64 s[0:1], s33, v14
	;; [unrolled: 3-line block ×3, first 2 shown]
	s_nop 1
	v_cndmask_b32_e64 v9, 0, v9, s[0:1]
	scratch_store_dwordx4 off, v[6:9], off offset:64 ; 16-byte Folded Spill
.LBB53_50:                              ;   in Loop: Header=BB53_40 Depth=1
	s_or_b64 exec, exec, s[12:13]
	scratch_load_dwordx2 v[6:7], off, off offset:204 ; 8-byte Folded Reload
	s_waitcnt vmcnt(0)
	v_mov_b32_e32 v7, v17
	v_mov_b32_e32 v8, v6
	v_lshl_add_u64 v[6:7], v[106:107], 0, v[6:7]
	global_load_dwordx4 v[26:29], v[6:7], off
	s_nop 0
	scratch_store_dwordx2 off, v[8:9], off offset:204 ; 8-byte Folded Spill
	s_and_saveexec_b64 s[12:13], vcc
	s_cbranch_execz .LBB53_52
; %bb.51:                               ;   in Loop: Header=BB53_40 Depth=1
	v_cmp_gt_i32_e64 s[0:1], s33, v25
	s_waitcnt vmcnt(1)
	s_nop 0
	v_cndmask_b32_e64 v26, 0, v26, s[0:1]
	v_cmp_gt_i32_e64 s[0:1], s33, v15
	s_nop 1
	v_cndmask_b32_e64 v27, 0, v27, s[0:1]
	v_cmp_gt_i32_e64 s[0:1], s33, v14
	s_nop 1
	v_cndmask_b32_e64 v28, 0, v28, s[0:1]
	v_cmp_gt_i32_e64 s[0:1], s33, v24
	s_nop 1
	v_cndmask_b32_e64 v29, 0, v29, s[0:1]
.LBB53_52:                              ;   in Loop: Header=BB53_40 Depth=1
	s_or_b64 exec, exec, s[12:13]
	scratch_load_dwordx2 v[6:7], off, off offset:212 ; 8-byte Folded Reload
	s_waitcnt vmcnt(0)
	v_mov_b32_e32 v7, v17
	v_mov_b32_e32 v8, v6
	v_lshl_add_u64 v[6:7], v[106:107], 0, v[6:7]
	global_load_dwordx4 v[30:33], v[6:7], off
	s_nop 0
	scratch_store_dwordx2 off, v[8:9], off offset:212 ; 8-byte Folded Spill
	s_and_saveexec_b64 s[12:13], vcc
	s_cbranch_execz .LBB53_54
; %bb.53:                               ;   in Loop: Header=BB53_40 Depth=1
	v_cmp_gt_i32_e64 s[0:1], s33, v25
	s_waitcnt vmcnt(1)
	s_nop 0
	v_cndmask_b32_e64 v30, 0, v30, s[0:1]
	v_cmp_gt_i32_e64 s[0:1], s33, v15
	s_nop 1
	v_cndmask_b32_e64 v31, 0, v31, s[0:1]
	v_cmp_gt_i32_e64 s[0:1], s33, v14
	s_nop 1
	v_cndmask_b32_e64 v32, 0, v32, s[0:1]
	v_cmp_gt_i32_e64 s[0:1], s33, v24
	s_nop 1
	v_cndmask_b32_e64 v33, 0, v33, s[0:1]
.LBB53_54:                              ;   in Loop: Header=BB53_40 Depth=1
	;; [unrolled: 26-line block ×24, first 2 shown]
	s_or_b64 exec, exec, s[12:13]
	scratch_load_dwordx2 v[6:7], off, off offset:396 ; 8-byte Folded Reload
	s_waitcnt vmcnt(0)
	v_mov_b32_e32 v7, v17
	v_mov_b32_e32 v8, v6
	v_lshl_add_u64 v[6:7], v[106:107], 0, v[6:7]
	scratch_store_dwordx2 off, v[8:9], off offset:396 ; 8-byte Folded Spill
	global_load_dwordx4 v[6:9], v[6:7], off
	s_and_saveexec_b64 s[12:13], vcc
	s_cbranch_execz .LBB53_100
; %bb.99:                               ;   in Loop: Header=BB53_40 Depth=1
	v_cmp_gt_i32_e64 s[0:1], s33, v25
	s_waitcnt vmcnt(0)
	s_nop 0
	v_cndmask_b32_e64 v6, 0, v6, s[0:1]
	v_cmp_gt_i32_e64 s[0:1], s33, v15
	s_nop 1
	v_cndmask_b32_e64 v7, 0, v7, s[0:1]
	v_cmp_gt_i32_e64 s[0:1], s33, v14
	;; [unrolled: 3-line block ×3, first 2 shown]
	s_nop 1
	v_cndmask_b32_e64 v9, 0, v9, s[0:1]
.LBB53_100:                             ;   in Loop: Header=BB53_40 Depth=1
	s_or_b64 exec, exec, s[12:13]
	scratch_load_dwordx2 v[10:11], off, off offset:404 ; 8-byte Folded Reload
	s_waitcnt vmcnt(0)
	v_mov_b32_e32 v11, v17
	v_mov_b32_e32 v12, v10
	v_lshl_add_u64 v[10:11], v[106:107], 0, v[10:11]
	scratch_store_dwordx2 off, v[12:13], off offset:404 ; 8-byte Folded Spill
	global_load_dwordx4 v[10:13], v[10:11], off
	s_and_saveexec_b64 s[12:13], vcc
	s_cbranch_execz .LBB53_102
; %bb.101:                              ;   in Loop: Header=BB53_40 Depth=1
	v_cmp_gt_i32_e64 s[0:1], s33, v25
	s_waitcnt vmcnt(0)
	s_nop 0
	v_cndmask_b32_e64 v10, 0, v10, s[0:1]
	v_cmp_gt_i32_e64 s[0:1], s33, v15
	s_nop 1
	v_cndmask_b32_e64 v11, 0, v11, s[0:1]
	v_cmp_gt_i32_e64 s[0:1], s33, v14
	s_nop 1
	v_cndmask_b32_e64 v12, 0, v12, s[0:1]
	v_cmp_gt_i32_e64 s[0:1], s33, v24
	s_nop 1
	v_cndmask_b32_e64 v13, 0, v13, s[0:1]
.LBB53_102:                             ;   in Loop: Header=BB53_40 Depth=1
	s_or_b64 exec, exec, s[12:13]
	scratch_load_dwordx2 v[108:109], off, off offset:412 ; 8-byte Folded Reload
	v_mov_b32_e32 v1, v17
	s_waitcnt vmcnt(0)
	v_mov_b32_e32 v0, v108
	v_lshl_add_u64 v[106:107], v[106:107], 0, v[0:1]
	scratch_store_dwordx2 off, v[108:109], off offset:412 ; 8-byte Folded Spill
	global_load_dwordx4 v[106:109], v[106:107], off
	s_and_saveexec_b64 s[0:1], vcc
	s_cbranch_execz .LBB53_39
; %bb.103:                              ;   in Loop: Header=BB53_40 Depth=1
	v_cmp_gt_i32_e32 vcc, s33, v25
	s_waitcnt vmcnt(0)
	s_nop 0
	v_cndmask_b32_e32 v106, 0, v106, vcc
	v_cmp_gt_i32_e32 vcc, s33, v15
	s_nop 1
	v_cndmask_b32_e32 v107, 0, v107, vcc
	v_cmp_gt_i32_e32 vcc, s33, v14
	;; [unrolled: 3-line block ×3, first 2 shown]
	s_nop 1
	v_cndmask_b32_e32 v109, 0, v109, vcc
	s_branch .LBB53_39
.LBB53_104:
	s_or_b64 exec, exec, s[8:9]
	scratch_load_dword v44, off, off offset:440 ; 4-byte Folded Reload
	scratch_load_dword v45, off, off offset:448 ; 4-byte Folded Reload
	scratch_load_dword v43, off, off offset:452 ; 4-byte Folded Reload
	scratch_load_dword v37, off, off offset:456 ; 4-byte Folded Reload
	scratch_load_dword v46, off, off offset:460 ; 4-byte Folded Reload
	scratch_load_dwordx2 v[38:39], off, off offset:100 ; 8-byte Folded Reload
	scratch_load_dwordx2 v[40:41], off, off offset:116 ; 8-byte Folded Reload
	;; [unrolled: 1-line block ×11, first 2 shown]
.LBB53_105:
	s_or_b64 exec, exec, s[2:3]
	s_waitcnt vmcnt(12)
	ds_bpermute_b32 v2, v37, v126
	ds_bpermute_b32 v3, v37, v127
	;; [unrolled: 1-line block ×6, first 2 shown]
	s_waitcnt lgkmcnt(4)
	v_pk_add_f32 v[2:3], v[126:127], v[2:3]
	ds_bpermute_b32 v6, v43, v2
	ds_bpermute_b32 v7, v43, v3
	s_waitcnt lgkmcnt(4)
	v_pk_add_f32 v[0:1], v[22:23], v[0:1]
	ds_bpermute_b32 v4, v43, v0
	ds_bpermute_b32 v5, v43, v1
	;; [unrolled: 1-line block ×3, first 2 shown]
	s_waitcnt lgkmcnt(3)
	v_pk_add_f32 v[2:3], v[2:3], v[6:7]
	v_pk_add_f32 v[6:7], v[20:21], v[8:9]
	ds_bpermute_b32 v8, v43, v6
	ds_bpermute_b32 v9, v43, v7
	;; [unrolled: 1-line block ×3, first 2 shown]
	s_waitcnt lgkmcnt(4)
	v_pk_add_f32 v[0:1], v[0:1], v[4:5]
	s_waitcnt vmcnt(11)
	ds_bpermute_b32 v4, v46, v0
	ds_bpermute_b32 v5, v46, v1
	s_waitcnt lgkmcnt(3)
	v_pk_add_f32 v[6:7], v[6:7], v[8:9]
	s_waitcnt lgkmcnt(2)
	v_pk_add_f32 v[12:13], v[18:19], v[12:13]
	ds_bpermute_b32 v8, v46, v6
	ds_bpermute_b32 v9, v46, v7
	;; [unrolled: 1-line block ×4, first 2 shown]
	s_waitcnt lgkmcnt(4)
	v_pk_add_f32 v[4:5], v[0:1], v[4:5]
	s_waitcnt vmcnt(2)
	ds_bpermute_b32 v18, v37, v24
	s_waitcnt lgkmcnt(3)
	v_pk_add_f32 v[0:1], v[6:7], v[8:9]
	s_waitcnt vmcnt(0)
	ds_bpermute_b32 v8, v37, v16
	s_waitcnt lgkmcnt(2)
	v_pk_add_f32 v[6:7], v[12:13], v[14:15]
	ds_bpermute_b32 v9, v37, v17
	ds_bpermute_b32 v12, v37, v50
	ds_bpermute_b32 v13, v37, v51
	ds_bpermute_b32 v19, v37, v25
	ds_bpermute_b32 v10, v46, v2
	s_waitcnt lgkmcnt(4)
	v_pk_add_f32 v[8:9], v[16:17], v[8:9]
	ds_bpermute_b32 v14, v43, v8
	s_waitcnt lgkmcnt(3)
	v_pk_add_f32 v[12:13], v[50:51], v[12:13]
	ds_bpermute_b32 v15, v43, v9
	ds_bpermute_b32 v16, v43, v12
	ds_bpermute_b32 v17, v43, v13
	ds_bpermute_b32 v11, v46, v3
	ds_bpermute_b32 v22, v37, v26
	s_waitcnt lgkmcnt(4)
	v_pk_add_f32 v[8:9], v[8:9], v[14:15]
	ds_bpermute_b32 v14, v46, v8
	s_waitcnt lgkmcnt(3)
	v_pk_add_f32 v[16:17], v[12:13], v[16:17]
	v_pk_add_f32 v[12:13], v[24:25], v[18:19]
	s_waitcnt lgkmcnt(2)
	v_pk_add_f32 v[2:3], v[2:3], v[10:11]
	ds_bpermute_b32 v10, v46, v6
	ds_bpermute_b32 v11, v46, v7
	;; [unrolled: 1-line block ×8, first 2 shown]
	s_waitcnt lgkmcnt(3)
	v_pk_add_f32 v[18:19], v[12:13], v[18:19]
	v_pk_add_f32 v[12:13], v[6:7], v[10:11]
	s_waitcnt lgkmcnt(1)
	v_pk_add_f32 v[22:23], v[26:27], v[22:23]
	v_pk_add_f32 v[10:11], v[8:9], v[14:15]
	s_waitcnt lgkmcnt(0)
	v_pk_add_f32 v[8:9], v[16:17], v[20:21]
	ds_bpermute_b32 v16, v37, v32
	ds_bpermute_b32 v17, v37, v33
	ds_bpermute_b32 v20, v37, v30
	ds_bpermute_b32 v21, v37, v31
	ds_bpermute_b32 v24, v46, v18
	ds_bpermute_b32 v25, v46, v19
	ds_bpermute_b32 v26, v43, v22
	ds_bpermute_b32 v27, v43, v23
	s_waitcnt lgkmcnt(6)
	v_pk_add_f32 v[16:17], v[32:33], v[16:17]
	s_waitcnt lgkmcnt(4)
	v_pk_add_f32 v[20:21], v[30:31], v[20:21]
	;; [unrolled: 2-line block ×3, first 2 shown]
	ds_bpermute_b32 v24, v43, v20
	s_waitcnt lgkmcnt(1)
	v_pk_add_f32 v[14:15], v[22:23], v[26:27]
	ds_bpermute_b32 v22, v43, v16
	ds_bpermute_b32 v23, v43, v17
	;; [unrolled: 1-line block ×6, first 2 shown]
	s_waitcnt lgkmcnt(4)
	v_pk_add_f32 v[16:17], v[16:17], v[22:23]
	s_waitcnt lgkmcnt(3)
	v_pk_add_f32 v[24:25], v[20:21], v[24:25]
	ds_bpermute_b32 v19, v46, v15
	s_waitcnt lgkmcnt(2)
	v_pk_add_f32 v[20:21], v[28:29], v[26:27]
	ds_bpermute_b32 v22, v46, v16
	ds_bpermute_b32 v23, v46, v17
	;; [unrolled: 1-line block ×8, first 2 shown]
	s_waitcnt lgkmcnt(4)
	v_pk_add_f32 v[26:27], v[20:21], v[26:27]
	v_pk_add_f32 v[20:21], v[14:15], v[18:19]
	;; [unrolled: 1-line block ×3, first 2 shown]
	s_waitcnt lgkmcnt(2)
	v_pk_add_f32 v[16:17], v[24:25], v[28:29]
	ds_bpermute_b32 v24, v37, v48
	ds_bpermute_b32 v25, v37, v49
	s_waitcnt lgkmcnt(2)
	v_pk_add_f32 v[30:31], v[34:35], v[30:31]
	ds_bpermute_b32 v28, v37, v40
	ds_bpermute_b32 v29, v37, v41
	;; [unrolled: 1-line block ×3, first 2 shown]
	s_waitcnt lgkmcnt(3)
	v_pk_add_f32 v[24:25], v[48:49], v[24:25]
	scratch_load_dwordx2 v[48:49], off, off offset:80 ; 8-byte Folded Reload
	ds_bpermute_b32 v33, v46, v27
	ds_bpermute_b32 v34, v43, v30
	;; [unrolled: 1-line block ×3, first 2 shown]
	s_waitcnt lgkmcnt(4)
	v_pk_add_f32 v[28:29], v[40:41], v[28:29]
	s_waitcnt lgkmcnt(0)
	v_pk_add_f32 v[14:15], v[26:27], v[32:33]
	ds_bpermute_b32 v32, v43, v28
	v_pk_add_f32 v[22:23], v[30:31], v[34:35]
	ds_bpermute_b32 v33, v43, v29
	ds_bpermute_b32 v34, v37, v38
	;; [unrolled: 1-line block ×5, first 2 shown]
	s_waitcnt lgkmcnt(4)
	v_pk_add_f32 v[32:33], v[28:29], v[32:33]
	ds_bpermute_b32 v26, v46, v22
	s_waitcnt lgkmcnt(3)
	v_pk_add_f32 v[28:29], v[38:39], v[34:35]
	ds_bpermute_b32 v34, v43, v28
	ds_bpermute_b32 v35, v43, v29
	s_waitcnt lgkmcnt(3)
	v_pk_add_f32 v[24:25], v[24:25], v[30:31]
	ds_bpermute_b32 v27, v46, v23
	ds_bpermute_b32 v30, v46, v24
	;; [unrolled: 1-line block ×4, first 2 shown]
	s_waitcnt lgkmcnt(4)
	v_pk_add_f32 v[34:35], v[28:29], v[34:35]
	ds_bpermute_b32 v40, v46, v34
	ds_bpermute_b32 v41, v46, v35
	s_waitcnt lgkmcnt(5)
	v_pk_add_f32 v[28:29], v[22:23], v[26:27]
	s_waitcnt lgkmcnt(3)
	v_pk_add_f32 v[26:27], v[24:25], v[30:31]
	s_barrier
	s_waitcnt lgkmcnt(0)
	v_pk_add_f32 v[22:23], v[34:35], v[40:41]
	v_and_b32_e32 v34, 0x3c7, v44
	v_cmp_ne_u32_e32 vcc, 64, v34
	s_waitcnt vmcnt(0)
	ds_bpermute_b32 v38, v37, v48
	ds_bpermute_b32 v39, v37, v49
	;; [unrolled: 1-line block ×3, first 2 shown]
	s_waitcnt lgkmcnt(1)
	v_pk_add_f32 v[38:39], v[48:49], v[38:39]
	ds_bpermute_b32 v42, v43, v38
	ds_bpermute_b32 v43, v43, v39
	s_waitcnt lgkmcnt(2)
	v_pk_add_f32 v[24:25], v[32:33], v[36:37]
	s_waitcnt lgkmcnt(0)
	v_pk_add_f32 v[30:31], v[38:39], v[42:43]
	ds_bpermute_b32 v32, v46, v30
	ds_bpermute_b32 v33, v46, v31
	s_and_saveexec_b64 s[0:1], vcc
	s_xor_b64 s[0:1], exec, s[0:1]
; %bb.106:
                                        ; implicit-def: $vgpr45
; %bb.107:
	s_or_saveexec_b64 s[0:1], s[0:1]
	s_waitcnt lgkmcnt(0)
	v_pk_add_f32 v[30:31], v[30:31], v[32:33]
	s_xor_b64 exec, exec, s[0:1]
	s_cbranch_execz .LBB53_109
; %bb.108:
	v_lshrrev_b32_e32 v32, 1, v45
	v_add_u32_e32 v32, 0x410, v32
	ds_write2_b32 v32, v4, v5 offset1:8
	ds_write2_b32 v32, v2, v3 offset0:16 offset1:24
	ds_write2_b32 v32, v0, v1 offset0:32 offset1:40
	;; [unrolled: 1-line block ×15, first 2 shown]
.LBB53_109:
	s_or_b64 exec, exec, s[0:1]
	v_cmp_gt_u32_e32 vcc, 64, v44
	s_waitcnt lgkmcnt(0)
	s_barrier
	s_and_saveexec_b64 s[0:1], vcc
	s_cbranch_execz .LBB53_144
; %bb.110:
	scratch_load_dword v32, off, off offset:444 ; 4-byte Folded Reload
	s_waitcnt vmcnt(0)
	v_cmp_eq_u32_e32 vcc, 0, v32
	v_lshrrev_b32_e32 v32, 3, v44
	s_and_saveexec_b64 s[2:3], vcc
	s_cbranch_execnz .LBB53_147
; %bb.111:
	s_or_b64 exec, exec, s[2:3]
	s_and_saveexec_b64 s[2:3], vcc
	s_cbranch_execnz .LBB53_148
.LBB53_112:
	s_or_b64 exec, exec, s[2:3]
	s_and_saveexec_b64 s[2:3], vcc
	s_cbranch_execnz .LBB53_149
.LBB53_113:
	s_or_b64 exec, exec, s[2:3]
	s_and_saveexec_b64 s[2:3], vcc
	s_cbranch_execnz .LBB53_150
.LBB53_114:
	s_or_b64 exec, exec, s[2:3]
	s_and_saveexec_b64 s[2:3], vcc
	s_cbranch_execnz .LBB53_151
.LBB53_115:
	s_or_b64 exec, exec, s[2:3]
	s_and_saveexec_b64 s[2:3], vcc
	s_cbranch_execnz .LBB53_152
.LBB53_116:
	s_or_b64 exec, exec, s[2:3]
	s_and_saveexec_b64 s[2:3], vcc
	s_cbranch_execnz .LBB53_153
.LBB53_117:
	s_or_b64 exec, exec, s[2:3]
	s_and_saveexec_b64 s[2:3], vcc
	s_cbranch_execnz .LBB53_154
.LBB53_118:
	s_or_b64 exec, exec, s[2:3]
	s_and_saveexec_b64 s[2:3], vcc
	s_cbranch_execnz .LBB53_155
.LBB53_119:
	s_or_b64 exec, exec, s[2:3]
	s_and_saveexec_b64 s[2:3], vcc
	s_cbranch_execnz .LBB53_156
.LBB53_120:
	s_or_b64 exec, exec, s[2:3]
	s_and_saveexec_b64 s[2:3], vcc
	s_cbranch_execnz .LBB53_157
.LBB53_121:
	s_or_b64 exec, exec, s[2:3]
	s_and_saveexec_b64 s[2:3], vcc
	s_cbranch_execnz .LBB53_158
.LBB53_122:
	s_or_b64 exec, exec, s[2:3]
	s_and_saveexec_b64 s[2:3], vcc
	s_cbranch_execnz .LBB53_159
.LBB53_123:
	s_or_b64 exec, exec, s[2:3]
	s_and_saveexec_b64 s[2:3], vcc
	s_cbranch_execnz .LBB53_160
.LBB53_124:
	s_or_b64 exec, exec, s[2:3]
	s_and_saveexec_b64 s[2:3], vcc
	s_cbranch_execnz .LBB53_161
.LBB53_125:
	s_or_b64 exec, exec, s[2:3]
	s_and_saveexec_b64 s[2:3], vcc
	s_cbranch_execnz .LBB53_162
.LBB53_126:
	s_or_b64 exec, exec, s[2:3]
	s_and_saveexec_b64 s[2:3], vcc
	s_cbranch_execnz .LBB53_163
.LBB53_127:
	s_or_b64 exec, exec, s[2:3]
	s_and_saveexec_b64 s[2:3], vcc
	s_cbranch_execnz .LBB53_164
.LBB53_128:
	s_or_b64 exec, exec, s[2:3]
	s_and_saveexec_b64 s[2:3], vcc
	s_cbranch_execnz .LBB53_165
.LBB53_129:
	s_or_b64 exec, exec, s[2:3]
	s_and_saveexec_b64 s[2:3], vcc
	s_cbranch_execnz .LBB53_166
.LBB53_130:
	s_or_b64 exec, exec, s[2:3]
	s_and_saveexec_b64 s[2:3], vcc
	s_cbranch_execnz .LBB53_167
.LBB53_131:
	s_or_b64 exec, exec, s[2:3]
	s_and_saveexec_b64 s[2:3], vcc
	s_cbranch_execnz .LBB53_168
.LBB53_132:
	s_or_b64 exec, exec, s[2:3]
	s_and_saveexec_b64 s[2:3], vcc
	s_cbranch_execnz .LBB53_169
.LBB53_133:
	s_or_b64 exec, exec, s[2:3]
	s_and_saveexec_b64 s[2:3], vcc
	s_cbranch_execnz .LBB53_170
.LBB53_134:
	s_or_b64 exec, exec, s[2:3]
	s_and_saveexec_b64 s[2:3], vcc
	s_cbranch_execnz .LBB53_171
.LBB53_135:
	s_or_b64 exec, exec, s[2:3]
	s_and_saveexec_b64 s[2:3], vcc
	s_cbranch_execnz .LBB53_172
.LBB53_136:
	s_or_b64 exec, exec, s[2:3]
	s_and_saveexec_b64 s[2:3], vcc
	s_cbranch_execnz .LBB53_173
.LBB53_137:
	s_or_b64 exec, exec, s[2:3]
	s_and_saveexec_b64 s[2:3], vcc
	s_cbranch_execnz .LBB53_174
.LBB53_138:
	s_or_b64 exec, exec, s[2:3]
	s_and_saveexec_b64 s[2:3], vcc
	s_cbranch_execnz .LBB53_175
.LBB53_139:
	s_or_b64 exec, exec, s[2:3]
	s_and_saveexec_b64 s[2:3], vcc
	s_cbranch_execnz .LBB53_176
.LBB53_140:
	s_or_b64 exec, exec, s[2:3]
	s_and_saveexec_b64 s[2:3], vcc
	s_cbranch_execnz .LBB53_177
.LBB53_141:
	s_or_b64 exec, exec, s[2:3]
	s_and_saveexec_b64 s[2:3], vcc
	s_cbranch_execz .LBB53_143
.LBB53_142:
	v_mov_b32_e32 v33, 0x410
	v_lshl_add_u32 v32, v32, 2, v33
	ds_read_b32 v32, v32 offset:992
	s_waitcnt lgkmcnt(0)
	v_add_f32_e32 v31, v31, v32
.LBB53_143:
	s_or_b64 exec, exec, s[2:3]
.LBB53_144:
	s_or_b64 exec, exec, s[0:1]
	v_cmp_eq_u32_e32 vcc, 0, v34
	s_barrier
	s_and_saveexec_b64 s[0:1], vcc
	s_cbranch_execz .LBB53_146
; %bb.145:
	s_mul_i32 s0, s10, s11
	s_mul_i32 s0, s0, s5
	s_lshl_b32 s0, s0, 8
	s_ashr_i32 s1, s0, 31
	s_lshl_b64 s[0:1], s[0:1], 2
	s_add_u32 s2, s18, s0
	s_mul_i32 s0, s11, s16
	s_addc_u32 s3, s19, s1
	s_ashr_i32 s1, s0, 31
	s_lshl_b64 s[0:1], s[0:1], 2
	s_add_u32 s2, s2, s0
	s_addc_u32 s3, s3, s1
	s_lshl_b32 s0, s4, 8
	s_ashr_i32 s1, s0, 31
	s_lshl_b64 s[0:1], s[0:1], 2
	s_add_u32 s0, s2, s0
	s_addc_u32 s1, s3, s1
	v_lshrrev_b32_e32 v32, 1, v44
	global_store_dword v32, v4, s[0:1]
	global_store_dword v32, v5, s[0:1] offset:32
	global_store_dword v32, v2, s[0:1] offset:64
	global_store_dword v32, v3, s[0:1] offset:96
	global_store_dword v32, v0, s[0:1] offset:128
	global_store_dword v32, v1, s[0:1] offset:160
	global_store_dword v32, v12, s[0:1] offset:192
	global_store_dword v32, v13, s[0:1] offset:224
	global_store_dword v32, v10, s[0:1] offset:256
	global_store_dword v32, v11, s[0:1] offset:288
	global_store_dword v32, v8, s[0:1] offset:320
	global_store_dword v32, v9, s[0:1] offset:352
	global_store_dword v32, v6, s[0:1] offset:384
	global_store_dword v32, v7, s[0:1] offset:416
	global_store_dword v32, v20, s[0:1] offset:448
	global_store_dword v32, v21, s[0:1] offset:480
	global_store_dword v32, v18, s[0:1] offset:512
	global_store_dword v32, v19, s[0:1] offset:544
	global_store_dword v32, v16, s[0:1] offset:576
	global_store_dword v32, v17, s[0:1] offset:608
	global_store_dword v32, v14, s[0:1] offset:640
	global_store_dword v32, v15, s[0:1] offset:672
	global_store_dword v32, v28, s[0:1] offset:704
	global_store_dword v32, v29, s[0:1] offset:736
	global_store_dword v32, v26, s[0:1] offset:768
	global_store_dword v32, v27, s[0:1] offset:800
	global_store_dword v32, v24, s[0:1] offset:832
	global_store_dword v32, v25, s[0:1] offset:864
	global_store_dword v32, v22, s[0:1] offset:896
	global_store_dword v32, v23, s[0:1] offset:928
	global_store_dword v32, v30, s[0:1] offset:960
	global_store_dword v32, v31, s[0:1] offset:992
.LBB53_146:
	s_endpgm
.LBB53_147:
	v_mov_b32_e32 v33, 0x410
	v_lshl_add_u32 v33, v32, 2, v33
	ds_read_b32 v33, v33
	s_waitcnt lgkmcnt(0)
	v_add_f32_e32 v4, v4, v33
	s_or_b64 exec, exec, s[2:3]
	s_and_saveexec_b64 s[2:3], vcc
	s_cbranch_execz .LBB53_112
.LBB53_148:
	v_mov_b32_e32 v33, 0x410
	v_lshl_add_u32 v33, v32, 2, v33
	ds_read_b32 v33, v33 offset:32
	s_waitcnt lgkmcnt(0)
	v_add_f32_e32 v5, v5, v33
	s_or_b64 exec, exec, s[2:3]
	s_and_saveexec_b64 s[2:3], vcc
	s_cbranch_execz .LBB53_113
.LBB53_149:
	v_mov_b32_e32 v33, 0x410
	v_lshl_add_u32 v33, v32, 2, v33
	ds_read_b32 v33, v33 offset:64
	s_waitcnt lgkmcnt(0)
	v_add_f32_e32 v2, v2, v33
	s_or_b64 exec, exec, s[2:3]
	s_and_saveexec_b64 s[2:3], vcc
	s_cbranch_execz .LBB53_114
.LBB53_150:
	v_mov_b32_e32 v33, 0x410
	v_lshl_add_u32 v33, v32, 2, v33
	ds_read_b32 v33, v33 offset:96
	s_waitcnt lgkmcnt(0)
	v_add_f32_e32 v3, v3, v33
	s_or_b64 exec, exec, s[2:3]
	s_and_saveexec_b64 s[2:3], vcc
	s_cbranch_execz .LBB53_115
.LBB53_151:
	v_mov_b32_e32 v33, 0x410
	v_lshl_add_u32 v33, v32, 2, v33
	ds_read_b32 v33, v33 offset:128
	s_waitcnt lgkmcnt(0)
	v_add_f32_e32 v0, v0, v33
	s_or_b64 exec, exec, s[2:3]
	s_and_saveexec_b64 s[2:3], vcc
	s_cbranch_execz .LBB53_116
.LBB53_152:
	v_mov_b32_e32 v33, 0x410
	v_lshl_add_u32 v33, v32, 2, v33
	ds_read_b32 v33, v33 offset:160
	s_waitcnt lgkmcnt(0)
	v_add_f32_e32 v1, v1, v33
	s_or_b64 exec, exec, s[2:3]
	s_and_saveexec_b64 s[2:3], vcc
	s_cbranch_execz .LBB53_117
.LBB53_153:
	v_mov_b32_e32 v33, 0x410
	v_lshl_add_u32 v33, v32, 2, v33
	ds_read_b32 v33, v33 offset:192
	s_waitcnt lgkmcnt(0)
	v_add_f32_e32 v12, v12, v33
	s_or_b64 exec, exec, s[2:3]
	s_and_saveexec_b64 s[2:3], vcc
	s_cbranch_execz .LBB53_118
.LBB53_154:
	v_mov_b32_e32 v33, 0x410
	v_lshl_add_u32 v33, v32, 2, v33
	ds_read_b32 v33, v33 offset:224
	s_waitcnt lgkmcnt(0)
	v_add_f32_e32 v13, v13, v33
	s_or_b64 exec, exec, s[2:3]
	s_and_saveexec_b64 s[2:3], vcc
	s_cbranch_execz .LBB53_119
.LBB53_155:
	v_mov_b32_e32 v33, 0x410
	v_lshl_add_u32 v33, v32, 2, v33
	ds_read_b32 v33, v33 offset:256
	s_waitcnt lgkmcnt(0)
	v_add_f32_e32 v10, v10, v33
	s_or_b64 exec, exec, s[2:3]
	s_and_saveexec_b64 s[2:3], vcc
	s_cbranch_execz .LBB53_120
.LBB53_156:
	v_mov_b32_e32 v33, 0x410
	v_lshl_add_u32 v33, v32, 2, v33
	ds_read_b32 v33, v33 offset:288
	s_waitcnt lgkmcnt(0)
	v_add_f32_e32 v11, v11, v33
	s_or_b64 exec, exec, s[2:3]
	s_and_saveexec_b64 s[2:3], vcc
	s_cbranch_execz .LBB53_121
.LBB53_157:
	v_mov_b32_e32 v33, 0x410
	v_lshl_add_u32 v33, v32, 2, v33
	ds_read_b32 v33, v33 offset:320
	s_waitcnt lgkmcnt(0)
	v_add_f32_e32 v8, v8, v33
	s_or_b64 exec, exec, s[2:3]
	s_and_saveexec_b64 s[2:3], vcc
	s_cbranch_execz .LBB53_122
.LBB53_158:
	v_mov_b32_e32 v33, 0x410
	v_lshl_add_u32 v33, v32, 2, v33
	ds_read_b32 v33, v33 offset:352
	s_waitcnt lgkmcnt(0)
	v_add_f32_e32 v9, v9, v33
	s_or_b64 exec, exec, s[2:3]
	s_and_saveexec_b64 s[2:3], vcc
	s_cbranch_execz .LBB53_123
.LBB53_159:
	v_mov_b32_e32 v33, 0x410
	v_lshl_add_u32 v33, v32, 2, v33
	ds_read_b32 v33, v33 offset:384
	s_waitcnt lgkmcnt(0)
	v_add_f32_e32 v6, v6, v33
	s_or_b64 exec, exec, s[2:3]
	s_and_saveexec_b64 s[2:3], vcc
	s_cbranch_execz .LBB53_124
.LBB53_160:
	v_mov_b32_e32 v33, 0x410
	v_lshl_add_u32 v33, v32, 2, v33
	ds_read_b32 v33, v33 offset:416
	s_waitcnt lgkmcnt(0)
	v_add_f32_e32 v7, v7, v33
	s_or_b64 exec, exec, s[2:3]
	s_and_saveexec_b64 s[2:3], vcc
	s_cbranch_execz .LBB53_125
.LBB53_161:
	v_mov_b32_e32 v33, 0x410
	v_lshl_add_u32 v33, v32, 2, v33
	ds_read_b32 v33, v33 offset:448
	s_waitcnt lgkmcnt(0)
	v_add_f32_e32 v20, v20, v33
	s_or_b64 exec, exec, s[2:3]
	s_and_saveexec_b64 s[2:3], vcc
	s_cbranch_execz .LBB53_126
.LBB53_162:
	v_mov_b32_e32 v33, 0x410
	v_lshl_add_u32 v33, v32, 2, v33
	ds_read_b32 v33, v33 offset:480
	s_waitcnt lgkmcnt(0)
	v_add_f32_e32 v21, v21, v33
	s_or_b64 exec, exec, s[2:3]
	s_and_saveexec_b64 s[2:3], vcc
	s_cbranch_execz .LBB53_127
.LBB53_163:
	v_mov_b32_e32 v33, 0x410
	v_lshl_add_u32 v33, v32, 2, v33
	ds_read_b32 v33, v33 offset:512
	s_waitcnt lgkmcnt(0)
	v_add_f32_e32 v18, v18, v33
	s_or_b64 exec, exec, s[2:3]
	s_and_saveexec_b64 s[2:3], vcc
	s_cbranch_execz .LBB53_128
.LBB53_164:
	v_mov_b32_e32 v33, 0x410
	v_lshl_add_u32 v33, v32, 2, v33
	ds_read_b32 v33, v33 offset:544
	s_waitcnt lgkmcnt(0)
	v_add_f32_e32 v19, v19, v33
	s_or_b64 exec, exec, s[2:3]
	s_and_saveexec_b64 s[2:3], vcc
	s_cbranch_execz .LBB53_129
.LBB53_165:
	v_mov_b32_e32 v33, 0x410
	v_lshl_add_u32 v33, v32, 2, v33
	ds_read_b32 v33, v33 offset:576
	s_waitcnt lgkmcnt(0)
	v_add_f32_e32 v16, v16, v33
	s_or_b64 exec, exec, s[2:3]
	s_and_saveexec_b64 s[2:3], vcc
	s_cbranch_execz .LBB53_130
.LBB53_166:
	v_mov_b32_e32 v33, 0x410
	v_lshl_add_u32 v33, v32, 2, v33
	ds_read_b32 v33, v33 offset:608
	s_waitcnt lgkmcnt(0)
	v_add_f32_e32 v17, v17, v33
	s_or_b64 exec, exec, s[2:3]
	s_and_saveexec_b64 s[2:3], vcc
	s_cbranch_execz .LBB53_131
.LBB53_167:
	v_mov_b32_e32 v33, 0x410
	v_lshl_add_u32 v33, v32, 2, v33
	ds_read_b32 v33, v33 offset:640
	s_waitcnt lgkmcnt(0)
	v_add_f32_e32 v14, v14, v33
	s_or_b64 exec, exec, s[2:3]
	s_and_saveexec_b64 s[2:3], vcc
	s_cbranch_execz .LBB53_132
.LBB53_168:
	v_mov_b32_e32 v33, 0x410
	v_lshl_add_u32 v33, v32, 2, v33
	ds_read_b32 v33, v33 offset:672
	s_waitcnt lgkmcnt(0)
	v_add_f32_e32 v15, v15, v33
	s_or_b64 exec, exec, s[2:3]
	s_and_saveexec_b64 s[2:3], vcc
	s_cbranch_execz .LBB53_133
.LBB53_169:
	v_mov_b32_e32 v33, 0x410
	v_lshl_add_u32 v33, v32, 2, v33
	ds_read_b32 v33, v33 offset:704
	s_waitcnt lgkmcnt(0)
	v_add_f32_e32 v28, v28, v33
	s_or_b64 exec, exec, s[2:3]
	s_and_saveexec_b64 s[2:3], vcc
	s_cbranch_execz .LBB53_134
.LBB53_170:
	v_mov_b32_e32 v33, 0x410
	v_lshl_add_u32 v33, v32, 2, v33
	ds_read_b32 v33, v33 offset:736
	s_waitcnt lgkmcnt(0)
	v_add_f32_e32 v29, v29, v33
	s_or_b64 exec, exec, s[2:3]
	s_and_saveexec_b64 s[2:3], vcc
	s_cbranch_execz .LBB53_135
.LBB53_171:
	v_mov_b32_e32 v33, 0x410
	v_lshl_add_u32 v33, v32, 2, v33
	ds_read_b32 v33, v33 offset:768
	s_waitcnt lgkmcnt(0)
	v_add_f32_e32 v26, v26, v33
	s_or_b64 exec, exec, s[2:3]
	s_and_saveexec_b64 s[2:3], vcc
	s_cbranch_execz .LBB53_136
.LBB53_172:
	v_mov_b32_e32 v33, 0x410
	v_lshl_add_u32 v33, v32, 2, v33
	ds_read_b32 v33, v33 offset:800
	s_waitcnt lgkmcnt(0)
	v_add_f32_e32 v27, v27, v33
	s_or_b64 exec, exec, s[2:3]
	s_and_saveexec_b64 s[2:3], vcc
	s_cbranch_execz .LBB53_137
.LBB53_173:
	v_mov_b32_e32 v33, 0x410
	v_lshl_add_u32 v33, v32, 2, v33
	ds_read_b32 v33, v33 offset:832
	s_waitcnt lgkmcnt(0)
	v_add_f32_e32 v24, v24, v33
	s_or_b64 exec, exec, s[2:3]
	s_and_saveexec_b64 s[2:3], vcc
	s_cbranch_execz .LBB53_138
.LBB53_174:
	v_mov_b32_e32 v33, 0x410
	v_lshl_add_u32 v33, v32, 2, v33
	ds_read_b32 v33, v33 offset:864
	s_waitcnt lgkmcnt(0)
	v_add_f32_e32 v25, v25, v33
	s_or_b64 exec, exec, s[2:3]
	s_and_saveexec_b64 s[2:3], vcc
	s_cbranch_execz .LBB53_139
.LBB53_175:
	v_mov_b32_e32 v33, 0x410
	v_lshl_add_u32 v33, v32, 2, v33
	ds_read_b32 v33, v33 offset:896
	s_waitcnt lgkmcnt(0)
	v_add_f32_e32 v22, v22, v33
	s_or_b64 exec, exec, s[2:3]
	s_and_saveexec_b64 s[2:3], vcc
	s_cbranch_execz .LBB53_140
.LBB53_176:
	v_mov_b32_e32 v33, 0x410
	v_lshl_add_u32 v33, v32, 2, v33
	ds_read_b32 v33, v33 offset:928
	s_waitcnt lgkmcnt(0)
	v_add_f32_e32 v23, v23, v33
	s_or_b64 exec, exec, s[2:3]
	s_and_saveexec_b64 s[2:3], vcc
	s_cbranch_execz .LBB53_141
.LBB53_177:
	v_mov_b32_e32 v33, 0x410
	v_lshl_add_u32 v33, v32, 2, v33
	ds_read_b32 v33, v33 offset:960
	s_waitcnt lgkmcnt(0)
	v_add_f32_e32 v30, v30, v33
	s_or_b64 exec, exec, s[2:3]
	s_and_saveexec_b64 s[2:3], vcc
	s_cbranch_execnz .LBB53_142
	s_branch .LBB53_143
	.section	.rodata,"a",@progbits
	.p2align	6, 0x0
	.amdhsa_kernel _ZN4vllm25paged_attention_v1_kernelIffLi256ELi32ELi128ELNS_18Fp8KVCacheDataTypeE0ELb0EEEvPT_PKS2_PKT0_S8_ifPKiSA_iPKfiiiSC_SC_iiiii
		.amdhsa_group_segment_fixed_size 1040
		.amdhsa_private_segment_fixed_size 468
		.amdhsa_kernarg_size 384
		.amdhsa_user_sgpr_count 2
		.amdhsa_user_sgpr_dispatch_ptr 0
		.amdhsa_user_sgpr_queue_ptr 0
		.amdhsa_user_sgpr_kernarg_segment_ptr 1
		.amdhsa_user_sgpr_dispatch_id 0
		.amdhsa_user_sgpr_kernarg_preload_length 0
		.amdhsa_user_sgpr_kernarg_preload_offset 0
		.amdhsa_user_sgpr_private_segment_size 0
		.amdhsa_uses_dynamic_stack 0
		.amdhsa_enable_private_segment 1
		.amdhsa_system_sgpr_workgroup_id_x 1
		.amdhsa_system_sgpr_workgroup_id_y 1
		.amdhsa_system_sgpr_workgroup_id_z 1
		.amdhsa_system_sgpr_workgroup_info 0
		.amdhsa_system_vgpr_workitem_id 0
		.amdhsa_next_free_vgpr 128
		.amdhsa_next_free_sgpr 41
		.amdhsa_accum_offset 128
		.amdhsa_reserve_vcc 1
		.amdhsa_float_round_mode_32 0
		.amdhsa_float_round_mode_16_64 0
		.amdhsa_float_denorm_mode_32 3
		.amdhsa_float_denorm_mode_16_64 3
		.amdhsa_dx10_clamp 1
		.amdhsa_ieee_mode 1
		.amdhsa_fp16_overflow 0
		.amdhsa_tg_split 0
		.amdhsa_exception_fp_ieee_invalid_op 0
		.amdhsa_exception_fp_denorm_src 0
		.amdhsa_exception_fp_ieee_div_zero 0
		.amdhsa_exception_fp_ieee_overflow 0
		.amdhsa_exception_fp_ieee_underflow 0
		.amdhsa_exception_fp_ieee_inexact 0
		.amdhsa_exception_int_div_zero 0
	.end_amdhsa_kernel
	.section	.text._ZN4vllm25paged_attention_v1_kernelIffLi256ELi32ELi128ELNS_18Fp8KVCacheDataTypeE0ELb0EEEvPT_PKS2_PKT0_S8_ifPKiSA_iPKfiiiSC_SC_iiiii,"axG",@progbits,_ZN4vllm25paged_attention_v1_kernelIffLi256ELi32ELi128ELNS_18Fp8KVCacheDataTypeE0ELb0EEEvPT_PKS2_PKT0_S8_ifPKiSA_iPKfiiiSC_SC_iiiii,comdat
.Lfunc_end53:
	.size	_ZN4vllm25paged_attention_v1_kernelIffLi256ELi32ELi128ELNS_18Fp8KVCacheDataTypeE0ELb0EEEvPT_PKS2_PKT0_S8_ifPKiSA_iPKfiiiSC_SC_iiiii, .Lfunc_end53-_ZN4vllm25paged_attention_v1_kernelIffLi256ELi32ELi128ELNS_18Fp8KVCacheDataTypeE0ELb0EEEvPT_PKS2_PKT0_S8_ifPKiSA_iPKfiiiSC_SC_iiiii
                                        ; -- End function
	.section	.AMDGPU.csdata,"",@progbits
; Kernel info:
; codeLenInByte = 14800
; NumSgprs: 47
; NumVgprs: 128
; NumAgprs: 0
; TotalNumVgprs: 128
; ScratchSize: 468
; MemoryBound: 0
; FloatMode: 240
; IeeeMode: 1
; LDSByteSize: 1040 bytes/workgroup (compile time only)
; SGPRBlocks: 5
; VGPRBlocks: 15
; NumSGPRsForWavesPerEU: 47
; NumVGPRsForWavesPerEU: 128
; AccumOffset: 128
; Occupancy: 4
; WaveLimiterHint : 1
; COMPUTE_PGM_RSRC2:SCRATCH_EN: 1
; COMPUTE_PGM_RSRC2:USER_SGPR: 2
; COMPUTE_PGM_RSRC2:TRAP_HANDLER: 0
; COMPUTE_PGM_RSRC2:TGID_X_EN: 1
; COMPUTE_PGM_RSRC2:TGID_Y_EN: 1
; COMPUTE_PGM_RSRC2:TGID_Z_EN: 1
; COMPUTE_PGM_RSRC2:TIDIG_COMP_CNT: 0
; COMPUTE_PGM_RSRC3_GFX90A:ACCUM_OFFSET: 31
; COMPUTE_PGM_RSRC3_GFX90A:TG_SPLIT: 0
	.section	.text._ZN4vllm25paged_attention_v1_kernelIttLi32ELi8ELi128ELNS_18Fp8KVCacheDataTypeE0ELb1EEEvPT_PKS2_PKT0_S8_ifPKiSA_iPKfiiiSC_SC_iiiii,"axG",@progbits,_ZN4vllm25paged_attention_v1_kernelIttLi32ELi8ELi128ELNS_18Fp8KVCacheDataTypeE0ELb1EEEvPT_PKS2_PKT0_S8_ifPKiSA_iPKfiiiSC_SC_iiiii,comdat
	.protected	_ZN4vllm25paged_attention_v1_kernelIttLi32ELi8ELi128ELNS_18Fp8KVCacheDataTypeE0ELb1EEEvPT_PKS2_PKT0_S8_ifPKiSA_iPKfiiiSC_SC_iiiii ; -- Begin function _ZN4vllm25paged_attention_v1_kernelIttLi32ELi8ELi128ELNS_18Fp8KVCacheDataTypeE0ELb1EEEvPT_PKS2_PKT0_S8_ifPKiSA_iPKfiiiSC_SC_iiiii
	.globl	_ZN4vllm25paged_attention_v1_kernelIttLi32ELi8ELi128ELNS_18Fp8KVCacheDataTypeE0ELb1EEEvPT_PKS2_PKT0_S8_ifPKiSA_iPKfiiiSC_SC_iiiii
	.p2align	8
	.type	_ZN4vllm25paged_attention_v1_kernelIttLi32ELi8ELi128ELNS_18Fp8KVCacheDataTypeE0ELb1EEEvPT_PKS2_PKT0_S8_ifPKiSA_iPKfiiiSC_SC_iiiii,@function
_ZN4vllm25paged_attention_v1_kernelIttLi32ELi8ELi128ELNS_18Fp8KVCacheDataTypeE0ELb1EEEvPT_PKS2_PKT0_S8_ifPKiSA_iPKfiiiSC_SC_iiiii: ; @_ZN4vllm25paged_attention_v1_kernelIttLi32ELi8ELi128ELNS_18Fp8KVCacheDataTypeE0ELb1EEEvPT_PKS2_PKT0_S8_ifPKiSA_iPKfiiiSC_SC_iiiii
; %bb.0:
	s_load_dword s5, s[0:1], 0x80
	s_load_dwordx2 s[6:7], s[0:1], 0x30
	s_load_dwordx2 s[30:31], s[0:1], 0x20
	s_mov_b32 s10, s3
	s_ashr_i32 s11, s3, 31
	s_lshl_b64 s[8:9], s[10:11], 2
	s_waitcnt lgkmcnt(0)
	s_add_u32 s6, s6, s8
	s_addc_u32 s7, s7, s9
	s_abs_i32 s3, s30
	v_cvt_f32_u32_e32 v1, s3
	s_sub_i32 s11, 0, s3
	s_abs_i32 s9, s5
	s_xor_b32 s8, s5, s30
	v_rcp_iflag_f32_e32 v1, v1
	s_ashr_i32 s8, s8, 31
	s_mov_b32 s42, 0
	v_mul_f32_e32 v1, 0x4f7ffffe, v1
	v_cvt_u32_f32_e32 v1, v1
	s_nop 0
	v_readfirstlane_b32 s12, v1
	s_mul_i32 s11, s11, s12
	s_mul_hi_u32 s11, s12, s11
	s_add_i32 s12, s12, s11
	s_mul_hi_u32 s11, s9, s12
	s_mul_i32 s12, s11, s3
	s_sub_i32 s9, s9, s12
	s_add_i32 s12, s11, 1
	s_sub_i32 s13, s9, s3
	s_cmp_ge_u32 s9, s3
	s_cselect_b32 s11, s12, s11
	s_cselect_b32 s9, s13, s9
	s_add_i32 s12, s11, 1
	s_cmp_ge_u32 s9, s3
	s_cselect_b32 s3, s12, s11
	s_xor_b32 s3, s3, s8
	s_sub_i32 s16, s3, s8
	s_abs_i32 s22, s16
	v_cvt_f32_u32_e32 v1, s22
	s_load_dwordx2 s[8:9], s[0:1], 0x40
	s_sub_i32 s3, 0, s22
	s_abs_i32 s23, s2
	v_rcp_iflag_f32_e32 v1, v1
	s_nop 0
	v_mul_f32_e32 v1, 0x4f7ffffe, v1
	v_cvt_u32_f32_e32 v1, v1
	s_nop 0
	v_readfirstlane_b32 s11, v1
	s_mul_i32 s3, s3, s11
	s_mul_hi_u32 s3, s11, s3
	s_add_i32 s11, s11, s3
	s_waitcnt lgkmcnt(0)
	s_cmp_eq_u64 s[8:9], 0
	s_mul_hi_u32 s24, s23, s11
	s_cbranch_scc1 .LBB54_2
; %bb.1:
	s_ashr_i32 s3, s2, 31
	s_lshl_b64 s[12:13], s[2:3], 2
	s_add_u32 s8, s8, s12
	s_addc_u32 s9, s9, s13
	s_load_dword s42, s[8:9], 0x0
.LBB54_2:
	s_load_dword s11, s[6:7], 0x0
	s_load_dwordx4 s[12:15], s[0:1], 0x48
	s_ashr_i32 s8, s2, 31
	s_ashr_i32 s9, s16, 31
	v_and_b32_e32 v4, 7, v0
	s_lshl_b32 s20, s2, 5
	v_cmp_gt_u32_e32 vcc, 32, v0
	s_and_saveexec_b64 s[6:7], vcc
	s_cbranch_execz .LBB54_4
; %bb.3:
	s_load_dwordx2 s[16:17], s[0:1], 0x8
	s_waitcnt lgkmcnt(0)
	s_mul_i32 s18, s10, s12
	s_ashr_i32 s19, s18, 31
	s_lshl_b64 s[18:19], s[18:19], 1
	v_lshlrev_b32_e32 v1, 1, v0
	s_add_u32 s3, s16, s18
	s_addc_u32 s12, s17, s19
	s_ashr_i32 s21, s20, 31
	s_lshl_b64 s[16:17], s[20:21], 1
	s_add_u32 s16, s3, s16
	s_addc_u32 s17, s12, s17
	global_load_ushort v1, v1, s[16:17]
	v_lshrrev_b32_e32 v2, 2, v0
	v_and_b32_e32 v2, 0xfe, v2
	v_lshl_add_u32 v2, v4, 3, v2
	s_waitcnt vmcnt(0)
	ds_write_b16 v2, v1
.LBB54_4:
	s_or_b64 exec, exec, s[6:7]
	s_mul_i32 s7, s24, s22
	s_sub_i32 s7, s23, s7
	s_xor_b32 s6, s8, s9
	s_add_i32 s8, s24, 1
	s_sub_i32 s9, s7, s22
	s_load_dwordx4 s[16:19], s[0:1], 0x68
	s_load_dword s3, s[0:1], 0x78
	s_cmp_ge_u32 s7, s22
	s_cselect_b32 s8, s8, s24
	s_cselect_b32 s7, s9, s7
	s_add_i32 s9, s8, 1
	s_cmp_ge_u32 s7, s22
	s_cselect_b32 s7, s9, s8
	s_waitcnt lgkmcnt(0)
	s_abs_i32 s21, s19
	v_cvt_f32_u32_e32 v1, s21
	s_xor_b32 s7, s7, s6
	s_sub_i32 s8, s7, s6
	s_sub_i32 s6, 0, s21
	v_rcp_iflag_f32_e32 v1, v1
	s_add_i32 s15, s11, -1
	s_abs_i32 s9, s15
	v_mul_f32_e32 v1, 0x4f7ffffe, v1
	v_cvt_u32_f32_e32 v1, v1
	s_barrier
	v_readfirstlane_b32 s33, v1
	s_mul_i32 s6, s6, s33
	s_mul_hi_u32 s6, s33, s6
	s_add_i32 s33, s33, s6
	s_cmp_lt_i32 s3, 0
	s_mul_hi_u32 s12, s9, s33
	s_cbranch_scc0 .LBB54_6
; %bb.5:
	s_mul_i32 s6, s16, s30
	s_add_i32 s6, s8, s6
	s_mul_i32 s6, s6, s3
	s_sub_i32 s40, 1, s6
	s_mov_b64 s[6:7], 0
	s_branch .LBB54_7
.LBB54_6:
	s_mov_b64 s[6:7], -1
                                        ; implicit-def: $sgpr40
.LBB54_7:
	s_load_dwordx2 s[24:25], s[0:1], 0x28
	s_ashr_i32 s15, s15, 31
	s_andn2_b64 vcc, exec, s[6:7]
	s_ashr_i32 s19, s19, 31
	s_cbranch_vccnz .LBB54_9
; %bb.8:
	s_mul_i32 s6, s5, s16
	s_add_i32 s2, s6, s2
	s_mul_i32 s2, s2, s3
	s_add_i32 s40, s2, 1
.LBB54_9:
	s_load_dword s2, s[0:1], 0x38
	s_load_dwordx2 s[22:23], s[0:1], 0x0
	s_load_dwordx2 s[28:29], s[0:1], 0x18
	s_load_dword s16, s[0:1], 0x88
	s_xor_b32 s3, s15, s19
	s_waitcnt lgkmcnt(0)
	s_mul_i32 s26, s10, s2
	s_mul_i32 s2, s12, s21
	s_sub_i32 s2, s9, s2
	s_ashr_i32 s27, s26, 31
	s_add_i32 s6, s12, 1
	s_sub_i32 s7, s2, s21
	s_cmp_ge_u32 s2, s21
	s_cselect_b32 s6, s6, s12
	s_cselect_b32 s2, s7, s2
	s_add_i32 s7, s6, 1
	s_cmp_ge_u32 s2, s21
	s_cselect_b32 s2, s7, s6
	s_xor_b32 s2, s2, s3
	s_sub_i32 s12, s2, s3
	s_add_i32 s2, s11, 7
	s_ashr_i32 s3, s2, 31
	s_lshr_b32 s3, s3, 29
	s_add_i32 s2, s2, s3
	s_ashr_i32 s41, s2, 3
	v_lshrrev_b32_e32 v1, 6, v0
	v_cmp_gt_i32_e64 s[2:3], s41, v1
	v_mov_b32_e32 v9, 0xff7fffff
	s_mul_i32 s14, s8, s14
	v_lshrrev_b32_e32 v10, 4, v0
	v_lshlrev_b32_e32 v12, 3, v1
	v_mbcnt_lo_u32_b32 v6, -1, 0
	s_and_saveexec_b64 s[34:35], s[2:3]
	s_cbranch_execz .LBB54_19
; %bb.10:
	s_load_dwordx2 s[0:1], s[0:1], 0x10
	s_ashr_i32 s15, s14, 31
	s_sub_i32 s30, s12, s17
	s_lshl_b64 s[6:7], s[14:15], 1
	v_bfe_u32 v7, v0, 3, 3
	s_waitcnt lgkmcnt(0)
	s_add_u32 s0, s0, s6
	s_addc_u32 s1, s1, s7
	s_abs_i32 s15, s18
	v_cvt_f32_u32_e32 v2, s15
	v_lshlrev_b32_e32 v14, 4, v7
	v_mov_b32_e32 v15, 0
	s_sub_i32 s6, 0, s15
	v_rcp_iflag_f32_e32 v5, v2
	v_cmp_eq_u32_e32 vcc, 0, v4
	v_lshl_add_u64 v[2:3], s[0:1], 0, v[14:15]
	v_lshlrev_b32_e32 v14, 1, v4
	v_mul_f32_e32 v5, 0x4f7ffffe, v5
	v_cvt_u32_f32_e32 v5, v5
	v_lshlrev_b32_e32 v8, 3, v4
	v_lshlrev_b32_e32 v9, 2, v7
	v_lshl_add_u64 v[2:3], v[2:3], 0, v[14:15]
	v_mul_lo_u32 v4, s6, v5
	s_lshl_b64 s[6:7], s[26:27], 2
	s_add_u32 s6, s24, s6
	v_mul_hi_u32 v4, v5, v4
	v_and_b32_e32 v14, 60, v10
	s_addc_u32 s7, s25, s7
	v_lshl_or_b32 v9, v1, 5, v9
	v_add_u32_e32 v11, v5, v4
	v_lshl_add_u64 v[4:5], s[6:7], 0, v[14:15]
	v_add_u32_e32 v14, 0x50, v9
	v_subrev_u32_e32 v9, s11, v7
	v_mbcnt_hi_u32_b32 v17, -1, v6
	v_add_u32_e32 v15, 1, v9
	v_and_b32_e32 v9, 64, v17
	s_mov_b32 s43, s13
	v_cmp_neq_f32_e64 s[0:1], s42, 0
	v_lshlrev_b32_e32 v13, 3, v1
	s_mov_b64 s[36:37], 0
	v_mov_b32_e32 v16, 0xff7fffff
	v_add_u32_e32 v18, 64, v9
	v_xor_b32_e32 v19, 4, v17
	v_xor_b32_e32 v20, 2, v17
	;; [unrolled: 1-line block ×3, first 2 shown]
	v_mov_b32_e32 v9, 0xff7fffff
	v_mov_b32_e32 v22, v1
	s_branch .LBB54_13
.LBB54_11:                              ;   in Loop: Header=BB54_13 Depth=1
	s_or_b64 exec, exec, s[38:39]
.LBB54_12:                              ;   in Loop: Header=BB54_13 Depth=1
	s_or_b64 exec, exec, s[8:9]
	v_add_u32_e32 v22, 2, v22
	v_cmp_le_i32_e64 s[6:7], s41, v22
	v_lshl_add_u64 v[4:5], v[4:5], 0, 8
	v_add_u32_e32 v13, 16, v13
	s_or_b64 s[36:37], s[6:7], s[36:37]
	v_add_u32_e32 v14, 64, v14
	s_andn2_b64 exec, exec, s[36:37]
	s_cbranch_execz .LBB54_18
.LBB54_13:                              ; =>This Inner Loop Header: Depth=1
	v_mul_hi_u32 v23, v13, s33
	s_waitcnt lgkmcnt(0)
	v_mul_lo_u32 v24, v23, s21
	v_sub_u32_e32 v24, v13, v24
	v_add_u32_e32 v25, 1, v23
	v_cmp_le_u32_e64 s[6:7], s21, v24
	s_nop 1
	v_cndmask_b32_e64 v23, v23, v25, s[6:7]
	v_subrev_u32_e32 v25, s21, v24
	v_cndmask_b32_e64 v24, v24, v25, s[6:7]
	v_add_u32_e32 v25, 1, v23
	v_cmp_le_u32_e64 s[6:7], s21, v24
	s_nop 1
	v_cndmask_b32_e64 v23, v23, v25, s[6:7]
	v_xor_b32_e32 v23, s19, v23
	v_subrev_u32_e32 v23, s19, v23
	v_add_u32_e32 v24, s40, v23
	v_sub_u32_e32 v26, 0, v24
	v_ashrrev_i32_e32 v25, 31, v24
	v_max_i32_e32 v24, v24, v26
	v_mul_hi_u32 v26, v24, v11
	v_mul_lo_u32 v26, v26, s15
	v_sub_u32_e32 v24, v24, v26
	v_subrev_u32_e32 v26, s15, v24
	v_cmp_le_u32_e64 s[6:7], s15, v24
	v_cmp_ge_i32_e64 s[8:9], s30, v23
	s_nop 0
	v_cndmask_b32_e64 v24, v24, v26, s[6:7]
	v_subrev_u32_e32 v26, s15, v24
	v_cmp_le_u32_e64 s[6:7], s15, v24
	s_nop 1
	v_cndmask_b32_e64 v24, v24, v26, s[6:7]
	v_xor_b32_e32 v24, v24, v25
	v_sub_u32_e32 v24, v24, v25
	v_cmp_ne_u32_e64 s[6:7], 0, v24
	s_and_b64 s[6:7], s[6:7], s[8:9]
	s_and_b64 s[38:39], vcc, s[6:7]
	s_and_saveexec_b64 s[8:9], s[38:39]
	s_cbranch_execz .LBB54_15
; %bb.14:                               ;   in Loop: Header=BB54_13 Depth=1
	ds_write_b32 v14, v16
.LBB54_15:                              ;   in Loop: Header=BB54_13 Depth=1
	s_or_b64 exec, exec, s[8:9]
	s_xor_b64 s[6:7], s[6:7], -1
	s_and_saveexec_b64 s[8:9], s[6:7]
	s_cbranch_execz .LBB54_12
; %bb.16:                               ;   in Loop: Header=BB54_13 Depth=1
	global_load_dword v23, v[4:5], off
	s_waitcnt vmcnt(0)
	v_mad_i64_i32 v[24:25], s[6:7], v23, s43, 0
	v_lshl_add_u64 v[24:25], v[24:25], 1, v[2:3]
	global_load_ushort v23, v[24:25], off
	global_load_ushort v26, v[24:25], off offset:128
	global_load_ushort v27, v[24:25], off offset:256
	;; [unrolled: 1-line block ×3, first 2 shown]
	ds_read_u16 v24, v8
	s_waitcnt lgkmcnt(0)
	;;#ASMSTART
	v_cvt_f32_f16 v24, v24;
	;;#ASMEND
	v_cmp_lt_i32_e64 s[6:7], v19, v18
	s_waitcnt vmcnt(3)
	;;#ASMSTART
	v_cvt_f32_f16 v23, v23;
	;;#ASMEND
	ds_read_u16 v25, v8 offset:2
	s_waitcnt lgkmcnt(0)
	;;#ASMSTART
	v_cvt_f32_f16 v25, v25;
	;;#ASMEND
	s_waitcnt vmcnt(2)
	;;#ASMSTART
	v_cvt_f32_f16 v26, v26;
	;;#ASMEND
	ds_read_u16 v29, v8 offset:4
	v_mul_f32_e32 v25, v25, v26
	v_fmac_f32_e32 v25, v24, v23
	v_cndmask_b32_e64 v30, v17, v19, s[6:7]
	s_waitcnt lgkmcnt(0)
	;;#ASMSTART
	v_cvt_f32_f16 v29, v29;
	;;#ASMEND
	s_waitcnt vmcnt(1)
	;;#ASMSTART
	v_cvt_f32_f16 v27, v27;
	;;#ASMEND
	ds_read_u16 v31, v8 offset:6
	v_fmac_f32_e32 v25, v29, v27
	v_lshlrev_b32_e32 v30, 2, v30
	s_waitcnt lgkmcnt(0)
	;;#ASMSTART
	v_cvt_f32_f16 v23, v31;
	;;#ASMEND
	s_waitcnt vmcnt(0)
	;;#ASMSTART
	v_cvt_f32_f16 v24, v28;
	;;#ASMEND
	v_cmp_lt_i32_e64 s[6:7], v20, v18
	v_fmac_f32_e32 v25, v23, v24
	ds_bpermute_b32 v23, v30, v25
	v_cndmask_b32_e64 v24, v17, v20, s[6:7]
	v_lshlrev_b32_e32 v24, 2, v24
	v_cmp_lt_i32_e64 s[6:7], v21, v18
	s_waitcnt lgkmcnt(0)
	v_add_f32_e32 v23, v25, v23
	ds_bpermute_b32 v24, v24, v23
	v_cndmask_b32_e64 v25, v17, v21, s[6:7]
	s_waitcnt lgkmcnt(0)
	v_add_f32_e32 v23, v23, v24
	v_lshlrev_b32_e32 v24, 2, v25
	ds_bpermute_b32 v24, v24, v23
	s_and_saveexec_b64 s[38:39], vcc
	s_cbranch_execz .LBB54_11
; %bb.17:                               ;   in Loop: Header=BB54_13 Depth=1
	v_add_u32_e32 v25, v15, v13
	v_cvt_f32_i32_e32 v25, v25
	s_waitcnt lgkmcnt(0)
	v_add_f32_e32 v23, v23, v24
	v_add_u32_e32 v26, v7, v13
	v_cmp_gt_i32_e64 s[6:7], s11, v26
	v_mul_f32_e32 v24, s42, v25
	v_cndmask_b32_e64 v24, 0, v24, s[0:1]
	v_fmac_f32_e32 v24, s31, v23
	v_cndmask_b32_e64 v23, 0, v24, s[6:7]
	ds_write_b32 v14, v23
	v_max_f32_e32 v23, v9, v9
	v_max_f32_e32 v23, v23, v24
	v_cndmask_b32_e64 v9, v9, v23, s[6:7]
	s_branch .LBB54_11
.LBB54_18:
	s_or_b64 exec, exec, s[36:37]
.LBB54_19:
	s_or_b64 exec, exec, s[34:35]
	v_mbcnt_hi_u32_b32 v2, -1, v6
	v_and_b32_e32 v3, 64, v2
	v_add_u32_e32 v3, 64, v3
	v_xor_b32_e32 v4, 32, v2
	v_cmp_lt_i32_e32 vcc, v4, v3
	v_xor_b32_e32 v7, 16, v2
	v_max_f32_e32 v6, v9, v9
	v_cndmask_b32_e32 v4, v2, v4, vcc
	v_lshlrev_b32_e32 v5, 2, v4
	ds_bpermute_b32 v4, v5, v9
	v_cmp_lt_i32_e32 vcc, v7, v3
	v_xor_b32_e32 v8, 8, v2
	v_and_b32_e32 v13, 63, v0
	s_waitcnt lgkmcnt(0)
	v_max_f32_e32 v4, v4, v4
	v_max_f32_e32 v4, v6, v4
	v_cndmask_b32_e32 v6, v2, v7, vcc
	v_lshlrev_b32_e32 v7, 2, v6
	ds_bpermute_b32 v6, v7, v4
	v_cmp_lt_i32_e32 vcc, v8, v3
	s_waitcnt lgkmcnt(0)
	v_max_f32_e32 v6, v6, v6
	v_max_f32_e32 v6, v4, v6
	v_cndmask_b32_e32 v4, v2, v8, vcc
	v_lshlrev_b32_e32 v9, 2, v4
	ds_bpermute_b32 v8, v9, v6
	v_cmp_eq_u32_e32 vcc, 0, v13
	v_lshlrev_b32_e32 v4, 2, v1
	s_and_saveexec_b64 s[0:1], vcc
	s_cbranch_execz .LBB54_21
; %bb.20:
	s_waitcnt lgkmcnt(0)
	v_max_f32_e32 v8, v8, v8
	v_max_f32_e32 v6, v6, v6
	;; [unrolled: 1-line block ×3, first 2 shown]
	ds_write_b32 v4, v6 offset:64
.LBB54_21:
	s_or_b64 exec, exec, s[0:1]
	v_cmp_gt_u32_e64 s[0:1], 2, v13
	v_mov_b32_e32 v11, 0xff7fffff
	v_lshlrev_b32_e32 v6, 2, v13
	s_waitcnt lgkmcnt(0)
	s_barrier
	s_and_saveexec_b64 s[6:7], s[0:1]
	s_cbranch_execz .LBB54_23
; %bb.22:
	ds_read_b32 v11, v6 offset:64
.LBB54_23:
	s_or_b64 exec, exec, s[6:7]
	v_xor_b32_e32 v8, 1, v2
	v_cmp_lt_i32_e64 s[6:7], v8, v3
	v_lshlrev_b32_e32 v15, 2, v2
	s_nop 0
	v_cndmask_b32_e64 v8, v2, v8, s[6:7]
	v_lshlrev_b32_e32 v8, 2, v8
	s_waitcnt lgkmcnt(0)
	ds_bpermute_b32 v14, v8, v11
	v_max_f32_e32 v11, v11, v11
	s_lshl_b32 s6, s41, 3
	s_min_i32 s15, s6, s11
	v_cmp_gt_i32_e64 s[6:7], s15, v0
	s_waitcnt lgkmcnt(0)
	v_max_f32_e32 v14, v14, v14
	v_max_f32_e32 v14, v11, v14
	v_and_b32_e32 v11, 0x100, v15
	ds_bpermute_b32 v15, v11, v14
	v_mov_b32_e32 v14, 0
	s_and_saveexec_b64 s[30:31], s[6:7]
	s_cbranch_execz .LBB54_27
; %bb.24:
	v_mov_b32_e32 v14, 0x50
	v_lshl_add_u32 v16, v0, 2, v14
	s_mov_b64 s[34:35], 0
	v_mov_b32_e32 v14, 0
	v_mov_b32_e32 v17, v0
.LBB54_25:                              ; =>This Inner Loop Header: Depth=1
	ds_read_b32 v18, v16
	v_add_u32_e32 v17, 0x80, v17
	v_cmp_le_i32_e64 s[8:9], s15, v17
	s_or_b64 s[34:35], s[8:9], s[34:35]
	s_waitcnt lgkmcnt(0)
	v_sub_f32_e32 v18, v18, v15
	v_mul_f32_e32 v18, 0x3fb8aa3b, v18
	v_exp_f32_e32 v18, v18
	ds_write_b32 v16, v18
	v_add_f32_e32 v14, v14, v18
	v_add_u32_e32 v16, 0x200, v16
	s_andn2_b64 exec, exec, s[34:35]
	s_cbranch_execnz .LBB54_25
; %bb.26:
	s_or_b64 exec, exec, s[34:35]
.LBB54_27:
	s_or_b64 exec, exec, s[30:31]
	ds_bpermute_b32 v5, v5, v14
	s_waitcnt lgkmcnt(0)
	v_add_f32_e32 v5, v14, v5
	ds_bpermute_b32 v7, v7, v5
	s_waitcnt lgkmcnt(0)
	v_add_f32_e32 v5, v5, v7
	ds_bpermute_b32 v7, v9, v5
	v_xor_b32_e32 v9, 4, v2
	v_cmp_lt_i32_e64 s[8:9], v9, v3
	s_waitcnt lgkmcnt(0)
	v_add_f32_e32 v5, v5, v7
	v_cndmask_b32_e64 v9, v2, v9, s[8:9]
	v_lshlrev_b32_e32 v9, 2, v9
	ds_bpermute_b32 v7, v9, v5
	v_xor_b32_e32 v9, 2, v2
	v_cmp_lt_i32_e64 s[8:9], v9, v3
	s_waitcnt lgkmcnt(0)
	v_add_f32_e32 v3, v5, v7
	v_cndmask_b32_e64 v2, v2, v9, s[8:9]
	v_lshlrev_b32_e32 v2, 2, v2
	ds_bpermute_b32 v2, v2, v3
	s_waitcnt lgkmcnt(0)
	v_add_f32_e32 v2, v3, v2
	ds_bpermute_b32 v3, v8, v2
	s_waitcnt lgkmcnt(0)
	v_add_f32_e32 v2, v2, v3
	s_and_saveexec_b64 s[8:9], vcc
	s_cbranch_execz .LBB54_29
; %bb.28:
	ds_write_b32 v4, v2 offset:72
.LBB54_29:
	s_or_b64 exec, exec, s[8:9]
	s_waitcnt lgkmcnt(0)
	s_barrier
	s_and_saveexec_b64 s[8:9], s[0:1]
	s_cbranch_execz .LBB54_31
; %bb.30:
	ds_read_b32 v2, v6 offset:72
.LBB54_31:
	s_or_b64 exec, exec, s[8:9]
	s_waitcnt lgkmcnt(0)
	ds_bpermute_b32 v3, v8, v2
	s_waitcnt lgkmcnt(0)
	v_add_f32_e32 v2, v2, v3
	ds_bpermute_b32 v2, v11, v2
	s_and_saveexec_b64 s[0:1], s[6:7]
	s_cbranch_execz .LBB54_44
; %bb.32:
	s_waitcnt lgkmcnt(0)
	v_add_f32_e32 v2, 0x358637bd, v2
	v_div_scale_f32 v3, s[6:7], v2, v2, 1.0
	v_rcp_f32_e32 v4, v3
	v_div_scale_f32 v5, vcc, 1.0, v2, 1.0
	s_movk_i32 s6, 0x7f
	v_fma_f32 v6, -v3, v4, 1.0
	v_fmac_f32_e32 v4, v6, v4
	v_mul_f32_e32 v6, v5, v4
	v_fma_f32 v7, -v3, v6, v5
	v_fmac_f32_e32 v6, v7, v4
	v_fma_f32 v3, -v3, v6, v5
	v_div_fmas_f32 v3, v3, v4, v6
	v_xad_u32 v4, v0, -1, s15
	v_div_fixup_f32 v2, v3, v2, 1.0
	v_cmp_lt_u32_e32 vcc, s6, v4
	s_mov_b64 s[8:9], -1
	v_mov_b32_e32 v3, v0
	s_and_saveexec_b64 s[6:7], vcc
	s_cbranch_execz .LBB54_41
; %bb.33:
	v_lshrrev_b32_e32 v4, 7, v4
	v_add_u32_e32 v6, -1, v4
	v_lshrrev_b32_e32 v5, 1, v6
	v_mov_b32_e32 v3, v2
	v_add_u32_e32 v5, 1, v5
	v_cmp_lt_u32_e32 vcc, 13, v6
	v_mov_b32_e32 v8, 0
	s_and_saveexec_b64 s[8:9], vcc
	s_cbranch_execz .LBB54_37
; %bb.34:
	v_mov_b32_e32 v7, 0x50
	v_and_b32_e32 v6, -8, v5
	v_lshl_add_u32 v7, v0, 2, v7
	s_mov_b32 s34, 0
	s_mov_b64 s[30:31], 0
.LBB54_35:                              ; =>This Inner Loop Header: Depth=1
	ds_read2st64_b32 v[8:9], v7 offset1:2
	ds_read2st64_b32 v[14:15], v7 offset0:4 offset1:6
	ds_read2st64_b32 v[16:17], v7 offset0:8 offset1:10
	ds_read2st64_b32 v[18:19], v7 offset0:12 offset1:14
	v_add_u32_e32 v6, -8, v6
	s_waitcnt lgkmcnt(3)
	v_pk_mul_f32 v[8:9], v[2:3], v[8:9]
	s_waitcnt lgkmcnt(2)
	v_pk_mul_f32 v[14:15], v[2:3], v[14:15]
	ds_write2st64_b32 v7, v8, v9 offset1:2
	ds_write2st64_b32 v7, v14, v15 offset0:4 offset1:6
	ds_read2st64_b32 v[14:15], v7 offset0:16 offset1:18
	s_waitcnt lgkmcnt(4)
	v_pk_mul_f32 v[8:9], v[2:3], v[16:17]
	ds_write2st64_b32 v7, v8, v9 offset0:8 offset1:10
	s_waitcnt lgkmcnt(4)
	v_pk_mul_f32 v[8:9], v[2:3], v[18:19]
	ds_write2st64_b32 v7, v8, v9 offset0:12 offset1:14
	ds_read2st64_b32 v[8:9], v7 offset0:20 offset1:22
	s_waitcnt lgkmcnt(3)
	v_pk_mul_f32 v[14:15], v[2:3], v[14:15]
	ds_read2st64_b32 v[16:17], v7 offset0:24 offset1:26
	ds_write2st64_b32 v7, v14, v15 offset0:16 offset1:18
	ds_read2st64_b32 v[14:15], v7 offset0:28 offset1:30
	s_waitcnt lgkmcnt(3)
	v_pk_mul_f32 v[8:9], v[2:3], v[8:9]
	ds_write2st64_b32 v7, v8, v9 offset0:20 offset1:22
	s_waitcnt lgkmcnt(3)
	v_pk_mul_f32 v[8:9], v[2:3], v[16:17]
	ds_write2st64_b32 v7, v8, v9 offset0:24 offset1:26
	s_waitcnt lgkmcnt(2)
	v_pk_mul_f32 v[8:9], v[2:3], v[14:15]
	s_add_i32 s34, s34, 16
	v_cmp_eq_u32_e32 vcc, 0, v6
	ds_write2st64_b32 v7, v8, v9 offset0:28 offset1:30
	v_add_u32_e32 v7, 0x2000, v7
	s_or_b64 s[30:31], vcc, s[30:31]
	v_mov_b32_e32 v8, s34
	s_andn2_b64 exec, exec, s[30:31]
	s_cbranch_execnz .LBB54_35
; %bb.36:
	s_or_b64 exec, exec, s[30:31]
.LBB54_37:
	s_or_b64 exec, exec, s[8:9]
	v_and_b32_e32 v5, 7, v5
	v_cmp_ne_u32_e32 vcc, 0, v5
	s_and_saveexec_b64 s[8:9], vcc
	s_cbranch_execz .LBB54_40
; %bb.38:
	v_lshlrev_b32_e32 v6, 9, v8
	v_lshlrev_b32_e32 v7, 2, v0
	s_movk_i32 s30, 0x50
	v_add3_u32 v6, v6, v7, s30
	s_mov_b64 s[30:31], 0
.LBB54_39:                              ; =>This Inner Loop Header: Depth=1
	ds_read2st64_b32 v[8:9], v6 offset1:2
	v_add_u32_e32 v5, -1, v5
	v_cmp_eq_u32_e32 vcc, 0, v5
	s_or_b64 s[30:31], vcc, s[30:31]
	s_waitcnt lgkmcnt(0)
	v_pk_mul_f32 v[8:9], v[2:3], v[8:9]
	ds_write2st64_b32 v6, v8, v9 offset1:2
	v_add_u32_e32 v6, 0x400, v6
	s_andn2_b64 exec, exec, s[30:31]
	s_cbranch_execnz .LBB54_39
.LBB54_40:
	s_or_b64 exec, exec, s[8:9]
	v_add_u32_e32 v4, 1, v4
	v_and_b32_e32 v5, 0x3fffffe, v4
	v_cmp_ne_u32_e32 vcc, v4, v5
	v_lshl_add_u32 v3, v5, 7, v0
	s_orn2_b64 s[8:9], vcc, exec
.LBB54_41:
	s_or_b64 exec, exec, s[6:7]
	s_and_b64 exec, exec, s[8:9]
	s_cbranch_execz .LBB54_44
; %bb.42:
	v_mov_b32_e32 v4, 0x50
	v_lshl_add_u32 v4, v3, 2, v4
	s_mov_b64 s[6:7], 0
.LBB54_43:                              ; =>This Inner Loop Header: Depth=1
	ds_read_b32 v5, v4
	v_add_u32_e32 v3, 0x80, v3
	v_cmp_le_i32_e32 vcc, s15, v3
	s_or_b64 s[6:7], vcc, s[6:7]
	s_waitcnt lgkmcnt(0)
	v_mul_f32_e32 v5, v2, v5
	ds_write_b32 v4, v5
	v_add_u32_e32 v4, 0x200, v4
	s_andn2_b64 exec, exec, s[6:7]
	s_cbranch_execnz .LBB54_43
.LBB54_44:
	s_or_b64 exec, exec, s[0:1]
	v_mov_b32_e32 v7, 0
	s_waitcnt lgkmcnt(0)
	s_barrier
	s_and_saveexec_b64 s[6:7], s[2:3]
	s_cbranch_execz .LBB54_54
; %bb.45:
	s_ashr_i32 s15, s14, 31
	s_sub_i32 s17, s12, s17
	s_lshl_b64 s[0:1], s[14:15], 1
	s_add_u32 s0, s28, s0
	s_addc_u32 s1, s29, s1
	s_abs_i32 s18, s18
	v_cvt_f32_u32_e32 v2, s18
	v_lshlrev_b32_e32 v6, 4, v13
	v_mov_b32_e32 v7, 0
	v_lshl_add_u64 v[8:9], s[0:1], 0, v[6:7]
	v_rcp_iflag_f32_e32 v2, v2
	s_sub_i32 s0, 0, s18
	s_add_i32 s28, s41, -1
	v_and_b32_e32 v6, 60, v10
	v_mul_f32_e32 v2, 0x4f7ffffe, v2
	v_cvt_u32_f32_e32 v2, v2
	v_cmp_gt_u32_e32 vcc, 32, v13
	s_mov_b32 s30, s13
	s_mov_b32 s29, s11
	v_mul_lo_u32 v3, s0, v2
	s_lshl_b64 s[0:1], s[26:27], 2
	v_mul_hi_u32 v3, v2, v3
	s_add_u32 s0, s24, s0
	v_add_u32_e32 v14, v2, v3
	s_addc_u32 s1, s25, s1
	v_mov_b32_e32 v2, 0x50
	s_mov_b32 s31, s11
	s_mov_b32 s34, s11
	;; [unrolled: 1-line block ×6, first 2 shown]
	v_lshl_add_u64 v[10:11], s[0:1], 0, v[6:7]
	v_lshl_add_u32 v6, v1, 5, v2
	s_mov_b64 s[8:9], 0
	s_mov_b32 s24, 0x5040100
	s_branch .LBB54_49
.LBB54_46:                              ;   in Loop: Header=BB54_49 Depth=1
	s_or_b64 exec, exec, s[14:15]
	v_and_b32_e32 v15, 0xffff, v15
	v_lshl_or_b32 v15, v16, 16, v15
	v_and_b32_e32 v16, 0xffff, v17
	v_lshl_or_b32 v16, v18, 16, v16
	v_and_b32_e32 v17, 0xffff, v19
	v_and_b32_e32 v18, 0xffff, v21
	s_waitcnt vmcnt(0)
	;;#ASMSTART
	v_pk_mul_f16 v2, v15, v2;

	;;#ASMEND
	v_lshl_or_b32 v17, v20, 16, v17
	v_lshl_or_b32 v18, v22, 16, v18
	;;#ASMSTART
	v_pk_mul_f16 v3, v16, v3;

	;;#ASMEND
	;;#ASMSTART
	v_pk_mul_f16 v4, v17, v4;

	;;#ASMEND
	;; [unrolled: 4-line block ×3, first 2 shown]
	s_nop 0
	;;#ASMSTART
	v_pk_add_f16 v2, v2, v3;

	;;#ASMEND
	s_nop 0
	;;#ASMSTART
	v_pk_add_f16 v2, v2, v4;

	;;#ASMEND
	;; [unrolled: 5-line block ×3, first 2 shown]
	s_nop 0
	v_lshrrev_b32_e32 v3, 16, v2
	v_and_b32_e32 v2, 0xffff, v2
	;;#ASMSTART
	v_cvt_f32_f16 v2, v2;
	;;#ASMEND
	;;#ASMSTART
	v_cvt_f32_f16 v3, v3;
	;;#ASMEND
	s_nop 0
	v_add_f32_e32 v2, v2, v3
	v_add_f32_e32 v7, v7, v2
.LBB54_47:                              ;   in Loop: Header=BB54_49 Depth=1
	s_or_b64 exec, exec, s[12:13]
.LBB54_48:                              ;   in Loop: Header=BB54_49 Depth=1
	s_or_b64 exec, exec, s[2:3]
	v_add_u32_e32 v1, 2, v1
	v_cmp_le_i32_e64 s[0:1], s41, v1
	v_lshl_add_u64 v[10:11], v[10:11], 0, 8
	v_add_u32_e32 v12, 16, v12
	s_or_b64 s[8:9], s[0:1], s[8:9]
	v_add_u32_e32 v6, 64, v6
	s_andn2_b64 exec, exec, s[8:9]
	s_cbranch_execz .LBB54_53
.LBB54_49:                              ; =>This Inner Loop Header: Depth=1
	v_mul_hi_u32 v2, v12, s33
	v_mul_lo_u32 v3, v2, s21
	v_sub_u32_e32 v3, v12, v3
	v_add_u32_e32 v4, 1, v2
	v_cmp_le_u32_e64 s[0:1], s21, v3
	s_nop 1
	v_cndmask_b32_e64 v2, v2, v4, s[0:1]
	v_subrev_u32_e32 v4, s21, v3
	v_cndmask_b32_e64 v3, v3, v4, s[0:1]
	v_add_u32_e32 v4, 1, v2
	v_cmp_le_u32_e64 s[0:1], s21, v3
	s_nop 1
	v_cndmask_b32_e64 v2, v2, v4, s[0:1]
	v_xor_b32_e32 v2, s19, v2
	v_subrev_u32_e32 v2, s19, v2
	v_add_u32_e32 v3, s40, v2
	v_sub_u32_e32 v5, 0, v3
	v_ashrrev_i32_e32 v4, 31, v3
	v_max_i32_e32 v3, v3, v5
	v_mul_hi_u32 v5, v3, v14
	v_mul_lo_u32 v5, v5, s18
	v_sub_u32_e32 v3, v3, v5
	v_subrev_u32_e32 v5, s18, v3
	v_cmp_le_u32_e64 s[0:1], s18, v3
	v_cmp_lt_i32_e64 s[2:3], s17, v2
	s_nop 0
	v_cndmask_b32_e64 v3, v3, v5, s[0:1]
	v_subrev_u32_e32 v5, s18, v3
	v_cmp_le_u32_e64 s[0:1], s18, v3
	s_nop 1
	v_cndmask_b32_e64 v3, v3, v5, s[0:1]
	v_xor_b32_e32 v3, v3, v4
	v_sub_u32_e32 v3, v3, v4
	v_cmp_eq_u32_e64 s[0:1], 0, v3
	s_or_b64 s[0:1], s[0:1], s[2:3]
	s_and_saveexec_b64 s[2:3], s[0:1]
	s_cbranch_execz .LBB54_48
; %bb.50:                               ;   in Loop: Header=BB54_49 Depth=1
	ds_read2_b64 v[2:5], v6 offset1:1
	ds_read2_b64 v[20:23], v6 offset0:2 offset1:3
	s_waitcnt lgkmcnt(1)
	;;#ASMSTART
	v_cvt_f16_f32 v15, v2;

	;;#ASMEND
	;;#ASMSTART
	v_cvt_f16_f32 v16, v3;

	;;#ASMEND
	;; [unrolled: 4-line block ×4, first 2 shown]
	s_waitcnt lgkmcnt(0)
	;;#ASMSTART
	v_cvt_f16_f32 v19, v20;

	;;#ASMEND
	;;#ASMSTART
	v_cvt_f16_f32 v20, v21;

	;;#ASMEND
	;; [unrolled: 4-line block ×4, first 2 shown]
	s_and_saveexec_b64 s[12:13], vcc
	s_cbranch_execz .LBB54_47
; %bb.51:                               ;   in Loop: Header=BB54_49 Depth=1
	global_load_dword v2, v[10:11], off
	s_waitcnt vmcnt(0)
	v_mad_i64_i32 v[2:3], s[0:1], v2, s30, 0
	v_lshl_add_u64 v[2:3], v[2:3], 1, v[8:9]
	global_load_dwordx4 v[2:5], v[2:3], off
	v_cmp_eq_u32_e64 s[0:1], s28, v1
	s_and_saveexec_b64 s[14:15], s[0:1]
	s_cbranch_execz .LBB54_46
; %bb.52:                               ;   in Loop: Header=BB54_49 Depth=1
	v_or_b32_e32 v28, 7, v12
	v_or_b32_e32 v29, 6, v12
	s_waitcnt vmcnt(0)
	v_lshrrev_b32_e32 v30, 16, v5
	v_cmp_gt_i32_e64 s[0:1], s38, v28
	v_or_b32_e32 v26, 5, v12
	v_or_b32_e32 v27, 4, v12
	v_cndmask_b32_e64 v28, 0, v30, s[0:1]
	v_cmp_gt_i32_e64 s[0:1], s37, v29
	v_or_b32_e32 v24, 3, v12
	v_or_b32_e32 v25, 2, v12
	v_cndmask_b32_e64 v5, 0, v5, s[0:1]
	v_perm_b32 v5, v28, v5, s24
	v_lshrrev_b32_e32 v28, 16, v4
	v_cmp_gt_i32_e64 s[0:1], s36, v26
	v_add_u32_e32 v23, 1, v12
	s_nop 0
	v_cndmask_b32_e64 v26, 0, v28, s[0:1]
	v_cmp_gt_i32_e64 s[0:1], s35, v27
	s_nop 1
	v_cndmask_b32_e64 v4, 0, v4, s[0:1]
	v_perm_b32 v4, v26, v4, s24
	v_lshrrev_b32_e32 v26, 16, v3
	v_cmp_gt_i32_e64 s[0:1], s34, v24
	s_nop 1
	v_cndmask_b32_e64 v24, 0, v26, s[0:1]
	v_cmp_gt_i32_e64 s[0:1], s31, v25
	s_nop 1
	v_cndmask_b32_e64 v3, 0, v3, s[0:1]
	v_perm_b32 v3, v24, v3, s24
	v_lshrrev_b32_e32 v24, 16, v2
	v_cmp_gt_i32_e64 s[0:1], s29, v23
	s_nop 1
	v_cndmask_b32_e64 v23, 0, v24, s[0:1]
	v_cmp_gt_i32_e64 s[0:1], s11, v12
	s_nop 1
	v_cndmask_b32_e64 v2, 0, v2, s[0:1]
	v_perm_b32 v2, v23, v2, s24
	s_branch .LBB54_46
.LBB54_53:
	s_or_b64 exec, exec, s[8:9]
.LBB54_54:
	s_or_b64 exec, exec, s[6:7]
	v_and_b32_e32 v1, 0x3c0, v0
	v_cmp_eq_u32_e64 s[0:1], 64, v1
	v_cmp_gt_u32_e32 vcc, 32, v13
	s_and_b64 s[2:3], s[0:1], vcc
	s_barrier
	s_and_saveexec_b64 s[0:1], s[2:3]
	s_cbranch_execz .LBB54_56
; %bb.55:
	v_mov_b32_e32 v1, 0x50
	v_lshl_add_u32 v1, v13, 2, v1
	ds_write_b32 v1, v7
.LBB54_56:
	s_or_b64 exec, exec, s[0:1]
	v_cmp_gt_u32_e64 s[0:1], 64, v0
	s_and_b64 s[0:1], s[0:1], vcc
	s_waitcnt lgkmcnt(0)
	s_barrier
	s_and_saveexec_b64 s[2:3], s[0:1]
	s_cbranch_execz .LBB54_58
; %bb.57:
	v_mov_b32_e32 v0, 0x50
	v_lshl_add_u32 v0, v13, 2, v0
	ds_read_b32 v0, v0
	s_waitcnt lgkmcnt(0)
	v_add_f32_e32 v7, v7, v0
.LBB54_58:
	s_or_b64 exec, exec, s[2:3]
	s_barrier
	s_and_saveexec_b64 s[2:3], s[0:1]
	s_cbranch_execz .LBB54_60
; %bb.59:
	s_mul_i32 s0, s10, s16
	s_mul_i32 s0, s0, s5
	s_lshl_b32 s0, s0, 5
	s_ashr_i32 s1, s0, 31
	s_lshl_b64 s[0:1], s[0:1], 1
	s_add_u32 s2, s22, s0
	s_mul_i32 s0, s16, s20
	s_addc_u32 s3, s23, s1
	s_ashr_i32 s1, s0, 31
	s_lshl_b64 s[0:1], s[0:1], 1
	s_add_u32 s2, s2, s0
	s_addc_u32 s3, s3, s1
	s_lshl_b32 s0, s4, 5
	s_ashr_i32 s1, s0, 31
	s_lshl_b64 s[0:1], s[0:1], 1
	s_add_u32 s0, s2, s0
	s_addc_u32 s1, s3, s1
	v_lshlrev_b32_e32 v0, 1, v13
	;;#ASMSTART
	v_cvt_f16_f32 v1, v7;

	;;#ASMEND
	global_store_short v0, v1, s[0:1]
.LBB54_60:
	s_endpgm
	.section	.rodata,"a",@progbits
	.p2align	6, 0x0
	.amdhsa_kernel _ZN4vllm25paged_attention_v1_kernelIttLi32ELi8ELi128ELNS_18Fp8KVCacheDataTypeE0ELb1EEEvPT_PKS2_PKT0_S8_ifPKiSA_iPKfiiiSC_SC_iiiii
		.amdhsa_group_segment_fixed_size 80
		.amdhsa_private_segment_fixed_size 0
		.amdhsa_kernarg_size 384
		.amdhsa_user_sgpr_count 2
		.amdhsa_user_sgpr_dispatch_ptr 0
		.amdhsa_user_sgpr_queue_ptr 0
		.amdhsa_user_sgpr_kernarg_segment_ptr 1
		.amdhsa_user_sgpr_dispatch_id 0
		.amdhsa_user_sgpr_kernarg_preload_length 0
		.amdhsa_user_sgpr_kernarg_preload_offset 0
		.amdhsa_user_sgpr_private_segment_size 0
		.amdhsa_uses_dynamic_stack 0
		.amdhsa_enable_private_segment 0
		.amdhsa_system_sgpr_workgroup_id_x 1
		.amdhsa_system_sgpr_workgroup_id_y 1
		.amdhsa_system_sgpr_workgroup_id_z 1
		.amdhsa_system_sgpr_workgroup_info 0
		.amdhsa_system_vgpr_workitem_id 0
		.amdhsa_next_free_vgpr 32
		.amdhsa_next_free_sgpr 44
		.amdhsa_accum_offset 32
		.amdhsa_reserve_vcc 1
		.amdhsa_float_round_mode_32 0
		.amdhsa_float_round_mode_16_64 0
		.amdhsa_float_denorm_mode_32 3
		.amdhsa_float_denorm_mode_16_64 3
		.amdhsa_dx10_clamp 1
		.amdhsa_ieee_mode 1
		.amdhsa_fp16_overflow 0
		.amdhsa_tg_split 0
		.amdhsa_exception_fp_ieee_invalid_op 0
		.amdhsa_exception_fp_denorm_src 0
		.amdhsa_exception_fp_ieee_div_zero 0
		.amdhsa_exception_fp_ieee_overflow 0
		.amdhsa_exception_fp_ieee_underflow 0
		.amdhsa_exception_fp_ieee_inexact 0
		.amdhsa_exception_int_div_zero 0
	.end_amdhsa_kernel
	.section	.text._ZN4vllm25paged_attention_v1_kernelIttLi32ELi8ELi128ELNS_18Fp8KVCacheDataTypeE0ELb1EEEvPT_PKS2_PKT0_S8_ifPKiSA_iPKfiiiSC_SC_iiiii,"axG",@progbits,_ZN4vllm25paged_attention_v1_kernelIttLi32ELi8ELi128ELNS_18Fp8KVCacheDataTypeE0ELb1EEEvPT_PKS2_PKT0_S8_ifPKiSA_iPKfiiiSC_SC_iiiii,comdat
.Lfunc_end54:
	.size	_ZN4vllm25paged_attention_v1_kernelIttLi32ELi8ELi128ELNS_18Fp8KVCacheDataTypeE0ELb1EEEvPT_PKS2_PKT0_S8_ifPKiSA_iPKfiiiSC_SC_iiiii, .Lfunc_end54-_ZN4vllm25paged_attention_v1_kernelIttLi32ELi8ELi128ELNS_18Fp8KVCacheDataTypeE0ELb1EEEvPT_PKS2_PKT0_S8_ifPKiSA_iPKfiiiSC_SC_iiiii
                                        ; -- End function
	.section	.AMDGPU.csdata,"",@progbits
; Kernel info:
; codeLenInByte = 4304
; NumSgprs: 50
; NumVgprs: 32
; NumAgprs: 0
; TotalNumVgprs: 32
; ScratchSize: 0
; MemoryBound: 0
; FloatMode: 240
; IeeeMode: 1
; LDSByteSize: 80 bytes/workgroup (compile time only)
; SGPRBlocks: 6
; VGPRBlocks: 3
; NumSGPRsForWavesPerEU: 50
; NumVGPRsForWavesPerEU: 32
; AccumOffset: 32
; Occupancy: 8
; WaveLimiterHint : 1
; COMPUTE_PGM_RSRC2:SCRATCH_EN: 0
; COMPUTE_PGM_RSRC2:USER_SGPR: 2
; COMPUTE_PGM_RSRC2:TRAP_HANDLER: 0
; COMPUTE_PGM_RSRC2:TGID_X_EN: 1
; COMPUTE_PGM_RSRC2:TGID_Y_EN: 1
; COMPUTE_PGM_RSRC2:TGID_Z_EN: 1
; COMPUTE_PGM_RSRC2:TIDIG_COMP_CNT: 0
; COMPUTE_PGM_RSRC3_GFX90A:ACCUM_OFFSET: 7
; COMPUTE_PGM_RSRC3_GFX90A:TG_SPLIT: 0
	.section	.text._ZN4vllm25paged_attention_v1_kernelIttLi64ELi8ELi128ELNS_18Fp8KVCacheDataTypeE0ELb1EEEvPT_PKS2_PKT0_S8_ifPKiSA_iPKfiiiSC_SC_iiiii,"axG",@progbits,_ZN4vllm25paged_attention_v1_kernelIttLi64ELi8ELi128ELNS_18Fp8KVCacheDataTypeE0ELb1EEEvPT_PKS2_PKT0_S8_ifPKiSA_iPKfiiiSC_SC_iiiii,comdat
	.protected	_ZN4vllm25paged_attention_v1_kernelIttLi64ELi8ELi128ELNS_18Fp8KVCacheDataTypeE0ELb1EEEvPT_PKS2_PKT0_S8_ifPKiSA_iPKfiiiSC_SC_iiiii ; -- Begin function _ZN4vllm25paged_attention_v1_kernelIttLi64ELi8ELi128ELNS_18Fp8KVCacheDataTypeE0ELb1EEEvPT_PKS2_PKT0_S8_ifPKiSA_iPKfiiiSC_SC_iiiii
	.globl	_ZN4vllm25paged_attention_v1_kernelIttLi64ELi8ELi128ELNS_18Fp8KVCacheDataTypeE0ELb1EEEvPT_PKS2_PKT0_S8_ifPKiSA_iPKfiiiSC_SC_iiiii
	.p2align	8
	.type	_ZN4vllm25paged_attention_v1_kernelIttLi64ELi8ELi128ELNS_18Fp8KVCacheDataTypeE0ELb1EEEvPT_PKS2_PKT0_S8_ifPKiSA_iPKfiiiSC_SC_iiiii,@function
_ZN4vllm25paged_attention_v1_kernelIttLi64ELi8ELi128ELNS_18Fp8KVCacheDataTypeE0ELb1EEEvPT_PKS2_PKT0_S8_ifPKiSA_iPKfiiiSC_SC_iiiii: ; @_ZN4vllm25paged_attention_v1_kernelIttLi64ELi8ELi128ELNS_18Fp8KVCacheDataTypeE0ELb1EEEvPT_PKS2_PKT0_S8_ifPKiSA_iPKfiiiSC_SC_iiiii
; %bb.0:
	s_load_dword s5, s[0:1], 0x80
	s_load_dwordx2 s[6:7], s[0:1], 0x30
	s_load_dwordx2 s[34:35], s[0:1], 0x20
	s_mov_b32 s20, s3
	s_ashr_i32 s21, s3, 31
	s_lshl_b64 s[8:9], s[20:21], 2
	s_waitcnt lgkmcnt(0)
	s_add_u32 s6, s6, s8
	s_addc_u32 s7, s7, s9
	s_abs_i32 s3, s34
	v_cvt_f32_u32_e32 v1, s3
	s_sub_i32 s10, 0, s3
	s_abs_i32 s9, s5
	s_xor_b32 s8, s5, s34
	v_rcp_iflag_f32_e32 v1, v1
	s_ashr_i32 s8, s8, 31
	s_mov_b32 s44, 0
	v_mul_f32_e32 v1, 0x4f7ffffe, v1
	v_cvt_u32_f32_e32 v1, v1
	s_nop 0
	v_readfirstlane_b32 s11, v1
	s_mul_i32 s10, s10, s11
	s_mul_hi_u32 s10, s11, s10
	s_add_i32 s11, s11, s10
	s_mul_hi_u32 s10, s9, s11
	s_mul_i32 s11, s10, s3
	s_sub_i32 s9, s9, s11
	s_add_i32 s11, s10, 1
	s_sub_i32 s12, s9, s3
	s_cmp_ge_u32 s9, s3
	s_cselect_b32 s10, s11, s10
	s_cselect_b32 s9, s12, s9
	s_add_i32 s11, s10, 1
	s_cmp_ge_u32 s9, s3
	s_cselect_b32 s3, s11, s10
	s_xor_b32 s3, s3, s8
	s_sub_i32 s16, s3, s8
	s_abs_i32 s10, s16
	v_cvt_f32_u32_e32 v1, s10
	s_load_dwordx2 s[8:9], s[0:1], 0x40
	s_sub_i32 s3, 0, s10
	s_abs_i32 s11, s2
	v_rcp_iflag_f32_e32 v1, v1
	s_nop 0
	v_mul_f32_e32 v1, 0x4f7ffffe, v1
	v_cvt_u32_f32_e32 v1, v1
	s_nop 0
	v_readfirstlane_b32 s12, v1
	s_mul_i32 s3, s3, s12
	s_mul_hi_u32 s3, s12, s3
	s_add_i32 s12, s12, s3
	s_waitcnt lgkmcnt(0)
	s_cmp_eq_u64 s[8:9], 0
	s_mul_hi_u32 s24, s11, s12
	s_cbranch_scc1 .LBB55_2
; %bb.1:
	s_ashr_i32 s3, s2, 31
	s_lshl_b64 s[12:13], s[2:3], 2
	s_add_u32 s8, s8, s12
	s_addc_u32 s9, s9, s13
	s_load_dword s44, s[8:9], 0x0
.LBB55_2:
	s_load_dword s21, s[6:7], 0x0
	s_load_dwordx4 s[12:15], s[0:1], 0x48
	s_ashr_i32 s25, s2, 31
	s_waitcnt lgkmcnt(0)
	s_ashr_i32 s15, s16, 31
	v_and_b32_e32 v4, 7, v0
	s_lshl_b32 s22, s2, 6
	v_cmp_gt_u32_e64 s[8:9], 64, v0
	s_and_saveexec_b64 s[6:7], s[8:9]
	s_cbranch_execz .LBB55_4
; %bb.3:
	s_load_dwordx2 s[16:17], s[0:1], 0x8
	s_mul_i32 s18, s20, s12
	s_ashr_i32 s19, s18, 31
	s_lshl_b64 s[18:19], s[18:19], 1
	v_lshlrev_b32_e32 v1, 1, v0
	s_waitcnt lgkmcnt(0)
	s_add_u32 s3, s16, s18
	s_addc_u32 s12, s17, s19
	s_ashr_i32 s23, s22, 31
	s_lshl_b64 s[16:17], s[22:23], 1
	s_add_u32 s16, s3, s16
	s_addc_u32 s17, s12, s17
	global_load_ushort v1, v1, s[16:17]
	v_lshrrev_b32_e32 v2, 2, v0
	v_and_b32_e32 v2, 0xfe, v2
	v_lshl_add_u32 v2, v4, 4, v2
	s_waitcnt vmcnt(0)
	ds_write_b16 v2, v1
.LBB55_4:
	s_or_b64 exec, exec, s[6:7]
	s_mul_i32 s7, s24, s10
	s_sub_i32 s7, s11, s7
	s_xor_b32 s6, s25, s15
	s_add_i32 s11, s24, 1
	s_sub_i32 s12, s7, s10
	s_load_dwordx4 s[16:19], s[0:1], 0x68
	s_load_dword s3, s[0:1], 0x78
	s_cmp_ge_u32 s7, s10
	s_cselect_b32 s11, s11, s24
	s_cselect_b32 s7, s12, s7
	s_add_i32 s12, s11, 1
	s_cmp_ge_u32 s7, s10
	s_cselect_b32 s7, s12, s11
	s_waitcnt lgkmcnt(0)
	s_abs_i32 s12, s19
	v_cvt_f32_u32_e32 v1, s12
	s_xor_b32 s7, s7, s6
	s_sub_i32 s10, s7, s6
	s_sub_i32 s6, 0, s12
	v_rcp_iflag_f32_e32 v1, v1
	s_add_i32 s24, s21, -1
	s_abs_i32 s11, s24
	v_mul_f32_e32 v1, 0x4f7ffffe, v1
	v_cvt_u32_f32_e32 v1, v1
	s_barrier
	v_readfirstlane_b32 s23, v1
	s_mul_i32 s6, s6, s23
	s_mul_hi_u32 s6, s23, s6
	s_add_i32 s23, s23, s6
	s_cmp_lt_i32 s3, 0
	s_mul_hi_u32 s15, s11, s23
	s_cbranch_scc0 .LBB55_6
; %bb.5:
	s_mul_i32 s6, s16, s34
	s_add_i32 s6, s10, s6
	s_mul_i32 s6, s6, s3
	s_sub_i32 s33, 1, s6
	s_mov_b64 s[6:7], 0
	s_branch .LBB55_7
.LBB55_6:
	s_mov_b64 s[6:7], -1
                                        ; implicit-def: $sgpr33
.LBB55_7:
	s_load_dwordx2 s[26:27], s[0:1], 0x28
	s_ashr_i32 s28, s24, 31
	s_andn2_b64 vcc, exec, s[6:7]
	s_ashr_i32 s19, s19, 31
	s_cbranch_vccnz .LBB55_9
; %bb.8:
	s_mul_i32 s6, s5, s16
	s_add_i32 s2, s6, s2
	s_mul_i32 s2, s2, s3
	s_add_i32 s33, s2, 1
.LBB55_9:
	s_load_dword s2, s[0:1], 0x38
	s_load_dwordx2 s[24:25], s[0:1], 0x0
	s_load_dwordx2 s[30:31], s[0:1], 0x18
	s_load_dword s16, s[0:1], 0x88
	s_xor_b32 s3, s28, s19
	s_waitcnt lgkmcnt(0)
	s_mul_i32 s28, s20, s2
	s_mul_i32 s2, s15, s12
	s_sub_i32 s2, s11, s2
	s_ashr_i32 s29, s28, 31
	s_add_i32 s6, s15, 1
	s_sub_i32 s7, s2, s12
	s_cmp_ge_u32 s2, s12
	s_cselect_b32 s6, s6, s15
	s_cselect_b32 s2, s7, s2
	s_add_i32 s7, s6, 1
	s_cmp_ge_u32 s2, s12
	s_cselect_b32 s2, s7, s6
	s_xor_b32 s2, s2, s3
	s_sub_i32 s43, s2, s3
	s_add_i32 s2, s21, 7
	s_ashr_i32 s3, s2, 31
	s_lshr_b32 s3, s3, 29
	s_add_i32 s2, s2, s3
	s_ashr_i32 s42, s2, 3
	v_lshrrev_b32_e32 v1, 6, v0
	v_cmp_gt_i32_e64 s[2:3], s42, v1
	v_mov_b32_e32 v9, 0xff7fffff
	s_mul_i32 s14, s10, s14
	v_lshrrev_b32_e32 v10, 4, v0
	v_lshlrev_b32_e32 v12, 3, v1
	v_mbcnt_lo_u32_b32 v6, -1, 0
	s_and_saveexec_b64 s[36:37], s[2:3]
	s_cbranch_execz .LBB55_19
; %bb.10:
	s_load_dwordx2 s[0:1], s[0:1], 0x10
	s_ashr_i32 s15, s14, 31
	s_sub_i32 s34, s43, s17
	s_lshl_b64 s[6:7], s[14:15], 1
	v_bfe_u32 v7, v0, 3, 3
	s_waitcnt lgkmcnt(0)
	s_add_u32 s0, s0, s6
	s_addc_u32 s1, s1, s7
	s_abs_i32 s15, s18
	v_cvt_f32_u32_e32 v2, s15
	v_lshlrev_b32_e32 v14, 4, v7
	v_mov_b32_e32 v15, 0
	s_sub_i32 s6, 0, s15
	v_rcp_iflag_f32_e32 v5, v2
	v_cmp_eq_u32_e32 vcc, 0, v4
	v_lshl_add_u64 v[2:3], s[0:1], 0, v[14:15]
	v_lshlrev_b32_e32 v14, 1, v4
	v_mul_f32_e32 v5, 0x4f7ffffe, v5
	v_cvt_u32_f32_e32 v5, v5
	v_lshlrev_b32_e32 v8, 4, v4
	v_lshlrev_b32_e32 v9, 2, v7
	v_lshl_add_u64 v[2:3], v[2:3], 0, v[14:15]
	v_mul_lo_u32 v4, s6, v5
	s_lshl_b64 s[6:7], s[28:29], 2
	s_add_u32 s6, s26, s6
	v_mul_hi_u32 v4, v5, v4
	v_and_b32_e32 v14, 60, v10
	s_addc_u32 s7, s27, s7
	v_lshl_or_b32 v9, v1, 5, v9
	v_add_u32_e32 v11, v5, v4
	v_lshl_add_u64 v[4:5], s[6:7], 0, v[14:15]
	v_add_u32_e32 v14, 0x90, v9
	v_subrev_u32_e32 v9, s21, v7
	v_mbcnt_hi_u32_b32 v17, -1, v6
	v_add_u32_e32 v15, 1, v9
	v_and_b32_e32 v9, 64, v17
	s_mov_b32 s45, s13
	v_cmp_neq_f32_e64 s[0:1], s44, 0
	v_lshlrev_b32_e32 v13, 3, v1
	s_mov_b64 s[38:39], 0
	v_mov_b32_e32 v16, 0xff7fffff
	v_add_u32_e32 v18, 64, v9
	v_xor_b32_e32 v19, 4, v17
	v_xor_b32_e32 v20, 2, v17
	;; [unrolled: 1-line block ×3, first 2 shown]
	v_mov_b32_e32 v9, 0xff7fffff
	v_mov_b32_e32 v22, v1
	s_branch .LBB55_13
.LBB55_11:                              ;   in Loop: Header=BB55_13 Depth=1
	s_or_b64 exec, exec, s[40:41]
.LBB55_12:                              ;   in Loop: Header=BB55_13 Depth=1
	s_or_b64 exec, exec, s[10:11]
	v_add_u32_e32 v22, 2, v22
	v_cmp_le_i32_e64 s[6:7], s42, v22
	v_lshl_add_u64 v[4:5], v[4:5], 0, 8
	v_add_u32_e32 v13, 16, v13
	s_or_b64 s[38:39], s[6:7], s[38:39]
	v_add_u32_e32 v14, 64, v14
	s_andn2_b64 exec, exec, s[38:39]
	s_cbranch_execz .LBB55_18
.LBB55_13:                              ; =>This Inner Loop Header: Depth=1
	v_mul_hi_u32 v23, v13, s23
	s_waitcnt lgkmcnt(0)
	v_mul_lo_u32 v24, v23, s12
	v_sub_u32_e32 v24, v13, v24
	v_add_u32_e32 v25, 1, v23
	v_cmp_le_u32_e64 s[6:7], s12, v24
	s_nop 1
	v_cndmask_b32_e64 v23, v23, v25, s[6:7]
	v_subrev_u32_e32 v25, s12, v24
	v_cndmask_b32_e64 v24, v24, v25, s[6:7]
	v_add_u32_e32 v25, 1, v23
	v_cmp_le_u32_e64 s[6:7], s12, v24
	s_nop 1
	v_cndmask_b32_e64 v23, v23, v25, s[6:7]
	v_xor_b32_e32 v23, s19, v23
	v_subrev_u32_e32 v23, s19, v23
	v_add_u32_e32 v24, s33, v23
	v_sub_u32_e32 v26, 0, v24
	v_ashrrev_i32_e32 v25, 31, v24
	v_max_i32_e32 v24, v24, v26
	v_mul_hi_u32 v26, v24, v11
	v_mul_lo_u32 v26, v26, s15
	v_sub_u32_e32 v24, v24, v26
	v_subrev_u32_e32 v26, s15, v24
	v_cmp_le_u32_e64 s[6:7], s15, v24
	v_cmp_ge_i32_e64 s[10:11], s34, v23
	s_nop 0
	v_cndmask_b32_e64 v24, v24, v26, s[6:7]
	v_subrev_u32_e32 v26, s15, v24
	v_cmp_le_u32_e64 s[6:7], s15, v24
	s_nop 1
	v_cndmask_b32_e64 v24, v24, v26, s[6:7]
	v_xor_b32_e32 v24, v24, v25
	v_sub_u32_e32 v24, v24, v25
	v_cmp_ne_u32_e64 s[6:7], 0, v24
	s_and_b64 s[6:7], s[6:7], s[10:11]
	s_and_b64 s[40:41], vcc, s[6:7]
	s_and_saveexec_b64 s[10:11], s[40:41]
	s_cbranch_execz .LBB55_15
; %bb.14:                               ;   in Loop: Header=BB55_13 Depth=1
	ds_write_b32 v14, v16
.LBB55_15:                              ;   in Loop: Header=BB55_13 Depth=1
	s_or_b64 exec, exec, s[10:11]
	s_xor_b64 s[6:7], s[6:7], -1
	s_and_saveexec_b64 s[10:11], s[6:7]
	s_cbranch_execz .LBB55_12
; %bb.16:                               ;   in Loop: Header=BB55_13 Depth=1
	global_load_dword v23, v[4:5], off
	s_waitcnt vmcnt(0)
	v_mad_i64_i32 v[24:25], s[6:7], v23, s45, 0
	v_lshl_add_u64 v[24:25], v[24:25], 1, v[2:3]
	global_load_ushort v23, v[24:25], off
	global_load_ushort v26, v[24:25], off offset:128
	global_load_ushort v27, v[24:25], off offset:256
	;; [unrolled: 1-line block ×7, first 2 shown]
	ds_read_u16 v24, v8
	s_waitcnt lgkmcnt(0)
	;;#ASMSTART
	v_cvt_f32_f16 v24, v24;
	;;#ASMEND
	v_cmp_lt_i32_e64 s[6:7], v19, v18
	s_waitcnt vmcnt(7)
	;;#ASMSTART
	v_cvt_f32_f16 v23, v23;
	;;#ASMEND
	ds_read_u16 v25, v8 offset:2
	s_waitcnt lgkmcnt(0)
	;;#ASMSTART
	v_cvt_f32_f16 v25, v25;
	;;#ASMEND
	s_waitcnt vmcnt(6)
	;;#ASMSTART
	v_cvt_f32_f16 v26, v26;
	;;#ASMEND
	ds_read_u16 v33, v8 offset:4
	v_mul_f32_e32 v25, v25, v26
	v_fmac_f32_e32 v25, v24, v23
	s_waitcnt lgkmcnt(0)
	;;#ASMSTART
	v_cvt_f32_f16 v33, v33;
	;;#ASMEND
	s_waitcnt vmcnt(5)
	;;#ASMSTART
	v_cvt_f32_f16 v27, v27;
	;;#ASMEND
	ds_read_u16 v34, v8 offset:6
	v_fmac_f32_e32 v25, v33, v27
	s_waitcnt lgkmcnt(0)
	;;#ASMSTART
	v_cvt_f32_f16 v34, v34;
	;;#ASMEND
	s_waitcnt vmcnt(4)
	;;#ASMSTART
	v_cvt_f32_f16 v28, v28;
	;;#ASMEND
	ds_read_u16 v35, v8 offset:8
	;; [unrolled: 10-line block ×3, first 2 shown]
	v_fmac_f32_e32 v25, v35, v29
	s_waitcnt lgkmcnt(0)
	;;#ASMSTART
	v_cvt_f32_f16 v36, v36;
	;;#ASMEND
	s_waitcnt vmcnt(2)
	;;#ASMSTART
	v_cvt_f32_f16 v30, v30;
	;;#ASMEND
	v_cndmask_b32_e64 v37, v17, v19, s[6:7]
	v_fmac_f32_e32 v25, v36, v30
	ds_read_u16 v38, v8 offset:12
	s_waitcnt lgkmcnt(0)
	;;#ASMSTART
	v_cvt_f32_f16 v23, v38;
	;;#ASMEND
	s_waitcnt vmcnt(1)
	;;#ASMSTART
	v_cvt_f32_f16 v24, v31;
	;;#ASMEND
	v_lshlrev_b32_e32 v37, 2, v37
	v_fmac_f32_e32 v25, v23, v24
	ds_read_u16 v26, v8 offset:14
	s_waitcnt lgkmcnt(0)
	;;#ASMSTART
	v_cvt_f32_f16 v23, v26;
	;;#ASMEND
	s_waitcnt vmcnt(0)
	;;#ASMSTART
	v_cvt_f32_f16 v24, v32;
	;;#ASMEND
	v_cmp_lt_i32_e64 s[6:7], v20, v18
	v_fmac_f32_e32 v25, v23, v24
	ds_bpermute_b32 v23, v37, v25
	v_cndmask_b32_e64 v24, v17, v20, s[6:7]
	v_lshlrev_b32_e32 v24, 2, v24
	v_cmp_lt_i32_e64 s[6:7], v21, v18
	s_waitcnt lgkmcnt(0)
	v_add_f32_e32 v23, v25, v23
	ds_bpermute_b32 v24, v24, v23
	v_cndmask_b32_e64 v25, v17, v21, s[6:7]
	s_waitcnt lgkmcnt(0)
	v_add_f32_e32 v23, v23, v24
	v_lshlrev_b32_e32 v24, 2, v25
	ds_bpermute_b32 v24, v24, v23
	s_and_saveexec_b64 s[40:41], vcc
	s_cbranch_execz .LBB55_11
; %bb.17:                               ;   in Loop: Header=BB55_13 Depth=1
	v_add_u32_e32 v25, v15, v13
	v_cvt_f32_i32_e32 v25, v25
	s_waitcnt lgkmcnt(0)
	v_add_f32_e32 v23, v23, v24
	v_add_u32_e32 v26, v7, v13
	v_cmp_gt_i32_e64 s[6:7], s21, v26
	v_mul_f32_e32 v24, s44, v25
	v_cndmask_b32_e64 v24, 0, v24, s[0:1]
	v_fmac_f32_e32 v24, s35, v23
	v_cndmask_b32_e64 v23, 0, v24, s[6:7]
	ds_write_b32 v14, v23
	v_max_f32_e32 v23, v9, v9
	v_max_f32_e32 v23, v23, v24
	v_cndmask_b32_e64 v9, v9, v23, s[6:7]
	s_branch .LBB55_11
.LBB55_18:
	s_or_b64 exec, exec, s[38:39]
.LBB55_19:
	s_or_b64 exec, exec, s[36:37]
	v_mbcnt_hi_u32_b32 v2, -1, v6
	v_and_b32_e32 v3, 64, v2
	v_add_u32_e32 v3, 64, v3
	v_xor_b32_e32 v4, 32, v2
	v_cmp_lt_i32_e32 vcc, v4, v3
	v_xor_b32_e32 v7, 16, v2
	v_max_f32_e32 v6, v9, v9
	v_cndmask_b32_e32 v4, v2, v4, vcc
	v_lshlrev_b32_e32 v5, 2, v4
	ds_bpermute_b32 v4, v5, v9
	v_cmp_lt_i32_e32 vcc, v7, v3
	v_xor_b32_e32 v8, 8, v2
	v_and_b32_e32 v13, 63, v0
	s_waitcnt lgkmcnt(0)
	v_max_f32_e32 v4, v4, v4
	v_max_f32_e32 v4, v6, v4
	v_cndmask_b32_e32 v6, v2, v7, vcc
	v_lshlrev_b32_e32 v7, 2, v6
	ds_bpermute_b32 v6, v7, v4
	v_cmp_lt_i32_e32 vcc, v8, v3
	s_waitcnt lgkmcnt(0)
	v_max_f32_e32 v6, v6, v6
	v_max_f32_e32 v6, v4, v6
	v_cndmask_b32_e32 v4, v2, v8, vcc
	v_lshlrev_b32_e32 v9, 2, v4
	ds_bpermute_b32 v8, v9, v6
	v_cmp_eq_u32_e32 vcc, 0, v13
	v_lshlrev_b32_e32 v4, 2, v1
	s_and_saveexec_b64 s[0:1], vcc
	s_cbranch_execz .LBB55_21
; %bb.20:
	s_waitcnt lgkmcnt(0)
	v_max_f32_e32 v8, v8, v8
	v_max_f32_e32 v6, v6, v6
	;; [unrolled: 1-line block ×3, first 2 shown]
	ds_write_b32 v4, v6 offset:128
.LBB55_21:
	s_or_b64 exec, exec, s[0:1]
	v_cmp_gt_u32_e64 s[0:1], 2, v13
	v_mov_b32_e32 v11, 0xff7fffff
	v_lshlrev_b32_e32 v6, 2, v13
	s_waitcnt lgkmcnt(0)
	s_barrier
	s_and_saveexec_b64 s[6:7], s[0:1]
	s_cbranch_execz .LBB55_23
; %bb.22:
	ds_read_b32 v11, v6 offset:128
.LBB55_23:
	s_or_b64 exec, exec, s[6:7]
	v_xor_b32_e32 v8, 1, v2
	v_cmp_lt_i32_e64 s[6:7], v8, v3
	v_lshlrev_b32_e32 v15, 2, v2
	s_nop 0
	v_cndmask_b32_e64 v8, v2, v8, s[6:7]
	v_lshlrev_b32_e32 v8, 2, v8
	s_waitcnt lgkmcnt(0)
	ds_bpermute_b32 v14, v8, v11
	v_max_f32_e32 v11, v11, v11
	s_lshl_b32 s6, s42, 3
	s_min_i32 s15, s6, s21
	v_cmp_gt_i32_e64 s[6:7], s15, v0
	s_waitcnt lgkmcnt(0)
	v_max_f32_e32 v14, v14, v14
	v_max_f32_e32 v14, v11, v14
	v_and_b32_e32 v11, 0x100, v15
	ds_bpermute_b32 v15, v11, v14
	v_mov_b32_e32 v14, 0
	s_and_saveexec_b64 s[34:35], s[6:7]
	s_cbranch_execz .LBB55_27
; %bb.24:
	v_mov_b32_e32 v14, 0x90
	v_lshl_add_u32 v16, v0, 2, v14
	s_mov_b64 s[36:37], 0
	v_mov_b32_e32 v14, 0
	v_mov_b32_e32 v17, v0
.LBB55_25:                              ; =>This Inner Loop Header: Depth=1
	ds_read_b32 v18, v16
	v_add_u32_e32 v17, 0x80, v17
	v_cmp_le_i32_e64 s[10:11], s15, v17
	s_or_b64 s[36:37], s[10:11], s[36:37]
	s_waitcnt lgkmcnt(0)
	v_sub_f32_e32 v18, v18, v15
	v_mul_f32_e32 v18, 0x3fb8aa3b, v18
	v_exp_f32_e32 v18, v18
	ds_write_b32 v16, v18
	v_add_f32_e32 v14, v14, v18
	v_add_u32_e32 v16, 0x200, v16
	s_andn2_b64 exec, exec, s[36:37]
	s_cbranch_execnz .LBB55_25
; %bb.26:
	s_or_b64 exec, exec, s[36:37]
.LBB55_27:
	s_or_b64 exec, exec, s[34:35]
	ds_bpermute_b32 v5, v5, v14
	s_waitcnt lgkmcnt(0)
	v_add_f32_e32 v5, v14, v5
	ds_bpermute_b32 v7, v7, v5
	s_waitcnt lgkmcnt(0)
	v_add_f32_e32 v5, v5, v7
	ds_bpermute_b32 v7, v9, v5
	v_xor_b32_e32 v9, 4, v2
	v_cmp_lt_i32_e64 s[10:11], v9, v3
	s_waitcnt lgkmcnt(0)
	v_add_f32_e32 v5, v5, v7
	v_cndmask_b32_e64 v9, v2, v9, s[10:11]
	v_lshlrev_b32_e32 v9, 2, v9
	ds_bpermute_b32 v7, v9, v5
	v_xor_b32_e32 v9, 2, v2
	v_cmp_lt_i32_e64 s[10:11], v9, v3
	s_waitcnt lgkmcnt(0)
	v_add_f32_e32 v3, v5, v7
	v_cndmask_b32_e64 v2, v2, v9, s[10:11]
	v_lshlrev_b32_e32 v2, 2, v2
	ds_bpermute_b32 v2, v2, v3
	s_waitcnt lgkmcnt(0)
	v_add_f32_e32 v2, v3, v2
	ds_bpermute_b32 v3, v8, v2
	s_waitcnt lgkmcnt(0)
	v_add_f32_e32 v2, v2, v3
	s_and_saveexec_b64 s[10:11], vcc
	s_cbranch_execz .LBB55_29
; %bb.28:
	ds_write_b32 v4, v2 offset:136
.LBB55_29:
	s_or_b64 exec, exec, s[10:11]
	s_waitcnt lgkmcnt(0)
	s_barrier
	s_and_saveexec_b64 s[10:11], s[0:1]
	s_cbranch_execz .LBB55_31
; %bb.30:
	ds_read_b32 v2, v6 offset:136
.LBB55_31:
	s_or_b64 exec, exec, s[10:11]
	s_waitcnt lgkmcnt(0)
	ds_bpermute_b32 v3, v8, v2
	s_waitcnt lgkmcnt(0)
	v_add_f32_e32 v2, v2, v3
	ds_bpermute_b32 v2, v11, v2
	s_and_saveexec_b64 s[0:1], s[6:7]
	s_cbranch_execz .LBB55_44
; %bb.32:
	s_waitcnt lgkmcnt(0)
	v_add_f32_e32 v2, 0x358637bd, v2
	v_div_scale_f32 v3, s[6:7], v2, v2, 1.0
	v_rcp_f32_e32 v4, v3
	v_div_scale_f32 v5, vcc, 1.0, v2, 1.0
	s_movk_i32 s6, 0x7f
	v_fma_f32 v6, -v3, v4, 1.0
	v_fmac_f32_e32 v4, v6, v4
	v_mul_f32_e32 v6, v5, v4
	v_fma_f32 v7, -v3, v6, v5
	v_fmac_f32_e32 v6, v7, v4
	v_fma_f32 v3, -v3, v6, v5
	v_div_fmas_f32 v3, v3, v4, v6
	v_xad_u32 v4, v0, -1, s15
	v_div_fixup_f32 v2, v3, v2, 1.0
	v_cmp_lt_u32_e32 vcc, s6, v4
	s_mov_b64 s[10:11], -1
	v_mov_b32_e32 v3, v0
	s_and_saveexec_b64 s[6:7], vcc
	s_cbranch_execz .LBB55_41
; %bb.33:
	v_lshrrev_b32_e32 v4, 7, v4
	v_add_u32_e32 v6, -1, v4
	v_lshrrev_b32_e32 v5, 1, v6
	v_mov_b32_e32 v3, v2
	v_add_u32_e32 v5, 1, v5
	v_cmp_lt_u32_e32 vcc, 13, v6
	v_mov_b32_e32 v8, 0
	s_and_saveexec_b64 s[10:11], vcc
	s_cbranch_execz .LBB55_37
; %bb.34:
	v_mov_b32_e32 v7, 0x90
	v_and_b32_e32 v6, -8, v5
	v_lshl_add_u32 v7, v0, 2, v7
	s_mov_b32 s36, 0
	s_mov_b64 s[34:35], 0
.LBB55_35:                              ; =>This Inner Loop Header: Depth=1
	ds_read2st64_b32 v[8:9], v7 offset1:2
	ds_read2st64_b32 v[14:15], v7 offset0:4 offset1:6
	ds_read2st64_b32 v[16:17], v7 offset0:8 offset1:10
	;; [unrolled: 1-line block ×3, first 2 shown]
	v_add_u32_e32 v6, -8, v6
	s_waitcnt lgkmcnt(3)
	v_pk_mul_f32 v[8:9], v[2:3], v[8:9]
	s_waitcnt lgkmcnt(2)
	v_pk_mul_f32 v[14:15], v[2:3], v[14:15]
	ds_write2st64_b32 v7, v8, v9 offset1:2
	ds_write2st64_b32 v7, v14, v15 offset0:4 offset1:6
	ds_read2st64_b32 v[14:15], v7 offset0:16 offset1:18
	s_waitcnt lgkmcnt(4)
	v_pk_mul_f32 v[8:9], v[2:3], v[16:17]
	ds_write2st64_b32 v7, v8, v9 offset0:8 offset1:10
	s_waitcnt lgkmcnt(4)
	v_pk_mul_f32 v[8:9], v[2:3], v[18:19]
	ds_write2st64_b32 v7, v8, v9 offset0:12 offset1:14
	ds_read2st64_b32 v[8:9], v7 offset0:20 offset1:22
	s_waitcnt lgkmcnt(3)
	v_pk_mul_f32 v[14:15], v[2:3], v[14:15]
	ds_read2st64_b32 v[16:17], v7 offset0:24 offset1:26
	ds_write2st64_b32 v7, v14, v15 offset0:16 offset1:18
	ds_read2st64_b32 v[14:15], v7 offset0:28 offset1:30
	s_waitcnt lgkmcnt(3)
	v_pk_mul_f32 v[8:9], v[2:3], v[8:9]
	ds_write2st64_b32 v7, v8, v9 offset0:20 offset1:22
	s_waitcnt lgkmcnt(3)
	v_pk_mul_f32 v[8:9], v[2:3], v[16:17]
	ds_write2st64_b32 v7, v8, v9 offset0:24 offset1:26
	s_waitcnt lgkmcnt(2)
	v_pk_mul_f32 v[8:9], v[2:3], v[14:15]
	s_add_i32 s36, s36, 16
	v_cmp_eq_u32_e32 vcc, 0, v6
	ds_write2st64_b32 v7, v8, v9 offset0:28 offset1:30
	v_add_u32_e32 v7, 0x2000, v7
	s_or_b64 s[34:35], vcc, s[34:35]
	v_mov_b32_e32 v8, s36
	s_andn2_b64 exec, exec, s[34:35]
	s_cbranch_execnz .LBB55_35
; %bb.36:
	s_or_b64 exec, exec, s[34:35]
.LBB55_37:
	s_or_b64 exec, exec, s[10:11]
	v_and_b32_e32 v5, 7, v5
	v_cmp_ne_u32_e32 vcc, 0, v5
	s_and_saveexec_b64 s[10:11], vcc
	s_cbranch_execz .LBB55_40
; %bb.38:
	v_lshlrev_b32_e32 v6, 9, v8
	v_lshlrev_b32_e32 v7, 2, v0
	s_movk_i32 s34, 0x90
	v_add3_u32 v6, v6, v7, s34
	s_mov_b64 s[34:35], 0
.LBB55_39:                              ; =>This Inner Loop Header: Depth=1
	ds_read2st64_b32 v[8:9], v6 offset1:2
	v_add_u32_e32 v5, -1, v5
	v_cmp_eq_u32_e32 vcc, 0, v5
	s_or_b64 s[34:35], vcc, s[34:35]
	s_waitcnt lgkmcnt(0)
	v_pk_mul_f32 v[8:9], v[2:3], v[8:9]
	ds_write2st64_b32 v6, v8, v9 offset1:2
	v_add_u32_e32 v6, 0x400, v6
	s_andn2_b64 exec, exec, s[34:35]
	s_cbranch_execnz .LBB55_39
.LBB55_40:
	s_or_b64 exec, exec, s[10:11]
	v_add_u32_e32 v4, 1, v4
	v_and_b32_e32 v5, 0x3fffffe, v4
	v_cmp_ne_u32_e32 vcc, v4, v5
	v_lshl_add_u32 v3, v5, 7, v0
	s_orn2_b64 s[10:11], vcc, exec
.LBB55_41:
	s_or_b64 exec, exec, s[6:7]
	s_and_b64 exec, exec, s[10:11]
	s_cbranch_execz .LBB55_44
; %bb.42:
	v_mov_b32_e32 v4, 0x90
	v_lshl_add_u32 v4, v3, 2, v4
	s_mov_b64 s[6:7], 0
.LBB55_43:                              ; =>This Inner Loop Header: Depth=1
	ds_read_b32 v5, v4
	v_add_u32_e32 v3, 0x80, v3
	v_cmp_le_i32_e32 vcc, s15, v3
	s_or_b64 s[6:7], vcc, s[6:7]
	s_waitcnt lgkmcnt(0)
	v_mul_f32_e32 v5, v2, v5
	ds_write_b32 v4, v5
	v_add_u32_e32 v4, 0x200, v4
	s_andn2_b64 exec, exec, s[6:7]
	s_cbranch_execnz .LBB55_43
.LBB55_44:
	s_or_b64 exec, exec, s[0:1]
	v_mov_b32_e32 v7, 0
	s_waitcnt lgkmcnt(0)
	s_barrier
	s_and_saveexec_b64 s[6:7], s[2:3]
	s_cbranch_execz .LBB55_52
; %bb.45:
	s_ashr_i32 s15, s14, 31
	s_sub_i32 s17, s43, s17
	s_lshl_b64 s[0:1], s[14:15], 1
	s_add_u32 s0, s30, s0
	s_addc_u32 s1, s31, s1
	s_abs_i32 s14, s18
	v_cvt_f32_u32_e32 v2, s14
	v_lshlrev_b32_e32 v6, 4, v13
	v_mov_b32_e32 v7, 0
	v_lshl_add_u64 v[8:9], s[0:1], 0, v[6:7]
	v_rcp_iflag_f32_e32 v2, v2
	s_sub_i32 s0, 0, s14
	s_add_i32 s15, s42, -1
	v_and_b32_e32 v6, 60, v10
	v_mul_f32_e32 v2, 0x4f7ffffe, v2
	v_cvt_u32_f32_e32 v2, v2
	s_mov_b32 s18, s21
	s_mov_b32 s30, s21
	;; [unrolled: 1-line block ×3, first 2 shown]
	v_mul_lo_u32 v3, s0, v2
	s_lshl_b64 s[0:1], s[28:29], 2
	v_mul_hi_u32 v3, v2, v3
	s_add_u32 s0, s26, s0
	v_add_u32_e32 v14, v2, v3
	s_addc_u32 s1, s27, s1
	v_mov_b32_e32 v2, 0x90
	s_mov_b32 s34, s21
	s_mov_b32 s35, s21
	;; [unrolled: 1-line block ×4, first 2 shown]
	v_lshl_add_u64 v[10:11], s[0:1], 0, v[6:7]
	v_lshl_add_u32 v6, v1, 5, v2
	s_mov_b64 s[2:3], 0
	s_mov_b32 s26, 0x5040100
	s_branch .LBB55_48
.LBB55_46:                              ;   in Loop: Header=BB55_48 Depth=1
	s_or_b64 exec, exec, s[10:11]
	v_and_b32_e32 v15, 0xffff, v15
	v_lshl_or_b32 v15, v16, 16, v15
	v_and_b32_e32 v16, 0xffff, v17
	v_lshl_or_b32 v16, v18, 16, v16
	v_and_b32_e32 v17, 0xffff, v19
	v_and_b32_e32 v18, 0xffff, v21
	s_waitcnt vmcnt(0)
	;;#ASMSTART
	v_pk_mul_f16 v2, v15, v2;

	;;#ASMEND
	v_lshl_or_b32 v17, v20, 16, v17
	v_lshl_or_b32 v18, v22, 16, v18
	;;#ASMSTART
	v_pk_mul_f16 v3, v16, v3;

	;;#ASMEND
	;;#ASMSTART
	v_pk_mul_f16 v4, v17, v4;

	;;#ASMEND
	;; [unrolled: 4-line block ×3, first 2 shown]
	s_nop 0
	;;#ASMSTART
	v_pk_add_f16 v2, v2, v3;

	;;#ASMEND
	s_nop 0
	;;#ASMSTART
	v_pk_add_f16 v2, v2, v4;

	;;#ASMEND
	;; [unrolled: 5-line block ×3, first 2 shown]
	s_nop 0
	v_lshrrev_b32_e32 v3, 16, v2
	v_and_b32_e32 v2, 0xffff, v2
	;;#ASMSTART
	v_cvt_f32_f16 v2, v2;
	;;#ASMEND
	;;#ASMSTART
	v_cvt_f32_f16 v3, v3;
	;;#ASMEND
	s_nop 0
	v_add_f32_e32 v2, v2, v3
	v_add_f32_e32 v7, v7, v2
.LBB55_47:                              ;   in Loop: Header=BB55_48 Depth=1
	s_or_b64 exec, exec, s[0:1]
	v_add_u32_e32 v1, 2, v1
	v_cmp_le_i32_e32 vcc, s42, v1
	v_lshl_add_u64 v[10:11], v[10:11], 0, 8
	v_add_u32_e32 v12, 16, v12
	s_or_b64 s[2:3], vcc, s[2:3]
	v_add_u32_e32 v6, 64, v6
	s_andn2_b64 exec, exec, s[2:3]
	s_cbranch_execz .LBB55_51
.LBB55_48:                              ; =>This Inner Loop Header: Depth=1
	v_mul_hi_u32 v2, v12, s23
	v_mul_lo_u32 v3, v2, s12
	v_sub_u32_e32 v3, v12, v3
	v_add_u32_e32 v4, 1, v2
	v_cmp_le_u32_e32 vcc, s12, v3
	s_nop 1
	v_cndmask_b32_e32 v2, v2, v4, vcc
	v_subrev_u32_e32 v4, s12, v3
	v_cndmask_b32_e32 v3, v3, v4, vcc
	v_add_u32_e32 v4, 1, v2
	v_cmp_le_u32_e32 vcc, s12, v3
	s_nop 1
	v_cndmask_b32_e32 v2, v2, v4, vcc
	v_xor_b32_e32 v2, s19, v2
	v_subrev_u32_e32 v2, s19, v2
	v_add_u32_e32 v3, s33, v2
	v_sub_u32_e32 v5, 0, v3
	v_ashrrev_i32_e32 v4, 31, v3
	v_max_i32_e32 v3, v3, v5
	v_mul_hi_u32 v5, v3, v14
	v_mul_lo_u32 v5, v5, s14
	v_sub_u32_e32 v3, v3, v5
	v_subrev_u32_e32 v5, s14, v3
	v_cmp_le_u32_e32 vcc, s14, v3
	v_cmp_lt_i32_e64 s[0:1], s17, v2
	s_nop 0
	v_cndmask_b32_e32 v3, v3, v5, vcc
	v_subrev_u32_e32 v5, s14, v3
	v_cmp_le_u32_e32 vcc, s14, v3
	s_nop 1
	v_cndmask_b32_e32 v3, v3, v5, vcc
	v_xor_b32_e32 v3, v3, v4
	v_sub_u32_e32 v3, v3, v4
	v_cmp_eq_u32_e32 vcc, 0, v3
	s_or_b64 s[10:11], vcc, s[0:1]
	s_and_saveexec_b64 s[0:1], s[10:11]
	s_cbranch_execz .LBB55_47
; %bb.49:                               ;   in Loop: Header=BB55_48 Depth=1
	global_load_dword v24, v[10:11], off
	ds_read2_b64 v[2:5], v6 offset1:1
	ds_read2_b64 v[20:23], v6 offset0:2 offset1:3
	v_cmp_eq_u32_e32 vcc, s15, v1
	s_waitcnt lgkmcnt(1)
	;;#ASMSTART
	v_cvt_f16_f32 v15, v2;

	;;#ASMEND
	;;#ASMSTART
	v_cvt_f16_f32 v16, v3;

	;;#ASMEND
	;; [unrolled: 4-line block ×4, first 2 shown]
	s_waitcnt lgkmcnt(0)
	;;#ASMSTART
	v_cvt_f16_f32 v19, v20;

	;;#ASMEND
	;;#ASMSTART
	v_cvt_f16_f32 v20, v21;

	;;#ASMEND
	;; [unrolled: 4-line block ×4, first 2 shown]
	s_waitcnt vmcnt(0)
	v_mad_i64_i32 v[2:3], s[10:11], v24, s13, 0
	v_lshl_add_u64 v[2:3], v[2:3], 1, v[8:9]
	global_load_dwordx4 v[2:5], v[2:3], off
	s_and_saveexec_b64 s[10:11], vcc
	s_cbranch_execz .LBB55_46
; %bb.50:                               ;   in Loop: Header=BB55_48 Depth=1
	v_or_b32_e32 v28, 7, v12
	v_or_b32_e32 v29, 6, v12
	s_waitcnt vmcnt(0)
	v_lshrrev_b32_e32 v30, 16, v5
	v_cmp_gt_i32_e32 vcc, s37, v28
	v_or_b32_e32 v26, 5, v12
	v_or_b32_e32 v27, 4, v12
	v_cndmask_b32_e32 v28, 0, v30, vcc
	v_cmp_gt_i32_e32 vcc, s36, v29
	v_or_b32_e32 v24, 3, v12
	v_or_b32_e32 v25, 2, v12
	v_cndmask_b32_e32 v5, 0, v5, vcc
	v_perm_b32 v5, v28, v5, s26
	v_lshrrev_b32_e32 v28, 16, v4
	v_cmp_gt_i32_e32 vcc, s35, v26
	v_add_u32_e32 v23, 1, v12
	s_nop 0
	v_cndmask_b32_e32 v26, 0, v28, vcc
	v_cmp_gt_i32_e32 vcc, s34, v27
	s_nop 1
	v_cndmask_b32_e32 v4, 0, v4, vcc
	v_perm_b32 v4, v26, v4, s26
	v_lshrrev_b32_e32 v26, 16, v3
	v_cmp_gt_i32_e32 vcc, s31, v24
	s_nop 1
	v_cndmask_b32_e32 v24, 0, v26, vcc
	v_cmp_gt_i32_e32 vcc, s30, v25
	s_nop 1
	v_cndmask_b32_e32 v3, 0, v3, vcc
	v_perm_b32 v3, v24, v3, s26
	v_lshrrev_b32_e32 v24, 16, v2
	v_cmp_gt_i32_e32 vcc, s18, v23
	s_nop 1
	v_cndmask_b32_e32 v23, 0, v24, vcc
	v_cmp_gt_i32_e32 vcc, s21, v12
	s_nop 1
	v_cndmask_b32_e32 v2, 0, v2, vcc
	v_perm_b32 v2, v23, v2, s26
	s_branch .LBB55_46
.LBB55_51:
	s_or_b64 exec, exec, s[2:3]
.LBB55_52:
	s_or_b64 exec, exec, s[6:7]
	v_and_b32_e32 v0, 0x3c0, v0
	v_cmp_eq_u32_e32 vcc, 64, v0
	s_barrier
	s_and_saveexec_b64 s[0:1], vcc
	s_cbranch_execz .LBB55_54
; %bb.53:
	v_mov_b32_e32 v0, 0x90
	v_lshl_add_u32 v0, v13, 2, v0
	ds_write_b32 v0, v7
.LBB55_54:
	s_or_b64 exec, exec, s[0:1]
	s_waitcnt lgkmcnt(0)
	s_barrier
	s_and_saveexec_b64 s[0:1], s[8:9]
	s_cbranch_execz .LBB55_56
; %bb.55:
	v_mov_b32_e32 v0, 0x90
	v_lshl_add_u32 v0, v13, 2, v0
	ds_read_b32 v0, v0
	s_waitcnt lgkmcnt(0)
	v_add_f32_e32 v7, v7, v0
.LBB55_56:
	s_or_b64 exec, exec, s[0:1]
	s_barrier
	s_and_saveexec_b64 s[0:1], s[8:9]
	s_cbranch_execz .LBB55_58
; %bb.57:
	s_mul_i32 s0, s20, s16
	s_mul_i32 s0, s0, s5
	s_lshl_b32 s0, s0, 6
	s_ashr_i32 s1, s0, 31
	s_lshl_b64 s[0:1], s[0:1], 1
	s_add_u32 s2, s24, s0
	s_mul_i32 s0, s16, s22
	s_addc_u32 s3, s25, s1
	s_ashr_i32 s1, s0, 31
	s_lshl_b64 s[0:1], s[0:1], 1
	s_add_u32 s2, s2, s0
	s_addc_u32 s3, s3, s1
	s_lshl_b32 s0, s4, 6
	s_ashr_i32 s1, s0, 31
	s_lshl_b64 s[0:1], s[0:1], 1
	s_add_u32 s0, s2, s0
	s_addc_u32 s1, s3, s1
	v_lshlrev_b32_e32 v0, 1, v13
	;;#ASMSTART
	v_cvt_f16_f32 v1, v7;

	;;#ASMEND
	global_store_short v0, v1, s[0:1]
.LBB55_58:
	s_endpgm
	.section	.rodata,"a",@progbits
	.p2align	6, 0x0
	.amdhsa_kernel _ZN4vllm25paged_attention_v1_kernelIttLi64ELi8ELi128ELNS_18Fp8KVCacheDataTypeE0ELb1EEEvPT_PKS2_PKT0_S8_ifPKiSA_iPKfiiiSC_SC_iiiii
		.amdhsa_group_segment_fixed_size 144
		.amdhsa_private_segment_fixed_size 0
		.amdhsa_kernarg_size 384
		.amdhsa_user_sgpr_count 2
		.amdhsa_user_sgpr_dispatch_ptr 0
		.amdhsa_user_sgpr_queue_ptr 0
		.amdhsa_user_sgpr_kernarg_segment_ptr 1
		.amdhsa_user_sgpr_dispatch_id 0
		.amdhsa_user_sgpr_kernarg_preload_length 0
		.amdhsa_user_sgpr_kernarg_preload_offset 0
		.amdhsa_user_sgpr_private_segment_size 0
		.amdhsa_uses_dynamic_stack 0
		.amdhsa_enable_private_segment 0
		.amdhsa_system_sgpr_workgroup_id_x 1
		.amdhsa_system_sgpr_workgroup_id_y 1
		.amdhsa_system_sgpr_workgroup_id_z 1
		.amdhsa_system_sgpr_workgroup_info 0
		.amdhsa_system_vgpr_workitem_id 0
		.amdhsa_next_free_vgpr 39
		.amdhsa_next_free_sgpr 46
		.amdhsa_accum_offset 40
		.amdhsa_reserve_vcc 1
		.amdhsa_float_round_mode_32 0
		.amdhsa_float_round_mode_16_64 0
		.amdhsa_float_denorm_mode_32 3
		.amdhsa_float_denorm_mode_16_64 3
		.amdhsa_dx10_clamp 1
		.amdhsa_ieee_mode 1
		.amdhsa_fp16_overflow 0
		.amdhsa_tg_split 0
		.amdhsa_exception_fp_ieee_invalid_op 0
		.amdhsa_exception_fp_denorm_src 0
		.amdhsa_exception_fp_ieee_div_zero 0
		.amdhsa_exception_fp_ieee_overflow 0
		.amdhsa_exception_fp_ieee_underflow 0
		.amdhsa_exception_fp_ieee_inexact 0
		.amdhsa_exception_int_div_zero 0
	.end_amdhsa_kernel
	.section	.text._ZN4vllm25paged_attention_v1_kernelIttLi64ELi8ELi128ELNS_18Fp8KVCacheDataTypeE0ELb1EEEvPT_PKS2_PKT0_S8_ifPKiSA_iPKfiiiSC_SC_iiiii,"axG",@progbits,_ZN4vllm25paged_attention_v1_kernelIttLi64ELi8ELi128ELNS_18Fp8KVCacheDataTypeE0ELb1EEEvPT_PKS2_PKT0_S8_ifPKiSA_iPKfiiiSC_SC_iiiii,comdat
.Lfunc_end55:
	.size	_ZN4vllm25paged_attention_v1_kernelIttLi64ELi8ELi128ELNS_18Fp8KVCacheDataTypeE0ELb1EEEvPT_PKS2_PKT0_S8_ifPKiSA_iPKfiiiSC_SC_iiiii, .Lfunc_end55-_ZN4vllm25paged_attention_v1_kernelIttLi64ELi8ELi128ELNS_18Fp8KVCacheDataTypeE0ELb1EEEvPT_PKS2_PKT0_S8_ifPKiSA_iPKfiiiSC_SC_iiiii
                                        ; -- End function
	.section	.AMDGPU.csdata,"",@progbits
; Kernel info:
; codeLenInByte = 4332
; NumSgprs: 52
; NumVgprs: 39
; NumAgprs: 0
; TotalNumVgprs: 39
; ScratchSize: 0
; MemoryBound: 0
; FloatMode: 240
; IeeeMode: 1
; LDSByteSize: 144 bytes/workgroup (compile time only)
; SGPRBlocks: 6
; VGPRBlocks: 4
; NumSGPRsForWavesPerEU: 52
; NumVGPRsForWavesPerEU: 39
; AccumOffset: 40
; Occupancy: 8
; WaveLimiterHint : 1
; COMPUTE_PGM_RSRC2:SCRATCH_EN: 0
; COMPUTE_PGM_RSRC2:USER_SGPR: 2
; COMPUTE_PGM_RSRC2:TRAP_HANDLER: 0
; COMPUTE_PGM_RSRC2:TGID_X_EN: 1
; COMPUTE_PGM_RSRC2:TGID_Y_EN: 1
; COMPUTE_PGM_RSRC2:TGID_Z_EN: 1
; COMPUTE_PGM_RSRC2:TIDIG_COMP_CNT: 0
; COMPUTE_PGM_RSRC3_GFX90A:ACCUM_OFFSET: 9
; COMPUTE_PGM_RSRC3_GFX90A:TG_SPLIT: 0
	.section	.text._ZN4vllm25paged_attention_v1_kernelIttLi80ELi8ELi128ELNS_18Fp8KVCacheDataTypeE0ELb1EEEvPT_PKS2_PKT0_S8_ifPKiSA_iPKfiiiSC_SC_iiiii,"axG",@progbits,_ZN4vllm25paged_attention_v1_kernelIttLi80ELi8ELi128ELNS_18Fp8KVCacheDataTypeE0ELb1EEEvPT_PKS2_PKT0_S8_ifPKiSA_iPKfiiiSC_SC_iiiii,comdat
	.protected	_ZN4vllm25paged_attention_v1_kernelIttLi80ELi8ELi128ELNS_18Fp8KVCacheDataTypeE0ELb1EEEvPT_PKS2_PKT0_S8_ifPKiSA_iPKfiiiSC_SC_iiiii ; -- Begin function _ZN4vllm25paged_attention_v1_kernelIttLi80ELi8ELi128ELNS_18Fp8KVCacheDataTypeE0ELb1EEEvPT_PKS2_PKT0_S8_ifPKiSA_iPKfiiiSC_SC_iiiii
	.globl	_ZN4vllm25paged_attention_v1_kernelIttLi80ELi8ELi128ELNS_18Fp8KVCacheDataTypeE0ELb1EEEvPT_PKS2_PKT0_S8_ifPKiSA_iPKfiiiSC_SC_iiiii
	.p2align	8
	.type	_ZN4vllm25paged_attention_v1_kernelIttLi80ELi8ELi128ELNS_18Fp8KVCacheDataTypeE0ELb1EEEvPT_PKS2_PKT0_S8_ifPKiSA_iPKfiiiSC_SC_iiiii,@function
_ZN4vllm25paged_attention_v1_kernelIttLi80ELi8ELi128ELNS_18Fp8KVCacheDataTypeE0ELb1EEEvPT_PKS2_PKT0_S8_ifPKiSA_iPKfiiiSC_SC_iiiii: ; @_ZN4vllm25paged_attention_v1_kernelIttLi80ELi8ELi128ELNS_18Fp8KVCacheDataTypeE0ELb1EEEvPT_PKS2_PKT0_S8_ifPKiSA_iPKfiiiSC_SC_iiiii
; %bb.0:
	s_load_dword s5, s[0:1], 0x80
	s_load_dwordx2 s[6:7], s[0:1], 0x30
	s_load_dwordx2 s[34:35], s[0:1], 0x20
	s_mov_b32 s20, s3
	s_ashr_i32 s21, s3, 31
	s_lshl_b64 s[8:9], s[20:21], 2
	s_waitcnt lgkmcnt(0)
	s_add_u32 s6, s6, s8
	s_addc_u32 s7, s7, s9
	s_abs_i32 s3, s34
	v_cvt_f32_u32_e32 v1, s3
	s_sub_i32 s10, 0, s3
	s_abs_i32 s9, s5
	s_xor_b32 s8, s5, s34
	v_rcp_iflag_f32_e32 v1, v1
	s_ashr_i32 s8, s8, 31
	s_mov_b32 s45, 0
	v_mul_f32_e32 v1, 0x4f7ffffe, v1
	v_cvt_u32_f32_e32 v1, v1
	s_nop 0
	v_readfirstlane_b32 s11, v1
	s_mul_i32 s10, s10, s11
	s_mul_hi_u32 s10, s11, s10
	s_add_i32 s11, s11, s10
	s_mul_hi_u32 s10, s9, s11
	s_mul_i32 s11, s10, s3
	s_sub_i32 s9, s9, s11
	s_add_i32 s11, s10, 1
	s_sub_i32 s12, s9, s3
	s_cmp_ge_u32 s9, s3
	s_cselect_b32 s10, s11, s10
	s_cselect_b32 s9, s12, s9
	s_add_i32 s11, s10, 1
	s_cmp_ge_u32 s9, s3
	s_cselect_b32 s3, s11, s10
	s_xor_b32 s3, s3, s8
	s_sub_i32 s12, s3, s8
	s_abs_i32 s10, s12
	v_cvt_f32_u32_e32 v1, s10
	s_load_dwordx2 s[8:9], s[0:1], 0x40
	s_sub_i32 s3, 0, s10
	s_abs_i32 s11, s2
	v_rcp_iflag_f32_e32 v1, v1
	s_nop 0
	v_mul_f32_e32 v1, 0x4f7ffffe, v1
	v_cvt_u32_f32_e32 v1, v1
	s_nop 0
	v_readfirstlane_b32 s13, v1
	s_mul_i32 s3, s3, s13
	s_mul_hi_u32 s3, s13, s3
	s_add_i32 s13, s13, s3
	s_waitcnt lgkmcnt(0)
	s_cmp_eq_u64 s[8:9], 0
	s_mul_hi_u32 s24, s11, s13
	s_cbranch_scc1 .LBB56_2
; %bb.1:
	s_ashr_i32 s3, s2, 31
	s_lshl_b64 s[14:15], s[2:3], 2
	s_add_u32 s8, s8, s14
	s_addc_u32 s9, s9, s15
	s_load_dword s45, s[8:9], 0x0
.LBB56_2:
	s_load_dword s21, s[6:7], 0x0
	s_ashr_i32 s26, s12, 31
	s_load_dwordx4 s[12:15], s[0:1], 0x48
	s_movk_i32 s3, 0x50
	s_ashr_i32 s25, s2, 31
	v_and_b32_e32 v4, 7, v0
	s_mul_i32 s22, s2, 0x50
	v_cmp_gt_u32_e64 s[8:9], s3, v0
	v_lshlrev_b32_e32 v6, 1, v0
	s_and_saveexec_b64 s[6:7], s[8:9]
	s_cbranch_execz .LBB56_4
; %bb.3:
	s_load_dwordx2 s[16:17], s[0:1], 0x8
	s_waitcnt lgkmcnt(0)
	s_mul_i32 s18, s20, s12
	s_ashr_i32 s19, s18, 31
	s_lshl_b64 s[18:19], s[18:19], 1
	v_lshrrev_b32_e32 v2, 2, v0
	s_add_u32 s3, s16, s18
	s_addc_u32 s12, s17, s19
	s_ashr_i32 s23, s22, 31
	s_lshl_b64 s[16:17], s[22:23], 1
	s_add_u32 s16, s3, s16
	s_addc_u32 s17, s12, s17
	global_load_ushort v1, v6, s[16:17]
	v_and_b32_e32 v2, 0xfe, v2
	v_mad_u32_u24 v2, v4, 20, v2
	s_waitcnt vmcnt(0)
	ds_write_b16 v2, v1
.LBB56_4:
	s_or_b64 exec, exec, s[6:7]
	s_mul_i32 s7, s24, s10
	s_sub_i32 s7, s11, s7
	s_xor_b32 s6, s25, s26
	s_add_i32 s11, s24, 1
	s_waitcnt lgkmcnt(0)
	s_sub_i32 s12, s7, s10
	s_load_dwordx4 s[16:19], s[0:1], 0x68
	s_load_dword s3, s[0:1], 0x78
	s_cmp_ge_u32 s7, s10
	s_cselect_b32 s11, s11, s24
	s_cselect_b32 s7, s12, s7
	s_add_i32 s12, s11, 1
	s_cmp_ge_u32 s7, s10
	s_cselect_b32 s7, s12, s11
	s_waitcnt lgkmcnt(0)
	s_abs_i32 s23, s19
	v_cvt_f32_u32_e32 v1, s23
	s_xor_b32 s7, s7, s6
	s_sub_i32 s10, s7, s6
	s_sub_i32 s6, 0, s23
	v_rcp_iflag_f32_e32 v1, v1
	s_add_i32 s15, s21, -1
	s_abs_i32 s11, s15
	v_mul_f32_e32 v1, 0x4f7ffffe, v1
	v_cvt_u32_f32_e32 v1, v1
	s_barrier
	v_readfirstlane_b32 s33, v1
	s_mul_i32 s6, s6, s33
	s_mul_hi_u32 s6, s33, s6
	s_add_i32 s33, s33, s6
	s_cmp_lt_i32 s3, 0
	s_mul_hi_u32 s12, s11, s33
	s_cbranch_scc0 .LBB56_6
; %bb.5:
	s_mul_i32 s6, s16, s34
	s_add_i32 s6, s10, s6
	s_mul_i32 s6, s6, s3
	s_sub_i32 s42, 1, s6
	s_mov_b64 s[6:7], 0
	s_branch .LBB56_7
.LBB56_6:
	s_mov_b64 s[6:7], -1
                                        ; implicit-def: $sgpr42
.LBB56_7:
	s_load_dwordx2 s[26:27], s[0:1], 0x28
	s_ashr_i32 s15, s15, 31
	s_andn2_b64 vcc, exec, s[6:7]
	s_ashr_i32 s43, s19, 31
	s_cbranch_vccnz .LBB56_9
; %bb.8:
	s_mul_i32 s6, s5, s16
	s_add_i32 s2, s6, s2
	s_mul_i32 s2, s2, s3
	s_add_i32 s42, s2, 1
.LBB56_9:
	s_load_dword s2, s[0:1], 0x38
	s_load_dwordx2 s[24:25], s[0:1], 0x0
	s_load_dwordx2 s[30:31], s[0:1], 0x18
	s_load_dword s19, s[0:1], 0x88
	s_xor_b32 s3, s15, s43
	s_waitcnt lgkmcnt(0)
	s_mul_i32 s28, s20, s2
	s_mul_i32 s2, s12, s23
	s_sub_i32 s2, s11, s2
	s_ashr_i32 s29, s28, 31
	s_add_i32 s6, s12, 1
	s_sub_i32 s7, s2, s23
	s_cmp_ge_u32 s2, s23
	s_cselect_b32 s6, s6, s12
	s_cselect_b32 s2, s7, s2
	s_add_i32 s7, s6, 1
	s_cmp_ge_u32 s2, s23
	s_cselect_b32 s2, s7, s6
	s_xor_b32 s2, s2, s3
	s_sub_i32 s12, s2, s3
	s_add_i32 s2, s21, 7
	s_ashr_i32 s3, s2, 31
	s_lshr_b32 s3, s3, 29
	s_add_i32 s2, s2, s3
	s_ashr_i32 s44, s2, 3
	v_lshrrev_b32_e32 v1, 6, v0
	v_cmp_gt_i32_e64 s[2:3], s44, v1
	v_mov_b32_e32 v12, 0xff7fffff
	s_mul_i32 s14, s10, s14
	v_lshrrev_b32_e32 v10, 4, v0
	v_lshlrev_b32_e32 v7, 3, v1
	v_mbcnt_lo_u32_b32 v8, -1, 0
	s_and_saveexec_b64 s[36:37], s[2:3]
	s_cbranch_execz .LBB56_19
; %bb.10:
	s_load_dwordx2 s[0:1], s[0:1], 0x10
	s_ashr_i32 s15, s14, 31
	s_sub_i32 s16, s12, s17
	s_lshl_b64 s[6:7], s[14:15], 1
	v_bfe_u32 v9, v0, 3, 3
	s_waitcnt lgkmcnt(0)
	s_add_u32 s0, s0, s6
	s_addc_u32 s1, s1, s7
	s_abs_i32 s15, s18
	v_cvt_f32_u32_e32 v2, s15
	v_lshlrev_b32_e32 v14, 4, v9
	v_mov_b32_e32 v15, 0
	s_sub_i32 s6, 0, s15
	v_rcp_iflag_f32_e32 v5, v2
	v_cmp_eq_u32_e32 vcc, 0, v4
	v_lshl_add_u64 v[2:3], s[0:1], 0, v[14:15]
	v_lshlrev_b32_e32 v14, 1, v4
	v_mul_f32_e32 v5, 0x4f7ffffe, v5
	v_cvt_u32_f32_e32 v5, v5
	v_mul_u32_u24_e32 v11, 20, v4
	v_lshlrev_b32_e32 v12, 2, v9
	v_lshl_add_u64 v[2:3], v[2:3], 0, v[14:15]
	v_mul_lo_u32 v4, s6, v5
	s_lshl_b64 s[6:7], s[28:29], 2
	s_add_u32 s6, s26, s6
	v_mul_hi_u32 v4, v5, v4
	v_and_b32_e32 v14, 60, v10
	s_addc_u32 s7, s27, s7
	v_lshl_or_b32 v12, v1, 5, v12
	v_add_u32_e32 v13, v5, v4
	v_lshl_add_u64 v[4:5], s[6:7], 0, v[14:15]
	v_add_u32_e32 v15, 0xb0, v12
	v_subrev_u32_e32 v12, s21, v9
	v_mbcnt_hi_u32_b32 v18, -1, v8
	v_add_u32_e32 v16, 1, v12
	v_and_b32_e32 v12, 64, v18
	s_mov_b32 s34, s13
	v_cmp_neq_f32_e64 s[0:1], s45, 0
	v_lshlrev_b32_e32 v14, 3, v1
	s_mov_b64 s[38:39], 0
	v_mov_b32_e32 v17, 0xff7fffff
	v_add_u32_e32 v19, 64, v12
	v_xor_b32_e32 v20, 4, v18
	v_xor_b32_e32 v21, 2, v18
	;; [unrolled: 1-line block ×3, first 2 shown]
	v_mov_b32_e32 v12, 0xff7fffff
	v_mov_b32_e32 v23, v1
	s_branch .LBB56_13
.LBB56_11:                              ;   in Loop: Header=BB56_13 Depth=1
	s_or_b64 exec, exec, s[40:41]
.LBB56_12:                              ;   in Loop: Header=BB56_13 Depth=1
	s_or_b64 exec, exec, s[10:11]
	v_add_u32_e32 v23, 2, v23
	v_cmp_le_i32_e64 s[6:7], s44, v23
	v_lshl_add_u64 v[4:5], v[4:5], 0, 8
	v_add_u32_e32 v14, 16, v14
	s_or_b64 s[38:39], s[6:7], s[38:39]
	v_add_u32_e32 v15, 64, v15
	s_andn2_b64 exec, exec, s[38:39]
	s_cbranch_execz .LBB56_18
.LBB56_13:                              ; =>This Inner Loop Header: Depth=1
	v_mul_hi_u32 v24, v14, s33
	s_waitcnt lgkmcnt(0)
	v_mul_lo_u32 v25, v24, s23
	v_sub_u32_e32 v25, v14, v25
	v_add_u32_e32 v26, 1, v24
	v_cmp_le_u32_e64 s[6:7], s23, v25
	s_nop 1
	v_cndmask_b32_e64 v24, v24, v26, s[6:7]
	v_subrev_u32_e32 v26, s23, v25
	v_cndmask_b32_e64 v25, v25, v26, s[6:7]
	v_add_u32_e32 v26, 1, v24
	v_cmp_le_u32_e64 s[6:7], s23, v25
	s_nop 1
	v_cndmask_b32_e64 v24, v24, v26, s[6:7]
	v_xor_b32_e32 v24, s43, v24
	v_subrev_u32_e32 v24, s43, v24
	v_add_u32_e32 v25, s42, v24
	v_sub_u32_e32 v27, 0, v25
	v_ashrrev_i32_e32 v26, 31, v25
	v_max_i32_e32 v25, v25, v27
	v_mul_hi_u32 v27, v25, v13
	v_mul_lo_u32 v27, v27, s15
	v_sub_u32_e32 v25, v25, v27
	v_subrev_u32_e32 v27, s15, v25
	v_cmp_le_u32_e64 s[6:7], s15, v25
	v_cmp_ge_i32_e64 s[10:11], s16, v24
	s_nop 0
	v_cndmask_b32_e64 v25, v25, v27, s[6:7]
	v_subrev_u32_e32 v27, s15, v25
	v_cmp_le_u32_e64 s[6:7], s15, v25
	s_nop 1
	v_cndmask_b32_e64 v25, v25, v27, s[6:7]
	v_xor_b32_e32 v25, v25, v26
	v_sub_u32_e32 v25, v25, v26
	v_cmp_ne_u32_e64 s[6:7], 0, v25
	s_and_b64 s[6:7], s[6:7], s[10:11]
	s_and_b64 s[40:41], vcc, s[6:7]
	s_and_saveexec_b64 s[10:11], s[40:41]
	s_cbranch_execz .LBB56_15
; %bb.14:                               ;   in Loop: Header=BB56_13 Depth=1
	ds_write_b32 v15, v17
.LBB56_15:                              ;   in Loop: Header=BB56_13 Depth=1
	s_or_b64 exec, exec, s[10:11]
	s_xor_b64 s[6:7], s[6:7], -1
	s_and_saveexec_b64 s[10:11], s[6:7]
	s_cbranch_execz .LBB56_12
; %bb.16:                               ;   in Loop: Header=BB56_13 Depth=1
	global_load_dword v24, v[4:5], off
	s_waitcnt vmcnt(0)
	v_mad_i64_i32 v[24:25], s[6:7], v24, s34, 0
	v_lshl_add_u64 v[24:25], v[24:25], 1, v[2:3]
	global_load_ushort v26, v[24:25], off
	global_load_ushort v27, v[24:25], off offset:128
	global_load_ushort v28, v[24:25], off offset:256
	;; [unrolled: 1-line block ×9, first 2 shown]
	ds_read_u16 v24, v11
	s_waitcnt lgkmcnt(0)
	;;#ASMSTART
	v_cvt_f32_f16 v24, v24;
	;;#ASMEND
	v_cmp_lt_i32_e64 s[6:7], v20, v19
	s_waitcnt vmcnt(9)
	;;#ASMSTART
	v_cvt_f32_f16 v25, v26;
	;;#ASMEND
	ds_read_u16 v26, v11 offset:2
	s_waitcnt lgkmcnt(0)
	;;#ASMSTART
	v_cvt_f32_f16 v26, v26;
	;;#ASMEND
	s_waitcnt vmcnt(8)
	;;#ASMSTART
	v_cvt_f32_f16 v27, v27;
	;;#ASMEND
	ds_read_u16 v36, v11 offset:4
	v_mul_f32_e32 v26, v26, v27
	v_fmac_f32_e32 v26, v24, v25
	s_waitcnt lgkmcnt(0)
	;;#ASMSTART
	v_cvt_f32_f16 v36, v36;
	;;#ASMEND
	s_waitcnt vmcnt(7)
	;;#ASMSTART
	v_cvt_f32_f16 v28, v28;
	;;#ASMEND
	ds_read_u16 v37, v11 offset:6
	v_fmac_f32_e32 v26, v36, v28
	s_waitcnt lgkmcnt(0)
	;;#ASMSTART
	v_cvt_f32_f16 v37, v37;
	;;#ASMEND
	s_waitcnt vmcnt(6)
	;;#ASMSTART
	v_cvt_f32_f16 v29, v29;
	;;#ASMEND
	ds_read_u16 v38, v11 offset:8
	;; [unrolled: 10-line block ×5, first 2 shown]
	v_fmac_f32_e32 v26, v40, v32
	s_waitcnt lgkmcnt(0)
	;;#ASMSTART
	v_cvt_f32_f16 v27, v41;
	;;#ASMEND
	s_waitcnt vmcnt(2)
	;;#ASMSTART
	v_cvt_f32_f16 v33, v33;
	;;#ASMEND
	v_cndmask_b32_e64 v42, v18, v20, s[6:7]
	v_fmac_f32_e32 v26, v27, v33
	ds_read_u16 v41, v11 offset:16
	s_waitcnt lgkmcnt(0)
	;;#ASMSTART
	v_cvt_f32_f16 v24, v41;
	;;#ASMEND
	s_waitcnt vmcnt(1)
	;;#ASMSTART
	v_cvt_f32_f16 v25, v34;
	;;#ASMEND
	v_lshlrev_b32_e32 v42, 2, v42
	v_fmac_f32_e32 v26, v24, v25
	ds_read_u16 v28, v11 offset:18
	s_waitcnt lgkmcnt(0)
	;;#ASMSTART
	v_cvt_f32_f16 v24, v28;
	;;#ASMEND
	s_waitcnt vmcnt(0)
	;;#ASMSTART
	v_cvt_f32_f16 v25, v35;
	;;#ASMEND
	v_cmp_lt_i32_e64 s[6:7], v21, v19
	v_fmac_f32_e32 v26, v24, v25
	ds_bpermute_b32 v24, v42, v26
	v_cndmask_b32_e64 v25, v18, v21, s[6:7]
	v_lshlrev_b32_e32 v25, 2, v25
	v_cmp_lt_i32_e64 s[6:7], v22, v19
	s_waitcnt lgkmcnt(0)
	v_add_f32_e32 v24, v26, v24
	ds_bpermute_b32 v25, v25, v24
	v_cndmask_b32_e64 v26, v18, v22, s[6:7]
	s_waitcnt lgkmcnt(0)
	v_add_f32_e32 v24, v24, v25
	v_lshlrev_b32_e32 v25, 2, v26
	ds_bpermute_b32 v25, v25, v24
	s_and_saveexec_b64 s[40:41], vcc
	s_cbranch_execz .LBB56_11
; %bb.17:                               ;   in Loop: Header=BB56_13 Depth=1
	v_add_u32_e32 v26, v16, v14
	v_cvt_f32_i32_e32 v26, v26
	s_waitcnt lgkmcnt(0)
	v_add_f32_e32 v24, v24, v25
	v_add_u32_e32 v27, v9, v14
	v_cmp_gt_i32_e64 s[6:7], s21, v27
	v_mul_f32_e32 v25, s45, v26
	v_cndmask_b32_e64 v25, 0, v25, s[0:1]
	v_fmac_f32_e32 v25, s35, v24
	v_cndmask_b32_e64 v24, 0, v25, s[6:7]
	ds_write_b32 v15, v24
	v_max_f32_e32 v24, v12, v12
	v_max_f32_e32 v24, v24, v25
	v_cndmask_b32_e64 v12, v12, v24, s[6:7]
	s_branch .LBB56_11
.LBB56_18:
	s_or_b64 exec, exec, s[38:39]
.LBB56_19:
	s_or_b64 exec, exec, s[36:37]
	v_mbcnt_hi_u32_b32 v2, -1, v8
	v_and_b32_e32 v3, 64, v2
	v_add_u32_e32 v3, 64, v3
	v_xor_b32_e32 v4, 32, v2
	v_cmp_lt_i32_e32 vcc, v4, v3
	v_xor_b32_e32 v9, 16, v2
	v_max_f32_e32 v8, v12, v12
	v_cndmask_b32_e32 v4, v2, v4, vcc
	v_lshlrev_b32_e32 v5, 2, v4
	ds_bpermute_b32 v4, v5, v12
	v_cmp_lt_i32_e32 vcc, v9, v3
	v_xor_b32_e32 v11, 8, v2
	v_and_b32_e32 v18, 63, v0
	s_waitcnt lgkmcnt(0)
	v_max_f32_e32 v4, v4, v4
	v_max_f32_e32 v4, v8, v4
	v_cndmask_b32_e32 v8, v2, v9, vcc
	v_lshlrev_b32_e32 v9, 2, v8
	ds_bpermute_b32 v8, v9, v4
	v_cmp_lt_i32_e32 vcc, v11, v3
	s_waitcnt lgkmcnt(0)
	v_max_f32_e32 v8, v8, v8
	v_max_f32_e32 v8, v4, v8
	v_cndmask_b32_e32 v4, v2, v11, vcc
	v_lshlrev_b32_e32 v12, 2, v4
	ds_bpermute_b32 v11, v12, v8
	v_cmp_eq_u32_e32 vcc, 0, v18
	v_lshlrev_b32_e32 v4, 2, v1
	s_and_saveexec_b64 s[0:1], vcc
	s_cbranch_execz .LBB56_21
; %bb.20:
	s_waitcnt lgkmcnt(0)
	v_max_f32_e32 v11, v11, v11
	v_max_f32_e32 v8, v8, v8
	v_max_f32_e32 v8, v8, v11
	ds_write_b32 v4, v8 offset:160
.LBB56_21:
	s_or_b64 exec, exec, s[0:1]
	v_cmp_gt_u32_e64 s[0:1], 2, v18
	v_mov_b32_e32 v13, 0xff7fffff
	v_lshlrev_b32_e32 v8, 2, v18
	s_waitcnt lgkmcnt(0)
	s_barrier
	s_and_saveexec_b64 s[6:7], s[0:1]
	s_cbranch_execz .LBB56_23
; %bb.22:
	ds_read_b32 v13, v8 offset:160
.LBB56_23:
	s_or_b64 exec, exec, s[6:7]
	v_xor_b32_e32 v11, 1, v2
	v_cmp_lt_i32_e64 s[6:7], v11, v3
	v_lshlrev_b32_e32 v15, 2, v2
	s_nop 0
	v_cndmask_b32_e64 v11, v2, v11, s[6:7]
	v_lshlrev_b32_e32 v11, 2, v11
	s_waitcnt lgkmcnt(0)
	ds_bpermute_b32 v14, v11, v13
	v_max_f32_e32 v13, v13, v13
	s_lshl_b32 s6, s44, 3
	s_min_i32 s15, s6, s21
	v_cmp_gt_i32_e64 s[6:7], s15, v0
	s_waitcnt lgkmcnt(0)
	v_max_f32_e32 v14, v14, v14
	v_max_f32_e32 v14, v13, v14
	v_and_b32_e32 v13, 0x100, v15
	ds_bpermute_b32 v15, v13, v14
	v_mov_b32_e32 v14, 0
	s_and_saveexec_b64 s[34:35], s[6:7]
	s_cbranch_execz .LBB56_27
; %bb.24:
	v_mov_b32_e32 v14, 0xb0
	v_lshl_add_u32 v16, v0, 2, v14
	s_mov_b64 s[36:37], 0
	v_mov_b32_e32 v14, 0
	v_mov_b32_e32 v17, v0
.LBB56_25:                              ; =>This Inner Loop Header: Depth=1
	ds_read_b32 v19, v16
	v_add_u32_e32 v17, 0x80, v17
	v_cmp_le_i32_e64 s[10:11], s15, v17
	s_or_b64 s[36:37], s[10:11], s[36:37]
	s_waitcnt lgkmcnt(0)
	v_sub_f32_e32 v19, v19, v15
	v_mul_f32_e32 v19, 0x3fb8aa3b, v19
	v_exp_f32_e32 v19, v19
	ds_write_b32 v16, v19
	v_add_f32_e32 v14, v14, v19
	v_add_u32_e32 v16, 0x200, v16
	s_andn2_b64 exec, exec, s[36:37]
	s_cbranch_execnz .LBB56_25
; %bb.26:
	s_or_b64 exec, exec, s[36:37]
.LBB56_27:
	s_or_b64 exec, exec, s[34:35]
	ds_bpermute_b32 v5, v5, v14
	s_waitcnt lgkmcnt(0)
	v_add_f32_e32 v5, v14, v5
	ds_bpermute_b32 v9, v9, v5
	s_waitcnt lgkmcnt(0)
	v_add_f32_e32 v5, v5, v9
	ds_bpermute_b32 v9, v12, v5
	v_xor_b32_e32 v12, 4, v2
	v_cmp_lt_i32_e64 s[10:11], v12, v3
	s_waitcnt lgkmcnt(0)
	v_add_f32_e32 v5, v5, v9
	v_cndmask_b32_e64 v12, v2, v12, s[10:11]
	v_lshlrev_b32_e32 v12, 2, v12
	ds_bpermute_b32 v9, v12, v5
	v_xor_b32_e32 v12, 2, v2
	v_cmp_lt_i32_e64 s[10:11], v12, v3
	s_waitcnt lgkmcnt(0)
	v_add_f32_e32 v3, v5, v9
	v_cndmask_b32_e64 v2, v2, v12, s[10:11]
	v_lshlrev_b32_e32 v2, 2, v2
	ds_bpermute_b32 v2, v2, v3
	s_waitcnt lgkmcnt(0)
	v_add_f32_e32 v2, v3, v2
	ds_bpermute_b32 v3, v11, v2
	s_waitcnt lgkmcnt(0)
	v_add_f32_e32 v2, v2, v3
	s_and_saveexec_b64 s[10:11], vcc
	s_cbranch_execz .LBB56_29
; %bb.28:
	ds_write_b32 v4, v2 offset:168
.LBB56_29:
	s_or_b64 exec, exec, s[10:11]
	s_waitcnt lgkmcnt(0)
	s_barrier
	s_and_saveexec_b64 s[10:11], s[0:1]
	s_cbranch_execz .LBB56_31
; %bb.30:
	ds_read_b32 v2, v8 offset:168
.LBB56_31:
	s_or_b64 exec, exec, s[10:11]
	s_waitcnt lgkmcnt(0)
	ds_bpermute_b32 v3, v11, v2
	s_waitcnt lgkmcnt(0)
	v_add_f32_e32 v2, v2, v3
	ds_bpermute_b32 v2, v13, v2
	s_and_saveexec_b64 s[0:1], s[6:7]
	s_cbranch_execz .LBB56_44
; %bb.32:
	s_waitcnt lgkmcnt(0)
	v_add_f32_e32 v2, 0x358637bd, v2
	v_div_scale_f32 v3, s[6:7], v2, v2, 1.0
	v_rcp_f32_e32 v4, v3
	v_div_scale_f32 v5, vcc, 1.0, v2, 1.0
	s_movk_i32 s6, 0x7f
	v_fma_f32 v8, -v3, v4, 1.0
	v_fmac_f32_e32 v4, v8, v4
	v_mul_f32_e32 v8, v5, v4
	v_fma_f32 v9, -v3, v8, v5
	v_fmac_f32_e32 v8, v9, v4
	v_fma_f32 v3, -v3, v8, v5
	v_div_fmas_f32 v3, v3, v4, v8
	v_xad_u32 v4, v0, -1, s15
	v_div_fixup_f32 v2, v3, v2, 1.0
	v_cmp_lt_u32_e32 vcc, s6, v4
	s_mov_b64 s[10:11], -1
	v_mov_b32_e32 v3, v0
	s_and_saveexec_b64 s[6:7], vcc
	s_cbranch_execz .LBB56_41
; %bb.33:
	v_lshrrev_b32_e32 v4, 7, v4
	v_add_u32_e32 v8, -1, v4
	v_lshrrev_b32_e32 v5, 1, v8
	v_mov_b32_e32 v3, v2
	v_add_u32_e32 v5, 1, v5
	v_cmp_lt_u32_e32 vcc, 13, v8
	v_mov_b32_e32 v11, 0
	s_and_saveexec_b64 s[10:11], vcc
	s_cbranch_execz .LBB56_37
; %bb.34:
	v_mov_b32_e32 v9, 0xb0
	v_and_b32_e32 v8, -8, v5
	v_lshl_add_u32 v9, v0, 2, v9
	s_mov_b32 s16, 0
	s_mov_b64 s[34:35], 0
.LBB56_35:                              ; =>This Inner Loop Header: Depth=1
	ds_read2st64_b32 v[12:13], v9 offset1:2
	ds_read2st64_b32 v[14:15], v9 offset0:4 offset1:6
	ds_read2st64_b32 v[16:17], v9 offset0:8 offset1:10
	;; [unrolled: 1-line block ×3, first 2 shown]
	v_add_u32_e32 v8, -8, v8
	s_waitcnt lgkmcnt(3)
	v_pk_mul_f32 v[12:13], v[2:3], v[12:13]
	s_waitcnt lgkmcnt(2)
	v_pk_mul_f32 v[14:15], v[2:3], v[14:15]
	ds_write2st64_b32 v9, v12, v13 offset1:2
	ds_write2st64_b32 v9, v14, v15 offset0:4 offset1:6
	ds_read2st64_b32 v[14:15], v9 offset0:16 offset1:18
	s_waitcnt lgkmcnt(4)
	v_pk_mul_f32 v[12:13], v[2:3], v[16:17]
	ds_write2st64_b32 v9, v12, v13 offset0:8 offset1:10
	s_waitcnt lgkmcnt(4)
	v_pk_mul_f32 v[12:13], v[2:3], v[20:21]
	ds_write2st64_b32 v9, v12, v13 offset0:12 offset1:14
	ds_read2st64_b32 v[12:13], v9 offset0:20 offset1:22
	s_waitcnt lgkmcnt(3)
	v_pk_mul_f32 v[14:15], v[2:3], v[14:15]
	ds_read2st64_b32 v[16:17], v9 offset0:24 offset1:26
	ds_write2st64_b32 v9, v14, v15 offset0:16 offset1:18
	ds_read2st64_b32 v[14:15], v9 offset0:28 offset1:30
	s_waitcnt lgkmcnt(3)
	v_pk_mul_f32 v[12:13], v[2:3], v[12:13]
	ds_write2st64_b32 v9, v12, v13 offset0:20 offset1:22
	s_waitcnt lgkmcnt(3)
	v_pk_mul_f32 v[12:13], v[2:3], v[16:17]
	ds_write2st64_b32 v9, v12, v13 offset0:24 offset1:26
	s_waitcnt lgkmcnt(2)
	v_pk_mul_f32 v[12:13], v[2:3], v[14:15]
	s_add_i32 s16, s16, 16
	v_cmp_eq_u32_e32 vcc, 0, v8
	ds_write2st64_b32 v9, v12, v13 offset0:28 offset1:30
	v_add_u32_e32 v9, 0x2000, v9
	s_or_b64 s[34:35], vcc, s[34:35]
	v_mov_b32_e32 v11, s16
	s_andn2_b64 exec, exec, s[34:35]
	s_cbranch_execnz .LBB56_35
; %bb.36:
	s_or_b64 exec, exec, s[34:35]
.LBB56_37:
	s_or_b64 exec, exec, s[10:11]
	v_and_b32_e32 v5, 7, v5
	v_cmp_ne_u32_e32 vcc, 0, v5
	s_and_saveexec_b64 s[10:11], vcc
	s_cbranch_execz .LBB56_40
; %bb.38:
	v_lshlrev_b32_e32 v8, 9, v11
	v_lshlrev_b32_e32 v9, 2, v0
	s_movk_i32 s16, 0xb0
	v_add3_u32 v8, v8, v9, s16
	s_mov_b64 s[34:35], 0
.LBB56_39:                              ; =>This Inner Loop Header: Depth=1
	ds_read2st64_b32 v[12:13], v8 offset1:2
	v_add_u32_e32 v5, -1, v5
	v_cmp_eq_u32_e32 vcc, 0, v5
	s_or_b64 s[34:35], vcc, s[34:35]
	s_waitcnt lgkmcnt(0)
	v_pk_mul_f32 v[12:13], v[2:3], v[12:13]
	ds_write2st64_b32 v8, v12, v13 offset1:2
	v_add_u32_e32 v8, 0x400, v8
	s_andn2_b64 exec, exec, s[34:35]
	s_cbranch_execnz .LBB56_39
.LBB56_40:
	s_or_b64 exec, exec, s[10:11]
	v_add_u32_e32 v4, 1, v4
	v_and_b32_e32 v5, 0x3fffffe, v4
	v_cmp_ne_u32_e32 vcc, v4, v5
	v_lshl_add_u32 v3, v5, 7, v0
	s_orn2_b64 s[10:11], vcc, exec
.LBB56_41:
	s_or_b64 exec, exec, s[6:7]
	s_and_b64 exec, exec, s[10:11]
	s_cbranch_execz .LBB56_44
; %bb.42:
	v_mov_b32_e32 v4, 0xb0
	v_lshl_add_u32 v4, v3, 2, v4
	s_mov_b64 s[6:7], 0
.LBB56_43:                              ; =>This Inner Loop Header: Depth=1
	ds_read_b32 v5, v4
	v_add_u32_e32 v3, 0x80, v3
	v_cmp_le_i32_e32 vcc, s15, v3
	s_or_b64 s[6:7], vcc, s[6:7]
	s_waitcnt lgkmcnt(0)
	v_mul_f32_e32 v5, v2, v5
	ds_write_b32 v4, v5
	v_add_u32_e32 v4, 0x200, v4
	s_andn2_b64 exec, exec, s[6:7]
	s_cbranch_execnz .LBB56_43
.LBB56_44:
	s_or_b64 exec, exec, s[0:1]
	s_mov_b32 s0, 0
	s_mov_b32 s1, s0
	v_mov_b64_e32 v[8:9], s[0:1]
	s_waitcnt lgkmcnt(0)
	s_barrier
	s_and_saveexec_b64 s[6:7], s[2:3]
	s_cbranch_execz .LBB56_56
; %bb.45:
	s_ashr_i32 s15, s14, 31
	s_sub_i32 s34, s12, s17
	s_lshl_b64 s[2:3], s[14:15], 1
	s_add_u32 s10, s30, s2
	s_addc_u32 s11, s31, s3
	s_abs_i32 s18, s18
	v_cvt_f32_u32_e32 v5, s18
	v_or_b32_e32 v3, 64, v18
	s_movk_i32 s2, 0x50
	v_cmp_gt_u32_e32 vcc, s2, v3
	v_lshlrev_b32_e32 v4, 3, v3
	v_rcp_iflag_f32_e32 v3, v5
	s_sub_i32 s2, 0, s18
	s_add_i32 s30, s44, -1
	v_lshlrev_b32_e32 v2, 3, v18
	v_mul_f32_e32 v3, 0x4f7ffffe, v3
	v_cvt_u32_f32_e32 v3, v3
	v_mov_b32_e32 v11, 0
	v_and_b32_e32 v10, 60, v10
	s_mov_b32 s35, s13
	v_mul_lo_u32 v5, s2, v3
	s_lshl_b64 s[2:3], s[28:29], 2
	v_mul_hi_u32 v5, v3, v5
	s_add_u32 s2, s26, s2
	v_add_u32_e32 v19, v3, v5
	s_addc_u32 s3, s27, s3
	v_mov_b32_e32 v3, 0xb0
	s_mov_b32 s31, s21
	s_mov_b32 s36, s21
	s_mov_b32 s37, s21
	s_mov_b32 s38, s21
	s_mov_b32 s39, s21
	s_mov_b32 s40, s21
	s_mov_b32 s41, s21
	v_lshl_add_u64 v[12:13], s[2:3], 0, v[10:11]
	v_lshl_add_u32 v20, v1, 5, v3
	s_mov_b64 s[12:13], 0
	v_mov_b64_e32 v[8:9], s[0:1]
	v_lshlrev_b32_e32 v10, 1, v2
	s_mov_b32 s26, 0x5040100
	v_lshlrev_b32_e32 v14, 1, v4
	s_branch .LBB56_49
.LBB56_46:                              ;   in Loop: Header=BB56_49 Depth=1
	s_or_b64 exec, exec, s[16:17]
	s_waitcnt vmcnt(0)
	;;#ASMSTART
	v_pk_mul_f16 v2, v24, v2;

	;;#ASMEND
	;;#ASMSTART
	v_pk_mul_f16 v3, v23, v3;

	;;#ASMEND
	;; [unrolled: 4-line block ×4, first 2 shown]
	s_nop 0
	;;#ASMSTART
	v_pk_add_f16 v2, v2, v3;

	;;#ASMEND
	s_nop 0
	;;#ASMSTART
	v_pk_add_f16 v2, v2, v4;

	;;#ASMEND
	;; [unrolled: 5-line block ×3, first 2 shown]
	s_nop 0
	v_lshrrev_b32_e32 v3, 16, v2
	v_and_b32_e32 v2, 0xffff, v2
	;;#ASMSTART
	v_cvt_f32_f16 v2, v2;
	;;#ASMEND
	;;#ASMSTART
	v_cvt_f32_f16 v3, v3;
	;;#ASMEND
	s_nop 0
	v_add_f32_e32 v2, v2, v3
	v_add_f32_e32 v9, v9, v2
.LBB56_47:                              ;   in Loop: Header=BB56_49 Depth=1
	s_or_b64 exec, exec, s[2:3]
.LBB56_48:                              ;   in Loop: Header=BB56_49 Depth=1
	s_or_b64 exec, exec, s[14:15]
	v_add_u32_e32 v1, 2, v1
	v_cmp_le_i32_e64 s[0:1], s44, v1
	v_lshl_add_u64 v[12:13], v[12:13], 0, 8
	v_add_u32_e32 v7, 16, v7
	s_or_b64 s[12:13], s[0:1], s[12:13]
	v_add_u32_e32 v20, 64, v20
	s_andn2_b64 exec, exec, s[12:13]
	s_cbranch_execz .LBB56_55
.LBB56_49:                              ; =>This Inner Loop Header: Depth=1
	v_mul_hi_u32 v2, v7, s33
	v_mul_lo_u32 v3, v2, s23
	v_sub_u32_e32 v3, v7, v3
	v_add_u32_e32 v4, 1, v2
	v_cmp_le_u32_e64 s[0:1], s23, v3
	s_nop 1
	v_cndmask_b32_e64 v2, v2, v4, s[0:1]
	v_subrev_u32_e32 v4, s23, v3
	v_cndmask_b32_e64 v3, v3, v4, s[0:1]
	v_add_u32_e32 v4, 1, v2
	v_cmp_le_u32_e64 s[0:1], s23, v3
	s_nop 1
	v_cndmask_b32_e64 v2, v2, v4, s[0:1]
	v_xor_b32_e32 v2, s43, v2
	v_subrev_u32_e32 v2, s43, v2
	v_add_u32_e32 v3, s42, v2
	v_sub_u32_e32 v5, 0, v3
	v_ashrrev_i32_e32 v4, 31, v3
	v_max_i32_e32 v3, v3, v5
	v_mul_hi_u32 v5, v3, v19
	v_mul_lo_u32 v5, v5, s18
	v_sub_u32_e32 v3, v3, v5
	v_subrev_u32_e32 v5, s18, v3
	v_cmp_le_u32_e64 s[0:1], s18, v3
	v_cmp_lt_i32_e64 s[2:3], s34, v2
	s_nop 0
	v_cndmask_b32_e64 v3, v3, v5, s[0:1]
	v_subrev_u32_e32 v5, s18, v3
	v_cmp_le_u32_e64 s[0:1], s18, v3
	s_nop 1
	v_cndmask_b32_e64 v3, v3, v5, s[0:1]
	v_xor_b32_e32 v3, v3, v4
	v_sub_u32_e32 v3, v3, v4
	v_cmp_eq_u32_e64 s[0:1], 0, v3
	s_or_b64 s[0:1], s[0:1], s[2:3]
	s_and_saveexec_b64 s[14:15], s[0:1]
	s_cbranch_execz .LBB56_48
; %bb.50:                               ;   in Loop: Header=BB56_49 Depth=1
	global_load_dword v16, v[12:13], off
	ds_read2_b64 v[2:5], v20 offset1:1
	ds_read2_b64 v[26:29], v20 offset0:2 offset1:3
	s_waitcnt lgkmcnt(1)
	;;#ASMSTART
	v_cvt_f16_f32 v15, v2;

	;;#ASMEND
	;;#ASMSTART
	v_cvt_f16_f32 v21, v3;

	;;#ASMEND
	;; [unrolled: 4-line block ×4, first 2 shown]
	s_waitcnt lgkmcnt(0)
	;;#ASMSTART
	v_cvt_f16_f32 v25, v26;

	;;#ASMEND
	;;#ASMSTART
	v_cvt_f16_f32 v26, v27;

	;;#ASMEND
	;; [unrolled: 4-line block ×4, first 2 shown]
	s_waitcnt vmcnt(0)
	v_mad_i64_i32 v[2:3], s[0:1], v16, s35, 0
	v_lshl_add_u64 v[16:17], v[2:3], 1, s[10:11]
	v_lshl_add_u64 v[2:3], v[16:17], 0, v[10:11]
	global_load_dwordx4 v[2:5], v[2:3], off
	v_cmp_eq_u32_e64 s[0:1], s30, v1
	s_and_saveexec_b64 s[16:17], s[0:1]
	s_cbranch_execz .LBB56_52
; %bb.51:                               ;   in Loop: Header=BB56_49 Depth=1
	v_or_b32_e32 v33, 7, v7
	v_or_b32_e32 v34, 6, v7
	s_waitcnt vmcnt(0)
	v_lshrrev_b32_e32 v35, 16, v5
	v_cmp_gt_i32_e64 s[2:3], s41, v33
	v_or_b32_e32 v31, 5, v7
	v_or_b32_e32 v32, 4, v7
	v_cndmask_b32_e64 v33, 0, v35, s[2:3]
	v_cmp_gt_i32_e64 s[2:3], s40, v34
	v_or_b32_e32 v29, 3, v7
	v_or_b32_e32 v30, 2, v7
	v_cndmask_b32_e64 v5, 0, v5, s[2:3]
	v_perm_b32 v5, v33, v5, s26
	v_lshrrev_b32_e32 v33, 16, v4
	v_cmp_gt_i32_e64 s[2:3], s39, v31
	v_add_u32_e32 v24, 1, v7
	s_nop 0
	v_cndmask_b32_e64 v31, 0, v33, s[2:3]
	v_cmp_gt_i32_e64 s[2:3], s38, v32
	s_nop 1
	v_cndmask_b32_e64 v4, 0, v4, s[2:3]
	v_perm_b32 v4, v31, v4, s26
	v_lshrrev_b32_e32 v31, 16, v3
	v_cmp_gt_i32_e64 s[2:3], s37, v29
	s_nop 1
	v_cndmask_b32_e64 v29, 0, v31, s[2:3]
	v_cmp_gt_i32_e64 s[2:3], s36, v30
	s_nop 1
	v_cndmask_b32_e64 v3, 0, v3, s[2:3]
	v_perm_b32 v3, v29, v3, s26
	v_lshrrev_b32_e32 v29, 16, v2
	v_cmp_gt_i32_e64 s[2:3], s31, v24
	s_nop 1
	v_cndmask_b32_e64 v24, 0, v29, s[2:3]
	v_cmp_gt_i32_e64 s[2:3], s21, v7
	s_nop 1
	v_cndmask_b32_e64 v2, 0, v2, s[2:3]
	v_perm_b32 v2, v24, v2, s26
.LBB56_52:                              ;   in Loop: Header=BB56_49 Depth=1
	s_or_b64 exec, exec, s[16:17]
	v_and_b32_e32 v15, 0xffff, v15
	v_lshl_or_b32 v24, v21, 16, v15
	v_and_b32_e32 v15, 0xffff, v22
	v_lshl_or_b32 v23, v23, 16, v15
	;; [unrolled: 2-line block ×3, first 2 shown]
	v_and_b32_e32 v15, 0xffff, v27
	s_waitcnt vmcnt(0)
	;;#ASMSTART
	v_pk_mul_f16 v2, v24, v2;

	;;#ASMEND
	v_lshl_or_b32 v21, v28, 16, v15
	;;#ASMSTART
	v_pk_mul_f16 v3, v23, v3;

	;;#ASMEND
	;;#ASMSTART
	v_pk_mul_f16 v4, v22, v4;

	;;#ASMEND
	;; [unrolled: 4-line block ×3, first 2 shown]
	s_nop 0
	;;#ASMSTART
	v_pk_add_f16 v2, v2, v3;

	;;#ASMEND
	s_nop 0
	;;#ASMSTART
	v_pk_add_f16 v2, v2, v4;

	;;#ASMEND
	;; [unrolled: 5-line block ×3, first 2 shown]
	s_nop 0
	v_lshrrev_b32_e32 v3, 16, v2
	v_and_b32_e32 v2, 0xffff, v2
	;;#ASMSTART
	v_cvt_f32_f16 v2, v2;
	;;#ASMEND
	;;#ASMSTART
	v_cvt_f32_f16 v3, v3;
	;;#ASMEND
	s_nop 0
	v_add_f32_e32 v2, v2, v3
	v_add_f32_e32 v8, v8, v2
	s_and_saveexec_b64 s[2:3], vcc
	s_cbranch_execz .LBB56_47
; %bb.53:                               ;   in Loop: Header=BB56_49 Depth=1
	v_mov_b32_e32 v15, v11
	v_lshl_add_u64 v[2:3], v[16:17], 0, v[14:15]
	global_load_dwordx4 v[2:5], v[2:3], off
	s_and_saveexec_b64 s[16:17], s[0:1]
	s_cbranch_execz .LBB56_46
; %bb.54:                               ;   in Loop: Header=BB56_49 Depth=1
	v_or_b32_e32 v27, 7, v7
	v_or_b32_e32 v28, 6, v7
	s_waitcnt vmcnt(0)
	v_lshrrev_b32_e32 v29, 16, v5
	v_cmp_gt_i32_e64 s[0:1], s41, v27
	v_or_b32_e32 v25, 5, v7
	v_or_b32_e32 v26, 4, v7
	v_cndmask_b32_e64 v27, 0, v29, s[0:1]
	v_cmp_gt_i32_e64 s[0:1], s40, v28
	v_or_b32_e32 v16, 3, v7
	v_or_b32_e32 v17, 2, v7
	v_cndmask_b32_e64 v5, 0, v5, s[0:1]
	v_perm_b32 v5, v27, v5, s26
	v_lshrrev_b32_e32 v27, 16, v4
	v_cmp_gt_i32_e64 s[0:1], s39, v25
	v_add_u32_e32 v15, 1, v7
	s_nop 0
	v_cndmask_b32_e64 v25, 0, v27, s[0:1]
	v_cmp_gt_i32_e64 s[0:1], s38, v26
	s_nop 1
	v_cndmask_b32_e64 v4, 0, v4, s[0:1]
	v_perm_b32 v4, v25, v4, s26
	v_lshrrev_b32_e32 v25, 16, v3
	v_cmp_gt_i32_e64 s[0:1], s37, v16
	s_nop 1
	v_cndmask_b32_e64 v16, 0, v25, s[0:1]
	v_cmp_gt_i32_e64 s[0:1], s36, v17
	s_nop 1
	v_cndmask_b32_e64 v3, 0, v3, s[0:1]
	v_perm_b32 v3, v16, v3, s26
	v_lshrrev_b32_e32 v16, 16, v2
	v_cmp_gt_i32_e64 s[0:1], s31, v15
	s_nop 1
	v_cndmask_b32_e64 v15, 0, v16, s[0:1]
	v_cmp_gt_i32_e64 s[0:1], s21, v7
	s_nop 1
	v_cndmask_b32_e64 v2, 0, v2, s[0:1]
	v_perm_b32 v2, v15, v2, s26
	s_branch .LBB56_46
.LBB56_55:
	s_or_b64 exec, exec, s[12:13]
.LBB56_56:
	s_or_b64 exec, exec, s[6:7]
	v_and_b32_e32 v1, 0x3c0, v0
	v_cmp_eq_u32_e32 vcc, 64, v1
	s_barrier
	s_and_saveexec_b64 s[0:1], vcc
	s_cbranch_execz .LBB56_59
; %bb.57:
	v_mov_b32_e32 v1, 0xb0
	v_lshl_add_u32 v2, v18, 2, v1
	ds_write_b32 v2, v8
	s_and_b64 exec, exec, s[8:9]
	s_cbranch_execz .LBB56_59
; %bb.58:
	v_lshl_add_u32 v1, v0, 2, v1
	ds_write_b32 v1, v9
.LBB56_59:
	s_or_b64 exec, exec, s[0:1]
	v_cmp_gt_u32_e32 vcc, 64, v0
	v_or_b32_e32 v1, 64, v0
	s_waitcnt lgkmcnt(0)
	s_barrier
	s_and_saveexec_b64 s[2:3], vcc
	s_cbranch_execz .LBB56_63
; %bb.60:
	v_mov_b32_e32 v2, 0xb0
	v_lshl_add_u32 v0, v0, 2, v2
	ds_read_b32 v2, v0
	s_movk_i32 s0, 0x50
	v_cmp_gt_u32_e64 s[0:1], s0, v1
	s_waitcnt lgkmcnt(0)
	v_add_f32_e32 v8, v8, v2
	s_and_saveexec_b64 s[6:7], s[0:1]
	s_cbranch_execz .LBB56_62
; %bb.61:
	ds_read_b32 v0, v0 offset:256
	s_waitcnt lgkmcnt(0)
	v_add_f32_e32 v9, v9, v0
.LBB56_62:
	s_or_b64 exec, exec, s[6:7]
.LBB56_63:
	s_or_b64 exec, exec, s[2:3]
	s_barrier
	s_and_saveexec_b64 s[0:1], vcc
	s_cbranch_execz .LBB56_66
; %bb.64:
	s_mul_i32 s0, s20, s19
	s_mul_i32 s0, s0, s5
	s_mulk_i32 s0, 0x50
	s_ashr_i32 s1, s0, 31
	s_lshl_b64 s[0:1], s[0:1], 1
	s_add_u32 s3, s24, s0
	s_mul_i32 s0, s19, s22
	s_addc_u32 s5, s25, s1
	s_ashr_i32 s1, s0, 31
	s_lshl_b64 s[0:1], s[0:1], 1
	s_add_u32 s3, s3, s0
	s_mul_i32 s0, s4, 0x50
	s_addc_u32 s5, s5, s1
	s_ashr_i32 s1, s0, 31
	s_lshl_b64 s[0:1], s[0:1], 1
	s_movk_i32 s2, 0x50
	s_add_u32 s0, s3, s0
	s_addc_u32 s1, s5, s1
	v_cmp_gt_u32_e32 vcc, s2, v1
	;;#ASMSTART
	v_cvt_f16_f32 v0, v8;

	;;#ASMEND
	global_store_short v6, v0, s[0:1]
	s_and_b64 exec, exec, vcc
	s_cbranch_execz .LBB56_66
; %bb.65:
	v_mov_b32_e32 v7, 0
	v_lshl_add_u64 v[0:1], s[0:1], 0, v[6:7]
	;;#ASMSTART
	v_cvt_f16_f32 v2, v9;

	;;#ASMEND
	global_store_short v[0:1], v2, off offset:128
.LBB56_66:
	s_endpgm
	.section	.rodata,"a",@progbits
	.p2align	6, 0x0
	.amdhsa_kernel _ZN4vllm25paged_attention_v1_kernelIttLi80ELi8ELi128ELNS_18Fp8KVCacheDataTypeE0ELb1EEEvPT_PKS2_PKT0_S8_ifPKiSA_iPKfiiiSC_SC_iiiii
		.amdhsa_group_segment_fixed_size 176
		.amdhsa_private_segment_fixed_size 0
		.amdhsa_kernarg_size 384
		.amdhsa_user_sgpr_count 2
		.amdhsa_user_sgpr_dispatch_ptr 0
		.amdhsa_user_sgpr_queue_ptr 0
		.amdhsa_user_sgpr_kernarg_segment_ptr 1
		.amdhsa_user_sgpr_dispatch_id 0
		.amdhsa_user_sgpr_kernarg_preload_length 0
		.amdhsa_user_sgpr_kernarg_preload_offset 0
		.amdhsa_user_sgpr_private_segment_size 0
		.amdhsa_uses_dynamic_stack 0
		.amdhsa_enable_private_segment 0
		.amdhsa_system_sgpr_workgroup_id_x 1
		.amdhsa_system_sgpr_workgroup_id_y 1
		.amdhsa_system_sgpr_workgroup_id_z 1
		.amdhsa_system_sgpr_workgroup_info 0
		.amdhsa_system_vgpr_workitem_id 0
		.amdhsa_next_free_vgpr 43
		.amdhsa_next_free_sgpr 46
		.amdhsa_accum_offset 44
		.amdhsa_reserve_vcc 1
		.amdhsa_float_round_mode_32 0
		.amdhsa_float_round_mode_16_64 0
		.amdhsa_float_denorm_mode_32 3
		.amdhsa_float_denorm_mode_16_64 3
		.amdhsa_dx10_clamp 1
		.amdhsa_ieee_mode 1
		.amdhsa_fp16_overflow 0
		.amdhsa_tg_split 0
		.amdhsa_exception_fp_ieee_invalid_op 0
		.amdhsa_exception_fp_denorm_src 0
		.amdhsa_exception_fp_ieee_div_zero 0
		.amdhsa_exception_fp_ieee_overflow 0
		.amdhsa_exception_fp_ieee_underflow 0
		.amdhsa_exception_fp_ieee_inexact 0
		.amdhsa_exception_int_div_zero 0
	.end_amdhsa_kernel
	.section	.text._ZN4vllm25paged_attention_v1_kernelIttLi80ELi8ELi128ELNS_18Fp8KVCacheDataTypeE0ELb1EEEvPT_PKS2_PKT0_S8_ifPKiSA_iPKfiiiSC_SC_iiiii,"axG",@progbits,_ZN4vllm25paged_attention_v1_kernelIttLi80ELi8ELi128ELNS_18Fp8KVCacheDataTypeE0ELb1EEEvPT_PKS2_PKT0_S8_ifPKiSA_iPKfiiiSC_SC_iiiii,comdat
.Lfunc_end56:
	.size	_ZN4vllm25paged_attention_v1_kernelIttLi80ELi8ELi128ELNS_18Fp8KVCacheDataTypeE0ELb1EEEvPT_PKS2_PKT0_S8_ifPKiSA_iPKfiiiSC_SC_iiiii, .Lfunc_end56-_ZN4vllm25paged_attention_v1_kernelIttLi80ELi8ELi128ELNS_18Fp8KVCacheDataTypeE0ELb1EEEvPT_PKS2_PKT0_S8_ifPKiSA_iPKfiiiSC_SC_iiiii
                                        ; -- End function
	.section	.AMDGPU.csdata,"",@progbits
; Kernel info:
; codeLenInByte = 5088
; NumSgprs: 52
; NumVgprs: 43
; NumAgprs: 0
; TotalNumVgprs: 43
; ScratchSize: 0
; MemoryBound: 0
; FloatMode: 240
; IeeeMode: 1
; LDSByteSize: 176 bytes/workgroup (compile time only)
; SGPRBlocks: 6
; VGPRBlocks: 5
; NumSGPRsForWavesPerEU: 52
; NumVGPRsForWavesPerEU: 43
; AccumOffset: 44
; Occupancy: 8
; WaveLimiterHint : 1
; COMPUTE_PGM_RSRC2:SCRATCH_EN: 0
; COMPUTE_PGM_RSRC2:USER_SGPR: 2
; COMPUTE_PGM_RSRC2:TRAP_HANDLER: 0
; COMPUTE_PGM_RSRC2:TGID_X_EN: 1
; COMPUTE_PGM_RSRC2:TGID_Y_EN: 1
; COMPUTE_PGM_RSRC2:TGID_Z_EN: 1
; COMPUTE_PGM_RSRC2:TIDIG_COMP_CNT: 0
; COMPUTE_PGM_RSRC3_GFX90A:ACCUM_OFFSET: 10
; COMPUTE_PGM_RSRC3_GFX90A:TG_SPLIT: 0
	.section	.text._ZN4vllm25paged_attention_v1_kernelIttLi96ELi8ELi128ELNS_18Fp8KVCacheDataTypeE0ELb1EEEvPT_PKS2_PKT0_S8_ifPKiSA_iPKfiiiSC_SC_iiiii,"axG",@progbits,_ZN4vllm25paged_attention_v1_kernelIttLi96ELi8ELi128ELNS_18Fp8KVCacheDataTypeE0ELb1EEEvPT_PKS2_PKT0_S8_ifPKiSA_iPKfiiiSC_SC_iiiii,comdat
	.protected	_ZN4vllm25paged_attention_v1_kernelIttLi96ELi8ELi128ELNS_18Fp8KVCacheDataTypeE0ELb1EEEvPT_PKS2_PKT0_S8_ifPKiSA_iPKfiiiSC_SC_iiiii ; -- Begin function _ZN4vllm25paged_attention_v1_kernelIttLi96ELi8ELi128ELNS_18Fp8KVCacheDataTypeE0ELb1EEEvPT_PKS2_PKT0_S8_ifPKiSA_iPKfiiiSC_SC_iiiii
	.globl	_ZN4vllm25paged_attention_v1_kernelIttLi96ELi8ELi128ELNS_18Fp8KVCacheDataTypeE0ELb1EEEvPT_PKS2_PKT0_S8_ifPKiSA_iPKfiiiSC_SC_iiiii
	.p2align	8
	.type	_ZN4vllm25paged_attention_v1_kernelIttLi96ELi8ELi128ELNS_18Fp8KVCacheDataTypeE0ELb1EEEvPT_PKS2_PKT0_S8_ifPKiSA_iPKfiiiSC_SC_iiiii,@function
_ZN4vllm25paged_attention_v1_kernelIttLi96ELi8ELi128ELNS_18Fp8KVCacheDataTypeE0ELb1EEEvPT_PKS2_PKT0_S8_ifPKiSA_iPKfiiiSC_SC_iiiii: ; @_ZN4vllm25paged_attention_v1_kernelIttLi96ELi8ELi128ELNS_18Fp8KVCacheDataTypeE0ELb1EEEvPT_PKS2_PKT0_S8_ifPKiSA_iPKfiiiSC_SC_iiiii
; %bb.0:
	s_load_dword s5, s[0:1], 0x80
	s_load_dwordx2 s[6:7], s[0:1], 0x30
	s_load_dwordx2 s[34:35], s[0:1], 0x20
	s_mov_b32 s20, s3
	s_ashr_i32 s21, s3, 31
	s_lshl_b64 s[8:9], s[20:21], 2
	s_waitcnt lgkmcnt(0)
	s_add_u32 s6, s6, s8
	s_addc_u32 s7, s7, s9
	s_abs_i32 s3, s34
	v_cvt_f32_u32_e32 v1, s3
	s_sub_i32 s10, 0, s3
	s_abs_i32 s9, s5
	s_xor_b32 s8, s5, s34
	v_rcp_iflag_f32_e32 v1, v1
	s_ashr_i32 s8, s8, 31
	s_mov_b32 s45, 0
	v_mul_f32_e32 v1, 0x4f7ffffe, v1
	v_cvt_u32_f32_e32 v1, v1
	s_nop 0
	v_readfirstlane_b32 s11, v1
	s_mul_i32 s10, s10, s11
	s_mul_hi_u32 s10, s11, s10
	s_add_i32 s11, s11, s10
	s_mul_hi_u32 s10, s9, s11
	s_mul_i32 s11, s10, s3
	s_sub_i32 s9, s9, s11
	s_add_i32 s11, s10, 1
	s_sub_i32 s12, s9, s3
	s_cmp_ge_u32 s9, s3
	s_cselect_b32 s10, s11, s10
	s_cselect_b32 s9, s12, s9
	s_add_i32 s11, s10, 1
	s_cmp_ge_u32 s9, s3
	s_cselect_b32 s3, s11, s10
	s_xor_b32 s3, s3, s8
	s_sub_i32 s12, s3, s8
	s_abs_i32 s10, s12
	v_cvt_f32_u32_e32 v1, s10
	s_load_dwordx2 s[8:9], s[0:1], 0x40
	s_sub_i32 s3, 0, s10
	s_abs_i32 s11, s2
	v_rcp_iflag_f32_e32 v1, v1
	s_nop 0
	v_mul_f32_e32 v1, 0x4f7ffffe, v1
	v_cvt_u32_f32_e32 v1, v1
	s_nop 0
	v_readfirstlane_b32 s13, v1
	s_mul_i32 s3, s3, s13
	s_mul_hi_u32 s3, s13, s3
	s_add_i32 s13, s13, s3
	s_waitcnt lgkmcnt(0)
	s_cmp_eq_u64 s[8:9], 0
	s_mul_hi_u32 s24, s11, s13
	s_cbranch_scc1 .LBB57_2
; %bb.1:
	s_ashr_i32 s3, s2, 31
	s_lshl_b64 s[14:15], s[2:3], 2
	s_add_u32 s8, s8, s14
	s_addc_u32 s9, s9, s15
	s_load_dword s45, s[8:9], 0x0
.LBB57_2:
	s_load_dword s21, s[6:7], 0x0
	s_ashr_i32 s26, s12, 31
	s_load_dwordx4 s[12:15], s[0:1], 0x48
	s_movk_i32 s3, 0x60
	s_ashr_i32 s25, s2, 31
	v_and_b32_e32 v4, 7, v0
	s_mul_i32 s22, s2, 0x60
	v_cmp_gt_u32_e64 s[6:7], s3, v0
	v_lshlrev_b32_e32 v6, 1, v0
	s_and_saveexec_b64 s[8:9], s[6:7]
	s_cbranch_execz .LBB57_4
; %bb.3:
	s_load_dwordx2 s[16:17], s[0:1], 0x8
	s_waitcnt lgkmcnt(0)
	s_mul_i32 s18, s20, s12
	s_ashr_i32 s19, s18, 31
	s_lshl_b64 s[18:19], s[18:19], 1
	v_lshrrev_b32_e32 v2, 2, v0
	s_add_u32 s3, s16, s18
	s_addc_u32 s12, s17, s19
	s_ashr_i32 s23, s22, 31
	s_lshl_b64 s[16:17], s[22:23], 1
	s_add_u32 s16, s3, s16
	s_addc_u32 s17, s12, s17
	global_load_ushort v1, v6, s[16:17]
	v_and_b32_e32 v2, 0xfe, v2
	v_mad_u32_u24 v2, v4, 24, v2
	s_waitcnt vmcnt(0)
	ds_write_b16 v2, v1
.LBB57_4:
	s_or_b64 exec, exec, s[8:9]
	s_mul_i32 s9, s24, s10
	s_sub_i32 s9, s11, s9
	s_xor_b32 s8, s25, s26
	s_add_i32 s11, s24, 1
	s_waitcnt lgkmcnt(0)
	s_sub_i32 s12, s9, s10
	s_load_dwordx4 s[16:19], s[0:1], 0x68
	s_load_dword s3, s[0:1], 0x78
	s_cmp_ge_u32 s9, s10
	s_cselect_b32 s11, s11, s24
	s_cselect_b32 s9, s12, s9
	s_add_i32 s12, s11, 1
	s_cmp_ge_u32 s9, s10
	s_cselect_b32 s9, s12, s11
	s_waitcnt lgkmcnt(0)
	s_abs_i32 s23, s19
	v_cvt_f32_u32_e32 v1, s23
	s_xor_b32 s9, s9, s8
	s_sub_i32 s10, s9, s8
	s_sub_i32 s8, 0, s23
	v_rcp_iflag_f32_e32 v1, v1
	s_add_i32 s15, s21, -1
	s_abs_i32 s11, s15
	v_mul_f32_e32 v1, 0x4f7ffffe, v1
	v_cvt_u32_f32_e32 v1, v1
	s_barrier
	v_readfirstlane_b32 s33, v1
	s_mul_i32 s8, s8, s33
	s_mul_hi_u32 s8, s33, s8
	s_add_i32 s33, s33, s8
	s_cmp_lt_i32 s3, 0
	s_mul_hi_u32 s12, s11, s33
	s_cbranch_scc0 .LBB57_6
; %bb.5:
	s_mul_i32 s8, s16, s34
	s_add_i32 s8, s10, s8
	s_mul_i32 s8, s8, s3
	s_sub_i32 s42, 1, s8
	s_mov_b64 s[8:9], 0
	s_branch .LBB57_7
.LBB57_6:
	s_mov_b64 s[8:9], -1
                                        ; implicit-def: $sgpr42
.LBB57_7:
	s_load_dwordx2 s[26:27], s[0:1], 0x28
	s_ashr_i32 s15, s15, 31
	s_andn2_b64 vcc, exec, s[8:9]
	s_ashr_i32 s43, s19, 31
	s_cbranch_vccnz .LBB57_9
; %bb.8:
	s_mul_i32 s8, s5, s16
	s_add_i32 s2, s8, s2
	s_mul_i32 s2, s2, s3
	s_add_i32 s42, s2, 1
.LBB57_9:
	s_load_dword s2, s[0:1], 0x38
	s_load_dwordx2 s[24:25], s[0:1], 0x0
	s_load_dwordx2 s[30:31], s[0:1], 0x18
	s_load_dword s19, s[0:1], 0x88
	s_xor_b32 s3, s15, s43
	s_waitcnt lgkmcnt(0)
	s_mul_i32 s28, s20, s2
	s_mul_i32 s2, s12, s23
	s_sub_i32 s2, s11, s2
	s_ashr_i32 s29, s28, 31
	s_add_i32 s8, s12, 1
	s_sub_i32 s9, s2, s23
	s_cmp_ge_u32 s2, s23
	s_cselect_b32 s8, s8, s12
	s_cselect_b32 s2, s9, s2
	s_add_i32 s9, s8, 1
	s_cmp_ge_u32 s2, s23
	s_cselect_b32 s2, s9, s8
	s_xor_b32 s2, s2, s3
	s_sub_i32 s12, s2, s3
	s_add_i32 s2, s21, 7
	s_ashr_i32 s3, s2, 31
	s_lshr_b32 s3, s3, 29
	s_add_i32 s2, s2, s3
	s_ashr_i32 s44, s2, 3
	v_lshrrev_b32_e32 v1, 6, v0
	v_cmp_gt_i32_e64 s[2:3], s44, v1
	v_mov_b32_e32 v12, 0xff7fffff
	s_mul_i32 s14, s10, s14
	v_lshrrev_b32_e32 v10, 4, v0
	v_lshlrev_b32_e32 v7, 3, v1
	v_mbcnt_lo_u32_b32 v8, -1, 0
	s_and_saveexec_b64 s[36:37], s[2:3]
	s_cbranch_execz .LBB57_19
; %bb.10:
	s_load_dwordx2 s[0:1], s[0:1], 0x10
	s_ashr_i32 s15, s14, 31
	s_sub_i32 s16, s12, s17
	s_lshl_b64 s[8:9], s[14:15], 1
	v_bfe_u32 v9, v0, 3, 3
	s_waitcnt lgkmcnt(0)
	s_add_u32 s0, s0, s8
	s_addc_u32 s1, s1, s9
	s_abs_i32 s15, s18
	v_cvt_f32_u32_e32 v2, s15
	v_lshlrev_b32_e32 v14, 4, v9
	v_mov_b32_e32 v15, 0
	s_sub_i32 s8, 0, s15
	v_rcp_iflag_f32_e32 v5, v2
	v_cmp_eq_u32_e32 vcc, 0, v4
	v_lshl_add_u64 v[2:3], s[0:1], 0, v[14:15]
	v_lshlrev_b32_e32 v14, 1, v4
	v_mul_f32_e32 v5, 0x4f7ffffe, v5
	v_cvt_u32_f32_e32 v5, v5
	v_mul_u32_u24_e32 v11, 24, v4
	v_lshlrev_b32_e32 v12, 2, v9
	v_lshl_add_u64 v[2:3], v[2:3], 0, v[14:15]
	v_mul_lo_u32 v4, s8, v5
	s_lshl_b64 s[8:9], s[28:29], 2
	s_add_u32 s8, s26, s8
	v_mul_hi_u32 v4, v5, v4
	v_and_b32_e32 v14, 60, v10
	s_addc_u32 s9, s27, s9
	v_lshl_or_b32 v12, v1, 5, v12
	v_add_u32_e32 v13, v5, v4
	v_lshl_add_u64 v[4:5], s[8:9], 0, v[14:15]
	v_add_u32_e32 v15, 0xd0, v12
	v_subrev_u32_e32 v12, s21, v9
	v_mbcnt_hi_u32_b32 v18, -1, v8
	v_add_u32_e32 v16, 1, v12
	v_and_b32_e32 v12, 64, v18
	s_mov_b32 s34, s13
	v_cmp_neq_f32_e64 s[0:1], s45, 0
	v_lshlrev_b32_e32 v14, 3, v1
	s_mov_b64 s[38:39], 0
	v_mov_b32_e32 v17, 0xff7fffff
	v_add_u32_e32 v19, 64, v12
	v_xor_b32_e32 v20, 4, v18
	v_xor_b32_e32 v21, 2, v18
	v_xor_b32_e32 v22, 1, v18
	v_mov_b32_e32 v12, 0xff7fffff
	v_mov_b32_e32 v23, v1
	s_branch .LBB57_13
.LBB57_11:                              ;   in Loop: Header=BB57_13 Depth=1
	s_or_b64 exec, exec, s[40:41]
.LBB57_12:                              ;   in Loop: Header=BB57_13 Depth=1
	s_or_b64 exec, exec, s[10:11]
	v_add_u32_e32 v23, 2, v23
	v_cmp_le_i32_e64 s[8:9], s44, v23
	v_lshl_add_u64 v[4:5], v[4:5], 0, 8
	v_add_u32_e32 v14, 16, v14
	s_or_b64 s[38:39], s[8:9], s[38:39]
	v_add_u32_e32 v15, 64, v15
	s_andn2_b64 exec, exec, s[38:39]
	s_cbranch_execz .LBB57_18
.LBB57_13:                              ; =>This Inner Loop Header: Depth=1
	v_mul_hi_u32 v24, v14, s33
	s_waitcnt lgkmcnt(0)
	v_mul_lo_u32 v25, v24, s23
	v_sub_u32_e32 v25, v14, v25
	v_add_u32_e32 v26, 1, v24
	v_cmp_le_u32_e64 s[8:9], s23, v25
	s_nop 1
	v_cndmask_b32_e64 v24, v24, v26, s[8:9]
	v_subrev_u32_e32 v26, s23, v25
	v_cndmask_b32_e64 v25, v25, v26, s[8:9]
	v_add_u32_e32 v26, 1, v24
	v_cmp_le_u32_e64 s[8:9], s23, v25
	s_nop 1
	v_cndmask_b32_e64 v24, v24, v26, s[8:9]
	v_xor_b32_e32 v24, s43, v24
	v_subrev_u32_e32 v24, s43, v24
	v_add_u32_e32 v25, s42, v24
	v_sub_u32_e32 v27, 0, v25
	v_ashrrev_i32_e32 v26, 31, v25
	v_max_i32_e32 v25, v25, v27
	v_mul_hi_u32 v27, v25, v13
	v_mul_lo_u32 v27, v27, s15
	v_sub_u32_e32 v25, v25, v27
	v_subrev_u32_e32 v27, s15, v25
	v_cmp_le_u32_e64 s[8:9], s15, v25
	v_cmp_ge_i32_e64 s[10:11], s16, v24
	s_nop 0
	v_cndmask_b32_e64 v25, v25, v27, s[8:9]
	v_subrev_u32_e32 v27, s15, v25
	v_cmp_le_u32_e64 s[8:9], s15, v25
	s_nop 1
	v_cndmask_b32_e64 v25, v25, v27, s[8:9]
	v_xor_b32_e32 v25, v25, v26
	v_sub_u32_e32 v25, v25, v26
	v_cmp_ne_u32_e64 s[8:9], 0, v25
	s_and_b64 s[8:9], s[8:9], s[10:11]
	s_and_b64 s[40:41], vcc, s[8:9]
	s_and_saveexec_b64 s[10:11], s[40:41]
	s_cbranch_execz .LBB57_15
; %bb.14:                               ;   in Loop: Header=BB57_13 Depth=1
	ds_write_b32 v15, v17
.LBB57_15:                              ;   in Loop: Header=BB57_13 Depth=1
	s_or_b64 exec, exec, s[10:11]
	s_xor_b64 s[8:9], s[8:9], -1
	s_and_saveexec_b64 s[10:11], s[8:9]
	s_cbranch_execz .LBB57_12
; %bb.16:                               ;   in Loop: Header=BB57_13 Depth=1
	global_load_dword v24, v[4:5], off
	s_waitcnt vmcnt(0)
	v_mad_i64_i32 v[24:25], s[8:9], v24, s34, 0
	v_lshl_add_u64 v[24:25], v[24:25], 1, v[2:3]
	global_load_ushort v26, v[24:25], off
	global_load_ushort v27, v[24:25], off offset:128
	global_load_ushort v28, v[24:25], off offset:256
	global_load_ushort v29, v[24:25], off offset:384
	global_load_ushort v30, v[24:25], off offset:512
	global_load_ushort v31, v[24:25], off offset:640
	global_load_ushort v32, v[24:25], off offset:768
	global_load_ushort v33, v[24:25], off offset:896
	global_load_ushort v34, v[24:25], off offset:1024
	global_load_ushort v35, v[24:25], off offset:1152
	global_load_ushort v36, v[24:25], off offset:1280
	ds_read_u16 v37, v11
	global_load_ushort v24, v[24:25], off offset:1408
	s_waitcnt lgkmcnt(0)
	;;#ASMSTART
	v_cvt_f32_f16 v25, v37;
	;;#ASMEND
	v_cmp_lt_i32_e64 s[8:9], v20, v19
	s_waitcnt vmcnt(11)
	;;#ASMSTART
	v_cvt_f32_f16 v26, v26;
	;;#ASMEND
	ds_read_u16 v37, v11 offset:2
	s_waitcnt lgkmcnt(0)
	;;#ASMSTART
	v_cvt_f32_f16 v37, v37;
	;;#ASMEND
	s_waitcnt vmcnt(10)
	;;#ASMSTART
	v_cvt_f32_f16 v27, v27;
	;;#ASMEND
	ds_read_u16 v38, v11 offset:4
	v_mul_f32_e32 v27, v37, v27
	v_fmac_f32_e32 v27, v25, v26
	s_waitcnt lgkmcnt(0)
	;;#ASMSTART
	v_cvt_f32_f16 v38, v38;
	;;#ASMEND
	s_waitcnt vmcnt(9)
	;;#ASMSTART
	v_cvt_f32_f16 v28, v28;
	;;#ASMEND
	ds_read_u16 v39, v11 offset:6
	v_fmac_f32_e32 v27, v38, v28
	s_waitcnt lgkmcnt(0)
	;;#ASMSTART
	v_cvt_f32_f16 v39, v39;
	;;#ASMEND
	s_waitcnt vmcnt(8)
	;;#ASMSTART
	v_cvt_f32_f16 v29, v29;
	;;#ASMEND
	ds_read_u16 v40, v11 offset:8
	;; [unrolled: 10-line block ×8, first 2 shown]
	v_fmac_f32_e32 v27, v25, v26
	v_cndmask_b32_e64 v45, v18, v20, s[8:9]
	s_waitcnt lgkmcnt(0)
	;;#ASMSTART
	v_cvt_f32_f16 v28, v28;
	;;#ASMEND
	s_waitcnt vmcnt(1)
	;;#ASMSTART
	v_cvt_f32_f16 v29, v36;
	;;#ASMEND
	v_lshlrev_b32_e32 v45, 2, v45
	v_fmac_f32_e32 v27, v28, v29
	ds_read_u16 v30, v11 offset:22
	s_waitcnt lgkmcnt(0)
	;;#ASMSTART
	v_cvt_f32_f16 v25, v30;
	;;#ASMEND
	s_waitcnt vmcnt(0)
	;;#ASMSTART
	v_cvt_f32_f16 v24, v24;
	;;#ASMEND
	v_cmp_lt_i32_e64 s[8:9], v21, v19
	v_fmac_f32_e32 v27, v25, v24
	ds_bpermute_b32 v24, v45, v27
	v_cndmask_b32_e64 v25, v18, v21, s[8:9]
	v_lshlrev_b32_e32 v25, 2, v25
	v_cmp_lt_i32_e64 s[8:9], v22, v19
	s_waitcnt lgkmcnt(0)
	v_add_f32_e32 v24, v27, v24
	ds_bpermute_b32 v25, v25, v24
	v_cndmask_b32_e64 v26, v18, v22, s[8:9]
	s_waitcnt lgkmcnt(0)
	v_add_f32_e32 v24, v24, v25
	v_lshlrev_b32_e32 v25, 2, v26
	ds_bpermute_b32 v25, v25, v24
	s_and_saveexec_b64 s[40:41], vcc
	s_cbranch_execz .LBB57_11
; %bb.17:                               ;   in Loop: Header=BB57_13 Depth=1
	v_add_u32_e32 v26, v16, v14
	v_cvt_f32_i32_e32 v26, v26
	s_waitcnt lgkmcnt(0)
	v_add_f32_e32 v24, v24, v25
	v_add_u32_e32 v27, v9, v14
	v_cmp_gt_i32_e64 s[8:9], s21, v27
	v_mul_f32_e32 v25, s45, v26
	v_cndmask_b32_e64 v25, 0, v25, s[0:1]
	v_fmac_f32_e32 v25, s35, v24
	v_cndmask_b32_e64 v24, 0, v25, s[8:9]
	ds_write_b32 v15, v24
	v_max_f32_e32 v24, v12, v12
	v_max_f32_e32 v24, v24, v25
	v_cndmask_b32_e64 v12, v12, v24, s[8:9]
	s_branch .LBB57_11
.LBB57_18:
	s_or_b64 exec, exec, s[38:39]
.LBB57_19:
	s_or_b64 exec, exec, s[36:37]
	v_mbcnt_hi_u32_b32 v2, -1, v8
	v_and_b32_e32 v3, 64, v2
	v_add_u32_e32 v3, 64, v3
	v_xor_b32_e32 v4, 32, v2
	v_cmp_lt_i32_e32 vcc, v4, v3
	v_xor_b32_e32 v9, 16, v2
	v_max_f32_e32 v8, v12, v12
	v_cndmask_b32_e32 v4, v2, v4, vcc
	v_lshlrev_b32_e32 v5, 2, v4
	ds_bpermute_b32 v4, v5, v12
	v_cmp_lt_i32_e32 vcc, v9, v3
	v_xor_b32_e32 v11, 8, v2
	v_and_b32_e32 v18, 63, v0
	s_waitcnt lgkmcnt(0)
	v_max_f32_e32 v4, v4, v4
	v_max_f32_e32 v4, v8, v4
	v_cndmask_b32_e32 v8, v2, v9, vcc
	v_lshlrev_b32_e32 v9, 2, v8
	ds_bpermute_b32 v8, v9, v4
	v_cmp_lt_i32_e32 vcc, v11, v3
	s_waitcnt lgkmcnt(0)
	v_max_f32_e32 v8, v8, v8
	v_max_f32_e32 v8, v4, v8
	v_cndmask_b32_e32 v4, v2, v11, vcc
	v_lshlrev_b32_e32 v12, 2, v4
	ds_bpermute_b32 v11, v12, v8
	v_cmp_eq_u32_e32 vcc, 0, v18
	v_lshlrev_b32_e32 v4, 2, v1
	s_and_saveexec_b64 s[0:1], vcc
	s_cbranch_execz .LBB57_21
; %bb.20:
	s_waitcnt lgkmcnt(0)
	v_max_f32_e32 v11, v11, v11
	v_max_f32_e32 v8, v8, v8
	;; [unrolled: 1-line block ×3, first 2 shown]
	ds_write_b32 v4, v8 offset:192
.LBB57_21:
	s_or_b64 exec, exec, s[0:1]
	v_cmp_gt_u32_e64 s[0:1], 2, v18
	v_mov_b32_e32 v13, 0xff7fffff
	v_lshlrev_b32_e32 v8, 2, v18
	s_waitcnt lgkmcnt(0)
	s_barrier
	s_and_saveexec_b64 s[8:9], s[0:1]
	s_cbranch_execz .LBB57_23
; %bb.22:
	ds_read_b32 v13, v8 offset:192
.LBB57_23:
	s_or_b64 exec, exec, s[8:9]
	v_xor_b32_e32 v11, 1, v2
	v_cmp_lt_i32_e64 s[8:9], v11, v3
	v_lshlrev_b32_e32 v15, 2, v2
	s_nop 0
	v_cndmask_b32_e64 v11, v2, v11, s[8:9]
	v_lshlrev_b32_e32 v11, 2, v11
	s_waitcnt lgkmcnt(0)
	ds_bpermute_b32 v14, v11, v13
	v_max_f32_e32 v13, v13, v13
	s_lshl_b32 s8, s44, 3
	s_min_i32 s15, s8, s21
	v_cmp_gt_i32_e64 s[8:9], s15, v0
	s_waitcnt lgkmcnt(0)
	v_max_f32_e32 v14, v14, v14
	v_max_f32_e32 v14, v13, v14
	v_and_b32_e32 v13, 0x100, v15
	ds_bpermute_b32 v15, v13, v14
	v_mov_b32_e32 v14, 0
	s_and_saveexec_b64 s[34:35], s[8:9]
	s_cbranch_execz .LBB57_27
; %bb.24:
	v_mov_b32_e32 v14, 0xd0
	v_lshl_add_u32 v16, v0, 2, v14
	s_mov_b64 s[36:37], 0
	v_mov_b32_e32 v14, 0
	v_mov_b32_e32 v17, v0
.LBB57_25:                              ; =>This Inner Loop Header: Depth=1
	ds_read_b32 v19, v16
	v_add_u32_e32 v17, 0x80, v17
	v_cmp_le_i32_e64 s[10:11], s15, v17
	s_or_b64 s[36:37], s[10:11], s[36:37]
	s_waitcnt lgkmcnt(0)
	v_sub_f32_e32 v19, v19, v15
	v_mul_f32_e32 v19, 0x3fb8aa3b, v19
	v_exp_f32_e32 v19, v19
	ds_write_b32 v16, v19
	v_add_f32_e32 v14, v14, v19
	v_add_u32_e32 v16, 0x200, v16
	s_andn2_b64 exec, exec, s[36:37]
	s_cbranch_execnz .LBB57_25
; %bb.26:
	s_or_b64 exec, exec, s[36:37]
.LBB57_27:
	s_or_b64 exec, exec, s[34:35]
	ds_bpermute_b32 v5, v5, v14
	s_waitcnt lgkmcnt(0)
	v_add_f32_e32 v5, v14, v5
	ds_bpermute_b32 v9, v9, v5
	s_waitcnt lgkmcnt(0)
	v_add_f32_e32 v5, v5, v9
	ds_bpermute_b32 v9, v12, v5
	v_xor_b32_e32 v12, 4, v2
	v_cmp_lt_i32_e64 s[10:11], v12, v3
	s_waitcnt lgkmcnt(0)
	v_add_f32_e32 v5, v5, v9
	v_cndmask_b32_e64 v12, v2, v12, s[10:11]
	v_lshlrev_b32_e32 v12, 2, v12
	ds_bpermute_b32 v9, v12, v5
	v_xor_b32_e32 v12, 2, v2
	v_cmp_lt_i32_e64 s[10:11], v12, v3
	s_waitcnt lgkmcnt(0)
	v_add_f32_e32 v3, v5, v9
	v_cndmask_b32_e64 v2, v2, v12, s[10:11]
	v_lshlrev_b32_e32 v2, 2, v2
	ds_bpermute_b32 v2, v2, v3
	s_waitcnt lgkmcnt(0)
	v_add_f32_e32 v2, v3, v2
	ds_bpermute_b32 v3, v11, v2
	s_waitcnt lgkmcnt(0)
	v_add_f32_e32 v2, v2, v3
	s_and_saveexec_b64 s[10:11], vcc
	s_cbranch_execz .LBB57_29
; %bb.28:
	ds_write_b32 v4, v2 offset:200
.LBB57_29:
	s_or_b64 exec, exec, s[10:11]
	s_waitcnt lgkmcnt(0)
	s_barrier
	s_and_saveexec_b64 s[10:11], s[0:1]
	s_cbranch_execz .LBB57_31
; %bb.30:
	ds_read_b32 v2, v8 offset:200
.LBB57_31:
	s_or_b64 exec, exec, s[10:11]
	s_waitcnt lgkmcnt(0)
	ds_bpermute_b32 v3, v11, v2
	s_waitcnt lgkmcnt(0)
	v_add_f32_e32 v2, v2, v3
	ds_bpermute_b32 v2, v13, v2
	s_and_saveexec_b64 s[0:1], s[8:9]
	s_cbranch_execz .LBB57_44
; %bb.32:
	s_waitcnt lgkmcnt(0)
	v_add_f32_e32 v2, 0x358637bd, v2
	v_div_scale_f32 v3, s[8:9], v2, v2, 1.0
	v_rcp_f32_e32 v4, v3
	v_div_scale_f32 v5, vcc, 1.0, v2, 1.0
	s_movk_i32 s8, 0x7f
	v_fma_f32 v8, -v3, v4, 1.0
	v_fmac_f32_e32 v4, v8, v4
	v_mul_f32_e32 v8, v5, v4
	v_fma_f32 v9, -v3, v8, v5
	v_fmac_f32_e32 v8, v9, v4
	v_fma_f32 v3, -v3, v8, v5
	v_div_fmas_f32 v3, v3, v4, v8
	v_xad_u32 v4, v0, -1, s15
	v_div_fixup_f32 v2, v3, v2, 1.0
	v_cmp_lt_u32_e32 vcc, s8, v4
	s_mov_b64 s[10:11], -1
	v_mov_b32_e32 v3, v0
	s_and_saveexec_b64 s[8:9], vcc
	s_cbranch_execz .LBB57_41
; %bb.33:
	v_lshrrev_b32_e32 v4, 7, v4
	v_add_u32_e32 v8, -1, v4
	v_lshrrev_b32_e32 v5, 1, v8
	v_mov_b32_e32 v3, v2
	v_add_u32_e32 v5, 1, v5
	v_cmp_lt_u32_e32 vcc, 13, v8
	v_mov_b32_e32 v11, 0
	s_and_saveexec_b64 s[10:11], vcc
	s_cbranch_execz .LBB57_37
; %bb.34:
	v_mov_b32_e32 v9, 0xd0
	v_and_b32_e32 v8, -8, v5
	v_lshl_add_u32 v9, v0, 2, v9
	s_mov_b32 s16, 0
	s_mov_b64 s[34:35], 0
.LBB57_35:                              ; =>This Inner Loop Header: Depth=1
	ds_read2st64_b32 v[12:13], v9 offset1:2
	ds_read2st64_b32 v[14:15], v9 offset0:4 offset1:6
	ds_read2st64_b32 v[16:17], v9 offset0:8 offset1:10
	;; [unrolled: 1-line block ×3, first 2 shown]
	v_add_u32_e32 v8, -8, v8
	s_waitcnt lgkmcnt(3)
	v_pk_mul_f32 v[12:13], v[2:3], v[12:13]
	s_waitcnt lgkmcnt(2)
	v_pk_mul_f32 v[14:15], v[2:3], v[14:15]
	ds_write2st64_b32 v9, v12, v13 offset1:2
	ds_write2st64_b32 v9, v14, v15 offset0:4 offset1:6
	ds_read2st64_b32 v[14:15], v9 offset0:16 offset1:18
	s_waitcnt lgkmcnt(4)
	v_pk_mul_f32 v[12:13], v[2:3], v[16:17]
	ds_write2st64_b32 v9, v12, v13 offset0:8 offset1:10
	s_waitcnt lgkmcnt(4)
	v_pk_mul_f32 v[12:13], v[2:3], v[20:21]
	ds_write2st64_b32 v9, v12, v13 offset0:12 offset1:14
	ds_read2st64_b32 v[12:13], v9 offset0:20 offset1:22
	s_waitcnt lgkmcnt(3)
	v_pk_mul_f32 v[14:15], v[2:3], v[14:15]
	ds_read2st64_b32 v[16:17], v9 offset0:24 offset1:26
	ds_write2st64_b32 v9, v14, v15 offset0:16 offset1:18
	ds_read2st64_b32 v[14:15], v9 offset0:28 offset1:30
	s_waitcnt lgkmcnt(3)
	v_pk_mul_f32 v[12:13], v[2:3], v[12:13]
	ds_write2st64_b32 v9, v12, v13 offset0:20 offset1:22
	s_waitcnt lgkmcnt(3)
	v_pk_mul_f32 v[12:13], v[2:3], v[16:17]
	ds_write2st64_b32 v9, v12, v13 offset0:24 offset1:26
	s_waitcnt lgkmcnt(2)
	v_pk_mul_f32 v[12:13], v[2:3], v[14:15]
	s_add_i32 s16, s16, 16
	v_cmp_eq_u32_e32 vcc, 0, v8
	ds_write2st64_b32 v9, v12, v13 offset0:28 offset1:30
	v_add_u32_e32 v9, 0x2000, v9
	s_or_b64 s[34:35], vcc, s[34:35]
	v_mov_b32_e32 v11, s16
	s_andn2_b64 exec, exec, s[34:35]
	s_cbranch_execnz .LBB57_35
; %bb.36:
	s_or_b64 exec, exec, s[34:35]
.LBB57_37:
	s_or_b64 exec, exec, s[10:11]
	v_and_b32_e32 v5, 7, v5
	v_cmp_ne_u32_e32 vcc, 0, v5
	s_and_saveexec_b64 s[10:11], vcc
	s_cbranch_execz .LBB57_40
; %bb.38:
	v_lshlrev_b32_e32 v8, 9, v11
	v_lshlrev_b32_e32 v9, 2, v0
	s_movk_i32 s16, 0xd0
	v_add3_u32 v8, v8, v9, s16
	s_mov_b64 s[34:35], 0
.LBB57_39:                              ; =>This Inner Loop Header: Depth=1
	ds_read2st64_b32 v[12:13], v8 offset1:2
	v_add_u32_e32 v5, -1, v5
	v_cmp_eq_u32_e32 vcc, 0, v5
	s_or_b64 s[34:35], vcc, s[34:35]
	s_waitcnt lgkmcnt(0)
	v_pk_mul_f32 v[12:13], v[2:3], v[12:13]
	ds_write2st64_b32 v8, v12, v13 offset1:2
	v_add_u32_e32 v8, 0x400, v8
	s_andn2_b64 exec, exec, s[34:35]
	s_cbranch_execnz .LBB57_39
.LBB57_40:
	s_or_b64 exec, exec, s[10:11]
	v_add_u32_e32 v4, 1, v4
	v_and_b32_e32 v5, 0x3fffffe, v4
	v_cmp_ne_u32_e32 vcc, v4, v5
	v_lshl_add_u32 v3, v5, 7, v0
	s_orn2_b64 s[10:11], vcc, exec
.LBB57_41:
	s_or_b64 exec, exec, s[8:9]
	s_and_b64 exec, exec, s[10:11]
	s_cbranch_execz .LBB57_44
; %bb.42:
	v_mov_b32_e32 v4, 0xd0
	v_lshl_add_u32 v4, v3, 2, v4
	s_mov_b64 s[8:9], 0
.LBB57_43:                              ; =>This Inner Loop Header: Depth=1
	ds_read_b32 v5, v4
	v_add_u32_e32 v3, 0x80, v3
	v_cmp_le_i32_e32 vcc, s15, v3
	s_or_b64 s[8:9], vcc, s[8:9]
	s_waitcnt lgkmcnt(0)
	v_mul_f32_e32 v5, v2, v5
	ds_write_b32 v4, v5
	v_add_u32_e32 v4, 0x200, v4
	s_andn2_b64 exec, exec, s[8:9]
	s_cbranch_execnz .LBB57_43
.LBB57_44:
	s_or_b64 exec, exec, s[0:1]
	s_mov_b32 s0, 0
	s_mov_b32 s1, s0
	v_mov_b64_e32 v[8:9], s[0:1]
	s_waitcnt lgkmcnt(0)
	s_barrier
	s_and_saveexec_b64 s[8:9], s[2:3]
	s_cbranch_execz .LBB57_56
; %bb.45:
	s_ashr_i32 s15, s14, 31
	s_sub_i32 s34, s12, s17
	s_lshl_b64 s[2:3], s[14:15], 1
	s_add_u32 s10, s30, s2
	s_addc_u32 s11, s31, s3
	s_abs_i32 s18, s18
	v_cvt_f32_u32_e32 v5, s18
	v_or_b32_e32 v3, 64, v18
	s_movk_i32 s2, 0x60
	v_cmp_gt_u32_e32 vcc, s2, v3
	v_lshlrev_b32_e32 v4, 3, v3
	v_rcp_iflag_f32_e32 v3, v5
	s_sub_i32 s2, 0, s18
	s_add_i32 s30, s44, -1
	v_lshlrev_b32_e32 v2, 3, v18
	v_mul_f32_e32 v3, 0x4f7ffffe, v3
	v_cvt_u32_f32_e32 v3, v3
	v_mov_b32_e32 v11, 0
	v_and_b32_e32 v10, 60, v10
	s_mov_b32 s35, s13
	v_mul_lo_u32 v5, s2, v3
	s_lshl_b64 s[2:3], s[28:29], 2
	v_mul_hi_u32 v5, v3, v5
	s_add_u32 s2, s26, s2
	v_add_u32_e32 v19, v3, v5
	s_addc_u32 s3, s27, s3
	v_mov_b32_e32 v3, 0xd0
	s_mov_b32 s31, s21
	s_mov_b32 s36, s21
	;; [unrolled: 1-line block ×7, first 2 shown]
	v_lshl_add_u64 v[12:13], s[2:3], 0, v[10:11]
	v_lshl_add_u32 v20, v1, 5, v3
	s_mov_b64 s[12:13], 0
	v_mov_b64_e32 v[8:9], s[0:1]
	v_lshlrev_b32_e32 v10, 1, v2
	s_mov_b32 s26, 0x5040100
	v_lshlrev_b32_e32 v14, 1, v4
	s_branch .LBB57_49
.LBB57_46:                              ;   in Loop: Header=BB57_49 Depth=1
	s_or_b64 exec, exec, s[16:17]
	s_waitcnt vmcnt(0)
	;;#ASMSTART
	v_pk_mul_f16 v2, v24, v2;

	;;#ASMEND
	;;#ASMSTART
	v_pk_mul_f16 v3, v23, v3;

	;;#ASMEND
	;; [unrolled: 4-line block ×4, first 2 shown]
	s_nop 0
	;;#ASMSTART
	v_pk_add_f16 v2, v2, v3;

	;;#ASMEND
	s_nop 0
	;;#ASMSTART
	v_pk_add_f16 v2, v2, v4;

	;;#ASMEND
	s_nop 0
	;;#ASMSTART
	v_pk_add_f16 v2, v2, v5;

	;;#ASMEND
	s_nop 0
	v_lshrrev_b32_e32 v3, 16, v2
	v_and_b32_e32 v2, 0xffff, v2
	;;#ASMSTART
	v_cvt_f32_f16 v2, v2;
	;;#ASMEND
	;;#ASMSTART
	v_cvt_f32_f16 v3, v3;
	;;#ASMEND
	s_nop 0
	v_add_f32_e32 v2, v2, v3
	v_add_f32_e32 v9, v9, v2
.LBB57_47:                              ;   in Loop: Header=BB57_49 Depth=1
	s_or_b64 exec, exec, s[2:3]
.LBB57_48:                              ;   in Loop: Header=BB57_49 Depth=1
	s_or_b64 exec, exec, s[14:15]
	v_add_u32_e32 v1, 2, v1
	v_cmp_le_i32_e64 s[0:1], s44, v1
	v_lshl_add_u64 v[12:13], v[12:13], 0, 8
	v_add_u32_e32 v7, 16, v7
	s_or_b64 s[12:13], s[0:1], s[12:13]
	v_add_u32_e32 v20, 64, v20
	s_andn2_b64 exec, exec, s[12:13]
	s_cbranch_execz .LBB57_55
.LBB57_49:                              ; =>This Inner Loop Header: Depth=1
	v_mul_hi_u32 v2, v7, s33
	v_mul_lo_u32 v3, v2, s23
	v_sub_u32_e32 v3, v7, v3
	v_add_u32_e32 v4, 1, v2
	v_cmp_le_u32_e64 s[0:1], s23, v3
	s_nop 1
	v_cndmask_b32_e64 v2, v2, v4, s[0:1]
	v_subrev_u32_e32 v4, s23, v3
	v_cndmask_b32_e64 v3, v3, v4, s[0:1]
	v_add_u32_e32 v4, 1, v2
	v_cmp_le_u32_e64 s[0:1], s23, v3
	s_nop 1
	v_cndmask_b32_e64 v2, v2, v4, s[0:1]
	v_xor_b32_e32 v2, s43, v2
	v_subrev_u32_e32 v2, s43, v2
	v_add_u32_e32 v3, s42, v2
	v_sub_u32_e32 v5, 0, v3
	v_ashrrev_i32_e32 v4, 31, v3
	v_max_i32_e32 v3, v3, v5
	v_mul_hi_u32 v5, v3, v19
	v_mul_lo_u32 v5, v5, s18
	v_sub_u32_e32 v3, v3, v5
	v_subrev_u32_e32 v5, s18, v3
	v_cmp_le_u32_e64 s[0:1], s18, v3
	v_cmp_lt_i32_e64 s[2:3], s34, v2
	s_nop 0
	v_cndmask_b32_e64 v3, v3, v5, s[0:1]
	v_subrev_u32_e32 v5, s18, v3
	v_cmp_le_u32_e64 s[0:1], s18, v3
	s_nop 1
	v_cndmask_b32_e64 v3, v3, v5, s[0:1]
	v_xor_b32_e32 v3, v3, v4
	v_sub_u32_e32 v3, v3, v4
	v_cmp_eq_u32_e64 s[0:1], 0, v3
	s_or_b64 s[0:1], s[0:1], s[2:3]
	s_and_saveexec_b64 s[14:15], s[0:1]
	s_cbranch_execz .LBB57_48
; %bb.50:                               ;   in Loop: Header=BB57_49 Depth=1
	global_load_dword v16, v[12:13], off
	ds_read2_b64 v[2:5], v20 offset1:1
	ds_read2_b64 v[26:29], v20 offset0:2 offset1:3
	s_waitcnt lgkmcnt(1)
	;;#ASMSTART
	v_cvt_f16_f32 v15, v2;

	;;#ASMEND
	;;#ASMSTART
	v_cvt_f16_f32 v21, v3;

	;;#ASMEND
	;; [unrolled: 4-line block ×4, first 2 shown]
	s_waitcnt lgkmcnt(0)
	;;#ASMSTART
	v_cvt_f16_f32 v25, v26;

	;;#ASMEND
	;;#ASMSTART
	v_cvt_f16_f32 v26, v27;

	;;#ASMEND
	;; [unrolled: 4-line block ×4, first 2 shown]
	s_waitcnt vmcnt(0)
	v_mad_i64_i32 v[2:3], s[0:1], v16, s35, 0
	v_lshl_add_u64 v[16:17], v[2:3], 1, s[10:11]
	v_lshl_add_u64 v[2:3], v[16:17], 0, v[10:11]
	global_load_dwordx4 v[2:5], v[2:3], off
	v_cmp_eq_u32_e64 s[0:1], s30, v1
	s_and_saveexec_b64 s[16:17], s[0:1]
	s_cbranch_execz .LBB57_52
; %bb.51:                               ;   in Loop: Header=BB57_49 Depth=1
	v_or_b32_e32 v33, 7, v7
	v_or_b32_e32 v34, 6, v7
	s_waitcnt vmcnt(0)
	v_lshrrev_b32_e32 v35, 16, v5
	v_cmp_gt_i32_e64 s[2:3], s41, v33
	v_or_b32_e32 v31, 5, v7
	v_or_b32_e32 v32, 4, v7
	v_cndmask_b32_e64 v33, 0, v35, s[2:3]
	v_cmp_gt_i32_e64 s[2:3], s40, v34
	v_or_b32_e32 v29, 3, v7
	v_or_b32_e32 v30, 2, v7
	v_cndmask_b32_e64 v5, 0, v5, s[2:3]
	v_perm_b32 v5, v33, v5, s26
	v_lshrrev_b32_e32 v33, 16, v4
	v_cmp_gt_i32_e64 s[2:3], s39, v31
	v_add_u32_e32 v24, 1, v7
	s_nop 0
	v_cndmask_b32_e64 v31, 0, v33, s[2:3]
	v_cmp_gt_i32_e64 s[2:3], s38, v32
	s_nop 1
	v_cndmask_b32_e64 v4, 0, v4, s[2:3]
	v_perm_b32 v4, v31, v4, s26
	v_lshrrev_b32_e32 v31, 16, v3
	v_cmp_gt_i32_e64 s[2:3], s37, v29
	s_nop 1
	v_cndmask_b32_e64 v29, 0, v31, s[2:3]
	v_cmp_gt_i32_e64 s[2:3], s36, v30
	s_nop 1
	v_cndmask_b32_e64 v3, 0, v3, s[2:3]
	v_perm_b32 v3, v29, v3, s26
	v_lshrrev_b32_e32 v29, 16, v2
	v_cmp_gt_i32_e64 s[2:3], s31, v24
	s_nop 1
	v_cndmask_b32_e64 v24, 0, v29, s[2:3]
	v_cmp_gt_i32_e64 s[2:3], s21, v7
	s_nop 1
	v_cndmask_b32_e64 v2, 0, v2, s[2:3]
	v_perm_b32 v2, v24, v2, s26
.LBB57_52:                              ;   in Loop: Header=BB57_49 Depth=1
	s_or_b64 exec, exec, s[16:17]
	v_and_b32_e32 v15, 0xffff, v15
	v_lshl_or_b32 v24, v21, 16, v15
	v_and_b32_e32 v15, 0xffff, v22
	v_lshl_or_b32 v23, v23, 16, v15
	;; [unrolled: 2-line block ×3, first 2 shown]
	v_and_b32_e32 v15, 0xffff, v27
	s_waitcnt vmcnt(0)
	;;#ASMSTART
	v_pk_mul_f16 v2, v24, v2;

	;;#ASMEND
	v_lshl_or_b32 v21, v28, 16, v15
	;;#ASMSTART
	v_pk_mul_f16 v3, v23, v3;

	;;#ASMEND
	;;#ASMSTART
	v_pk_mul_f16 v4, v22, v4;

	;;#ASMEND
	;; [unrolled: 4-line block ×3, first 2 shown]
	s_nop 0
	;;#ASMSTART
	v_pk_add_f16 v2, v2, v3;

	;;#ASMEND
	s_nop 0
	;;#ASMSTART
	v_pk_add_f16 v2, v2, v4;

	;;#ASMEND
	;; [unrolled: 5-line block ×3, first 2 shown]
	s_nop 0
	v_lshrrev_b32_e32 v3, 16, v2
	v_and_b32_e32 v2, 0xffff, v2
	;;#ASMSTART
	v_cvt_f32_f16 v2, v2;
	;;#ASMEND
	;;#ASMSTART
	v_cvt_f32_f16 v3, v3;
	;;#ASMEND
	s_nop 0
	v_add_f32_e32 v2, v2, v3
	v_add_f32_e32 v8, v8, v2
	s_and_saveexec_b64 s[2:3], vcc
	s_cbranch_execz .LBB57_47
; %bb.53:                               ;   in Loop: Header=BB57_49 Depth=1
	v_mov_b32_e32 v15, v11
	v_lshl_add_u64 v[2:3], v[16:17], 0, v[14:15]
	global_load_dwordx4 v[2:5], v[2:3], off
	s_and_saveexec_b64 s[16:17], s[0:1]
	s_cbranch_execz .LBB57_46
; %bb.54:                               ;   in Loop: Header=BB57_49 Depth=1
	v_or_b32_e32 v27, 7, v7
	v_or_b32_e32 v28, 6, v7
	s_waitcnt vmcnt(0)
	v_lshrrev_b32_e32 v29, 16, v5
	v_cmp_gt_i32_e64 s[0:1], s41, v27
	v_or_b32_e32 v25, 5, v7
	v_or_b32_e32 v26, 4, v7
	v_cndmask_b32_e64 v27, 0, v29, s[0:1]
	v_cmp_gt_i32_e64 s[0:1], s40, v28
	v_or_b32_e32 v16, 3, v7
	v_or_b32_e32 v17, 2, v7
	v_cndmask_b32_e64 v5, 0, v5, s[0:1]
	v_perm_b32 v5, v27, v5, s26
	v_lshrrev_b32_e32 v27, 16, v4
	v_cmp_gt_i32_e64 s[0:1], s39, v25
	v_add_u32_e32 v15, 1, v7
	s_nop 0
	v_cndmask_b32_e64 v25, 0, v27, s[0:1]
	v_cmp_gt_i32_e64 s[0:1], s38, v26
	s_nop 1
	v_cndmask_b32_e64 v4, 0, v4, s[0:1]
	v_perm_b32 v4, v25, v4, s26
	v_lshrrev_b32_e32 v25, 16, v3
	v_cmp_gt_i32_e64 s[0:1], s37, v16
	s_nop 1
	v_cndmask_b32_e64 v16, 0, v25, s[0:1]
	v_cmp_gt_i32_e64 s[0:1], s36, v17
	s_nop 1
	v_cndmask_b32_e64 v3, 0, v3, s[0:1]
	v_perm_b32 v3, v16, v3, s26
	v_lshrrev_b32_e32 v16, 16, v2
	v_cmp_gt_i32_e64 s[0:1], s31, v15
	s_nop 1
	v_cndmask_b32_e64 v15, 0, v16, s[0:1]
	v_cmp_gt_i32_e64 s[0:1], s21, v7
	s_nop 1
	v_cndmask_b32_e64 v2, 0, v2, s[0:1]
	v_perm_b32 v2, v15, v2, s26
	s_branch .LBB57_46
.LBB57_55:
	s_or_b64 exec, exec, s[12:13]
.LBB57_56:
	s_or_b64 exec, exec, s[8:9]
	v_and_b32_e32 v1, 0x3c0, v0
	v_cmp_eq_u32_e32 vcc, 64, v1
	s_barrier
	s_and_saveexec_b64 s[0:1], vcc
	s_cbranch_execz .LBB57_59
; %bb.57:
	v_mov_b32_e32 v1, 0xd0
	v_lshl_add_u32 v2, v18, 2, v1
	ds_write_b32 v2, v8
	s_and_b64 exec, exec, s[6:7]
	s_cbranch_execz .LBB57_59
; %bb.58:
	v_lshl_add_u32 v1, v0, 2, v1
	ds_write_b32 v1, v9
.LBB57_59:
	s_or_b64 exec, exec, s[0:1]
	v_cmp_gt_u32_e32 vcc, 64, v0
	v_or_b32_e32 v1, 64, v0
	s_waitcnt lgkmcnt(0)
	s_barrier
	s_and_saveexec_b64 s[2:3], vcc
	s_cbranch_execz .LBB57_63
; %bb.60:
	v_mov_b32_e32 v2, 0xd0
	v_lshl_add_u32 v0, v0, 2, v2
	ds_read_b32 v2, v0
	s_movk_i32 s0, 0x60
	v_cmp_gt_u32_e64 s[0:1], s0, v1
	s_waitcnt lgkmcnt(0)
	v_add_f32_e32 v8, v8, v2
	s_and_saveexec_b64 s[6:7], s[0:1]
	s_cbranch_execz .LBB57_62
; %bb.61:
	ds_read_b32 v0, v0 offset:256
	s_waitcnt lgkmcnt(0)
	v_add_f32_e32 v9, v9, v0
.LBB57_62:
	s_or_b64 exec, exec, s[6:7]
.LBB57_63:
	s_or_b64 exec, exec, s[2:3]
	s_barrier
	s_and_saveexec_b64 s[0:1], vcc
	s_cbranch_execz .LBB57_66
; %bb.64:
	s_mul_i32 s0, s20, s19
	s_mul_i32 s0, s0, s5
	s_mulk_i32 s0, 0x60
	s_ashr_i32 s1, s0, 31
	s_lshl_b64 s[0:1], s[0:1], 1
	s_add_u32 s3, s24, s0
	s_mul_i32 s0, s19, s22
	s_addc_u32 s5, s25, s1
	s_ashr_i32 s1, s0, 31
	s_lshl_b64 s[0:1], s[0:1], 1
	s_add_u32 s3, s3, s0
	s_mul_i32 s0, s4, 0x60
	s_addc_u32 s5, s5, s1
	s_ashr_i32 s1, s0, 31
	s_lshl_b64 s[0:1], s[0:1], 1
	s_movk_i32 s2, 0x60
	s_add_u32 s0, s3, s0
	s_addc_u32 s1, s5, s1
	v_cmp_gt_u32_e32 vcc, s2, v1
	;;#ASMSTART
	v_cvt_f16_f32 v0, v8;

	;;#ASMEND
	global_store_short v6, v0, s[0:1]
	s_and_b64 exec, exec, vcc
	s_cbranch_execz .LBB57_66
; %bb.65:
	v_mov_b32_e32 v7, 0
	v_lshl_add_u64 v[0:1], s[0:1], 0, v[6:7]
	;;#ASMSTART
	v_cvt_f16_f32 v2, v9;

	;;#ASMEND
	global_store_short v[0:1], v2, off offset:128
.LBB57_66:
	s_endpgm
	.section	.rodata,"a",@progbits
	.p2align	6, 0x0
	.amdhsa_kernel _ZN4vllm25paged_attention_v1_kernelIttLi96ELi8ELi128ELNS_18Fp8KVCacheDataTypeE0ELb1EEEvPT_PKS2_PKT0_S8_ifPKiSA_iPKfiiiSC_SC_iiiii
		.amdhsa_group_segment_fixed_size 208
		.amdhsa_private_segment_fixed_size 0
		.amdhsa_kernarg_size 384
		.amdhsa_user_sgpr_count 2
		.amdhsa_user_sgpr_dispatch_ptr 0
		.amdhsa_user_sgpr_queue_ptr 0
		.amdhsa_user_sgpr_kernarg_segment_ptr 1
		.amdhsa_user_sgpr_dispatch_id 0
		.amdhsa_user_sgpr_kernarg_preload_length 0
		.amdhsa_user_sgpr_kernarg_preload_offset 0
		.amdhsa_user_sgpr_private_segment_size 0
		.amdhsa_uses_dynamic_stack 0
		.amdhsa_enable_private_segment 0
		.amdhsa_system_sgpr_workgroup_id_x 1
		.amdhsa_system_sgpr_workgroup_id_y 1
		.amdhsa_system_sgpr_workgroup_id_z 1
		.amdhsa_system_sgpr_workgroup_info 0
		.amdhsa_system_vgpr_workitem_id 0
		.amdhsa_next_free_vgpr 47
		.amdhsa_next_free_sgpr 46
		.amdhsa_accum_offset 48
		.amdhsa_reserve_vcc 1
		.amdhsa_float_round_mode_32 0
		.amdhsa_float_round_mode_16_64 0
		.amdhsa_float_denorm_mode_32 3
		.amdhsa_float_denorm_mode_16_64 3
		.amdhsa_dx10_clamp 1
		.amdhsa_ieee_mode 1
		.amdhsa_fp16_overflow 0
		.amdhsa_tg_split 0
		.amdhsa_exception_fp_ieee_invalid_op 0
		.amdhsa_exception_fp_denorm_src 0
		.amdhsa_exception_fp_ieee_div_zero 0
		.amdhsa_exception_fp_ieee_overflow 0
		.amdhsa_exception_fp_ieee_underflow 0
		.amdhsa_exception_fp_ieee_inexact 0
		.amdhsa_exception_int_div_zero 0
	.end_amdhsa_kernel
	.section	.text._ZN4vllm25paged_attention_v1_kernelIttLi96ELi8ELi128ELNS_18Fp8KVCacheDataTypeE0ELb1EEEvPT_PKS2_PKT0_S8_ifPKiSA_iPKfiiiSC_SC_iiiii,"axG",@progbits,_ZN4vllm25paged_attention_v1_kernelIttLi96ELi8ELi128ELNS_18Fp8KVCacheDataTypeE0ELb1EEEvPT_PKS2_PKT0_S8_ifPKiSA_iPKfiiiSC_SC_iiiii,comdat
.Lfunc_end57:
	.size	_ZN4vllm25paged_attention_v1_kernelIttLi96ELi8ELi128ELNS_18Fp8KVCacheDataTypeE0ELb1EEEvPT_PKS2_PKT0_S8_ifPKiSA_iPKfiiiSC_SC_iiiii, .Lfunc_end57-_ZN4vllm25paged_attention_v1_kernelIttLi96ELi8ELi128ELNS_18Fp8KVCacheDataTypeE0ELb1EEEvPT_PKS2_PKT0_S8_ifPKiSA_iPKfiiiSC_SC_iiiii
                                        ; -- End function
	.section	.AMDGPU.csdata,"",@progbits
; Kernel info:
; codeLenInByte = 5176
; NumSgprs: 52
; NumVgprs: 47
; NumAgprs: 0
; TotalNumVgprs: 47
; ScratchSize: 0
; MemoryBound: 0
; FloatMode: 240
; IeeeMode: 1
; LDSByteSize: 208 bytes/workgroup (compile time only)
; SGPRBlocks: 6
; VGPRBlocks: 5
; NumSGPRsForWavesPerEU: 52
; NumVGPRsForWavesPerEU: 47
; AccumOffset: 48
; Occupancy: 8
; WaveLimiterHint : 1
; COMPUTE_PGM_RSRC2:SCRATCH_EN: 0
; COMPUTE_PGM_RSRC2:USER_SGPR: 2
; COMPUTE_PGM_RSRC2:TRAP_HANDLER: 0
; COMPUTE_PGM_RSRC2:TGID_X_EN: 1
; COMPUTE_PGM_RSRC2:TGID_Y_EN: 1
; COMPUTE_PGM_RSRC2:TGID_Z_EN: 1
; COMPUTE_PGM_RSRC2:TIDIG_COMP_CNT: 0
; COMPUTE_PGM_RSRC3_GFX90A:ACCUM_OFFSET: 11
; COMPUTE_PGM_RSRC3_GFX90A:TG_SPLIT: 0
	.section	.text._ZN4vllm25paged_attention_v1_kernelIttLi112ELi8ELi128ELNS_18Fp8KVCacheDataTypeE0ELb1EEEvPT_PKS2_PKT0_S8_ifPKiSA_iPKfiiiSC_SC_iiiii,"axG",@progbits,_ZN4vllm25paged_attention_v1_kernelIttLi112ELi8ELi128ELNS_18Fp8KVCacheDataTypeE0ELb1EEEvPT_PKS2_PKT0_S8_ifPKiSA_iPKfiiiSC_SC_iiiii,comdat
	.protected	_ZN4vllm25paged_attention_v1_kernelIttLi112ELi8ELi128ELNS_18Fp8KVCacheDataTypeE0ELb1EEEvPT_PKS2_PKT0_S8_ifPKiSA_iPKfiiiSC_SC_iiiii ; -- Begin function _ZN4vllm25paged_attention_v1_kernelIttLi112ELi8ELi128ELNS_18Fp8KVCacheDataTypeE0ELb1EEEvPT_PKS2_PKT0_S8_ifPKiSA_iPKfiiiSC_SC_iiiii
	.globl	_ZN4vllm25paged_attention_v1_kernelIttLi112ELi8ELi128ELNS_18Fp8KVCacheDataTypeE0ELb1EEEvPT_PKS2_PKT0_S8_ifPKiSA_iPKfiiiSC_SC_iiiii
	.p2align	8
	.type	_ZN4vllm25paged_attention_v1_kernelIttLi112ELi8ELi128ELNS_18Fp8KVCacheDataTypeE0ELb1EEEvPT_PKS2_PKT0_S8_ifPKiSA_iPKfiiiSC_SC_iiiii,@function
_ZN4vllm25paged_attention_v1_kernelIttLi112ELi8ELi128ELNS_18Fp8KVCacheDataTypeE0ELb1EEEvPT_PKS2_PKT0_S8_ifPKiSA_iPKfiiiSC_SC_iiiii: ; @_ZN4vllm25paged_attention_v1_kernelIttLi112ELi8ELi128ELNS_18Fp8KVCacheDataTypeE0ELb1EEEvPT_PKS2_PKT0_S8_ifPKiSA_iPKfiiiSC_SC_iiiii
; %bb.0:
	s_load_dword s5, s[0:1], 0x80
	s_load_dwordx2 s[6:7], s[0:1], 0x30
	s_load_dwordx2 s[34:35], s[0:1], 0x20
	s_mov_b32 s20, s3
	s_ashr_i32 s21, s3, 31
	s_lshl_b64 s[8:9], s[20:21], 2
	s_waitcnt lgkmcnt(0)
	s_add_u32 s6, s6, s8
	s_addc_u32 s7, s7, s9
	s_abs_i32 s3, s34
	v_cvt_f32_u32_e32 v1, s3
	s_sub_i32 s10, 0, s3
	s_abs_i32 s9, s5
	s_xor_b32 s8, s5, s34
	v_rcp_iflag_f32_e32 v1, v1
	s_ashr_i32 s8, s8, 31
	s_mov_b32 s45, 0
	v_mul_f32_e32 v1, 0x4f7ffffe, v1
	v_cvt_u32_f32_e32 v1, v1
	s_nop 0
	v_readfirstlane_b32 s11, v1
	s_mul_i32 s10, s10, s11
	s_mul_hi_u32 s10, s11, s10
	s_add_i32 s11, s11, s10
	s_mul_hi_u32 s10, s9, s11
	s_mul_i32 s11, s10, s3
	s_sub_i32 s9, s9, s11
	s_add_i32 s11, s10, 1
	s_sub_i32 s12, s9, s3
	s_cmp_ge_u32 s9, s3
	s_cselect_b32 s10, s11, s10
	s_cselect_b32 s9, s12, s9
	s_add_i32 s11, s10, 1
	s_cmp_ge_u32 s9, s3
	s_cselect_b32 s3, s11, s10
	s_xor_b32 s3, s3, s8
	s_sub_i32 s12, s3, s8
	s_abs_i32 s10, s12
	v_cvt_f32_u32_e32 v1, s10
	s_load_dwordx2 s[8:9], s[0:1], 0x40
	s_sub_i32 s3, 0, s10
	s_abs_i32 s11, s2
	v_rcp_iflag_f32_e32 v1, v1
	s_nop 0
	v_mul_f32_e32 v1, 0x4f7ffffe, v1
	v_cvt_u32_f32_e32 v1, v1
	s_nop 0
	v_readfirstlane_b32 s13, v1
	s_mul_i32 s3, s3, s13
	s_mul_hi_u32 s3, s13, s3
	s_add_i32 s13, s13, s3
	s_waitcnt lgkmcnt(0)
	s_cmp_eq_u64 s[8:9], 0
	s_mul_hi_u32 s24, s11, s13
	s_cbranch_scc1 .LBB58_2
; %bb.1:
	s_ashr_i32 s3, s2, 31
	s_lshl_b64 s[14:15], s[2:3], 2
	s_add_u32 s8, s8, s14
	s_addc_u32 s9, s9, s15
	s_load_dword s45, s[8:9], 0x0
.LBB58_2:
	s_load_dword s21, s[6:7], 0x0
	s_ashr_i32 s26, s12, 31
	s_load_dwordx4 s[12:15], s[0:1], 0x48
	s_movk_i32 s3, 0x70
	s_ashr_i32 s25, s2, 31
	v_and_b32_e32 v4, 7, v0
	s_mul_i32 s22, s2, 0x70
	v_cmp_gt_u32_e64 s[6:7], s3, v0
	v_lshlrev_b32_e32 v6, 1, v0
	s_and_saveexec_b64 s[8:9], s[6:7]
	s_cbranch_execz .LBB58_4
; %bb.3:
	s_load_dwordx2 s[16:17], s[0:1], 0x8
	s_waitcnt lgkmcnt(0)
	s_mul_i32 s18, s20, s12
	s_ashr_i32 s19, s18, 31
	s_lshl_b64 s[18:19], s[18:19], 1
	v_lshrrev_b32_e32 v2, 2, v0
	s_add_u32 s3, s16, s18
	s_addc_u32 s12, s17, s19
	s_ashr_i32 s23, s22, 31
	s_lshl_b64 s[16:17], s[22:23], 1
	s_add_u32 s16, s3, s16
	s_addc_u32 s17, s12, s17
	global_load_ushort v1, v6, s[16:17]
	v_and_b32_e32 v2, 0xfe, v2
	v_mad_u32_u24 v2, v4, 28, v2
	s_waitcnt vmcnt(0)
	ds_write_b16 v2, v1
.LBB58_4:
	s_or_b64 exec, exec, s[8:9]
	s_mul_i32 s9, s24, s10
	s_sub_i32 s9, s11, s9
	s_xor_b32 s8, s25, s26
	s_add_i32 s11, s24, 1
	s_waitcnt lgkmcnt(0)
	s_sub_i32 s12, s9, s10
	s_load_dwordx4 s[16:19], s[0:1], 0x68
	s_load_dword s3, s[0:1], 0x78
	s_cmp_ge_u32 s9, s10
	s_cselect_b32 s11, s11, s24
	s_cselect_b32 s9, s12, s9
	s_add_i32 s12, s11, 1
	s_cmp_ge_u32 s9, s10
	s_cselect_b32 s9, s12, s11
	s_waitcnt lgkmcnt(0)
	s_abs_i32 s23, s19
	v_cvt_f32_u32_e32 v1, s23
	s_xor_b32 s9, s9, s8
	s_sub_i32 s10, s9, s8
	s_sub_i32 s8, 0, s23
	v_rcp_iflag_f32_e32 v1, v1
	s_add_i32 s15, s21, -1
	s_abs_i32 s11, s15
	v_mul_f32_e32 v1, 0x4f7ffffe, v1
	v_cvt_u32_f32_e32 v1, v1
	s_barrier
	v_readfirstlane_b32 s33, v1
	s_mul_i32 s8, s8, s33
	s_mul_hi_u32 s8, s33, s8
	s_add_i32 s33, s33, s8
	s_cmp_lt_i32 s3, 0
	s_mul_hi_u32 s12, s11, s33
	s_cbranch_scc0 .LBB58_6
; %bb.5:
	s_mul_i32 s8, s16, s34
	s_add_i32 s8, s10, s8
	s_mul_i32 s8, s8, s3
	s_sub_i32 s42, 1, s8
	s_mov_b64 s[8:9], 0
	s_branch .LBB58_7
.LBB58_6:
	s_mov_b64 s[8:9], -1
                                        ; implicit-def: $sgpr42
.LBB58_7:
	s_load_dwordx2 s[26:27], s[0:1], 0x28
	s_ashr_i32 s15, s15, 31
	s_andn2_b64 vcc, exec, s[8:9]
	s_ashr_i32 s43, s19, 31
	s_cbranch_vccnz .LBB58_9
; %bb.8:
	s_mul_i32 s8, s5, s16
	s_add_i32 s2, s8, s2
	s_mul_i32 s2, s2, s3
	s_add_i32 s42, s2, 1
.LBB58_9:
	s_load_dword s2, s[0:1], 0x38
	s_load_dwordx2 s[24:25], s[0:1], 0x0
	s_load_dwordx2 s[30:31], s[0:1], 0x18
	s_load_dword s19, s[0:1], 0x88
	s_xor_b32 s3, s15, s43
	s_waitcnt lgkmcnt(0)
	s_mul_i32 s28, s20, s2
	s_mul_i32 s2, s12, s23
	s_sub_i32 s2, s11, s2
	s_ashr_i32 s29, s28, 31
	s_add_i32 s8, s12, 1
	s_sub_i32 s9, s2, s23
	s_cmp_ge_u32 s2, s23
	s_cselect_b32 s8, s8, s12
	s_cselect_b32 s2, s9, s2
	s_add_i32 s9, s8, 1
	s_cmp_ge_u32 s2, s23
	s_cselect_b32 s2, s9, s8
	s_xor_b32 s2, s2, s3
	s_sub_i32 s12, s2, s3
	s_add_i32 s2, s21, 7
	s_ashr_i32 s3, s2, 31
	s_lshr_b32 s3, s3, 29
	s_add_i32 s2, s2, s3
	s_ashr_i32 s44, s2, 3
	v_lshrrev_b32_e32 v1, 6, v0
	v_cmp_gt_i32_e64 s[2:3], s44, v1
	v_mov_b32_e32 v12, 0xff7fffff
	s_mul_i32 s14, s10, s14
	v_lshrrev_b32_e32 v8, 4, v0
	v_lshlrev_b32_e32 v7, 3, v1
	v_mbcnt_lo_u32_b32 v9, -1, 0
	s_and_saveexec_b64 s[36:37], s[2:3]
	s_cbranch_execz .LBB58_19
; %bb.10:
	s_load_dwordx2 s[0:1], s[0:1], 0x10
	s_ashr_i32 s15, s14, 31
	s_sub_i32 s16, s12, s17
	s_lshl_b64 s[8:9], s[14:15], 1
	v_bfe_u32 v10, v0, 3, 3
	s_waitcnt lgkmcnt(0)
	s_add_u32 s0, s0, s8
	s_addc_u32 s1, s1, s9
	s_abs_i32 s15, s18
	v_cvt_f32_u32_e32 v2, s15
	v_lshlrev_b32_e32 v14, 4, v10
	v_mov_b32_e32 v15, 0
	s_sub_i32 s8, 0, s15
	v_rcp_iflag_f32_e32 v5, v2
	v_cmp_eq_u32_e32 vcc, 0, v4
	v_lshl_add_u64 v[2:3], s[0:1], 0, v[14:15]
	v_lshlrev_b32_e32 v14, 1, v4
	v_mul_f32_e32 v5, 0x4f7ffffe, v5
	v_cvt_u32_f32_e32 v5, v5
	v_mul_u32_u24_e32 v11, 28, v4
	v_lshlrev_b32_e32 v12, 2, v10
	v_lshl_add_u64 v[2:3], v[2:3], 0, v[14:15]
	v_mul_lo_u32 v4, s8, v5
	s_lshl_b64 s[8:9], s[28:29], 2
	s_add_u32 s8, s26, s8
	v_mul_hi_u32 v4, v5, v4
	v_and_b32_e32 v14, 60, v8
	s_addc_u32 s9, s27, s9
	v_lshl_or_b32 v12, v1, 5, v12
	v_add_u32_e32 v13, v5, v4
	v_lshl_add_u64 v[4:5], s[8:9], 0, v[14:15]
	v_add_u32_e32 v15, 0xf0, v12
	v_subrev_u32_e32 v12, s21, v10
	v_mbcnt_hi_u32_b32 v18, -1, v9
	v_add_u32_e32 v16, 1, v12
	v_and_b32_e32 v12, 64, v18
	s_mov_b32 s34, s13
	v_cmp_neq_f32_e64 s[0:1], s45, 0
	v_lshlrev_b32_e32 v14, 3, v1
	s_mov_b64 s[38:39], 0
	v_mov_b32_e32 v17, 0xff7fffff
	v_add_u32_e32 v19, 64, v12
	v_xor_b32_e32 v20, 4, v18
	v_xor_b32_e32 v21, 2, v18
	;; [unrolled: 1-line block ×3, first 2 shown]
	v_mov_b32_e32 v12, 0xff7fffff
	v_mov_b32_e32 v23, v1
	s_branch .LBB58_13
.LBB58_11:                              ;   in Loop: Header=BB58_13 Depth=1
	s_or_b64 exec, exec, s[40:41]
.LBB58_12:                              ;   in Loop: Header=BB58_13 Depth=1
	s_or_b64 exec, exec, s[10:11]
	v_add_u32_e32 v23, 2, v23
	v_cmp_le_i32_e64 s[8:9], s44, v23
	v_lshl_add_u64 v[4:5], v[4:5], 0, 8
	v_add_u32_e32 v14, 16, v14
	s_or_b64 s[38:39], s[8:9], s[38:39]
	v_add_u32_e32 v15, 64, v15
	s_andn2_b64 exec, exec, s[38:39]
	s_cbranch_execz .LBB58_18
.LBB58_13:                              ; =>This Inner Loop Header: Depth=1
	v_mul_hi_u32 v24, v14, s33
	s_waitcnt lgkmcnt(0)
	v_mul_lo_u32 v25, v24, s23
	v_sub_u32_e32 v25, v14, v25
	v_add_u32_e32 v26, 1, v24
	v_cmp_le_u32_e64 s[8:9], s23, v25
	s_nop 1
	v_cndmask_b32_e64 v24, v24, v26, s[8:9]
	v_subrev_u32_e32 v26, s23, v25
	v_cndmask_b32_e64 v25, v25, v26, s[8:9]
	v_add_u32_e32 v26, 1, v24
	v_cmp_le_u32_e64 s[8:9], s23, v25
	s_nop 1
	v_cndmask_b32_e64 v24, v24, v26, s[8:9]
	v_xor_b32_e32 v24, s43, v24
	v_subrev_u32_e32 v24, s43, v24
	v_add_u32_e32 v25, s42, v24
	v_sub_u32_e32 v27, 0, v25
	v_ashrrev_i32_e32 v26, 31, v25
	v_max_i32_e32 v25, v25, v27
	v_mul_hi_u32 v27, v25, v13
	v_mul_lo_u32 v27, v27, s15
	v_sub_u32_e32 v25, v25, v27
	v_subrev_u32_e32 v27, s15, v25
	v_cmp_le_u32_e64 s[8:9], s15, v25
	v_cmp_ge_i32_e64 s[10:11], s16, v24
	s_nop 0
	v_cndmask_b32_e64 v25, v25, v27, s[8:9]
	v_subrev_u32_e32 v27, s15, v25
	v_cmp_le_u32_e64 s[8:9], s15, v25
	s_nop 1
	v_cndmask_b32_e64 v25, v25, v27, s[8:9]
	v_xor_b32_e32 v25, v25, v26
	v_sub_u32_e32 v25, v25, v26
	v_cmp_ne_u32_e64 s[8:9], 0, v25
	s_and_b64 s[8:9], s[8:9], s[10:11]
	s_and_b64 s[40:41], vcc, s[8:9]
	s_and_saveexec_b64 s[10:11], s[40:41]
	s_cbranch_execz .LBB58_15
; %bb.14:                               ;   in Loop: Header=BB58_13 Depth=1
	ds_write_b32 v15, v17
.LBB58_15:                              ;   in Loop: Header=BB58_13 Depth=1
	s_or_b64 exec, exec, s[10:11]
	s_xor_b64 s[8:9], s[8:9], -1
	s_and_saveexec_b64 s[10:11], s[8:9]
	s_cbranch_execz .LBB58_12
; %bb.16:                               ;   in Loop: Header=BB58_13 Depth=1
	global_load_dword v24, v[4:5], off
	s_waitcnt vmcnt(0)
	v_mad_i64_i32 v[24:25], s[8:9], v24, s34, 0
	v_lshl_add_u64 v[24:25], v[24:25], 1, v[2:3]
	global_load_ushort v26, v[24:25], off
	global_load_ushort v27, v[24:25], off offset:128
	global_load_ushort v28, v[24:25], off offset:256
	;; [unrolled: 1-line block ×10, first 2 shown]
	ds_read_u16 v37, v11
	global_load_ushort v38, v[24:25], off offset:1408
	global_load_ushort v39, v[24:25], off offset:1536
	;; [unrolled: 1-line block ×3, first 2 shown]
	s_waitcnt lgkmcnt(0)
	;;#ASMSTART
	v_cvt_f32_f16 v24, v37;
	;;#ASMEND
	v_cmp_lt_i32_e64 s[8:9], v20, v19
	s_waitcnt vmcnt(13)
	;;#ASMSTART
	v_cvt_f32_f16 v25, v26;
	;;#ASMEND
	ds_read_u16 v26, v11 offset:2
	s_waitcnt lgkmcnt(0)
	;;#ASMSTART
	v_cvt_f32_f16 v26, v26;
	;;#ASMEND
	s_waitcnt vmcnt(12)
	;;#ASMSTART
	v_cvt_f32_f16 v27, v27;
	;;#ASMEND
	ds_read_u16 v37, v11 offset:4
	v_mul_f32_e32 v26, v26, v27
	v_fmac_f32_e32 v26, v24, v25
	s_waitcnt lgkmcnt(0)
	;;#ASMSTART
	v_cvt_f32_f16 v37, v37;
	;;#ASMEND
	s_waitcnt vmcnt(11)
	;;#ASMSTART
	v_cvt_f32_f16 v28, v28;
	;;#ASMEND
	ds_read_u16 v41, v11 offset:6
	v_fmac_f32_e32 v26, v37, v28
	s_waitcnt lgkmcnt(0)
	;;#ASMSTART
	v_cvt_f32_f16 v41, v41;
	;;#ASMEND
	s_waitcnt vmcnt(10)
	;;#ASMSTART
	v_cvt_f32_f16 v29, v29;
	;;#ASMEND
	ds_read_u16 v42, v11 offset:8
	;; [unrolled: 10-line block ×10, first 2 shown]
	v_fmac_f32_e32 v26, v24, v25
	v_cndmask_b32_e64 v49, v18, v20, s[8:9]
	s_waitcnt lgkmcnt(0)
	;;#ASMSTART
	v_cvt_f32_f16 v28, v28;
	;;#ASMEND
	s_waitcnt vmcnt(1)
	;;#ASMSTART
	v_cvt_f32_f16 v29, v39;
	;;#ASMEND
	v_lshlrev_b32_e32 v49, 2, v49
	v_fmac_f32_e32 v26, v28, v29
	ds_read_u16 v30, v11 offset:26
	s_waitcnt lgkmcnt(0)
	;;#ASMSTART
	v_cvt_f32_f16 v24, v30;
	;;#ASMEND
	s_waitcnt vmcnt(0)
	;;#ASMSTART
	v_cvt_f32_f16 v25, v40;
	;;#ASMEND
	v_cmp_lt_i32_e64 s[8:9], v21, v19
	v_fmac_f32_e32 v26, v24, v25
	ds_bpermute_b32 v24, v49, v26
	v_cndmask_b32_e64 v25, v18, v21, s[8:9]
	v_lshlrev_b32_e32 v25, 2, v25
	v_cmp_lt_i32_e64 s[8:9], v22, v19
	s_waitcnt lgkmcnt(0)
	v_add_f32_e32 v24, v26, v24
	ds_bpermute_b32 v25, v25, v24
	v_cndmask_b32_e64 v26, v18, v22, s[8:9]
	s_waitcnt lgkmcnt(0)
	v_add_f32_e32 v24, v24, v25
	v_lshlrev_b32_e32 v25, 2, v26
	ds_bpermute_b32 v25, v25, v24
	s_and_saveexec_b64 s[40:41], vcc
	s_cbranch_execz .LBB58_11
; %bb.17:                               ;   in Loop: Header=BB58_13 Depth=1
	v_add_u32_e32 v26, v16, v14
	v_cvt_f32_i32_e32 v26, v26
	s_waitcnt lgkmcnt(0)
	v_add_f32_e32 v24, v24, v25
	v_add_u32_e32 v27, v10, v14
	v_cmp_gt_i32_e64 s[8:9], s21, v27
	v_mul_f32_e32 v25, s45, v26
	v_cndmask_b32_e64 v25, 0, v25, s[0:1]
	v_fmac_f32_e32 v25, s35, v24
	v_cndmask_b32_e64 v24, 0, v25, s[8:9]
	ds_write_b32 v15, v24
	v_max_f32_e32 v24, v12, v12
	v_max_f32_e32 v24, v24, v25
	v_cndmask_b32_e64 v12, v12, v24, s[8:9]
	s_branch .LBB58_11
.LBB58_18:
	s_or_b64 exec, exec, s[38:39]
.LBB58_19:
	s_or_b64 exec, exec, s[36:37]
	v_mbcnt_hi_u32_b32 v2, -1, v9
	v_and_b32_e32 v3, 64, v2
	v_add_u32_e32 v3, 64, v3
	v_xor_b32_e32 v4, 32, v2
	v_cmp_lt_i32_e32 vcc, v4, v3
	v_xor_b32_e32 v10, 16, v2
	v_max_f32_e32 v9, v12, v12
	v_cndmask_b32_e32 v4, v2, v4, vcc
	v_lshlrev_b32_e32 v5, 2, v4
	ds_bpermute_b32 v4, v5, v12
	v_cmp_lt_i32_e32 vcc, v10, v3
	v_xor_b32_e32 v11, 8, v2
	v_and_b32_e32 v16, 63, v0
	s_waitcnt lgkmcnt(0)
	v_max_f32_e32 v4, v4, v4
	v_max_f32_e32 v4, v9, v4
	v_cndmask_b32_e32 v9, v2, v10, vcc
	v_lshlrev_b32_e32 v10, 2, v9
	ds_bpermute_b32 v9, v10, v4
	v_cmp_lt_i32_e32 vcc, v11, v3
	s_waitcnt lgkmcnt(0)
	v_max_f32_e32 v9, v9, v9
	v_max_f32_e32 v9, v4, v9
	v_cndmask_b32_e32 v4, v2, v11, vcc
	v_lshlrev_b32_e32 v12, 2, v4
	ds_bpermute_b32 v11, v12, v9
	v_cmp_eq_u32_e32 vcc, 0, v16
	v_lshlrev_b32_e32 v4, 2, v1
	s_and_saveexec_b64 s[0:1], vcc
	s_cbranch_execz .LBB58_21
; %bb.20:
	s_waitcnt lgkmcnt(0)
	v_max_f32_e32 v11, v11, v11
	v_max_f32_e32 v9, v9, v9
	;; [unrolled: 1-line block ×3, first 2 shown]
	ds_write_b32 v4, v9 offset:224
.LBB58_21:
	s_or_b64 exec, exec, s[0:1]
	v_cmp_gt_u32_e64 s[0:1], 2, v16
	v_mov_b32_e32 v13, 0xff7fffff
	v_lshlrev_b32_e32 v9, 2, v16
	s_waitcnt lgkmcnt(0)
	s_barrier
	s_and_saveexec_b64 s[8:9], s[0:1]
	s_cbranch_execz .LBB58_23
; %bb.22:
	ds_read_b32 v13, v9 offset:224
.LBB58_23:
	s_or_b64 exec, exec, s[8:9]
	v_xor_b32_e32 v11, 1, v2
	v_cmp_lt_i32_e64 s[8:9], v11, v3
	v_lshlrev_b32_e32 v15, 2, v2
	s_nop 0
	v_cndmask_b32_e64 v11, v2, v11, s[8:9]
	v_lshlrev_b32_e32 v11, 2, v11
	s_waitcnt lgkmcnt(0)
	ds_bpermute_b32 v14, v11, v13
	v_max_f32_e32 v13, v13, v13
	s_lshl_b32 s8, s44, 3
	s_min_i32 s15, s8, s21
	v_cmp_gt_i32_e64 s[8:9], s15, v0
	s_waitcnt lgkmcnt(0)
	v_max_f32_e32 v14, v14, v14
	v_max_f32_e32 v14, v13, v14
	v_and_b32_e32 v13, 0x100, v15
	ds_bpermute_b32 v15, v13, v14
	v_mov_b32_e32 v14, 0
	s_and_saveexec_b64 s[34:35], s[8:9]
	s_cbranch_execz .LBB58_27
; %bb.24:
	v_mov_b32_e32 v14, 0xf0
	v_lshl_add_u32 v17, v0, 2, v14
	s_mov_b64 s[36:37], 0
	v_mov_b32_e32 v14, 0
	v_mov_b32_e32 v18, v0
.LBB58_25:                              ; =>This Inner Loop Header: Depth=1
	ds_read_b32 v19, v17
	v_add_u32_e32 v18, 0x80, v18
	v_cmp_le_i32_e64 s[10:11], s15, v18
	s_or_b64 s[36:37], s[10:11], s[36:37]
	s_waitcnt lgkmcnt(0)
	v_sub_f32_e32 v19, v19, v15
	v_mul_f32_e32 v19, 0x3fb8aa3b, v19
	v_exp_f32_e32 v19, v19
	ds_write_b32 v17, v19
	v_add_f32_e32 v14, v14, v19
	v_add_u32_e32 v17, 0x200, v17
	s_andn2_b64 exec, exec, s[36:37]
	s_cbranch_execnz .LBB58_25
; %bb.26:
	s_or_b64 exec, exec, s[36:37]
.LBB58_27:
	s_or_b64 exec, exec, s[34:35]
	ds_bpermute_b32 v5, v5, v14
	s_waitcnt lgkmcnt(0)
	v_add_f32_e32 v5, v14, v5
	ds_bpermute_b32 v10, v10, v5
	s_waitcnt lgkmcnt(0)
	v_add_f32_e32 v5, v5, v10
	ds_bpermute_b32 v10, v12, v5
	v_xor_b32_e32 v12, 4, v2
	v_cmp_lt_i32_e64 s[10:11], v12, v3
	s_waitcnt lgkmcnt(0)
	v_add_f32_e32 v5, v5, v10
	v_cndmask_b32_e64 v12, v2, v12, s[10:11]
	v_lshlrev_b32_e32 v12, 2, v12
	ds_bpermute_b32 v10, v12, v5
	v_xor_b32_e32 v12, 2, v2
	v_cmp_lt_i32_e64 s[10:11], v12, v3
	s_waitcnt lgkmcnt(0)
	v_add_f32_e32 v3, v5, v10
	v_cndmask_b32_e64 v2, v2, v12, s[10:11]
	v_lshlrev_b32_e32 v2, 2, v2
	ds_bpermute_b32 v2, v2, v3
	s_waitcnt lgkmcnt(0)
	v_add_f32_e32 v2, v3, v2
	ds_bpermute_b32 v3, v11, v2
	s_waitcnt lgkmcnt(0)
	v_add_f32_e32 v2, v2, v3
	s_and_saveexec_b64 s[10:11], vcc
	s_cbranch_execz .LBB58_29
; %bb.28:
	ds_write_b32 v4, v2 offset:232
.LBB58_29:
	s_or_b64 exec, exec, s[10:11]
	s_waitcnt lgkmcnt(0)
	s_barrier
	s_and_saveexec_b64 s[10:11], s[0:1]
	s_cbranch_execz .LBB58_31
; %bb.30:
	ds_read_b32 v2, v9 offset:232
.LBB58_31:
	s_or_b64 exec, exec, s[10:11]
	s_waitcnt lgkmcnt(0)
	ds_bpermute_b32 v3, v11, v2
	s_waitcnt lgkmcnt(0)
	v_add_f32_e32 v2, v2, v3
	ds_bpermute_b32 v2, v13, v2
	s_and_saveexec_b64 s[0:1], s[8:9]
	s_cbranch_execz .LBB58_44
; %bb.32:
	s_waitcnt lgkmcnt(0)
	v_add_f32_e32 v2, 0x358637bd, v2
	v_div_scale_f32 v3, s[8:9], v2, v2, 1.0
	v_rcp_f32_e32 v4, v3
	v_div_scale_f32 v5, vcc, 1.0, v2, 1.0
	s_movk_i32 s8, 0x7f
	v_fma_f32 v9, -v3, v4, 1.0
	v_fmac_f32_e32 v4, v9, v4
	v_mul_f32_e32 v9, v5, v4
	v_fma_f32 v10, -v3, v9, v5
	v_fmac_f32_e32 v9, v10, v4
	v_fma_f32 v3, -v3, v9, v5
	v_div_fmas_f32 v3, v3, v4, v9
	v_xad_u32 v4, v0, -1, s15
	v_div_fixup_f32 v2, v3, v2, 1.0
	v_cmp_lt_u32_e32 vcc, s8, v4
	s_mov_b64 s[10:11], -1
	v_mov_b32_e32 v3, v0
	s_and_saveexec_b64 s[8:9], vcc
	s_cbranch_execz .LBB58_41
; %bb.33:
	v_lshrrev_b32_e32 v4, 7, v4
	v_add_u32_e32 v9, -1, v4
	v_lshrrev_b32_e32 v5, 1, v9
	v_mov_b32_e32 v3, v2
	v_add_u32_e32 v5, 1, v5
	v_cmp_lt_u32_e32 vcc, 13, v9
	v_mov_b32_e32 v11, 0
	s_and_saveexec_b64 s[10:11], vcc
	s_cbranch_execz .LBB58_37
; %bb.34:
	v_mov_b32_e32 v10, 0xf0
	v_and_b32_e32 v9, -8, v5
	v_lshl_add_u32 v10, v0, 2, v10
	s_mov_b32 s16, 0
	s_mov_b64 s[34:35], 0
.LBB58_35:                              ; =>This Inner Loop Header: Depth=1
	ds_read2st64_b32 v[12:13], v10 offset1:2
	ds_read2st64_b32 v[14:15], v10 offset0:4 offset1:6
	ds_read2st64_b32 v[18:19], v10 offset0:8 offset1:10
	;; [unrolled: 1-line block ×3, first 2 shown]
	v_add_u32_e32 v9, -8, v9
	s_waitcnt lgkmcnt(3)
	v_pk_mul_f32 v[12:13], v[2:3], v[12:13]
	s_waitcnt lgkmcnt(2)
	v_pk_mul_f32 v[14:15], v[2:3], v[14:15]
	ds_write2st64_b32 v10, v12, v13 offset1:2
	ds_write2st64_b32 v10, v14, v15 offset0:4 offset1:6
	ds_read2st64_b32 v[14:15], v10 offset0:16 offset1:18
	s_waitcnt lgkmcnt(4)
	v_pk_mul_f32 v[12:13], v[2:3], v[18:19]
	ds_write2st64_b32 v10, v12, v13 offset0:8 offset1:10
	s_waitcnt lgkmcnt(4)
	v_pk_mul_f32 v[12:13], v[2:3], v[20:21]
	ds_write2st64_b32 v10, v12, v13 offset0:12 offset1:14
	ds_read2st64_b32 v[12:13], v10 offset0:20 offset1:22
	s_waitcnt lgkmcnt(3)
	v_pk_mul_f32 v[14:15], v[2:3], v[14:15]
	ds_read2st64_b32 v[18:19], v10 offset0:24 offset1:26
	ds_write2st64_b32 v10, v14, v15 offset0:16 offset1:18
	ds_read2st64_b32 v[14:15], v10 offset0:28 offset1:30
	s_waitcnt lgkmcnt(3)
	v_pk_mul_f32 v[12:13], v[2:3], v[12:13]
	ds_write2st64_b32 v10, v12, v13 offset0:20 offset1:22
	s_waitcnt lgkmcnt(3)
	v_pk_mul_f32 v[12:13], v[2:3], v[18:19]
	ds_write2st64_b32 v10, v12, v13 offset0:24 offset1:26
	s_waitcnt lgkmcnt(2)
	v_pk_mul_f32 v[12:13], v[2:3], v[14:15]
	s_add_i32 s16, s16, 16
	v_cmp_eq_u32_e32 vcc, 0, v9
	ds_write2st64_b32 v10, v12, v13 offset0:28 offset1:30
	v_add_u32_e32 v10, 0x2000, v10
	s_or_b64 s[34:35], vcc, s[34:35]
	v_mov_b32_e32 v11, s16
	s_andn2_b64 exec, exec, s[34:35]
	s_cbranch_execnz .LBB58_35
; %bb.36:
	s_or_b64 exec, exec, s[34:35]
.LBB58_37:
	s_or_b64 exec, exec, s[10:11]
	v_and_b32_e32 v5, 7, v5
	v_cmp_ne_u32_e32 vcc, 0, v5
	s_and_saveexec_b64 s[10:11], vcc
	s_cbranch_execz .LBB58_40
; %bb.38:
	v_lshlrev_b32_e32 v9, 9, v11
	v_lshlrev_b32_e32 v10, 2, v0
	s_movk_i32 s16, 0xf0
	v_add3_u32 v9, v9, v10, s16
	s_mov_b64 s[34:35], 0
.LBB58_39:                              ; =>This Inner Loop Header: Depth=1
	ds_read2st64_b32 v[10:11], v9 offset1:2
	v_add_u32_e32 v5, -1, v5
	v_cmp_eq_u32_e32 vcc, 0, v5
	s_or_b64 s[34:35], vcc, s[34:35]
	s_waitcnt lgkmcnt(0)
	v_pk_mul_f32 v[10:11], v[2:3], v[10:11]
	ds_write2st64_b32 v9, v10, v11 offset1:2
	v_add_u32_e32 v9, 0x400, v9
	s_andn2_b64 exec, exec, s[34:35]
	s_cbranch_execnz .LBB58_39
.LBB58_40:
	s_or_b64 exec, exec, s[10:11]
	v_add_u32_e32 v4, 1, v4
	v_and_b32_e32 v5, 0x3fffffe, v4
	v_cmp_ne_u32_e32 vcc, v4, v5
	v_lshl_add_u32 v3, v5, 7, v0
	s_orn2_b64 s[10:11], vcc, exec
.LBB58_41:
	s_or_b64 exec, exec, s[8:9]
	s_and_b64 exec, exec, s[10:11]
	s_cbranch_execz .LBB58_44
; %bb.42:
	v_mov_b32_e32 v4, 0xf0
	v_lshl_add_u32 v4, v3, 2, v4
	s_mov_b64 s[8:9], 0
.LBB58_43:                              ; =>This Inner Loop Header: Depth=1
	ds_read_b32 v5, v4
	v_add_u32_e32 v3, 0x80, v3
	v_cmp_le_i32_e32 vcc, s15, v3
	s_or_b64 s[8:9], vcc, s[8:9]
	s_waitcnt lgkmcnt(0)
	v_mul_f32_e32 v5, v2, v5
	ds_write_b32 v4, v5
	v_add_u32_e32 v4, 0x200, v4
	s_andn2_b64 exec, exec, s[8:9]
	s_cbranch_execnz .LBB58_43
.LBB58_44:
	s_or_b64 exec, exec, s[0:1]
	v_mov_b32_e32 v18, 0
	v_mov_b32_e32 v17, 0
	s_waitcnt lgkmcnt(0)
	s_barrier
	s_and_saveexec_b64 s[8:9], s[2:3]
	s_cbranch_execz .LBB58_56
; %bb.45:
	s_ashr_i32 s15, s14, 31
	s_sub_i32 s34, s12, s17
	s_lshl_b64 s[0:1], s[14:15], 1
	s_add_u32 s10, s30, s0
	s_addc_u32 s11, s31, s1
	s_abs_i32 s18, s18
	v_cvt_f32_u32_e32 v5, s18
	v_or_b32_e32 v3, 64, v16
	s_movk_i32 s0, 0x70
	v_cmp_gt_u32_e32 vcc, s0, v3
	v_lshlrev_b32_e32 v4, 3, v3
	v_rcp_iflag_f32_e32 v3, v5
	s_sub_i32 s0, 0, s18
	s_add_i32 s30, s44, -1
	v_lshlrev_b32_e32 v2, 3, v16
	v_mul_f32_e32 v3, 0x4f7ffffe, v3
	v_cvt_u32_f32_e32 v3, v3
	v_mov_b32_e32 v9, 0
	v_and_b32_e32 v8, 60, v8
	s_mov_b32 s35, s13
	v_mul_lo_u32 v5, s0, v3
	s_lshl_b64 s[0:1], s[28:29], 2
	v_mul_hi_u32 v5, v3, v5
	s_add_u32 s0, s26, s0
	v_add_u32_e32 v19, v3, v5
	s_addc_u32 s1, s27, s1
	v_mov_b32_e32 v3, 0xf0
	s_mov_b32 s31, s21
	s_mov_b32 s36, s21
	s_mov_b32 s37, s21
	s_mov_b32 s38, s21
	s_mov_b32 s39, s21
	s_mov_b32 s40, s21
	s_mov_b32 s41, s21
	v_lshl_add_u64 v[10:11], s[0:1], 0, v[8:9]
	v_lshl_add_u32 v20, v1, 5, v3
	s_mov_b64 s[12:13], 0
	v_lshlrev_b32_e32 v8, 1, v2
	s_mov_b32 s26, 0x5040100
	v_lshlrev_b32_e32 v12, 1, v4
	v_mov_b32_e32 v17, v9
	v_mov_b32_e32 v18, v9
	s_branch .LBB58_49
.LBB58_46:                              ;   in Loop: Header=BB58_49 Depth=1
	s_or_b64 exec, exec, s[16:17]
	s_waitcnt vmcnt(0)
	;;#ASMSTART
	v_pk_mul_f16 v2, v26, v2;

	;;#ASMEND
	;;#ASMSTART
	v_pk_mul_f16 v3, v25, v3;

	;;#ASMEND
	;; [unrolled: 4-line block ×4, first 2 shown]
	s_nop 0
	;;#ASMSTART
	v_pk_add_f16 v2, v2, v3;

	;;#ASMEND
	s_nop 0
	;;#ASMSTART
	v_pk_add_f16 v2, v2, v4;

	;;#ASMEND
	;; [unrolled: 5-line block ×3, first 2 shown]
	s_nop 0
	v_lshrrev_b32_e32 v3, 16, v2
	v_and_b32_e32 v2, 0xffff, v2
	;;#ASMSTART
	v_cvt_f32_f16 v2, v2;
	;;#ASMEND
	;;#ASMSTART
	v_cvt_f32_f16 v3, v3;
	;;#ASMEND
	s_nop 0
	v_add_f32_e32 v2, v2, v3
	v_add_f32_e32 v17, v17, v2
.LBB58_47:                              ;   in Loop: Header=BB58_49 Depth=1
	s_or_b64 exec, exec, s[2:3]
	v_add_f32_e32 v2, v21, v22
	v_add_f32_e32 v18, v18, v2
.LBB58_48:                              ;   in Loop: Header=BB58_49 Depth=1
	s_or_b64 exec, exec, s[14:15]
	v_add_u32_e32 v1, 2, v1
	v_cmp_le_i32_e64 s[0:1], s44, v1
	v_lshl_add_u64 v[10:11], v[10:11], 0, 8
	v_add_u32_e32 v7, 16, v7
	s_or_b64 s[12:13], s[0:1], s[12:13]
	v_add_u32_e32 v20, 64, v20
	s_andn2_b64 exec, exec, s[12:13]
	s_cbranch_execz .LBB58_55
.LBB58_49:                              ; =>This Inner Loop Header: Depth=1
	v_mul_hi_u32 v2, v7, s33
	v_mul_lo_u32 v3, v2, s23
	v_sub_u32_e32 v3, v7, v3
	v_add_u32_e32 v4, 1, v2
	v_cmp_le_u32_e64 s[0:1], s23, v3
	s_nop 1
	v_cndmask_b32_e64 v2, v2, v4, s[0:1]
	v_subrev_u32_e32 v4, s23, v3
	v_cndmask_b32_e64 v3, v3, v4, s[0:1]
	v_add_u32_e32 v4, 1, v2
	v_cmp_le_u32_e64 s[0:1], s23, v3
	s_nop 1
	v_cndmask_b32_e64 v2, v2, v4, s[0:1]
	v_xor_b32_e32 v2, s43, v2
	v_subrev_u32_e32 v2, s43, v2
	v_add_u32_e32 v3, s42, v2
	v_sub_u32_e32 v5, 0, v3
	v_ashrrev_i32_e32 v4, 31, v3
	v_max_i32_e32 v3, v3, v5
	v_mul_hi_u32 v5, v3, v19
	v_mul_lo_u32 v5, v5, s18
	v_sub_u32_e32 v3, v3, v5
	v_subrev_u32_e32 v5, s18, v3
	v_cmp_le_u32_e64 s[0:1], s18, v3
	v_cmp_lt_i32_e64 s[2:3], s34, v2
	s_nop 0
	v_cndmask_b32_e64 v3, v3, v5, s[0:1]
	v_subrev_u32_e32 v5, s18, v3
	v_cmp_le_u32_e64 s[0:1], s18, v3
	s_nop 1
	v_cndmask_b32_e64 v3, v3, v5, s[0:1]
	v_xor_b32_e32 v3, v3, v4
	v_sub_u32_e32 v3, v3, v4
	v_cmp_eq_u32_e64 s[0:1], 0, v3
	s_or_b64 s[0:1], s[0:1], s[2:3]
	s_and_saveexec_b64 s[14:15], s[0:1]
	s_cbranch_execz .LBB58_48
; %bb.50:                               ;   in Loop: Header=BB58_49 Depth=1
	global_load_dword v14, v[10:11], off
	ds_read2_b64 v[2:5], v20 offset1:1
	ds_read2_b64 v[26:29], v20 offset0:2 offset1:3
	s_waitcnt lgkmcnt(1)
	;;#ASMSTART
	v_cvt_f16_f32 v13, v2;

	;;#ASMEND
	;;#ASMSTART
	v_cvt_f16_f32 v21, v3;

	;;#ASMEND
	;; [unrolled: 4-line block ×4, first 2 shown]
	s_waitcnt lgkmcnt(0)
	;;#ASMSTART
	v_cvt_f16_f32 v24, v26;

	;;#ASMEND
	;;#ASMSTART
	v_cvt_f16_f32 v27, v27;

	;;#ASMEND
	;;#ASMSTART
	v_cvt_f16_f32 v28, v28;

	;;#ASMEND
	;;#ASMSTART
	v_cvt_f16_f32 v29, v29;

	;;#ASMEND
	s_waitcnt vmcnt(0)
	v_mad_i64_i32 v[2:3], s[0:1], v14, s35, 0
	v_lshl_add_u64 v[14:15], v[2:3], 1, s[10:11]
	v_lshl_add_u64 v[2:3], v[14:15], 0, v[8:9]
	global_load_dwordx4 v[2:5], v[2:3], off
	v_cmp_eq_u32_e64 s[0:1], s30, v1
	s_and_saveexec_b64 s[16:17], s[0:1]
	s_cbranch_execz .LBB58_52
; %bb.51:                               ;   in Loop: Header=BB58_49 Depth=1
	v_or_b32_e32 v33, 7, v7
	v_or_b32_e32 v34, 6, v7
	s_waitcnt vmcnt(0)
	v_lshrrev_b32_e32 v35, 16, v5
	v_cmp_gt_i32_e64 s[2:3], s41, v33
	v_or_b32_e32 v31, 5, v7
	v_or_b32_e32 v32, 4, v7
	v_cndmask_b32_e64 v33, 0, v35, s[2:3]
	v_cmp_gt_i32_e64 s[2:3], s40, v34
	v_or_b32_e32 v26, 3, v7
	v_or_b32_e32 v30, 2, v7
	v_cndmask_b32_e64 v5, 0, v5, s[2:3]
	v_perm_b32 v5, v33, v5, s26
	v_lshrrev_b32_e32 v33, 16, v4
	v_cmp_gt_i32_e64 s[2:3], s39, v31
	v_add_u32_e32 v25, 1, v7
	s_nop 0
	v_cndmask_b32_e64 v31, 0, v33, s[2:3]
	v_cmp_gt_i32_e64 s[2:3], s38, v32
	s_nop 1
	v_cndmask_b32_e64 v4, 0, v4, s[2:3]
	v_perm_b32 v4, v31, v4, s26
	v_lshrrev_b32_e32 v31, 16, v3
	v_cmp_gt_i32_e64 s[2:3], s37, v26
	s_nop 1
	v_cndmask_b32_e64 v26, 0, v31, s[2:3]
	v_cmp_gt_i32_e64 s[2:3], s36, v30
	s_nop 1
	v_cndmask_b32_e64 v3, 0, v3, s[2:3]
	v_perm_b32 v3, v26, v3, s26
	v_lshrrev_b32_e32 v26, 16, v2
	v_cmp_gt_i32_e64 s[2:3], s31, v25
	s_nop 1
	v_cndmask_b32_e64 v25, 0, v26, s[2:3]
	v_cmp_gt_i32_e64 s[2:3], s21, v7
	s_nop 1
	v_cndmask_b32_e64 v2, 0, v2, s[2:3]
	v_perm_b32 v2, v25, v2, s26
.LBB58_52:                              ;   in Loop: Header=BB58_49 Depth=1
	s_or_b64 exec, exec, s[16:17]
	v_and_b32_e32 v13, 0xffff, v13
	v_lshl_or_b32 v26, v21, 16, v13
	v_and_b32_e32 v13, 0xffff, v22
	v_lshl_or_b32 v25, v23, 16, v13
	;; [unrolled: 2-line block ×3, first 2 shown]
	v_and_b32_e32 v13, 0xffff, v28
	s_waitcnt vmcnt(0)
	;;#ASMSTART
	v_pk_mul_f16 v2, v26, v2;

	;;#ASMEND
	v_lshl_or_b32 v23, v29, 16, v13
	;;#ASMSTART
	v_pk_mul_f16 v3, v25, v3;

	;;#ASMEND
	;;#ASMSTART
	v_pk_mul_f16 v4, v24, v4;

	;;#ASMEND
	;; [unrolled: 4-line block ×3, first 2 shown]
	s_nop 0
	;;#ASMSTART
	v_pk_add_f16 v2, v2, v3;

	;;#ASMEND
	s_nop 0
	;;#ASMSTART
	v_pk_add_f16 v2, v2, v4;

	;;#ASMEND
	;; [unrolled: 5-line block ×3, first 2 shown]
	s_nop 0
	v_lshrrev_b32_e32 v3, 16, v2
	v_and_b32_e32 v2, 0xffff, v2
	;;#ASMSTART
	v_cvt_f32_f16 v21, v2;
	;;#ASMEND
	;;#ASMSTART
	v_cvt_f32_f16 v22, v3;
	;;#ASMEND
	s_and_saveexec_b64 s[2:3], vcc
	s_cbranch_execz .LBB58_47
; %bb.53:                               ;   in Loop: Header=BB58_49 Depth=1
	v_mov_b32_e32 v13, v9
	v_lshl_add_u64 v[2:3], v[14:15], 0, v[12:13]
	global_load_dwordx4 v[2:5], v[2:3], off
	s_and_saveexec_b64 s[16:17], s[0:1]
	s_cbranch_execz .LBB58_46
; %bb.54:                               ;   in Loop: Header=BB58_49 Depth=1
	v_or_b32_e32 v29, 7, v7
	v_or_b32_e32 v30, 6, v7
	s_waitcnt vmcnt(0)
	v_lshrrev_b32_e32 v31, 16, v5
	v_cmp_gt_i32_e64 s[0:1], s41, v29
	v_or_b32_e32 v27, 5, v7
	v_or_b32_e32 v28, 4, v7
	v_cndmask_b32_e64 v29, 0, v31, s[0:1]
	v_cmp_gt_i32_e64 s[0:1], s40, v30
	v_or_b32_e32 v14, 3, v7
	v_or_b32_e32 v15, 2, v7
	v_cndmask_b32_e64 v5, 0, v5, s[0:1]
	v_perm_b32 v5, v29, v5, s26
	v_lshrrev_b32_e32 v29, 16, v4
	v_cmp_gt_i32_e64 s[0:1], s39, v27
	v_add_u32_e32 v13, 1, v7
	s_nop 0
	v_cndmask_b32_e64 v27, 0, v29, s[0:1]
	v_cmp_gt_i32_e64 s[0:1], s38, v28
	s_nop 1
	v_cndmask_b32_e64 v4, 0, v4, s[0:1]
	v_perm_b32 v4, v27, v4, s26
	v_lshrrev_b32_e32 v27, 16, v3
	v_cmp_gt_i32_e64 s[0:1], s37, v14
	s_nop 1
	v_cndmask_b32_e64 v14, 0, v27, s[0:1]
	v_cmp_gt_i32_e64 s[0:1], s36, v15
	s_nop 1
	v_cndmask_b32_e64 v3, 0, v3, s[0:1]
	v_perm_b32 v3, v14, v3, s26
	v_lshrrev_b32_e32 v14, 16, v2
	v_cmp_gt_i32_e64 s[0:1], s31, v13
	s_nop 1
	v_cndmask_b32_e64 v13, 0, v14, s[0:1]
	v_cmp_gt_i32_e64 s[0:1], s21, v7
	s_nop 1
	v_cndmask_b32_e64 v2, 0, v2, s[0:1]
	v_perm_b32 v2, v13, v2, s26
	s_branch .LBB58_46
.LBB58_55:
	s_or_b64 exec, exec, s[12:13]
.LBB58_56:
	s_or_b64 exec, exec, s[8:9]
	v_and_b32_e32 v1, 0x3c0, v0
	v_cmp_eq_u32_e32 vcc, 64, v1
	s_barrier
	s_and_saveexec_b64 s[0:1], vcc
	s_cbranch_execz .LBB58_59
; %bb.57:
	v_mov_b32_e32 v1, 0xf0
	v_lshl_add_u32 v2, v16, 2, v1
	ds_write_b32 v2, v18
	s_and_b64 exec, exec, s[6:7]
	s_cbranch_execz .LBB58_59
; %bb.58:
	v_lshl_add_u32 v1, v0, 2, v1
	ds_write_b32 v1, v17
.LBB58_59:
	s_or_b64 exec, exec, s[0:1]
	v_cmp_gt_u32_e32 vcc, 64, v0
	v_or_b32_e32 v1, 64, v0
	s_waitcnt lgkmcnt(0)
	s_barrier
	s_and_saveexec_b64 s[2:3], vcc
	s_cbranch_execz .LBB58_63
; %bb.60:
	v_mov_b32_e32 v2, 0xf0
	v_lshl_add_u32 v2, v0, 2, v2
	ds_read_b32 v0, v2
	s_movk_i32 s0, 0x70
	v_cmp_gt_u32_e64 s[0:1], s0, v1
	s_and_saveexec_b64 s[6:7], s[0:1]
	s_cbranch_execz .LBB58_62
; %bb.61:
	ds_read_b32 v2, v2 offset:256
	s_waitcnt lgkmcnt(0)
	v_add_f32_e32 v17, v17, v2
.LBB58_62:
	s_or_b64 exec, exec, s[6:7]
	s_waitcnt lgkmcnt(0)
	v_add_f32_e32 v18, v18, v0
.LBB58_63:
	s_or_b64 exec, exec, s[2:3]
	s_barrier
	s_and_saveexec_b64 s[0:1], vcc
	s_cbranch_execz .LBB58_66
; %bb.64:
	s_mul_i32 s0, s20, s19
	s_mul_i32 s0, s0, s5
	s_mulk_i32 s0, 0x70
	s_ashr_i32 s1, s0, 31
	s_lshl_b64 s[0:1], s[0:1], 1
	s_add_u32 s3, s24, s0
	s_mul_i32 s0, s19, s22
	s_addc_u32 s5, s25, s1
	s_ashr_i32 s1, s0, 31
	s_lshl_b64 s[0:1], s[0:1], 1
	s_add_u32 s3, s3, s0
	s_mul_i32 s0, s4, 0x70
	s_addc_u32 s5, s5, s1
	s_ashr_i32 s1, s0, 31
	s_lshl_b64 s[0:1], s[0:1], 1
	s_movk_i32 s2, 0x70
	s_add_u32 s0, s3, s0
	s_addc_u32 s1, s5, s1
	v_cmp_gt_u32_e32 vcc, s2, v1
	;;#ASMSTART
	v_cvt_f16_f32 v0, v18;

	;;#ASMEND
	global_store_short v6, v0, s[0:1]
	s_and_b64 exec, exec, vcc
	s_cbranch_execz .LBB58_66
; %bb.65:
	v_mov_b32_e32 v7, 0
	v_lshl_add_u64 v[0:1], s[0:1], 0, v[6:7]
	;;#ASMSTART
	v_cvt_f16_f32 v2, v17;

	;;#ASMEND
	global_store_short v[0:1], v2, off offset:128
.LBB58_66:
	s_endpgm
	.section	.rodata,"a",@progbits
	.p2align	6, 0x0
	.amdhsa_kernel _ZN4vllm25paged_attention_v1_kernelIttLi112ELi8ELi128ELNS_18Fp8KVCacheDataTypeE0ELb1EEEvPT_PKS2_PKT0_S8_ifPKiSA_iPKfiiiSC_SC_iiiii
		.amdhsa_group_segment_fixed_size 240
		.amdhsa_private_segment_fixed_size 0
		.amdhsa_kernarg_size 384
		.amdhsa_user_sgpr_count 2
		.amdhsa_user_sgpr_dispatch_ptr 0
		.amdhsa_user_sgpr_queue_ptr 0
		.amdhsa_user_sgpr_kernarg_segment_ptr 1
		.amdhsa_user_sgpr_dispatch_id 0
		.amdhsa_user_sgpr_kernarg_preload_length 0
		.amdhsa_user_sgpr_kernarg_preload_offset 0
		.amdhsa_user_sgpr_private_segment_size 0
		.amdhsa_uses_dynamic_stack 0
		.amdhsa_enable_private_segment 0
		.amdhsa_system_sgpr_workgroup_id_x 1
		.amdhsa_system_sgpr_workgroup_id_y 1
		.amdhsa_system_sgpr_workgroup_id_z 1
		.amdhsa_system_sgpr_workgroup_info 0
		.amdhsa_system_vgpr_workitem_id 0
		.amdhsa_next_free_vgpr 50
		.amdhsa_next_free_sgpr 46
		.amdhsa_accum_offset 52
		.amdhsa_reserve_vcc 1
		.amdhsa_float_round_mode_32 0
		.amdhsa_float_round_mode_16_64 0
		.amdhsa_float_denorm_mode_32 3
		.amdhsa_float_denorm_mode_16_64 3
		.amdhsa_dx10_clamp 1
		.amdhsa_ieee_mode 1
		.amdhsa_fp16_overflow 0
		.amdhsa_tg_split 0
		.amdhsa_exception_fp_ieee_invalid_op 0
		.amdhsa_exception_fp_denorm_src 0
		.amdhsa_exception_fp_ieee_div_zero 0
		.amdhsa_exception_fp_ieee_overflow 0
		.amdhsa_exception_fp_ieee_underflow 0
		.amdhsa_exception_fp_ieee_inexact 0
		.amdhsa_exception_int_div_zero 0
	.end_amdhsa_kernel
	.section	.text._ZN4vllm25paged_attention_v1_kernelIttLi112ELi8ELi128ELNS_18Fp8KVCacheDataTypeE0ELb1EEEvPT_PKS2_PKT0_S8_ifPKiSA_iPKfiiiSC_SC_iiiii,"axG",@progbits,_ZN4vllm25paged_attention_v1_kernelIttLi112ELi8ELi128ELNS_18Fp8KVCacheDataTypeE0ELb1EEEvPT_PKS2_PKT0_S8_ifPKiSA_iPKfiiiSC_SC_iiiii,comdat
.Lfunc_end58:
	.size	_ZN4vllm25paged_attention_v1_kernelIttLi112ELi8ELi128ELNS_18Fp8KVCacheDataTypeE0ELb1EEEvPT_PKS2_PKT0_S8_ifPKiSA_iPKfiiiSC_SC_iiiii, .Lfunc_end58-_ZN4vllm25paged_attention_v1_kernelIttLi112ELi8ELi128ELNS_18Fp8KVCacheDataTypeE0ELb1EEEvPT_PKS2_PKT0_S8_ifPKiSA_iPKfiiiSC_SC_iiiii
                                        ; -- End function
	.section	.AMDGPU.csdata,"",@progbits
; Kernel info:
; codeLenInByte = 5260
; NumSgprs: 52
; NumVgprs: 50
; NumAgprs: 0
; TotalNumVgprs: 50
; ScratchSize: 0
; MemoryBound: 0
; FloatMode: 240
; IeeeMode: 1
; LDSByteSize: 240 bytes/workgroup (compile time only)
; SGPRBlocks: 6
; VGPRBlocks: 6
; NumSGPRsForWavesPerEU: 52
; NumVGPRsForWavesPerEU: 50
; AccumOffset: 52
; Occupancy: 8
; WaveLimiterHint : 1
; COMPUTE_PGM_RSRC2:SCRATCH_EN: 0
; COMPUTE_PGM_RSRC2:USER_SGPR: 2
; COMPUTE_PGM_RSRC2:TRAP_HANDLER: 0
; COMPUTE_PGM_RSRC2:TGID_X_EN: 1
; COMPUTE_PGM_RSRC2:TGID_Y_EN: 1
; COMPUTE_PGM_RSRC2:TGID_Z_EN: 1
; COMPUTE_PGM_RSRC2:TIDIG_COMP_CNT: 0
; COMPUTE_PGM_RSRC3_GFX90A:ACCUM_OFFSET: 12
; COMPUTE_PGM_RSRC3_GFX90A:TG_SPLIT: 0
	.section	.text._ZN4vllm25paged_attention_v1_kernelIttLi120ELi8ELi128ELNS_18Fp8KVCacheDataTypeE0ELb1EEEvPT_PKS2_PKT0_S8_ifPKiSA_iPKfiiiSC_SC_iiiii,"axG",@progbits,_ZN4vllm25paged_attention_v1_kernelIttLi120ELi8ELi128ELNS_18Fp8KVCacheDataTypeE0ELb1EEEvPT_PKS2_PKT0_S8_ifPKiSA_iPKfiiiSC_SC_iiiii,comdat
	.protected	_ZN4vllm25paged_attention_v1_kernelIttLi120ELi8ELi128ELNS_18Fp8KVCacheDataTypeE0ELb1EEEvPT_PKS2_PKT0_S8_ifPKiSA_iPKfiiiSC_SC_iiiii ; -- Begin function _ZN4vllm25paged_attention_v1_kernelIttLi120ELi8ELi128ELNS_18Fp8KVCacheDataTypeE0ELb1EEEvPT_PKS2_PKT0_S8_ifPKiSA_iPKfiiiSC_SC_iiiii
	.globl	_ZN4vllm25paged_attention_v1_kernelIttLi120ELi8ELi128ELNS_18Fp8KVCacheDataTypeE0ELb1EEEvPT_PKS2_PKT0_S8_ifPKiSA_iPKfiiiSC_SC_iiiii
	.p2align	8
	.type	_ZN4vllm25paged_attention_v1_kernelIttLi120ELi8ELi128ELNS_18Fp8KVCacheDataTypeE0ELb1EEEvPT_PKS2_PKT0_S8_ifPKiSA_iPKfiiiSC_SC_iiiii,@function
_ZN4vllm25paged_attention_v1_kernelIttLi120ELi8ELi128ELNS_18Fp8KVCacheDataTypeE0ELb1EEEvPT_PKS2_PKT0_S8_ifPKiSA_iPKfiiiSC_SC_iiiii: ; @_ZN4vllm25paged_attention_v1_kernelIttLi120ELi8ELi128ELNS_18Fp8KVCacheDataTypeE0ELb1EEEvPT_PKS2_PKT0_S8_ifPKiSA_iPKfiiiSC_SC_iiiii
; %bb.0:
	s_load_dword s5, s[0:1], 0x80
	s_load_dwordx2 s[6:7], s[0:1], 0x30
	s_load_dwordx2 s[34:35], s[0:1], 0x20
	s_mov_b32 s20, s3
	s_ashr_i32 s21, s3, 31
	s_lshl_b64 s[8:9], s[20:21], 2
	s_waitcnt lgkmcnt(0)
	s_add_u32 s6, s6, s8
	s_addc_u32 s7, s7, s9
	s_abs_i32 s3, s34
	v_cvt_f32_u32_e32 v1, s3
	s_sub_i32 s10, 0, s3
	s_abs_i32 s9, s5
	s_xor_b32 s8, s5, s34
	v_rcp_iflag_f32_e32 v1, v1
	s_ashr_i32 s8, s8, 31
	s_mov_b32 s45, 0
	v_mul_f32_e32 v1, 0x4f7ffffe, v1
	v_cvt_u32_f32_e32 v1, v1
	s_nop 0
	v_readfirstlane_b32 s11, v1
	s_mul_i32 s10, s10, s11
	s_mul_hi_u32 s10, s11, s10
	s_add_i32 s11, s11, s10
	s_mul_hi_u32 s10, s9, s11
	s_mul_i32 s11, s10, s3
	s_sub_i32 s9, s9, s11
	s_add_i32 s11, s10, 1
	s_sub_i32 s12, s9, s3
	s_cmp_ge_u32 s9, s3
	s_cselect_b32 s10, s11, s10
	s_cselect_b32 s9, s12, s9
	s_add_i32 s11, s10, 1
	s_cmp_ge_u32 s9, s3
	s_cselect_b32 s3, s11, s10
	s_xor_b32 s3, s3, s8
	s_sub_i32 s12, s3, s8
	s_abs_i32 s10, s12
	v_cvt_f32_u32_e32 v1, s10
	s_load_dwordx2 s[8:9], s[0:1], 0x40
	s_sub_i32 s3, 0, s10
	s_abs_i32 s11, s2
	v_rcp_iflag_f32_e32 v1, v1
	s_nop 0
	v_mul_f32_e32 v1, 0x4f7ffffe, v1
	v_cvt_u32_f32_e32 v1, v1
	s_nop 0
	v_readfirstlane_b32 s13, v1
	s_mul_i32 s3, s3, s13
	s_mul_hi_u32 s3, s13, s3
	s_add_i32 s13, s13, s3
	s_waitcnt lgkmcnt(0)
	s_cmp_eq_u64 s[8:9], 0
	s_mul_hi_u32 s24, s11, s13
	s_cbranch_scc1 .LBB59_2
; %bb.1:
	s_ashr_i32 s3, s2, 31
	s_lshl_b64 s[14:15], s[2:3], 2
	s_add_u32 s8, s8, s14
	s_addc_u32 s9, s9, s15
	s_load_dword s45, s[8:9], 0x0
.LBB59_2:
	s_load_dword s21, s[6:7], 0x0
	s_ashr_i32 s26, s12, 31
	s_load_dwordx4 s[12:15], s[0:1], 0x48
	s_movk_i32 s3, 0x78
	s_ashr_i32 s25, s2, 31
	v_and_b32_e32 v4, 7, v0
	s_mul_i32 s22, s2, 0x78
	v_cmp_gt_u32_e64 s[6:7], s3, v0
	v_lshlrev_b32_e32 v6, 1, v0
	s_and_saveexec_b64 s[8:9], s[6:7]
	s_cbranch_execz .LBB59_4
; %bb.3:
	s_load_dwordx2 s[16:17], s[0:1], 0x8
	s_waitcnt lgkmcnt(0)
	s_mul_i32 s18, s20, s12
	s_ashr_i32 s19, s18, 31
	s_lshl_b64 s[18:19], s[18:19], 1
	v_lshrrev_b32_e32 v2, 2, v0
	s_add_u32 s3, s16, s18
	s_addc_u32 s12, s17, s19
	s_ashr_i32 s23, s22, 31
	s_lshl_b64 s[16:17], s[22:23], 1
	s_add_u32 s16, s3, s16
	s_addc_u32 s17, s12, s17
	global_load_ushort v1, v6, s[16:17]
	v_and_b32_e32 v2, 0xfe, v2
	v_mad_u32_u24 v2, v4, 30, v2
	s_waitcnt vmcnt(0)
	ds_write_b16 v2, v1
.LBB59_4:
	s_or_b64 exec, exec, s[8:9]
	s_mul_i32 s9, s24, s10
	s_sub_i32 s9, s11, s9
	s_xor_b32 s8, s25, s26
	s_add_i32 s11, s24, 1
	s_waitcnt lgkmcnt(0)
	s_sub_i32 s12, s9, s10
	s_load_dwordx4 s[16:19], s[0:1], 0x68
	s_load_dword s3, s[0:1], 0x78
	s_cmp_ge_u32 s9, s10
	s_cselect_b32 s11, s11, s24
	s_cselect_b32 s9, s12, s9
	s_add_i32 s12, s11, 1
	s_cmp_ge_u32 s9, s10
	s_cselect_b32 s9, s12, s11
	s_waitcnt lgkmcnt(0)
	s_abs_i32 s23, s19
	v_cvt_f32_u32_e32 v1, s23
	s_xor_b32 s9, s9, s8
	s_sub_i32 s10, s9, s8
	s_sub_i32 s8, 0, s23
	v_rcp_iflag_f32_e32 v1, v1
	s_add_i32 s15, s21, -1
	s_abs_i32 s11, s15
	v_mul_f32_e32 v1, 0x4f7ffffe, v1
	v_cvt_u32_f32_e32 v1, v1
	s_barrier
	v_readfirstlane_b32 s33, v1
	s_mul_i32 s8, s8, s33
	s_mul_hi_u32 s8, s33, s8
	s_add_i32 s33, s33, s8
	s_cmp_lt_i32 s3, 0
	s_mul_hi_u32 s12, s11, s33
	s_cbranch_scc0 .LBB59_6
; %bb.5:
	s_mul_i32 s8, s16, s34
	s_add_i32 s8, s10, s8
	s_mul_i32 s8, s8, s3
	s_sub_i32 s42, 1, s8
	s_mov_b64 s[8:9], 0
	s_branch .LBB59_7
.LBB59_6:
	s_mov_b64 s[8:9], -1
                                        ; implicit-def: $sgpr42
.LBB59_7:
	s_load_dwordx2 s[26:27], s[0:1], 0x28
	s_ashr_i32 s15, s15, 31
	s_andn2_b64 vcc, exec, s[8:9]
	s_ashr_i32 s43, s19, 31
	s_cbranch_vccnz .LBB59_9
; %bb.8:
	s_mul_i32 s8, s5, s16
	s_add_i32 s2, s8, s2
	s_mul_i32 s2, s2, s3
	s_add_i32 s42, s2, 1
.LBB59_9:
	s_load_dword s2, s[0:1], 0x38
	s_load_dwordx2 s[24:25], s[0:1], 0x0
	s_load_dwordx2 s[30:31], s[0:1], 0x18
	s_load_dword s19, s[0:1], 0x88
	s_xor_b32 s3, s15, s43
	s_waitcnt lgkmcnt(0)
	s_mul_i32 s28, s20, s2
	s_mul_i32 s2, s12, s23
	s_sub_i32 s2, s11, s2
	s_ashr_i32 s29, s28, 31
	s_add_i32 s8, s12, 1
	s_sub_i32 s9, s2, s23
	s_cmp_ge_u32 s2, s23
	s_cselect_b32 s8, s8, s12
	s_cselect_b32 s2, s9, s2
	s_add_i32 s9, s8, 1
	s_cmp_ge_u32 s2, s23
	s_cselect_b32 s2, s9, s8
	s_xor_b32 s2, s2, s3
	s_sub_i32 s12, s2, s3
	s_add_i32 s2, s21, 7
	s_ashr_i32 s3, s2, 31
	s_lshr_b32 s3, s3, 29
	s_add_i32 s2, s2, s3
	s_ashr_i32 s44, s2, 3
	v_lshrrev_b32_e32 v1, 6, v0
	v_cmp_gt_i32_e64 s[2:3], s44, v1
	v_mov_b32_e32 v12, 0xff7fffff
	s_mul_i32 s14, s10, s14
	v_lshrrev_b32_e32 v8, 4, v0
	v_lshlrev_b32_e32 v7, 3, v1
	v_mbcnt_lo_u32_b32 v9, -1, 0
	s_and_saveexec_b64 s[36:37], s[2:3]
	s_cbranch_execz .LBB59_19
; %bb.10:
	s_load_dwordx2 s[0:1], s[0:1], 0x10
	s_ashr_i32 s15, s14, 31
	s_sub_i32 s16, s12, s17
	s_lshl_b64 s[8:9], s[14:15], 1
	v_bfe_u32 v10, v0, 3, 3
	s_waitcnt lgkmcnt(0)
	s_add_u32 s0, s0, s8
	s_addc_u32 s1, s1, s9
	s_abs_i32 s15, s18
	v_cvt_f32_u32_e32 v2, s15
	v_lshlrev_b32_e32 v14, 4, v10
	v_mov_b32_e32 v15, 0
	s_sub_i32 s8, 0, s15
	v_rcp_iflag_f32_e32 v5, v2
	v_cmp_eq_u32_e32 vcc, 0, v4
	v_lshl_add_u64 v[2:3], s[0:1], 0, v[14:15]
	v_lshlrev_b32_e32 v14, 1, v4
	v_mul_f32_e32 v5, 0x4f7ffffe, v5
	v_cvt_u32_f32_e32 v5, v5
	v_mul_u32_u24_e32 v11, 30, v4
	v_lshlrev_b32_e32 v12, 2, v10
	v_lshl_add_u64 v[2:3], v[2:3], 0, v[14:15]
	v_mul_lo_u32 v4, s8, v5
	s_lshl_b64 s[8:9], s[28:29], 2
	s_add_u32 s8, s26, s8
	v_mul_hi_u32 v4, v5, v4
	v_and_b32_e32 v14, 60, v8
	s_addc_u32 s9, s27, s9
	v_lshl_or_b32 v12, v1, 5, v12
	v_add_u32_e32 v13, v5, v4
	v_lshl_add_u64 v[4:5], s[8:9], 0, v[14:15]
	v_add_u32_e32 v15, 0x100, v12
	v_subrev_u32_e32 v12, s21, v10
	v_mbcnt_hi_u32_b32 v18, -1, v9
	v_add_u32_e32 v16, 1, v12
	v_and_b32_e32 v12, 64, v18
	s_mov_b32 s34, s13
	v_cmp_neq_f32_e64 s[0:1], s45, 0
	v_lshlrev_b32_e32 v14, 3, v1
	s_mov_b64 s[38:39], 0
	v_mov_b32_e32 v17, 0xff7fffff
	v_add_u32_e32 v19, 64, v12
	v_xor_b32_e32 v20, 4, v18
	v_xor_b32_e32 v21, 2, v18
	;; [unrolled: 1-line block ×3, first 2 shown]
	v_mov_b32_e32 v12, 0xff7fffff
	v_mov_b32_e32 v23, v1
	s_branch .LBB59_13
.LBB59_11:                              ;   in Loop: Header=BB59_13 Depth=1
	s_or_b64 exec, exec, s[40:41]
.LBB59_12:                              ;   in Loop: Header=BB59_13 Depth=1
	s_or_b64 exec, exec, s[10:11]
	v_add_u32_e32 v23, 2, v23
	v_cmp_le_i32_e64 s[8:9], s44, v23
	v_lshl_add_u64 v[4:5], v[4:5], 0, 8
	v_add_u32_e32 v14, 16, v14
	s_or_b64 s[38:39], s[8:9], s[38:39]
	v_add_u32_e32 v15, 64, v15
	s_andn2_b64 exec, exec, s[38:39]
	s_cbranch_execz .LBB59_18
.LBB59_13:                              ; =>This Inner Loop Header: Depth=1
	v_mul_hi_u32 v24, v14, s33
	s_waitcnt lgkmcnt(0)
	v_mul_lo_u32 v25, v24, s23
	v_sub_u32_e32 v25, v14, v25
	v_add_u32_e32 v26, 1, v24
	v_cmp_le_u32_e64 s[8:9], s23, v25
	s_nop 1
	v_cndmask_b32_e64 v24, v24, v26, s[8:9]
	v_subrev_u32_e32 v26, s23, v25
	v_cndmask_b32_e64 v25, v25, v26, s[8:9]
	v_add_u32_e32 v26, 1, v24
	v_cmp_le_u32_e64 s[8:9], s23, v25
	s_nop 1
	v_cndmask_b32_e64 v24, v24, v26, s[8:9]
	v_xor_b32_e32 v24, s43, v24
	v_subrev_u32_e32 v24, s43, v24
	v_add_u32_e32 v25, s42, v24
	v_sub_u32_e32 v27, 0, v25
	v_ashrrev_i32_e32 v26, 31, v25
	v_max_i32_e32 v25, v25, v27
	v_mul_hi_u32 v27, v25, v13
	v_mul_lo_u32 v27, v27, s15
	v_sub_u32_e32 v25, v25, v27
	v_subrev_u32_e32 v27, s15, v25
	v_cmp_le_u32_e64 s[8:9], s15, v25
	v_cmp_ge_i32_e64 s[10:11], s16, v24
	s_nop 0
	v_cndmask_b32_e64 v25, v25, v27, s[8:9]
	v_subrev_u32_e32 v27, s15, v25
	v_cmp_le_u32_e64 s[8:9], s15, v25
	s_nop 1
	v_cndmask_b32_e64 v25, v25, v27, s[8:9]
	v_xor_b32_e32 v25, v25, v26
	v_sub_u32_e32 v25, v25, v26
	v_cmp_ne_u32_e64 s[8:9], 0, v25
	s_and_b64 s[8:9], s[8:9], s[10:11]
	s_and_b64 s[40:41], vcc, s[8:9]
	s_and_saveexec_b64 s[10:11], s[40:41]
	s_cbranch_execz .LBB59_15
; %bb.14:                               ;   in Loop: Header=BB59_13 Depth=1
	ds_write_b32 v15, v17
.LBB59_15:                              ;   in Loop: Header=BB59_13 Depth=1
	s_or_b64 exec, exec, s[10:11]
	s_xor_b64 s[8:9], s[8:9], -1
	s_and_saveexec_b64 s[10:11], s[8:9]
	s_cbranch_execz .LBB59_12
; %bb.16:                               ;   in Loop: Header=BB59_13 Depth=1
	global_load_dword v24, v[4:5], off
	s_waitcnt vmcnt(0)
	v_mad_i64_i32 v[24:25], s[8:9], v24, s34, 0
	v_lshl_add_u64 v[24:25], v[24:25], 1, v[2:3]
	global_load_ushort v26, v[24:25], off
	global_load_ushort v27, v[24:25], off offset:128
	global_load_ushort v28, v[24:25], off offset:256
	;; [unrolled: 1-line block ×10, first 2 shown]
	ds_read_u16 v37, v11
	global_load_ushort v38, v[24:25], off offset:1408
	global_load_ushort v39, v[24:25], off offset:1536
	;; [unrolled: 1-line block ×4, first 2 shown]
	s_waitcnt lgkmcnt(0)
	;;#ASMSTART
	v_cvt_f32_f16 v24, v37;
	;;#ASMEND
	v_cmp_lt_i32_e64 s[8:9], v20, v19
	s_waitcnt vmcnt(14)
	;;#ASMSTART
	v_cvt_f32_f16 v25, v26;
	;;#ASMEND
	ds_read_u16 v26, v11 offset:2
	s_waitcnt lgkmcnt(0)
	;;#ASMSTART
	v_cvt_f32_f16 v26, v26;
	;;#ASMEND
	s_waitcnt vmcnt(13)
	;;#ASMSTART
	v_cvt_f32_f16 v27, v27;
	;;#ASMEND
	ds_read_u16 v37, v11 offset:4
	v_mul_f32_e32 v26, v26, v27
	v_fmac_f32_e32 v26, v24, v25
	s_waitcnt lgkmcnt(0)
	;;#ASMSTART
	v_cvt_f32_f16 v37, v37;
	;;#ASMEND
	s_waitcnt vmcnt(12)
	;;#ASMSTART
	v_cvt_f32_f16 v28, v28;
	;;#ASMEND
	ds_read_u16 v42, v11 offset:6
	v_fmac_f32_e32 v26, v37, v28
	s_waitcnt lgkmcnt(0)
	;;#ASMSTART
	v_cvt_f32_f16 v42, v42;
	;;#ASMEND
	s_waitcnt vmcnt(11)
	;;#ASMSTART
	v_cvt_f32_f16 v29, v29;
	;;#ASMEND
	ds_read_u16 v43, v11 offset:8
	;; [unrolled: 10-line block ×11, first 2 shown]
	v_fmac_f32_e32 v26, v27, v28
	v_cndmask_b32_e64 v51, v18, v20, s[8:9]
	s_waitcnt lgkmcnt(0)
	;;#ASMSTART
	v_cvt_f32_f16 v29, v29;
	;;#ASMEND
	s_waitcnt vmcnt(1)
	;;#ASMSTART
	v_cvt_f32_f16 v30, v40;
	;;#ASMEND
	v_lshlrev_b32_e32 v51, 2, v51
	v_fmac_f32_e32 v26, v29, v30
	ds_read_u16 v31, v11 offset:28
	s_waitcnt lgkmcnt(0)
	;;#ASMSTART
	v_cvt_f32_f16 v24, v31;
	;;#ASMEND
	s_waitcnt vmcnt(0)
	;;#ASMSTART
	v_cvt_f32_f16 v25, v41;
	;;#ASMEND
	v_cmp_lt_i32_e64 s[8:9], v21, v19
	v_fmac_f32_e32 v26, v24, v25
	ds_bpermute_b32 v24, v51, v26
	v_cndmask_b32_e64 v25, v18, v21, s[8:9]
	v_lshlrev_b32_e32 v25, 2, v25
	v_cmp_lt_i32_e64 s[8:9], v22, v19
	s_waitcnt lgkmcnt(0)
	v_add_f32_e32 v24, v26, v24
	ds_bpermute_b32 v25, v25, v24
	v_cndmask_b32_e64 v26, v18, v22, s[8:9]
	s_waitcnt lgkmcnt(0)
	v_add_f32_e32 v24, v24, v25
	v_lshlrev_b32_e32 v25, 2, v26
	ds_bpermute_b32 v25, v25, v24
	s_and_saveexec_b64 s[40:41], vcc
	s_cbranch_execz .LBB59_11
; %bb.17:                               ;   in Loop: Header=BB59_13 Depth=1
	v_add_u32_e32 v26, v16, v14
	v_cvt_f32_i32_e32 v26, v26
	s_waitcnt lgkmcnt(0)
	v_add_f32_e32 v24, v24, v25
	v_add_u32_e32 v27, v10, v14
	v_cmp_gt_i32_e64 s[8:9], s21, v27
	v_mul_f32_e32 v25, s45, v26
	v_cndmask_b32_e64 v25, 0, v25, s[0:1]
	v_fmac_f32_e32 v25, s35, v24
	v_cndmask_b32_e64 v24, 0, v25, s[8:9]
	ds_write_b32 v15, v24
	v_max_f32_e32 v24, v12, v12
	v_max_f32_e32 v24, v24, v25
	v_cndmask_b32_e64 v12, v12, v24, s[8:9]
	s_branch .LBB59_11
.LBB59_18:
	s_or_b64 exec, exec, s[38:39]
.LBB59_19:
	s_or_b64 exec, exec, s[36:37]
	v_mbcnt_hi_u32_b32 v2, -1, v9
	v_and_b32_e32 v3, 64, v2
	v_add_u32_e32 v3, 64, v3
	v_xor_b32_e32 v4, 32, v2
	v_cmp_lt_i32_e32 vcc, v4, v3
	v_xor_b32_e32 v10, 16, v2
	v_max_f32_e32 v9, v12, v12
	v_cndmask_b32_e32 v4, v2, v4, vcc
	v_lshlrev_b32_e32 v5, 2, v4
	ds_bpermute_b32 v4, v5, v12
	v_cmp_lt_i32_e32 vcc, v10, v3
	v_xor_b32_e32 v11, 8, v2
	v_and_b32_e32 v16, 63, v0
	s_waitcnt lgkmcnt(0)
	v_max_f32_e32 v4, v4, v4
	v_max_f32_e32 v4, v9, v4
	v_cndmask_b32_e32 v9, v2, v10, vcc
	v_lshlrev_b32_e32 v10, 2, v9
	ds_bpermute_b32 v9, v10, v4
	v_cmp_lt_i32_e32 vcc, v11, v3
	s_waitcnt lgkmcnt(0)
	v_max_f32_e32 v9, v9, v9
	v_max_f32_e32 v9, v4, v9
	v_cndmask_b32_e32 v4, v2, v11, vcc
	v_lshlrev_b32_e32 v12, 2, v4
	ds_bpermute_b32 v11, v12, v9
	v_cmp_eq_u32_e32 vcc, 0, v16
	v_lshlrev_b32_e32 v4, 2, v1
	s_and_saveexec_b64 s[0:1], vcc
	s_cbranch_execz .LBB59_21
; %bb.20:
	s_waitcnt lgkmcnt(0)
	v_max_f32_e32 v11, v11, v11
	v_max_f32_e32 v9, v9, v9
	;; [unrolled: 1-line block ×3, first 2 shown]
	ds_write_b32 v4, v9 offset:240
.LBB59_21:
	s_or_b64 exec, exec, s[0:1]
	v_cmp_gt_u32_e64 s[0:1], 2, v16
	v_mov_b32_e32 v13, 0xff7fffff
	v_lshlrev_b32_e32 v9, 2, v16
	s_waitcnt lgkmcnt(0)
	s_barrier
	s_and_saveexec_b64 s[8:9], s[0:1]
	s_cbranch_execz .LBB59_23
; %bb.22:
	ds_read_b32 v13, v9 offset:240
.LBB59_23:
	s_or_b64 exec, exec, s[8:9]
	v_xor_b32_e32 v11, 1, v2
	v_cmp_lt_i32_e64 s[8:9], v11, v3
	v_lshlrev_b32_e32 v15, 2, v2
	s_nop 0
	v_cndmask_b32_e64 v11, v2, v11, s[8:9]
	v_lshlrev_b32_e32 v11, 2, v11
	s_waitcnt lgkmcnt(0)
	ds_bpermute_b32 v14, v11, v13
	v_max_f32_e32 v13, v13, v13
	s_lshl_b32 s8, s44, 3
	s_min_i32 s15, s8, s21
	v_cmp_gt_i32_e64 s[8:9], s15, v0
	s_waitcnt lgkmcnt(0)
	v_max_f32_e32 v14, v14, v14
	v_max_f32_e32 v14, v13, v14
	v_and_b32_e32 v13, 0x100, v15
	ds_bpermute_b32 v15, v13, v14
	v_mov_b32_e32 v14, 0
	s_and_saveexec_b64 s[34:35], s[8:9]
	s_cbranch_execz .LBB59_27
; %bb.24:
	v_mov_b32_e32 v14, 0x100
	v_lshl_add_u32 v17, v0, 2, v14
	s_mov_b64 s[36:37], 0
	v_mov_b32_e32 v14, 0
	v_mov_b32_e32 v18, v0
.LBB59_25:                              ; =>This Inner Loop Header: Depth=1
	ds_read_b32 v19, v17
	v_add_u32_e32 v18, 0x80, v18
	v_cmp_le_i32_e64 s[10:11], s15, v18
	s_or_b64 s[36:37], s[10:11], s[36:37]
	s_waitcnt lgkmcnt(0)
	v_sub_f32_e32 v19, v19, v15
	v_mul_f32_e32 v19, 0x3fb8aa3b, v19
	v_exp_f32_e32 v19, v19
	ds_write_b32 v17, v19
	v_add_f32_e32 v14, v14, v19
	v_add_u32_e32 v17, 0x200, v17
	s_andn2_b64 exec, exec, s[36:37]
	s_cbranch_execnz .LBB59_25
; %bb.26:
	s_or_b64 exec, exec, s[36:37]
.LBB59_27:
	s_or_b64 exec, exec, s[34:35]
	ds_bpermute_b32 v5, v5, v14
	s_waitcnt lgkmcnt(0)
	v_add_f32_e32 v5, v14, v5
	ds_bpermute_b32 v10, v10, v5
	s_waitcnt lgkmcnt(0)
	v_add_f32_e32 v5, v5, v10
	ds_bpermute_b32 v10, v12, v5
	v_xor_b32_e32 v12, 4, v2
	v_cmp_lt_i32_e64 s[10:11], v12, v3
	s_waitcnt lgkmcnt(0)
	v_add_f32_e32 v5, v5, v10
	v_cndmask_b32_e64 v12, v2, v12, s[10:11]
	v_lshlrev_b32_e32 v12, 2, v12
	ds_bpermute_b32 v10, v12, v5
	v_xor_b32_e32 v12, 2, v2
	v_cmp_lt_i32_e64 s[10:11], v12, v3
	s_waitcnt lgkmcnt(0)
	v_add_f32_e32 v3, v5, v10
	v_cndmask_b32_e64 v2, v2, v12, s[10:11]
	v_lshlrev_b32_e32 v2, 2, v2
	ds_bpermute_b32 v2, v2, v3
	s_waitcnt lgkmcnt(0)
	v_add_f32_e32 v2, v3, v2
	ds_bpermute_b32 v3, v11, v2
	s_waitcnt lgkmcnt(0)
	v_add_f32_e32 v2, v2, v3
	s_and_saveexec_b64 s[10:11], vcc
	s_cbranch_execz .LBB59_29
; %bb.28:
	ds_write_b32 v4, v2 offset:248
.LBB59_29:
	s_or_b64 exec, exec, s[10:11]
	s_waitcnt lgkmcnt(0)
	s_barrier
	s_and_saveexec_b64 s[10:11], s[0:1]
	s_cbranch_execz .LBB59_31
; %bb.30:
	ds_read_b32 v2, v9 offset:248
.LBB59_31:
	s_or_b64 exec, exec, s[10:11]
	s_waitcnt lgkmcnt(0)
	ds_bpermute_b32 v3, v11, v2
	s_waitcnt lgkmcnt(0)
	v_add_f32_e32 v2, v2, v3
	ds_bpermute_b32 v2, v13, v2
	s_and_saveexec_b64 s[0:1], s[8:9]
	s_cbranch_execz .LBB59_44
; %bb.32:
	s_waitcnt lgkmcnt(0)
	v_add_f32_e32 v2, 0x358637bd, v2
	v_div_scale_f32 v3, s[8:9], v2, v2, 1.0
	v_rcp_f32_e32 v4, v3
	v_div_scale_f32 v5, vcc, 1.0, v2, 1.0
	s_movk_i32 s8, 0x7f
	v_fma_f32 v9, -v3, v4, 1.0
	v_fmac_f32_e32 v4, v9, v4
	v_mul_f32_e32 v9, v5, v4
	v_fma_f32 v10, -v3, v9, v5
	v_fmac_f32_e32 v9, v10, v4
	v_fma_f32 v3, -v3, v9, v5
	v_div_fmas_f32 v3, v3, v4, v9
	v_xad_u32 v4, v0, -1, s15
	v_div_fixup_f32 v2, v3, v2, 1.0
	v_cmp_lt_u32_e32 vcc, s8, v4
	s_mov_b64 s[10:11], -1
	v_mov_b32_e32 v3, v0
	s_and_saveexec_b64 s[8:9], vcc
	s_cbranch_execz .LBB59_41
; %bb.33:
	v_lshrrev_b32_e32 v4, 7, v4
	v_add_u32_e32 v9, -1, v4
	v_lshrrev_b32_e32 v5, 1, v9
	v_mov_b32_e32 v3, v2
	v_add_u32_e32 v5, 1, v5
	v_cmp_lt_u32_e32 vcc, 13, v9
	v_mov_b32_e32 v11, 0
	s_and_saveexec_b64 s[10:11], vcc
	s_cbranch_execz .LBB59_37
; %bb.34:
	v_mov_b32_e32 v10, 0x100
	v_and_b32_e32 v9, -8, v5
	v_lshl_add_u32 v10, v0, 2, v10
	s_mov_b32 s16, 0
	s_mov_b64 s[34:35], 0
.LBB59_35:                              ; =>This Inner Loop Header: Depth=1
	ds_read2st64_b32 v[12:13], v10 offset1:2
	ds_read2st64_b32 v[14:15], v10 offset0:4 offset1:6
	ds_read2st64_b32 v[18:19], v10 offset0:8 offset1:10
	;; [unrolled: 1-line block ×3, first 2 shown]
	v_add_u32_e32 v9, -8, v9
	s_waitcnt lgkmcnt(3)
	v_pk_mul_f32 v[12:13], v[2:3], v[12:13]
	s_waitcnt lgkmcnt(2)
	v_pk_mul_f32 v[14:15], v[2:3], v[14:15]
	ds_write2st64_b32 v10, v12, v13 offset1:2
	ds_write2st64_b32 v10, v14, v15 offset0:4 offset1:6
	ds_read2st64_b32 v[14:15], v10 offset0:16 offset1:18
	s_waitcnt lgkmcnt(4)
	v_pk_mul_f32 v[12:13], v[2:3], v[18:19]
	ds_write2st64_b32 v10, v12, v13 offset0:8 offset1:10
	s_waitcnt lgkmcnt(4)
	v_pk_mul_f32 v[12:13], v[2:3], v[20:21]
	ds_write2st64_b32 v10, v12, v13 offset0:12 offset1:14
	ds_read2st64_b32 v[12:13], v10 offset0:20 offset1:22
	s_waitcnt lgkmcnt(3)
	v_pk_mul_f32 v[14:15], v[2:3], v[14:15]
	ds_read2st64_b32 v[18:19], v10 offset0:24 offset1:26
	ds_write2st64_b32 v10, v14, v15 offset0:16 offset1:18
	ds_read2st64_b32 v[14:15], v10 offset0:28 offset1:30
	s_waitcnt lgkmcnt(3)
	v_pk_mul_f32 v[12:13], v[2:3], v[12:13]
	ds_write2st64_b32 v10, v12, v13 offset0:20 offset1:22
	s_waitcnt lgkmcnt(3)
	v_pk_mul_f32 v[12:13], v[2:3], v[18:19]
	ds_write2st64_b32 v10, v12, v13 offset0:24 offset1:26
	s_waitcnt lgkmcnt(2)
	v_pk_mul_f32 v[12:13], v[2:3], v[14:15]
	s_add_i32 s16, s16, 16
	v_cmp_eq_u32_e32 vcc, 0, v9
	ds_write2st64_b32 v10, v12, v13 offset0:28 offset1:30
	v_add_u32_e32 v10, 0x2000, v10
	s_or_b64 s[34:35], vcc, s[34:35]
	v_mov_b32_e32 v11, s16
	s_andn2_b64 exec, exec, s[34:35]
	s_cbranch_execnz .LBB59_35
; %bb.36:
	s_or_b64 exec, exec, s[34:35]
.LBB59_37:
	s_or_b64 exec, exec, s[10:11]
	v_and_b32_e32 v5, 7, v5
	v_cmp_ne_u32_e32 vcc, 0, v5
	s_and_saveexec_b64 s[10:11], vcc
	s_cbranch_execz .LBB59_40
; %bb.38:
	v_lshlrev_b32_e32 v9, 9, v11
	v_lshlrev_b32_e32 v10, 2, v0
	s_movk_i32 s16, 0x100
	v_add3_u32 v9, v9, v10, s16
	s_mov_b64 s[34:35], 0
.LBB59_39:                              ; =>This Inner Loop Header: Depth=1
	ds_read2st64_b32 v[10:11], v9 offset1:2
	v_add_u32_e32 v5, -1, v5
	v_cmp_eq_u32_e32 vcc, 0, v5
	s_or_b64 s[34:35], vcc, s[34:35]
	s_waitcnt lgkmcnt(0)
	v_pk_mul_f32 v[10:11], v[2:3], v[10:11]
	ds_write2st64_b32 v9, v10, v11 offset1:2
	v_add_u32_e32 v9, 0x400, v9
	s_andn2_b64 exec, exec, s[34:35]
	s_cbranch_execnz .LBB59_39
.LBB59_40:
	s_or_b64 exec, exec, s[10:11]
	v_add_u32_e32 v4, 1, v4
	v_and_b32_e32 v5, 0x3fffffe, v4
	v_cmp_ne_u32_e32 vcc, v4, v5
	v_lshl_add_u32 v3, v5, 7, v0
	s_orn2_b64 s[10:11], vcc, exec
.LBB59_41:
	s_or_b64 exec, exec, s[8:9]
	s_and_b64 exec, exec, s[10:11]
	s_cbranch_execz .LBB59_44
; %bb.42:
	v_mov_b32_e32 v4, 0x100
	v_lshl_add_u32 v4, v3, 2, v4
	s_mov_b64 s[8:9], 0
.LBB59_43:                              ; =>This Inner Loop Header: Depth=1
	ds_read_b32 v5, v4
	v_add_u32_e32 v3, 0x80, v3
	v_cmp_le_i32_e32 vcc, s15, v3
	s_or_b64 s[8:9], vcc, s[8:9]
	s_waitcnt lgkmcnt(0)
	v_mul_f32_e32 v5, v2, v5
	ds_write_b32 v4, v5
	v_add_u32_e32 v4, 0x200, v4
	s_andn2_b64 exec, exec, s[8:9]
	s_cbranch_execnz .LBB59_43
.LBB59_44:
	s_or_b64 exec, exec, s[0:1]
	v_mov_b32_e32 v18, 0
	v_mov_b32_e32 v17, 0
	s_waitcnt lgkmcnt(0)
	s_barrier
	s_and_saveexec_b64 s[8:9], s[2:3]
	s_cbranch_execz .LBB59_56
; %bb.45:
	s_ashr_i32 s15, s14, 31
	s_sub_i32 s34, s12, s17
	s_lshl_b64 s[0:1], s[14:15], 1
	s_add_u32 s10, s30, s0
	s_addc_u32 s11, s31, s1
	s_abs_i32 s18, s18
	v_cvt_f32_u32_e32 v5, s18
	v_or_b32_e32 v3, 64, v16
	s_movk_i32 s0, 0x78
	v_cmp_gt_u32_e32 vcc, s0, v3
	v_lshlrev_b32_e32 v4, 3, v3
	v_rcp_iflag_f32_e32 v3, v5
	s_sub_i32 s0, 0, s18
	s_add_i32 s30, s44, -1
	v_lshlrev_b32_e32 v2, 3, v16
	v_mul_f32_e32 v3, 0x4f7ffffe, v3
	v_cvt_u32_f32_e32 v3, v3
	v_mov_b32_e32 v9, 0
	v_and_b32_e32 v8, 60, v8
	s_mov_b32 s35, s13
	v_mul_lo_u32 v5, s0, v3
	s_lshl_b64 s[0:1], s[28:29], 2
	v_mul_hi_u32 v5, v3, v5
	s_add_u32 s0, s26, s0
	v_add_u32_e32 v19, v3, v5
	s_addc_u32 s1, s27, s1
	v_mov_b32_e32 v3, 0x100
	s_mov_b32 s31, s21
	s_mov_b32 s36, s21
	;; [unrolled: 1-line block ×7, first 2 shown]
	v_lshl_add_u64 v[10:11], s[0:1], 0, v[8:9]
	v_lshl_add_u32 v20, v1, 5, v3
	s_mov_b64 s[12:13], 0
	v_lshlrev_b32_e32 v8, 1, v2
	s_mov_b32 s26, 0x5040100
	v_lshlrev_b32_e32 v12, 1, v4
	v_mov_b32_e32 v17, v9
	v_mov_b32_e32 v18, v9
	s_branch .LBB59_49
.LBB59_46:                              ;   in Loop: Header=BB59_49 Depth=1
	s_or_b64 exec, exec, s[16:17]
	s_waitcnt vmcnt(0)
	;;#ASMSTART
	v_pk_mul_f16 v2, v26, v2;

	;;#ASMEND
	;;#ASMSTART
	v_pk_mul_f16 v3, v25, v3;

	;;#ASMEND
	;; [unrolled: 4-line block ×4, first 2 shown]
	s_nop 0
	;;#ASMSTART
	v_pk_add_f16 v2, v2, v3;

	;;#ASMEND
	s_nop 0
	;;#ASMSTART
	v_pk_add_f16 v2, v2, v4;

	;;#ASMEND
	;; [unrolled: 5-line block ×3, first 2 shown]
	s_nop 0
	v_lshrrev_b32_e32 v3, 16, v2
	v_and_b32_e32 v2, 0xffff, v2
	;;#ASMSTART
	v_cvt_f32_f16 v2, v2;
	;;#ASMEND
	;;#ASMSTART
	v_cvt_f32_f16 v3, v3;
	;;#ASMEND
	s_nop 0
	v_add_f32_e32 v2, v2, v3
	v_add_f32_e32 v17, v17, v2
.LBB59_47:                              ;   in Loop: Header=BB59_49 Depth=1
	s_or_b64 exec, exec, s[2:3]
	v_add_f32_e32 v2, v21, v22
	v_add_f32_e32 v18, v18, v2
.LBB59_48:                              ;   in Loop: Header=BB59_49 Depth=1
	s_or_b64 exec, exec, s[14:15]
	v_add_u32_e32 v1, 2, v1
	v_cmp_le_i32_e64 s[0:1], s44, v1
	v_lshl_add_u64 v[10:11], v[10:11], 0, 8
	v_add_u32_e32 v7, 16, v7
	s_or_b64 s[12:13], s[0:1], s[12:13]
	v_add_u32_e32 v20, 64, v20
	s_andn2_b64 exec, exec, s[12:13]
	s_cbranch_execz .LBB59_55
.LBB59_49:                              ; =>This Inner Loop Header: Depth=1
	v_mul_hi_u32 v2, v7, s33
	v_mul_lo_u32 v3, v2, s23
	v_sub_u32_e32 v3, v7, v3
	v_add_u32_e32 v4, 1, v2
	v_cmp_le_u32_e64 s[0:1], s23, v3
	s_nop 1
	v_cndmask_b32_e64 v2, v2, v4, s[0:1]
	v_subrev_u32_e32 v4, s23, v3
	v_cndmask_b32_e64 v3, v3, v4, s[0:1]
	v_add_u32_e32 v4, 1, v2
	v_cmp_le_u32_e64 s[0:1], s23, v3
	s_nop 1
	v_cndmask_b32_e64 v2, v2, v4, s[0:1]
	v_xor_b32_e32 v2, s43, v2
	v_subrev_u32_e32 v2, s43, v2
	v_add_u32_e32 v3, s42, v2
	v_sub_u32_e32 v5, 0, v3
	v_ashrrev_i32_e32 v4, 31, v3
	v_max_i32_e32 v3, v3, v5
	v_mul_hi_u32 v5, v3, v19
	v_mul_lo_u32 v5, v5, s18
	v_sub_u32_e32 v3, v3, v5
	v_subrev_u32_e32 v5, s18, v3
	v_cmp_le_u32_e64 s[0:1], s18, v3
	v_cmp_lt_i32_e64 s[2:3], s34, v2
	s_nop 0
	v_cndmask_b32_e64 v3, v3, v5, s[0:1]
	v_subrev_u32_e32 v5, s18, v3
	v_cmp_le_u32_e64 s[0:1], s18, v3
	s_nop 1
	v_cndmask_b32_e64 v3, v3, v5, s[0:1]
	v_xor_b32_e32 v3, v3, v4
	v_sub_u32_e32 v3, v3, v4
	v_cmp_eq_u32_e64 s[0:1], 0, v3
	s_or_b64 s[0:1], s[0:1], s[2:3]
	s_and_saveexec_b64 s[14:15], s[0:1]
	s_cbranch_execz .LBB59_48
; %bb.50:                               ;   in Loop: Header=BB59_49 Depth=1
	global_load_dword v14, v[10:11], off
	ds_read2_b64 v[2:5], v20 offset1:1
	ds_read2_b64 v[26:29], v20 offset0:2 offset1:3
	s_waitcnt lgkmcnt(1)
	;;#ASMSTART
	v_cvt_f16_f32 v13, v2;

	;;#ASMEND
	;;#ASMSTART
	v_cvt_f16_f32 v21, v3;

	;;#ASMEND
	;; [unrolled: 4-line block ×4, first 2 shown]
	s_waitcnt lgkmcnt(0)
	;;#ASMSTART
	v_cvt_f16_f32 v24, v26;

	;;#ASMEND
	;;#ASMSTART
	v_cvt_f16_f32 v27, v27;

	;;#ASMEND
	;; [unrolled: 4-line block ×4, first 2 shown]
	s_waitcnt vmcnt(0)
	v_mad_i64_i32 v[2:3], s[0:1], v14, s35, 0
	v_lshl_add_u64 v[14:15], v[2:3], 1, s[10:11]
	v_lshl_add_u64 v[2:3], v[14:15], 0, v[8:9]
	global_load_dwordx4 v[2:5], v[2:3], off
	v_cmp_eq_u32_e64 s[0:1], s30, v1
	s_and_saveexec_b64 s[16:17], s[0:1]
	s_cbranch_execz .LBB59_52
; %bb.51:                               ;   in Loop: Header=BB59_49 Depth=1
	v_or_b32_e32 v33, 7, v7
	v_or_b32_e32 v34, 6, v7
	s_waitcnt vmcnt(0)
	v_lshrrev_b32_e32 v35, 16, v5
	v_cmp_gt_i32_e64 s[2:3], s41, v33
	v_or_b32_e32 v31, 5, v7
	v_or_b32_e32 v32, 4, v7
	v_cndmask_b32_e64 v33, 0, v35, s[2:3]
	v_cmp_gt_i32_e64 s[2:3], s40, v34
	v_or_b32_e32 v26, 3, v7
	v_or_b32_e32 v30, 2, v7
	v_cndmask_b32_e64 v5, 0, v5, s[2:3]
	v_perm_b32 v5, v33, v5, s26
	v_lshrrev_b32_e32 v33, 16, v4
	v_cmp_gt_i32_e64 s[2:3], s39, v31
	v_add_u32_e32 v25, 1, v7
	s_nop 0
	v_cndmask_b32_e64 v31, 0, v33, s[2:3]
	v_cmp_gt_i32_e64 s[2:3], s38, v32
	s_nop 1
	v_cndmask_b32_e64 v4, 0, v4, s[2:3]
	v_perm_b32 v4, v31, v4, s26
	v_lshrrev_b32_e32 v31, 16, v3
	v_cmp_gt_i32_e64 s[2:3], s37, v26
	s_nop 1
	v_cndmask_b32_e64 v26, 0, v31, s[2:3]
	v_cmp_gt_i32_e64 s[2:3], s36, v30
	s_nop 1
	v_cndmask_b32_e64 v3, 0, v3, s[2:3]
	v_perm_b32 v3, v26, v3, s26
	v_lshrrev_b32_e32 v26, 16, v2
	v_cmp_gt_i32_e64 s[2:3], s31, v25
	s_nop 1
	v_cndmask_b32_e64 v25, 0, v26, s[2:3]
	v_cmp_gt_i32_e64 s[2:3], s21, v7
	s_nop 1
	v_cndmask_b32_e64 v2, 0, v2, s[2:3]
	v_perm_b32 v2, v25, v2, s26
.LBB59_52:                              ;   in Loop: Header=BB59_49 Depth=1
	s_or_b64 exec, exec, s[16:17]
	v_and_b32_e32 v13, 0xffff, v13
	v_lshl_or_b32 v26, v21, 16, v13
	v_and_b32_e32 v13, 0xffff, v22
	v_lshl_or_b32 v25, v23, 16, v13
	;; [unrolled: 2-line block ×3, first 2 shown]
	v_and_b32_e32 v13, 0xffff, v28
	s_waitcnt vmcnt(0)
	;;#ASMSTART
	v_pk_mul_f16 v2, v26, v2;

	;;#ASMEND
	v_lshl_or_b32 v23, v29, 16, v13
	;;#ASMSTART
	v_pk_mul_f16 v3, v25, v3;

	;;#ASMEND
	;;#ASMSTART
	v_pk_mul_f16 v4, v24, v4;

	;;#ASMEND
	;; [unrolled: 4-line block ×3, first 2 shown]
	s_nop 0
	;;#ASMSTART
	v_pk_add_f16 v2, v2, v3;

	;;#ASMEND
	s_nop 0
	;;#ASMSTART
	v_pk_add_f16 v2, v2, v4;

	;;#ASMEND
	;; [unrolled: 5-line block ×3, first 2 shown]
	s_nop 0
	v_lshrrev_b32_e32 v3, 16, v2
	v_and_b32_e32 v2, 0xffff, v2
	;;#ASMSTART
	v_cvt_f32_f16 v21, v2;
	;;#ASMEND
	;;#ASMSTART
	v_cvt_f32_f16 v22, v3;
	;;#ASMEND
	s_and_saveexec_b64 s[2:3], vcc
	s_cbranch_execz .LBB59_47
; %bb.53:                               ;   in Loop: Header=BB59_49 Depth=1
	v_mov_b32_e32 v13, v9
	v_lshl_add_u64 v[2:3], v[14:15], 0, v[12:13]
	global_load_dwordx4 v[2:5], v[2:3], off
	s_and_saveexec_b64 s[16:17], s[0:1]
	s_cbranch_execz .LBB59_46
; %bb.54:                               ;   in Loop: Header=BB59_49 Depth=1
	v_or_b32_e32 v29, 7, v7
	v_or_b32_e32 v30, 6, v7
	s_waitcnt vmcnt(0)
	v_lshrrev_b32_e32 v31, 16, v5
	v_cmp_gt_i32_e64 s[0:1], s41, v29
	v_or_b32_e32 v27, 5, v7
	v_or_b32_e32 v28, 4, v7
	v_cndmask_b32_e64 v29, 0, v31, s[0:1]
	v_cmp_gt_i32_e64 s[0:1], s40, v30
	v_or_b32_e32 v14, 3, v7
	v_or_b32_e32 v15, 2, v7
	v_cndmask_b32_e64 v5, 0, v5, s[0:1]
	v_perm_b32 v5, v29, v5, s26
	v_lshrrev_b32_e32 v29, 16, v4
	v_cmp_gt_i32_e64 s[0:1], s39, v27
	v_add_u32_e32 v13, 1, v7
	s_nop 0
	v_cndmask_b32_e64 v27, 0, v29, s[0:1]
	v_cmp_gt_i32_e64 s[0:1], s38, v28
	s_nop 1
	v_cndmask_b32_e64 v4, 0, v4, s[0:1]
	v_perm_b32 v4, v27, v4, s26
	v_lshrrev_b32_e32 v27, 16, v3
	v_cmp_gt_i32_e64 s[0:1], s37, v14
	s_nop 1
	v_cndmask_b32_e64 v14, 0, v27, s[0:1]
	v_cmp_gt_i32_e64 s[0:1], s36, v15
	s_nop 1
	v_cndmask_b32_e64 v3, 0, v3, s[0:1]
	v_perm_b32 v3, v14, v3, s26
	v_lshrrev_b32_e32 v14, 16, v2
	v_cmp_gt_i32_e64 s[0:1], s31, v13
	s_nop 1
	v_cndmask_b32_e64 v13, 0, v14, s[0:1]
	v_cmp_gt_i32_e64 s[0:1], s21, v7
	s_nop 1
	v_cndmask_b32_e64 v2, 0, v2, s[0:1]
	v_perm_b32 v2, v13, v2, s26
	s_branch .LBB59_46
.LBB59_55:
	s_or_b64 exec, exec, s[12:13]
.LBB59_56:
	s_or_b64 exec, exec, s[8:9]
	v_and_b32_e32 v1, 0x3c0, v0
	v_cmp_eq_u32_e32 vcc, 64, v1
	s_barrier
	s_and_saveexec_b64 s[0:1], vcc
	s_cbranch_execz .LBB59_59
; %bb.57:
	v_mov_b32_e32 v1, 0x100
	v_lshl_add_u32 v2, v16, 2, v1
	ds_write_b32 v2, v18
	s_and_b64 exec, exec, s[6:7]
	s_cbranch_execz .LBB59_59
; %bb.58:
	v_lshl_add_u32 v1, v0, 2, v1
	ds_write_b32 v1, v17
.LBB59_59:
	s_or_b64 exec, exec, s[0:1]
	v_cmp_gt_u32_e32 vcc, 64, v0
	v_or_b32_e32 v1, 64, v0
	s_waitcnt lgkmcnt(0)
	s_barrier
	s_and_saveexec_b64 s[2:3], vcc
	s_cbranch_execz .LBB59_63
; %bb.60:
	v_mov_b32_e32 v2, 0x100
	v_lshl_add_u32 v2, v0, 2, v2
	ds_read_b32 v0, v2
	s_movk_i32 s0, 0x78
	v_cmp_gt_u32_e64 s[0:1], s0, v1
	s_and_saveexec_b64 s[6:7], s[0:1]
	s_cbranch_execz .LBB59_62
; %bb.61:
	ds_read_b32 v2, v2 offset:256
	s_waitcnt lgkmcnt(0)
	v_add_f32_e32 v17, v17, v2
.LBB59_62:
	s_or_b64 exec, exec, s[6:7]
	s_waitcnt lgkmcnt(0)
	v_add_f32_e32 v18, v18, v0
.LBB59_63:
	s_or_b64 exec, exec, s[2:3]
	s_barrier
	s_and_saveexec_b64 s[0:1], vcc
	s_cbranch_execz .LBB59_66
; %bb.64:
	s_mul_i32 s0, s20, s19
	s_mul_i32 s0, s0, s5
	s_mulk_i32 s0, 0x78
	s_ashr_i32 s1, s0, 31
	s_lshl_b64 s[0:1], s[0:1], 1
	s_add_u32 s3, s24, s0
	s_mul_i32 s0, s19, s22
	s_addc_u32 s5, s25, s1
	s_ashr_i32 s1, s0, 31
	s_lshl_b64 s[0:1], s[0:1], 1
	s_add_u32 s3, s3, s0
	s_mul_i32 s0, s4, 0x78
	s_addc_u32 s5, s5, s1
	s_ashr_i32 s1, s0, 31
	s_lshl_b64 s[0:1], s[0:1], 1
	s_movk_i32 s2, 0x78
	s_add_u32 s0, s3, s0
	s_addc_u32 s1, s5, s1
	v_cmp_gt_u32_e32 vcc, s2, v1
	;;#ASMSTART
	v_cvt_f16_f32 v0, v18;

	;;#ASMEND
	global_store_short v6, v0, s[0:1]
	s_and_b64 exec, exec, vcc
	s_cbranch_execz .LBB59_66
; %bb.65:
	v_mov_b32_e32 v7, 0
	v_lshl_add_u64 v[0:1], s[0:1], 0, v[6:7]
	;;#ASMSTART
	v_cvt_f16_f32 v2, v17;

	;;#ASMEND
	global_store_short v[0:1], v2, off offset:128
.LBB59_66:
	s_endpgm
	.section	.rodata,"a",@progbits
	.p2align	6, 0x0
	.amdhsa_kernel _ZN4vllm25paged_attention_v1_kernelIttLi120ELi8ELi128ELNS_18Fp8KVCacheDataTypeE0ELb1EEEvPT_PKS2_PKT0_S8_ifPKiSA_iPKfiiiSC_SC_iiiii
		.amdhsa_group_segment_fixed_size 256
		.amdhsa_private_segment_fixed_size 0
		.amdhsa_kernarg_size 384
		.amdhsa_user_sgpr_count 2
		.amdhsa_user_sgpr_dispatch_ptr 0
		.amdhsa_user_sgpr_queue_ptr 0
		.amdhsa_user_sgpr_kernarg_segment_ptr 1
		.amdhsa_user_sgpr_dispatch_id 0
		.amdhsa_user_sgpr_kernarg_preload_length 0
		.amdhsa_user_sgpr_kernarg_preload_offset 0
		.amdhsa_user_sgpr_private_segment_size 0
		.amdhsa_uses_dynamic_stack 0
		.amdhsa_enable_private_segment 0
		.amdhsa_system_sgpr_workgroup_id_x 1
		.amdhsa_system_sgpr_workgroup_id_y 1
		.amdhsa_system_sgpr_workgroup_id_z 1
		.amdhsa_system_sgpr_workgroup_info 0
		.amdhsa_system_vgpr_workitem_id 0
		.amdhsa_next_free_vgpr 52
		.amdhsa_next_free_sgpr 46
		.amdhsa_accum_offset 52
		.amdhsa_reserve_vcc 1
		.amdhsa_float_round_mode_32 0
		.amdhsa_float_round_mode_16_64 0
		.amdhsa_float_denorm_mode_32 3
		.amdhsa_float_denorm_mode_16_64 3
		.amdhsa_dx10_clamp 1
		.amdhsa_ieee_mode 1
		.amdhsa_fp16_overflow 0
		.amdhsa_tg_split 0
		.amdhsa_exception_fp_ieee_invalid_op 0
		.amdhsa_exception_fp_denorm_src 0
		.amdhsa_exception_fp_ieee_div_zero 0
		.amdhsa_exception_fp_ieee_overflow 0
		.amdhsa_exception_fp_ieee_underflow 0
		.amdhsa_exception_fp_ieee_inexact 0
		.amdhsa_exception_int_div_zero 0
	.end_amdhsa_kernel
	.section	.text._ZN4vllm25paged_attention_v1_kernelIttLi120ELi8ELi128ELNS_18Fp8KVCacheDataTypeE0ELb1EEEvPT_PKS2_PKT0_S8_ifPKiSA_iPKfiiiSC_SC_iiiii,"axG",@progbits,_ZN4vllm25paged_attention_v1_kernelIttLi120ELi8ELi128ELNS_18Fp8KVCacheDataTypeE0ELb1EEEvPT_PKS2_PKT0_S8_ifPKiSA_iPKfiiiSC_SC_iiiii,comdat
.Lfunc_end59:
	.size	_ZN4vllm25paged_attention_v1_kernelIttLi120ELi8ELi128ELNS_18Fp8KVCacheDataTypeE0ELb1EEEvPT_PKS2_PKT0_S8_ifPKiSA_iPKfiiiSC_SC_iiiii, .Lfunc_end59-_ZN4vllm25paged_attention_v1_kernelIttLi120ELi8ELi128ELNS_18Fp8KVCacheDataTypeE0ELb1EEEvPT_PKS2_PKT0_S8_ifPKiSA_iPKfiiiSC_SC_iiiii
                                        ; -- End function
	.section	.AMDGPU.csdata,"",@progbits
; Kernel info:
; codeLenInByte = 5304
; NumSgprs: 52
; NumVgprs: 52
; NumAgprs: 0
; TotalNumVgprs: 52
; ScratchSize: 0
; MemoryBound: 0
; FloatMode: 240
; IeeeMode: 1
; LDSByteSize: 256 bytes/workgroup (compile time only)
; SGPRBlocks: 6
; VGPRBlocks: 6
; NumSGPRsForWavesPerEU: 52
; NumVGPRsForWavesPerEU: 52
; AccumOffset: 52
; Occupancy: 8
; WaveLimiterHint : 1
; COMPUTE_PGM_RSRC2:SCRATCH_EN: 0
; COMPUTE_PGM_RSRC2:USER_SGPR: 2
; COMPUTE_PGM_RSRC2:TRAP_HANDLER: 0
; COMPUTE_PGM_RSRC2:TGID_X_EN: 1
; COMPUTE_PGM_RSRC2:TGID_Y_EN: 1
; COMPUTE_PGM_RSRC2:TGID_Z_EN: 1
; COMPUTE_PGM_RSRC2:TIDIG_COMP_CNT: 0
; COMPUTE_PGM_RSRC3_GFX90A:ACCUM_OFFSET: 12
; COMPUTE_PGM_RSRC3_GFX90A:TG_SPLIT: 0
	.section	.text._ZN4vllm25paged_attention_v1_kernelIttLi128ELi8ELi128ELNS_18Fp8KVCacheDataTypeE0ELb1EEEvPT_PKS2_PKT0_S8_ifPKiSA_iPKfiiiSC_SC_iiiii,"axG",@progbits,_ZN4vllm25paged_attention_v1_kernelIttLi128ELi8ELi128ELNS_18Fp8KVCacheDataTypeE0ELb1EEEvPT_PKS2_PKT0_S8_ifPKiSA_iPKfiiiSC_SC_iiiii,comdat
	.protected	_ZN4vllm25paged_attention_v1_kernelIttLi128ELi8ELi128ELNS_18Fp8KVCacheDataTypeE0ELb1EEEvPT_PKS2_PKT0_S8_ifPKiSA_iPKfiiiSC_SC_iiiii ; -- Begin function _ZN4vllm25paged_attention_v1_kernelIttLi128ELi8ELi128ELNS_18Fp8KVCacheDataTypeE0ELb1EEEvPT_PKS2_PKT0_S8_ifPKiSA_iPKfiiiSC_SC_iiiii
	.globl	_ZN4vllm25paged_attention_v1_kernelIttLi128ELi8ELi128ELNS_18Fp8KVCacheDataTypeE0ELb1EEEvPT_PKS2_PKT0_S8_ifPKiSA_iPKfiiiSC_SC_iiiii
	.p2align	8
	.type	_ZN4vllm25paged_attention_v1_kernelIttLi128ELi8ELi128ELNS_18Fp8KVCacheDataTypeE0ELb1EEEvPT_PKS2_PKT0_S8_ifPKiSA_iPKfiiiSC_SC_iiiii,@function
_ZN4vllm25paged_attention_v1_kernelIttLi128ELi8ELi128ELNS_18Fp8KVCacheDataTypeE0ELb1EEEvPT_PKS2_PKT0_S8_ifPKiSA_iPKfiiiSC_SC_iiiii: ; @_ZN4vllm25paged_attention_v1_kernelIttLi128ELi8ELi128ELNS_18Fp8KVCacheDataTypeE0ELb1EEEvPT_PKS2_PKT0_S8_ifPKiSA_iPKfiiiSC_SC_iiiii
; %bb.0:
	s_load_dword s5, s[0:1], 0x80
	s_load_dwordx2 s[6:7], s[0:1], 0x30
	s_load_dwordx2 s[30:31], s[0:1], 0x20
	s_mov_b32 s10, s3
	s_ashr_i32 s11, s3, 31
	s_lshl_b64 s[8:9], s[10:11], 2
	s_waitcnt lgkmcnt(0)
	s_add_u32 s6, s6, s8
	s_addc_u32 s7, s7, s9
	s_abs_i32 s3, s30
	v_cvt_f32_u32_e32 v1, s3
	s_sub_i32 s11, 0, s3
	s_abs_i32 s9, s5
	s_xor_b32 s8, s5, s30
	v_rcp_iflag_f32_e32 v1, v1
	s_ashr_i32 s8, s8, 31
	s_mov_b32 s42, 0
	v_mul_f32_e32 v1, 0x4f7ffffe, v1
	v_cvt_u32_f32_e32 v1, v1
	s_nop 0
	v_readfirstlane_b32 s12, v1
	s_mul_i32 s11, s11, s12
	s_mul_hi_u32 s11, s12, s11
	s_add_i32 s12, s12, s11
	s_mul_hi_u32 s11, s9, s12
	s_mul_i32 s12, s11, s3
	s_sub_i32 s9, s9, s12
	s_add_i32 s12, s11, 1
	s_sub_i32 s13, s9, s3
	s_cmp_ge_u32 s9, s3
	s_cselect_b32 s11, s12, s11
	s_cselect_b32 s9, s13, s9
	s_add_i32 s12, s11, 1
	s_cmp_ge_u32 s9, s3
	s_cselect_b32 s3, s12, s11
	s_xor_b32 s3, s3, s8
	s_sub_i32 s12, s3, s8
	s_abs_i32 s22, s12
	v_cvt_f32_u32_e32 v1, s22
	s_load_dwordx2 s[8:9], s[0:1], 0x40
	s_sub_i32 s3, 0, s22
	s_abs_i32 s23, s2
	v_rcp_iflag_f32_e32 v1, v1
	s_nop 0
	v_mul_f32_e32 v1, 0x4f7ffffe, v1
	v_cvt_u32_f32_e32 v1, v1
	s_nop 0
	v_readfirstlane_b32 s11, v1
	s_mul_i32 s3, s3, s11
	s_mul_hi_u32 s3, s11, s3
	s_add_i32 s11, s11, s3
	s_waitcnt lgkmcnt(0)
	s_cmp_eq_u64 s[8:9], 0
	s_mul_hi_u32 s24, s23, s11
	s_cbranch_scc1 .LBB60_2
; %bb.1:
	s_ashr_i32 s3, s2, 31
	s_lshl_b64 s[14:15], s[2:3], 2
	s_add_u32 s8, s8, s14
	s_addc_u32 s9, s9, s15
	s_load_dword s42, s[8:9], 0x0
.LBB60_2:
	s_load_dword s11, s[6:7], 0x0
	s_ashr_i32 s9, s12, 31
	s_load_dwordx4 s[12:15], s[0:1], 0x48
	s_movk_i32 s6, 0x80
	s_ashr_i32 s3, s2, 31
	v_and_b32_e32 v4, 7, v0
	s_lshl_b32 s20, s2, 7
	v_cmp_gt_u32_e32 vcc, s6, v0
	v_lshlrev_b32_e32 v14, 1, v0
	s_and_saveexec_b64 s[6:7], vcc
	s_cbranch_execz .LBB60_4
; %bb.3:
	s_load_dwordx2 s[16:17], s[0:1], 0x8
	s_waitcnt lgkmcnt(0)
	s_mul_i32 s18, s10, s12
	s_ashr_i32 s19, s18, 31
	s_lshl_b64 s[18:19], s[18:19], 1
	v_lshrrev_b32_e32 v2, 2, v0
	s_add_u32 s8, s16, s18
	s_addc_u32 s12, s17, s19
	s_ashr_i32 s21, s20, 31
	s_lshl_b64 s[16:17], s[20:21], 1
	s_add_u32 s16, s8, s16
	s_addc_u32 s17, s12, s17
	global_load_ushort v1, v14, s[16:17]
	v_and_b32_e32 v2, 0xfe, v2
	v_lshl_add_u32 v2, v4, 5, v2
	s_waitcnt vmcnt(0)
	ds_write_b16 v2, v1
.LBB60_4:
	s_or_b64 exec, exec, s[6:7]
	s_mul_i32 s6, s24, s22
	s_sub_i32 s6, s23, s6
	s_xor_b32 s3, s3, s9
	s_add_i32 s7, s24, 1
	s_sub_i32 s9, s6, s22
	s_load_dwordx4 s[16:19], s[0:1], 0x68
	s_load_dword s8, s[0:1], 0x78
	s_cmp_ge_u32 s6, s22
	s_cselect_b32 s7, s7, s24
	s_cselect_b32 s6, s9, s6
	s_add_i32 s9, s7, 1
	s_cmp_ge_u32 s6, s22
	s_cselect_b32 s6, s9, s7
	s_waitcnt lgkmcnt(0)
	s_abs_i32 s21, s19
	v_cvt_f32_u32_e32 v1, s21
	s_xor_b32 s6, s6, s3
	s_sub_i32 s3, s6, s3
	s_sub_i32 s6, 0, s21
	v_rcp_iflag_f32_e32 v1, v1
	s_add_i32 s15, s11, -1
	s_abs_i32 s9, s15
	v_mul_f32_e32 v1, 0x4f7ffffe, v1
	v_cvt_u32_f32_e32 v1, v1
	s_barrier
	v_readfirstlane_b32 s33, v1
	s_mul_i32 s6, s6, s33
	s_mul_hi_u32 s6, s33, s6
	s_add_i32 s33, s33, s6
	s_cmp_lt_i32 s8, 0
	s_mul_hi_u32 s12, s9, s33
	s_cbranch_scc0 .LBB60_6
; %bb.5:
	s_mul_i32 s6, s16, s30
	s_add_i32 s6, s3, s6
	s_mul_i32 s6, s6, s8
	s_sub_i32 s40, 1, s6
	s_mov_b64 s[6:7], 0
	s_branch .LBB60_7
.LBB60_6:
	s_mov_b64 s[6:7], -1
                                        ; implicit-def: $sgpr40
.LBB60_7:
	s_load_dwordx2 s[24:25], s[0:1], 0x28
	s_ashr_i32 s15, s15, 31
	s_andn2_b64 vcc, exec, s[6:7]
	s_ashr_i32 s19, s19, 31
	s_cbranch_vccnz .LBB60_9
; %bb.8:
	s_mul_i32 s6, s5, s16
	s_add_i32 s2, s6, s2
	s_mul_i32 s2, s2, s8
	s_add_i32 s40, s2, 1
.LBB60_9:
	s_load_dword s2, s[0:1], 0x38
	s_load_dwordx2 s[22:23], s[0:1], 0x0
	s_load_dwordx2 s[28:29], s[0:1], 0x18
	s_load_dword s16, s[0:1], 0x88
	s_xor_b32 s6, s15, s19
	s_waitcnt lgkmcnt(0)
	s_mul_i32 s26, s10, s2
	s_mul_i32 s2, s12, s21
	s_sub_i32 s2, s9, s2
	s_ashr_i32 s27, s26, 31
	s_add_i32 s7, s12, 1
	s_sub_i32 s8, s2, s21
	s_cmp_ge_u32 s2, s21
	s_cselect_b32 s7, s7, s12
	s_cselect_b32 s2, s8, s2
	s_add_i32 s8, s7, 1
	s_cmp_ge_u32 s2, s21
	s_cselect_b32 s2, s8, s7
	s_xor_b32 s2, s2, s6
	s_sub_i32 s12, s2, s6
	s_add_i32 s2, s11, 7
	s_ashr_i32 s6, s2, 31
	s_lshr_b32 s6, s6, 29
	s_add_i32 s2, s2, s6
	s_ashr_i32 s41, s2, 3
	v_lshrrev_b32_e32 v15, 6, v0
	v_cmp_gt_i32_e64 s[6:7], s41, v15
	v_mov_b32_e32 v8, 0xff7fffff
	s_mul_i32 s14, s3, s14
	v_lshrrev_b32_e32 v10, 4, v0
	v_lshlrev_b32_e32 v16, 3, v15
	v_mbcnt_lo_u32_b32 v1, -1, 0
	s_and_saveexec_b64 s[34:35], s[6:7]
	s_cbranch_execz .LBB60_19
; %bb.10:
	s_load_dwordx2 s[0:1], s[0:1], 0x10
	s_ashr_i32 s15, s14, 31
	s_sub_i32 s30, s12, s17
	s_lshl_b64 s[2:3], s[14:15], 1
	v_bfe_u32 v6, v0, 3, 3
	s_waitcnt lgkmcnt(0)
	s_add_u32 s0, s0, s2
	s_addc_u32 s1, s1, s3
	s_abs_i32 s15, s18
	v_cvt_f32_u32_e32 v2, s15
	v_lshlrev_b32_e32 v12, 4, v6
	v_mov_b32_e32 v13, 0
	v_cmp_eq_u32_e32 vcc, 0, v4
	v_rcp_iflag_f32_e32 v5, v2
	v_lshl_add_u64 v[2:3], s[0:1], 0, v[12:13]
	s_sub_i32 s0, 0, s15
	v_lshlrev_b32_e32 v12, 1, v4
	v_mul_f32_e32 v5, 0x4f7ffffe, v5
	v_cvt_u32_f32_e32 v5, v5
	v_lshlrev_b32_e32 v7, 5, v4
	v_lshlrev_b32_e32 v8, 2, v6
	v_lshl_add_u64 v[2:3], v[2:3], 0, v[12:13]
	v_mul_lo_u32 v4, s0, v5
	s_lshl_b64 s[0:1], s[26:27], 2
	s_add_u32 s0, s24, s0
	v_mul_hi_u32 v4, v5, v4
	v_and_b32_e32 v12, 60, v10
	s_addc_u32 s1, s25, s1
	v_lshl_or_b32 v8, v15, 5, v8
	v_add_u32_e32 v9, v5, v4
	v_lshl_add_u64 v[4:5], s[0:1], 0, v[12:13]
	v_add_u32_e32 v12, 0x110, v8
	v_subrev_u32_e32 v8, s11, v6
	v_mbcnt_hi_u32_b32 v18, -1, v1
	v_add_u32_e32 v13, 1, v8
	v_and_b32_e32 v8, 64, v18
	s_mov_b32 s43, s13
	v_cmp_neq_f32_e64 s[2:3], s42, 0
	v_lshlrev_b32_e32 v11, 3, v15
	s_mov_b64 s[36:37], 0
	v_mov_b32_e32 v17, 0xff7fffff
	v_add_u32_e32 v19, 64, v8
	v_xor_b32_e32 v20, 4, v18
	v_xor_b32_e32 v21, 2, v18
	v_xor_b32_e32 v22, 1, v18
	v_mov_b32_e32 v8, 0xff7fffff
	v_mov_b32_e32 v23, v15
	s_branch .LBB60_13
.LBB60_11:                              ;   in Loop: Header=BB60_13 Depth=1
	s_or_b64 exec, exec, s[38:39]
.LBB60_12:                              ;   in Loop: Header=BB60_13 Depth=1
	s_or_b64 exec, exec, s[8:9]
	v_add_u32_e32 v23, 2, v23
	v_cmp_le_i32_e64 s[0:1], s41, v23
	v_lshl_add_u64 v[4:5], v[4:5], 0, 8
	v_add_u32_e32 v11, 16, v11
	s_or_b64 s[36:37], s[0:1], s[36:37]
	v_add_u32_e32 v12, 64, v12
	s_andn2_b64 exec, exec, s[36:37]
	s_cbranch_execz .LBB60_18
.LBB60_13:                              ; =>This Inner Loop Header: Depth=1
	v_mul_hi_u32 v24, v11, s33
	s_waitcnt lgkmcnt(0)
	v_mul_lo_u32 v25, v24, s21
	v_sub_u32_e32 v25, v11, v25
	v_add_u32_e32 v26, 1, v24
	v_cmp_le_u32_e64 s[0:1], s21, v25
	s_nop 1
	v_cndmask_b32_e64 v24, v24, v26, s[0:1]
	v_subrev_u32_e32 v26, s21, v25
	v_cndmask_b32_e64 v25, v25, v26, s[0:1]
	v_add_u32_e32 v26, 1, v24
	v_cmp_le_u32_e64 s[0:1], s21, v25
	s_nop 1
	v_cndmask_b32_e64 v24, v24, v26, s[0:1]
	v_xor_b32_e32 v24, s19, v24
	v_subrev_u32_e32 v24, s19, v24
	v_add_u32_e32 v25, s40, v24
	v_sub_u32_e32 v27, 0, v25
	v_ashrrev_i32_e32 v26, 31, v25
	v_max_i32_e32 v25, v25, v27
	v_mul_hi_u32 v27, v25, v9
	v_mul_lo_u32 v27, v27, s15
	v_sub_u32_e32 v25, v25, v27
	v_subrev_u32_e32 v27, s15, v25
	v_cmp_le_u32_e64 s[0:1], s15, v25
	v_cmp_ge_i32_e64 s[8:9], s30, v24
	s_nop 0
	v_cndmask_b32_e64 v25, v25, v27, s[0:1]
	v_subrev_u32_e32 v27, s15, v25
	v_cmp_le_u32_e64 s[0:1], s15, v25
	s_nop 1
	v_cndmask_b32_e64 v25, v25, v27, s[0:1]
	v_xor_b32_e32 v25, v25, v26
	v_sub_u32_e32 v25, v25, v26
	v_cmp_ne_u32_e64 s[0:1], 0, v25
	s_and_b64 s[0:1], s[0:1], s[8:9]
	s_and_b64 s[38:39], vcc, s[0:1]
	s_and_saveexec_b64 s[8:9], s[38:39]
	s_cbranch_execz .LBB60_15
; %bb.14:                               ;   in Loop: Header=BB60_13 Depth=1
	ds_write_b32 v12, v17
.LBB60_15:                              ;   in Loop: Header=BB60_13 Depth=1
	s_or_b64 exec, exec, s[8:9]
	s_xor_b64 s[0:1], s[0:1], -1
	s_and_saveexec_b64 s[8:9], s[0:1]
	s_cbranch_execz .LBB60_12
; %bb.16:                               ;   in Loop: Header=BB60_13 Depth=1
	global_load_dword v24, v[4:5], off
	s_waitcnt vmcnt(0)
	v_mad_i64_i32 v[24:25], s[0:1], v24, s43, 0
	v_lshl_add_u64 v[24:25], v[24:25], 1, v[2:3]
	global_load_ushort v26, v[24:25], off
	global_load_ushort v27, v[24:25], off offset:128
	global_load_ushort v28, v[24:25], off offset:256
	;; [unrolled: 1-line block ×10, first 2 shown]
	ds_read_u16 v37, v7
	global_load_ushort v38, v[24:25], off offset:1408
	global_load_ushort v39, v[24:25], off offset:1536
	;; [unrolled: 1-line block ×5, first 2 shown]
	s_waitcnt lgkmcnt(0)
	;;#ASMSTART
	v_cvt_f32_f16 v24, v37;
	;;#ASMEND
	v_cmp_lt_i32_e64 s[0:1], v20, v19
	s_waitcnt vmcnt(15)
	;;#ASMSTART
	v_cvt_f32_f16 v25, v26;
	;;#ASMEND
	ds_read_u16 v26, v7 offset:2
	s_waitcnt lgkmcnt(0)
	;;#ASMSTART
	v_cvt_f32_f16 v26, v26;
	;;#ASMEND
	s_waitcnt vmcnt(14)
	;;#ASMSTART
	v_cvt_f32_f16 v27, v27;
	;;#ASMEND
	ds_read_u16 v37, v7 offset:4
	v_mul_f32_e32 v26, v26, v27
	v_fmac_f32_e32 v26, v24, v25
	s_waitcnt lgkmcnt(0)
	;;#ASMSTART
	v_cvt_f32_f16 v37, v37;
	;;#ASMEND
	s_waitcnt vmcnt(13)
	;;#ASMSTART
	v_cvt_f32_f16 v28, v28;
	;;#ASMEND
	ds_read_u16 v43, v7 offset:6
	v_fmac_f32_e32 v26, v37, v28
	s_waitcnt lgkmcnt(0)
	;;#ASMSTART
	v_cvt_f32_f16 v43, v43;
	;;#ASMEND
	s_waitcnt vmcnt(12)
	;;#ASMSTART
	v_cvt_f32_f16 v29, v29;
	;;#ASMEND
	ds_read_u16 v44, v7 offset:8
	;; [unrolled: 10-line block ×12, first 2 shown]
	v_fmac_f32_e32 v26, v27, v28
	v_cndmask_b32_e64 v52, v18, v20, s[0:1]
	s_waitcnt lgkmcnt(0)
	;;#ASMSTART
	v_cvt_f32_f16 v29, v29;
	;;#ASMEND
	s_waitcnt vmcnt(1)
	;;#ASMSTART
	v_cvt_f32_f16 v30, v41;
	;;#ASMEND
	v_lshlrev_b32_e32 v52, 2, v52
	v_fmac_f32_e32 v26, v29, v30
	ds_read_u16 v31, v7 offset:30
	s_waitcnt lgkmcnt(0)
	;;#ASMSTART
	v_cvt_f32_f16 v24, v31;
	;;#ASMEND
	s_waitcnt vmcnt(0)
	;;#ASMSTART
	v_cvt_f32_f16 v25, v42;
	;;#ASMEND
	v_cmp_lt_i32_e64 s[0:1], v21, v19
	v_fmac_f32_e32 v26, v24, v25
	ds_bpermute_b32 v24, v52, v26
	v_cndmask_b32_e64 v25, v18, v21, s[0:1]
	v_lshlrev_b32_e32 v25, 2, v25
	v_cmp_lt_i32_e64 s[0:1], v22, v19
	s_waitcnt lgkmcnt(0)
	v_add_f32_e32 v24, v26, v24
	ds_bpermute_b32 v25, v25, v24
	v_cndmask_b32_e64 v26, v18, v22, s[0:1]
	s_waitcnt lgkmcnt(0)
	v_add_f32_e32 v24, v24, v25
	v_lshlrev_b32_e32 v25, 2, v26
	ds_bpermute_b32 v25, v25, v24
	s_and_saveexec_b64 s[38:39], vcc
	s_cbranch_execz .LBB60_11
; %bb.17:                               ;   in Loop: Header=BB60_13 Depth=1
	v_add_u32_e32 v26, v13, v11
	v_cvt_f32_i32_e32 v26, v26
	s_waitcnt lgkmcnt(0)
	v_add_f32_e32 v24, v24, v25
	v_add_u32_e32 v27, v6, v11
	v_cmp_gt_i32_e64 s[0:1], s11, v27
	v_mul_f32_e32 v25, s42, v26
	v_cndmask_b32_e64 v25, 0, v25, s[2:3]
	v_fmac_f32_e32 v25, s31, v24
	v_cndmask_b32_e64 v24, 0, v25, s[0:1]
	ds_write_b32 v12, v24
	v_max_f32_e32 v24, v8, v8
	v_max_f32_e32 v24, v24, v25
	v_cndmask_b32_e64 v8, v8, v24, s[0:1]
	s_branch .LBB60_11
.LBB60_18:
	s_or_b64 exec, exec, s[36:37]
.LBB60_19:
	s_or_b64 exec, exec, s[34:35]
	v_mbcnt_hi_u32_b32 v1, -1, v1
	v_and_b32_e32 v2, 64, v1
	v_add_u32_e32 v2, 64, v2
	v_xor_b32_e32 v3, 32, v1
	v_cmp_lt_i32_e32 vcc, v3, v2
	v_xor_b32_e32 v6, 16, v1
	v_max_f32_e32 v5, v8, v8
	v_cndmask_b32_e32 v3, v1, v3, vcc
	v_lshlrev_b32_e32 v4, 2, v3
	ds_bpermute_b32 v3, v4, v8
	v_cmp_lt_i32_e32 vcc, v6, v2
	v_xor_b32_e32 v7, 8, v1
	v_and_b32_e32 v17, 63, v0
	s_waitcnt lgkmcnt(0)
	v_max_f32_e32 v3, v3, v3
	v_max_f32_e32 v3, v5, v3
	v_cndmask_b32_e32 v5, v1, v6, vcc
	v_lshlrev_b32_e32 v6, 2, v5
	ds_bpermute_b32 v5, v6, v3
	v_cmp_lt_i32_e32 vcc, v7, v2
	s_waitcnt lgkmcnt(0)
	v_max_f32_e32 v5, v5, v5
	v_max_f32_e32 v5, v3, v5
	v_cndmask_b32_e32 v3, v1, v7, vcc
	v_lshlrev_b32_e32 v8, 2, v3
	ds_bpermute_b32 v7, v8, v5
	v_cmp_eq_u32_e32 vcc, 0, v17
	v_lshlrev_b32_e32 v3, 2, v15
	s_and_saveexec_b64 s[0:1], vcc
	s_cbranch_execz .LBB60_21
; %bb.20:
	s_waitcnt lgkmcnt(0)
	v_max_f32_e32 v7, v7, v7
	v_max_f32_e32 v5, v5, v5
	;; [unrolled: 1-line block ×3, first 2 shown]
	ds_write_b32 v3, v5 offset:256
.LBB60_21:
	s_or_b64 exec, exec, s[0:1]
	v_cmp_gt_u32_e64 s[0:1], 2, v17
	v_mov_b32_e32 v9, 0xff7fffff
	v_lshlrev_b32_e32 v5, 2, v17
	s_waitcnt lgkmcnt(0)
	s_barrier
	s_and_saveexec_b64 s[2:3], s[0:1]
	s_cbranch_execz .LBB60_23
; %bb.22:
	ds_read_b32 v9, v5 offset:256
.LBB60_23:
	s_or_b64 exec, exec, s[2:3]
	v_xor_b32_e32 v7, 1, v1
	v_cmp_lt_i32_e64 s[2:3], v7, v2
	v_lshlrev_b32_e32 v12, 2, v1
	s_nop 0
	v_cndmask_b32_e64 v7, v1, v7, s[2:3]
	v_lshlrev_b32_e32 v7, 2, v7
	s_waitcnt lgkmcnt(0)
	ds_bpermute_b32 v11, v7, v9
	v_max_f32_e32 v9, v9, v9
	s_lshl_b32 s2, s41, 3
	s_min_i32 s15, s2, s11
	v_cmp_gt_i32_e64 s[2:3], s15, v0
	s_waitcnt lgkmcnt(0)
	v_max_f32_e32 v11, v11, v11
	v_max_f32_e32 v11, v9, v11
	v_and_b32_e32 v9, 0x100, v12
	ds_bpermute_b32 v12, v9, v11
	v_mov_b32_e32 v11, 0
	s_and_saveexec_b64 s[30:31], s[2:3]
	s_cbranch_execz .LBB60_27
; %bb.24:
	v_mov_b32_e32 v11, 0x110
	v_lshl_add_u32 v13, v0, 2, v11
	s_mov_b64 s[34:35], 0
	v_mov_b32_e32 v11, 0
	v_mov_b32_e32 v18, v0
.LBB60_25:                              ; =>This Inner Loop Header: Depth=1
	ds_read_b32 v19, v13
	v_add_u32_e32 v18, 0x80, v18
	v_cmp_le_i32_e64 s[8:9], s15, v18
	s_or_b64 s[34:35], s[8:9], s[34:35]
	s_waitcnt lgkmcnt(0)
	v_sub_f32_e32 v19, v19, v12
	v_mul_f32_e32 v19, 0x3fb8aa3b, v19
	v_exp_f32_e32 v19, v19
	ds_write_b32 v13, v19
	v_add_f32_e32 v11, v11, v19
	v_add_u32_e32 v13, 0x200, v13
	s_andn2_b64 exec, exec, s[34:35]
	s_cbranch_execnz .LBB60_25
; %bb.26:
	s_or_b64 exec, exec, s[34:35]
.LBB60_27:
	s_or_b64 exec, exec, s[30:31]
	ds_bpermute_b32 v4, v4, v11
	s_waitcnt lgkmcnt(0)
	v_add_f32_e32 v4, v11, v4
	ds_bpermute_b32 v6, v6, v4
	s_waitcnt lgkmcnt(0)
	v_add_f32_e32 v4, v4, v6
	ds_bpermute_b32 v6, v8, v4
	v_xor_b32_e32 v8, 4, v1
	v_cmp_lt_i32_e64 s[8:9], v8, v2
	s_waitcnt lgkmcnt(0)
	v_add_f32_e32 v4, v4, v6
	v_cndmask_b32_e64 v8, v1, v8, s[8:9]
	v_lshlrev_b32_e32 v8, 2, v8
	ds_bpermute_b32 v6, v8, v4
	v_xor_b32_e32 v8, 2, v1
	v_cmp_lt_i32_e64 s[8:9], v8, v2
	s_waitcnt lgkmcnt(0)
	v_add_f32_e32 v2, v4, v6
	v_cndmask_b32_e64 v1, v1, v8, s[8:9]
	v_lshlrev_b32_e32 v1, 2, v1
	ds_bpermute_b32 v1, v1, v2
	s_waitcnt lgkmcnt(0)
	v_add_f32_e32 v1, v2, v1
	ds_bpermute_b32 v2, v7, v1
	s_waitcnt lgkmcnt(0)
	v_add_f32_e32 v1, v1, v2
	s_and_saveexec_b64 s[8:9], vcc
	s_cbranch_execz .LBB60_29
; %bb.28:
	ds_write_b32 v3, v1 offset:264
.LBB60_29:
	s_or_b64 exec, exec, s[8:9]
	s_waitcnt lgkmcnt(0)
	s_barrier
	s_and_saveexec_b64 s[8:9], s[0:1]
	s_cbranch_execz .LBB60_31
; %bb.30:
	ds_read_b32 v1, v5 offset:264
.LBB60_31:
	s_or_b64 exec, exec, s[8:9]
	s_waitcnt lgkmcnt(0)
	ds_bpermute_b32 v2, v7, v1
	s_waitcnt lgkmcnt(0)
	v_add_f32_e32 v1, v1, v2
	ds_bpermute_b32 v1, v9, v1
	s_and_saveexec_b64 s[0:1], s[2:3]
	s_cbranch_execz .LBB60_44
; %bb.32:
	s_waitcnt lgkmcnt(0)
	v_add_f32_e32 v1, 0x358637bd, v1
	v_div_scale_f32 v2, s[2:3], v1, v1, 1.0
	v_rcp_f32_e32 v3, v2
	v_div_scale_f32 v4, vcc, 1.0, v1, 1.0
	s_movk_i32 s2, 0x7f
	v_fma_f32 v5, -v2, v3, 1.0
	v_fmac_f32_e32 v3, v5, v3
	v_mul_f32_e32 v5, v4, v3
	v_fma_f32 v6, -v2, v5, v4
	v_fmac_f32_e32 v5, v6, v3
	v_fma_f32 v2, -v2, v5, v4
	v_div_fmas_f32 v2, v2, v3, v5
	v_xad_u32 v3, v0, -1, s15
	v_div_fixup_f32 v2, v2, v1, 1.0
	v_cmp_lt_u32_e32 vcc, s2, v3
	s_mov_b64 s[8:9], -1
	v_mov_b32_e32 v1, v0
	s_and_saveexec_b64 s[2:3], vcc
	s_cbranch_execz .LBB60_41
; %bb.33:
	v_lshrrev_b32_e32 v1, 7, v3
	v_add_u32_e32 v5, -1, v1
	v_lshrrev_b32_e32 v4, 1, v5
	v_mov_b32_e32 v3, v2
	v_add_u32_e32 v4, 1, v4
	v_cmp_lt_u32_e32 vcc, 13, v5
	v_mov_b32_e32 v7, 0
	s_and_saveexec_b64 s[8:9], vcc
	s_cbranch_execz .LBB60_37
; %bb.34:
	v_mov_b32_e32 v6, 0x110
	v_and_b32_e32 v5, -8, v4
	v_lshl_add_u32 v6, v0, 2, v6
	s_mov_b32 s34, 0
	s_mov_b64 s[30:31], 0
.LBB60_35:                              ; =>This Inner Loop Header: Depth=1
	ds_read2st64_b32 v[8:9], v6 offset1:2
	ds_read2st64_b32 v[12:13], v6 offset0:4 offset1:6
	ds_read2st64_b32 v[18:19], v6 offset0:8 offset1:10
	ds_read2st64_b32 v[20:21], v6 offset0:12 offset1:14
	v_add_u32_e32 v5, -8, v5
	s_waitcnt lgkmcnt(3)
	v_pk_mul_f32 v[8:9], v[2:3], v[8:9]
	s_waitcnt lgkmcnt(2)
	v_pk_mul_f32 v[12:13], v[2:3], v[12:13]
	ds_write2st64_b32 v6, v8, v9 offset1:2
	ds_write2st64_b32 v6, v12, v13 offset0:4 offset1:6
	ds_read2st64_b32 v[12:13], v6 offset0:16 offset1:18
	s_waitcnt lgkmcnt(4)
	v_pk_mul_f32 v[8:9], v[2:3], v[18:19]
	ds_write2st64_b32 v6, v8, v9 offset0:8 offset1:10
	s_waitcnt lgkmcnt(4)
	v_pk_mul_f32 v[8:9], v[2:3], v[20:21]
	ds_write2st64_b32 v6, v8, v9 offset0:12 offset1:14
	ds_read2st64_b32 v[8:9], v6 offset0:20 offset1:22
	s_waitcnt lgkmcnt(3)
	v_pk_mul_f32 v[12:13], v[2:3], v[12:13]
	ds_read2st64_b32 v[18:19], v6 offset0:24 offset1:26
	ds_write2st64_b32 v6, v12, v13 offset0:16 offset1:18
	ds_read2st64_b32 v[12:13], v6 offset0:28 offset1:30
	s_waitcnt lgkmcnt(3)
	v_pk_mul_f32 v[8:9], v[2:3], v[8:9]
	ds_write2st64_b32 v6, v8, v9 offset0:20 offset1:22
	s_waitcnt lgkmcnt(3)
	v_pk_mul_f32 v[8:9], v[2:3], v[18:19]
	ds_write2st64_b32 v6, v8, v9 offset0:24 offset1:26
	s_waitcnt lgkmcnt(2)
	v_pk_mul_f32 v[8:9], v[2:3], v[12:13]
	s_add_i32 s34, s34, 16
	v_cmp_eq_u32_e32 vcc, 0, v5
	ds_write2st64_b32 v6, v8, v9 offset0:28 offset1:30
	v_add_u32_e32 v6, 0x2000, v6
	s_or_b64 s[30:31], vcc, s[30:31]
	v_mov_b32_e32 v7, s34
	s_andn2_b64 exec, exec, s[30:31]
	s_cbranch_execnz .LBB60_35
; %bb.36:
	s_or_b64 exec, exec, s[30:31]
.LBB60_37:
	s_or_b64 exec, exec, s[8:9]
	v_and_b32_e32 v4, 7, v4
	v_cmp_ne_u32_e32 vcc, 0, v4
	s_and_saveexec_b64 s[8:9], vcc
	s_cbranch_execz .LBB60_40
; %bb.38:
	v_lshlrev_b32_e32 v5, 9, v7
	v_lshlrev_b32_e32 v6, 2, v0
	s_movk_i32 s30, 0x110
	v_add3_u32 v5, v5, v6, s30
	s_mov_b64 s[30:31], 0
.LBB60_39:                              ; =>This Inner Loop Header: Depth=1
	ds_read2st64_b32 v[6:7], v5 offset1:2
	v_add_u32_e32 v4, -1, v4
	v_cmp_eq_u32_e32 vcc, 0, v4
	s_or_b64 s[30:31], vcc, s[30:31]
	s_waitcnt lgkmcnt(0)
	v_pk_mul_f32 v[6:7], v[2:3], v[6:7]
	ds_write2st64_b32 v5, v6, v7 offset1:2
	v_add_u32_e32 v5, 0x400, v5
	s_andn2_b64 exec, exec, s[30:31]
	s_cbranch_execnz .LBB60_39
.LBB60_40:
	s_or_b64 exec, exec, s[8:9]
	v_add_u32_e32 v3, 1, v1
	v_and_b32_e32 v4, 0x3fffffe, v3
	v_cmp_ne_u32_e32 vcc, v3, v4
	v_lshl_add_u32 v1, v4, 7, v0
	s_orn2_b64 s[8:9], vcc, exec
.LBB60_41:
	s_or_b64 exec, exec, s[2:3]
	s_and_b64 exec, exec, s[8:9]
	s_cbranch_execz .LBB60_44
; %bb.42:
	v_mov_b32_e32 v3, 0x110
	v_lshl_add_u32 v3, v1, 2, v3
	s_mov_b64 s[2:3], 0
.LBB60_43:                              ; =>This Inner Loop Header: Depth=1
	ds_read_b32 v4, v3
	v_add_u32_e32 v1, 0x80, v1
	v_cmp_le_i32_e32 vcc, s15, v1
	s_or_b64 s[2:3], vcc, s[2:3]
	s_waitcnt lgkmcnt(0)
	v_mul_f32_e32 v4, v2, v4
	ds_write_b32 v3, v4
	v_add_u32_e32 v3, 0x200, v3
	s_andn2_b64 exec, exec, s[2:3]
	s_cbranch_execnz .LBB60_43
.LBB60_44:
	s_or_b64 exec, exec, s[0:1]
	s_waitcnt lgkmcnt(0)
	v_mov_b32_e32 v1, 0
	v_mov_b32_e32 v7, 0
	s_barrier
	s_and_saveexec_b64 s[2:3], s[6:7]
	s_cbranch_execz .LBB60_54
; %bb.45:
	s_ashr_i32 s15, s14, 31
	s_sub_i32 s17, s12, s17
	s_lshl_b64 s[0:1], s[14:15], 1
	s_add_u32 s0, s28, s0
	s_addc_u32 s1, s29, s1
	s_abs_i32 s14, s18
	v_cvt_f32_u32_e32 v1, s14
	s_sub_i32 s6, 0, s14
	v_mov_b32_e32 v7, 0
	v_lshlrev_b32_e32 v6, 4, v17
	v_rcp_iflag_f32_e32 v1, v1
	s_add_i32 s15, s41, -1
	v_lshl_add_u64 v[8:9], s[0:1], 0, v[6:7]
	s_lshl_b64 s[0:1], s[26:27], 2
	v_mul_f32_e32 v1, 0x4f7ffffe, v1
	v_cvt_u32_f32_e32 v1, v1
	s_add_u32 s0, s24, s0
	v_and_b32_e32 v6, 60, v10
	s_addc_u32 s1, s25, s1
	v_mul_lo_u32 v2, s6, v1
	v_mul_hi_u32 v2, v1, v2
	v_add_u32_e32 v18, v1, v2
	v_mov_b32_e32 v1, 0x110
	s_mov_b32 s30, s13
	s_mov_b32 s18, s11
	;; [unrolled: 1-line block ×8, first 2 shown]
	v_lshl_add_u64 v[10:11], s[0:1], 0, v[6:7]
	v_lshl_add_u32 v6, v15, 5, v1
	s_mov_b64 s[6:7], 0
	s_mov_b32 s24, 0x5040100
	v_mov_b32_e32 v1, v7
	s_branch .LBB60_48
.LBB60_46:                              ;   in Loop: Header=BB60_48 Depth=1
	s_or_b64 exec, exec, s[0:1]
	s_waitcnt vmcnt(0)
	;;#ASMSTART
	v_pk_mul_f16 v2, v29, v2;

	;;#ASMEND
	;;#ASMSTART
	v_pk_mul_f16 v3, v28, v3;

	;;#ASMEND
	;; [unrolled: 4-line block ×4, first 2 shown]
	v_add_f32_e32 v12, v30, v31
	;;#ASMSTART
	v_pk_add_f16 v2, v2, v3;

	;;#ASMEND
	v_add_f32_e32 v7, v7, v12
	;;#ASMSTART
	v_pk_add_f16 v2, v2, v4;

	;;#ASMEND
	s_nop 0
	;;#ASMSTART
	v_pk_add_f16 v2, v2, v5;

	;;#ASMEND
	s_nop 0
	v_lshrrev_b32_e32 v3, 16, v2
	v_and_b32_e32 v2, 0xffff, v2
	;;#ASMSTART
	v_cvt_f32_f16 v2, v2;
	;;#ASMEND
	;;#ASMSTART
	v_cvt_f32_f16 v3, v3;
	;;#ASMEND
	s_nop 0
	v_add_f32_e32 v2, v2, v3
	v_add_f32_e32 v1, v1, v2
.LBB60_47:                              ;   in Loop: Header=BB60_48 Depth=1
	s_or_b64 exec, exec, s[8:9]
	v_add_u32_e32 v15, 2, v15
	v_cmp_le_i32_e32 vcc, s41, v15
	v_lshl_add_u64 v[10:11], v[10:11], 0, 8
	v_add_u32_e32 v16, 16, v16
	s_or_b64 s[6:7], vcc, s[6:7]
	v_add_u32_e32 v6, 64, v6
	s_andn2_b64 exec, exec, s[6:7]
	s_cbranch_execz .LBB60_53
.LBB60_48:                              ; =>This Inner Loop Header: Depth=1
	v_mul_hi_u32 v2, v16, s33
	v_mul_lo_u32 v3, v2, s21
	v_sub_u32_e32 v3, v16, v3
	v_add_u32_e32 v4, 1, v2
	v_cmp_le_u32_e32 vcc, s21, v3
	s_nop 1
	v_cndmask_b32_e32 v2, v2, v4, vcc
	v_subrev_u32_e32 v4, s21, v3
	v_cndmask_b32_e32 v3, v3, v4, vcc
	v_add_u32_e32 v4, 1, v2
	v_cmp_le_u32_e32 vcc, s21, v3
	s_nop 1
	v_cndmask_b32_e32 v2, v2, v4, vcc
	v_xor_b32_e32 v2, s19, v2
	v_subrev_u32_e32 v2, s19, v2
	v_add_u32_e32 v3, s40, v2
	v_sub_u32_e32 v5, 0, v3
	v_ashrrev_i32_e32 v4, 31, v3
	v_max_i32_e32 v3, v3, v5
	v_mul_hi_u32 v5, v3, v18
	v_mul_lo_u32 v5, v5, s14
	v_sub_u32_e32 v3, v3, v5
	v_subrev_u32_e32 v5, s14, v3
	v_cmp_le_u32_e32 vcc, s14, v3
	v_cmp_lt_i32_e64 s[0:1], s17, v2
	s_nop 0
	v_cndmask_b32_e32 v3, v3, v5, vcc
	v_subrev_u32_e32 v5, s14, v3
	v_cmp_le_u32_e32 vcc, s14, v3
	s_nop 1
	v_cndmask_b32_e32 v3, v3, v5, vcc
	v_xor_b32_e32 v3, v3, v4
	v_sub_u32_e32 v3, v3, v4
	v_cmp_eq_u32_e32 vcc, 0, v3
	s_or_b64 s[0:1], vcc, s[0:1]
	s_and_saveexec_b64 s[8:9], s[0:1]
	s_cbranch_execz .LBB60_47
; %bb.49:                               ;   in Loop: Header=BB60_48 Depth=1
	global_load_dword v12, v[10:11], off
	ds_read2_b64 v[2:5], v6 offset1:1
	ds_read2_b64 v[20:23], v6 offset0:2 offset1:3
	v_cmp_eq_u32_e32 vcc, s15, v15
	v_add_u32_e32 v19, 1, v16
	s_waitcnt lgkmcnt(1)
	;;#ASMSTART
	v_cvt_f16_f32 v26, v2;

	;;#ASMEND
	;;#ASMSTART
	v_cvt_f16_f32 v27, v3;

	;;#ASMEND
	;; [unrolled: 4-line block ×4, first 2 shown]
	s_waitcnt lgkmcnt(0)
	;;#ASMSTART
	v_cvt_f16_f32 v31, v20;

	;;#ASMEND
	;;#ASMSTART
	v_cvt_f16_f32 v32, v21;

	;;#ASMEND
	;; [unrolled: 4-line block ×4, first 2 shown]
	v_or_b32_e32 v21, 3, v16
	v_or_b32_e32 v20, 2, v16
	;; [unrolled: 1-line block ×6, first 2 shown]
	s_waitcnt vmcnt(0)
	v_mad_i64_i32 v[2:3], s[0:1], v12, s30, 0
	v_lshl_add_u64 v[12:13], v[2:3], 1, v[8:9]
	global_load_dwordx4 v[2:5], v[12:13], off
	s_and_saveexec_b64 s[12:13], vcc
	s_cbranch_execz .LBB60_51
; %bb.50:                               ;   in Loop: Header=BB60_48 Depth=1
	s_waitcnt vmcnt(0)
	v_lshrrev_b32_e32 v29, 16, v5
	v_cmp_gt_i32_e64 s[0:1], s36, v25
	s_nop 1
	v_cndmask_b32_e64 v29, 0, v29, s[0:1]
	v_cmp_gt_i32_e64 s[0:1], s35, v24
	s_nop 1
	v_cndmask_b32_e64 v5, 0, v5, s[0:1]
	v_perm_b32 v5, v29, v5, s24
	v_lshrrev_b32_e32 v29, 16, v4
	v_cmp_gt_i32_e64 s[0:1], s34, v23
	s_nop 1
	v_cndmask_b32_e64 v29, 0, v29, s[0:1]
	v_cmp_gt_i32_e64 s[0:1], s31, v22
	s_nop 1
	v_cndmask_b32_e64 v4, 0, v4, s[0:1]
	v_perm_b32 v4, v29, v4, s24
	;; [unrolled: 8-line block ×4, first 2 shown]
.LBB60_51:                              ;   in Loop: Header=BB60_48 Depth=1
	s_or_b64 exec, exec, s[12:13]
	v_and_b32_e32 v26, 0xffff, v26
	v_lshl_or_b32 v29, v27, 16, v26
	v_and_b32_e32 v26, 0xffff, v28
	v_lshl_or_b32 v28, v30, 16, v26
	;; [unrolled: 2-line block ×3, first 2 shown]
	v_and_b32_e32 v26, 0xffff, v33
	s_waitcnt vmcnt(0)
	;;#ASMSTART
	v_pk_mul_f16 v2, v29, v2;

	;;#ASMEND
	v_lshl_or_b32 v26, v34, 16, v26
	;;#ASMSTART
	v_pk_mul_f16 v3, v28, v3;

	;;#ASMEND
	;;#ASMSTART
	v_pk_mul_f16 v4, v27, v4;

	;;#ASMEND
	;;#ASMSTART
	v_pk_mul_f16 v5, v26, v5;

	;;#ASMEND
	s_nop 0
	;;#ASMSTART
	v_pk_add_f16 v2, v2, v3;

	;;#ASMEND
	s_nop 0
	;;#ASMSTART
	v_pk_add_f16 v2, v2, v4;

	;;#ASMEND
	s_nop 0
	;;#ASMSTART
	v_pk_add_f16 v2, v2, v5;

	;;#ASMEND
	s_nop 0
	v_lshrrev_b32_e32 v3, 16, v2
	v_and_b32_e32 v2, 0xffff, v2
	;;#ASMSTART
	v_cvt_f32_f16 v30, v2;
	;;#ASMEND
	;;#ASMSTART
	v_cvt_f32_f16 v31, v3;
	;;#ASMEND
	global_load_dwordx4 v[2:5], v[12:13], off offset:1024
	s_and_saveexec_b64 s[0:1], vcc
	s_cbranch_execz .LBB60_46
; %bb.52:                               ;   in Loop: Header=BB60_48 Depth=1
	s_waitcnt vmcnt(0)
	v_lshrrev_b32_e32 v12, 16, v5
	v_cmp_gt_i32_e32 vcc, s36, v25
	s_nop 1
	v_cndmask_b32_e32 v12, 0, v12, vcc
	v_cmp_gt_i32_e32 vcc, s35, v24
	s_nop 1
	v_cndmask_b32_e32 v5, 0, v5, vcc
	v_perm_b32 v5, v12, v5, s24
	v_lshrrev_b32_e32 v12, 16, v4
	v_cmp_gt_i32_e32 vcc, s34, v23
	s_nop 1
	v_cndmask_b32_e32 v12, 0, v12, vcc
	v_cmp_gt_i32_e32 vcc, s31, v22
	s_nop 1
	v_cndmask_b32_e32 v4, 0, v4, vcc
	v_perm_b32 v4, v12, v4, s24
	;; [unrolled: 8-line block ×4, first 2 shown]
	s_branch .LBB60_46
.LBB60_53:
	s_or_b64 exec, exec, s[6:7]
.LBB60_54:
	s_or_b64 exec, exec, s[2:3]
	v_and_b32_e32 v2, 0x3c0, v0
	v_cmp_eq_u32_e32 vcc, 64, v2
	s_barrier
	s_and_saveexec_b64 s[0:1], vcc
	s_cbranch_execz .LBB60_56
; %bb.55:
	v_mov_b32_e32 v2, 0x110
	v_lshl_add_u32 v3, v0, 2, v2
	v_lshl_add_u32 v2, v17, 2, v2
	ds_write_b32 v2, v7
	ds_write_b32 v3, v1
.LBB60_56:
	s_or_b64 exec, exec, s[0:1]
	v_cmp_gt_u32_e32 vcc, 64, v0
	s_waitcnt lgkmcnt(0)
	s_barrier
	s_and_saveexec_b64 s[0:1], vcc
	s_cbranch_execz .LBB60_58
; %bb.57:
	v_mov_b32_e32 v2, 0x110
	v_lshl_add_u32 v0, v0, 2, v2
	ds_read2st64_b32 v[2:3], v0 offset1:1
	v_mov_b32_e32 v0, v7
	s_waitcnt lgkmcnt(0)
	v_pk_add_f32 v[0:1], v[0:1], v[2:3]
	s_nop 0
	v_mov_b32_e32 v7, v0
.LBB60_58:
	s_or_b64 exec, exec, s[0:1]
	s_barrier
	s_and_saveexec_b64 s[0:1], vcc
	s_cbranch_execz .LBB60_60
; %bb.59:
	s_mul_i32 s0, s10, s16
	s_mul_i32 s0, s0, s5
	s_lshl_b32 s0, s0, 7
	s_ashr_i32 s1, s0, 31
	s_lshl_b64 s[0:1], s[0:1], 1
	s_add_u32 s2, s22, s0
	s_mul_i32 s0, s16, s20
	s_addc_u32 s3, s23, s1
	s_ashr_i32 s1, s0, 31
	s_lshl_b64 s[0:1], s[0:1], 1
	s_add_u32 s2, s2, s0
	s_addc_u32 s3, s3, s1
	s_lshl_b32 s0, s4, 7
	s_ashr_i32 s1, s0, 31
	s_lshl_b64 s[0:1], s[0:1], 1
	s_add_u32 s0, s2, s0
	s_addc_u32 s1, s3, s1
	;;#ASMSTART
	v_cvt_f16_f32 v0, v7;

	;;#ASMEND
	global_store_short v14, v0, s[0:1]
	;;#ASMSTART
	v_cvt_f16_f32 v0, v1;

	;;#ASMEND
	global_store_short v14, v0, s[0:1] offset:128
.LBB60_60:
	s_endpgm
	.section	.rodata,"a",@progbits
	.p2align	6, 0x0
	.amdhsa_kernel _ZN4vllm25paged_attention_v1_kernelIttLi128ELi8ELi128ELNS_18Fp8KVCacheDataTypeE0ELb1EEEvPT_PKS2_PKT0_S8_ifPKiSA_iPKfiiiSC_SC_iiiii
		.amdhsa_group_segment_fixed_size 272
		.amdhsa_private_segment_fixed_size 0
		.amdhsa_kernarg_size 384
		.amdhsa_user_sgpr_count 2
		.amdhsa_user_sgpr_dispatch_ptr 0
		.amdhsa_user_sgpr_queue_ptr 0
		.amdhsa_user_sgpr_kernarg_segment_ptr 1
		.amdhsa_user_sgpr_dispatch_id 0
		.amdhsa_user_sgpr_kernarg_preload_length 0
		.amdhsa_user_sgpr_kernarg_preload_offset 0
		.amdhsa_user_sgpr_private_segment_size 0
		.amdhsa_uses_dynamic_stack 0
		.amdhsa_enable_private_segment 0
		.amdhsa_system_sgpr_workgroup_id_x 1
		.amdhsa_system_sgpr_workgroup_id_y 1
		.amdhsa_system_sgpr_workgroup_id_z 1
		.amdhsa_system_sgpr_workgroup_info 0
		.amdhsa_system_vgpr_workitem_id 0
		.amdhsa_next_free_vgpr 54
		.amdhsa_next_free_sgpr 44
		.amdhsa_accum_offset 56
		.amdhsa_reserve_vcc 1
		.amdhsa_float_round_mode_32 0
		.amdhsa_float_round_mode_16_64 0
		.amdhsa_float_denorm_mode_32 3
		.amdhsa_float_denorm_mode_16_64 3
		.amdhsa_dx10_clamp 1
		.amdhsa_ieee_mode 1
		.amdhsa_fp16_overflow 0
		.amdhsa_tg_split 0
		.amdhsa_exception_fp_ieee_invalid_op 0
		.amdhsa_exception_fp_denorm_src 0
		.amdhsa_exception_fp_ieee_div_zero 0
		.amdhsa_exception_fp_ieee_overflow 0
		.amdhsa_exception_fp_ieee_underflow 0
		.amdhsa_exception_fp_ieee_inexact 0
		.amdhsa_exception_int_div_zero 0
	.end_amdhsa_kernel
	.section	.text._ZN4vllm25paged_attention_v1_kernelIttLi128ELi8ELi128ELNS_18Fp8KVCacheDataTypeE0ELb1EEEvPT_PKS2_PKT0_S8_ifPKiSA_iPKfiiiSC_SC_iiiii,"axG",@progbits,_ZN4vllm25paged_attention_v1_kernelIttLi128ELi8ELi128ELNS_18Fp8KVCacheDataTypeE0ELb1EEEvPT_PKS2_PKT0_S8_ifPKiSA_iPKfiiiSC_SC_iiiii,comdat
.Lfunc_end60:
	.size	_ZN4vllm25paged_attention_v1_kernelIttLi128ELi8ELi128ELNS_18Fp8KVCacheDataTypeE0ELb1EEEvPT_PKS2_PKT0_S8_ifPKiSA_iPKfiiiSC_SC_iiiii, .Lfunc_end60-_ZN4vllm25paged_attention_v1_kernelIttLi128ELi8ELi128ELNS_18Fp8KVCacheDataTypeE0ELb1EEEvPT_PKS2_PKT0_S8_ifPKiSA_iPKfiiiSC_SC_iiiii
                                        ; -- End function
	.section	.AMDGPU.csdata,"",@progbits
; Kernel info:
; codeLenInByte = 5084
; NumSgprs: 50
; NumVgprs: 54
; NumAgprs: 0
; TotalNumVgprs: 54
; ScratchSize: 0
; MemoryBound: 0
; FloatMode: 240
; IeeeMode: 1
; LDSByteSize: 272 bytes/workgroup (compile time only)
; SGPRBlocks: 6
; VGPRBlocks: 6
; NumSGPRsForWavesPerEU: 50
; NumVGPRsForWavesPerEU: 54
; AccumOffset: 56
; Occupancy: 8
; WaveLimiterHint : 1
; COMPUTE_PGM_RSRC2:SCRATCH_EN: 0
; COMPUTE_PGM_RSRC2:USER_SGPR: 2
; COMPUTE_PGM_RSRC2:TRAP_HANDLER: 0
; COMPUTE_PGM_RSRC2:TGID_X_EN: 1
; COMPUTE_PGM_RSRC2:TGID_Y_EN: 1
; COMPUTE_PGM_RSRC2:TGID_Z_EN: 1
; COMPUTE_PGM_RSRC2:TIDIG_COMP_CNT: 0
; COMPUTE_PGM_RSRC3_GFX90A:ACCUM_OFFSET: 13
; COMPUTE_PGM_RSRC3_GFX90A:TG_SPLIT: 0
	.section	.text._ZN4vllm25paged_attention_v1_kernelIttLi192ELi8ELi128ELNS_18Fp8KVCacheDataTypeE0ELb1EEEvPT_PKS2_PKT0_S8_ifPKiSA_iPKfiiiSC_SC_iiiii,"axG",@progbits,_ZN4vllm25paged_attention_v1_kernelIttLi192ELi8ELi128ELNS_18Fp8KVCacheDataTypeE0ELb1EEEvPT_PKS2_PKT0_S8_ifPKiSA_iPKfiiiSC_SC_iiiii,comdat
	.protected	_ZN4vllm25paged_attention_v1_kernelIttLi192ELi8ELi128ELNS_18Fp8KVCacheDataTypeE0ELb1EEEvPT_PKS2_PKT0_S8_ifPKiSA_iPKfiiiSC_SC_iiiii ; -- Begin function _ZN4vllm25paged_attention_v1_kernelIttLi192ELi8ELi128ELNS_18Fp8KVCacheDataTypeE0ELb1EEEvPT_PKS2_PKT0_S8_ifPKiSA_iPKfiiiSC_SC_iiiii
	.globl	_ZN4vllm25paged_attention_v1_kernelIttLi192ELi8ELi128ELNS_18Fp8KVCacheDataTypeE0ELb1EEEvPT_PKS2_PKT0_S8_ifPKiSA_iPKfiiiSC_SC_iiiii
	.p2align	8
	.type	_ZN4vllm25paged_attention_v1_kernelIttLi192ELi8ELi128ELNS_18Fp8KVCacheDataTypeE0ELb1EEEvPT_PKS2_PKT0_S8_ifPKiSA_iPKfiiiSC_SC_iiiii,@function
_ZN4vllm25paged_attention_v1_kernelIttLi192ELi8ELi128ELNS_18Fp8KVCacheDataTypeE0ELb1EEEvPT_PKS2_PKT0_S8_ifPKiSA_iPKfiiiSC_SC_iiiii: ; @_ZN4vllm25paged_attention_v1_kernelIttLi192ELi8ELi128ELNS_18Fp8KVCacheDataTypeE0ELb1EEEvPT_PKS2_PKT0_S8_ifPKiSA_iPKfiiiSC_SC_iiiii
; %bb.0:
	s_load_dword s5, s[0:1], 0x80
	s_load_dwordx2 s[6:7], s[0:1], 0x30
	s_load_dwordx2 s[30:31], s[0:1], 0x20
	s_mov_b32 s20, s3
	s_ashr_i32 s21, s3, 31
	s_lshl_b64 s[8:9], s[20:21], 2
	s_waitcnt lgkmcnt(0)
	s_add_u32 s6, s6, s8
	s_addc_u32 s7, s7, s9
	s_abs_i32 s3, s30
	v_cvt_f32_u32_e32 v1, s3
	s_sub_i32 s10, 0, s3
	s_abs_i32 s9, s5
	s_xor_b32 s8, s5, s30
	v_rcp_iflag_f32_e32 v1, v1
	s_ashr_i32 s8, s8, 31
	s_mov_b32 s42, 0
	v_mul_f32_e32 v1, 0x4f7ffffe, v1
	v_cvt_u32_f32_e32 v1, v1
	s_nop 0
	v_readfirstlane_b32 s11, v1
	s_mul_i32 s10, s10, s11
	s_mul_hi_u32 s10, s11, s10
	s_add_i32 s11, s11, s10
	s_mul_hi_u32 s10, s9, s11
	s_mul_i32 s11, s10, s3
	s_sub_i32 s9, s9, s11
	s_add_i32 s11, s10, 1
	s_sub_i32 s12, s9, s3
	s_cmp_ge_u32 s9, s3
	s_cselect_b32 s10, s11, s10
	s_cselect_b32 s9, s12, s9
	s_add_i32 s11, s10, 1
	s_cmp_ge_u32 s9, s3
	s_cselect_b32 s3, s11, s10
	s_xor_b32 s3, s3, s8
	s_sub_i32 s34, s3, s8
	s_abs_i32 s28, s34
	v_cvt_f32_u32_e32 v1, s28
	s_load_dwordx2 s[8:9], s[0:1], 0x40
	s_sub_i32 s3, 0, s28
	s_abs_i32 s29, s2
	v_rcp_iflag_f32_e32 v1, v1
	s_nop 0
	v_mul_f32_e32 v1, 0x4f7ffffe, v1
	v_cvt_u32_f32_e32 v1, v1
	s_nop 0
	v_readfirstlane_b32 s12, v1
	s_mul_i32 s3, s3, s12
	s_mul_hi_u32 s3, s12, s3
	s_add_i32 s12, s12, s3
	s_waitcnt lgkmcnt(0)
	s_cmp_eq_u64 s[8:9], 0
	s_cbranch_scc1 .LBB61_2
; %bb.1:
	s_ashr_i32 s3, s2, 31
	s_lshl_b64 s[10:11], s[2:3], 2
	s_add_u32 s8, s8, s10
	s_addc_u32 s9, s9, s11
	s_load_dword s42, s[8:9], 0x0
.LBB61_2:
	s_load_dwordx2 s[22:23], s[0:1], 0x0
	s_nop 0
	s_load_dwordx4 s[8:11], s[0:1], 0x10
	s_mul_hi_u32 s3, s29, s12
	s_load_dword s21, s[0:1], 0x88
	s_load_dword s33, s[6:7], 0x0
	s_load_dwordx2 s[26:27], s[0:1], 0x28
	s_load_dwordx4 s[12:15], s[0:1], 0x48
	v_and_b32_e32 v9, 7, v0
	s_movk_i32 s6, 0xc0
	s_mul_i32 s24, s2, 0xc0
	s_ashr_i32 s25, s24, 31
	v_cmp_gt_u32_e32 vcc, s6, v0
	v_lshlrev_b32_e32 v2, 1, v9
	s_and_saveexec_b64 s[6:7], vcc
	s_cbranch_execz .LBB61_5
; %bb.3:
	s_load_dwordx2 s[16:17], s[0:1], 0x8
	s_waitcnt lgkmcnt(0)
	s_mul_i32 s18, s20, s12
	s_ashr_i32 s19, s18, 31
	s_lshl_b64 s[18:19], s[18:19], 1
	s_lshl_b64 s[36:37], s[24:25], 1
	s_add_u32 s12, s18, s36
	s_addc_u32 s15, s19, s37
	v_lshrrev_b32_e32 v4, 3, v0
	s_add_u32 s16, s16, s12
	v_add_u32_e32 v1, -16, v4
	v_lshlrev_b32_e32 v3, 1, v4
	v_lshl_or_b32 v4, v4, 4, v2
	v_mov_b32_e32 v5, 0
	s_addc_u32 s17, s17, s15
	v_mad_u32_u24 v3, v9, 48, v3
	v_lshl_add_u64 v[4:5], s[16:17], 0, v[4:5]
	s_mov_b64 s[16:17], 0
	s_mov_b64 s[18:19], 0x100
.LBB61_4:                               ; =>This Inner Loop Header: Depth=1
	global_load_ushort v6, v[4:5], off
	v_add_u32_e32 v1, 16, v1
	v_cmp_lt_u32_e32 vcc, 7, v1
	v_lshl_add_u64 v[4:5], v[4:5], 0, s[18:19]
	s_or_b64 s[16:17], vcc, s[16:17]
	s_waitcnt vmcnt(0)
	ds_write_b16 v3, v6
	v_add_u32_e32 v3, 32, v3
	s_andn2_b64 exec, exec, s[16:17]
	s_cbranch_execnz .LBB61_4
.LBB61_5:
	s_or_b64 exec, exec, s[6:7]
	s_ashr_i32 s6, s2, 31
	s_ashr_i32 s7, s34, 31
	s_xor_b32 s6, s6, s7
	s_mul_i32 s7, s3, s28
	s_sub_i32 s7, s29, s7
	s_waitcnt lgkmcnt(0)
	s_add_i32 s12, s3, 1
	s_sub_i32 s25, s7, s28
	s_load_dwordx4 s[16:19], s[0:1], 0x68
	s_load_dword s15, s[0:1], 0x78
	s_cmp_ge_u32 s7, s28
	s_cselect_b32 s3, s12, s3
	s_cselect_b32 s7, s25, s7
	s_add_i32 s12, s3, 1
	s_cmp_ge_u32 s7, s28
	s_cselect_b32 s3, s12, s3
	s_waitcnt lgkmcnt(0)
	s_abs_i32 s12, s19
	v_cvt_f32_u32_e32 v1, s12
	s_xor_b32 s3, s3, s6
	s_sub_i32 s3, s3, s6
	s_sub_i32 s6, 0, s12
	v_rcp_iflag_f32_e32 v1, v1
	s_add_i32 s29, s33, -1
	s_abs_i32 s28, s29
	v_mul_f32_e32 v1, 0x4f7ffffe, v1
	v_cvt_u32_f32_e32 v1, v1
	s_barrier
	v_readfirstlane_b32 s25, v1
	s_mul_i32 s6, s6, s25
	s_mul_hi_u32 s6, s25, s6
	s_add_i32 s25, s25, s6
	s_cmp_lt_i32 s15, 0
	s_mul_hi_u32 s34, s28, s25
	s_cbranch_scc0 .LBB61_7
; %bb.6:
	s_mul_i32 s6, s16, s30
	s_add_i32 s6, s3, s6
	s_mul_i32 s6, s6, s15
	s_sub_i32 s40, 1, s6
	s_ashr_i32 s29, s29, 31
	s_ashr_i32 s19, s19, 31
	s_cbranch_execz .LBB61_8
	s_branch .LBB61_9
.LBB61_7:
                                        ; implicit-def: $sgpr40
	s_ashr_i32 s29, s29, 31
	s_ashr_i32 s19, s19, 31
.LBB61_8:
	s_mul_i32 s6, s5, s16
	s_add_i32 s2, s6, s2
	s_mul_i32 s2, s2, s15
	s_add_i32 s40, s2, 1
.LBB61_9:
	s_load_dword s0, s[0:1], 0x38
	s_mul_i32 s2, s34, s12
	s_sub_i32 s2, s28, s2
	s_xor_b32 s1, s29, s19
	s_add_i32 s6, s34, 1
	s_waitcnt lgkmcnt(0)
	s_mul_i32 s28, s20, s0
	s_ashr_i32 s29, s28, 31
	s_sub_i32 s0, s2, s12
	s_cmp_ge_u32 s2, s12
	s_cselect_b32 s6, s6, s34
	s_cselect_b32 s0, s0, s2
	s_add_i32 s2, s6, 1
	s_cmp_ge_u32 s0, s12
	s_cselect_b32 s0, s2, s6
	s_xor_b32 s0, s0, s1
	s_sub_i32 s41, s0, s1
	s_add_i32 s0, s33, 7
	s_ashr_i32 s1, s0, 31
	s_lshr_b32 s1, s1, 29
	s_add_i32 s0, s0, s1
	s_ashr_i32 s16, s0, 3
	v_lshrrev_b32_e32 v1, 6, v0
	v_cmp_gt_i32_e64 s[0:1], s16, v1
	v_mov_b32_e32 v10, 0xff7fffff
	s_mul_i32 s14, s3, s14
	v_lshrrev_b32_e32 v12, 4, v0
	v_lshlrev_b32_e32 v8, 3, v1
	v_mbcnt_lo_u32_b32 v6, -1, 0
	s_and_saveexec_b64 s[34:35], s[0:1]
	s_cbranch_execz .LBB61_19
; %bb.10:
	s_ashr_i32 s15, s14, 31
	s_sub_i32 s30, s41, s17
	s_lshl_b64 s[2:3], s[14:15], 1
	s_add_u32 s2, s8, s2
	s_addc_u32 s3, s9, s3
	s_abs_i32 s15, s18
	v_cvt_f32_u32_e32 v3, s15
	v_bfe_u32 v7, v0, 3, 3
	v_lshlrev_b32_e32 v4, 4, v7
	v_mov_b32_e32 v5, 0
	v_rcp_iflag_f32_e32 v13, v3
	v_lshl_add_u64 v[10:11], s[2:3], 0, v[4:5]
	v_mov_b32_e32 v3, v5
	s_sub_i32 s6, 0, s15
	v_mul_f32_e32 v4, 0x4f7ffffe, v13
	v_cvt_u32_f32_e32 v4, v4
	v_lshl_add_u64 v[2:3], v[10:11], 0, v[2:3]
	v_mbcnt_hi_u32_b32 v17, -1, v6
	v_cmp_eq_u32_e32 vcc, 0, v9
	v_mul_lo_u32 v10, s6, v4
	v_mul_hi_u32 v10, v4, v10
	v_add_u32_e32 v11, v4, v10
	v_lshlrev_b32_e32 v10, 2, v7
	s_lshl_b64 s[6:7], s[28:29], 2
	v_lshl_or_b32 v10, v1, 5, v10
	s_add_u32 s6, s26, s6
	v_add_u32_e32 v14, 0x190, v10
	v_subrev_u32_e32 v10, s33, v7
	v_and_b32_e32 v4, 60, v12
	s_addc_u32 s7, s27, s7
	v_add_u32_e32 v15, 1, v10
	v_and_b32_e32 v10, 64, v17
	s_mov_b32 s43, s13
	v_mul_u32_u24_e32 v9, 48, v9
	v_cmp_neq_f32_e64 s[2:3], s42, 0
	v_lshl_add_u64 v[4:5], s[6:7], 0, v[4:5]
	v_lshlrev_b32_e32 v13, 3, v1
	s_mov_b64 s[36:37], 0
	v_mov_b32_e32 v16, 0xff7fffff
	v_add_u32_e32 v18, 64, v10
	v_xor_b32_e32 v19, 4, v17
	v_xor_b32_e32 v20, 2, v17
	;; [unrolled: 1-line block ×3, first 2 shown]
	v_mov_b32_e32 v10, 0xff7fffff
	v_mov_b32_e32 v22, v1
	s_branch .LBB61_13
.LBB61_11:                              ;   in Loop: Header=BB61_13 Depth=1
	s_or_b64 exec, exec, s[38:39]
.LBB61_12:                              ;   in Loop: Header=BB61_13 Depth=1
	s_or_b64 exec, exec, s[8:9]
	v_add_u32_e32 v22, 2, v22
	v_cmp_le_i32_e64 s[6:7], s16, v22
	v_lshl_add_u64 v[4:5], v[4:5], 0, 8
	v_add_u32_e32 v13, 16, v13
	s_or_b64 s[36:37], s[6:7], s[36:37]
	v_add_u32_e32 v14, 64, v14
	s_andn2_b64 exec, exec, s[36:37]
	s_cbranch_execz .LBB61_18
.LBB61_13:                              ; =>This Inner Loop Header: Depth=1
	v_mul_hi_u32 v23, v13, s25
	s_waitcnt lgkmcnt(0)
	v_mul_lo_u32 v24, v23, s12
	v_sub_u32_e32 v24, v13, v24
	v_add_u32_e32 v25, 1, v23
	v_cmp_le_u32_e64 s[6:7], s12, v24
	s_nop 1
	v_cndmask_b32_e64 v23, v23, v25, s[6:7]
	v_subrev_u32_e32 v25, s12, v24
	v_cndmask_b32_e64 v24, v24, v25, s[6:7]
	v_add_u32_e32 v25, 1, v23
	v_cmp_le_u32_e64 s[6:7], s12, v24
	s_nop 1
	v_cndmask_b32_e64 v23, v23, v25, s[6:7]
	v_xor_b32_e32 v23, s19, v23
	v_subrev_u32_e32 v23, s19, v23
	v_add_u32_e32 v24, s40, v23
	v_sub_u32_e32 v26, 0, v24
	v_ashrrev_i32_e32 v25, 31, v24
	v_max_i32_e32 v24, v24, v26
	v_mul_hi_u32 v26, v24, v11
	v_mul_lo_u32 v26, v26, s15
	v_sub_u32_e32 v24, v24, v26
	v_subrev_u32_e32 v26, s15, v24
	v_cmp_le_u32_e64 s[6:7], s15, v24
	v_cmp_ge_i32_e64 s[8:9], s30, v23
	s_nop 0
	v_cndmask_b32_e64 v24, v24, v26, s[6:7]
	v_subrev_u32_e32 v26, s15, v24
	v_cmp_le_u32_e64 s[6:7], s15, v24
	s_nop 1
	v_cndmask_b32_e64 v24, v24, v26, s[6:7]
	v_xor_b32_e32 v24, v24, v25
	v_sub_u32_e32 v24, v24, v25
	v_cmp_ne_u32_e64 s[6:7], 0, v24
	s_and_b64 s[6:7], s[6:7], s[8:9]
	s_and_b64 s[38:39], vcc, s[6:7]
	s_and_saveexec_b64 s[8:9], s[38:39]
	s_cbranch_execz .LBB61_15
; %bb.14:                               ;   in Loop: Header=BB61_13 Depth=1
	ds_write_b32 v14, v16
.LBB61_15:                              ;   in Loop: Header=BB61_13 Depth=1
	s_or_b64 exec, exec, s[8:9]
	s_xor_b64 s[6:7], s[6:7], -1
	s_and_saveexec_b64 s[8:9], s[6:7]
	s_cbranch_execz .LBB61_12
; %bb.16:                               ;   in Loop: Header=BB61_13 Depth=1
	global_load_dword v23, v[4:5], off
	s_waitcnt vmcnt(0)
	v_mad_i64_i32 v[24:25], s[6:7], v23, s43, 0
	v_lshl_add_u64 v[24:25], v[24:25], 1, v[2:3]
	global_load_ushort v23, v[24:25], off
	global_load_ushort v26, v[24:25], off offset:128
	global_load_ushort v27, v[24:25], off offset:256
	;; [unrolled: 1-line block ×9, first 2 shown]
	ds_read_u16 v35, v9
	global_load_ushort v36, v[24:25], off offset:1280
	global_load_ushort v37, v[24:25], off offset:1408
	;; [unrolled: 1-line block ×14, first 2 shown]
	s_waitcnt lgkmcnt(0)
	;;#ASMSTART
	v_cvt_f32_f16 v24, v35;
	;;#ASMEND
	v_cmp_lt_i32_e64 s[6:7], v19, v18
	s_waitcnt vmcnt(23)
	;;#ASMSTART
	v_cvt_f32_f16 v23, v23;
	;;#ASMEND
	ds_read_u16 v25, v9 offset:2
	s_waitcnt lgkmcnt(0)
	;;#ASMSTART
	v_cvt_f32_f16 v25, v25;
	;;#ASMEND
	s_waitcnt vmcnt(22)
	;;#ASMSTART
	v_cvt_f32_f16 v26, v26;
	;;#ASMEND
	ds_read_u16 v35, v9 offset:4
	v_mul_f32_e32 v25, v25, v26
	v_fmac_f32_e32 v25, v24, v23
	s_waitcnt lgkmcnt(0)
	;;#ASMSTART
	v_cvt_f32_f16 v35, v35;
	;;#ASMEND
	s_waitcnt vmcnt(21)
	;;#ASMSTART
	v_cvt_f32_f16 v27, v27;
	;;#ASMEND
	ds_read_u16 v50, v9 offset:6
	v_fmac_f32_e32 v25, v35, v27
	s_waitcnt lgkmcnt(0)
	;;#ASMSTART
	v_cvt_f32_f16 v50, v50;
	;;#ASMEND
	s_waitcnt vmcnt(20)
	;;#ASMSTART
	v_cvt_f32_f16 v28, v28;
	;;#ASMEND
	ds_read_u16 v51, v9 offset:8
	;; [unrolled: 10-line block ×19, first 2 shown]
	v_fmac_f32_e32 v25, v28, v29
	s_waitcnt lgkmcnt(0)
	;;#ASMSTART
	v_cvt_f32_f16 v30, v30;
	;;#ASMEND
	s_waitcnt vmcnt(2)
	;;#ASMSTART
	v_cvt_f32_f16 v31, v47;
	;;#ASMEND
	v_cndmask_b32_e64 v65, v17, v19, s[6:7]
	v_fmac_f32_e32 v25, v30, v31
	ds_read_u16 v32, v9 offset:44
	s_waitcnt lgkmcnt(0)
	;;#ASMSTART
	v_cvt_f32_f16 v23, v32;
	;;#ASMEND
	s_waitcnt vmcnt(1)
	;;#ASMSTART
	v_cvt_f32_f16 v24, v48;
	;;#ASMEND
	v_lshlrev_b32_e32 v65, 2, v65
	v_fmac_f32_e32 v25, v23, v24
	ds_read_u16 v32, v9 offset:46
	s_waitcnt lgkmcnt(0)
	;;#ASMSTART
	v_cvt_f32_f16 v23, v32;
	;;#ASMEND
	s_waitcnt vmcnt(0)
	;;#ASMSTART
	v_cvt_f32_f16 v24, v49;
	;;#ASMEND
	v_cmp_lt_i32_e64 s[6:7], v20, v18
	v_fmac_f32_e32 v25, v23, v24
	ds_bpermute_b32 v23, v65, v25
	v_cndmask_b32_e64 v24, v17, v20, s[6:7]
	v_lshlrev_b32_e32 v24, 2, v24
	v_cmp_lt_i32_e64 s[6:7], v21, v18
	s_waitcnt lgkmcnt(0)
	v_add_f32_e32 v23, v25, v23
	ds_bpermute_b32 v24, v24, v23
	v_cndmask_b32_e64 v25, v17, v21, s[6:7]
	s_waitcnt lgkmcnt(0)
	v_add_f32_e32 v23, v23, v24
	v_lshlrev_b32_e32 v24, 2, v25
	ds_bpermute_b32 v24, v24, v23
	s_and_saveexec_b64 s[38:39], vcc
	s_cbranch_execz .LBB61_11
; %bb.17:                               ;   in Loop: Header=BB61_13 Depth=1
	v_add_u32_e32 v25, v15, v13
	v_cvt_f32_i32_e32 v25, v25
	s_waitcnt lgkmcnt(0)
	v_add_f32_e32 v23, v23, v24
	v_add_u32_e32 v26, v7, v13
	v_cmp_gt_i32_e64 s[6:7], s33, v26
	v_mul_f32_e32 v24, s42, v25
	v_cndmask_b32_e64 v24, 0, v24, s[2:3]
	v_fmac_f32_e32 v24, s31, v23
	v_cndmask_b32_e64 v23, 0, v24, s[6:7]
	ds_write_b32 v14, v23
	v_max_f32_e32 v23, v10, v10
	v_max_f32_e32 v23, v23, v24
	v_cndmask_b32_e64 v10, v10, v23, s[6:7]
	s_branch .LBB61_11
.LBB61_18:
	s_or_b64 exec, exec, s[36:37]
.LBB61_19:
	s_or_b64 exec, exec, s[34:35]
	v_mbcnt_hi_u32_b32 v2, -1, v6
	v_and_b32_e32 v3, 64, v2
	v_add_u32_e32 v3, 64, v3
	v_xor_b32_e32 v4, 32, v2
	v_cmp_lt_i32_e32 vcc, v4, v3
	v_xor_b32_e32 v7, 16, v2
	v_max_f32_e32 v6, v10, v10
	v_cndmask_b32_e32 v4, v2, v4, vcc
	v_lshlrev_b32_e32 v5, 2, v4
	ds_bpermute_b32 v4, v5, v10
	v_cmp_lt_i32_e32 vcc, v7, v3
	v_xor_b32_e32 v9, 8, v2
	v_and_b32_e32 v16, 63, v0
	s_waitcnt lgkmcnt(0)
	v_max_f32_e32 v4, v4, v4
	v_max_f32_e32 v4, v6, v4
	v_cndmask_b32_e32 v6, v2, v7, vcc
	v_lshlrev_b32_e32 v7, 2, v6
	ds_bpermute_b32 v6, v7, v4
	v_cmp_lt_i32_e32 vcc, v9, v3
	s_waitcnt lgkmcnt(0)
	v_max_f32_e32 v6, v6, v6
	v_max_f32_e32 v6, v4, v6
	v_cndmask_b32_e32 v4, v2, v9, vcc
	v_lshlrev_b32_e32 v10, 2, v4
	ds_bpermute_b32 v9, v10, v6
	v_cmp_eq_u32_e32 vcc, 0, v16
	v_lshlrev_b32_e32 v4, 2, v1
	s_and_saveexec_b64 s[2:3], vcc
	s_cbranch_execz .LBB61_21
; %bb.20:
	s_waitcnt lgkmcnt(0)
	v_max_f32_e32 v9, v9, v9
	v_max_f32_e32 v6, v6, v6
	;; [unrolled: 1-line block ×3, first 2 shown]
	ds_write_b32 v4, v6 offset:384
.LBB61_21:
	s_or_b64 exec, exec, s[2:3]
	v_cmp_gt_u32_e64 s[2:3], 2, v16
	v_mov_b32_e32 v11, 0xff7fffff
	v_lshlrev_b32_e32 v6, 2, v16
	s_waitcnt lgkmcnt(0)
	s_barrier
	s_and_saveexec_b64 s[6:7], s[2:3]
	s_cbranch_execz .LBB61_23
; %bb.22:
	ds_read_b32 v11, v6 offset:384
.LBB61_23:
	s_or_b64 exec, exec, s[6:7]
	v_xor_b32_e32 v9, 1, v2
	v_cmp_lt_i32_e64 s[6:7], v9, v3
	v_lshlrev_b32_e32 v14, 2, v2
	s_nop 0
	v_cndmask_b32_e64 v9, v2, v9, s[6:7]
	v_lshlrev_b32_e32 v9, 2, v9
	s_waitcnt lgkmcnt(0)
	ds_bpermute_b32 v13, v9, v11
	v_max_f32_e32 v11, v11, v11
	s_lshl_b32 s6, s16, 3
	s_min_i32 s15, s6, s33
	v_cmp_gt_i32_e64 s[6:7], s15, v0
	s_waitcnt lgkmcnt(0)
	v_max_f32_e32 v13, v13, v13
	v_max_f32_e32 v13, v11, v13
	v_and_b32_e32 v11, 0x100, v14
	ds_bpermute_b32 v14, v11, v13
	v_mov_b32_e32 v13, 0
	s_and_saveexec_b64 s[30:31], s[6:7]
	s_cbranch_execz .LBB61_27
; %bb.24:
	v_mov_b32_e32 v13, 0x190
	v_lshl_add_u32 v15, v0, 2, v13
	s_mov_b64 s[34:35], 0
	v_mov_b32_e32 v13, 0
	v_mov_b32_e32 v17, v0
.LBB61_25:                              ; =>This Inner Loop Header: Depth=1
	ds_read_b32 v18, v15
	v_add_u32_e32 v17, 0x80, v17
	v_cmp_le_i32_e64 s[8:9], s15, v17
	s_or_b64 s[34:35], s[8:9], s[34:35]
	s_waitcnt lgkmcnt(0)
	v_sub_f32_e32 v18, v18, v14
	v_mul_f32_e32 v18, 0x3fb8aa3b, v18
	v_exp_f32_e32 v18, v18
	ds_write_b32 v15, v18
	v_add_f32_e32 v13, v13, v18
	v_add_u32_e32 v15, 0x200, v15
	s_andn2_b64 exec, exec, s[34:35]
	s_cbranch_execnz .LBB61_25
; %bb.26:
	s_or_b64 exec, exec, s[34:35]
.LBB61_27:
	s_or_b64 exec, exec, s[30:31]
	ds_bpermute_b32 v5, v5, v13
	s_waitcnt lgkmcnt(0)
	v_add_f32_e32 v5, v13, v5
	ds_bpermute_b32 v7, v7, v5
	s_waitcnt lgkmcnt(0)
	v_add_f32_e32 v5, v5, v7
	ds_bpermute_b32 v7, v10, v5
	v_xor_b32_e32 v10, 4, v2
	v_cmp_lt_i32_e64 s[8:9], v10, v3
	s_waitcnt lgkmcnt(0)
	v_add_f32_e32 v5, v5, v7
	v_cndmask_b32_e64 v10, v2, v10, s[8:9]
	v_lshlrev_b32_e32 v10, 2, v10
	ds_bpermute_b32 v7, v10, v5
	v_xor_b32_e32 v10, 2, v2
	v_cmp_lt_i32_e64 s[8:9], v10, v3
	s_waitcnt lgkmcnt(0)
	v_add_f32_e32 v3, v5, v7
	v_cndmask_b32_e64 v2, v2, v10, s[8:9]
	v_lshlrev_b32_e32 v2, 2, v2
	ds_bpermute_b32 v2, v2, v3
	s_waitcnt lgkmcnt(0)
	v_add_f32_e32 v2, v3, v2
	ds_bpermute_b32 v3, v9, v2
	s_waitcnt lgkmcnt(0)
	v_add_f32_e32 v2, v2, v3
	s_and_saveexec_b64 s[8:9], vcc
	s_cbranch_execz .LBB61_29
; %bb.28:
	ds_write_b32 v4, v2 offset:392
.LBB61_29:
	s_or_b64 exec, exec, s[8:9]
	s_waitcnt lgkmcnt(0)
	s_barrier
	s_and_saveexec_b64 s[8:9], s[2:3]
	s_cbranch_execz .LBB61_31
; %bb.30:
	ds_read_b32 v2, v6 offset:392
.LBB61_31:
	s_or_b64 exec, exec, s[8:9]
	s_waitcnt lgkmcnt(0)
	ds_bpermute_b32 v3, v9, v2
	s_waitcnt lgkmcnt(0)
	v_add_f32_e32 v2, v2, v3
	ds_bpermute_b32 v2, v11, v2
	s_and_saveexec_b64 s[2:3], s[6:7]
	s_cbranch_execz .LBB61_44
; %bb.32:
	s_waitcnt lgkmcnt(0)
	v_add_f32_e32 v2, 0x358637bd, v2
	v_div_scale_f32 v3, s[6:7], v2, v2, 1.0
	v_rcp_f32_e32 v4, v3
	v_div_scale_f32 v5, vcc, 1.0, v2, 1.0
	s_movk_i32 s6, 0x7f
	v_fma_f32 v6, -v3, v4, 1.0
	v_fmac_f32_e32 v4, v6, v4
	v_mul_f32_e32 v6, v5, v4
	v_fma_f32 v7, -v3, v6, v5
	v_fmac_f32_e32 v6, v7, v4
	v_fma_f32 v3, -v3, v6, v5
	v_div_fmas_f32 v3, v3, v4, v6
	v_xad_u32 v4, v0, -1, s15
	v_div_fixup_f32 v2, v3, v2, 1.0
	v_cmp_lt_u32_e32 vcc, s6, v4
	s_mov_b64 s[8:9], -1
	v_mov_b32_e32 v3, v0
	s_and_saveexec_b64 s[6:7], vcc
	s_cbranch_execz .LBB61_41
; %bb.33:
	v_lshrrev_b32_e32 v4, 7, v4
	v_add_u32_e32 v6, -1, v4
	v_lshrrev_b32_e32 v5, 1, v6
	v_mov_b32_e32 v3, v2
	v_add_u32_e32 v5, 1, v5
	v_cmp_lt_u32_e32 vcc, 13, v6
	v_mov_b32_e32 v9, 0
	s_and_saveexec_b64 s[8:9], vcc
	s_cbranch_execz .LBB61_37
; %bb.34:
	v_mov_b32_e32 v7, 0x190
	v_and_b32_e32 v6, -8, v5
	v_lshl_add_u32 v7, v0, 2, v7
	s_mov_b32 s34, 0
	s_mov_b64 s[30:31], 0
.LBB61_35:                              ; =>This Inner Loop Header: Depth=1
	ds_read2st64_b32 v[10:11], v7 offset1:2
	ds_read2st64_b32 v[14:15], v7 offset0:4 offset1:6
	ds_read2st64_b32 v[18:19], v7 offset0:8 offset1:10
	;; [unrolled: 1-line block ×3, first 2 shown]
	v_add_u32_e32 v6, -8, v6
	s_waitcnt lgkmcnt(3)
	v_pk_mul_f32 v[10:11], v[2:3], v[10:11]
	s_waitcnt lgkmcnt(2)
	v_pk_mul_f32 v[14:15], v[2:3], v[14:15]
	ds_write2st64_b32 v7, v10, v11 offset1:2
	ds_write2st64_b32 v7, v14, v15 offset0:4 offset1:6
	ds_read2st64_b32 v[14:15], v7 offset0:16 offset1:18
	s_waitcnt lgkmcnt(4)
	v_pk_mul_f32 v[10:11], v[2:3], v[18:19]
	ds_write2st64_b32 v7, v10, v11 offset0:8 offset1:10
	s_waitcnt lgkmcnt(4)
	v_pk_mul_f32 v[10:11], v[2:3], v[20:21]
	ds_write2st64_b32 v7, v10, v11 offset0:12 offset1:14
	ds_read2st64_b32 v[10:11], v7 offset0:20 offset1:22
	s_waitcnt lgkmcnt(3)
	v_pk_mul_f32 v[14:15], v[2:3], v[14:15]
	ds_read2st64_b32 v[18:19], v7 offset0:24 offset1:26
	ds_write2st64_b32 v7, v14, v15 offset0:16 offset1:18
	ds_read2st64_b32 v[14:15], v7 offset0:28 offset1:30
	s_waitcnt lgkmcnt(3)
	v_pk_mul_f32 v[10:11], v[2:3], v[10:11]
	ds_write2st64_b32 v7, v10, v11 offset0:20 offset1:22
	s_waitcnt lgkmcnt(3)
	v_pk_mul_f32 v[10:11], v[2:3], v[18:19]
	ds_write2st64_b32 v7, v10, v11 offset0:24 offset1:26
	s_waitcnt lgkmcnt(2)
	v_pk_mul_f32 v[10:11], v[2:3], v[14:15]
	s_add_i32 s34, s34, 16
	v_cmp_eq_u32_e32 vcc, 0, v6
	ds_write2st64_b32 v7, v10, v11 offset0:28 offset1:30
	v_add_u32_e32 v7, 0x2000, v7
	s_or_b64 s[30:31], vcc, s[30:31]
	v_mov_b32_e32 v9, s34
	s_andn2_b64 exec, exec, s[30:31]
	s_cbranch_execnz .LBB61_35
; %bb.36:
	s_or_b64 exec, exec, s[30:31]
.LBB61_37:
	s_or_b64 exec, exec, s[8:9]
	v_and_b32_e32 v5, 7, v5
	v_cmp_ne_u32_e32 vcc, 0, v5
	s_and_saveexec_b64 s[8:9], vcc
	s_cbranch_execz .LBB61_40
; %bb.38:
	v_lshlrev_b32_e32 v6, 9, v9
	v_lshlrev_b32_e32 v7, 2, v0
	s_movk_i32 s30, 0x190
	v_add3_u32 v6, v6, v7, s30
	s_mov_b64 s[30:31], 0
.LBB61_39:                              ; =>This Inner Loop Header: Depth=1
	ds_read2st64_b32 v[10:11], v6 offset1:2
	v_add_u32_e32 v5, -1, v5
	v_cmp_eq_u32_e32 vcc, 0, v5
	s_or_b64 s[30:31], vcc, s[30:31]
	s_waitcnt lgkmcnt(0)
	v_pk_mul_f32 v[10:11], v[2:3], v[10:11]
	ds_write2st64_b32 v6, v10, v11 offset1:2
	v_add_u32_e32 v6, 0x400, v6
	s_andn2_b64 exec, exec, s[30:31]
	s_cbranch_execnz .LBB61_39
.LBB61_40:
	s_or_b64 exec, exec, s[8:9]
	v_add_u32_e32 v4, 1, v4
	v_and_b32_e32 v5, 0x3fffffe, v4
	v_cmp_ne_u32_e32 vcc, v4, v5
	v_lshl_add_u32 v3, v5, 7, v0
	s_orn2_b64 s[8:9], vcc, exec
.LBB61_41:
	s_or_b64 exec, exec, s[6:7]
	s_and_b64 exec, exec, s[8:9]
	s_cbranch_execz .LBB61_44
; %bb.42:
	v_mov_b32_e32 v4, 0x190
	v_lshl_add_u32 v4, v3, 2, v4
	s_mov_b64 s[6:7], 0
.LBB61_43:                              ; =>This Inner Loop Header: Depth=1
	ds_read_b32 v5, v4
	v_add_u32_e32 v3, 0x80, v3
	v_cmp_le_i32_e32 vcc, s15, v3
	s_or_b64 s[6:7], vcc, s[6:7]
	s_waitcnt lgkmcnt(0)
	v_mul_f32_e32 v5, v2, v5
	ds_write_b32 v4, v5
	v_add_u32_e32 v4, 0x200, v4
	s_andn2_b64 exec, exec, s[6:7]
	s_cbranch_execnz .LBB61_43
.LBB61_44:
	s_or_b64 exec, exec, s[2:3]
	v_mov_b32_e32 v6, 0
	v_mov_b32_e32 v9, 0
	;; [unrolled: 1-line block ×3, first 2 shown]
	s_waitcnt lgkmcnt(0)
	s_barrier
	s_and_saveexec_b64 s[2:3], s[0:1]
	s_cbranch_execz .LBB61_56
; %bb.45:
	s_ashr_i32 s15, s14, 31
	s_sub_i32 s17, s41, s17
	s_lshl_b64 s[0:1], s[14:15], 1
	s_add_u32 s0, s10, s0
	s_addc_u32 s1, s11, s1
	s_abs_i32 s14, s18
	v_cvt_f32_u32_e32 v2, s14
	s_sub_i32 s6, 0, s14
	v_mov_b32_e32 v7, 0
	v_lshlrev_b32_e32 v6, 4, v16
	v_rcp_iflag_f32_e32 v2, v2
	s_add_i32 s15, s16, -1
	v_lshl_add_u64 v[10:11], s[0:1], 0, v[6:7]
	s_lshl_b64 s[0:1], s[28:29], 2
	v_mul_f32_e32 v2, 0x4f7ffffe, v2
	v_cvt_u32_f32_e32 v2, v2
	s_add_u32 s0, s26, s0
	v_and_b32_e32 v6, 60, v12
	s_addc_u32 s1, s27, s1
	v_mul_lo_u32 v3, s6, v2
	v_mul_hi_u32 v3, v2, v3
	v_add_u32_e32 v17, v2, v3
	v_mov_b32_e32 v2, 0x190
	s_mov_b32 s18, s33
	s_mov_b32 s30, s33
	;; [unrolled: 1-line block ×7, first 2 shown]
	v_lshl_add_u64 v[12:13], s[0:1], 0, v[6:7]
	v_lshl_add_u32 v18, v1, 5, v2
	s_mov_b64 s[6:7], 0
	s_mov_b32 s26, 0x5040100
	v_mov_b32_e32 v9, v7
	v_mov_b32_e32 v6, v7
	s_branch .LBB61_48
.LBB61_46:                              ;   in Loop: Header=BB61_48 Depth=1
	s_or_b64 exec, exec, s[0:1]
	s_waitcnt vmcnt(0)
	;;#ASMSTART
	v_pk_mul_f16 v2, v29, v2;

	;;#ASMEND
	;;#ASMSTART
	v_pk_mul_f16 v3, v28, v3;

	;;#ASMEND
	;; [unrolled: 4-line block ×4, first 2 shown]
	v_add_f32_e32 v14, v32, v33
	;;#ASMSTART
	v_pk_add_f16 v2, v2, v3;

	;;#ASMEND
	v_add_f32_e32 v9, v9, v14
	;;#ASMSTART
	v_pk_add_f16 v2, v2, v4;

	;;#ASMEND
	;; [unrolled: 5-line block ×3, first 2 shown]
	v_add_f32_e32 v7, v7, v14
	v_lshrrev_b32_e32 v3, 16, v2
	v_and_b32_e32 v2, 0xffff, v2
	;;#ASMSTART
	v_cvt_f32_f16 v2, v2;
	;;#ASMEND
	;;#ASMSTART
	v_cvt_f32_f16 v3, v3;
	;;#ASMEND
	s_nop 0
	v_add_f32_e32 v2, v2, v3
	v_add_f32_e32 v6, v6, v2
.LBB61_47:                              ;   in Loop: Header=BB61_48 Depth=1
	s_or_b64 exec, exec, s[8:9]
	v_add_u32_e32 v1, 2, v1
	v_cmp_le_i32_e32 vcc, s16, v1
	v_lshl_add_u64 v[12:13], v[12:13], 0, 8
	v_add_u32_e32 v8, 16, v8
	s_or_b64 s[6:7], vcc, s[6:7]
	v_add_u32_e32 v18, 64, v18
	s_andn2_b64 exec, exec, s[6:7]
	s_cbranch_execz .LBB61_55
.LBB61_48:                              ; =>This Inner Loop Header: Depth=1
	v_mul_hi_u32 v2, v8, s25
	v_mul_lo_u32 v3, v2, s12
	v_sub_u32_e32 v3, v8, v3
	v_add_u32_e32 v4, 1, v2
	v_cmp_le_u32_e32 vcc, s12, v3
	s_nop 1
	v_cndmask_b32_e32 v2, v2, v4, vcc
	v_subrev_u32_e32 v4, s12, v3
	v_cndmask_b32_e32 v3, v3, v4, vcc
	v_add_u32_e32 v4, 1, v2
	v_cmp_le_u32_e32 vcc, s12, v3
	s_nop 1
	v_cndmask_b32_e32 v2, v2, v4, vcc
	v_xor_b32_e32 v2, s19, v2
	v_subrev_u32_e32 v2, s19, v2
	v_add_u32_e32 v3, s40, v2
	v_sub_u32_e32 v5, 0, v3
	v_ashrrev_i32_e32 v4, 31, v3
	v_max_i32_e32 v3, v3, v5
	v_mul_hi_u32 v5, v3, v17
	v_mul_lo_u32 v5, v5, s14
	v_sub_u32_e32 v3, v3, v5
	v_subrev_u32_e32 v5, s14, v3
	v_cmp_le_u32_e32 vcc, s14, v3
	v_cmp_lt_i32_e64 s[0:1], s17, v2
	s_nop 0
	v_cndmask_b32_e32 v3, v3, v5, vcc
	v_subrev_u32_e32 v5, s14, v3
	v_cmp_le_u32_e32 vcc, s14, v3
	s_nop 1
	v_cndmask_b32_e32 v3, v3, v5, vcc
	v_xor_b32_e32 v3, v3, v4
	v_sub_u32_e32 v3, v3, v4
	v_cmp_eq_u32_e32 vcc, 0, v3
	s_or_b64 s[0:1], vcc, s[0:1]
	s_and_saveexec_b64 s[8:9], s[0:1]
	s_cbranch_execz .LBB61_47
; %bb.49:                               ;   in Loop: Header=BB61_48 Depth=1
	global_load_dword v14, v[12:13], off
	ds_read2_b64 v[2:5], v18 offset1:1
	ds_read2_b64 v[20:23], v18 offset0:2 offset1:3
	v_cmp_eq_u32_e32 vcc, s15, v1
	v_add_u32_e32 v19, 1, v8
	s_waitcnt lgkmcnt(1)
	;;#ASMSTART
	v_cvt_f16_f32 v26, v2;

	;;#ASMEND
	;;#ASMSTART
	v_cvt_f16_f32 v27, v3;

	;;#ASMEND
	;;#ASMSTART
	v_cvt_f16_f32 v28, v4;

	;;#ASMEND
	;;#ASMSTART
	v_cvt_f16_f32 v30, v5;

	;;#ASMEND
	s_waitcnt lgkmcnt(0)
	;;#ASMSTART
	v_cvt_f16_f32 v31, v20;

	;;#ASMEND
	;;#ASMSTART
	v_cvt_f16_f32 v32, v21;

	;;#ASMEND
	;; [unrolled: 4-line block ×4, first 2 shown]
	v_or_b32_e32 v21, 3, v8
	v_or_b32_e32 v20, 2, v8
	;; [unrolled: 1-line block ×6, first 2 shown]
	s_waitcnt vmcnt(0)
	v_mad_i64_i32 v[2:3], s[0:1], v14, s13, 0
	v_lshl_add_u64 v[14:15], v[2:3], 1, v[10:11]
	global_load_dwordx4 v[2:5], v[14:15], off
	s_and_saveexec_b64 s[10:11], vcc
	s_cbranch_execz .LBB61_51
; %bb.50:                               ;   in Loop: Header=BB61_48 Depth=1
	s_waitcnt vmcnt(0)
	v_lshrrev_b32_e32 v29, 16, v5
	v_cmp_gt_i32_e64 s[0:1], s37, v25
	s_nop 1
	v_cndmask_b32_e64 v29, 0, v29, s[0:1]
	v_cmp_gt_i32_e64 s[0:1], s36, v24
	s_nop 1
	v_cndmask_b32_e64 v5, 0, v5, s[0:1]
	v_perm_b32 v5, v29, v5, s26
	v_lshrrev_b32_e32 v29, 16, v4
	v_cmp_gt_i32_e64 s[0:1], s35, v23
	s_nop 1
	v_cndmask_b32_e64 v29, 0, v29, s[0:1]
	v_cmp_gt_i32_e64 s[0:1], s34, v22
	s_nop 1
	v_cndmask_b32_e64 v4, 0, v4, s[0:1]
	v_perm_b32 v4, v29, v4, s26
	;; [unrolled: 8-line block ×4, first 2 shown]
.LBB61_51:                              ;   in Loop: Header=BB61_48 Depth=1
	s_or_b64 exec, exec, s[10:11]
	v_and_b32_e32 v26, 0xffff, v26
	v_lshl_or_b32 v29, v27, 16, v26
	v_and_b32_e32 v26, 0xffff, v28
	v_lshl_or_b32 v28, v30, 16, v26
	;; [unrolled: 2-line block ×3, first 2 shown]
	v_and_b32_e32 v26, 0xffff, v33
	s_waitcnt vmcnt(0)
	;;#ASMSTART
	v_pk_mul_f16 v2, v29, v2;

	;;#ASMEND
	v_lshl_or_b32 v26, v34, 16, v26
	;;#ASMSTART
	v_pk_mul_f16 v3, v28, v3;

	;;#ASMEND
	;;#ASMSTART
	v_pk_mul_f16 v4, v27, v4;

	;;#ASMEND
	;; [unrolled: 4-line block ×3, first 2 shown]
	s_nop 0
	;;#ASMSTART
	v_pk_add_f16 v2, v2, v3;

	;;#ASMEND
	s_nop 0
	;;#ASMSTART
	v_pk_add_f16 v2, v2, v4;

	;;#ASMEND
	s_nop 0
	;;#ASMSTART
	v_pk_add_f16 v2, v2, v5;

	;;#ASMEND
	s_nop 0
	v_lshrrev_b32_e32 v3, 16, v2
	v_and_b32_e32 v2, 0xffff, v2
	;;#ASMSTART
	v_cvt_f32_f16 v30, v2;
	;;#ASMEND
	;;#ASMSTART
	v_cvt_f32_f16 v31, v3;
	;;#ASMEND
	global_load_dwordx4 v[2:5], v[14:15], off offset:1024
	s_and_saveexec_b64 s[10:11], vcc
	s_cbranch_execz .LBB61_53
; %bb.52:                               ;   in Loop: Header=BB61_48 Depth=1
	s_waitcnt vmcnt(0)
	v_lshrrev_b32_e32 v32, 16, v5
	v_cmp_gt_i32_e64 s[0:1], s37, v25
	s_nop 1
	v_cndmask_b32_e64 v32, 0, v32, s[0:1]
	v_cmp_gt_i32_e64 s[0:1], s36, v24
	s_nop 1
	v_cndmask_b32_e64 v5, 0, v5, s[0:1]
	v_perm_b32 v5, v32, v5, s26
	v_lshrrev_b32_e32 v32, 16, v4
	v_cmp_gt_i32_e64 s[0:1], s35, v23
	s_nop 1
	v_cndmask_b32_e64 v32, 0, v32, s[0:1]
	v_cmp_gt_i32_e64 s[0:1], s34, v22
	s_nop 1
	v_cndmask_b32_e64 v4, 0, v4, s[0:1]
	v_perm_b32 v4, v32, v4, s26
	;; [unrolled: 8-line block ×4, first 2 shown]
.LBB61_53:                              ;   in Loop: Header=BB61_48 Depth=1
	s_or_b64 exec, exec, s[10:11]
	s_waitcnt vmcnt(0)
	;;#ASMSTART
	v_pk_mul_f16 v2, v29, v2;

	;;#ASMEND
	;;#ASMSTART
	v_pk_mul_f16 v3, v28, v3;

	;;#ASMEND
	;;#ASMSTART
	v_pk_mul_f16 v4, v27, v4;

	;;#ASMEND
	;;#ASMSTART
	v_pk_mul_f16 v5, v26, v5;

	;;#ASMEND
	s_nop 0
	;;#ASMSTART
	v_pk_add_f16 v2, v2, v3;

	;;#ASMEND
	s_nop 0
	;;#ASMSTART
	v_pk_add_f16 v2, v2, v4;

	;;#ASMEND
	;; [unrolled: 5-line block ×3, first 2 shown]
	s_nop 0
	v_lshrrev_b32_e32 v3, 16, v2
	v_and_b32_e32 v2, 0xffff, v2
	;;#ASMSTART
	v_cvt_f32_f16 v32, v2;
	;;#ASMEND
	;;#ASMSTART
	v_cvt_f32_f16 v33, v3;
	;;#ASMEND
	global_load_dwordx4 v[2:5], v[14:15], off offset:2048
	s_and_saveexec_b64 s[0:1], vcc
	s_cbranch_execz .LBB61_46
; %bb.54:                               ;   in Loop: Header=BB61_48 Depth=1
	s_waitcnt vmcnt(0)
	v_lshrrev_b32_e32 v14, 16, v5
	v_cmp_gt_i32_e32 vcc, s37, v25
	s_nop 1
	v_cndmask_b32_e32 v14, 0, v14, vcc
	v_cmp_gt_i32_e32 vcc, s36, v24
	s_nop 1
	v_cndmask_b32_e32 v5, 0, v5, vcc
	v_perm_b32 v5, v14, v5, s26
	v_lshrrev_b32_e32 v14, 16, v4
	v_cmp_gt_i32_e32 vcc, s35, v23
	s_nop 1
	v_cndmask_b32_e32 v14, 0, v14, vcc
	v_cmp_gt_i32_e32 vcc, s34, v22
	s_nop 1
	v_cndmask_b32_e32 v4, 0, v4, vcc
	v_perm_b32 v4, v14, v4, s26
	;; [unrolled: 8-line block ×4, first 2 shown]
	s_branch .LBB61_46
.LBB61_55:
	s_or_b64 exec, exec, s[6:7]
.LBB61_56:
	s_or_b64 exec, exec, s[2:3]
	v_and_b32_e32 v1, 0x3c0, v0
	v_cmp_eq_u32_e32 vcc, 64, v1
	s_barrier
	s_and_saveexec_b64 s[0:1], vcc
	s_cbranch_execz .LBB61_58
; %bb.57:
	v_mov_b32_e32 v1, 0x190
	v_lshl_add_u32 v2, v16, 2, v1
	v_lshl_add_u32 v1, v0, 2, v1
	ds_write_b32 v2, v7
	ds_write_b32 v1, v9
	ds_write_b32 v2, v6 offset:512
.LBB61_58:
	s_or_b64 exec, exec, s[0:1]
	v_cmp_gt_u32_e32 vcc, 64, v0
	s_waitcnt lgkmcnt(0)
	s_barrier
	s_and_saveexec_b64 s[0:1], vcc
	s_cbranch_execz .LBB61_60
; %bb.59:
	v_mov_b32_e32 v1, 0x190
	v_lshl_add_u32 v1, v0, 2, v1
	ds_read2st64_b32 v[2:3], v1 offset1:1
	ds_read_b32 v1, v1 offset:512
	v_mov_b32_e32 v8, v7
	s_waitcnt lgkmcnt(1)
	v_pk_add_f32 v[8:9], v[8:9], v[2:3]
	s_waitcnt lgkmcnt(0)
	v_add_f32_e32 v6, v6, v1
	v_mov_b32_e32 v7, v8
.LBB61_60:
	s_or_b64 exec, exec, s[0:1]
	s_barrier
	s_and_saveexec_b64 s[0:1], vcc
	s_cbranch_execz .LBB61_62
; %bb.61:
	s_mul_i32 s0, s20, s21
	s_mul_i32 s0, s0, s5
	s_mulk_i32 s0, 0xc0
	s_ashr_i32 s1, s0, 31
	s_lshl_b64 s[0:1], s[0:1], 1
	s_add_u32 s2, s22, s0
	s_mul_i32 s0, s21, s24
	s_addc_u32 s3, s23, s1
	s_ashr_i32 s1, s0, 31
	s_lshl_b64 s[0:1], s[0:1], 1
	s_add_u32 s2, s2, s0
	s_mul_i32 s0, s4, 0xc0
	s_addc_u32 s3, s3, s1
	s_ashr_i32 s1, s0, 31
	s_lshl_b64 s[0:1], s[0:1], 1
	s_add_u32 s0, s2, s0
	s_addc_u32 s1, s3, s1
	v_lshlrev_b32_e32 v0, 1, v0
	;;#ASMSTART
	v_cvt_f16_f32 v1, v7;

	;;#ASMEND
	global_store_short v0, v1, s[0:1]
	;;#ASMSTART
	v_cvt_f16_f32 v1, v9;

	;;#ASMEND
	global_store_short v0, v1, s[0:1] offset:128
	;;#ASMSTART
	v_cvt_f16_f32 v1, v6;

	;;#ASMEND
	global_store_short v0, v1, s[0:1] offset:256
.LBB61_62:
	s_endpgm
	.section	.rodata,"a",@progbits
	.p2align	6, 0x0
	.amdhsa_kernel _ZN4vllm25paged_attention_v1_kernelIttLi192ELi8ELi128ELNS_18Fp8KVCacheDataTypeE0ELb1EEEvPT_PKS2_PKT0_S8_ifPKiSA_iPKfiiiSC_SC_iiiii
		.amdhsa_group_segment_fixed_size 400
		.amdhsa_private_segment_fixed_size 0
		.amdhsa_kernarg_size 384
		.amdhsa_user_sgpr_count 2
		.amdhsa_user_sgpr_dispatch_ptr 0
		.amdhsa_user_sgpr_queue_ptr 0
		.amdhsa_user_sgpr_kernarg_segment_ptr 1
		.amdhsa_user_sgpr_dispatch_id 0
		.amdhsa_user_sgpr_kernarg_preload_length 0
		.amdhsa_user_sgpr_kernarg_preload_offset 0
		.amdhsa_user_sgpr_private_segment_size 0
		.amdhsa_uses_dynamic_stack 0
		.amdhsa_enable_private_segment 0
		.amdhsa_system_sgpr_workgroup_id_x 1
		.amdhsa_system_sgpr_workgroup_id_y 1
		.amdhsa_system_sgpr_workgroup_id_z 1
		.amdhsa_system_sgpr_workgroup_info 0
		.amdhsa_system_vgpr_workitem_id 0
		.amdhsa_next_free_vgpr 67
		.amdhsa_next_free_sgpr 44
		.amdhsa_accum_offset 68
		.amdhsa_reserve_vcc 1
		.amdhsa_float_round_mode_32 0
		.amdhsa_float_round_mode_16_64 0
		.amdhsa_float_denorm_mode_32 3
		.amdhsa_float_denorm_mode_16_64 3
		.amdhsa_dx10_clamp 1
		.amdhsa_ieee_mode 1
		.amdhsa_fp16_overflow 0
		.amdhsa_tg_split 0
		.amdhsa_exception_fp_ieee_invalid_op 0
		.amdhsa_exception_fp_denorm_src 0
		.amdhsa_exception_fp_ieee_div_zero 0
		.amdhsa_exception_fp_ieee_overflow 0
		.amdhsa_exception_fp_ieee_underflow 0
		.amdhsa_exception_fp_ieee_inexact 0
		.amdhsa_exception_int_div_zero 0
	.end_amdhsa_kernel
	.section	.text._ZN4vllm25paged_attention_v1_kernelIttLi192ELi8ELi128ELNS_18Fp8KVCacheDataTypeE0ELb1EEEvPT_PKS2_PKT0_S8_ifPKiSA_iPKfiiiSC_SC_iiiii,"axG",@progbits,_ZN4vllm25paged_attention_v1_kernelIttLi192ELi8ELi128ELNS_18Fp8KVCacheDataTypeE0ELb1EEEvPT_PKS2_PKT0_S8_ifPKiSA_iPKfiiiSC_SC_iiiii,comdat
.Lfunc_end61:
	.size	_ZN4vllm25paged_attention_v1_kernelIttLi192ELi8ELi128ELNS_18Fp8KVCacheDataTypeE0ELb1EEEvPT_PKS2_PKT0_S8_ifPKiSA_iPKfiiiSC_SC_iiiii, .Lfunc_end61-_ZN4vllm25paged_attention_v1_kernelIttLi192ELi8ELi128ELNS_18Fp8KVCacheDataTypeE0ELb1EEEvPT_PKS2_PKT0_S8_ifPKiSA_iPKfiiiSC_SC_iiiii
                                        ; -- End function
	.section	.AMDGPU.csdata,"",@progbits
; Kernel info:
; codeLenInByte = 5880
; NumSgprs: 50
; NumVgprs: 67
; NumAgprs: 0
; TotalNumVgprs: 67
; ScratchSize: 0
; MemoryBound: 0
; FloatMode: 240
; IeeeMode: 1
; LDSByteSize: 400 bytes/workgroup (compile time only)
; SGPRBlocks: 6
; VGPRBlocks: 8
; NumSGPRsForWavesPerEU: 50
; NumVGPRsForWavesPerEU: 67
; AccumOffset: 68
; Occupancy: 7
; WaveLimiterHint : 1
; COMPUTE_PGM_RSRC2:SCRATCH_EN: 0
; COMPUTE_PGM_RSRC2:USER_SGPR: 2
; COMPUTE_PGM_RSRC2:TRAP_HANDLER: 0
; COMPUTE_PGM_RSRC2:TGID_X_EN: 1
; COMPUTE_PGM_RSRC2:TGID_Y_EN: 1
; COMPUTE_PGM_RSRC2:TGID_Z_EN: 1
; COMPUTE_PGM_RSRC2:TIDIG_COMP_CNT: 0
; COMPUTE_PGM_RSRC3_GFX90A:ACCUM_OFFSET: 16
; COMPUTE_PGM_RSRC3_GFX90A:TG_SPLIT: 0
	.section	.text._ZN4vllm25paged_attention_v1_kernelIttLi256ELi8ELi128ELNS_18Fp8KVCacheDataTypeE0ELb1EEEvPT_PKS2_PKT0_S8_ifPKiSA_iPKfiiiSC_SC_iiiii,"axG",@progbits,_ZN4vllm25paged_attention_v1_kernelIttLi256ELi8ELi128ELNS_18Fp8KVCacheDataTypeE0ELb1EEEvPT_PKS2_PKT0_S8_ifPKiSA_iPKfiiiSC_SC_iiiii,comdat
	.protected	_ZN4vllm25paged_attention_v1_kernelIttLi256ELi8ELi128ELNS_18Fp8KVCacheDataTypeE0ELb1EEEvPT_PKS2_PKT0_S8_ifPKiSA_iPKfiiiSC_SC_iiiii ; -- Begin function _ZN4vllm25paged_attention_v1_kernelIttLi256ELi8ELi128ELNS_18Fp8KVCacheDataTypeE0ELb1EEEvPT_PKS2_PKT0_S8_ifPKiSA_iPKfiiiSC_SC_iiiii
	.globl	_ZN4vllm25paged_attention_v1_kernelIttLi256ELi8ELi128ELNS_18Fp8KVCacheDataTypeE0ELb1EEEvPT_PKS2_PKT0_S8_ifPKiSA_iPKfiiiSC_SC_iiiii
	.p2align	8
	.type	_ZN4vllm25paged_attention_v1_kernelIttLi256ELi8ELi128ELNS_18Fp8KVCacheDataTypeE0ELb1EEEvPT_PKS2_PKT0_S8_ifPKiSA_iPKfiiiSC_SC_iiiii,@function
_ZN4vllm25paged_attention_v1_kernelIttLi256ELi8ELi128ELNS_18Fp8KVCacheDataTypeE0ELb1EEEvPT_PKS2_PKT0_S8_ifPKiSA_iPKfiiiSC_SC_iiiii: ; @_ZN4vllm25paged_attention_v1_kernelIttLi256ELi8ELi128ELNS_18Fp8KVCacheDataTypeE0ELb1EEEvPT_PKS2_PKT0_S8_ifPKiSA_iPKfiiiSC_SC_iiiii
; %bb.0:
	s_load_dword s5, s[0:1], 0x80
	s_load_dwordx2 s[6:7], s[0:1], 0x30
	s_load_dwordx2 s[20:21], s[0:1], 0x20
	s_mov_b32 s24, s3
	s_ashr_i32 s25, s3, 31
	s_lshl_b64 s[8:9], s[24:25], 2
	s_waitcnt lgkmcnt(0)
	s_add_u32 s6, s6, s8
	s_addc_u32 s7, s7, s9
	s_abs_i32 s3, s20
	v_cvt_f32_u32_e32 v1, s3
	s_sub_i32 s10, 0, s3
	s_abs_i32 s9, s5
	s_xor_b32 s8, s5, s20
	v_rcp_iflag_f32_e32 v1, v1
	s_ashr_i32 s8, s8, 31
	s_mov_b32 s42, 0
	v_mul_f32_e32 v1, 0x4f7ffffe, v1
	v_cvt_u32_f32_e32 v1, v1
	s_nop 0
	v_readfirstlane_b32 s11, v1
	s_mul_i32 s10, s10, s11
	s_mul_hi_u32 s10, s11, s10
	s_add_i32 s11, s11, s10
	s_mul_hi_u32 s10, s9, s11
	s_mul_i32 s11, s10, s3
	s_sub_i32 s9, s9, s11
	s_add_i32 s11, s10, 1
	s_sub_i32 s12, s9, s3
	s_cmp_ge_u32 s9, s3
	s_cselect_b32 s10, s11, s10
	s_cselect_b32 s9, s12, s9
	s_add_i32 s11, s10, 1
	s_cmp_ge_u32 s9, s3
	s_cselect_b32 s3, s11, s10
	s_xor_b32 s3, s3, s8
	s_sub_i32 s34, s3, s8
	s_abs_i32 s22, s34
	v_cvt_f32_u32_e32 v1, s22
	s_load_dwordx2 s[8:9], s[0:1], 0x40
	s_sub_i32 s3, 0, s22
	s_abs_i32 s23, s2
	v_rcp_iflag_f32_e32 v1, v1
	s_nop 0
	v_mul_f32_e32 v1, 0x4f7ffffe, v1
	v_cvt_u32_f32_e32 v1, v1
	s_nop 0
	v_readfirstlane_b32 s12, v1
	s_mul_i32 s3, s3, s12
	s_mul_hi_u32 s3, s12, s3
	s_add_i32 s12, s12, s3
	s_waitcnt lgkmcnt(0)
	s_cmp_eq_u64 s[8:9], 0
	s_cbranch_scc1 .LBB62_2
; %bb.1:
	s_ashr_i32 s3, s2, 31
	s_lshl_b64 s[10:11], s[2:3], 2
	s_add_u32 s8, s8, s10
	s_addc_u32 s9, s9, s11
	s_load_dword s42, s[8:9], 0x0
.LBB62_2:
	s_load_dwordx2 s[26:27], s[0:1], 0x0
	s_nop 0
	s_load_dwordx4 s[8:11], s[0:1], 0x10
	s_mul_hi_u32 s3, s23, s12
	s_load_dword s25, s[0:1], 0x88
	s_load_dword s33, s[6:7], 0x0
	s_load_dwordx2 s[30:31], s[0:1], 0x28
	s_load_dwordx4 s[12:15], s[0:1], 0x48
	v_and_b32_e32 v9, 7, v0
	s_lshl_b32 s28, s2, 8
	s_movk_i32 s6, 0x100
	s_ashr_i32 s29, s28, 31
	v_cmp_gt_u32_e32 vcc, s6, v0
	v_lshlrev_b32_e32 v2, 1, v9
	s_and_saveexec_b64 s[6:7], vcc
	s_cbranch_execz .LBB62_5
; %bb.3:
	s_load_dwordx2 s[16:17], s[0:1], 0x8
	s_waitcnt lgkmcnt(0)
	s_mul_i32 s18, s24, s12
	s_ashr_i32 s19, s18, 31
	s_lshl_b64 s[18:19], s[18:19], 1
	s_lshl_b64 s[36:37], s[28:29], 1
	s_add_u32 s12, s18, s36
	s_addc_u32 s15, s19, s37
	v_lshrrev_b32_e32 v4, 3, v0
	s_add_u32 s16, s16, s12
	v_add_u32_e32 v1, -16, v4
	v_lshlrev_b32_e32 v3, 1, v4
	v_lshl_or_b32 v4, v4, 4, v2
	v_mov_b32_e32 v5, 0
	s_addc_u32 s17, s17, s15
	v_lshl_add_u32 v3, v9, 6, v3
	v_lshl_add_u64 v[4:5], s[16:17], 0, v[4:5]
	s_mov_b64 s[16:17], 0
	s_mov_b64 s[18:19], 0x100
.LBB62_4:                               ; =>This Inner Loop Header: Depth=1
	global_load_ushort v6, v[4:5], off
	v_add_co_u32_e32 v1, vcc, 16, v1
	s_xor_b64 s[36:37], vcc, -1
	s_and_b64 s[36:37], exec, s[36:37]
	v_lshl_add_u64 v[4:5], v[4:5], 0, s[18:19]
	s_or_b64 s[16:17], s[36:37], s[16:17]
	s_waitcnt vmcnt(0)
	ds_write_b16 v3, v6
	v_add_u32_e32 v3, 32, v3
	s_andn2_b64 exec, exec, s[16:17]
	s_cbranch_execnz .LBB62_4
.LBB62_5:
	s_or_b64 exec, exec, s[6:7]
	s_ashr_i32 s6, s2, 31
	s_ashr_i32 s7, s34, 31
	s_xor_b32 s6, s6, s7
	s_mul_i32 s7, s3, s22
	s_sub_i32 s7, s23, s7
	s_waitcnt lgkmcnt(0)
	s_add_i32 s12, s3, 1
	s_sub_i32 s23, s7, s22
	s_load_dwordx4 s[16:19], s[0:1], 0x68
	s_load_dword s15, s[0:1], 0x78
	s_cmp_ge_u32 s7, s22
	s_cselect_b32 s3, s12, s3
	s_cselect_b32 s7, s23, s7
	s_add_i32 s12, s3, 1
	s_cmp_ge_u32 s7, s22
	s_cselect_b32 s3, s12, s3
	s_waitcnt lgkmcnt(0)
	s_abs_i32 s12, s19
	v_cvt_f32_u32_e32 v1, s12
	s_xor_b32 s3, s3, s6
	s_sub_i32 s3, s3, s6
	s_sub_i32 s6, 0, s12
	v_rcp_iflag_f32_e32 v1, v1
	s_add_i32 s34, s33, -1
	s_abs_i32 s22, s34
	v_mul_f32_e32 v1, 0x4f7ffffe, v1
	v_cvt_u32_f32_e32 v1, v1
	s_barrier
	v_readfirstlane_b32 s29, v1
	s_mul_i32 s6, s6, s29
	s_mul_hi_u32 s6, s29, s6
	s_add_i32 s29, s29, s6
	s_cmp_lt_i32 s15, 0
	s_mul_hi_u32 s23, s22, s29
	s_cbranch_scc0 .LBB62_7
; %bb.6:
	s_mul_i32 s6, s16, s20
	s_add_i32 s6, s3, s6
	s_mul_i32 s6, s6, s15
	s_sub_i32 s40, 1, s6
	s_ashr_i32 s20, s34, 31
	s_ashr_i32 s19, s19, 31
	s_cbranch_execz .LBB62_8
	s_branch .LBB62_9
.LBB62_7:
                                        ; implicit-def: $sgpr40
	s_ashr_i32 s20, s34, 31
	s_ashr_i32 s19, s19, 31
.LBB62_8:
	s_mul_i32 s6, s5, s16
	s_add_i32 s2, s6, s2
	s_mul_i32 s2, s2, s15
	s_add_i32 s40, s2, 1
.LBB62_9:
	s_load_dword s0, s[0:1], 0x38
	s_mul_i32 s2, s23, s12
	s_sub_i32 s2, s22, s2
	s_xor_b32 s1, s20, s19
	s_add_i32 s6, s23, 1
	s_waitcnt lgkmcnt(0)
	s_mul_i32 s34, s24, s0
	s_ashr_i32 s35, s34, 31
	s_sub_i32 s0, s2, s12
	s_cmp_ge_u32 s2, s12
	s_cselect_b32 s6, s6, s23
	s_cselect_b32 s0, s0, s2
	s_add_i32 s2, s6, 1
	s_cmp_ge_u32 s0, s12
	s_cselect_b32 s0, s2, s6
	s_xor_b32 s0, s0, s1
	s_sub_i32 s41, s0, s1
	s_add_i32 s0, s33, 7
	s_ashr_i32 s1, s0, 31
	s_lshr_b32 s1, s1, 29
	s_add_i32 s0, s0, s1
	s_ashr_i32 s16, s0, 3
	v_lshrrev_b32_e32 v1, 6, v0
	v_cmp_gt_i32_e64 s[0:1], s16, v1
	v_mov_b32_e32 v10, 0xff7fffff
	s_mul_i32 s14, s3, s14
	v_lshrrev_b32_e32 v6, 4, v0
	v_lshlrev_b32_e32 v16, 3, v1
	v_mbcnt_lo_u32_b32 v7, -1, 0
	s_and_saveexec_b64 s[22:23], s[0:1]
	s_cbranch_execz .LBB62_19
; %bb.10:
	s_ashr_i32 s15, s14, 31
	s_sub_i32 s20, s41, s17
	s_lshl_b64 s[2:3], s[14:15], 1
	s_add_u32 s2, s8, s2
	s_addc_u32 s3, s9, s3
	s_abs_i32 s15, s18
	v_cvt_f32_u32_e32 v3, s15
	v_bfe_u32 v8, v0, 3, 3
	v_lshlrev_b32_e32 v4, 4, v8
	v_mov_b32_e32 v5, 0
	v_rcp_iflag_f32_e32 v12, v3
	v_lshl_add_u64 v[10:11], s[2:3], 0, v[4:5]
	v_mov_b32_e32 v3, v5
	s_sub_i32 s6, 0, s15
	v_mul_f32_e32 v4, 0x4f7ffffe, v12
	v_cvt_u32_f32_e32 v4, v4
	v_lshl_add_u64 v[2:3], v[10:11], 0, v[2:3]
	v_mbcnt_hi_u32_b32 v17, -1, v7
	v_cmp_eq_u32_e32 vcc, 0, v9
	v_mul_lo_u32 v10, s6, v4
	v_mul_hi_u32 v10, v4, v10
	v_add_u32_e32 v11, v4, v10
	v_lshlrev_b32_e32 v10, 2, v8
	s_lshl_b64 s[6:7], s[34:35], 2
	v_lshl_or_b32 v10, v1, 5, v10
	s_add_u32 s6, s30, s6
	v_add_u32_e32 v13, 0x210, v10
	v_subrev_u32_e32 v10, s33, v8
	v_and_b32_e32 v4, 60, v6
	s_addc_u32 s7, s31, s7
	v_add_u32_e32 v14, 1, v10
	v_and_b32_e32 v10, 64, v17
	s_mov_b32 s43, s13
	v_lshlrev_b32_e32 v9, 6, v9
	v_cmp_neq_f32_e64 s[2:3], s42, 0
	v_lshl_add_u64 v[4:5], s[6:7], 0, v[4:5]
	v_lshlrev_b32_e32 v12, 3, v1
	s_mov_b64 s[36:37], 0
	v_mov_b32_e32 v15, 0xff7fffff
	v_add_u32_e32 v18, 64, v10
	v_xor_b32_e32 v19, 4, v17
	v_xor_b32_e32 v20, 2, v17
	;; [unrolled: 1-line block ×3, first 2 shown]
	v_mov_b32_e32 v10, 0xff7fffff
	v_mov_b32_e32 v22, v1
	s_branch .LBB62_13
.LBB62_11:                              ;   in Loop: Header=BB62_13 Depth=1
	s_or_b64 exec, exec, s[38:39]
.LBB62_12:                              ;   in Loop: Header=BB62_13 Depth=1
	s_or_b64 exec, exec, s[8:9]
	v_add_u32_e32 v22, 2, v22
	v_cmp_le_i32_e64 s[6:7], s16, v22
	v_lshl_add_u64 v[4:5], v[4:5], 0, 8
	v_add_u32_e32 v12, 16, v12
	s_or_b64 s[36:37], s[6:7], s[36:37]
	v_add_u32_e32 v13, 64, v13
	s_andn2_b64 exec, exec, s[36:37]
	s_cbranch_execz .LBB62_18
.LBB62_13:                              ; =>This Inner Loop Header: Depth=1
	v_mul_hi_u32 v23, v12, s29
	s_waitcnt lgkmcnt(0)
	v_mul_lo_u32 v24, v23, s12
	v_sub_u32_e32 v24, v12, v24
	v_add_u32_e32 v25, 1, v23
	v_cmp_le_u32_e64 s[6:7], s12, v24
	s_nop 1
	v_cndmask_b32_e64 v23, v23, v25, s[6:7]
	v_subrev_u32_e32 v25, s12, v24
	v_cndmask_b32_e64 v24, v24, v25, s[6:7]
	v_add_u32_e32 v25, 1, v23
	v_cmp_le_u32_e64 s[6:7], s12, v24
	s_nop 1
	v_cndmask_b32_e64 v23, v23, v25, s[6:7]
	v_xor_b32_e32 v23, s19, v23
	v_subrev_u32_e32 v23, s19, v23
	v_add_u32_e32 v24, s40, v23
	v_sub_u32_e32 v26, 0, v24
	v_ashrrev_i32_e32 v25, 31, v24
	v_max_i32_e32 v24, v24, v26
	v_mul_hi_u32 v26, v24, v11
	v_mul_lo_u32 v26, v26, s15
	v_sub_u32_e32 v24, v24, v26
	v_subrev_u32_e32 v26, s15, v24
	v_cmp_le_u32_e64 s[6:7], s15, v24
	v_cmp_ge_i32_e64 s[8:9], s20, v23
	s_nop 0
	v_cndmask_b32_e64 v24, v24, v26, s[6:7]
	v_subrev_u32_e32 v26, s15, v24
	v_cmp_le_u32_e64 s[6:7], s15, v24
	s_nop 1
	v_cndmask_b32_e64 v24, v24, v26, s[6:7]
	v_xor_b32_e32 v24, v24, v25
	v_sub_u32_e32 v24, v24, v25
	v_cmp_ne_u32_e64 s[6:7], 0, v24
	s_and_b64 s[6:7], s[6:7], s[8:9]
	s_and_b64 s[38:39], vcc, s[6:7]
	s_and_saveexec_b64 s[8:9], s[38:39]
	s_cbranch_execz .LBB62_15
; %bb.14:                               ;   in Loop: Header=BB62_13 Depth=1
	ds_write_b32 v13, v15
.LBB62_15:                              ;   in Loop: Header=BB62_13 Depth=1
	s_or_b64 exec, exec, s[8:9]
	s_xor_b64 s[6:7], s[6:7], -1
	s_and_saveexec_b64 s[8:9], s[6:7]
	s_cbranch_execz .LBB62_12
; %bb.16:                               ;   in Loop: Header=BB62_13 Depth=1
	global_load_dword v23, v[4:5], off
	s_waitcnt vmcnt(0)
	v_mad_i64_i32 v[24:25], s[6:7], v23, s43, 0
	v_lshl_add_u64 v[24:25], v[24:25], 1, v[2:3]
	global_load_ushort v23, v[24:25], off
	global_load_ushort v26, v[24:25], off offset:128
	global_load_ushort v27, v[24:25], off offset:256
	;; [unrolled: 1-line block ×7, first 2 shown]
	ds_read_u16 v33, v9
	global_load_ushort v34, v[24:25], off offset:1024
	global_load_ushort v35, v[24:25], off offset:1152
	;; [unrolled: 1-line block ×24, first 2 shown]
	s_waitcnt lgkmcnt(0)
	;;#ASMSTART
	v_cvt_f32_f16 v24, v33;
	;;#ASMEND
	v_cmp_lt_i32_e64 s[6:7], v19, v18
	s_waitcnt vmcnt(31)
	;;#ASMSTART
	v_cvt_f32_f16 v23, v23;
	;;#ASMEND
	ds_read_u16 v25, v9 offset:2
	s_waitcnt lgkmcnt(0)
	;;#ASMSTART
	v_cvt_f32_f16 v25, v25;
	;;#ASMEND
	s_waitcnt vmcnt(30)
	;;#ASMSTART
	v_cvt_f32_f16 v26, v26;
	;;#ASMEND
	ds_read_u16 v33, v9 offset:4
	v_mul_f32_e32 v25, v25, v26
	v_fmac_f32_e32 v25, v24, v23
	s_waitcnt lgkmcnt(0)
	;;#ASMSTART
	v_cvt_f32_f16 v33, v33;
	;;#ASMEND
	s_waitcnt vmcnt(29)
	;;#ASMSTART
	v_cvt_f32_f16 v27, v27;
	;;#ASMEND
	ds_read_u16 v58, v9 offset:6
	v_fmac_f32_e32 v25, v33, v27
	s_waitcnt lgkmcnt(0)
	;;#ASMSTART
	v_cvt_f32_f16 v58, v58;
	;;#ASMEND
	s_waitcnt vmcnt(28)
	;;#ASMSTART
	v_cvt_f32_f16 v28, v28;
	;;#ASMEND
	ds_read_u16 v59, v9 offset:8
	;; [unrolled: 10-line block ×27, first 2 shown]
	v_fmac_f32_e32 v25, v32, v33
	s_waitcnt lgkmcnt(0)
	;;#ASMSTART
	v_cvt_f32_f16 v34, v34;
	;;#ASMEND
	s_waitcnt vmcnt(2)
	;;#ASMSTART
	v_cvt_f32_f16 v35, v55;
	;;#ASMEND
	v_cndmask_b32_e64 v79, v17, v19, s[6:7]
	v_fmac_f32_e32 v25, v34, v35
	ds_read_u16 v36, v9 offset:60
	s_waitcnt lgkmcnt(0)
	;;#ASMSTART
	v_cvt_f32_f16 v23, v36;
	;;#ASMEND
	s_waitcnt vmcnt(1)
	;;#ASMSTART
	v_cvt_f32_f16 v24, v56;
	;;#ASMEND
	v_lshlrev_b32_e32 v79, 2, v79
	v_fmac_f32_e32 v25, v23, v24
	ds_read_u16 v26, v9 offset:62
	s_waitcnt lgkmcnt(0)
	;;#ASMSTART
	v_cvt_f32_f16 v23, v26;
	;;#ASMEND
	s_waitcnt vmcnt(0)
	;;#ASMSTART
	v_cvt_f32_f16 v24, v57;
	;;#ASMEND
	v_cmp_lt_i32_e64 s[6:7], v20, v18
	v_fmac_f32_e32 v25, v23, v24
	ds_bpermute_b32 v23, v79, v25
	v_cndmask_b32_e64 v24, v17, v20, s[6:7]
	v_lshlrev_b32_e32 v24, 2, v24
	v_cmp_lt_i32_e64 s[6:7], v21, v18
	s_waitcnt lgkmcnt(0)
	v_add_f32_e32 v23, v25, v23
	ds_bpermute_b32 v24, v24, v23
	v_cndmask_b32_e64 v25, v17, v21, s[6:7]
	s_waitcnt lgkmcnt(0)
	v_add_f32_e32 v23, v23, v24
	v_lshlrev_b32_e32 v24, 2, v25
	ds_bpermute_b32 v24, v24, v23
	s_and_saveexec_b64 s[38:39], vcc
	s_cbranch_execz .LBB62_11
; %bb.17:                               ;   in Loop: Header=BB62_13 Depth=1
	v_add_u32_e32 v25, v14, v12
	v_cvt_f32_i32_e32 v25, v25
	s_waitcnt lgkmcnt(0)
	v_add_f32_e32 v23, v23, v24
	v_add_u32_e32 v26, v8, v12
	v_cmp_gt_i32_e64 s[6:7], s33, v26
	v_mul_f32_e32 v24, s42, v25
	v_cndmask_b32_e64 v24, 0, v24, s[2:3]
	v_fmac_f32_e32 v24, s21, v23
	v_cndmask_b32_e64 v23, 0, v24, s[6:7]
	ds_write_b32 v13, v23
	v_max_f32_e32 v23, v10, v10
	v_max_f32_e32 v23, v23, v24
	v_cndmask_b32_e64 v10, v10, v23, s[6:7]
	s_branch .LBB62_11
.LBB62_18:
	s_or_b64 exec, exec, s[36:37]
.LBB62_19:
	s_or_b64 exec, exec, s[22:23]
	v_mbcnt_hi_u32_b32 v2, -1, v7
	v_and_b32_e32 v3, 64, v2
	v_add_u32_e32 v3, 64, v3
	v_xor_b32_e32 v4, 32, v2
	v_cmp_lt_i32_e32 vcc, v4, v3
	v_xor_b32_e32 v8, 16, v2
	v_max_f32_e32 v7, v10, v10
	v_cndmask_b32_e32 v4, v2, v4, vcc
	v_lshlrev_b32_e32 v5, 2, v4
	ds_bpermute_b32 v4, v5, v10
	v_cmp_lt_i32_e32 vcc, v8, v3
	v_xor_b32_e32 v9, 8, v2
	v_and_b32_e32 v17, 63, v0
	s_waitcnt lgkmcnt(0)
	v_max_f32_e32 v4, v4, v4
	v_max_f32_e32 v4, v7, v4
	v_cndmask_b32_e32 v7, v2, v8, vcc
	v_lshlrev_b32_e32 v8, 2, v7
	ds_bpermute_b32 v7, v8, v4
	v_cmp_lt_i32_e32 vcc, v9, v3
	s_waitcnt lgkmcnt(0)
	v_max_f32_e32 v7, v7, v7
	v_max_f32_e32 v7, v4, v7
	v_cndmask_b32_e32 v4, v2, v9, vcc
	v_lshlrev_b32_e32 v10, 2, v4
	ds_bpermute_b32 v9, v10, v7
	v_cmp_eq_u32_e32 vcc, 0, v17
	v_lshlrev_b32_e32 v4, 2, v1
	s_and_saveexec_b64 s[2:3], vcc
	s_cbranch_execz .LBB62_21
; %bb.20:
	s_waitcnt lgkmcnt(0)
	v_max_f32_e32 v9, v9, v9
	v_max_f32_e32 v7, v7, v7
	;; [unrolled: 1-line block ×3, first 2 shown]
	ds_write_b32 v4, v7 offset:512
.LBB62_21:
	s_or_b64 exec, exec, s[2:3]
	v_cmp_gt_u32_e64 s[2:3], 2, v17
	v_mov_b32_e32 v11, 0xff7fffff
	v_lshlrev_b32_e32 v7, 2, v17
	s_waitcnt lgkmcnt(0)
	s_barrier
	s_and_saveexec_b64 s[6:7], s[2:3]
	s_cbranch_execz .LBB62_23
; %bb.22:
	ds_read_b32 v11, v7 offset:512
.LBB62_23:
	s_or_b64 exec, exec, s[6:7]
	v_xor_b32_e32 v9, 1, v2
	v_cmp_lt_i32_e64 s[6:7], v9, v3
	v_lshlrev_b32_e32 v13, 2, v2
	s_nop 0
	v_cndmask_b32_e64 v9, v2, v9, s[6:7]
	v_lshlrev_b32_e32 v9, 2, v9
	s_waitcnt lgkmcnt(0)
	ds_bpermute_b32 v12, v9, v11
	v_max_f32_e32 v11, v11, v11
	s_lshl_b32 s6, s16, 3
	s_min_i32 s15, s6, s33
	v_cmp_gt_i32_e64 s[6:7], s15, v0
	s_waitcnt lgkmcnt(0)
	v_max_f32_e32 v12, v12, v12
	v_max_f32_e32 v12, v11, v12
	v_and_b32_e32 v11, 0x100, v13
	ds_bpermute_b32 v13, v11, v12
	v_mov_b32_e32 v12, 0
	s_and_saveexec_b64 s[20:21], s[6:7]
	s_cbranch_execz .LBB62_27
; %bb.24:
	v_mov_b32_e32 v12, 0x210
	v_lshl_add_u32 v14, v0, 2, v12
	s_mov_b64 s[22:23], 0
	v_mov_b32_e32 v12, 0
	v_mov_b32_e32 v15, v0
.LBB62_25:                              ; =>This Inner Loop Header: Depth=1
	ds_read_b32 v18, v14
	v_add_u32_e32 v15, 0x80, v15
	v_cmp_le_i32_e64 s[8:9], s15, v15
	s_or_b64 s[22:23], s[8:9], s[22:23]
	s_waitcnt lgkmcnt(0)
	v_sub_f32_e32 v18, v18, v13
	v_mul_f32_e32 v18, 0x3fb8aa3b, v18
	v_exp_f32_e32 v18, v18
	ds_write_b32 v14, v18
	v_add_f32_e32 v12, v12, v18
	v_add_u32_e32 v14, 0x200, v14
	s_andn2_b64 exec, exec, s[22:23]
	s_cbranch_execnz .LBB62_25
; %bb.26:
	s_or_b64 exec, exec, s[22:23]
.LBB62_27:
	s_or_b64 exec, exec, s[20:21]
	ds_bpermute_b32 v5, v5, v12
	s_waitcnt lgkmcnt(0)
	v_add_f32_e32 v5, v12, v5
	ds_bpermute_b32 v8, v8, v5
	s_waitcnt lgkmcnt(0)
	v_add_f32_e32 v5, v5, v8
	ds_bpermute_b32 v8, v10, v5
	v_xor_b32_e32 v10, 4, v2
	v_cmp_lt_i32_e64 s[8:9], v10, v3
	s_waitcnt lgkmcnt(0)
	v_add_f32_e32 v5, v5, v8
	v_cndmask_b32_e64 v10, v2, v10, s[8:9]
	v_lshlrev_b32_e32 v10, 2, v10
	ds_bpermute_b32 v8, v10, v5
	v_xor_b32_e32 v10, 2, v2
	v_cmp_lt_i32_e64 s[8:9], v10, v3
	s_waitcnt lgkmcnt(0)
	v_add_f32_e32 v3, v5, v8
	v_cndmask_b32_e64 v2, v2, v10, s[8:9]
	v_lshlrev_b32_e32 v2, 2, v2
	ds_bpermute_b32 v2, v2, v3
	s_waitcnt lgkmcnt(0)
	v_add_f32_e32 v2, v3, v2
	ds_bpermute_b32 v3, v9, v2
	s_waitcnt lgkmcnt(0)
	v_add_f32_e32 v2, v2, v3
	s_and_saveexec_b64 s[8:9], vcc
	s_cbranch_execz .LBB62_29
; %bb.28:
	ds_write_b32 v4, v2 offset:520
.LBB62_29:
	s_or_b64 exec, exec, s[8:9]
	s_waitcnt lgkmcnt(0)
	s_barrier
	s_and_saveexec_b64 s[8:9], s[2:3]
	s_cbranch_execz .LBB62_31
; %bb.30:
	ds_read_b32 v2, v7 offset:520
.LBB62_31:
	s_or_b64 exec, exec, s[8:9]
	s_waitcnt lgkmcnt(0)
	ds_bpermute_b32 v3, v9, v2
	s_waitcnt lgkmcnt(0)
	v_add_f32_e32 v2, v2, v3
	ds_bpermute_b32 v2, v11, v2
	s_and_saveexec_b64 s[2:3], s[6:7]
	s_cbranch_execz .LBB62_44
; %bb.32:
	s_waitcnt lgkmcnt(0)
	v_add_f32_e32 v2, 0x358637bd, v2
	v_div_scale_f32 v3, s[6:7], v2, v2, 1.0
	v_rcp_f32_e32 v4, v3
	v_div_scale_f32 v5, vcc, 1.0, v2, 1.0
	s_movk_i32 s6, 0x7f
	v_fma_f32 v7, -v3, v4, 1.0
	v_fmac_f32_e32 v4, v7, v4
	v_mul_f32_e32 v7, v5, v4
	v_fma_f32 v8, -v3, v7, v5
	v_fmac_f32_e32 v7, v8, v4
	v_fma_f32 v3, -v3, v7, v5
	v_div_fmas_f32 v3, v3, v4, v7
	v_xad_u32 v4, v0, -1, s15
	v_div_fixup_f32 v2, v3, v2, 1.0
	v_cmp_lt_u32_e32 vcc, s6, v4
	s_mov_b64 s[8:9], -1
	v_mov_b32_e32 v3, v0
	s_and_saveexec_b64 s[6:7], vcc
	s_cbranch_execz .LBB62_41
; %bb.33:
	v_lshrrev_b32_e32 v4, 7, v4
	v_add_u32_e32 v7, -1, v4
	v_lshrrev_b32_e32 v5, 1, v7
	v_mov_b32_e32 v3, v2
	v_add_u32_e32 v5, 1, v5
	v_cmp_lt_u32_e32 vcc, 13, v7
	v_mov_b32_e32 v9, 0
	s_and_saveexec_b64 s[8:9], vcc
	s_cbranch_execz .LBB62_37
; %bb.34:
	v_mov_b32_e32 v8, 0x210
	v_and_b32_e32 v7, -8, v5
	v_lshl_add_u32 v8, v0, 2, v8
	s_mov_b32 s22, 0
	s_mov_b64 s[20:21], 0
.LBB62_35:                              ; =>This Inner Loop Header: Depth=1
	ds_read2st64_b32 v[10:11], v8 offset1:2
	ds_read2st64_b32 v[12:13], v8 offset0:4 offset1:6
	ds_read2st64_b32 v[14:15], v8 offset0:8 offset1:10
	;; [unrolled: 1-line block ×3, first 2 shown]
	v_add_u32_e32 v7, -8, v7
	s_waitcnt lgkmcnt(3)
	v_pk_mul_f32 v[10:11], v[2:3], v[10:11]
	s_waitcnt lgkmcnt(2)
	v_pk_mul_f32 v[12:13], v[2:3], v[12:13]
	ds_write2st64_b32 v8, v10, v11 offset1:2
	ds_write2st64_b32 v8, v12, v13 offset0:4 offset1:6
	ds_read2st64_b32 v[12:13], v8 offset0:16 offset1:18
	s_waitcnt lgkmcnt(4)
	v_pk_mul_f32 v[10:11], v[2:3], v[14:15]
	ds_write2st64_b32 v8, v10, v11 offset0:8 offset1:10
	s_waitcnt lgkmcnt(4)
	v_pk_mul_f32 v[10:11], v[2:3], v[18:19]
	ds_write2st64_b32 v8, v10, v11 offset0:12 offset1:14
	ds_read2st64_b32 v[10:11], v8 offset0:20 offset1:22
	s_waitcnt lgkmcnt(3)
	v_pk_mul_f32 v[12:13], v[2:3], v[12:13]
	ds_read2st64_b32 v[14:15], v8 offset0:24 offset1:26
	ds_write2st64_b32 v8, v12, v13 offset0:16 offset1:18
	ds_read2st64_b32 v[12:13], v8 offset0:28 offset1:30
	s_waitcnt lgkmcnt(3)
	v_pk_mul_f32 v[10:11], v[2:3], v[10:11]
	ds_write2st64_b32 v8, v10, v11 offset0:20 offset1:22
	s_waitcnt lgkmcnt(3)
	v_pk_mul_f32 v[10:11], v[2:3], v[14:15]
	ds_write2st64_b32 v8, v10, v11 offset0:24 offset1:26
	s_waitcnt lgkmcnt(2)
	v_pk_mul_f32 v[10:11], v[2:3], v[12:13]
	s_add_i32 s22, s22, 16
	v_cmp_eq_u32_e32 vcc, 0, v7
	ds_write2st64_b32 v8, v10, v11 offset0:28 offset1:30
	v_add_u32_e32 v8, 0x2000, v8
	s_or_b64 s[20:21], vcc, s[20:21]
	v_mov_b32_e32 v9, s22
	s_andn2_b64 exec, exec, s[20:21]
	s_cbranch_execnz .LBB62_35
; %bb.36:
	s_or_b64 exec, exec, s[20:21]
.LBB62_37:
	s_or_b64 exec, exec, s[8:9]
	v_and_b32_e32 v5, 7, v5
	v_cmp_ne_u32_e32 vcc, 0, v5
	s_and_saveexec_b64 s[8:9], vcc
	s_cbranch_execz .LBB62_40
; %bb.38:
	v_lshlrev_b32_e32 v7, 9, v9
	v_lshlrev_b32_e32 v8, 2, v0
	s_movk_i32 s20, 0x210
	v_add3_u32 v7, v7, v8, s20
	s_mov_b64 s[20:21], 0
.LBB62_39:                              ; =>This Inner Loop Header: Depth=1
	ds_read2st64_b32 v[8:9], v7 offset1:2
	v_add_u32_e32 v5, -1, v5
	v_cmp_eq_u32_e32 vcc, 0, v5
	s_or_b64 s[20:21], vcc, s[20:21]
	s_waitcnt lgkmcnt(0)
	v_pk_mul_f32 v[8:9], v[2:3], v[8:9]
	ds_write2st64_b32 v7, v8, v9 offset1:2
	v_add_u32_e32 v7, 0x400, v7
	s_andn2_b64 exec, exec, s[20:21]
	s_cbranch_execnz .LBB62_39
.LBB62_40:
	s_or_b64 exec, exec, s[8:9]
	v_add_u32_e32 v4, 1, v4
	v_and_b32_e32 v5, 0x3fffffe, v4
	v_cmp_ne_u32_e32 vcc, v4, v5
	v_lshl_add_u32 v3, v5, 7, v0
	s_orn2_b64 s[8:9], vcc, exec
.LBB62_41:
	s_or_b64 exec, exec, s[6:7]
	s_and_b64 exec, exec, s[8:9]
	s_cbranch_execz .LBB62_44
; %bb.42:
	v_mov_b32_e32 v4, 0x210
	v_lshl_add_u32 v4, v3, 2, v4
	s_mov_b64 s[6:7], 0
.LBB62_43:                              ; =>This Inner Loop Header: Depth=1
	ds_read_b32 v5, v4
	v_add_u32_e32 v3, 0x80, v3
	v_cmp_le_i32_e32 vcc, s15, v3
	s_or_b64 s[6:7], vcc, s[6:7]
	s_waitcnt lgkmcnt(0)
	v_mul_f32_e32 v5, v2, v5
	ds_write_b32 v4, v5
	v_add_u32_e32 v4, 0x200, v4
	s_andn2_b64 exec, exec, s[6:7]
	s_cbranch_execnz .LBB62_43
.LBB62_44:
	s_or_b64 exec, exec, s[2:3]
	s_mov_b32 s20, 0
	s_mov_b32 s21, s20
	;; [unrolled: 1-line block ×4, first 2 shown]
	s_waitcnt lgkmcnt(0)
	v_mov_b64_e32 v[2:3], s[20:21]
	v_mov_b64_e32 v[4:5], s[22:23]
	s_barrier
	s_and_saveexec_b64 s[2:3], s[0:1]
	s_cbranch_execz .LBB62_58
; %bb.45:
	s_ashr_i32 s15, s14, 31
	s_sub_i32 s17, s41, s17
	s_lshl_b64 s[0:1], s[14:15], 1
	s_add_u32 s0, s10, s0
	s_addc_u32 s1, s11, s1
	s_abs_i32 s14, s18
	v_cvt_f32_u32_e32 v2, s14
	s_sub_i32 s6, 0, s14
	s_add_i32 s15, s16, -1
	s_mov_b32 s18, s33
	v_rcp_iflag_f32_e32 v2, v2
	s_mov_b32 s36, s33
	s_mov_b32 s37, s33
	;; [unrolled: 1-line block ×3, first 2 shown]
	v_mul_f32_e32 v2, 0x4f7ffffe, v2
	v_cvt_u32_f32_e32 v2, v2
	s_mov_b32 s39, s33
	s_mov_b32 s41, s33
	;; [unrolled: 1-line block ×3, first 2 shown]
	v_mul_lo_u32 v3, s6, v2
	v_mul_hi_u32 v3, v2, v3
	v_add_u32_e32 v18, v2, v3
	v_mov_b32_e32 v3, 0
	v_lshlrev_b32_e32 v2, 4, v17
	v_lshl_add_u64 v[10:11], s[0:1], 0, v[2:3]
	s_lshl_b64 s[0:1], s[34:35], 2
	s_add_u32 s0, s30, s0
	v_and_b32_e32 v2, 60, v6
	s_addc_u32 s1, s31, s1
	v_lshl_add_u64 v[12:13], s[0:1], 0, v[2:3]
	v_mov_b32_e32 v2, 0x210
	v_lshl_add_u32 v19, v1, 5, v2
	v_mov_b64_e32 v[2:3], s[20:21]
	s_mov_b64 s[6:7], 0
	v_mov_b64_e32 v[4:5], s[22:23]
	s_mov_b32 s20, 0x5040100
	s_branch .LBB62_48
.LBB62_46:                              ;   in Loop: Header=BB62_48 Depth=1
	s_or_b64 exec, exec, s[0:1]
	s_waitcnt vmcnt(0)
	;;#ASMSTART
	v_pk_mul_f16 v6, v30, v6;

	;;#ASMEND
	;;#ASMSTART
	v_pk_mul_f16 v7, v29, v7;

	;;#ASMEND
	;; [unrolled: 4-line block ×4, first 2 shown]
	v_add_f32_e32 v14, v31, v32
	;;#ASMSTART
	v_pk_add_f16 v6, v6, v7;

	;;#ASMEND
	v_add_f32_e32 v2, v2, v14
	;;#ASMSTART
	v_pk_add_f16 v6, v6, v8;

	;;#ASMEND
	;; [unrolled: 5-line block ×3, first 2 shown]
	v_add_f32_e32 v3, v3, v14
	v_lshrrev_b32_e32 v7, 16, v6
	v_and_b32_e32 v6, 0xffff, v6
	;;#ASMSTART
	v_cvt_f32_f16 v6, v6;
	;;#ASMEND
	v_add_f32_e32 v14, v35, v36
	;;#ASMSTART
	v_cvt_f32_f16 v7, v7;
	;;#ASMEND
	v_add_f32_e32 v4, v4, v14
	v_add_f32_e32 v6, v6, v7
	;; [unrolled: 1-line block ×3, first 2 shown]
.LBB62_47:                              ;   in Loop: Header=BB62_48 Depth=1
	s_or_b64 exec, exec, s[8:9]
	v_add_u32_e32 v1, 2, v1
	v_cmp_le_i32_e32 vcc, s16, v1
	v_lshl_add_u64 v[12:13], v[12:13], 0, 8
	v_add_u32_e32 v16, 16, v16
	s_or_b64 s[6:7], vcc, s[6:7]
	v_add_u32_e32 v19, 64, v19
	s_andn2_b64 exec, exec, s[6:7]
	s_cbranch_execz .LBB62_57
.LBB62_48:                              ; =>This Inner Loop Header: Depth=1
	v_mul_hi_u32 v6, v16, s29
	v_mul_lo_u32 v7, v6, s12
	v_sub_u32_e32 v7, v16, v7
	v_add_u32_e32 v8, 1, v6
	v_cmp_le_u32_e32 vcc, s12, v7
	s_nop 1
	v_cndmask_b32_e32 v6, v6, v8, vcc
	v_subrev_u32_e32 v8, s12, v7
	v_cndmask_b32_e32 v7, v7, v8, vcc
	v_add_u32_e32 v8, 1, v6
	v_cmp_le_u32_e32 vcc, s12, v7
	s_nop 1
	v_cndmask_b32_e32 v6, v6, v8, vcc
	v_xor_b32_e32 v6, s19, v6
	v_subrev_u32_e32 v6, s19, v6
	v_add_u32_e32 v7, s40, v6
	v_sub_u32_e32 v9, 0, v7
	v_ashrrev_i32_e32 v8, 31, v7
	v_max_i32_e32 v7, v7, v9
	v_mul_hi_u32 v9, v7, v18
	v_mul_lo_u32 v9, v9, s14
	v_sub_u32_e32 v7, v7, v9
	v_subrev_u32_e32 v9, s14, v7
	v_cmp_le_u32_e32 vcc, s14, v7
	v_cmp_lt_i32_e64 s[0:1], s17, v6
	s_nop 0
	v_cndmask_b32_e32 v7, v7, v9, vcc
	v_subrev_u32_e32 v9, s14, v7
	v_cmp_le_u32_e32 vcc, s14, v7
	s_nop 1
	v_cndmask_b32_e32 v7, v7, v9, vcc
	v_xor_b32_e32 v7, v7, v8
	v_sub_u32_e32 v7, v7, v8
	v_cmp_eq_u32_e32 vcc, 0, v7
	s_or_b64 s[0:1], vcc, s[0:1]
	s_and_saveexec_b64 s[8:9], s[0:1]
	s_cbranch_execz .LBB62_47
; %bb.49:                               ;   in Loop: Header=BB62_48 Depth=1
	global_load_dword v14, v[12:13], off
	ds_read2_b64 v[6:9], v19 offset1:1
	ds_read2_b64 v[20:23], v19 offset0:2 offset1:3
	v_cmp_eq_u32_e32 vcc, s15, v1
	v_or_b32_e32 v24, 5, v16
	s_waitcnt lgkmcnt(1)
	;;#ASMSTART
	v_cvt_f16_f32 v27, v6;

	;;#ASMEND
	;;#ASMSTART
	v_cvt_f16_f32 v28, v7;

	;;#ASMEND
	;; [unrolled: 4-line block ×4, first 2 shown]
	s_waitcnt lgkmcnt(0)
	;;#ASMSTART
	v_cvt_f16_f32 v32, v20;

	;;#ASMEND
	;;#ASMSTART
	v_cvt_f16_f32 v33, v21;

	;;#ASMEND
	;; [unrolled: 4-line block ×4, first 2 shown]
	v_add_u32_e32 v20, 1, v16
	v_or_b32_e32 v22, 3, v16
	v_or_b32_e32 v21, 2, v16
	;; [unrolled: 1-line block ×5, first 2 shown]
	s_waitcnt vmcnt(0)
	v_mad_i64_i32 v[6:7], s[0:1], v14, s13, 0
	v_lshl_add_u64 v[14:15], v[6:7], 1, v[10:11]
	global_load_dwordx4 v[6:9], v[14:15], off
	s_and_saveexec_b64 s[10:11], vcc
	s_cbranch_execz .LBB62_51
; %bb.50:                               ;   in Loop: Header=BB62_48 Depth=1
	s_waitcnt vmcnt(0)
	v_lshrrev_b32_e32 v30, 16, v9
	v_cmp_gt_i32_e64 s[0:1], s42, v26
	s_nop 1
	v_cndmask_b32_e64 v30, 0, v30, s[0:1]
	v_cmp_gt_i32_e64 s[0:1], s41, v25
	s_nop 1
	v_cndmask_b32_e64 v9, 0, v9, s[0:1]
	v_perm_b32 v9, v30, v9, s20
	v_lshrrev_b32_e32 v30, 16, v8
	v_cmp_gt_i32_e64 s[0:1], s39, v24
	s_nop 1
	v_cndmask_b32_e64 v30, 0, v30, s[0:1]
	v_cmp_gt_i32_e64 s[0:1], s38, v23
	s_nop 1
	v_cndmask_b32_e64 v8, 0, v8, s[0:1]
	v_perm_b32 v8, v30, v8, s20
	;; [unrolled: 8-line block ×4, first 2 shown]
.LBB62_51:                              ;   in Loop: Header=BB62_48 Depth=1
	s_or_b64 exec, exec, s[10:11]
	v_and_b32_e32 v27, 0xffff, v27
	v_lshl_or_b32 v30, v28, 16, v27
	v_and_b32_e32 v27, 0xffff, v29
	v_lshl_or_b32 v29, v31, 16, v27
	;; [unrolled: 2-line block ×3, first 2 shown]
	v_and_b32_e32 v27, 0xffff, v34
	s_waitcnt vmcnt(0)
	;;#ASMSTART
	v_pk_mul_f16 v6, v30, v6;

	;;#ASMEND
	v_lshl_or_b32 v27, v35, 16, v27
	;;#ASMSTART
	v_pk_mul_f16 v7, v29, v7;

	;;#ASMEND
	;;#ASMSTART
	v_pk_mul_f16 v8, v28, v8;

	;;#ASMEND
	;; [unrolled: 4-line block ×3, first 2 shown]
	s_nop 0
	;;#ASMSTART
	v_pk_add_f16 v6, v6, v7;

	;;#ASMEND
	s_nop 0
	;;#ASMSTART
	v_pk_add_f16 v6, v6, v8;

	;;#ASMEND
	;; [unrolled: 5-line block ×3, first 2 shown]
	s_nop 0
	v_lshrrev_b32_e32 v7, 16, v6
	v_and_b32_e32 v6, 0xffff, v6
	;;#ASMSTART
	v_cvt_f32_f16 v31, v6;
	;;#ASMEND
	;;#ASMSTART
	v_cvt_f32_f16 v32, v7;
	;;#ASMEND
	global_load_dwordx4 v[6:9], v[14:15], off offset:1024
	s_and_saveexec_b64 s[10:11], vcc
	s_cbranch_execz .LBB62_53
; %bb.52:                               ;   in Loop: Header=BB62_48 Depth=1
	s_waitcnt vmcnt(0)
	v_lshrrev_b32_e32 v33, 16, v9
	v_cmp_gt_i32_e64 s[0:1], s42, v26
	s_nop 1
	v_cndmask_b32_e64 v33, 0, v33, s[0:1]
	v_cmp_gt_i32_e64 s[0:1], s41, v25
	s_nop 1
	v_cndmask_b32_e64 v9, 0, v9, s[0:1]
	v_perm_b32 v9, v33, v9, s20
	v_lshrrev_b32_e32 v33, 16, v8
	v_cmp_gt_i32_e64 s[0:1], s39, v24
	s_nop 1
	v_cndmask_b32_e64 v33, 0, v33, s[0:1]
	v_cmp_gt_i32_e64 s[0:1], s38, v23
	s_nop 1
	v_cndmask_b32_e64 v8, 0, v8, s[0:1]
	v_perm_b32 v8, v33, v8, s20
	;; [unrolled: 8-line block ×4, first 2 shown]
.LBB62_53:                              ;   in Loop: Header=BB62_48 Depth=1
	s_or_b64 exec, exec, s[10:11]
	s_waitcnt vmcnt(0)
	;;#ASMSTART
	v_pk_mul_f16 v6, v30, v6;

	;;#ASMEND
	;;#ASMSTART
	v_pk_mul_f16 v7, v29, v7;

	;;#ASMEND
	;; [unrolled: 4-line block ×4, first 2 shown]
	s_nop 0
	;;#ASMSTART
	v_pk_add_f16 v6, v6, v7;

	;;#ASMEND
	s_nop 0
	;;#ASMSTART
	v_pk_add_f16 v6, v6, v8;

	;;#ASMEND
	;; [unrolled: 5-line block ×3, first 2 shown]
	s_nop 0
	v_lshrrev_b32_e32 v7, 16, v6
	v_and_b32_e32 v6, 0xffff, v6
	;;#ASMSTART
	v_cvt_f32_f16 v33, v6;
	;;#ASMEND
	;;#ASMSTART
	v_cvt_f32_f16 v34, v7;
	;;#ASMEND
	global_load_dwordx4 v[6:9], v[14:15], off offset:2048
	s_and_saveexec_b64 s[10:11], vcc
	s_cbranch_execz .LBB62_55
; %bb.54:                               ;   in Loop: Header=BB62_48 Depth=1
	s_waitcnt vmcnt(0)
	v_lshrrev_b32_e32 v35, 16, v9
	v_cmp_gt_i32_e64 s[0:1], s42, v26
	s_nop 1
	v_cndmask_b32_e64 v35, 0, v35, s[0:1]
	v_cmp_gt_i32_e64 s[0:1], s41, v25
	s_nop 1
	v_cndmask_b32_e64 v9, 0, v9, s[0:1]
	v_perm_b32 v9, v35, v9, s20
	v_lshrrev_b32_e32 v35, 16, v8
	v_cmp_gt_i32_e64 s[0:1], s39, v24
	s_nop 1
	v_cndmask_b32_e64 v35, 0, v35, s[0:1]
	v_cmp_gt_i32_e64 s[0:1], s38, v23
	s_nop 1
	v_cndmask_b32_e64 v8, 0, v8, s[0:1]
	v_perm_b32 v8, v35, v8, s20
	;; [unrolled: 8-line block ×4, first 2 shown]
.LBB62_55:                              ;   in Loop: Header=BB62_48 Depth=1
	s_or_b64 exec, exec, s[10:11]
	s_waitcnt vmcnt(0)
	;;#ASMSTART
	v_pk_mul_f16 v6, v30, v6;

	;;#ASMEND
	;;#ASMSTART
	v_pk_mul_f16 v7, v29, v7;

	;;#ASMEND
	;; [unrolled: 4-line block ×4, first 2 shown]
	s_nop 0
	;;#ASMSTART
	v_pk_add_f16 v6, v6, v7;

	;;#ASMEND
	s_nop 0
	;;#ASMSTART
	v_pk_add_f16 v6, v6, v8;

	;;#ASMEND
	;; [unrolled: 5-line block ×3, first 2 shown]
	s_nop 0
	v_lshrrev_b32_e32 v7, 16, v6
	v_and_b32_e32 v6, 0xffff, v6
	;;#ASMSTART
	v_cvt_f32_f16 v35, v6;
	;;#ASMEND
	;;#ASMSTART
	v_cvt_f32_f16 v36, v7;
	;;#ASMEND
	global_load_dwordx4 v[6:9], v[14:15], off offset:3072
	s_and_saveexec_b64 s[0:1], vcc
	s_cbranch_execz .LBB62_46
; %bb.56:                               ;   in Loop: Header=BB62_48 Depth=1
	s_waitcnt vmcnt(0)
	v_lshrrev_b32_e32 v14, 16, v9
	v_cmp_gt_i32_e32 vcc, s42, v26
	s_nop 1
	v_cndmask_b32_e32 v14, 0, v14, vcc
	v_cmp_gt_i32_e32 vcc, s41, v25
	s_nop 1
	v_cndmask_b32_e32 v9, 0, v9, vcc
	v_perm_b32 v9, v14, v9, s20
	v_lshrrev_b32_e32 v14, 16, v8
	v_cmp_gt_i32_e32 vcc, s39, v24
	s_nop 1
	v_cndmask_b32_e32 v14, 0, v14, vcc
	v_cmp_gt_i32_e32 vcc, s38, v23
	s_nop 1
	v_cndmask_b32_e32 v8, 0, v8, vcc
	v_perm_b32 v8, v14, v8, s20
	;; [unrolled: 8-line block ×4, first 2 shown]
	s_branch .LBB62_46
.LBB62_57:
	s_or_b64 exec, exec, s[6:7]
.LBB62_58:
	s_or_b64 exec, exec, s[2:3]
	v_and_b32_e32 v1, 0x3c0, v0
	v_cmp_eq_u32_e32 vcc, 64, v1
	s_barrier
	s_and_saveexec_b64 s[0:1], vcc
	s_cbranch_execz .LBB62_60
; %bb.59:
	v_lshlrev_b32_e32 v1, 2, v0
	v_mov_b32_e32 v7, 0x210
	v_or_b32_e32 v6, 0x300, v1
	v_lshl_add_u32 v7, v17, 2, v7
	v_add_u32_e32 v6, 0x210, v6
	v_add_u32_e32 v1, 0x210, v1
	ds_write_b32 v7, v2
	ds_write_b32 v1, v3
	ds_write_b32 v7, v4 offset:512
	ds_write_b32 v6, v5
.LBB62_60:
	s_or_b64 exec, exec, s[0:1]
	v_cmp_gt_u32_e32 vcc, 64, v0
	s_waitcnt lgkmcnt(0)
	s_barrier
	s_and_saveexec_b64 s[0:1], vcc
	s_cbranch_execz .LBB62_62
; %bb.61:
	v_mov_b32_e32 v1, 0x210
	v_lshl_add_u32 v1, v0, 2, v1
	ds_read2st64_b32 v[6:7], v1 offset0:2 offset1:3
	ds_read2st64_b32 v[8:9], v1 offset1:1
	s_waitcnt lgkmcnt(1)
	v_pk_add_f32 v[4:5], v[4:5], v[6:7]
	s_waitcnt lgkmcnt(0)
	v_pk_add_f32 v[2:3], v[2:3], v[8:9]
.LBB62_62:
	s_or_b64 exec, exec, s[0:1]
	s_barrier
	s_and_saveexec_b64 s[0:1], vcc
	s_cbranch_execz .LBB62_64
; %bb.63:
	s_mul_i32 s0, s24, s25
	s_mul_i32 s0, s0, s5
	s_lshl_b32 s0, s0, 8
	s_ashr_i32 s1, s0, 31
	s_lshl_b64 s[0:1], s[0:1], 1
	s_add_u32 s2, s26, s0
	s_mul_i32 s0, s25, s28
	s_addc_u32 s3, s27, s1
	s_ashr_i32 s1, s0, 31
	s_lshl_b64 s[0:1], s[0:1], 1
	s_add_u32 s2, s2, s0
	s_addc_u32 s3, s3, s1
	s_lshl_b32 s0, s4, 8
	s_ashr_i32 s1, s0, 31
	s_lshl_b64 s[0:1], s[0:1], 1
	s_add_u32 s0, s2, s0
	s_addc_u32 s1, s3, s1
	v_lshlrev_b32_e32 v0, 1, v0
	;;#ASMSTART
	v_cvt_f16_f32 v1, v2;

	;;#ASMEND
	global_store_short v0, v1, s[0:1]
	;;#ASMSTART
	v_cvt_f16_f32 v1, v3;

	;;#ASMEND
	global_store_short v0, v1, s[0:1] offset:128
	;;#ASMSTART
	v_cvt_f16_f32 v1, v4;

	;;#ASMEND
	global_store_short v0, v1, s[0:1] offset:256
	;; [unrolled: 5-line block ×3, first 2 shown]
.LBB62_64:
	s_endpgm
	.section	.rodata,"a",@progbits
	.p2align	6, 0x0
	.amdhsa_kernel _ZN4vllm25paged_attention_v1_kernelIttLi256ELi8ELi128ELNS_18Fp8KVCacheDataTypeE0ELb1EEEvPT_PKS2_PKT0_S8_ifPKiSA_iPKfiiiSC_SC_iiiii
		.amdhsa_group_segment_fixed_size 528
		.amdhsa_private_segment_fixed_size 0
		.amdhsa_kernarg_size 384
		.amdhsa_user_sgpr_count 2
		.amdhsa_user_sgpr_dispatch_ptr 0
		.amdhsa_user_sgpr_queue_ptr 0
		.amdhsa_user_sgpr_kernarg_segment_ptr 1
		.amdhsa_user_sgpr_dispatch_id 0
		.amdhsa_user_sgpr_kernarg_preload_length 0
		.amdhsa_user_sgpr_kernarg_preload_offset 0
		.amdhsa_user_sgpr_private_segment_size 0
		.amdhsa_uses_dynamic_stack 0
		.amdhsa_enable_private_segment 0
		.amdhsa_system_sgpr_workgroup_id_x 1
		.amdhsa_system_sgpr_workgroup_id_y 1
		.amdhsa_system_sgpr_workgroup_id_z 1
		.amdhsa_system_sgpr_workgroup_info 0
		.amdhsa_system_vgpr_workitem_id 0
		.amdhsa_next_free_vgpr 81
		.amdhsa_next_free_sgpr 44
		.amdhsa_accum_offset 84
		.amdhsa_reserve_vcc 1
		.amdhsa_float_round_mode_32 0
		.amdhsa_float_round_mode_16_64 0
		.amdhsa_float_denorm_mode_32 3
		.amdhsa_float_denorm_mode_16_64 3
		.amdhsa_dx10_clamp 1
		.amdhsa_ieee_mode 1
		.amdhsa_fp16_overflow 0
		.amdhsa_tg_split 0
		.amdhsa_exception_fp_ieee_invalid_op 0
		.amdhsa_exception_fp_denorm_src 0
		.amdhsa_exception_fp_ieee_div_zero 0
		.amdhsa_exception_fp_ieee_overflow 0
		.amdhsa_exception_fp_ieee_underflow 0
		.amdhsa_exception_fp_ieee_inexact 0
		.amdhsa_exception_int_div_zero 0
	.end_amdhsa_kernel
	.section	.text._ZN4vllm25paged_attention_v1_kernelIttLi256ELi8ELi128ELNS_18Fp8KVCacheDataTypeE0ELb1EEEvPT_PKS2_PKT0_S8_ifPKiSA_iPKfiiiSC_SC_iiiii,"axG",@progbits,_ZN4vllm25paged_attention_v1_kernelIttLi256ELi8ELi128ELNS_18Fp8KVCacheDataTypeE0ELb1EEEvPT_PKS2_PKT0_S8_ifPKiSA_iPKfiiiSC_SC_iiiii,comdat
.Lfunc_end62:
	.size	_ZN4vllm25paged_attention_v1_kernelIttLi256ELi8ELi128ELNS_18Fp8KVCacheDataTypeE0ELb1EEEvPT_PKS2_PKT0_S8_ifPKiSA_iPKfiiiSC_SC_iiiii, .Lfunc_end62-_ZN4vllm25paged_attention_v1_kernelIttLi256ELi8ELi128ELNS_18Fp8KVCacheDataTypeE0ELb1EEEvPT_PKS2_PKT0_S8_ifPKiSA_iPKfiiiSC_SC_iiiii
                                        ; -- End function
	.section	.AMDGPU.csdata,"",@progbits
; Kernel info:
; codeLenInByte = 6620
; NumSgprs: 50
; NumVgprs: 81
; NumAgprs: 0
; TotalNumVgprs: 81
; ScratchSize: 0
; MemoryBound: 0
; FloatMode: 240
; IeeeMode: 1
; LDSByteSize: 528 bytes/workgroup (compile time only)
; SGPRBlocks: 6
; VGPRBlocks: 10
; NumSGPRsForWavesPerEU: 50
; NumVGPRsForWavesPerEU: 81
; AccumOffset: 84
; Occupancy: 5
; WaveLimiterHint : 1
; COMPUTE_PGM_RSRC2:SCRATCH_EN: 0
; COMPUTE_PGM_RSRC2:USER_SGPR: 2
; COMPUTE_PGM_RSRC2:TRAP_HANDLER: 0
; COMPUTE_PGM_RSRC2:TGID_X_EN: 1
; COMPUTE_PGM_RSRC2:TGID_Y_EN: 1
; COMPUTE_PGM_RSRC2:TGID_Z_EN: 1
; COMPUTE_PGM_RSRC2:TIDIG_COMP_CNT: 0
; COMPUTE_PGM_RSRC3_GFX90A:ACCUM_OFFSET: 20
; COMPUTE_PGM_RSRC3_GFX90A:TG_SPLIT: 0
	.section	.text._ZN4vllm25paged_attention_v1_kernelIttLi32ELi8ELi128ELNS_18Fp8KVCacheDataTypeE0ELb0EEEvPT_PKS2_PKT0_S8_ifPKiSA_iPKfiiiSC_SC_iiiii,"axG",@progbits,_ZN4vllm25paged_attention_v1_kernelIttLi32ELi8ELi128ELNS_18Fp8KVCacheDataTypeE0ELb0EEEvPT_PKS2_PKT0_S8_ifPKiSA_iPKfiiiSC_SC_iiiii,comdat
	.protected	_ZN4vllm25paged_attention_v1_kernelIttLi32ELi8ELi128ELNS_18Fp8KVCacheDataTypeE0ELb0EEEvPT_PKS2_PKT0_S8_ifPKiSA_iPKfiiiSC_SC_iiiii ; -- Begin function _ZN4vllm25paged_attention_v1_kernelIttLi32ELi8ELi128ELNS_18Fp8KVCacheDataTypeE0ELb0EEEvPT_PKS2_PKT0_S8_ifPKiSA_iPKfiiiSC_SC_iiiii
	.globl	_ZN4vllm25paged_attention_v1_kernelIttLi32ELi8ELi128ELNS_18Fp8KVCacheDataTypeE0ELb0EEEvPT_PKS2_PKT0_S8_ifPKiSA_iPKfiiiSC_SC_iiiii
	.p2align	8
	.type	_ZN4vllm25paged_attention_v1_kernelIttLi32ELi8ELi128ELNS_18Fp8KVCacheDataTypeE0ELb0EEEvPT_PKS2_PKT0_S8_ifPKiSA_iPKfiiiSC_SC_iiiii,@function
_ZN4vllm25paged_attention_v1_kernelIttLi32ELi8ELi128ELNS_18Fp8KVCacheDataTypeE0ELb0EEEvPT_PKS2_PKT0_S8_ifPKiSA_iPKfiiiSC_SC_iiiii: ; @_ZN4vllm25paged_attention_v1_kernelIttLi32ELi8ELi128ELNS_18Fp8KVCacheDataTypeE0ELb0EEEvPT_PKS2_PKT0_S8_ifPKiSA_iPKfiiiSC_SC_iiiii
; %bb.0:
	s_load_dword s5, s[0:1], 0x80
	s_load_dwordx2 s[6:7], s[0:1], 0x30
	s_load_dwordx2 s[8:9], s[0:1], 0x20
	s_mov_b32 s10, s3
	s_ashr_i32 s11, s3, 31
	s_lshl_b64 s[12:13], s[10:11], 2
	s_waitcnt lgkmcnt(0)
	s_add_u32 s6, s6, s12
	s_addc_u32 s7, s7, s13
	s_abs_i32 s3, s8
	v_cvt_f32_u32_e32 v1, s3
	s_sub_i32 s12, 0, s3
	s_abs_i32 s11, s5
	s_xor_b32 s8, s5, s8
	v_rcp_iflag_f32_e32 v1, v1
	s_ashr_i32 s8, s8, 31
	v_mul_f32_e32 v1, 0x4f7ffffe, v1
	v_cvt_u32_f32_e32 v1, v1
	s_nop 0
	v_readfirstlane_b32 s13, v1
	s_mul_i32 s12, s12, s13
	s_mul_hi_u32 s12, s13, s12
	s_add_i32 s13, s13, s12
	s_mul_hi_u32 s12, s11, s13
	s_mul_i32 s13, s12, s3
	s_sub_i32 s11, s11, s13
	s_add_i32 s13, s12, 1
	s_sub_i32 s14, s11, s3
	s_cmp_ge_u32 s11, s3
	s_cselect_b32 s12, s13, s12
	s_cselect_b32 s11, s14, s11
	s_add_i32 s13, s12, 1
	s_cmp_ge_u32 s11, s3
	s_cselect_b32 s3, s13, s12
	s_xor_b32 s3, s3, s8
	s_sub_i32 s16, s3, s8
	s_abs_i32 s18, s16
	v_cvt_f32_u32_e32 v1, s18
	s_load_dwordx2 s[12:13], s[0:1], 0x40
	s_sub_i32 s3, 0, s18
	s_abs_i32 s19, s2
	v_rcp_iflag_f32_e32 v1, v1
	s_mov_b32 s8, 0
	v_mul_f32_e32 v1, 0x4f7ffffe, v1
	v_cvt_u32_f32_e32 v1, v1
	s_nop 0
	v_readfirstlane_b32 s11, v1
	s_mul_i32 s3, s3, s11
	s_mul_hi_u32 s3, s11, s3
	s_add_i32 s11, s11, s3
	s_waitcnt lgkmcnt(0)
	s_cmp_eq_u64 s[12:13], 0
	s_mul_hi_u32 s22, s19, s11
	s_cbranch_scc1 .LBB63_2
; %bb.1:
	s_ashr_i32 s3, s2, 31
	s_lshl_b64 s[14:15], s[2:3], 2
	s_add_u32 s12, s12, s14
	s_addc_u32 s13, s13, s15
	s_load_dword s8, s[12:13], 0x0
.LBB63_2:
	s_load_dword s11, s[6:7], 0x0
	s_nop 0
	s_load_dwordx4 s[12:15], s[0:1], 0x48
	s_ashr_i32 s6, s2, 31
	s_ashr_i32 s7, s16, 31
	v_and_b32_e32 v4, 7, v0
	s_lshl_b32 s16, s2, 5
	v_cmp_gt_u32_e32 vcc, 32, v0
	s_and_saveexec_b64 s[2:3], vcc
	s_cbranch_execz .LBB63_4
; %bb.3:
	s_load_dwordx2 s[20:21], s[0:1], 0x8
	s_waitcnt lgkmcnt(0)
	s_mul_i32 s24, s10, s12
	s_ashr_i32 s25, s24, 31
	s_lshl_b64 s[24:25], s[24:25], 1
	v_lshlrev_b32_e32 v1, 1, v0
	s_add_u32 s12, s20, s24
	s_addc_u32 s15, s21, s25
	s_ashr_i32 s17, s16, 31
	s_lshl_b64 s[20:21], s[16:17], 1
	s_add_u32 s20, s12, s20
	s_addc_u32 s21, s15, s21
	global_load_ushort v1, v1, s[20:21]
	v_lshrrev_b32_e32 v2, 2, v0
	v_and_b32_e32 v2, 0xfe, v2
	v_lshl_add_u32 v2, v4, 3, v2
	s_waitcnt vmcnt(0)
	ds_write_b16 v2, v1
.LBB63_4:
	s_or_b64 exec, exec, s[2:3]
	s_waitcnt lgkmcnt(0)
	s_add_i32 s3, s11, 7
	s_ashr_i32 s12, s3, 31
	s_lshr_b32 s12, s12, 29
	s_add_i32 s3, s3, s12
	s_ashr_i32 s33, s3, 3
	s_xor_b32 s3, s6, s7
	s_mul_i32 s6, s22, s18
	s_sub_i32 s6, s19, s6
	s_add_i32 s7, s22, 1
	s_sub_i32 s12, s6, s18
	s_load_dwordx2 s[20:21], s[0:1], 0x28
	s_load_dword s2, s[0:1], 0x38
	s_cmp_ge_u32 s6, s18
	s_cselect_b32 s7, s7, s22
	s_cselect_b32 s6, s12, s6
	s_add_i32 s12, s7, 1
	s_cmp_ge_u32 s6, s18
	s_cselect_b32 s6, s12, s7
	v_lshrrev_b32_e32 v1, 6, v0
	s_xor_b32 s6, s6, s3
	s_waitcnt lgkmcnt(0)
	s_mul_i32 s22, s10, s2
	s_sub_i32 s12, s6, s3
	s_ashr_i32 s23, s22, 31
	v_cmp_gt_i32_e64 s[2:3], s33, v1
	v_cmp_le_i32_e32 vcc, s33, v1
	v_mbcnt_lo_u32_b32 v13, -1, 0
	s_barrier
	s_waitcnt lgkmcnt(0)
                                        ; implicit-def: $sgpr15
                                        ; implicit-def: $vgpr6
                                        ; implicit-def: $vgpr7
	s_and_saveexec_b64 s[6:7], vcc
	s_xor_b64 s[6:7], exec, s[6:7]
; %bb.5:
	v_mbcnt_hi_u32_b32 v6, -1, v13
	v_and_b32_e32 v2, 64, v6
	v_add_u32_e32 v7, 64, v2
	s_mov_b32 s15, 0xff7fffff
                                        ; implicit-def: $vgpr4
                                        ; implicit-def: $vgpr13
; %bb.6:
	s_or_saveexec_b64 s[26:27], s[6:7]
	s_load_dwordx2 s[18:19], s[0:1], 0x0
	s_load_dwordx2 s[24:25], s[0:1], 0x18
	s_load_dword s17, s[0:1], 0x88
	v_mov_b32_e32 v8, s15
	s_mul_i32 s14, s12, s14
	v_lshrrev_b32_e32 v10, 4, v0
	s_xor_b64 exec, exec, s[26:27]
	s_cbranch_execz .LBB63_12
; %bb.7:
	s_load_dwordx2 s[0:1], s[0:1], 0x10
	s_ashr_i32 s15, s14, 31
	s_lshl_b64 s[6:7], s[14:15], 1
	v_bfe_u32 v5, v0, 3, 3
	v_lshlrev_b32_e32 v6, 4, v5
	s_waitcnt lgkmcnt(0)
	s_add_u32 s0, s0, s6
	s_addc_u32 s1, s1, s7
	v_mov_b32_e32 v7, 0
	s_sub_i32 s15, 1, s11
	s_lshl_b64 s[6:7], s[22:23], 2
	v_lshl_add_u64 v[2:3], s[0:1], 0, v[6:7]
	v_lshlrev_b32_e32 v6, 1, v4
	v_lshlrev_b32_e32 v9, 3, v4
	v_cmp_eq_u32_e32 vcc, 0, v4
	v_lshlrev_b32_e32 v4, 2, v5
	s_add_u32 s6, s20, s6
	v_lshl_add_u64 v[2:3], v[2:3], 0, v[6:7]
	v_lshl_or_b32 v4, v1, 5, v4
	v_and_b32_e32 v6, 60, v10
	s_addc_u32 s7, s21, s7
	v_lshl_or_b32 v11, v1, 3, v5
	v_add_u32_e32 v12, 0x50, v4
	v_lshl_add_u64 v[4:5], s[6:7], 0, v[6:7]
	v_mbcnt_hi_u32_b32 v6, -1, v13
	v_and_b32_e32 v7, 64, v6
	s_mov_b32 s12, s13
	v_cmp_neq_f32_e64 s[0:1], s8, 0
	s_mov_b64 s[28:29], 0
	v_mov_b32_e32 v8, 0xff7fffff
	v_add_u32_e32 v7, 64, v7
	v_xor_b32_e32 v13, 4, v6
	v_xor_b32_e32 v14, 2, v6
	;; [unrolled: 1-line block ×3, first 2 shown]
	v_mov_b32_e32 v16, v1
	s_branch .LBB63_9
.LBB63_8:                               ;   in Loop: Header=BB63_9 Depth=1
	s_or_b64 exec, exec, s[30:31]
	v_add_u32_e32 v16, 2, v16
	v_cmp_le_i32_e64 s[6:7], s33, v16
	v_add_u32_e32 v11, 16, v11
	v_add_u32_e32 v12, 64, v12
	s_or_b64 s[28:29], s[6:7], s[28:29]
	v_lshl_add_u64 v[4:5], v[4:5], 0, 8
	s_andn2_b64 exec, exec, s[28:29]
	s_cbranch_execz .LBB63_11
.LBB63_9:                               ; =>This Inner Loop Header: Depth=1
	global_load_dword v17, v[4:5], off
	s_waitcnt vmcnt(0) lgkmcnt(0)
	v_mad_i64_i32 v[18:19], s[6:7], v17, s12, 0
	v_lshl_add_u64 v[18:19], v[18:19], 1, v[2:3]
	global_load_ushort v17, v[18:19], off
	global_load_ushort v20, v[18:19], off offset:128
	global_load_ushort v21, v[18:19], off offset:256
	;; [unrolled: 1-line block ×3, first 2 shown]
	ds_read_u16 v18, v9
	s_waitcnt lgkmcnt(0)
	;;#ASMSTART
	v_cvt_f32_f16 v18, v18;
	;;#ASMEND
	v_cmp_lt_i32_e64 s[6:7], v13, v7
	s_waitcnt vmcnt(3)
	;;#ASMSTART
	v_cvt_f32_f16 v17, v17;
	;;#ASMEND
	ds_read_u16 v19, v9 offset:2
	s_waitcnt lgkmcnt(0)
	;;#ASMSTART
	v_cvt_f32_f16 v19, v19;
	;;#ASMEND
	s_waitcnt vmcnt(2)
	;;#ASMSTART
	v_cvt_f32_f16 v20, v20;
	;;#ASMEND
	ds_read_u16 v23, v9 offset:4
	v_mul_f32_e32 v19, v19, v20
	v_fmac_f32_e32 v19, v18, v17
	v_cndmask_b32_e64 v24, v6, v13, s[6:7]
	s_waitcnt lgkmcnt(0)
	;;#ASMSTART
	v_cvt_f32_f16 v23, v23;
	;;#ASMEND
	s_waitcnt vmcnt(1)
	;;#ASMSTART
	v_cvt_f32_f16 v21, v21;
	;;#ASMEND
	ds_read_u16 v25, v9 offset:6
	v_fmac_f32_e32 v19, v23, v21
	v_lshlrev_b32_e32 v24, 2, v24
	s_waitcnt lgkmcnt(0)
	;;#ASMSTART
	v_cvt_f32_f16 v17, v25;
	;;#ASMEND
	s_waitcnt vmcnt(0)
	;;#ASMSTART
	v_cvt_f32_f16 v18, v22;
	;;#ASMEND
	v_cmp_lt_i32_e64 s[6:7], v14, v7
	v_fmac_f32_e32 v19, v17, v18
	ds_bpermute_b32 v17, v24, v19
	v_cndmask_b32_e64 v18, v6, v14, s[6:7]
	v_lshlrev_b32_e32 v18, 2, v18
	v_cmp_lt_i32_e64 s[6:7], v15, v7
	s_waitcnt lgkmcnt(0)
	v_add_f32_e32 v17, v19, v17
	ds_bpermute_b32 v18, v18, v17
	v_cndmask_b32_e64 v19, v6, v15, s[6:7]
	s_waitcnt lgkmcnt(0)
	v_add_f32_e32 v17, v17, v18
	v_lshlrev_b32_e32 v18, 2, v19
	ds_bpermute_b32 v18, v18, v17
	s_and_saveexec_b64 s[30:31], vcc
	s_cbranch_execz .LBB63_8
; %bb.10:                               ;   in Loop: Header=BB63_9 Depth=1
	v_add_u32_e32 v19, s15, v11
	v_cvt_f32_i32_e32 v19, v19
	s_waitcnt lgkmcnt(0)
	v_add_f32_e32 v17, v17, v18
	v_cmp_gt_i32_e64 s[6:7], s11, v11
	v_max_f32_e32 v18, v8, v8
	v_mul_f32_e32 v19, s8, v19
	v_cndmask_b32_e64 v19, 0, v19, s[0:1]
	v_fmac_f32_e32 v19, s9, v17
	v_cndmask_b32_e64 v17, 0, v19, s[6:7]
	ds_write_b32 v12, v17
	v_max_f32_e32 v17, v18, v19
	v_cndmask_b32_e64 v8, v8, v17, s[6:7]
	s_branch .LBB63_8
.LBB63_11:
	s_or_b64 exec, exec, s[28:29]
.LBB63_12:
	s_or_b64 exec, exec, s[26:27]
	v_xor_b32_e32 v2, 32, v6
	v_cmp_lt_i32_e32 vcc, v2, v7
	v_xor_b32_e32 v5, 16, v6
	v_max_f32_e32 v4, v8, v8
	v_cndmask_b32_e32 v2, v6, v2, vcc
	v_lshlrev_b32_e32 v3, 2, v2
	ds_bpermute_b32 v2, v3, v8
	v_cmp_lt_i32_e32 vcc, v5, v7
	v_xor_b32_e32 v8, 8, v6
	v_and_b32_e32 v12, 63, v0
	s_waitcnt lgkmcnt(0)
	v_max_f32_e32 v2, v2, v2
	v_max_f32_e32 v2, v4, v2
	v_cndmask_b32_e32 v4, v6, v5, vcc
	v_lshlrev_b32_e32 v5, 2, v4
	ds_bpermute_b32 v4, v5, v2
	v_cmp_lt_i32_e32 vcc, v8, v7
	s_waitcnt lgkmcnt(0)
	v_max_f32_e32 v4, v4, v4
	v_max_f32_e32 v4, v2, v4
	v_cndmask_b32_e32 v2, v6, v8, vcc
	v_lshlrev_b32_e32 v9, 2, v2
	ds_bpermute_b32 v8, v9, v4
	v_cmp_eq_u32_e32 vcc, 0, v12
	v_lshlrev_b32_e32 v2, 2, v1
	s_and_saveexec_b64 s[0:1], vcc
	s_cbranch_execz .LBB63_14
; %bb.13:
	s_waitcnt lgkmcnt(0)
	v_max_f32_e32 v8, v8, v8
	v_max_f32_e32 v4, v4, v4
	;; [unrolled: 1-line block ×3, first 2 shown]
	ds_write_b32 v2, v4 offset:64
.LBB63_14:
	s_or_b64 exec, exec, s[0:1]
	v_cmp_gt_u32_e64 s[0:1], 2, v12
	v_mov_b32_e32 v11, 0xff7fffff
	v_lshlrev_b32_e32 v4, 2, v12
	s_waitcnt lgkmcnt(0)
	s_barrier
	s_and_saveexec_b64 s[6:7], s[0:1]
	s_cbranch_execz .LBB63_16
; %bb.15:
	ds_read_b32 v11, v4 offset:64
.LBB63_16:
	s_or_b64 exec, exec, s[6:7]
	v_xor_b32_e32 v8, 1, v6
	v_cmp_lt_i32_e64 s[6:7], v8, v7
	v_lshlrev_b32_e32 v14, 2, v6
	s_nop 0
	v_cndmask_b32_e64 v8, v6, v8, s[6:7]
	v_lshlrev_b32_e32 v8, 2, v8
	s_waitcnt lgkmcnt(0)
	ds_bpermute_b32 v13, v8, v11
	v_max_f32_e32 v11, v11, v11
	s_lshl_b32 s6, s33, 3
	s_min_i32 s12, s6, s11
	v_cmp_gt_i32_e64 s[6:7], s12, v0
	s_waitcnt lgkmcnt(0)
	v_max_f32_e32 v13, v13, v13
	v_max_f32_e32 v13, v11, v13
	v_and_b32_e32 v11, 0xffffff00, v14
	ds_bpermute_b32 v14, v11, v13
	v_mov_b32_e32 v13, 0
	s_and_saveexec_b64 s[26:27], s[6:7]
	s_cbranch_execz .LBB63_20
; %bb.17:
	v_mov_b32_e32 v13, 0x50
	v_lshl_add_u32 v15, v0, 2, v13
	s_mov_b64 s[28:29], 0
	v_mov_b32_e32 v13, 0
	v_mov_b32_e32 v16, v0
.LBB63_18:                              ; =>This Inner Loop Header: Depth=1
	ds_read_b32 v17, v15
	v_add_u32_e32 v16, 0x80, v16
	v_cmp_le_i32_e64 s[8:9], s12, v16
	s_or_b64 s[28:29], s[8:9], s[28:29]
	s_waitcnt lgkmcnt(0)
	v_sub_f32_e32 v17, v17, v14
	v_mul_f32_e32 v17, 0x3fb8aa3b, v17
	v_exp_f32_e32 v17, v17
	ds_write_b32 v15, v17
	v_add_f32_e32 v13, v13, v17
	v_add_u32_e32 v15, 0x200, v15
	s_andn2_b64 exec, exec, s[28:29]
	s_cbranch_execnz .LBB63_18
; %bb.19:
	s_or_b64 exec, exec, s[28:29]
.LBB63_20:
	s_or_b64 exec, exec, s[26:27]
	ds_bpermute_b32 v3, v3, v13
	s_waitcnt lgkmcnt(0)
	v_add_f32_e32 v3, v13, v3
	ds_bpermute_b32 v5, v5, v3
	s_waitcnt lgkmcnt(0)
	v_add_f32_e32 v3, v3, v5
	ds_bpermute_b32 v5, v9, v3
	v_xor_b32_e32 v9, 4, v6
	v_cmp_lt_i32_e64 s[8:9], v9, v7
	s_waitcnt lgkmcnt(0)
	v_add_f32_e32 v3, v3, v5
	v_cndmask_b32_e64 v9, v6, v9, s[8:9]
	v_lshlrev_b32_e32 v9, 2, v9
	ds_bpermute_b32 v5, v9, v3
	v_xor_b32_e32 v9, 2, v6
	v_cmp_lt_i32_e64 s[8:9], v9, v7
	s_waitcnt lgkmcnt(0)
	v_add_f32_e32 v3, v3, v5
	v_cndmask_b32_e64 v6, v6, v9, s[8:9]
	v_lshlrev_b32_e32 v5, 2, v6
	ds_bpermute_b32 v5, v5, v3
	s_waitcnt lgkmcnt(0)
	v_add_f32_e32 v3, v3, v5
	ds_bpermute_b32 v5, v8, v3
	s_waitcnt lgkmcnt(0)
	v_add_f32_e32 v3, v3, v5
	s_and_saveexec_b64 s[8:9], vcc
	s_cbranch_execz .LBB63_22
; %bb.21:
	ds_write_b32 v2, v3 offset:72
.LBB63_22:
	s_or_b64 exec, exec, s[8:9]
	s_waitcnt lgkmcnt(0)
	s_barrier
	s_and_saveexec_b64 s[8:9], s[0:1]
	s_cbranch_execz .LBB63_24
; %bb.23:
	ds_read_b32 v3, v4 offset:72
.LBB63_24:
	s_or_b64 exec, exec, s[8:9]
	s_waitcnt lgkmcnt(0)
	ds_bpermute_b32 v2, v8, v3
	s_waitcnt lgkmcnt(0)
	v_add_f32_e32 v2, v3, v2
	ds_bpermute_b32 v2, v11, v2
	s_and_saveexec_b64 s[0:1], s[6:7]
	s_cbranch_execz .LBB63_37
; %bb.25:
	s_waitcnt lgkmcnt(0)
	v_add_f32_e32 v2, 0x358637bd, v2
	v_div_scale_f32 v3, s[6:7], v2, v2, 1.0
	v_rcp_f32_e32 v4, v3
	v_div_scale_f32 v5, vcc, 1.0, v2, 1.0
	s_movk_i32 s6, 0x7f
	v_fma_f32 v6, -v3, v4, 1.0
	v_fmac_f32_e32 v4, v6, v4
	v_mul_f32_e32 v6, v5, v4
	v_fma_f32 v7, -v3, v6, v5
	v_fmac_f32_e32 v6, v7, v4
	v_fma_f32 v3, -v3, v6, v5
	v_div_fmas_f32 v3, v3, v4, v6
	v_xad_u32 v4, v0, -1, s12
	v_div_fixup_f32 v2, v3, v2, 1.0
	v_cmp_lt_u32_e32 vcc, s6, v4
	s_mov_b64 s[8:9], -1
	v_mov_b32_e32 v3, v0
	s_and_saveexec_b64 s[6:7], vcc
	s_cbranch_execz .LBB63_34
; %bb.26:
	v_lshrrev_b32_e32 v4, 7, v4
	v_add_u32_e32 v6, -1, v4
	v_lshrrev_b32_e32 v5, 1, v6
	v_mov_b32_e32 v3, v2
	v_add_u32_e32 v5, 1, v5
	v_cmp_lt_u32_e32 vcc, 13, v6
	v_mov_b32_e32 v8, 0
	s_and_saveexec_b64 s[8:9], vcc
	s_cbranch_execz .LBB63_30
; %bb.27:
	v_mov_b32_e32 v7, 0x50
	v_and_b32_e32 v6, -8, v5
	v_lshl_add_u32 v7, v0, 2, v7
	s_mov_b32 s15, 0
	s_mov_b64 s[26:27], 0
.LBB63_28:                              ; =>This Inner Loop Header: Depth=1
	ds_read2st64_b32 v[8:9], v7 offset1:2
	ds_read2st64_b32 v[14:15], v7 offset0:4 offset1:6
	ds_read2st64_b32 v[16:17], v7 offset0:8 offset1:10
	;; [unrolled: 1-line block ×3, first 2 shown]
	v_add_u32_e32 v6, -8, v6
	s_waitcnt lgkmcnt(3)
	v_pk_mul_f32 v[8:9], v[2:3], v[8:9]
	s_waitcnt lgkmcnt(2)
	v_pk_mul_f32 v[14:15], v[2:3], v[14:15]
	ds_write2st64_b32 v7, v8, v9 offset1:2
	ds_write2st64_b32 v7, v14, v15 offset0:4 offset1:6
	ds_read2st64_b32 v[14:15], v7 offset0:16 offset1:18
	s_waitcnt lgkmcnt(4)
	v_pk_mul_f32 v[8:9], v[2:3], v[16:17]
	ds_write2st64_b32 v7, v8, v9 offset0:8 offset1:10
	s_waitcnt lgkmcnt(4)
	v_pk_mul_f32 v[8:9], v[2:3], v[18:19]
	ds_write2st64_b32 v7, v8, v9 offset0:12 offset1:14
	ds_read2st64_b32 v[8:9], v7 offset0:20 offset1:22
	s_waitcnt lgkmcnt(3)
	v_pk_mul_f32 v[14:15], v[2:3], v[14:15]
	ds_read2st64_b32 v[16:17], v7 offset0:24 offset1:26
	ds_write2st64_b32 v7, v14, v15 offset0:16 offset1:18
	ds_read2st64_b32 v[14:15], v7 offset0:28 offset1:30
	s_waitcnt lgkmcnt(3)
	v_pk_mul_f32 v[8:9], v[2:3], v[8:9]
	ds_write2st64_b32 v7, v8, v9 offset0:20 offset1:22
	s_waitcnt lgkmcnt(3)
	v_pk_mul_f32 v[8:9], v[2:3], v[16:17]
	ds_write2st64_b32 v7, v8, v9 offset0:24 offset1:26
	s_waitcnt lgkmcnt(2)
	v_pk_mul_f32 v[8:9], v[2:3], v[14:15]
	s_add_i32 s15, s15, 16
	v_cmp_eq_u32_e32 vcc, 0, v6
	ds_write2st64_b32 v7, v8, v9 offset0:28 offset1:30
	v_add_u32_e32 v7, 0x2000, v7
	s_or_b64 s[26:27], vcc, s[26:27]
	v_mov_b32_e32 v8, s15
	s_andn2_b64 exec, exec, s[26:27]
	s_cbranch_execnz .LBB63_28
; %bb.29:
	s_or_b64 exec, exec, s[26:27]
.LBB63_30:
	s_or_b64 exec, exec, s[8:9]
	v_and_b32_e32 v5, 7, v5
	v_cmp_ne_u32_e32 vcc, 0, v5
	s_and_saveexec_b64 s[8:9], vcc
	s_cbranch_execz .LBB63_33
; %bb.31:
	v_lshlrev_b32_e32 v6, 9, v8
	v_lshlrev_b32_e32 v7, 2, v0
	s_movk_i32 s15, 0x50
	v_add3_u32 v6, v6, v7, s15
	s_mov_b64 s[26:27], 0
.LBB63_32:                              ; =>This Inner Loop Header: Depth=1
	ds_read2st64_b32 v[8:9], v6 offset1:2
	v_add_u32_e32 v5, -1, v5
	v_cmp_eq_u32_e32 vcc, 0, v5
	s_or_b64 s[26:27], vcc, s[26:27]
	s_waitcnt lgkmcnt(0)
	v_pk_mul_f32 v[8:9], v[2:3], v[8:9]
	ds_write2st64_b32 v6, v8, v9 offset1:2
	v_add_u32_e32 v6, 0x400, v6
	s_andn2_b64 exec, exec, s[26:27]
	s_cbranch_execnz .LBB63_32
.LBB63_33:
	s_or_b64 exec, exec, s[8:9]
	v_add_u32_e32 v4, 1, v4
	v_and_b32_e32 v5, 0x3fffffe, v4
	v_cmp_ne_u32_e32 vcc, v4, v5
	v_lshl_add_u32 v3, v5, 7, v0
	s_orn2_b64 s[8:9], vcc, exec
.LBB63_34:
	s_or_b64 exec, exec, s[6:7]
	s_and_b64 exec, exec, s[8:9]
	s_cbranch_execz .LBB63_37
; %bb.35:
	v_mov_b32_e32 v4, 0x50
	v_lshl_add_u32 v4, v3, 2, v4
	s_mov_b64 s[6:7], 0
.LBB63_36:                              ; =>This Inner Loop Header: Depth=1
	ds_read_b32 v5, v4
	v_add_u32_e32 v3, 0x80, v3
	v_cmp_le_i32_e32 vcc, s12, v3
	s_or_b64 s[6:7], vcc, s[6:7]
	s_waitcnt lgkmcnt(0)
	v_mul_f32_e32 v5, v2, v5
	ds_write_b32 v4, v5
	v_add_u32_e32 v4, 0x200, v4
	s_andn2_b64 exec, exec, s[6:7]
	s_cbranch_execnz .LBB63_36
.LBB63_37:
	s_or_b64 exec, exec, s[0:1]
	v_mov_b32_e32 v7, 0
	s_waitcnt lgkmcnt(0)
	s_barrier
	s_and_saveexec_b64 s[6:7], s[2:3]
	s_cbranch_execz .LBB63_45
; %bb.38:
	s_ashr_i32 s15, s14, 31
	s_lshl_b64 s[0:1], s[14:15], 1
	s_add_u32 s0, s24, s0
	s_addc_u32 s1, s25, s1
	v_lshlrev_b32_e32 v6, 4, v12
	v_mov_b32_e32 v7, 0
	v_lshl_add_u64 v[8:9], s[0:1], 0, v[6:7]
	s_add_i32 s14, s33, -1
	s_lshl_b64 s[0:1], s[22:23], 2
	s_add_u32 s0, s20, s0
	v_mov_b32_e32 v2, 0x50
	v_and_b32_e32 v6, 60, v10
	s_addc_u32 s1, s21, s1
	v_cmp_gt_u32_e32 vcc, 32, v12
	s_mov_b32 s26, s13
	s_mov_b32 s15, s11
	;; [unrolled: 1-line block ×8, first 2 shown]
	v_lshlrev_b32_e32 v13, 3, v1
	v_lshl_add_u32 v14, v1, 5, v2
	v_lshl_add_u64 v[10:11], s[0:1], 0, v[6:7]
	s_mov_b64 s[2:3], 0
	s_mov_b32 s20, 0x5040100
	s_branch .LBB63_41
.LBB63_39:                              ;   in Loop: Header=BB63_41 Depth=1
	s_or_b64 exec, exec, s[12:13]
	v_and_b32_e32 v6, 0xffff, v6
	v_lshl_or_b32 v6, v15, 16, v6
	v_and_b32_e32 v15, 0xffff, v16
	v_lshl_or_b32 v15, v17, 16, v15
	v_and_b32_e32 v16, 0xffff, v18
	v_and_b32_e32 v17, 0xffff, v20
	s_waitcnt vmcnt(0)
	;;#ASMSTART
	v_pk_mul_f16 v2, v6, v2;

	;;#ASMEND
	v_lshl_or_b32 v16, v19, 16, v16
	v_lshl_or_b32 v17, v21, 16, v17
	;;#ASMSTART
	v_pk_mul_f16 v3, v15, v3;

	;;#ASMEND
	;;#ASMSTART
	v_pk_mul_f16 v4, v16, v4;

	;;#ASMEND
	;; [unrolled: 4-line block ×3, first 2 shown]
	s_nop 0
	;;#ASMSTART
	v_pk_add_f16 v2, v2, v3;

	;;#ASMEND
	s_nop 0
	;;#ASMSTART
	v_pk_add_f16 v2, v2, v4;

	;;#ASMEND
	;; [unrolled: 5-line block ×3, first 2 shown]
	s_nop 0
	v_lshrrev_b32_e32 v3, 16, v2
	v_and_b32_e32 v2, 0xffff, v2
	;;#ASMSTART
	v_cvt_f32_f16 v2, v2;
	;;#ASMEND
	;;#ASMSTART
	v_cvt_f32_f16 v3, v3;
	;;#ASMEND
	s_nop 0
	v_add_f32_e32 v2, v2, v3
	v_add_f32_e32 v7, v7, v2
.LBB63_40:                              ;   in Loop: Header=BB63_41 Depth=1
	s_or_b64 exec, exec, s[8:9]
	v_add_u32_e32 v1, 2, v1
	v_cmp_le_i32_e64 s[0:1], s33, v1
	v_add_u32_e32 v13, 16, v13
	v_add_u32_e32 v14, 64, v14
	s_or_b64 s[2:3], s[0:1], s[2:3]
	v_lshl_add_u64 v[10:11], v[10:11], 0, 8
	s_andn2_b64 exec, exec, s[2:3]
	s_cbranch_execz .LBB63_44
.LBB63_41:                              ; =>This Inner Loop Header: Depth=1
	ds_read2_b64 v[2:5], v14 offset1:1
	ds_read2_b64 v[18:21], v14 offset0:2 offset1:3
	s_waitcnt lgkmcnt(1)
	;;#ASMSTART
	v_cvt_f16_f32 v6, v2;

	;;#ASMEND
	;;#ASMSTART
	v_cvt_f16_f32 v15, v3;

	;;#ASMEND
	;; [unrolled: 4-line block ×4, first 2 shown]
	s_waitcnt lgkmcnt(0)
	;;#ASMSTART
	v_cvt_f16_f32 v18, v18;

	;;#ASMEND
	;;#ASMSTART
	v_cvt_f16_f32 v19, v19;

	;;#ASMEND
	;; [unrolled: 4-line block ×4, first 2 shown]
	s_and_saveexec_b64 s[8:9], vcc
	s_cbranch_execz .LBB63_40
; %bb.42:                               ;   in Loop: Header=BB63_41 Depth=1
	global_load_dword v2, v[10:11], off
	s_waitcnt vmcnt(0)
	v_mad_i64_i32 v[2:3], s[0:1], v2, s26, 0
	v_lshl_add_u64 v[2:3], v[2:3], 1, v[8:9]
	global_load_dwordx4 v[2:5], v[2:3], off
	v_cmp_eq_u32_e64 s[0:1], s14, v1
	s_and_saveexec_b64 s[12:13], s[0:1]
	s_cbranch_execz .LBB63_39
; %bb.43:                               ;   in Loop: Header=BB63_41 Depth=1
	v_or_b32_e32 v27, 7, v13
	v_or_b32_e32 v28, 6, v13
	s_waitcnt vmcnt(0)
	v_lshrrev_b32_e32 v29, 16, v5
	v_cmp_gt_i32_e64 s[0:1], s30, v27
	v_or_b32_e32 v25, 5, v13
	v_or_b32_e32 v26, 4, v13
	v_cndmask_b32_e64 v27, 0, v29, s[0:1]
	v_cmp_gt_i32_e64 s[0:1], s29, v28
	v_or_b32_e32 v23, 3, v13
	v_or_b32_e32 v24, 2, v13
	v_cndmask_b32_e64 v5, 0, v5, s[0:1]
	v_perm_b32 v5, v27, v5, s20
	v_lshrrev_b32_e32 v27, 16, v4
	v_cmp_gt_i32_e64 s[0:1], s28, v25
	v_add_u32_e32 v22, 1, v13
	s_nop 0
	v_cndmask_b32_e64 v25, 0, v27, s[0:1]
	v_cmp_gt_i32_e64 s[0:1], s27, v26
	s_nop 1
	v_cndmask_b32_e64 v4, 0, v4, s[0:1]
	v_perm_b32 v4, v25, v4, s20
	v_lshrrev_b32_e32 v25, 16, v3
	v_cmp_gt_i32_e64 s[0:1], s25, v23
	s_nop 1
	v_cndmask_b32_e64 v23, 0, v25, s[0:1]
	v_cmp_gt_i32_e64 s[0:1], s24, v24
	s_nop 1
	v_cndmask_b32_e64 v3, 0, v3, s[0:1]
	v_perm_b32 v3, v23, v3, s20
	v_lshrrev_b32_e32 v23, 16, v2
	v_cmp_gt_i32_e64 s[0:1], s15, v22
	s_nop 1
	v_cndmask_b32_e64 v22, 0, v23, s[0:1]
	v_cmp_gt_i32_e64 s[0:1], s11, v13
	s_nop 1
	v_cndmask_b32_e64 v2, 0, v2, s[0:1]
	v_perm_b32 v2, v22, v2, s20
	s_branch .LBB63_39
.LBB63_44:
	s_or_b64 exec, exec, s[2:3]
.LBB63_45:
	s_or_b64 exec, exec, s[6:7]
	v_and_b32_e32 v1, 0x3c0, v0
	v_cmp_eq_u32_e64 s[0:1], 64, v1
	v_cmp_gt_u32_e32 vcc, 32, v12
	s_and_b64 s[2:3], s[0:1], vcc
	s_barrier
	s_and_saveexec_b64 s[0:1], s[2:3]
	s_cbranch_execz .LBB63_47
; %bb.46:
	v_mov_b32_e32 v1, 0x50
	v_lshl_add_u32 v1, v12, 2, v1
	ds_write_b32 v1, v7
.LBB63_47:
	s_or_b64 exec, exec, s[0:1]
	v_cmp_gt_u32_e64 s[0:1], 64, v0
	s_and_b64 s[0:1], s[0:1], vcc
	s_waitcnt lgkmcnt(0)
	s_barrier
	s_and_saveexec_b64 s[2:3], s[0:1]
	s_cbranch_execz .LBB63_49
; %bb.48:
	v_mov_b32_e32 v0, 0x50
	v_lshl_add_u32 v0, v12, 2, v0
	ds_read_b32 v0, v0
	s_waitcnt lgkmcnt(0)
	v_add_f32_e32 v7, v7, v0
.LBB63_49:
	s_or_b64 exec, exec, s[2:3]
	s_barrier
	s_and_saveexec_b64 s[2:3], s[0:1]
	s_cbranch_execz .LBB63_51
; %bb.50:
	s_mul_i32 s0, s10, s17
	s_mul_i32 s0, s0, s5
	s_lshl_b32 s0, s0, 5
	s_ashr_i32 s1, s0, 31
	s_lshl_b64 s[0:1], s[0:1], 1
	s_add_u32 s2, s18, s0
	s_mul_i32 s0, s17, s16
	s_addc_u32 s3, s19, s1
	s_ashr_i32 s1, s0, 31
	s_lshl_b64 s[0:1], s[0:1], 1
	s_add_u32 s2, s2, s0
	s_addc_u32 s3, s3, s1
	s_lshl_b32 s0, s4, 5
	s_ashr_i32 s1, s0, 31
	s_lshl_b64 s[0:1], s[0:1], 1
	s_add_u32 s0, s2, s0
	s_addc_u32 s1, s3, s1
	v_lshlrev_b32_e32 v0, 1, v12
	;;#ASMSTART
	v_cvt_f16_f32 v1, v7;

	;;#ASMEND
	global_store_short v0, v1, s[0:1]
.LBB63_51:
	s_endpgm
	.section	.rodata,"a",@progbits
	.p2align	6, 0x0
	.amdhsa_kernel _ZN4vllm25paged_attention_v1_kernelIttLi32ELi8ELi128ELNS_18Fp8KVCacheDataTypeE0ELb0EEEvPT_PKS2_PKT0_S8_ifPKiSA_iPKfiiiSC_SC_iiiii
		.amdhsa_group_segment_fixed_size 80
		.amdhsa_private_segment_fixed_size 0
		.amdhsa_kernarg_size 384
		.amdhsa_user_sgpr_count 2
		.amdhsa_user_sgpr_dispatch_ptr 0
		.amdhsa_user_sgpr_queue_ptr 0
		.amdhsa_user_sgpr_kernarg_segment_ptr 1
		.amdhsa_user_sgpr_dispatch_id 0
		.amdhsa_user_sgpr_kernarg_preload_length 0
		.amdhsa_user_sgpr_kernarg_preload_offset 0
		.amdhsa_user_sgpr_private_segment_size 0
		.amdhsa_uses_dynamic_stack 0
		.amdhsa_enable_private_segment 0
		.amdhsa_system_sgpr_workgroup_id_x 1
		.amdhsa_system_sgpr_workgroup_id_y 1
		.amdhsa_system_sgpr_workgroup_id_z 1
		.amdhsa_system_sgpr_workgroup_info 0
		.amdhsa_system_vgpr_workitem_id 0
		.amdhsa_next_free_vgpr 30
		.amdhsa_next_free_sgpr 34
		.amdhsa_accum_offset 32
		.amdhsa_reserve_vcc 1
		.amdhsa_float_round_mode_32 0
		.amdhsa_float_round_mode_16_64 0
		.amdhsa_float_denorm_mode_32 3
		.amdhsa_float_denorm_mode_16_64 3
		.amdhsa_dx10_clamp 1
		.amdhsa_ieee_mode 1
		.amdhsa_fp16_overflow 0
		.amdhsa_tg_split 0
		.amdhsa_exception_fp_ieee_invalid_op 0
		.amdhsa_exception_fp_denorm_src 0
		.amdhsa_exception_fp_ieee_div_zero 0
		.amdhsa_exception_fp_ieee_overflow 0
		.amdhsa_exception_fp_ieee_underflow 0
		.amdhsa_exception_fp_ieee_inexact 0
		.amdhsa_exception_int_div_zero 0
	.end_amdhsa_kernel
	.section	.text._ZN4vllm25paged_attention_v1_kernelIttLi32ELi8ELi128ELNS_18Fp8KVCacheDataTypeE0ELb0EEEvPT_PKS2_PKT0_S8_ifPKiSA_iPKfiiiSC_SC_iiiii,"axG",@progbits,_ZN4vllm25paged_attention_v1_kernelIttLi32ELi8ELi128ELNS_18Fp8KVCacheDataTypeE0ELb0EEEvPT_PKS2_PKT0_S8_ifPKiSA_iPKfiiiSC_SC_iiiii,comdat
.Lfunc_end63:
	.size	_ZN4vllm25paged_attention_v1_kernelIttLi32ELi8ELi128ELNS_18Fp8KVCacheDataTypeE0ELb0EEEvPT_PKS2_PKT0_S8_ifPKiSA_iPKfiiiSC_SC_iiiii, .Lfunc_end63-_ZN4vllm25paged_attention_v1_kernelIttLi32ELi8ELi128ELNS_18Fp8KVCacheDataTypeE0ELb0EEEvPT_PKS2_PKT0_S8_ifPKiSA_iPKfiiiSC_SC_iiiii
                                        ; -- End function
	.section	.AMDGPU.csdata,"",@progbits
; Kernel info:
; codeLenInByte = 3564
; NumSgprs: 40
; NumVgprs: 30
; NumAgprs: 0
; TotalNumVgprs: 30
; ScratchSize: 0
; MemoryBound: 0
; FloatMode: 240
; IeeeMode: 1
; LDSByteSize: 80 bytes/workgroup (compile time only)
; SGPRBlocks: 4
; VGPRBlocks: 3
; NumSGPRsForWavesPerEU: 40
; NumVGPRsForWavesPerEU: 30
; AccumOffset: 32
; Occupancy: 8
; WaveLimiterHint : 1
; COMPUTE_PGM_RSRC2:SCRATCH_EN: 0
; COMPUTE_PGM_RSRC2:USER_SGPR: 2
; COMPUTE_PGM_RSRC2:TRAP_HANDLER: 0
; COMPUTE_PGM_RSRC2:TGID_X_EN: 1
; COMPUTE_PGM_RSRC2:TGID_Y_EN: 1
; COMPUTE_PGM_RSRC2:TGID_Z_EN: 1
; COMPUTE_PGM_RSRC2:TIDIG_COMP_CNT: 0
; COMPUTE_PGM_RSRC3_GFX90A:ACCUM_OFFSET: 7
; COMPUTE_PGM_RSRC3_GFX90A:TG_SPLIT: 0
	.section	.text._ZN4vllm25paged_attention_v1_kernelIttLi64ELi8ELi128ELNS_18Fp8KVCacheDataTypeE0ELb0EEEvPT_PKS2_PKT0_S8_ifPKiSA_iPKfiiiSC_SC_iiiii,"axG",@progbits,_ZN4vllm25paged_attention_v1_kernelIttLi64ELi8ELi128ELNS_18Fp8KVCacheDataTypeE0ELb0EEEvPT_PKS2_PKT0_S8_ifPKiSA_iPKfiiiSC_SC_iiiii,comdat
	.protected	_ZN4vllm25paged_attention_v1_kernelIttLi64ELi8ELi128ELNS_18Fp8KVCacheDataTypeE0ELb0EEEvPT_PKS2_PKT0_S8_ifPKiSA_iPKfiiiSC_SC_iiiii ; -- Begin function _ZN4vllm25paged_attention_v1_kernelIttLi64ELi8ELi128ELNS_18Fp8KVCacheDataTypeE0ELb0EEEvPT_PKS2_PKT0_S8_ifPKiSA_iPKfiiiSC_SC_iiiii
	.globl	_ZN4vllm25paged_attention_v1_kernelIttLi64ELi8ELi128ELNS_18Fp8KVCacheDataTypeE0ELb0EEEvPT_PKS2_PKT0_S8_ifPKiSA_iPKfiiiSC_SC_iiiii
	.p2align	8
	.type	_ZN4vllm25paged_attention_v1_kernelIttLi64ELi8ELi128ELNS_18Fp8KVCacheDataTypeE0ELb0EEEvPT_PKS2_PKT0_S8_ifPKiSA_iPKfiiiSC_SC_iiiii,@function
_ZN4vllm25paged_attention_v1_kernelIttLi64ELi8ELi128ELNS_18Fp8KVCacheDataTypeE0ELb0EEEvPT_PKS2_PKT0_S8_ifPKiSA_iPKfiiiSC_SC_iiiii: ; @_ZN4vllm25paged_attention_v1_kernelIttLi64ELi8ELi128ELNS_18Fp8KVCacheDataTypeE0ELb0EEEvPT_PKS2_PKT0_S8_ifPKiSA_iPKfiiiSC_SC_iiiii
; %bb.0:
	s_load_dword s5, s[0:1], 0x80
	s_load_dwordx2 s[6:7], s[0:1], 0x30
	s_load_dwordx2 s[10:11], s[0:1], 0x20
	s_mov_b32 s16, s3
	s_ashr_i32 s17, s3, 31
	s_lshl_b64 s[8:9], s[16:17], 2
	s_waitcnt lgkmcnt(0)
	s_add_u32 s6, s6, s8
	s_addc_u32 s7, s7, s9
	s_abs_i32 s3, s10
	v_cvt_f32_u32_e32 v1, s3
	s_xor_b32 s8, s5, s10
	s_sub_i32 s10, 0, s3
	s_abs_i32 s9, s5
	v_rcp_iflag_f32_e32 v1, v1
	s_ashr_i32 s8, s8, 31
	v_mul_f32_e32 v1, 0x4f7ffffe, v1
	v_cvt_u32_f32_e32 v1, v1
	s_nop 0
	v_readfirstlane_b32 s12, v1
	s_mul_i32 s10, s10, s12
	s_mul_hi_u32 s10, s12, s10
	s_add_i32 s12, s12, s10
	s_mul_hi_u32 s10, s9, s12
	s_mul_i32 s12, s10, s3
	s_sub_i32 s9, s9, s12
	s_add_i32 s12, s10, 1
	s_sub_i32 s13, s9, s3
	s_cmp_ge_u32 s9, s3
	s_cselect_b32 s10, s12, s10
	s_cselect_b32 s9, s13, s9
	s_add_i32 s12, s10, 1
	s_cmp_ge_u32 s9, s3
	s_cselect_b32 s3, s12, s10
	s_xor_b32 s3, s3, s8
	s_sub_i32 s18, s3, s8
	s_abs_i32 s20, s18
	v_cvt_f32_u32_e32 v1, s20
	s_load_dwordx2 s[8:9], s[0:1], 0x40
	s_sub_i32 s3, 0, s20
	s_abs_i32 s21, s2
	v_rcp_iflag_f32_e32 v1, v1
	s_mov_b32 s10, 0
	v_mul_f32_e32 v1, 0x4f7ffffe, v1
	v_cvt_u32_f32_e32 v1, v1
	s_nop 0
	v_readfirstlane_b32 s12, v1
	s_mul_i32 s3, s3, s12
	s_mul_hi_u32 s3, s12, s3
	s_add_i32 s12, s12, s3
	s_waitcnt lgkmcnt(0)
	s_cmp_eq_u64 s[8:9], 0
	s_mul_hi_u32 s24, s21, s12
	s_cbranch_scc1 .LBB64_2
; %bb.1:
	s_ashr_i32 s3, s2, 31
	s_lshl_b64 s[12:13], s[2:3], 2
	s_add_u32 s8, s8, s12
	s_addc_u32 s9, s9, s13
	s_load_dword s10, s[8:9], 0x0
.LBB64_2:
	s_load_dword s17, s[6:7], 0x0
	s_load_dwordx4 s[12:15], s[0:1], 0x48
	s_ashr_i32 s6, s2, 31
	s_ashr_i32 s7, s18, 31
	v_and_b32_e32 v4, 7, v0
	s_lshl_b32 s18, s2, 6
	v_cmp_gt_u32_e64 s[8:9], 64, v0
	s_and_saveexec_b64 s[2:3], s[8:9]
	s_cbranch_execz .LBB64_4
; %bb.3:
	s_load_dwordx2 s[22:23], s[0:1], 0x8
	s_waitcnt lgkmcnt(0)
	s_mul_i32 s26, s16, s12
	s_ashr_i32 s27, s26, 31
	s_lshl_b64 s[26:27], s[26:27], 1
	v_lshlrev_b32_e32 v1, 1, v0
	s_add_u32 s12, s22, s26
	s_addc_u32 s15, s23, s27
	s_ashr_i32 s19, s18, 31
	s_lshl_b64 s[22:23], s[18:19], 1
	s_add_u32 s22, s12, s22
	s_addc_u32 s23, s15, s23
	global_load_ushort v1, v1, s[22:23]
	v_lshrrev_b32_e32 v2, 2, v0
	v_and_b32_e32 v2, 0xfe, v2
	v_lshl_add_u32 v2, v4, 4, v2
	s_waitcnt vmcnt(0)
	ds_write_b16 v2, v1
.LBB64_4:
	s_or_b64 exec, exec, s[2:3]
	s_waitcnt lgkmcnt(0)
	s_add_i32 s3, s17, 7
	s_ashr_i32 s12, s3, 31
	s_lshr_b32 s12, s12, 29
	s_add_i32 s3, s3, s12
	s_ashr_i32 s19, s3, 3
	s_xor_b32 s3, s6, s7
	s_mul_i32 s6, s24, s20
	s_sub_i32 s6, s21, s6
	s_add_i32 s7, s24, 1
	s_sub_i32 s12, s6, s20
	s_load_dwordx2 s[22:23], s[0:1], 0x28
	s_load_dword s2, s[0:1], 0x38
	s_cmp_ge_u32 s6, s20
	s_cselect_b32 s7, s7, s24
	s_cselect_b32 s6, s12, s6
	s_add_i32 s12, s7, 1
	s_cmp_ge_u32 s6, s20
	s_cselect_b32 s6, s12, s7
	v_lshrrev_b32_e32 v1, 6, v0
	s_xor_b32 s6, s6, s3
	s_waitcnt lgkmcnt(0)
	s_mul_i32 s24, s16, s2
	s_sub_i32 s15, s6, s3
	s_ashr_i32 s25, s24, 31
	v_cmp_gt_i32_e64 s[2:3], s19, v1
	v_cmp_le_i32_e32 vcc, s19, v1
	v_mbcnt_lo_u32_b32 v13, -1, 0
	s_barrier
	s_waitcnt lgkmcnt(0)
                                        ; implicit-def: $sgpr30
                                        ; implicit-def: $vgpr6
                                        ; implicit-def: $vgpr7
	s_and_saveexec_b64 s[6:7], vcc
	s_xor_b64 s[6:7], exec, s[6:7]
; %bb.5:
	v_mbcnt_hi_u32_b32 v6, -1, v13
	v_and_b32_e32 v2, 64, v6
	v_add_u32_e32 v7, 64, v2
	s_mov_b32 s30, 0xff7fffff
                                        ; implicit-def: $vgpr4
                                        ; implicit-def: $vgpr13
; %bb.6:
	s_or_saveexec_b64 s[28:29], s[6:7]
	s_load_dwordx2 s[20:21], s[0:1], 0x0
	s_load_dwordx2 s[26:27], s[0:1], 0x18
	s_load_dword s12, s[0:1], 0x88
	v_mov_b32_e32 v8, s30
	s_mul_i32 s14, s15, s14
	v_lshrrev_b32_e32 v10, 4, v0
	s_xor_b64 exec, exec, s[28:29]
	s_cbranch_execz .LBB64_12
; %bb.7:
	s_load_dwordx2 s[0:1], s[0:1], 0x10
	s_ashr_i32 s15, s14, 31
	s_lshl_b64 s[6:7], s[14:15], 1
	v_bfe_u32 v5, v0, 3, 3
	v_lshlrev_b32_e32 v6, 4, v5
	s_waitcnt lgkmcnt(0)
	s_add_u32 s0, s0, s6
	s_addc_u32 s1, s1, s7
	v_mov_b32_e32 v7, 0
	s_sub_i32 s15, 1, s17
	s_lshl_b64 s[6:7], s[24:25], 2
	v_lshl_add_u64 v[2:3], s[0:1], 0, v[6:7]
	v_lshlrev_b32_e32 v6, 1, v4
	v_lshlrev_b32_e32 v9, 4, v4
	v_cmp_eq_u32_e32 vcc, 0, v4
	v_lshlrev_b32_e32 v4, 2, v5
	s_add_u32 s6, s22, s6
	v_lshl_add_u64 v[2:3], v[2:3], 0, v[6:7]
	v_lshl_or_b32 v4, v1, 5, v4
	v_and_b32_e32 v6, 60, v10
	s_addc_u32 s7, s23, s7
	v_lshl_or_b32 v11, v1, 3, v5
	v_add_u32_e32 v12, 0x90, v4
	v_lshl_add_u64 v[4:5], s[6:7], 0, v[6:7]
	v_mbcnt_hi_u32_b32 v6, -1, v13
	v_and_b32_e32 v7, 64, v6
	s_mov_b32 s33, s13
	v_cmp_neq_f32_e64 s[0:1], s10, 0
	s_mov_b64 s[30:31], 0
	v_mov_b32_e32 v8, 0xff7fffff
	v_add_u32_e32 v7, 64, v7
	v_xor_b32_e32 v13, 4, v6
	v_xor_b32_e32 v14, 2, v6
	;; [unrolled: 1-line block ×3, first 2 shown]
	v_mov_b32_e32 v16, v1
	s_branch .LBB64_9
.LBB64_8:                               ;   in Loop: Header=BB64_9 Depth=1
	s_or_b64 exec, exec, s[34:35]
	v_add_u32_e32 v16, 2, v16
	v_cmp_le_i32_e64 s[6:7], s19, v16
	v_add_u32_e32 v11, 16, v11
	v_add_u32_e32 v12, 64, v12
	s_or_b64 s[30:31], s[6:7], s[30:31]
	v_lshl_add_u64 v[4:5], v[4:5], 0, 8
	s_andn2_b64 exec, exec, s[30:31]
	s_cbranch_execz .LBB64_11
.LBB64_9:                               ; =>This Inner Loop Header: Depth=1
	global_load_dword v17, v[4:5], off
	s_waitcnt vmcnt(0) lgkmcnt(0)
	v_mad_i64_i32 v[18:19], s[6:7], v17, s33, 0
	v_lshl_add_u64 v[18:19], v[18:19], 1, v[2:3]
	global_load_ushort v17, v[18:19], off
	global_load_ushort v20, v[18:19], off offset:128
	global_load_ushort v21, v[18:19], off offset:256
	;; [unrolled: 1-line block ×7, first 2 shown]
	ds_read_u16 v18, v9
	s_waitcnt lgkmcnt(0)
	;;#ASMSTART
	v_cvt_f32_f16 v18, v18;
	;;#ASMEND
	v_cmp_lt_i32_e64 s[6:7], v13, v7
	s_waitcnt vmcnt(7)
	;;#ASMSTART
	v_cvt_f32_f16 v17, v17;
	;;#ASMEND
	ds_read_u16 v19, v9 offset:2
	s_waitcnt lgkmcnt(0)
	;;#ASMSTART
	v_cvt_f32_f16 v19, v19;
	;;#ASMEND
	s_waitcnt vmcnt(6)
	;;#ASMSTART
	v_cvt_f32_f16 v20, v20;
	;;#ASMEND
	ds_read_u16 v27, v9 offset:4
	v_mul_f32_e32 v19, v19, v20
	v_fmac_f32_e32 v19, v18, v17
	s_waitcnt lgkmcnt(0)
	;;#ASMSTART
	v_cvt_f32_f16 v27, v27;
	;;#ASMEND
	s_waitcnt vmcnt(5)
	;;#ASMSTART
	v_cvt_f32_f16 v21, v21;
	;;#ASMEND
	ds_read_u16 v28, v9 offset:6
	v_fmac_f32_e32 v19, v27, v21
	s_waitcnt lgkmcnt(0)
	;;#ASMSTART
	v_cvt_f32_f16 v28, v28;
	;;#ASMEND
	s_waitcnt vmcnt(4)
	;;#ASMSTART
	v_cvt_f32_f16 v22, v22;
	;;#ASMEND
	ds_read_u16 v29, v9 offset:8
	;; [unrolled: 10-line block ×3, first 2 shown]
	v_fmac_f32_e32 v19, v29, v23
	s_waitcnt lgkmcnt(0)
	;;#ASMSTART
	v_cvt_f32_f16 v30, v30;
	;;#ASMEND
	s_waitcnt vmcnt(2)
	;;#ASMSTART
	v_cvt_f32_f16 v24, v24;
	;;#ASMEND
	v_cndmask_b32_e64 v31, v6, v13, s[6:7]
	v_fmac_f32_e32 v19, v30, v24
	ds_read_u16 v32, v9 offset:12
	s_waitcnt lgkmcnt(0)
	;;#ASMSTART
	v_cvt_f32_f16 v17, v32;
	;;#ASMEND
	s_waitcnt vmcnt(1)
	;;#ASMSTART
	v_cvt_f32_f16 v18, v25;
	;;#ASMEND
	v_lshlrev_b32_e32 v31, 2, v31
	v_fmac_f32_e32 v19, v17, v18
	ds_read_u16 v20, v9 offset:14
	s_waitcnt lgkmcnt(0)
	;;#ASMSTART
	v_cvt_f32_f16 v17, v20;
	;;#ASMEND
	s_waitcnt vmcnt(0)
	;;#ASMSTART
	v_cvt_f32_f16 v18, v26;
	;;#ASMEND
	v_cmp_lt_i32_e64 s[6:7], v14, v7
	v_fmac_f32_e32 v19, v17, v18
	ds_bpermute_b32 v17, v31, v19
	v_cndmask_b32_e64 v18, v6, v14, s[6:7]
	v_lshlrev_b32_e32 v18, 2, v18
	v_cmp_lt_i32_e64 s[6:7], v15, v7
	s_waitcnt lgkmcnt(0)
	v_add_f32_e32 v17, v19, v17
	ds_bpermute_b32 v18, v18, v17
	v_cndmask_b32_e64 v19, v6, v15, s[6:7]
	s_waitcnt lgkmcnt(0)
	v_add_f32_e32 v17, v17, v18
	v_lshlrev_b32_e32 v18, 2, v19
	ds_bpermute_b32 v18, v18, v17
	s_and_saveexec_b64 s[34:35], vcc
	s_cbranch_execz .LBB64_8
; %bb.10:                               ;   in Loop: Header=BB64_9 Depth=1
	v_add_u32_e32 v19, s15, v11
	v_cvt_f32_i32_e32 v19, v19
	s_waitcnt lgkmcnt(0)
	v_add_f32_e32 v17, v17, v18
	v_cmp_gt_i32_e64 s[6:7], s17, v11
	v_max_f32_e32 v18, v8, v8
	v_mul_f32_e32 v19, s10, v19
	v_cndmask_b32_e64 v19, 0, v19, s[0:1]
	v_fmac_f32_e32 v19, s11, v17
	v_cndmask_b32_e64 v17, 0, v19, s[6:7]
	ds_write_b32 v12, v17
	v_max_f32_e32 v17, v18, v19
	v_cndmask_b32_e64 v8, v8, v17, s[6:7]
	s_branch .LBB64_8
.LBB64_11:
	s_or_b64 exec, exec, s[30:31]
.LBB64_12:
	s_or_b64 exec, exec, s[28:29]
	v_xor_b32_e32 v2, 32, v6
	v_cmp_lt_i32_e32 vcc, v2, v7
	v_xor_b32_e32 v5, 16, v6
	v_max_f32_e32 v4, v8, v8
	v_cndmask_b32_e32 v2, v6, v2, vcc
	v_lshlrev_b32_e32 v3, 2, v2
	ds_bpermute_b32 v2, v3, v8
	v_cmp_lt_i32_e32 vcc, v5, v7
	v_xor_b32_e32 v8, 8, v6
	v_and_b32_e32 v12, 63, v0
	s_waitcnt lgkmcnt(0)
	v_max_f32_e32 v2, v2, v2
	v_max_f32_e32 v2, v4, v2
	v_cndmask_b32_e32 v4, v6, v5, vcc
	v_lshlrev_b32_e32 v5, 2, v4
	ds_bpermute_b32 v4, v5, v2
	v_cmp_lt_i32_e32 vcc, v8, v7
	s_waitcnt lgkmcnt(0)
	v_max_f32_e32 v4, v4, v4
	v_max_f32_e32 v4, v2, v4
	v_cndmask_b32_e32 v2, v6, v8, vcc
	v_lshlrev_b32_e32 v9, 2, v2
	ds_bpermute_b32 v8, v9, v4
	v_cmp_eq_u32_e32 vcc, 0, v12
	v_lshlrev_b32_e32 v2, 2, v1
	s_and_saveexec_b64 s[0:1], vcc
	s_cbranch_execz .LBB64_14
; %bb.13:
	s_waitcnt lgkmcnt(0)
	v_max_f32_e32 v8, v8, v8
	v_max_f32_e32 v4, v4, v4
	;; [unrolled: 1-line block ×3, first 2 shown]
	ds_write_b32 v2, v4 offset:128
.LBB64_14:
	s_or_b64 exec, exec, s[0:1]
	v_cmp_gt_u32_e64 s[0:1], 2, v12
	v_mov_b32_e32 v11, 0xff7fffff
	v_lshlrev_b32_e32 v4, 2, v12
	s_waitcnt lgkmcnt(0)
	s_barrier
	s_and_saveexec_b64 s[6:7], s[0:1]
	s_cbranch_execz .LBB64_16
; %bb.15:
	ds_read_b32 v11, v4 offset:128
.LBB64_16:
	s_or_b64 exec, exec, s[6:7]
	v_xor_b32_e32 v8, 1, v6
	v_cmp_lt_i32_e64 s[6:7], v8, v7
	v_lshlrev_b32_e32 v14, 2, v6
	s_nop 0
	v_cndmask_b32_e64 v8, v6, v8, s[6:7]
	v_lshlrev_b32_e32 v8, 2, v8
	s_waitcnt lgkmcnt(0)
	ds_bpermute_b32 v13, v8, v11
	v_max_f32_e32 v11, v11, v11
	s_lshl_b32 s6, s19, 3
	s_min_i32 s15, s6, s17
	v_cmp_gt_i32_e64 s[6:7], s15, v0
	s_waitcnt lgkmcnt(0)
	v_max_f32_e32 v13, v13, v13
	v_max_f32_e32 v13, v11, v13
	v_and_b32_e32 v11, 0xffffff00, v14
	ds_bpermute_b32 v14, v11, v13
	v_mov_b32_e32 v13, 0
	s_and_saveexec_b64 s[28:29], s[6:7]
	s_cbranch_execz .LBB64_20
; %bb.17:
	v_mov_b32_e32 v13, 0x90
	v_lshl_add_u32 v15, v0, 2, v13
	s_mov_b64 s[30:31], 0
	v_mov_b32_e32 v13, 0
	v_mov_b32_e32 v16, v0
.LBB64_18:                              ; =>This Inner Loop Header: Depth=1
	ds_read_b32 v17, v15
	v_add_u32_e32 v16, 0x80, v16
	v_cmp_le_i32_e64 s[10:11], s15, v16
	s_or_b64 s[30:31], s[10:11], s[30:31]
	s_waitcnt lgkmcnt(0)
	v_sub_f32_e32 v17, v17, v14
	v_mul_f32_e32 v17, 0x3fb8aa3b, v17
	v_exp_f32_e32 v17, v17
	ds_write_b32 v15, v17
	v_add_f32_e32 v13, v13, v17
	v_add_u32_e32 v15, 0x200, v15
	s_andn2_b64 exec, exec, s[30:31]
	s_cbranch_execnz .LBB64_18
; %bb.19:
	s_or_b64 exec, exec, s[30:31]
.LBB64_20:
	s_or_b64 exec, exec, s[28:29]
	ds_bpermute_b32 v3, v3, v13
	s_waitcnt lgkmcnt(0)
	v_add_f32_e32 v3, v13, v3
	ds_bpermute_b32 v5, v5, v3
	s_waitcnt lgkmcnt(0)
	v_add_f32_e32 v3, v3, v5
	ds_bpermute_b32 v5, v9, v3
	v_xor_b32_e32 v9, 4, v6
	v_cmp_lt_i32_e64 s[10:11], v9, v7
	s_waitcnt lgkmcnt(0)
	v_add_f32_e32 v3, v3, v5
	v_cndmask_b32_e64 v9, v6, v9, s[10:11]
	v_lshlrev_b32_e32 v9, 2, v9
	ds_bpermute_b32 v5, v9, v3
	v_xor_b32_e32 v9, 2, v6
	v_cmp_lt_i32_e64 s[10:11], v9, v7
	s_waitcnt lgkmcnt(0)
	v_add_f32_e32 v3, v3, v5
	v_cndmask_b32_e64 v6, v6, v9, s[10:11]
	v_lshlrev_b32_e32 v5, 2, v6
	ds_bpermute_b32 v5, v5, v3
	s_waitcnt lgkmcnt(0)
	v_add_f32_e32 v3, v3, v5
	ds_bpermute_b32 v5, v8, v3
	s_waitcnt lgkmcnt(0)
	v_add_f32_e32 v3, v3, v5
	s_and_saveexec_b64 s[10:11], vcc
	s_cbranch_execz .LBB64_22
; %bb.21:
	ds_write_b32 v2, v3 offset:136
.LBB64_22:
	s_or_b64 exec, exec, s[10:11]
	s_waitcnt lgkmcnt(0)
	s_barrier
	s_and_saveexec_b64 s[10:11], s[0:1]
	s_cbranch_execz .LBB64_24
; %bb.23:
	ds_read_b32 v3, v4 offset:136
.LBB64_24:
	s_or_b64 exec, exec, s[10:11]
	s_waitcnt lgkmcnt(0)
	ds_bpermute_b32 v2, v8, v3
	s_waitcnt lgkmcnt(0)
	v_add_f32_e32 v2, v3, v2
	ds_bpermute_b32 v2, v11, v2
	s_and_saveexec_b64 s[0:1], s[6:7]
	s_cbranch_execz .LBB64_37
; %bb.25:
	s_waitcnt lgkmcnt(0)
	v_add_f32_e32 v2, 0x358637bd, v2
	v_div_scale_f32 v3, s[6:7], v2, v2, 1.0
	v_rcp_f32_e32 v4, v3
	v_div_scale_f32 v5, vcc, 1.0, v2, 1.0
	s_movk_i32 s6, 0x7f
	v_fma_f32 v6, -v3, v4, 1.0
	v_fmac_f32_e32 v4, v6, v4
	v_mul_f32_e32 v6, v5, v4
	v_fma_f32 v7, -v3, v6, v5
	v_fmac_f32_e32 v6, v7, v4
	v_fma_f32 v3, -v3, v6, v5
	v_div_fmas_f32 v3, v3, v4, v6
	v_xad_u32 v4, v0, -1, s15
	v_div_fixup_f32 v2, v3, v2, 1.0
	v_cmp_lt_u32_e32 vcc, s6, v4
	s_mov_b64 s[10:11], -1
	v_mov_b32_e32 v3, v0
	s_and_saveexec_b64 s[6:7], vcc
	s_cbranch_execz .LBB64_34
; %bb.26:
	v_lshrrev_b32_e32 v4, 7, v4
	v_add_u32_e32 v6, -1, v4
	v_lshrrev_b32_e32 v5, 1, v6
	v_mov_b32_e32 v3, v2
	v_add_u32_e32 v5, 1, v5
	v_cmp_lt_u32_e32 vcc, 13, v6
	v_mov_b32_e32 v8, 0
	s_and_saveexec_b64 s[10:11], vcc
	s_cbranch_execz .LBB64_30
; %bb.27:
	v_mov_b32_e32 v7, 0x90
	v_and_b32_e32 v6, -8, v5
	v_lshl_add_u32 v7, v0, 2, v7
	s_mov_b32 s30, 0
	s_mov_b64 s[28:29], 0
.LBB64_28:                              ; =>This Inner Loop Header: Depth=1
	ds_read2st64_b32 v[8:9], v7 offset1:2
	ds_read2st64_b32 v[14:15], v7 offset0:4 offset1:6
	ds_read2st64_b32 v[16:17], v7 offset0:8 offset1:10
	;; [unrolled: 1-line block ×3, first 2 shown]
	v_add_u32_e32 v6, -8, v6
	s_waitcnt lgkmcnt(3)
	v_pk_mul_f32 v[8:9], v[2:3], v[8:9]
	s_waitcnt lgkmcnt(2)
	v_pk_mul_f32 v[14:15], v[2:3], v[14:15]
	ds_write2st64_b32 v7, v8, v9 offset1:2
	ds_write2st64_b32 v7, v14, v15 offset0:4 offset1:6
	ds_read2st64_b32 v[14:15], v7 offset0:16 offset1:18
	s_waitcnt lgkmcnt(4)
	v_pk_mul_f32 v[8:9], v[2:3], v[16:17]
	ds_write2st64_b32 v7, v8, v9 offset0:8 offset1:10
	s_waitcnt lgkmcnt(4)
	v_pk_mul_f32 v[8:9], v[2:3], v[18:19]
	ds_write2st64_b32 v7, v8, v9 offset0:12 offset1:14
	ds_read2st64_b32 v[8:9], v7 offset0:20 offset1:22
	s_waitcnt lgkmcnt(3)
	v_pk_mul_f32 v[14:15], v[2:3], v[14:15]
	ds_read2st64_b32 v[16:17], v7 offset0:24 offset1:26
	ds_write2st64_b32 v7, v14, v15 offset0:16 offset1:18
	ds_read2st64_b32 v[14:15], v7 offset0:28 offset1:30
	s_waitcnt lgkmcnt(3)
	v_pk_mul_f32 v[8:9], v[2:3], v[8:9]
	ds_write2st64_b32 v7, v8, v9 offset0:20 offset1:22
	s_waitcnt lgkmcnt(3)
	v_pk_mul_f32 v[8:9], v[2:3], v[16:17]
	ds_write2st64_b32 v7, v8, v9 offset0:24 offset1:26
	s_waitcnt lgkmcnt(2)
	v_pk_mul_f32 v[8:9], v[2:3], v[14:15]
	s_add_i32 s30, s30, 16
	v_cmp_eq_u32_e32 vcc, 0, v6
	ds_write2st64_b32 v7, v8, v9 offset0:28 offset1:30
	v_add_u32_e32 v7, 0x2000, v7
	s_or_b64 s[28:29], vcc, s[28:29]
	v_mov_b32_e32 v8, s30
	s_andn2_b64 exec, exec, s[28:29]
	s_cbranch_execnz .LBB64_28
; %bb.29:
	s_or_b64 exec, exec, s[28:29]
.LBB64_30:
	s_or_b64 exec, exec, s[10:11]
	v_and_b32_e32 v5, 7, v5
	v_cmp_ne_u32_e32 vcc, 0, v5
	s_and_saveexec_b64 s[10:11], vcc
	s_cbranch_execz .LBB64_33
; %bb.31:
	v_lshlrev_b32_e32 v6, 9, v8
	v_lshlrev_b32_e32 v7, 2, v0
	s_movk_i32 s28, 0x90
	v_add3_u32 v6, v6, v7, s28
	s_mov_b64 s[28:29], 0
.LBB64_32:                              ; =>This Inner Loop Header: Depth=1
	ds_read2st64_b32 v[8:9], v6 offset1:2
	v_add_u32_e32 v5, -1, v5
	v_cmp_eq_u32_e32 vcc, 0, v5
	s_or_b64 s[28:29], vcc, s[28:29]
	s_waitcnt lgkmcnt(0)
	v_pk_mul_f32 v[8:9], v[2:3], v[8:9]
	ds_write2st64_b32 v6, v8, v9 offset1:2
	v_add_u32_e32 v6, 0x400, v6
	s_andn2_b64 exec, exec, s[28:29]
	s_cbranch_execnz .LBB64_32
.LBB64_33:
	s_or_b64 exec, exec, s[10:11]
	v_add_u32_e32 v4, 1, v4
	v_and_b32_e32 v5, 0x3fffffe, v4
	v_cmp_ne_u32_e32 vcc, v4, v5
	v_lshl_add_u32 v3, v5, 7, v0
	s_orn2_b64 s[10:11], vcc, exec
.LBB64_34:
	s_or_b64 exec, exec, s[6:7]
	s_and_b64 exec, exec, s[10:11]
	s_cbranch_execz .LBB64_37
; %bb.35:
	v_mov_b32_e32 v4, 0x90
	v_lshl_add_u32 v4, v3, 2, v4
	s_mov_b64 s[6:7], 0
.LBB64_36:                              ; =>This Inner Loop Header: Depth=1
	ds_read_b32 v5, v4
	v_add_u32_e32 v3, 0x80, v3
	v_cmp_le_i32_e32 vcc, s15, v3
	s_or_b64 s[6:7], vcc, s[6:7]
	s_waitcnt lgkmcnt(0)
	v_mul_f32_e32 v5, v2, v5
	ds_write_b32 v4, v5
	v_add_u32_e32 v4, 0x200, v4
	s_andn2_b64 exec, exec, s[6:7]
	s_cbranch_execnz .LBB64_36
.LBB64_37:
	s_or_b64 exec, exec, s[0:1]
	v_mov_b32_e32 v7, 0
	s_waitcnt lgkmcnt(0)
	s_barrier
	s_and_saveexec_b64 s[0:1], s[2:3]
	s_cbranch_execz .LBB64_43
; %bb.38:
	s_ashr_i32 s15, s14, 31
	s_lshl_b64 s[2:3], s[14:15], 1
	s_add_u32 s2, s26, s2
	s_addc_u32 s3, s27, s3
	v_lshlrev_b32_e32 v6, 4, v12
	v_mov_b32_e32 v7, 0
	v_lshl_add_u64 v[8:9], s[2:3], 0, v[6:7]
	s_add_i32 s11, s19, -1
	s_lshl_b64 s[2:3], s[24:25], 2
	s_add_u32 s2, s22, s2
	v_mov_b32_e32 v2, 0x90
	v_and_b32_e32 v6, 60, v10
	s_addc_u32 s3, s23, s3
	s_mov_b32 s10, s13
	s_mov_b32 s13, s17
	;; [unrolled: 1-line block ×8, first 2 shown]
	v_lshlrev_b32_e32 v13, 3, v1
	v_lshl_add_u32 v14, v1, 5, v2
	v_lshl_add_u64 v[10:11], s[2:3], 0, v[6:7]
	s_mov_b64 s[2:3], 0
	s_mov_b32 s22, 0x5040100
	s_branch .LBB64_40
.LBB64_39:                              ;   in Loop: Header=BB64_40 Depth=1
	s_or_b64 exec, exec, s[6:7]
	v_and_b32_e32 v6, 0xffff, v6
	v_lshl_or_b32 v6, v15, 16, v6
	v_and_b32_e32 v15, 0xffff, v16
	v_lshl_or_b32 v15, v17, 16, v15
	v_and_b32_e32 v16, 0xffff, v18
	v_and_b32_e32 v17, 0xffff, v20
	s_waitcnt vmcnt(0)
	;;#ASMSTART
	v_pk_mul_f16 v2, v6, v2;

	;;#ASMEND
	v_lshl_or_b32 v16, v19, 16, v16
	v_lshl_or_b32 v17, v21, 16, v17
	;;#ASMSTART
	v_pk_mul_f16 v3, v15, v3;

	;;#ASMEND
	;;#ASMSTART
	v_pk_mul_f16 v4, v16, v4;

	;;#ASMEND
	;; [unrolled: 4-line block ×3, first 2 shown]
	v_add_u32_e32 v1, 2, v1
	;;#ASMSTART
	v_pk_add_f16 v2, v2, v3;

	;;#ASMEND
	v_cmp_le_i32_e32 vcc, s19, v1
	;;#ASMSTART
	v_pk_add_f16 v2, v2, v4;

	;;#ASMEND
	v_add_u32_e32 v13, 16, v13
	;;#ASMSTART
	v_pk_add_f16 v2, v2, v5;

	;;#ASMEND
	v_add_u32_e32 v14, 64, v14
	v_lshrrev_b32_e32 v3, 16, v2
	v_and_b32_e32 v2, 0xffff, v2
	;;#ASMSTART
	v_cvt_f32_f16 v2, v2;
	;;#ASMEND
	;;#ASMSTART
	v_cvt_f32_f16 v3, v3;
	;;#ASMEND
	s_or_b64 s[2:3], vcc, s[2:3]
	v_add_f32_e32 v2, v2, v3
	v_add_f32_e32 v7, v7, v2
	v_lshl_add_u64 v[10:11], v[10:11], 0, 8
	s_andn2_b64 exec, exec, s[2:3]
	s_cbranch_execz .LBB64_42
.LBB64_40:                              ; =>This Inner Loop Header: Depth=1
	global_load_dword v22, v[10:11], off
	ds_read2_b64 v[2:5], v14 offset1:1
	ds_read2_b64 v[18:21], v14 offset0:2 offset1:3
	v_cmp_eq_u32_e32 vcc, s11, v1
	s_waitcnt lgkmcnt(1)
	;;#ASMSTART
	v_cvt_f16_f32 v6, v2;

	;;#ASMEND
	;;#ASMSTART
	v_cvt_f16_f32 v15, v3;

	;;#ASMEND
	;; [unrolled: 4-line block ×4, first 2 shown]
	s_waitcnt lgkmcnt(0)
	;;#ASMSTART
	v_cvt_f16_f32 v18, v18;

	;;#ASMEND
	;;#ASMSTART
	v_cvt_f16_f32 v19, v19;

	;;#ASMEND
	;;#ASMSTART
	v_cvt_f16_f32 v20, v20;

	;;#ASMEND
	;;#ASMSTART
	v_cvt_f16_f32 v21, v21;

	;;#ASMEND
	s_waitcnt vmcnt(0)
	v_mad_i64_i32 v[2:3], s[6:7], v22, s10, 0
	v_lshl_add_u64 v[2:3], v[2:3], 1, v[8:9]
	global_load_dwordx4 v[2:5], v[2:3], off
	s_and_saveexec_b64 s[6:7], vcc
	s_cbranch_execz .LBB64_39
; %bb.41:                               ;   in Loop: Header=BB64_40 Depth=1
	v_or_b32_e32 v27, 7, v13
	v_or_b32_e32 v28, 6, v13
	s_waitcnt vmcnt(0)
	v_lshrrev_b32_e32 v29, 16, v5
	v_cmp_gt_i32_e32 vcc, s29, v27
	v_or_b32_e32 v25, 5, v13
	v_or_b32_e32 v26, 4, v13
	v_cndmask_b32_e32 v27, 0, v29, vcc
	v_cmp_gt_i32_e32 vcc, s28, v28
	v_or_b32_e32 v23, 3, v13
	v_or_b32_e32 v24, 2, v13
	v_cndmask_b32_e32 v5, 0, v5, vcc
	v_perm_b32 v5, v27, v5, s22
	v_lshrrev_b32_e32 v27, 16, v4
	v_cmp_gt_i32_e32 vcc, s27, v25
	v_add_u32_e32 v22, 1, v13
	s_nop 0
	v_cndmask_b32_e32 v25, 0, v27, vcc
	v_cmp_gt_i32_e32 vcc, s26, v26
	s_nop 1
	v_cndmask_b32_e32 v4, 0, v4, vcc
	v_perm_b32 v4, v25, v4, s22
	v_lshrrev_b32_e32 v25, 16, v3
	v_cmp_gt_i32_e32 vcc, s15, v23
	s_nop 1
	v_cndmask_b32_e32 v23, 0, v25, vcc
	v_cmp_gt_i32_e32 vcc, s14, v24
	s_nop 1
	v_cndmask_b32_e32 v3, 0, v3, vcc
	v_perm_b32 v3, v23, v3, s22
	v_lshrrev_b32_e32 v23, 16, v2
	v_cmp_gt_i32_e32 vcc, s13, v22
	s_nop 1
	v_cndmask_b32_e32 v22, 0, v23, vcc
	v_cmp_gt_i32_e32 vcc, s17, v13
	s_nop 1
	v_cndmask_b32_e32 v2, 0, v2, vcc
	v_perm_b32 v2, v22, v2, s22
	s_branch .LBB64_39
.LBB64_42:
	s_or_b64 exec, exec, s[2:3]
.LBB64_43:
	s_or_b64 exec, exec, s[0:1]
	v_and_b32_e32 v0, 0x3c0, v0
	v_cmp_eq_u32_e32 vcc, 64, v0
	s_barrier
	s_and_saveexec_b64 s[0:1], vcc
	s_cbranch_execz .LBB64_45
; %bb.44:
	v_mov_b32_e32 v0, 0x90
	v_lshl_add_u32 v0, v12, 2, v0
	ds_write_b32 v0, v7
.LBB64_45:
	s_or_b64 exec, exec, s[0:1]
	s_waitcnt lgkmcnt(0)
	s_barrier
	s_and_saveexec_b64 s[0:1], s[8:9]
	s_cbranch_execz .LBB64_47
; %bb.46:
	v_mov_b32_e32 v0, 0x90
	v_lshl_add_u32 v0, v12, 2, v0
	ds_read_b32 v0, v0
	s_waitcnt lgkmcnt(0)
	v_add_f32_e32 v7, v7, v0
.LBB64_47:
	s_or_b64 exec, exec, s[0:1]
	s_barrier
	s_and_saveexec_b64 s[0:1], s[8:9]
	s_cbranch_execz .LBB64_49
; %bb.48:
	s_mul_i32 s0, s16, s12
	s_mul_i32 s0, s0, s5
	s_lshl_b32 s0, s0, 6
	s_ashr_i32 s1, s0, 31
	s_lshl_b64 s[0:1], s[0:1], 1
	s_add_u32 s2, s20, s0
	s_mul_i32 s0, s12, s18
	s_addc_u32 s3, s21, s1
	s_ashr_i32 s1, s0, 31
	s_lshl_b64 s[0:1], s[0:1], 1
	s_add_u32 s2, s2, s0
	s_addc_u32 s3, s3, s1
	s_lshl_b32 s0, s4, 6
	s_ashr_i32 s1, s0, 31
	s_lshl_b64 s[0:1], s[0:1], 1
	s_add_u32 s0, s2, s0
	s_addc_u32 s1, s3, s1
	v_lshlrev_b32_e32 v0, 1, v12
	;;#ASMSTART
	v_cvt_f16_f32 v1, v7;

	;;#ASMEND
	global_store_short v0, v1, s[0:1]
.LBB64_49:
	s_endpgm
	.section	.rodata,"a",@progbits
	.p2align	6, 0x0
	.amdhsa_kernel _ZN4vllm25paged_attention_v1_kernelIttLi64ELi8ELi128ELNS_18Fp8KVCacheDataTypeE0ELb0EEEvPT_PKS2_PKT0_S8_ifPKiSA_iPKfiiiSC_SC_iiiii
		.amdhsa_group_segment_fixed_size 144
		.amdhsa_private_segment_fixed_size 0
		.amdhsa_kernarg_size 384
		.amdhsa_user_sgpr_count 2
		.amdhsa_user_sgpr_dispatch_ptr 0
		.amdhsa_user_sgpr_queue_ptr 0
		.amdhsa_user_sgpr_kernarg_segment_ptr 1
		.amdhsa_user_sgpr_dispatch_id 0
		.amdhsa_user_sgpr_kernarg_preload_length 0
		.amdhsa_user_sgpr_kernarg_preload_offset 0
		.amdhsa_user_sgpr_private_segment_size 0
		.amdhsa_uses_dynamic_stack 0
		.amdhsa_enable_private_segment 0
		.amdhsa_system_sgpr_workgroup_id_x 1
		.amdhsa_system_sgpr_workgroup_id_y 1
		.amdhsa_system_sgpr_workgroup_id_z 1
		.amdhsa_system_sgpr_workgroup_info 0
		.amdhsa_system_vgpr_workitem_id 0
		.amdhsa_next_free_vgpr 33
		.amdhsa_next_free_sgpr 36
		.amdhsa_accum_offset 36
		.amdhsa_reserve_vcc 1
		.amdhsa_float_round_mode_32 0
		.amdhsa_float_round_mode_16_64 0
		.amdhsa_float_denorm_mode_32 3
		.amdhsa_float_denorm_mode_16_64 3
		.amdhsa_dx10_clamp 1
		.amdhsa_ieee_mode 1
		.amdhsa_fp16_overflow 0
		.amdhsa_tg_split 0
		.amdhsa_exception_fp_ieee_invalid_op 0
		.amdhsa_exception_fp_denorm_src 0
		.amdhsa_exception_fp_ieee_div_zero 0
		.amdhsa_exception_fp_ieee_overflow 0
		.amdhsa_exception_fp_ieee_underflow 0
		.amdhsa_exception_fp_ieee_inexact 0
		.amdhsa_exception_int_div_zero 0
	.end_amdhsa_kernel
	.section	.text._ZN4vllm25paged_attention_v1_kernelIttLi64ELi8ELi128ELNS_18Fp8KVCacheDataTypeE0ELb0EEEvPT_PKS2_PKT0_S8_ifPKiSA_iPKfiiiSC_SC_iiiii,"axG",@progbits,_ZN4vllm25paged_attention_v1_kernelIttLi64ELi8ELi128ELNS_18Fp8KVCacheDataTypeE0ELb0EEEvPT_PKS2_PKT0_S8_ifPKiSA_iPKfiiiSC_SC_iiiii,comdat
.Lfunc_end64:
	.size	_ZN4vllm25paged_attention_v1_kernelIttLi64ELi8ELi128ELNS_18Fp8KVCacheDataTypeE0ELb0EEEvPT_PKS2_PKT0_S8_ifPKiSA_iPKfiiiSC_SC_iiiii, .Lfunc_end64-_ZN4vllm25paged_attention_v1_kernelIttLi64ELi8ELi128ELNS_18Fp8KVCacheDataTypeE0ELb0EEEvPT_PKS2_PKT0_S8_ifPKiSA_iPKfiiiSC_SC_iiiii
                                        ; -- End function
	.section	.AMDGPU.csdata,"",@progbits
; Kernel info:
; codeLenInByte = 3608
; NumSgprs: 42
; NumVgprs: 33
; NumAgprs: 0
; TotalNumVgprs: 33
; ScratchSize: 0
; MemoryBound: 0
; FloatMode: 240
; IeeeMode: 1
; LDSByteSize: 144 bytes/workgroup (compile time only)
; SGPRBlocks: 5
; VGPRBlocks: 4
; NumSGPRsForWavesPerEU: 42
; NumVGPRsForWavesPerEU: 33
; AccumOffset: 36
; Occupancy: 8
; WaveLimiterHint : 1
; COMPUTE_PGM_RSRC2:SCRATCH_EN: 0
; COMPUTE_PGM_RSRC2:USER_SGPR: 2
; COMPUTE_PGM_RSRC2:TRAP_HANDLER: 0
; COMPUTE_PGM_RSRC2:TGID_X_EN: 1
; COMPUTE_PGM_RSRC2:TGID_Y_EN: 1
; COMPUTE_PGM_RSRC2:TGID_Z_EN: 1
; COMPUTE_PGM_RSRC2:TIDIG_COMP_CNT: 0
; COMPUTE_PGM_RSRC3_GFX90A:ACCUM_OFFSET: 8
; COMPUTE_PGM_RSRC3_GFX90A:TG_SPLIT: 0
	.section	.text._ZN4vllm25paged_attention_v1_kernelIttLi80ELi8ELi128ELNS_18Fp8KVCacheDataTypeE0ELb0EEEvPT_PKS2_PKT0_S8_ifPKiSA_iPKfiiiSC_SC_iiiii,"axG",@progbits,_ZN4vllm25paged_attention_v1_kernelIttLi80ELi8ELi128ELNS_18Fp8KVCacheDataTypeE0ELb0EEEvPT_PKS2_PKT0_S8_ifPKiSA_iPKfiiiSC_SC_iiiii,comdat
	.protected	_ZN4vllm25paged_attention_v1_kernelIttLi80ELi8ELi128ELNS_18Fp8KVCacheDataTypeE0ELb0EEEvPT_PKS2_PKT0_S8_ifPKiSA_iPKfiiiSC_SC_iiiii ; -- Begin function _ZN4vllm25paged_attention_v1_kernelIttLi80ELi8ELi128ELNS_18Fp8KVCacheDataTypeE0ELb0EEEvPT_PKS2_PKT0_S8_ifPKiSA_iPKfiiiSC_SC_iiiii
	.globl	_ZN4vllm25paged_attention_v1_kernelIttLi80ELi8ELi128ELNS_18Fp8KVCacheDataTypeE0ELb0EEEvPT_PKS2_PKT0_S8_ifPKiSA_iPKfiiiSC_SC_iiiii
	.p2align	8
	.type	_ZN4vllm25paged_attention_v1_kernelIttLi80ELi8ELi128ELNS_18Fp8KVCacheDataTypeE0ELb0EEEvPT_PKS2_PKT0_S8_ifPKiSA_iPKfiiiSC_SC_iiiii,@function
_ZN4vllm25paged_attention_v1_kernelIttLi80ELi8ELi128ELNS_18Fp8KVCacheDataTypeE0ELb0EEEvPT_PKS2_PKT0_S8_ifPKiSA_iPKfiiiSC_SC_iiiii: ; @_ZN4vllm25paged_attention_v1_kernelIttLi80ELi8ELi128ELNS_18Fp8KVCacheDataTypeE0ELb0EEEvPT_PKS2_PKT0_S8_ifPKiSA_iPKfiiiSC_SC_iiiii
; %bb.0:
	s_load_dword s5, s[0:1], 0x80
	s_load_dwordx2 s[6:7], s[0:1], 0x30
	s_load_dwordx2 s[10:11], s[0:1], 0x20
	s_mov_b32 s16, s3
	s_ashr_i32 s17, s3, 31
	s_lshl_b64 s[8:9], s[16:17], 2
	s_waitcnt lgkmcnt(0)
	s_add_u32 s6, s6, s8
	s_addc_u32 s7, s7, s9
	s_abs_i32 s3, s10
	v_cvt_f32_u32_e32 v1, s3
	s_xor_b32 s8, s5, s10
	s_sub_i32 s10, 0, s3
	s_abs_i32 s9, s5
	v_rcp_iflag_f32_e32 v1, v1
	s_ashr_i32 s8, s8, 31
	v_mul_f32_e32 v1, 0x4f7ffffe, v1
	v_cvt_u32_f32_e32 v1, v1
	s_nop 0
	v_readfirstlane_b32 s12, v1
	s_mul_i32 s10, s10, s12
	s_mul_hi_u32 s10, s12, s10
	s_add_i32 s12, s12, s10
	s_mul_hi_u32 s10, s9, s12
	s_mul_i32 s12, s10, s3
	s_sub_i32 s9, s9, s12
	s_add_i32 s12, s10, 1
	s_sub_i32 s13, s9, s3
	s_cmp_ge_u32 s9, s3
	s_cselect_b32 s10, s12, s10
	s_cselect_b32 s9, s13, s9
	s_add_i32 s12, s10, 1
	s_cmp_ge_u32 s9, s3
	s_cselect_b32 s3, s12, s10
	s_xor_b32 s3, s3, s8
	s_sub_i32 s12, s3, s8
	s_abs_i32 s20, s12
	v_cvt_f32_u32_e32 v1, s20
	s_load_dwordx2 s[8:9], s[0:1], 0x40
	s_sub_i32 s3, 0, s20
	s_abs_i32 s21, s2
	v_rcp_iflag_f32_e32 v1, v1
	s_mov_b32 s10, 0
	v_mul_f32_e32 v1, 0x4f7ffffe, v1
	v_cvt_u32_f32_e32 v1, v1
	s_nop 0
	v_readfirstlane_b32 s13, v1
	s_mul_i32 s3, s3, s13
	s_mul_hi_u32 s3, s13, s3
	s_add_i32 s13, s13, s3
	s_waitcnt lgkmcnt(0)
	s_cmp_eq_u64 s[8:9], 0
	s_mul_hi_u32 s24, s21, s13
	s_cbranch_scc1 .LBB65_2
; %bb.1:
	s_ashr_i32 s3, s2, 31
	s_lshl_b64 s[14:15], s[2:3], 2
	s_add_u32 s8, s8, s14
	s_addc_u32 s9, s9, s15
	s_load_dword s10, s[8:9], 0x0
.LBB65_2:
	s_load_dword s17, s[6:7], 0x0
	s_ashr_i32 s7, s12, 31
	s_load_dwordx4 s[12:15], s[0:1], 0x48
	s_movk_i32 s3, 0x50
	s_ashr_i32 s6, s2, 31
	v_and_b32_e32 v4, 7, v0
	s_mul_i32 s18, s2, 0x50
	v_cmp_gt_u32_e64 s[8:9], s3, v0
	v_lshlrev_b32_e32 v6, 1, v0
	s_and_saveexec_b64 s[2:3], s[8:9]
	s_cbranch_execz .LBB65_4
; %bb.3:
	s_load_dwordx2 s[22:23], s[0:1], 0x8
	s_waitcnt lgkmcnt(0)
	s_mul_i32 s26, s16, s12
	s_ashr_i32 s27, s26, 31
	s_lshl_b64 s[26:27], s[26:27], 1
	v_lshrrev_b32_e32 v2, 2, v0
	s_add_u32 s12, s22, s26
	s_addc_u32 s15, s23, s27
	s_ashr_i32 s19, s18, 31
	s_lshl_b64 s[22:23], s[18:19], 1
	s_add_u32 s22, s12, s22
	s_addc_u32 s23, s15, s23
	global_load_ushort v1, v6, s[22:23]
	v_and_b32_e32 v2, 0xfe, v2
	v_mad_u32_u24 v2, v4, 20, v2
	s_waitcnt vmcnt(0)
	ds_write_b16 v2, v1
.LBB65_4:
	s_or_b64 exec, exec, s[2:3]
	s_waitcnt lgkmcnt(0)
	s_add_i32 s3, s17, 7
	s_ashr_i32 s12, s3, 31
	s_lshr_b32 s12, s12, 29
	s_add_i32 s3, s3, s12
	s_ashr_i32 s33, s3, 3
	s_xor_b32 s3, s6, s7
	s_mul_i32 s6, s24, s20
	s_sub_i32 s6, s21, s6
	s_add_i32 s7, s24, 1
	s_sub_i32 s12, s6, s20
	s_load_dwordx2 s[22:23], s[0:1], 0x28
	s_load_dword s2, s[0:1], 0x38
	s_cmp_ge_u32 s6, s20
	s_cselect_b32 s7, s7, s24
	s_cselect_b32 s6, s12, s6
	s_add_i32 s12, s7, 1
	s_cmp_ge_u32 s6, s20
	s_cselect_b32 s6, s12, s7
	v_lshrrev_b32_e32 v1, 6, v0
	s_xor_b32 s6, s6, s3
	s_waitcnt lgkmcnt(0)
	s_mul_i32 s24, s16, s2
	s_sub_i32 s12, s6, s3
	s_ashr_i32 s25, s24, 31
	v_cmp_gt_i32_e64 s[2:3], s33, v1
	v_cmp_le_i32_e32 vcc, s33, v1
	v_mbcnt_lo_u32_b32 v14, -1, 0
	s_barrier
	s_waitcnt lgkmcnt(0)
                                        ; implicit-def: $sgpr15
                                        ; implicit-def: $vgpr8
                                        ; implicit-def: $vgpr9
	s_and_saveexec_b64 s[6:7], vcc
	s_xor_b64 s[6:7], exec, s[6:7]
; %bb.5:
	v_mbcnt_hi_u32_b32 v8, -1, v14
	v_and_b32_e32 v2, 64, v8
	v_add_u32_e32 v9, 64, v2
	s_mov_b32 s15, 0xff7fffff
                                        ; implicit-def: $vgpr4
                                        ; implicit-def: $vgpr14
; %bb.6:
	s_or_saveexec_b64 s[28:29], s[6:7]
	s_load_dwordx2 s[20:21], s[0:1], 0x0
	s_load_dwordx2 s[26:27], s[0:1], 0x18
	s_load_dword s19, s[0:1], 0x88
	v_mov_b32_e32 v7, s15
	s_mul_i32 s14, s12, s14
	v_lshrrev_b32_e32 v10, 4, v0
	s_xor_b64 exec, exec, s[28:29]
	s_cbranch_execz .LBB65_12
; %bb.7:
	s_load_dwordx2 s[0:1], s[0:1], 0x10
	s_ashr_i32 s15, s14, 31
	s_lshl_b64 s[6:7], s[14:15], 1
	v_bfe_u32 v5, v0, 3, 3
	v_lshlrev_b32_e32 v8, 4, v5
	s_waitcnt lgkmcnt(0)
	s_add_u32 s0, s0, s6
	s_addc_u32 s1, s1, s7
	v_mov_b32_e32 v9, 0
	s_sub_i32 s15, 1, s17
	s_lshl_b64 s[6:7], s[24:25], 2
	v_lshl_add_u64 v[2:3], s[0:1], 0, v[8:9]
	v_lshlrev_b32_e32 v8, 1, v4
	v_mul_u32_u24_e32 v11, 20, v4
	v_cmp_eq_u32_e32 vcc, 0, v4
	v_lshlrev_b32_e32 v4, 2, v5
	s_add_u32 s6, s22, s6
	v_lshl_add_u64 v[2:3], v[2:3], 0, v[8:9]
	v_lshl_or_b32 v4, v1, 5, v4
	v_and_b32_e32 v8, 60, v10
	s_addc_u32 s7, s23, s7
	v_lshl_or_b32 v12, v1, 3, v5
	v_add_u32_e32 v13, 0xb0, v4
	v_lshl_add_u64 v[4:5], s[6:7], 0, v[8:9]
	v_mbcnt_hi_u32_b32 v8, -1, v14
	v_and_b32_e32 v9, 64, v8
	s_mov_b32 s12, s13
	v_cmp_neq_f32_e64 s[0:1], s10, 0
	s_mov_b64 s[30:31], 0
	v_mov_b32_e32 v7, 0xff7fffff
	v_add_u32_e32 v9, 64, v9
	v_xor_b32_e32 v14, 4, v8
	v_xor_b32_e32 v15, 2, v8
	;; [unrolled: 1-line block ×3, first 2 shown]
	v_mov_b32_e32 v17, v1
	s_branch .LBB65_9
.LBB65_8:                               ;   in Loop: Header=BB65_9 Depth=1
	s_or_b64 exec, exec, s[34:35]
	v_add_u32_e32 v17, 2, v17
	v_cmp_le_i32_e64 s[6:7], s33, v17
	v_add_u32_e32 v12, 16, v12
	v_add_u32_e32 v13, 64, v13
	s_or_b64 s[30:31], s[6:7], s[30:31]
	v_lshl_add_u64 v[4:5], v[4:5], 0, 8
	s_andn2_b64 exec, exec, s[30:31]
	s_cbranch_execz .LBB65_11
.LBB65_9:                               ; =>This Inner Loop Header: Depth=1
	global_load_dword v18, v[4:5], off
	s_waitcnt vmcnt(0) lgkmcnt(0)
	v_mad_i64_i32 v[18:19], s[6:7], v18, s12, 0
	v_lshl_add_u64 v[18:19], v[18:19], 1, v[2:3]
	global_load_ushort v20, v[18:19], off
	global_load_ushort v21, v[18:19], off offset:128
	global_load_ushort v22, v[18:19], off offset:256
	;; [unrolled: 1-line block ×9, first 2 shown]
	ds_read_u16 v18, v11
	s_waitcnt lgkmcnt(0)
	;;#ASMSTART
	v_cvt_f32_f16 v18, v18;
	;;#ASMEND
	v_cmp_lt_i32_e64 s[6:7], v14, v9
	s_waitcnt vmcnt(9)
	;;#ASMSTART
	v_cvt_f32_f16 v19, v20;
	;;#ASMEND
	ds_read_u16 v20, v11 offset:2
	s_waitcnt lgkmcnt(0)
	;;#ASMSTART
	v_cvt_f32_f16 v20, v20;
	;;#ASMEND
	s_waitcnt vmcnt(8)
	;;#ASMSTART
	v_cvt_f32_f16 v21, v21;
	;;#ASMEND
	ds_read_u16 v30, v11 offset:4
	v_mul_f32_e32 v20, v20, v21
	v_fmac_f32_e32 v20, v18, v19
	s_waitcnt lgkmcnt(0)
	;;#ASMSTART
	v_cvt_f32_f16 v30, v30;
	;;#ASMEND
	s_waitcnt vmcnt(7)
	;;#ASMSTART
	v_cvt_f32_f16 v22, v22;
	;;#ASMEND
	ds_read_u16 v31, v11 offset:6
	v_fmac_f32_e32 v20, v30, v22
	s_waitcnt lgkmcnt(0)
	;;#ASMSTART
	v_cvt_f32_f16 v31, v31;
	;;#ASMEND
	s_waitcnt vmcnt(6)
	;;#ASMSTART
	v_cvt_f32_f16 v23, v23;
	;;#ASMEND
	ds_read_u16 v32, v11 offset:8
	;; [unrolled: 10-line block ×5, first 2 shown]
	v_fmac_f32_e32 v20, v34, v26
	s_waitcnt lgkmcnt(0)
	;;#ASMSTART
	v_cvt_f32_f16 v21, v35;
	;;#ASMEND
	s_waitcnt vmcnt(2)
	;;#ASMSTART
	v_cvt_f32_f16 v27, v27;
	;;#ASMEND
	v_cndmask_b32_e64 v36, v8, v14, s[6:7]
	v_fmac_f32_e32 v20, v21, v27
	ds_read_u16 v35, v11 offset:16
	s_waitcnt lgkmcnt(0)
	;;#ASMSTART
	v_cvt_f32_f16 v18, v35;
	;;#ASMEND
	s_waitcnt vmcnt(1)
	;;#ASMSTART
	v_cvt_f32_f16 v19, v28;
	;;#ASMEND
	v_lshlrev_b32_e32 v36, 2, v36
	v_fmac_f32_e32 v20, v18, v19
	ds_read_u16 v22, v11 offset:18
	s_waitcnt lgkmcnt(0)
	;;#ASMSTART
	v_cvt_f32_f16 v18, v22;
	;;#ASMEND
	s_waitcnt vmcnt(0)
	;;#ASMSTART
	v_cvt_f32_f16 v19, v29;
	;;#ASMEND
	v_cmp_lt_i32_e64 s[6:7], v15, v9
	v_fmac_f32_e32 v20, v18, v19
	ds_bpermute_b32 v18, v36, v20
	v_cndmask_b32_e64 v19, v8, v15, s[6:7]
	v_lshlrev_b32_e32 v19, 2, v19
	v_cmp_lt_i32_e64 s[6:7], v16, v9
	s_waitcnt lgkmcnt(0)
	v_add_f32_e32 v18, v20, v18
	ds_bpermute_b32 v19, v19, v18
	v_cndmask_b32_e64 v20, v8, v16, s[6:7]
	s_waitcnt lgkmcnt(0)
	v_add_f32_e32 v18, v18, v19
	v_lshlrev_b32_e32 v19, 2, v20
	ds_bpermute_b32 v19, v19, v18
	s_and_saveexec_b64 s[34:35], vcc
	s_cbranch_execz .LBB65_8
; %bb.10:                               ;   in Loop: Header=BB65_9 Depth=1
	v_add_u32_e32 v20, s15, v12
	v_cvt_f32_i32_e32 v20, v20
	s_waitcnt lgkmcnt(0)
	v_add_f32_e32 v18, v18, v19
	v_cmp_gt_i32_e64 s[6:7], s17, v12
	v_max_f32_e32 v19, v7, v7
	v_mul_f32_e32 v20, s10, v20
	v_cndmask_b32_e64 v20, 0, v20, s[0:1]
	v_fmac_f32_e32 v20, s11, v18
	v_cndmask_b32_e64 v18, 0, v20, s[6:7]
	ds_write_b32 v13, v18
	v_max_f32_e32 v18, v19, v20
	v_cndmask_b32_e64 v7, v7, v18, s[6:7]
	s_branch .LBB65_8
.LBB65_11:
	s_or_b64 exec, exec, s[30:31]
.LBB65_12:
	s_or_b64 exec, exec, s[28:29]
	v_xor_b32_e32 v2, 32, v8
	v_cmp_lt_i32_e32 vcc, v2, v9
	v_xor_b32_e32 v5, 16, v8
	v_max_f32_e32 v4, v7, v7
	v_cndmask_b32_e32 v2, v8, v2, vcc
	v_lshlrev_b32_e32 v3, 2, v2
	ds_bpermute_b32 v2, v3, v7
	v_cmp_lt_i32_e32 vcc, v5, v9
	v_xor_b32_e32 v7, 8, v8
	s_waitcnt lgkmcnt(0)
	v_max_f32_e32 v2, v2, v2
	v_max_f32_e32 v2, v4, v2
	v_cndmask_b32_e32 v4, v8, v5, vcc
	v_lshlrev_b32_e32 v5, 2, v4
	ds_bpermute_b32 v4, v5, v2
	v_cmp_lt_i32_e32 vcc, v7, v9
	s_waitcnt lgkmcnt(0)
	v_max_f32_e32 v4, v4, v4
	v_max_f32_e32 v4, v2, v4
	v_cndmask_b32_e32 v2, v8, v7, vcc
	v_lshlrev_b32_e32 v12, 2, v2
	ds_bpermute_b32 v11, v12, v4
	v_and_b32_e32 v7, 63, v0
	v_cmp_eq_u32_e32 vcc, 0, v7
	v_lshlrev_b32_e32 v2, 2, v1
	s_and_saveexec_b64 s[0:1], vcc
	s_cbranch_execz .LBB65_14
; %bb.13:
	s_waitcnt lgkmcnt(0)
	v_max_f32_e32 v11, v11, v11
	v_max_f32_e32 v4, v4, v4
	;; [unrolled: 1-line block ×3, first 2 shown]
	ds_write_b32 v2, v4 offset:160
.LBB65_14:
	s_or_b64 exec, exec, s[0:1]
	v_cmp_gt_u32_e64 s[0:1], 2, v7
	v_mov_b32_e32 v13, 0xff7fffff
	v_lshlrev_b32_e32 v4, 2, v7
	s_waitcnt lgkmcnt(0)
	s_barrier
	s_and_saveexec_b64 s[6:7], s[0:1]
	s_cbranch_execz .LBB65_16
; %bb.15:
	ds_read_b32 v13, v4 offset:160
.LBB65_16:
	s_or_b64 exec, exec, s[6:7]
	v_xor_b32_e32 v11, 1, v8
	v_cmp_lt_i32_e64 s[6:7], v11, v9
	v_lshlrev_b32_e32 v15, 2, v8
	s_nop 0
	v_cndmask_b32_e64 v11, v8, v11, s[6:7]
	v_lshlrev_b32_e32 v11, 2, v11
	s_waitcnt lgkmcnt(0)
	ds_bpermute_b32 v14, v11, v13
	v_max_f32_e32 v13, v13, v13
	s_lshl_b32 s6, s33, 3
	s_min_i32 s12, s6, s17
	v_cmp_gt_i32_e64 s[6:7], s12, v0
	s_waitcnt lgkmcnt(0)
	v_max_f32_e32 v14, v14, v14
	v_max_f32_e32 v14, v13, v14
	v_and_b32_e32 v13, 0xffffff00, v15
	ds_bpermute_b32 v15, v13, v14
	v_mov_b32_e32 v14, 0
	s_and_saveexec_b64 s[28:29], s[6:7]
	s_cbranch_execz .LBB65_20
; %bb.17:
	v_mov_b32_e32 v14, 0xb0
	v_lshl_add_u32 v16, v0, 2, v14
	s_mov_b64 s[30:31], 0
	v_mov_b32_e32 v14, 0
	v_mov_b32_e32 v17, v0
.LBB65_18:                              ; =>This Inner Loop Header: Depth=1
	ds_read_b32 v18, v16
	v_add_u32_e32 v17, 0x80, v17
	v_cmp_le_i32_e64 s[10:11], s12, v17
	s_or_b64 s[30:31], s[10:11], s[30:31]
	s_waitcnt lgkmcnt(0)
	v_sub_f32_e32 v18, v18, v15
	v_mul_f32_e32 v18, 0x3fb8aa3b, v18
	v_exp_f32_e32 v18, v18
	ds_write_b32 v16, v18
	v_add_f32_e32 v14, v14, v18
	v_add_u32_e32 v16, 0x200, v16
	s_andn2_b64 exec, exec, s[30:31]
	s_cbranch_execnz .LBB65_18
; %bb.19:
	s_or_b64 exec, exec, s[30:31]
.LBB65_20:
	s_or_b64 exec, exec, s[28:29]
	ds_bpermute_b32 v3, v3, v14
	s_waitcnt lgkmcnt(0)
	v_add_f32_e32 v3, v14, v3
	ds_bpermute_b32 v5, v5, v3
	s_waitcnt lgkmcnt(0)
	v_add_f32_e32 v3, v3, v5
	ds_bpermute_b32 v5, v12, v3
	v_xor_b32_e32 v12, 4, v8
	v_cmp_lt_i32_e64 s[10:11], v12, v9
	s_waitcnt lgkmcnt(0)
	v_add_f32_e32 v3, v3, v5
	v_cndmask_b32_e64 v12, v8, v12, s[10:11]
	v_lshlrev_b32_e32 v12, 2, v12
	ds_bpermute_b32 v5, v12, v3
	v_xor_b32_e32 v12, 2, v8
	v_cmp_lt_i32_e64 s[10:11], v12, v9
	s_waitcnt lgkmcnt(0)
	v_add_f32_e32 v3, v3, v5
	v_cndmask_b32_e64 v8, v8, v12, s[10:11]
	v_lshlrev_b32_e32 v5, 2, v8
	ds_bpermute_b32 v5, v5, v3
	s_waitcnt lgkmcnt(0)
	v_add_f32_e32 v3, v3, v5
	ds_bpermute_b32 v5, v11, v3
	s_waitcnt lgkmcnt(0)
	v_add_f32_e32 v3, v3, v5
	s_and_saveexec_b64 s[10:11], vcc
	s_cbranch_execz .LBB65_22
; %bb.21:
	ds_write_b32 v2, v3 offset:168
.LBB65_22:
	s_or_b64 exec, exec, s[10:11]
	s_waitcnt lgkmcnt(0)
	s_barrier
	s_and_saveexec_b64 s[10:11], s[0:1]
	s_cbranch_execz .LBB65_24
; %bb.23:
	ds_read_b32 v3, v4 offset:168
.LBB65_24:
	s_or_b64 exec, exec, s[10:11]
	s_waitcnt lgkmcnt(0)
	ds_bpermute_b32 v2, v11, v3
	s_waitcnt lgkmcnt(0)
	v_add_f32_e32 v2, v3, v2
	ds_bpermute_b32 v2, v13, v2
	s_and_saveexec_b64 s[0:1], s[6:7]
	s_cbranch_execz .LBB65_37
; %bb.25:
	s_waitcnt lgkmcnt(0)
	v_add_f32_e32 v2, 0x358637bd, v2
	v_div_scale_f32 v3, s[6:7], v2, v2, 1.0
	v_rcp_f32_e32 v4, v3
	v_div_scale_f32 v5, vcc, 1.0, v2, 1.0
	s_movk_i32 s6, 0x7f
	v_fma_f32 v8, -v3, v4, 1.0
	v_fmac_f32_e32 v4, v8, v4
	v_mul_f32_e32 v8, v5, v4
	v_fma_f32 v9, -v3, v8, v5
	v_fmac_f32_e32 v8, v9, v4
	v_fma_f32 v3, -v3, v8, v5
	v_div_fmas_f32 v3, v3, v4, v8
	v_xad_u32 v4, v0, -1, s12
	v_div_fixup_f32 v2, v3, v2, 1.0
	v_cmp_lt_u32_e32 vcc, s6, v4
	s_mov_b64 s[10:11], -1
	v_mov_b32_e32 v3, v0
	s_and_saveexec_b64 s[6:7], vcc
	s_cbranch_execz .LBB65_34
; %bb.26:
	v_lshrrev_b32_e32 v4, 7, v4
	v_add_u32_e32 v8, -1, v4
	v_lshrrev_b32_e32 v5, 1, v8
	v_mov_b32_e32 v3, v2
	v_add_u32_e32 v5, 1, v5
	v_cmp_lt_u32_e32 vcc, 13, v8
	v_mov_b32_e32 v11, 0
	s_and_saveexec_b64 s[10:11], vcc
	s_cbranch_execz .LBB65_30
; %bb.27:
	v_mov_b32_e32 v9, 0xb0
	v_and_b32_e32 v8, -8, v5
	v_lshl_add_u32 v9, v0, 2, v9
	s_mov_b32 s15, 0
	s_mov_b64 s[28:29], 0
.LBB65_28:                              ; =>This Inner Loop Header: Depth=1
	ds_read2st64_b32 v[12:13], v9 offset1:2
	ds_read2st64_b32 v[14:15], v9 offset0:4 offset1:6
	ds_read2st64_b32 v[16:17], v9 offset0:8 offset1:10
	;; [unrolled: 1-line block ×3, first 2 shown]
	v_add_u32_e32 v8, -8, v8
	s_waitcnt lgkmcnt(3)
	v_pk_mul_f32 v[12:13], v[2:3], v[12:13]
	s_waitcnt lgkmcnt(2)
	v_pk_mul_f32 v[14:15], v[2:3], v[14:15]
	ds_write2st64_b32 v9, v12, v13 offset1:2
	ds_write2st64_b32 v9, v14, v15 offset0:4 offset1:6
	ds_read2st64_b32 v[14:15], v9 offset0:16 offset1:18
	s_waitcnt lgkmcnt(4)
	v_pk_mul_f32 v[12:13], v[2:3], v[16:17]
	ds_write2st64_b32 v9, v12, v13 offset0:8 offset1:10
	s_waitcnt lgkmcnt(4)
	v_pk_mul_f32 v[12:13], v[2:3], v[18:19]
	ds_write2st64_b32 v9, v12, v13 offset0:12 offset1:14
	ds_read2st64_b32 v[12:13], v9 offset0:20 offset1:22
	s_waitcnt lgkmcnt(3)
	v_pk_mul_f32 v[14:15], v[2:3], v[14:15]
	ds_read2st64_b32 v[16:17], v9 offset0:24 offset1:26
	ds_write2st64_b32 v9, v14, v15 offset0:16 offset1:18
	ds_read2st64_b32 v[14:15], v9 offset0:28 offset1:30
	s_waitcnt lgkmcnt(3)
	v_pk_mul_f32 v[12:13], v[2:3], v[12:13]
	ds_write2st64_b32 v9, v12, v13 offset0:20 offset1:22
	s_waitcnt lgkmcnt(3)
	v_pk_mul_f32 v[12:13], v[2:3], v[16:17]
	ds_write2st64_b32 v9, v12, v13 offset0:24 offset1:26
	s_waitcnt lgkmcnt(2)
	v_pk_mul_f32 v[12:13], v[2:3], v[14:15]
	s_add_i32 s15, s15, 16
	v_cmp_eq_u32_e32 vcc, 0, v8
	ds_write2st64_b32 v9, v12, v13 offset0:28 offset1:30
	v_add_u32_e32 v9, 0x2000, v9
	s_or_b64 s[28:29], vcc, s[28:29]
	v_mov_b32_e32 v11, s15
	s_andn2_b64 exec, exec, s[28:29]
	s_cbranch_execnz .LBB65_28
; %bb.29:
	s_or_b64 exec, exec, s[28:29]
.LBB65_30:
	s_or_b64 exec, exec, s[10:11]
	v_and_b32_e32 v5, 7, v5
	v_cmp_ne_u32_e32 vcc, 0, v5
	s_and_saveexec_b64 s[10:11], vcc
	s_cbranch_execz .LBB65_33
; %bb.31:
	v_lshlrev_b32_e32 v8, 9, v11
	v_lshlrev_b32_e32 v9, 2, v0
	s_movk_i32 s15, 0xb0
	v_add3_u32 v8, v8, v9, s15
	s_mov_b64 s[28:29], 0
.LBB65_32:                              ; =>This Inner Loop Header: Depth=1
	ds_read2st64_b32 v[12:13], v8 offset1:2
	v_add_u32_e32 v5, -1, v5
	v_cmp_eq_u32_e32 vcc, 0, v5
	s_or_b64 s[28:29], vcc, s[28:29]
	s_waitcnt lgkmcnt(0)
	v_pk_mul_f32 v[12:13], v[2:3], v[12:13]
	ds_write2st64_b32 v8, v12, v13 offset1:2
	v_add_u32_e32 v8, 0x400, v8
	s_andn2_b64 exec, exec, s[28:29]
	s_cbranch_execnz .LBB65_32
.LBB65_33:
	s_or_b64 exec, exec, s[10:11]
	v_add_u32_e32 v4, 1, v4
	v_and_b32_e32 v5, 0x3fffffe, v4
	v_cmp_ne_u32_e32 vcc, v4, v5
	v_lshl_add_u32 v3, v5, 7, v0
	s_orn2_b64 s[10:11], vcc, exec
.LBB65_34:
	s_or_b64 exec, exec, s[6:7]
	s_and_b64 exec, exec, s[10:11]
	s_cbranch_execz .LBB65_37
; %bb.35:
	v_mov_b32_e32 v4, 0xb0
	v_lshl_add_u32 v4, v3, 2, v4
	s_mov_b64 s[6:7], 0
.LBB65_36:                              ; =>This Inner Loop Header: Depth=1
	ds_read_b32 v5, v4
	v_add_u32_e32 v3, 0x80, v3
	v_cmp_le_i32_e32 vcc, s12, v3
	s_or_b64 s[6:7], vcc, s[6:7]
	s_waitcnt lgkmcnt(0)
	v_mul_f32_e32 v5, v2, v5
	ds_write_b32 v4, v5
	v_add_u32_e32 v4, 0x200, v4
	s_andn2_b64 exec, exec, s[6:7]
	s_cbranch_execnz .LBB65_36
.LBB65_37:
	s_or_b64 exec, exec, s[0:1]
	s_mov_b32 s0, 0
	s_mov_b32 s1, s0
	v_mov_b64_e32 v[8:9], s[0:1]
	s_waitcnt lgkmcnt(0)
	s_barrier
	s_and_saveexec_b64 s[6:7], s[2:3]
	s_cbranch_execz .LBB65_47
; %bb.38:
	s_ashr_i32 s15, s14, 31
	s_lshl_b64 s[2:3], s[14:15], 1
	s_add_u32 s10, s26, s2
	v_or_b32_e32 v3, 64, v7
	s_movk_i32 s2, 0x50
	s_addc_u32 s11, s27, s3
	s_add_i32 s26, s33, -1
	v_cmp_gt_u32_e32 vcc, s2, v3
	s_lshl_b64 s[2:3], s[24:25], 2
	s_add_u32 s2, s22, s2
	v_lshlrev_b32_e32 v2, 3, v7
	v_mov_b32_e32 v11, 0
	v_lshlrev_b32_e32 v4, 3, v3
	v_mov_b32_e32 v3, 0xb0
	v_and_b32_e32 v10, 60, v10
	s_addc_u32 s3, s23, s3
	s_mov_b32 s28, s13
	s_mov_b32 s27, s17
	;; [unrolled: 1-line block ×8, first 2 shown]
	v_lshlrev_b32_e32 v18, 3, v1
	v_lshl_add_u32 v19, v1, 5, v3
	v_lshl_add_u64 v[12:13], s[2:3], 0, v[10:11]
	s_mov_b64 s[12:13], 0
	v_mov_b64_e32 v[8:9], s[0:1]
	v_lshlrev_b32_e32 v14, 1, v2
	v_mov_b32_e32 v15, v11
	s_mov_b32 s22, 0x5040100
	v_lshlrev_b32_e32 v10, 1, v4
	s_branch .LBB65_41
.LBB65_39:                              ;   in Loop: Header=BB65_41 Depth=1
	s_or_b64 exec, exec, s[14:15]
	s_waitcnt vmcnt(0)
	;;#ASMSTART
	v_pk_mul_f16 v2, v23, v2;

	;;#ASMEND
	;;#ASMSTART
	v_pk_mul_f16 v3, v22, v3;

	;;#ASMEND
	;; [unrolled: 4-line block ×4, first 2 shown]
	s_nop 0
	;;#ASMSTART
	v_pk_add_f16 v2, v2, v3;

	;;#ASMEND
	s_nop 0
	;;#ASMSTART
	v_pk_add_f16 v2, v2, v4;

	;;#ASMEND
	;; [unrolled: 5-line block ×3, first 2 shown]
	s_nop 0
	v_lshrrev_b32_e32 v3, 16, v2
	v_and_b32_e32 v2, 0xffff, v2
	;;#ASMSTART
	v_cvt_f32_f16 v2, v2;
	;;#ASMEND
	;;#ASMSTART
	v_cvt_f32_f16 v3, v3;
	;;#ASMEND
	s_nop 0
	v_add_f32_e32 v2, v2, v3
	v_add_f32_e32 v9, v9, v2
.LBB65_40:                              ;   in Loop: Header=BB65_41 Depth=1
	s_or_b64 exec, exec, s[2:3]
	v_add_u32_e32 v1, 2, v1
	v_cmp_le_i32_e64 s[0:1], s33, v1
	v_add_u32_e32 v18, 16, v18
	v_add_u32_e32 v19, 64, v19
	s_or_b64 s[12:13], s[0:1], s[12:13]
	v_lshl_add_u64 v[12:13], v[12:13], 0, 8
	s_andn2_b64 exec, exec, s[12:13]
	s_cbranch_execz .LBB65_46
.LBB65_41:                              ; =>This Inner Loop Header: Depth=1
	global_load_dword v16, v[12:13], off
	ds_read2_b64 v[2:5], v19 offset1:1
	ds_read2_b64 v[26:29], v19 offset0:2 offset1:3
	s_waitcnt lgkmcnt(1)
	;;#ASMSTART
	v_cvt_f16_f32 v20, v2;

	;;#ASMEND
	;;#ASMSTART
	v_cvt_f16_f32 v21, v3;

	;;#ASMEND
	;; [unrolled: 4-line block ×4, first 2 shown]
	s_waitcnt lgkmcnt(0)
	;;#ASMSTART
	v_cvt_f16_f32 v25, v26;

	;;#ASMEND
	;;#ASMSTART
	v_cvt_f16_f32 v26, v27;

	;;#ASMEND
	;;#ASMSTART
	v_cvt_f16_f32 v27, v28;

	;;#ASMEND
	;;#ASMSTART
	v_cvt_f16_f32 v28, v29;

	;;#ASMEND
	s_waitcnt vmcnt(0)
	v_mad_i64_i32 v[2:3], s[0:1], v16, s28, 0
	v_lshl_add_u64 v[16:17], v[2:3], 1, s[10:11]
	v_lshl_add_u64 v[2:3], v[16:17], 0, v[14:15]
	global_load_dwordx4 v[2:5], v[2:3], off
	v_cmp_eq_u32_e64 s[0:1], s26, v1
	s_and_saveexec_b64 s[14:15], s[0:1]
	s_cbranch_execz .LBB65_43
; %bb.42:                               ;   in Loop: Header=BB65_41 Depth=1
	v_or_b32_e32 v33, 7, v18
	v_or_b32_e32 v34, 6, v18
	s_waitcnt vmcnt(0)
	v_lshrrev_b32_e32 v35, 16, v5
	v_cmp_gt_i32_e64 s[2:3], s36, v33
	v_or_b32_e32 v31, 5, v18
	v_or_b32_e32 v32, 4, v18
	v_cndmask_b32_e64 v33, 0, v35, s[2:3]
	v_cmp_gt_i32_e64 s[2:3], s35, v34
	v_or_b32_e32 v29, 3, v18
	v_or_b32_e32 v30, 2, v18
	v_cndmask_b32_e64 v5, 0, v5, s[2:3]
	v_perm_b32 v5, v33, v5, s22
	v_lshrrev_b32_e32 v33, 16, v4
	v_cmp_gt_i32_e64 s[2:3], s34, v31
	v_add_u32_e32 v23, 1, v18
	s_nop 0
	v_cndmask_b32_e64 v31, 0, v33, s[2:3]
	v_cmp_gt_i32_e64 s[2:3], s31, v32
	s_nop 1
	v_cndmask_b32_e64 v4, 0, v4, s[2:3]
	v_perm_b32 v4, v31, v4, s22
	v_lshrrev_b32_e32 v31, 16, v3
	v_cmp_gt_i32_e64 s[2:3], s30, v29
	s_nop 1
	v_cndmask_b32_e64 v29, 0, v31, s[2:3]
	v_cmp_gt_i32_e64 s[2:3], s29, v30
	s_nop 1
	v_cndmask_b32_e64 v3, 0, v3, s[2:3]
	v_perm_b32 v3, v29, v3, s22
	v_lshrrev_b32_e32 v29, 16, v2
	v_cmp_gt_i32_e64 s[2:3], s27, v23
	s_nop 1
	v_cndmask_b32_e64 v23, 0, v29, s[2:3]
	v_cmp_gt_i32_e64 s[2:3], s17, v18
	s_nop 1
	v_cndmask_b32_e64 v2, 0, v2, s[2:3]
	v_perm_b32 v2, v23, v2, s22
.LBB65_43:                              ;   in Loop: Header=BB65_41 Depth=1
	s_or_b64 exec, exec, s[14:15]
	v_and_b32_e32 v20, 0xffff, v20
	v_lshl_or_b32 v23, v21, 16, v20
	v_and_b32_e32 v20, 0xffff, v22
	v_lshl_or_b32 v22, v24, 16, v20
	;; [unrolled: 2-line block ×3, first 2 shown]
	v_and_b32_e32 v20, 0xffff, v27
	s_waitcnt vmcnt(0)
	;;#ASMSTART
	v_pk_mul_f16 v2, v23, v2;

	;;#ASMEND
	v_lshl_or_b32 v20, v28, 16, v20
	;;#ASMSTART
	v_pk_mul_f16 v3, v22, v3;

	;;#ASMEND
	;;#ASMSTART
	v_pk_mul_f16 v4, v21, v4;

	;;#ASMEND
	;; [unrolled: 4-line block ×3, first 2 shown]
	s_nop 0
	;;#ASMSTART
	v_pk_add_f16 v2, v2, v3;

	;;#ASMEND
	s_nop 0
	;;#ASMSTART
	v_pk_add_f16 v2, v2, v4;

	;;#ASMEND
	;; [unrolled: 5-line block ×3, first 2 shown]
	s_nop 0
	v_lshrrev_b32_e32 v3, 16, v2
	v_and_b32_e32 v2, 0xffff, v2
	;;#ASMSTART
	v_cvt_f32_f16 v2, v2;
	;;#ASMEND
	;;#ASMSTART
	v_cvt_f32_f16 v3, v3;
	;;#ASMEND
	s_nop 0
	v_add_f32_e32 v2, v2, v3
	v_add_f32_e32 v8, v8, v2
	s_and_saveexec_b64 s[2:3], vcc
	s_cbranch_execz .LBB65_40
; %bb.44:                               ;   in Loop: Header=BB65_41 Depth=1
	v_lshl_add_u64 v[2:3], v[16:17], 0, v[10:11]
	global_load_dwordx4 v[2:5], v[2:3], off
	s_and_saveexec_b64 s[14:15], s[0:1]
	s_cbranch_execz .LBB65_39
; %bb.45:                               ;   in Loop: Header=BB65_41 Depth=1
	v_or_b32_e32 v27, 7, v18
	v_or_b32_e32 v28, 6, v18
	s_waitcnt vmcnt(0)
	v_lshrrev_b32_e32 v29, 16, v5
	v_cmp_gt_i32_e64 s[0:1], s36, v27
	v_or_b32_e32 v25, 5, v18
	v_or_b32_e32 v26, 4, v18
	v_cndmask_b32_e64 v27, 0, v29, s[0:1]
	v_cmp_gt_i32_e64 s[0:1], s35, v28
	v_or_b32_e32 v17, 3, v18
	v_or_b32_e32 v24, 2, v18
	v_cndmask_b32_e64 v5, 0, v5, s[0:1]
	v_perm_b32 v5, v27, v5, s22
	v_lshrrev_b32_e32 v27, 16, v4
	v_cmp_gt_i32_e64 s[0:1], s34, v25
	v_add_u32_e32 v16, 1, v18
	s_nop 0
	v_cndmask_b32_e64 v25, 0, v27, s[0:1]
	v_cmp_gt_i32_e64 s[0:1], s31, v26
	s_nop 1
	v_cndmask_b32_e64 v4, 0, v4, s[0:1]
	v_perm_b32 v4, v25, v4, s22
	v_lshrrev_b32_e32 v25, 16, v3
	v_cmp_gt_i32_e64 s[0:1], s30, v17
	s_nop 1
	v_cndmask_b32_e64 v17, 0, v25, s[0:1]
	v_cmp_gt_i32_e64 s[0:1], s29, v24
	s_nop 1
	v_cndmask_b32_e64 v3, 0, v3, s[0:1]
	v_perm_b32 v3, v17, v3, s22
	v_lshrrev_b32_e32 v17, 16, v2
	v_cmp_gt_i32_e64 s[0:1], s27, v16
	s_nop 1
	v_cndmask_b32_e64 v16, 0, v17, s[0:1]
	v_cmp_gt_i32_e64 s[0:1], s17, v18
	s_nop 1
	v_cndmask_b32_e64 v2, 0, v2, s[0:1]
	v_perm_b32 v2, v16, v2, s22
	s_branch .LBB65_39
.LBB65_46:
	s_or_b64 exec, exec, s[12:13]
.LBB65_47:
	s_or_b64 exec, exec, s[6:7]
	v_and_b32_e32 v1, 0x3c0, v0
	v_cmp_eq_u32_e32 vcc, 64, v1
	s_barrier
	s_and_saveexec_b64 s[0:1], vcc
	s_cbranch_execz .LBB65_50
; %bb.48:
	v_mov_b32_e32 v1, 0xb0
	v_lshl_add_u32 v2, v7, 2, v1
	ds_write_b32 v2, v8
	s_and_b64 exec, exec, s[8:9]
	s_cbranch_execz .LBB65_50
; %bb.49:
	v_lshl_add_u32 v1, v0, 2, v1
	ds_write_b32 v1, v9
.LBB65_50:
	s_or_b64 exec, exec, s[0:1]
	v_cmp_gt_u32_e32 vcc, 64, v0
	v_or_b32_e32 v1, 64, v0
	s_waitcnt lgkmcnt(0)
	s_barrier
	s_and_saveexec_b64 s[2:3], vcc
	s_cbranch_execz .LBB65_54
; %bb.51:
	v_mov_b32_e32 v2, 0xb0
	v_lshl_add_u32 v0, v0, 2, v2
	ds_read_b32 v2, v0
	s_movk_i32 s0, 0x50
	v_cmp_gt_u32_e64 s[0:1], s0, v1
	s_waitcnt lgkmcnt(0)
	v_add_f32_e32 v8, v8, v2
	s_and_saveexec_b64 s[6:7], s[0:1]
	s_cbranch_execz .LBB65_53
; %bb.52:
	ds_read_b32 v0, v0 offset:256
	s_waitcnt lgkmcnt(0)
	v_add_f32_e32 v9, v9, v0
.LBB65_53:
	s_or_b64 exec, exec, s[6:7]
.LBB65_54:
	s_or_b64 exec, exec, s[2:3]
	s_barrier
	s_and_saveexec_b64 s[0:1], vcc
	s_cbranch_execz .LBB65_57
; %bb.55:
	s_mul_i32 s0, s16, s19
	s_mul_i32 s0, s0, s5
	s_mulk_i32 s0, 0x50
	s_ashr_i32 s1, s0, 31
	s_lshl_b64 s[0:1], s[0:1], 1
	s_add_u32 s3, s20, s0
	s_mul_i32 s0, s19, s18
	s_addc_u32 s5, s21, s1
	s_ashr_i32 s1, s0, 31
	s_lshl_b64 s[0:1], s[0:1], 1
	s_add_u32 s3, s3, s0
	s_mul_i32 s0, s4, 0x50
	s_addc_u32 s5, s5, s1
	s_ashr_i32 s1, s0, 31
	s_lshl_b64 s[0:1], s[0:1], 1
	s_movk_i32 s2, 0x50
	s_add_u32 s0, s3, s0
	s_addc_u32 s1, s5, s1
	v_cmp_gt_u32_e32 vcc, s2, v1
	;;#ASMSTART
	v_cvt_f16_f32 v0, v8;

	;;#ASMEND
	global_store_short v6, v0, s[0:1]
	s_and_b64 exec, exec, vcc
	s_cbranch_execz .LBB65_57
; %bb.56:
	v_mov_b32_e32 v7, 0
	v_lshl_add_u64 v[0:1], s[0:1], 0, v[6:7]
	;;#ASMSTART
	v_cvt_f16_f32 v2, v9;

	;;#ASMEND
	global_store_short v[0:1], v2, off offset:128
.LBB65_57:
	s_endpgm
	.section	.rodata,"a",@progbits
	.p2align	6, 0x0
	.amdhsa_kernel _ZN4vllm25paged_attention_v1_kernelIttLi80ELi8ELi128ELNS_18Fp8KVCacheDataTypeE0ELb0EEEvPT_PKS2_PKT0_S8_ifPKiSA_iPKfiiiSC_SC_iiiii
		.amdhsa_group_segment_fixed_size 176
		.amdhsa_private_segment_fixed_size 0
		.amdhsa_kernarg_size 384
		.amdhsa_user_sgpr_count 2
		.amdhsa_user_sgpr_dispatch_ptr 0
		.amdhsa_user_sgpr_queue_ptr 0
		.amdhsa_user_sgpr_kernarg_segment_ptr 1
		.amdhsa_user_sgpr_dispatch_id 0
		.amdhsa_user_sgpr_kernarg_preload_length 0
		.amdhsa_user_sgpr_kernarg_preload_offset 0
		.amdhsa_user_sgpr_private_segment_size 0
		.amdhsa_uses_dynamic_stack 0
		.amdhsa_enable_private_segment 0
		.amdhsa_system_sgpr_workgroup_id_x 1
		.amdhsa_system_sgpr_workgroup_id_y 1
		.amdhsa_system_sgpr_workgroup_id_z 1
		.amdhsa_system_sgpr_workgroup_info 0
		.amdhsa_system_vgpr_workitem_id 0
		.amdhsa_next_free_vgpr 37
		.amdhsa_next_free_sgpr 37
		.amdhsa_accum_offset 40
		.amdhsa_reserve_vcc 1
		.amdhsa_float_round_mode_32 0
		.amdhsa_float_round_mode_16_64 0
		.amdhsa_float_denorm_mode_32 3
		.amdhsa_float_denorm_mode_16_64 3
		.amdhsa_dx10_clamp 1
		.amdhsa_ieee_mode 1
		.amdhsa_fp16_overflow 0
		.amdhsa_tg_split 0
		.amdhsa_exception_fp_ieee_invalid_op 0
		.amdhsa_exception_fp_denorm_src 0
		.amdhsa_exception_fp_ieee_div_zero 0
		.amdhsa_exception_fp_ieee_overflow 0
		.amdhsa_exception_fp_ieee_underflow 0
		.amdhsa_exception_fp_ieee_inexact 0
		.amdhsa_exception_int_div_zero 0
	.end_amdhsa_kernel
	.section	.text._ZN4vllm25paged_attention_v1_kernelIttLi80ELi8ELi128ELNS_18Fp8KVCacheDataTypeE0ELb0EEEvPT_PKS2_PKT0_S8_ifPKiSA_iPKfiiiSC_SC_iiiii,"axG",@progbits,_ZN4vllm25paged_attention_v1_kernelIttLi80ELi8ELi128ELNS_18Fp8KVCacheDataTypeE0ELb0EEEvPT_PKS2_PKT0_S8_ifPKiSA_iPKfiiiSC_SC_iiiii,comdat
.Lfunc_end65:
	.size	_ZN4vllm25paged_attention_v1_kernelIttLi80ELi8ELi128ELNS_18Fp8KVCacheDataTypeE0ELb0EEEvPT_PKS2_PKT0_S8_ifPKiSA_iPKfiiiSC_SC_iiiii, .Lfunc_end65-_ZN4vllm25paged_attention_v1_kernelIttLi80ELi8ELi128ELNS_18Fp8KVCacheDataTypeE0ELb0EEEvPT_PKS2_PKT0_S8_ifPKiSA_iPKfiiiSC_SC_iiiii
                                        ; -- End function
	.section	.AMDGPU.csdata,"",@progbits
; Kernel info:
; codeLenInByte = 4340
; NumSgprs: 43
; NumVgprs: 37
; NumAgprs: 0
; TotalNumVgprs: 37
; ScratchSize: 0
; MemoryBound: 0
; FloatMode: 240
; IeeeMode: 1
; LDSByteSize: 176 bytes/workgroup (compile time only)
; SGPRBlocks: 5
; VGPRBlocks: 4
; NumSGPRsForWavesPerEU: 43
; NumVGPRsForWavesPerEU: 37
; AccumOffset: 40
; Occupancy: 8
; WaveLimiterHint : 1
; COMPUTE_PGM_RSRC2:SCRATCH_EN: 0
; COMPUTE_PGM_RSRC2:USER_SGPR: 2
; COMPUTE_PGM_RSRC2:TRAP_HANDLER: 0
; COMPUTE_PGM_RSRC2:TGID_X_EN: 1
; COMPUTE_PGM_RSRC2:TGID_Y_EN: 1
; COMPUTE_PGM_RSRC2:TGID_Z_EN: 1
; COMPUTE_PGM_RSRC2:TIDIG_COMP_CNT: 0
; COMPUTE_PGM_RSRC3_GFX90A:ACCUM_OFFSET: 9
; COMPUTE_PGM_RSRC3_GFX90A:TG_SPLIT: 0
	.section	.text._ZN4vllm25paged_attention_v1_kernelIttLi96ELi8ELi128ELNS_18Fp8KVCacheDataTypeE0ELb0EEEvPT_PKS2_PKT0_S8_ifPKiSA_iPKfiiiSC_SC_iiiii,"axG",@progbits,_ZN4vllm25paged_attention_v1_kernelIttLi96ELi8ELi128ELNS_18Fp8KVCacheDataTypeE0ELb0EEEvPT_PKS2_PKT0_S8_ifPKiSA_iPKfiiiSC_SC_iiiii,comdat
	.protected	_ZN4vllm25paged_attention_v1_kernelIttLi96ELi8ELi128ELNS_18Fp8KVCacheDataTypeE0ELb0EEEvPT_PKS2_PKT0_S8_ifPKiSA_iPKfiiiSC_SC_iiiii ; -- Begin function _ZN4vllm25paged_attention_v1_kernelIttLi96ELi8ELi128ELNS_18Fp8KVCacheDataTypeE0ELb0EEEvPT_PKS2_PKT0_S8_ifPKiSA_iPKfiiiSC_SC_iiiii
	.globl	_ZN4vllm25paged_attention_v1_kernelIttLi96ELi8ELi128ELNS_18Fp8KVCacheDataTypeE0ELb0EEEvPT_PKS2_PKT0_S8_ifPKiSA_iPKfiiiSC_SC_iiiii
	.p2align	8
	.type	_ZN4vllm25paged_attention_v1_kernelIttLi96ELi8ELi128ELNS_18Fp8KVCacheDataTypeE0ELb0EEEvPT_PKS2_PKT0_S8_ifPKiSA_iPKfiiiSC_SC_iiiii,@function
_ZN4vllm25paged_attention_v1_kernelIttLi96ELi8ELi128ELNS_18Fp8KVCacheDataTypeE0ELb0EEEvPT_PKS2_PKT0_S8_ifPKiSA_iPKfiiiSC_SC_iiiii: ; @_ZN4vllm25paged_attention_v1_kernelIttLi96ELi8ELi128ELNS_18Fp8KVCacheDataTypeE0ELb0EEEvPT_PKS2_PKT0_S8_ifPKiSA_iPKfiiiSC_SC_iiiii
; %bb.0:
	s_load_dword s5, s[0:1], 0x80
	s_load_dwordx2 s[6:7], s[0:1], 0x30
	s_load_dwordx2 s[10:11], s[0:1], 0x20
	s_mov_b32 s16, s3
	s_ashr_i32 s17, s3, 31
	s_lshl_b64 s[8:9], s[16:17], 2
	s_waitcnt lgkmcnt(0)
	s_add_u32 s6, s6, s8
	s_addc_u32 s7, s7, s9
	s_abs_i32 s3, s10
	v_cvt_f32_u32_e32 v1, s3
	s_xor_b32 s8, s5, s10
	s_sub_i32 s10, 0, s3
	s_abs_i32 s9, s5
	v_rcp_iflag_f32_e32 v1, v1
	s_ashr_i32 s8, s8, 31
	v_mul_f32_e32 v1, 0x4f7ffffe, v1
	v_cvt_u32_f32_e32 v1, v1
	s_nop 0
	v_readfirstlane_b32 s12, v1
	s_mul_i32 s10, s10, s12
	s_mul_hi_u32 s10, s12, s10
	s_add_i32 s12, s12, s10
	s_mul_hi_u32 s10, s9, s12
	s_mul_i32 s12, s10, s3
	s_sub_i32 s9, s9, s12
	s_add_i32 s12, s10, 1
	s_sub_i32 s13, s9, s3
	s_cmp_ge_u32 s9, s3
	s_cselect_b32 s10, s12, s10
	s_cselect_b32 s9, s13, s9
	s_add_i32 s12, s10, 1
	s_cmp_ge_u32 s9, s3
	s_cselect_b32 s3, s12, s10
	s_xor_b32 s3, s3, s8
	s_sub_i32 s12, s3, s8
	s_abs_i32 s20, s12
	v_cvt_f32_u32_e32 v1, s20
	s_load_dwordx2 s[8:9], s[0:1], 0x40
	s_sub_i32 s3, 0, s20
	s_abs_i32 s21, s2
	v_rcp_iflag_f32_e32 v1, v1
	s_mov_b32 s10, 0
	v_mul_f32_e32 v1, 0x4f7ffffe, v1
	v_cvt_u32_f32_e32 v1, v1
	s_nop 0
	v_readfirstlane_b32 s13, v1
	s_mul_i32 s3, s3, s13
	s_mul_hi_u32 s3, s13, s3
	s_add_i32 s13, s13, s3
	s_waitcnt lgkmcnt(0)
	s_cmp_eq_u64 s[8:9], 0
	s_mul_hi_u32 s24, s21, s13
	s_cbranch_scc1 .LBB66_2
; %bb.1:
	s_ashr_i32 s3, s2, 31
	s_lshl_b64 s[14:15], s[2:3], 2
	s_add_u32 s8, s8, s14
	s_addc_u32 s9, s9, s15
	s_load_dword s10, s[8:9], 0x0
.LBB66_2:
	s_load_dword s17, s[6:7], 0x0
	s_ashr_i32 s7, s12, 31
	s_load_dwordx4 s[12:15], s[0:1], 0x48
	s_movk_i32 s3, 0x60
	s_ashr_i32 s6, s2, 31
	v_and_b32_e32 v4, 7, v0
	s_mul_i32 s18, s2, 0x60
	v_cmp_gt_u32_e64 s[8:9], s3, v0
	v_lshlrev_b32_e32 v6, 1, v0
	s_and_saveexec_b64 s[2:3], s[8:9]
	s_cbranch_execz .LBB66_4
; %bb.3:
	s_load_dwordx2 s[22:23], s[0:1], 0x8
	s_waitcnt lgkmcnt(0)
	s_mul_i32 s26, s16, s12
	s_ashr_i32 s27, s26, 31
	s_lshl_b64 s[26:27], s[26:27], 1
	v_lshrrev_b32_e32 v2, 2, v0
	s_add_u32 s12, s22, s26
	s_addc_u32 s15, s23, s27
	s_ashr_i32 s19, s18, 31
	s_lshl_b64 s[22:23], s[18:19], 1
	s_add_u32 s22, s12, s22
	s_addc_u32 s23, s15, s23
	global_load_ushort v1, v6, s[22:23]
	v_and_b32_e32 v2, 0xfe, v2
	v_mad_u32_u24 v2, v4, 24, v2
	s_waitcnt vmcnt(0)
	ds_write_b16 v2, v1
.LBB66_4:
	s_or_b64 exec, exec, s[2:3]
	s_waitcnt lgkmcnt(0)
	s_add_i32 s3, s17, 7
	s_ashr_i32 s12, s3, 31
	s_lshr_b32 s12, s12, 29
	s_add_i32 s3, s3, s12
	s_ashr_i32 s33, s3, 3
	s_xor_b32 s3, s6, s7
	s_mul_i32 s6, s24, s20
	s_sub_i32 s6, s21, s6
	s_add_i32 s7, s24, 1
	s_sub_i32 s12, s6, s20
	s_load_dwordx2 s[22:23], s[0:1], 0x28
	s_load_dword s2, s[0:1], 0x38
	s_cmp_ge_u32 s6, s20
	s_cselect_b32 s7, s7, s24
	s_cselect_b32 s6, s12, s6
	s_add_i32 s12, s7, 1
	s_cmp_ge_u32 s6, s20
	s_cselect_b32 s6, s12, s7
	v_lshrrev_b32_e32 v1, 6, v0
	s_xor_b32 s6, s6, s3
	s_waitcnt lgkmcnt(0)
	s_mul_i32 s24, s16, s2
	s_sub_i32 s12, s6, s3
	s_ashr_i32 s25, s24, 31
	v_cmp_gt_i32_e64 s[2:3], s33, v1
	v_cmp_le_i32_e32 vcc, s33, v1
	v_mbcnt_lo_u32_b32 v14, -1, 0
	s_barrier
	s_waitcnt lgkmcnt(0)
                                        ; implicit-def: $sgpr15
                                        ; implicit-def: $vgpr8
                                        ; implicit-def: $vgpr9
	s_and_saveexec_b64 s[6:7], vcc
	s_xor_b64 s[6:7], exec, s[6:7]
; %bb.5:
	v_mbcnt_hi_u32_b32 v8, -1, v14
	v_and_b32_e32 v2, 64, v8
	v_add_u32_e32 v9, 64, v2
	s_mov_b32 s15, 0xff7fffff
                                        ; implicit-def: $vgpr4
                                        ; implicit-def: $vgpr14
; %bb.6:
	s_or_saveexec_b64 s[28:29], s[6:7]
	s_load_dwordx2 s[20:21], s[0:1], 0x0
	s_load_dwordx2 s[26:27], s[0:1], 0x18
	s_load_dword s19, s[0:1], 0x88
	v_mov_b32_e32 v7, s15
	s_mul_i32 s14, s12, s14
	v_lshrrev_b32_e32 v10, 4, v0
	s_xor_b64 exec, exec, s[28:29]
	s_cbranch_execz .LBB66_12
; %bb.7:
	s_load_dwordx2 s[0:1], s[0:1], 0x10
	s_ashr_i32 s15, s14, 31
	s_lshl_b64 s[6:7], s[14:15], 1
	v_bfe_u32 v5, v0, 3, 3
	v_lshlrev_b32_e32 v8, 4, v5
	s_waitcnt lgkmcnt(0)
	s_add_u32 s0, s0, s6
	s_addc_u32 s1, s1, s7
	v_mov_b32_e32 v9, 0
	s_sub_i32 s15, 1, s17
	s_lshl_b64 s[6:7], s[24:25], 2
	v_lshl_add_u64 v[2:3], s[0:1], 0, v[8:9]
	v_lshlrev_b32_e32 v8, 1, v4
	v_mul_u32_u24_e32 v11, 24, v4
	v_cmp_eq_u32_e32 vcc, 0, v4
	v_lshlrev_b32_e32 v4, 2, v5
	s_add_u32 s6, s22, s6
	v_lshl_add_u64 v[2:3], v[2:3], 0, v[8:9]
	v_lshl_or_b32 v4, v1, 5, v4
	v_and_b32_e32 v8, 60, v10
	s_addc_u32 s7, s23, s7
	v_lshl_or_b32 v12, v1, 3, v5
	v_add_u32_e32 v13, 0xd0, v4
	v_lshl_add_u64 v[4:5], s[6:7], 0, v[8:9]
	v_mbcnt_hi_u32_b32 v8, -1, v14
	v_and_b32_e32 v9, 64, v8
	s_mov_b32 s12, s13
	v_cmp_neq_f32_e64 s[0:1], s10, 0
	s_mov_b64 s[30:31], 0
	v_mov_b32_e32 v7, 0xff7fffff
	v_add_u32_e32 v9, 64, v9
	v_xor_b32_e32 v14, 4, v8
	v_xor_b32_e32 v15, 2, v8
	;; [unrolled: 1-line block ×3, first 2 shown]
	v_mov_b32_e32 v17, v1
	s_branch .LBB66_9
.LBB66_8:                               ;   in Loop: Header=BB66_9 Depth=1
	s_or_b64 exec, exec, s[34:35]
	v_add_u32_e32 v17, 2, v17
	v_cmp_le_i32_e64 s[6:7], s33, v17
	v_add_u32_e32 v12, 16, v12
	v_add_u32_e32 v13, 64, v13
	s_or_b64 s[30:31], s[6:7], s[30:31]
	v_lshl_add_u64 v[4:5], v[4:5], 0, 8
	s_andn2_b64 exec, exec, s[30:31]
	s_cbranch_execz .LBB66_11
.LBB66_9:                               ; =>This Inner Loop Header: Depth=1
	global_load_dword v18, v[4:5], off
	s_waitcnt vmcnt(0) lgkmcnt(0)
	v_mad_i64_i32 v[18:19], s[6:7], v18, s12, 0
	v_lshl_add_u64 v[18:19], v[18:19], 1, v[2:3]
	global_load_ushort v20, v[18:19], off
	global_load_ushort v21, v[18:19], off offset:128
	global_load_ushort v22, v[18:19], off offset:256
	;; [unrolled: 1-line block ×10, first 2 shown]
	ds_read_u16 v31, v11
	global_load_ushort v18, v[18:19], off offset:1408
	s_waitcnt lgkmcnt(0)
	;;#ASMSTART
	v_cvt_f32_f16 v19, v31;
	;;#ASMEND
	v_cmp_lt_i32_e64 s[6:7], v14, v9
	s_waitcnt vmcnt(11)
	;;#ASMSTART
	v_cvt_f32_f16 v20, v20;
	;;#ASMEND
	ds_read_u16 v31, v11 offset:2
	s_waitcnt lgkmcnt(0)
	;;#ASMSTART
	v_cvt_f32_f16 v31, v31;
	;;#ASMEND
	s_waitcnt vmcnt(10)
	;;#ASMSTART
	v_cvt_f32_f16 v21, v21;
	;;#ASMEND
	ds_read_u16 v32, v11 offset:4
	v_mul_f32_e32 v21, v31, v21
	v_fmac_f32_e32 v21, v19, v20
	s_waitcnt lgkmcnt(0)
	;;#ASMSTART
	v_cvt_f32_f16 v32, v32;
	;;#ASMEND
	s_waitcnt vmcnt(9)
	;;#ASMSTART
	v_cvt_f32_f16 v22, v22;
	;;#ASMEND
	ds_read_u16 v33, v11 offset:6
	v_fmac_f32_e32 v21, v32, v22
	s_waitcnt lgkmcnt(0)
	;;#ASMSTART
	v_cvt_f32_f16 v33, v33;
	;;#ASMEND
	s_waitcnt vmcnt(8)
	;;#ASMSTART
	v_cvt_f32_f16 v23, v23;
	;;#ASMEND
	ds_read_u16 v34, v11 offset:8
	;; [unrolled: 10-line block ×8, first 2 shown]
	v_fmac_f32_e32 v21, v19, v20
	v_cndmask_b32_e64 v39, v8, v14, s[6:7]
	s_waitcnt lgkmcnt(0)
	;;#ASMSTART
	v_cvt_f32_f16 v22, v22;
	;;#ASMEND
	s_waitcnt vmcnt(1)
	;;#ASMSTART
	v_cvt_f32_f16 v23, v30;
	;;#ASMEND
	v_lshlrev_b32_e32 v39, 2, v39
	v_fmac_f32_e32 v21, v22, v23
	ds_read_u16 v24, v11 offset:22
	s_waitcnt lgkmcnt(0)
	;;#ASMSTART
	v_cvt_f32_f16 v19, v24;
	;;#ASMEND
	s_waitcnt vmcnt(0)
	;;#ASMSTART
	v_cvt_f32_f16 v18, v18;
	;;#ASMEND
	v_cmp_lt_i32_e64 s[6:7], v15, v9
	v_fmac_f32_e32 v21, v19, v18
	ds_bpermute_b32 v18, v39, v21
	v_cndmask_b32_e64 v19, v8, v15, s[6:7]
	v_lshlrev_b32_e32 v19, 2, v19
	v_cmp_lt_i32_e64 s[6:7], v16, v9
	s_waitcnt lgkmcnt(0)
	v_add_f32_e32 v18, v21, v18
	ds_bpermute_b32 v19, v19, v18
	v_cndmask_b32_e64 v20, v8, v16, s[6:7]
	s_waitcnt lgkmcnt(0)
	v_add_f32_e32 v18, v18, v19
	v_lshlrev_b32_e32 v19, 2, v20
	ds_bpermute_b32 v19, v19, v18
	s_and_saveexec_b64 s[34:35], vcc
	s_cbranch_execz .LBB66_8
; %bb.10:                               ;   in Loop: Header=BB66_9 Depth=1
	v_add_u32_e32 v20, s15, v12
	v_cvt_f32_i32_e32 v20, v20
	s_waitcnt lgkmcnt(0)
	v_add_f32_e32 v18, v18, v19
	v_cmp_gt_i32_e64 s[6:7], s17, v12
	v_max_f32_e32 v19, v7, v7
	v_mul_f32_e32 v20, s10, v20
	v_cndmask_b32_e64 v20, 0, v20, s[0:1]
	v_fmac_f32_e32 v20, s11, v18
	v_cndmask_b32_e64 v18, 0, v20, s[6:7]
	ds_write_b32 v13, v18
	v_max_f32_e32 v18, v19, v20
	v_cndmask_b32_e64 v7, v7, v18, s[6:7]
	s_branch .LBB66_8
.LBB66_11:
	s_or_b64 exec, exec, s[30:31]
.LBB66_12:
	s_or_b64 exec, exec, s[28:29]
	v_xor_b32_e32 v2, 32, v8
	v_cmp_lt_i32_e32 vcc, v2, v9
	v_xor_b32_e32 v5, 16, v8
	v_max_f32_e32 v4, v7, v7
	v_cndmask_b32_e32 v2, v8, v2, vcc
	v_lshlrev_b32_e32 v3, 2, v2
	ds_bpermute_b32 v2, v3, v7
	v_cmp_lt_i32_e32 vcc, v5, v9
	v_xor_b32_e32 v7, 8, v8
	s_waitcnt lgkmcnt(0)
	v_max_f32_e32 v2, v2, v2
	v_max_f32_e32 v2, v4, v2
	v_cndmask_b32_e32 v4, v8, v5, vcc
	v_lshlrev_b32_e32 v5, 2, v4
	ds_bpermute_b32 v4, v5, v2
	v_cmp_lt_i32_e32 vcc, v7, v9
	s_waitcnt lgkmcnt(0)
	v_max_f32_e32 v4, v4, v4
	v_max_f32_e32 v4, v2, v4
	v_cndmask_b32_e32 v2, v8, v7, vcc
	v_lshlrev_b32_e32 v12, 2, v2
	ds_bpermute_b32 v11, v12, v4
	v_and_b32_e32 v7, 63, v0
	v_cmp_eq_u32_e32 vcc, 0, v7
	v_lshlrev_b32_e32 v2, 2, v1
	s_and_saveexec_b64 s[0:1], vcc
	s_cbranch_execz .LBB66_14
; %bb.13:
	s_waitcnt lgkmcnt(0)
	v_max_f32_e32 v11, v11, v11
	v_max_f32_e32 v4, v4, v4
	;; [unrolled: 1-line block ×3, first 2 shown]
	ds_write_b32 v2, v4 offset:192
.LBB66_14:
	s_or_b64 exec, exec, s[0:1]
	v_cmp_gt_u32_e64 s[0:1], 2, v7
	v_mov_b32_e32 v13, 0xff7fffff
	v_lshlrev_b32_e32 v4, 2, v7
	s_waitcnt lgkmcnt(0)
	s_barrier
	s_and_saveexec_b64 s[6:7], s[0:1]
	s_cbranch_execz .LBB66_16
; %bb.15:
	ds_read_b32 v13, v4 offset:192
.LBB66_16:
	s_or_b64 exec, exec, s[6:7]
	v_xor_b32_e32 v11, 1, v8
	v_cmp_lt_i32_e64 s[6:7], v11, v9
	v_lshlrev_b32_e32 v15, 2, v8
	s_nop 0
	v_cndmask_b32_e64 v11, v8, v11, s[6:7]
	v_lshlrev_b32_e32 v11, 2, v11
	s_waitcnt lgkmcnt(0)
	ds_bpermute_b32 v14, v11, v13
	v_max_f32_e32 v13, v13, v13
	s_lshl_b32 s6, s33, 3
	s_min_i32 s12, s6, s17
	v_cmp_gt_i32_e64 s[6:7], s12, v0
	s_waitcnt lgkmcnt(0)
	v_max_f32_e32 v14, v14, v14
	v_max_f32_e32 v14, v13, v14
	v_and_b32_e32 v13, 0xffffff00, v15
	ds_bpermute_b32 v15, v13, v14
	v_mov_b32_e32 v14, 0
	s_and_saveexec_b64 s[28:29], s[6:7]
	s_cbranch_execz .LBB66_20
; %bb.17:
	v_mov_b32_e32 v14, 0xd0
	v_lshl_add_u32 v16, v0, 2, v14
	s_mov_b64 s[30:31], 0
	v_mov_b32_e32 v14, 0
	v_mov_b32_e32 v17, v0
.LBB66_18:                              ; =>This Inner Loop Header: Depth=1
	ds_read_b32 v18, v16
	v_add_u32_e32 v17, 0x80, v17
	v_cmp_le_i32_e64 s[10:11], s12, v17
	s_or_b64 s[30:31], s[10:11], s[30:31]
	s_waitcnt lgkmcnt(0)
	v_sub_f32_e32 v18, v18, v15
	v_mul_f32_e32 v18, 0x3fb8aa3b, v18
	v_exp_f32_e32 v18, v18
	ds_write_b32 v16, v18
	v_add_f32_e32 v14, v14, v18
	v_add_u32_e32 v16, 0x200, v16
	s_andn2_b64 exec, exec, s[30:31]
	s_cbranch_execnz .LBB66_18
; %bb.19:
	s_or_b64 exec, exec, s[30:31]
.LBB66_20:
	s_or_b64 exec, exec, s[28:29]
	ds_bpermute_b32 v3, v3, v14
	s_waitcnt lgkmcnt(0)
	v_add_f32_e32 v3, v14, v3
	ds_bpermute_b32 v5, v5, v3
	s_waitcnt lgkmcnt(0)
	v_add_f32_e32 v3, v3, v5
	ds_bpermute_b32 v5, v12, v3
	v_xor_b32_e32 v12, 4, v8
	v_cmp_lt_i32_e64 s[10:11], v12, v9
	s_waitcnt lgkmcnt(0)
	v_add_f32_e32 v3, v3, v5
	v_cndmask_b32_e64 v12, v8, v12, s[10:11]
	v_lshlrev_b32_e32 v12, 2, v12
	ds_bpermute_b32 v5, v12, v3
	v_xor_b32_e32 v12, 2, v8
	v_cmp_lt_i32_e64 s[10:11], v12, v9
	s_waitcnt lgkmcnt(0)
	v_add_f32_e32 v3, v3, v5
	v_cndmask_b32_e64 v8, v8, v12, s[10:11]
	v_lshlrev_b32_e32 v5, 2, v8
	ds_bpermute_b32 v5, v5, v3
	s_waitcnt lgkmcnt(0)
	v_add_f32_e32 v3, v3, v5
	ds_bpermute_b32 v5, v11, v3
	s_waitcnt lgkmcnt(0)
	v_add_f32_e32 v3, v3, v5
	s_and_saveexec_b64 s[10:11], vcc
	s_cbranch_execz .LBB66_22
; %bb.21:
	ds_write_b32 v2, v3 offset:200
.LBB66_22:
	s_or_b64 exec, exec, s[10:11]
	s_waitcnt lgkmcnt(0)
	s_barrier
	s_and_saveexec_b64 s[10:11], s[0:1]
	s_cbranch_execz .LBB66_24
; %bb.23:
	ds_read_b32 v3, v4 offset:200
.LBB66_24:
	s_or_b64 exec, exec, s[10:11]
	s_waitcnt lgkmcnt(0)
	ds_bpermute_b32 v2, v11, v3
	s_waitcnt lgkmcnt(0)
	v_add_f32_e32 v2, v3, v2
	ds_bpermute_b32 v2, v13, v2
	s_and_saveexec_b64 s[0:1], s[6:7]
	s_cbranch_execz .LBB66_37
; %bb.25:
	s_waitcnt lgkmcnt(0)
	v_add_f32_e32 v2, 0x358637bd, v2
	v_div_scale_f32 v3, s[6:7], v2, v2, 1.0
	v_rcp_f32_e32 v4, v3
	v_div_scale_f32 v5, vcc, 1.0, v2, 1.0
	s_movk_i32 s6, 0x7f
	v_fma_f32 v8, -v3, v4, 1.0
	v_fmac_f32_e32 v4, v8, v4
	v_mul_f32_e32 v8, v5, v4
	v_fma_f32 v9, -v3, v8, v5
	v_fmac_f32_e32 v8, v9, v4
	v_fma_f32 v3, -v3, v8, v5
	v_div_fmas_f32 v3, v3, v4, v8
	v_xad_u32 v4, v0, -1, s12
	v_div_fixup_f32 v2, v3, v2, 1.0
	v_cmp_lt_u32_e32 vcc, s6, v4
	s_mov_b64 s[10:11], -1
	v_mov_b32_e32 v3, v0
	s_and_saveexec_b64 s[6:7], vcc
	s_cbranch_execz .LBB66_34
; %bb.26:
	v_lshrrev_b32_e32 v4, 7, v4
	v_add_u32_e32 v8, -1, v4
	v_lshrrev_b32_e32 v5, 1, v8
	v_mov_b32_e32 v3, v2
	v_add_u32_e32 v5, 1, v5
	v_cmp_lt_u32_e32 vcc, 13, v8
	v_mov_b32_e32 v11, 0
	s_and_saveexec_b64 s[10:11], vcc
	s_cbranch_execz .LBB66_30
; %bb.27:
	v_mov_b32_e32 v9, 0xd0
	v_and_b32_e32 v8, -8, v5
	v_lshl_add_u32 v9, v0, 2, v9
	s_mov_b32 s15, 0
	s_mov_b64 s[28:29], 0
.LBB66_28:                              ; =>This Inner Loop Header: Depth=1
	ds_read2st64_b32 v[12:13], v9 offset1:2
	ds_read2st64_b32 v[14:15], v9 offset0:4 offset1:6
	ds_read2st64_b32 v[16:17], v9 offset0:8 offset1:10
	;; [unrolled: 1-line block ×3, first 2 shown]
	v_add_u32_e32 v8, -8, v8
	s_waitcnt lgkmcnt(3)
	v_pk_mul_f32 v[12:13], v[2:3], v[12:13]
	s_waitcnt lgkmcnt(2)
	v_pk_mul_f32 v[14:15], v[2:3], v[14:15]
	ds_write2st64_b32 v9, v12, v13 offset1:2
	ds_write2st64_b32 v9, v14, v15 offset0:4 offset1:6
	ds_read2st64_b32 v[14:15], v9 offset0:16 offset1:18
	s_waitcnt lgkmcnt(4)
	v_pk_mul_f32 v[12:13], v[2:3], v[16:17]
	ds_write2st64_b32 v9, v12, v13 offset0:8 offset1:10
	s_waitcnt lgkmcnt(4)
	v_pk_mul_f32 v[12:13], v[2:3], v[18:19]
	ds_write2st64_b32 v9, v12, v13 offset0:12 offset1:14
	ds_read2st64_b32 v[12:13], v9 offset0:20 offset1:22
	s_waitcnt lgkmcnt(3)
	v_pk_mul_f32 v[14:15], v[2:3], v[14:15]
	ds_read2st64_b32 v[16:17], v9 offset0:24 offset1:26
	ds_write2st64_b32 v9, v14, v15 offset0:16 offset1:18
	ds_read2st64_b32 v[14:15], v9 offset0:28 offset1:30
	s_waitcnt lgkmcnt(3)
	v_pk_mul_f32 v[12:13], v[2:3], v[12:13]
	ds_write2st64_b32 v9, v12, v13 offset0:20 offset1:22
	s_waitcnt lgkmcnt(3)
	v_pk_mul_f32 v[12:13], v[2:3], v[16:17]
	ds_write2st64_b32 v9, v12, v13 offset0:24 offset1:26
	s_waitcnt lgkmcnt(2)
	v_pk_mul_f32 v[12:13], v[2:3], v[14:15]
	s_add_i32 s15, s15, 16
	v_cmp_eq_u32_e32 vcc, 0, v8
	ds_write2st64_b32 v9, v12, v13 offset0:28 offset1:30
	v_add_u32_e32 v9, 0x2000, v9
	s_or_b64 s[28:29], vcc, s[28:29]
	v_mov_b32_e32 v11, s15
	s_andn2_b64 exec, exec, s[28:29]
	s_cbranch_execnz .LBB66_28
; %bb.29:
	s_or_b64 exec, exec, s[28:29]
.LBB66_30:
	s_or_b64 exec, exec, s[10:11]
	v_and_b32_e32 v5, 7, v5
	v_cmp_ne_u32_e32 vcc, 0, v5
	s_and_saveexec_b64 s[10:11], vcc
	s_cbranch_execz .LBB66_33
; %bb.31:
	v_lshlrev_b32_e32 v8, 9, v11
	v_lshlrev_b32_e32 v9, 2, v0
	s_movk_i32 s15, 0xd0
	v_add3_u32 v8, v8, v9, s15
	s_mov_b64 s[28:29], 0
.LBB66_32:                              ; =>This Inner Loop Header: Depth=1
	ds_read2st64_b32 v[12:13], v8 offset1:2
	v_add_u32_e32 v5, -1, v5
	v_cmp_eq_u32_e32 vcc, 0, v5
	s_or_b64 s[28:29], vcc, s[28:29]
	s_waitcnt lgkmcnt(0)
	v_pk_mul_f32 v[12:13], v[2:3], v[12:13]
	ds_write2st64_b32 v8, v12, v13 offset1:2
	v_add_u32_e32 v8, 0x400, v8
	s_andn2_b64 exec, exec, s[28:29]
	s_cbranch_execnz .LBB66_32
.LBB66_33:
	s_or_b64 exec, exec, s[10:11]
	v_add_u32_e32 v4, 1, v4
	v_and_b32_e32 v5, 0x3fffffe, v4
	v_cmp_ne_u32_e32 vcc, v4, v5
	v_lshl_add_u32 v3, v5, 7, v0
	s_orn2_b64 s[10:11], vcc, exec
.LBB66_34:
	s_or_b64 exec, exec, s[6:7]
	s_and_b64 exec, exec, s[10:11]
	s_cbranch_execz .LBB66_37
; %bb.35:
	v_mov_b32_e32 v4, 0xd0
	v_lshl_add_u32 v4, v3, 2, v4
	s_mov_b64 s[6:7], 0
.LBB66_36:                              ; =>This Inner Loop Header: Depth=1
	ds_read_b32 v5, v4
	v_add_u32_e32 v3, 0x80, v3
	v_cmp_le_i32_e32 vcc, s12, v3
	s_or_b64 s[6:7], vcc, s[6:7]
	s_waitcnt lgkmcnt(0)
	v_mul_f32_e32 v5, v2, v5
	ds_write_b32 v4, v5
	v_add_u32_e32 v4, 0x200, v4
	s_andn2_b64 exec, exec, s[6:7]
	s_cbranch_execnz .LBB66_36
.LBB66_37:
	s_or_b64 exec, exec, s[0:1]
	s_mov_b32 s0, 0
	s_mov_b32 s1, s0
	v_mov_b64_e32 v[8:9], s[0:1]
	s_waitcnt lgkmcnt(0)
	s_barrier
	s_and_saveexec_b64 s[6:7], s[2:3]
	s_cbranch_execz .LBB66_47
; %bb.38:
	s_ashr_i32 s15, s14, 31
	s_lshl_b64 s[2:3], s[14:15], 1
	s_add_u32 s10, s26, s2
	v_or_b32_e32 v3, 64, v7
	s_movk_i32 s2, 0x60
	s_addc_u32 s11, s27, s3
	s_add_i32 s26, s33, -1
	v_cmp_gt_u32_e32 vcc, s2, v3
	s_lshl_b64 s[2:3], s[24:25], 2
	s_add_u32 s2, s22, s2
	v_lshlrev_b32_e32 v2, 3, v7
	v_mov_b32_e32 v11, 0
	v_lshlrev_b32_e32 v4, 3, v3
	v_mov_b32_e32 v3, 0xd0
	v_and_b32_e32 v10, 60, v10
	s_addc_u32 s3, s23, s3
	s_mov_b32 s28, s13
	s_mov_b32 s27, s17
	;; [unrolled: 1-line block ×8, first 2 shown]
	v_lshlrev_b32_e32 v18, 3, v1
	v_lshl_add_u32 v19, v1, 5, v3
	v_lshl_add_u64 v[12:13], s[2:3], 0, v[10:11]
	s_mov_b64 s[12:13], 0
	v_mov_b64_e32 v[8:9], s[0:1]
	v_lshlrev_b32_e32 v14, 1, v2
	v_mov_b32_e32 v15, v11
	s_mov_b32 s22, 0x5040100
	v_lshlrev_b32_e32 v10, 1, v4
	s_branch .LBB66_41
.LBB66_39:                              ;   in Loop: Header=BB66_41 Depth=1
	s_or_b64 exec, exec, s[14:15]
	s_waitcnt vmcnt(0)
	;;#ASMSTART
	v_pk_mul_f16 v2, v23, v2;

	;;#ASMEND
	;;#ASMSTART
	v_pk_mul_f16 v3, v22, v3;

	;;#ASMEND
	;; [unrolled: 4-line block ×4, first 2 shown]
	s_nop 0
	;;#ASMSTART
	v_pk_add_f16 v2, v2, v3;

	;;#ASMEND
	s_nop 0
	;;#ASMSTART
	v_pk_add_f16 v2, v2, v4;

	;;#ASMEND
	;; [unrolled: 5-line block ×3, first 2 shown]
	s_nop 0
	v_lshrrev_b32_e32 v3, 16, v2
	v_and_b32_e32 v2, 0xffff, v2
	;;#ASMSTART
	v_cvt_f32_f16 v2, v2;
	;;#ASMEND
	;;#ASMSTART
	v_cvt_f32_f16 v3, v3;
	;;#ASMEND
	s_nop 0
	v_add_f32_e32 v2, v2, v3
	v_add_f32_e32 v9, v9, v2
.LBB66_40:                              ;   in Loop: Header=BB66_41 Depth=1
	s_or_b64 exec, exec, s[2:3]
	v_add_u32_e32 v1, 2, v1
	v_cmp_le_i32_e64 s[0:1], s33, v1
	v_add_u32_e32 v18, 16, v18
	v_add_u32_e32 v19, 64, v19
	s_or_b64 s[12:13], s[0:1], s[12:13]
	v_lshl_add_u64 v[12:13], v[12:13], 0, 8
	s_andn2_b64 exec, exec, s[12:13]
	s_cbranch_execz .LBB66_46
.LBB66_41:                              ; =>This Inner Loop Header: Depth=1
	global_load_dword v16, v[12:13], off
	ds_read2_b64 v[2:5], v19 offset1:1
	ds_read2_b64 v[26:29], v19 offset0:2 offset1:3
	s_waitcnt lgkmcnt(1)
	;;#ASMSTART
	v_cvt_f16_f32 v20, v2;

	;;#ASMEND
	;;#ASMSTART
	v_cvt_f16_f32 v21, v3;

	;;#ASMEND
	;; [unrolled: 4-line block ×4, first 2 shown]
	s_waitcnt lgkmcnt(0)
	;;#ASMSTART
	v_cvt_f16_f32 v25, v26;

	;;#ASMEND
	;;#ASMSTART
	v_cvt_f16_f32 v26, v27;

	;;#ASMEND
	;;#ASMSTART
	v_cvt_f16_f32 v27, v28;

	;;#ASMEND
	;;#ASMSTART
	v_cvt_f16_f32 v28, v29;

	;;#ASMEND
	s_waitcnt vmcnt(0)
	v_mad_i64_i32 v[2:3], s[0:1], v16, s28, 0
	v_lshl_add_u64 v[16:17], v[2:3], 1, s[10:11]
	v_lshl_add_u64 v[2:3], v[16:17], 0, v[14:15]
	global_load_dwordx4 v[2:5], v[2:3], off
	v_cmp_eq_u32_e64 s[0:1], s26, v1
	s_and_saveexec_b64 s[14:15], s[0:1]
	s_cbranch_execz .LBB66_43
; %bb.42:                               ;   in Loop: Header=BB66_41 Depth=1
	v_or_b32_e32 v33, 7, v18
	v_or_b32_e32 v34, 6, v18
	s_waitcnt vmcnt(0)
	v_lshrrev_b32_e32 v35, 16, v5
	v_cmp_gt_i32_e64 s[2:3], s36, v33
	v_or_b32_e32 v31, 5, v18
	v_or_b32_e32 v32, 4, v18
	v_cndmask_b32_e64 v33, 0, v35, s[2:3]
	v_cmp_gt_i32_e64 s[2:3], s35, v34
	v_or_b32_e32 v29, 3, v18
	v_or_b32_e32 v30, 2, v18
	v_cndmask_b32_e64 v5, 0, v5, s[2:3]
	v_perm_b32 v5, v33, v5, s22
	v_lshrrev_b32_e32 v33, 16, v4
	v_cmp_gt_i32_e64 s[2:3], s34, v31
	v_add_u32_e32 v23, 1, v18
	s_nop 0
	v_cndmask_b32_e64 v31, 0, v33, s[2:3]
	v_cmp_gt_i32_e64 s[2:3], s31, v32
	s_nop 1
	v_cndmask_b32_e64 v4, 0, v4, s[2:3]
	v_perm_b32 v4, v31, v4, s22
	v_lshrrev_b32_e32 v31, 16, v3
	v_cmp_gt_i32_e64 s[2:3], s30, v29
	s_nop 1
	v_cndmask_b32_e64 v29, 0, v31, s[2:3]
	v_cmp_gt_i32_e64 s[2:3], s29, v30
	s_nop 1
	v_cndmask_b32_e64 v3, 0, v3, s[2:3]
	v_perm_b32 v3, v29, v3, s22
	v_lshrrev_b32_e32 v29, 16, v2
	v_cmp_gt_i32_e64 s[2:3], s27, v23
	s_nop 1
	v_cndmask_b32_e64 v23, 0, v29, s[2:3]
	v_cmp_gt_i32_e64 s[2:3], s17, v18
	s_nop 1
	v_cndmask_b32_e64 v2, 0, v2, s[2:3]
	v_perm_b32 v2, v23, v2, s22
.LBB66_43:                              ;   in Loop: Header=BB66_41 Depth=1
	s_or_b64 exec, exec, s[14:15]
	v_and_b32_e32 v20, 0xffff, v20
	v_lshl_or_b32 v23, v21, 16, v20
	v_and_b32_e32 v20, 0xffff, v22
	v_lshl_or_b32 v22, v24, 16, v20
	;; [unrolled: 2-line block ×3, first 2 shown]
	v_and_b32_e32 v20, 0xffff, v27
	s_waitcnt vmcnt(0)
	;;#ASMSTART
	v_pk_mul_f16 v2, v23, v2;

	;;#ASMEND
	v_lshl_or_b32 v20, v28, 16, v20
	;;#ASMSTART
	v_pk_mul_f16 v3, v22, v3;

	;;#ASMEND
	;;#ASMSTART
	v_pk_mul_f16 v4, v21, v4;

	;;#ASMEND
	;; [unrolled: 4-line block ×3, first 2 shown]
	s_nop 0
	;;#ASMSTART
	v_pk_add_f16 v2, v2, v3;

	;;#ASMEND
	s_nop 0
	;;#ASMSTART
	v_pk_add_f16 v2, v2, v4;

	;;#ASMEND
	;; [unrolled: 5-line block ×3, first 2 shown]
	s_nop 0
	v_lshrrev_b32_e32 v3, 16, v2
	v_and_b32_e32 v2, 0xffff, v2
	;;#ASMSTART
	v_cvt_f32_f16 v2, v2;
	;;#ASMEND
	;;#ASMSTART
	v_cvt_f32_f16 v3, v3;
	;;#ASMEND
	s_nop 0
	v_add_f32_e32 v2, v2, v3
	v_add_f32_e32 v8, v8, v2
	s_and_saveexec_b64 s[2:3], vcc
	s_cbranch_execz .LBB66_40
; %bb.44:                               ;   in Loop: Header=BB66_41 Depth=1
	v_lshl_add_u64 v[2:3], v[16:17], 0, v[10:11]
	global_load_dwordx4 v[2:5], v[2:3], off
	s_and_saveexec_b64 s[14:15], s[0:1]
	s_cbranch_execz .LBB66_39
; %bb.45:                               ;   in Loop: Header=BB66_41 Depth=1
	v_or_b32_e32 v27, 7, v18
	v_or_b32_e32 v28, 6, v18
	s_waitcnt vmcnt(0)
	v_lshrrev_b32_e32 v29, 16, v5
	v_cmp_gt_i32_e64 s[0:1], s36, v27
	v_or_b32_e32 v25, 5, v18
	v_or_b32_e32 v26, 4, v18
	v_cndmask_b32_e64 v27, 0, v29, s[0:1]
	v_cmp_gt_i32_e64 s[0:1], s35, v28
	v_or_b32_e32 v17, 3, v18
	v_or_b32_e32 v24, 2, v18
	v_cndmask_b32_e64 v5, 0, v5, s[0:1]
	v_perm_b32 v5, v27, v5, s22
	v_lshrrev_b32_e32 v27, 16, v4
	v_cmp_gt_i32_e64 s[0:1], s34, v25
	v_add_u32_e32 v16, 1, v18
	s_nop 0
	v_cndmask_b32_e64 v25, 0, v27, s[0:1]
	v_cmp_gt_i32_e64 s[0:1], s31, v26
	s_nop 1
	v_cndmask_b32_e64 v4, 0, v4, s[0:1]
	v_perm_b32 v4, v25, v4, s22
	v_lshrrev_b32_e32 v25, 16, v3
	v_cmp_gt_i32_e64 s[0:1], s30, v17
	s_nop 1
	v_cndmask_b32_e64 v17, 0, v25, s[0:1]
	v_cmp_gt_i32_e64 s[0:1], s29, v24
	s_nop 1
	v_cndmask_b32_e64 v3, 0, v3, s[0:1]
	v_perm_b32 v3, v17, v3, s22
	v_lshrrev_b32_e32 v17, 16, v2
	v_cmp_gt_i32_e64 s[0:1], s27, v16
	s_nop 1
	v_cndmask_b32_e64 v16, 0, v17, s[0:1]
	v_cmp_gt_i32_e64 s[0:1], s17, v18
	s_nop 1
	v_cndmask_b32_e64 v2, 0, v2, s[0:1]
	v_perm_b32 v2, v16, v2, s22
	s_branch .LBB66_39
.LBB66_46:
	s_or_b64 exec, exec, s[12:13]
.LBB66_47:
	s_or_b64 exec, exec, s[6:7]
	v_and_b32_e32 v1, 0x3c0, v0
	v_cmp_eq_u32_e32 vcc, 64, v1
	s_barrier
	s_and_saveexec_b64 s[0:1], vcc
	s_cbranch_execz .LBB66_50
; %bb.48:
	v_mov_b32_e32 v1, 0xd0
	v_lshl_add_u32 v2, v7, 2, v1
	ds_write_b32 v2, v8
	s_and_b64 exec, exec, s[8:9]
	s_cbranch_execz .LBB66_50
; %bb.49:
	v_lshl_add_u32 v1, v0, 2, v1
	ds_write_b32 v1, v9
.LBB66_50:
	s_or_b64 exec, exec, s[0:1]
	v_cmp_gt_u32_e32 vcc, 64, v0
	v_or_b32_e32 v1, 64, v0
	s_waitcnt lgkmcnt(0)
	s_barrier
	s_and_saveexec_b64 s[2:3], vcc
	s_cbranch_execz .LBB66_54
; %bb.51:
	v_mov_b32_e32 v2, 0xd0
	v_lshl_add_u32 v0, v0, 2, v2
	ds_read_b32 v2, v0
	s_movk_i32 s0, 0x60
	v_cmp_gt_u32_e64 s[0:1], s0, v1
	s_waitcnt lgkmcnt(0)
	v_add_f32_e32 v8, v8, v2
	s_and_saveexec_b64 s[6:7], s[0:1]
	s_cbranch_execz .LBB66_53
; %bb.52:
	ds_read_b32 v0, v0 offset:256
	s_waitcnt lgkmcnt(0)
	v_add_f32_e32 v9, v9, v0
.LBB66_53:
	s_or_b64 exec, exec, s[6:7]
.LBB66_54:
	s_or_b64 exec, exec, s[2:3]
	s_barrier
	s_and_saveexec_b64 s[0:1], vcc
	s_cbranch_execz .LBB66_57
; %bb.55:
	s_mul_i32 s0, s16, s19
	s_mul_i32 s0, s0, s5
	s_mulk_i32 s0, 0x60
	s_ashr_i32 s1, s0, 31
	s_lshl_b64 s[0:1], s[0:1], 1
	s_add_u32 s3, s20, s0
	s_mul_i32 s0, s19, s18
	s_addc_u32 s5, s21, s1
	s_ashr_i32 s1, s0, 31
	s_lshl_b64 s[0:1], s[0:1], 1
	s_add_u32 s3, s3, s0
	s_mul_i32 s0, s4, 0x60
	s_addc_u32 s5, s5, s1
	s_ashr_i32 s1, s0, 31
	s_lshl_b64 s[0:1], s[0:1], 1
	s_movk_i32 s2, 0x60
	s_add_u32 s0, s3, s0
	s_addc_u32 s1, s5, s1
	v_cmp_gt_u32_e32 vcc, s2, v1
	;;#ASMSTART
	v_cvt_f16_f32 v0, v8;

	;;#ASMEND
	global_store_short v6, v0, s[0:1]
	s_and_b64 exec, exec, vcc
	s_cbranch_execz .LBB66_57
; %bb.56:
	v_mov_b32_e32 v7, 0
	v_lshl_add_u64 v[0:1], s[0:1], 0, v[6:7]
	;;#ASMSTART
	v_cvt_f16_f32 v2, v9;

	;;#ASMEND
	global_store_short v[0:1], v2, off offset:128
.LBB66_57:
	s_endpgm
	.section	.rodata,"a",@progbits
	.p2align	6, 0x0
	.amdhsa_kernel _ZN4vllm25paged_attention_v1_kernelIttLi96ELi8ELi128ELNS_18Fp8KVCacheDataTypeE0ELb0EEEvPT_PKS2_PKT0_S8_ifPKiSA_iPKfiiiSC_SC_iiiii
		.amdhsa_group_segment_fixed_size 208
		.amdhsa_private_segment_fixed_size 0
		.amdhsa_kernarg_size 384
		.amdhsa_user_sgpr_count 2
		.amdhsa_user_sgpr_dispatch_ptr 0
		.amdhsa_user_sgpr_queue_ptr 0
		.amdhsa_user_sgpr_kernarg_segment_ptr 1
		.amdhsa_user_sgpr_dispatch_id 0
		.amdhsa_user_sgpr_kernarg_preload_length 0
		.amdhsa_user_sgpr_kernarg_preload_offset 0
		.amdhsa_user_sgpr_private_segment_size 0
		.amdhsa_uses_dynamic_stack 0
		.amdhsa_enable_private_segment 0
		.amdhsa_system_sgpr_workgroup_id_x 1
		.amdhsa_system_sgpr_workgroup_id_y 1
		.amdhsa_system_sgpr_workgroup_id_z 1
		.amdhsa_system_sgpr_workgroup_info 0
		.amdhsa_system_vgpr_workitem_id 0
		.amdhsa_next_free_vgpr 41
		.amdhsa_next_free_sgpr 37
		.amdhsa_accum_offset 44
		.amdhsa_reserve_vcc 1
		.amdhsa_float_round_mode_32 0
		.amdhsa_float_round_mode_16_64 0
		.amdhsa_float_denorm_mode_32 3
		.amdhsa_float_denorm_mode_16_64 3
		.amdhsa_dx10_clamp 1
		.amdhsa_ieee_mode 1
		.amdhsa_fp16_overflow 0
		.amdhsa_tg_split 0
		.amdhsa_exception_fp_ieee_invalid_op 0
		.amdhsa_exception_fp_denorm_src 0
		.amdhsa_exception_fp_ieee_div_zero 0
		.amdhsa_exception_fp_ieee_overflow 0
		.amdhsa_exception_fp_ieee_underflow 0
		.amdhsa_exception_fp_ieee_inexact 0
		.amdhsa_exception_int_div_zero 0
	.end_amdhsa_kernel
	.section	.text._ZN4vllm25paged_attention_v1_kernelIttLi96ELi8ELi128ELNS_18Fp8KVCacheDataTypeE0ELb0EEEvPT_PKS2_PKT0_S8_ifPKiSA_iPKfiiiSC_SC_iiiii,"axG",@progbits,_ZN4vllm25paged_attention_v1_kernelIttLi96ELi8ELi128ELNS_18Fp8KVCacheDataTypeE0ELb0EEEvPT_PKS2_PKT0_S8_ifPKiSA_iPKfiiiSC_SC_iiiii,comdat
.Lfunc_end66:
	.size	_ZN4vllm25paged_attention_v1_kernelIttLi96ELi8ELi128ELNS_18Fp8KVCacheDataTypeE0ELb0EEEvPT_PKS2_PKT0_S8_ifPKiSA_iPKfiiiSC_SC_iiiii, .Lfunc_end66-_ZN4vllm25paged_attention_v1_kernelIttLi96ELi8ELi128ELNS_18Fp8KVCacheDataTypeE0ELb0EEEvPT_PKS2_PKT0_S8_ifPKiSA_iPKfiiiSC_SC_iiiii
                                        ; -- End function
	.section	.AMDGPU.csdata,"",@progbits
; Kernel info:
; codeLenInByte = 4428
; NumSgprs: 43
; NumVgprs: 41
; NumAgprs: 0
; TotalNumVgprs: 41
; ScratchSize: 0
; MemoryBound: 0
; FloatMode: 240
; IeeeMode: 1
; LDSByteSize: 208 bytes/workgroup (compile time only)
; SGPRBlocks: 5
; VGPRBlocks: 5
; NumSGPRsForWavesPerEU: 43
; NumVGPRsForWavesPerEU: 41
; AccumOffset: 44
; Occupancy: 8
; WaveLimiterHint : 1
; COMPUTE_PGM_RSRC2:SCRATCH_EN: 0
; COMPUTE_PGM_RSRC2:USER_SGPR: 2
; COMPUTE_PGM_RSRC2:TRAP_HANDLER: 0
; COMPUTE_PGM_RSRC2:TGID_X_EN: 1
; COMPUTE_PGM_RSRC2:TGID_Y_EN: 1
; COMPUTE_PGM_RSRC2:TGID_Z_EN: 1
; COMPUTE_PGM_RSRC2:TIDIG_COMP_CNT: 0
; COMPUTE_PGM_RSRC3_GFX90A:ACCUM_OFFSET: 10
; COMPUTE_PGM_RSRC3_GFX90A:TG_SPLIT: 0
	.section	.text._ZN4vllm25paged_attention_v1_kernelIttLi112ELi8ELi128ELNS_18Fp8KVCacheDataTypeE0ELb0EEEvPT_PKS2_PKT0_S8_ifPKiSA_iPKfiiiSC_SC_iiiii,"axG",@progbits,_ZN4vllm25paged_attention_v1_kernelIttLi112ELi8ELi128ELNS_18Fp8KVCacheDataTypeE0ELb0EEEvPT_PKS2_PKT0_S8_ifPKiSA_iPKfiiiSC_SC_iiiii,comdat
	.protected	_ZN4vllm25paged_attention_v1_kernelIttLi112ELi8ELi128ELNS_18Fp8KVCacheDataTypeE0ELb0EEEvPT_PKS2_PKT0_S8_ifPKiSA_iPKfiiiSC_SC_iiiii ; -- Begin function _ZN4vllm25paged_attention_v1_kernelIttLi112ELi8ELi128ELNS_18Fp8KVCacheDataTypeE0ELb0EEEvPT_PKS2_PKT0_S8_ifPKiSA_iPKfiiiSC_SC_iiiii
	.globl	_ZN4vllm25paged_attention_v1_kernelIttLi112ELi8ELi128ELNS_18Fp8KVCacheDataTypeE0ELb0EEEvPT_PKS2_PKT0_S8_ifPKiSA_iPKfiiiSC_SC_iiiii
	.p2align	8
	.type	_ZN4vllm25paged_attention_v1_kernelIttLi112ELi8ELi128ELNS_18Fp8KVCacheDataTypeE0ELb0EEEvPT_PKS2_PKT0_S8_ifPKiSA_iPKfiiiSC_SC_iiiii,@function
_ZN4vllm25paged_attention_v1_kernelIttLi112ELi8ELi128ELNS_18Fp8KVCacheDataTypeE0ELb0EEEvPT_PKS2_PKT0_S8_ifPKiSA_iPKfiiiSC_SC_iiiii: ; @_ZN4vllm25paged_attention_v1_kernelIttLi112ELi8ELi128ELNS_18Fp8KVCacheDataTypeE0ELb0EEEvPT_PKS2_PKT0_S8_ifPKiSA_iPKfiiiSC_SC_iiiii
; %bb.0:
	s_load_dword s5, s[0:1], 0x80
	s_load_dwordx2 s[6:7], s[0:1], 0x30
	s_load_dwordx2 s[10:11], s[0:1], 0x20
	s_mov_b32 s16, s3
	s_ashr_i32 s17, s3, 31
	s_lshl_b64 s[8:9], s[16:17], 2
	s_waitcnt lgkmcnt(0)
	s_add_u32 s6, s6, s8
	s_addc_u32 s7, s7, s9
	s_abs_i32 s3, s10
	v_cvt_f32_u32_e32 v1, s3
	s_xor_b32 s8, s5, s10
	s_sub_i32 s10, 0, s3
	s_abs_i32 s9, s5
	v_rcp_iflag_f32_e32 v1, v1
	s_ashr_i32 s8, s8, 31
	v_mul_f32_e32 v1, 0x4f7ffffe, v1
	v_cvt_u32_f32_e32 v1, v1
	s_nop 0
	v_readfirstlane_b32 s12, v1
	s_mul_i32 s10, s10, s12
	s_mul_hi_u32 s10, s12, s10
	s_add_i32 s12, s12, s10
	s_mul_hi_u32 s10, s9, s12
	s_mul_i32 s12, s10, s3
	s_sub_i32 s9, s9, s12
	s_add_i32 s12, s10, 1
	s_sub_i32 s13, s9, s3
	s_cmp_ge_u32 s9, s3
	s_cselect_b32 s10, s12, s10
	s_cselect_b32 s9, s13, s9
	s_add_i32 s12, s10, 1
	s_cmp_ge_u32 s9, s3
	s_cselect_b32 s3, s12, s10
	s_xor_b32 s3, s3, s8
	s_sub_i32 s12, s3, s8
	s_abs_i32 s20, s12
	v_cvt_f32_u32_e32 v1, s20
	s_load_dwordx2 s[8:9], s[0:1], 0x40
	s_sub_i32 s3, 0, s20
	s_abs_i32 s21, s2
	v_rcp_iflag_f32_e32 v1, v1
	s_mov_b32 s10, 0
	v_mul_f32_e32 v1, 0x4f7ffffe, v1
	v_cvt_u32_f32_e32 v1, v1
	s_nop 0
	v_readfirstlane_b32 s13, v1
	s_mul_i32 s3, s3, s13
	s_mul_hi_u32 s3, s13, s3
	s_add_i32 s13, s13, s3
	s_waitcnt lgkmcnt(0)
	s_cmp_eq_u64 s[8:9], 0
	s_mul_hi_u32 s24, s21, s13
	s_cbranch_scc1 .LBB67_2
; %bb.1:
	s_ashr_i32 s3, s2, 31
	s_lshl_b64 s[14:15], s[2:3], 2
	s_add_u32 s8, s8, s14
	s_addc_u32 s9, s9, s15
	s_load_dword s10, s[8:9], 0x0
.LBB67_2:
	s_load_dword s17, s[6:7], 0x0
	s_ashr_i32 s9, s12, 31
	s_load_dwordx4 s[12:15], s[0:1], 0x48
	s_movk_i32 s3, 0x70
	s_ashr_i32 s8, s2, 31
	v_and_b32_e32 v4, 7, v0
	s_mul_i32 s18, s2, 0x70
	v_cmp_gt_u32_e64 s[6:7], s3, v0
	v_lshlrev_b32_e32 v6, 1, v0
	s_and_saveexec_b64 s[2:3], s[6:7]
	s_cbranch_execz .LBB67_4
; %bb.3:
	s_load_dwordx2 s[22:23], s[0:1], 0x8
	s_waitcnt lgkmcnt(0)
	s_mul_i32 s26, s16, s12
	s_ashr_i32 s27, s26, 31
	s_lshl_b64 s[26:27], s[26:27], 1
	v_lshrrev_b32_e32 v2, 2, v0
	s_add_u32 s12, s22, s26
	s_addc_u32 s15, s23, s27
	s_ashr_i32 s19, s18, 31
	s_lshl_b64 s[22:23], s[18:19], 1
	s_add_u32 s22, s12, s22
	s_addc_u32 s23, s15, s23
	global_load_ushort v1, v6, s[22:23]
	v_and_b32_e32 v2, 0xfe, v2
	v_mad_u32_u24 v2, v4, 28, v2
	s_waitcnt vmcnt(0)
	ds_write_b16 v2, v1
.LBB67_4:
	s_or_b64 exec, exec, s[2:3]
	s_waitcnt lgkmcnt(0)
	s_add_i32 s3, s17, 7
	s_ashr_i32 s12, s3, 31
	s_lshr_b32 s12, s12, 29
	s_add_i32 s3, s3, s12
	s_ashr_i32 s33, s3, 3
	s_xor_b32 s3, s8, s9
	s_mul_i32 s8, s24, s20
	s_sub_i32 s8, s21, s8
	s_add_i32 s9, s24, 1
	s_sub_i32 s12, s8, s20
	s_load_dwordx2 s[22:23], s[0:1], 0x28
	s_load_dword s2, s[0:1], 0x38
	s_cmp_ge_u32 s8, s20
	s_cselect_b32 s9, s9, s24
	s_cselect_b32 s8, s12, s8
	s_add_i32 s12, s9, 1
	s_cmp_ge_u32 s8, s20
	s_cselect_b32 s8, s12, s9
	v_lshrrev_b32_e32 v1, 6, v0
	s_xor_b32 s8, s8, s3
	s_waitcnt lgkmcnt(0)
	s_mul_i32 s24, s16, s2
	s_sub_i32 s12, s8, s3
	s_ashr_i32 s25, s24, 31
	v_cmp_gt_i32_e64 s[2:3], s33, v1
	v_cmp_le_i32_e32 vcc, s33, v1
	v_mbcnt_lo_u32_b32 v14, -1, 0
	s_barrier
	s_waitcnt lgkmcnt(0)
                                        ; implicit-def: $sgpr15
                                        ; implicit-def: $vgpr8
                                        ; implicit-def: $vgpr9
	s_and_saveexec_b64 s[8:9], vcc
	s_xor_b64 s[8:9], exec, s[8:9]
; %bb.5:
	v_mbcnt_hi_u32_b32 v8, -1, v14
	v_and_b32_e32 v2, 64, v8
	v_add_u32_e32 v9, 64, v2
	s_mov_b32 s15, 0xff7fffff
                                        ; implicit-def: $vgpr4
                                        ; implicit-def: $vgpr14
; %bb.6:
	s_or_saveexec_b64 s[28:29], s[8:9]
	s_load_dwordx2 s[20:21], s[0:1], 0x0
	s_load_dwordx2 s[26:27], s[0:1], 0x18
	s_load_dword s19, s[0:1], 0x88
	v_mov_b32_e32 v10, s15
	s_mul_i32 s14, s12, s14
	v_lshrrev_b32_e32 v7, 4, v0
	s_xor_b64 exec, exec, s[28:29]
	s_cbranch_execz .LBB67_12
; %bb.7:
	s_load_dwordx2 s[0:1], s[0:1], 0x10
	s_ashr_i32 s15, s14, 31
	s_lshl_b64 s[8:9], s[14:15], 1
	v_bfe_u32 v5, v0, 3, 3
	v_lshlrev_b32_e32 v8, 4, v5
	s_waitcnt lgkmcnt(0)
	s_add_u32 s0, s0, s8
	s_addc_u32 s1, s1, s9
	v_mov_b32_e32 v9, 0
	s_sub_i32 s15, 1, s17
	s_lshl_b64 s[8:9], s[24:25], 2
	v_lshl_add_u64 v[2:3], s[0:1], 0, v[8:9]
	v_lshlrev_b32_e32 v8, 1, v4
	v_mul_u32_u24_e32 v11, 28, v4
	v_cmp_eq_u32_e32 vcc, 0, v4
	v_lshlrev_b32_e32 v4, 2, v5
	s_add_u32 s8, s22, s8
	v_lshl_add_u64 v[2:3], v[2:3], 0, v[8:9]
	v_lshl_or_b32 v4, v1, 5, v4
	v_and_b32_e32 v8, 60, v7
	s_addc_u32 s9, s23, s9
	v_lshl_or_b32 v12, v1, 3, v5
	v_add_u32_e32 v13, 0xf0, v4
	v_lshl_add_u64 v[4:5], s[8:9], 0, v[8:9]
	v_mbcnt_hi_u32_b32 v8, -1, v14
	v_and_b32_e32 v9, 64, v8
	s_mov_b32 s12, s13
	v_cmp_neq_f32_e64 s[0:1], s10, 0
	s_mov_b64 s[30:31], 0
	v_mov_b32_e32 v10, 0xff7fffff
	v_add_u32_e32 v9, 64, v9
	v_xor_b32_e32 v14, 4, v8
	v_xor_b32_e32 v15, 2, v8
	;; [unrolled: 1-line block ×3, first 2 shown]
	v_mov_b32_e32 v17, v1
	s_branch .LBB67_9
.LBB67_8:                               ;   in Loop: Header=BB67_9 Depth=1
	s_or_b64 exec, exec, s[34:35]
	v_add_u32_e32 v17, 2, v17
	v_cmp_le_i32_e64 s[8:9], s33, v17
	v_add_u32_e32 v12, 16, v12
	v_add_u32_e32 v13, 64, v13
	s_or_b64 s[30:31], s[8:9], s[30:31]
	v_lshl_add_u64 v[4:5], v[4:5], 0, 8
	s_andn2_b64 exec, exec, s[30:31]
	s_cbranch_execz .LBB67_11
.LBB67_9:                               ; =>This Inner Loop Header: Depth=1
	global_load_dword v18, v[4:5], off
	s_waitcnt vmcnt(0) lgkmcnt(0)
	v_mad_i64_i32 v[18:19], s[8:9], v18, s12, 0
	v_lshl_add_u64 v[18:19], v[18:19], 1, v[2:3]
	global_load_ushort v20, v[18:19], off
	global_load_ushort v21, v[18:19], off offset:128
	global_load_ushort v22, v[18:19], off offset:256
	;; [unrolled: 1-line block ×10, first 2 shown]
	ds_read_u16 v31, v11
	global_load_ushort v32, v[18:19], off offset:1408
	global_load_ushort v33, v[18:19], off offset:1536
	;; [unrolled: 1-line block ×3, first 2 shown]
	s_waitcnt lgkmcnt(0)
	;;#ASMSTART
	v_cvt_f32_f16 v18, v31;
	;;#ASMEND
	v_cmp_lt_i32_e64 s[8:9], v14, v9
	s_waitcnt vmcnt(13)
	;;#ASMSTART
	v_cvt_f32_f16 v19, v20;
	;;#ASMEND
	ds_read_u16 v20, v11 offset:2
	s_waitcnt lgkmcnt(0)
	;;#ASMSTART
	v_cvt_f32_f16 v20, v20;
	;;#ASMEND
	s_waitcnt vmcnt(12)
	;;#ASMSTART
	v_cvt_f32_f16 v21, v21;
	;;#ASMEND
	ds_read_u16 v31, v11 offset:4
	v_mul_f32_e32 v20, v20, v21
	v_fmac_f32_e32 v20, v18, v19
	s_waitcnt lgkmcnt(0)
	;;#ASMSTART
	v_cvt_f32_f16 v31, v31;
	;;#ASMEND
	s_waitcnt vmcnt(11)
	;;#ASMSTART
	v_cvt_f32_f16 v22, v22;
	;;#ASMEND
	ds_read_u16 v35, v11 offset:6
	v_fmac_f32_e32 v20, v31, v22
	s_waitcnt lgkmcnt(0)
	;;#ASMSTART
	v_cvt_f32_f16 v35, v35;
	;;#ASMEND
	s_waitcnt vmcnt(10)
	;;#ASMSTART
	v_cvt_f32_f16 v23, v23;
	;;#ASMEND
	ds_read_u16 v36, v11 offset:8
	;; [unrolled: 10-line block ×10, first 2 shown]
	v_fmac_f32_e32 v20, v18, v19
	v_cndmask_b32_e64 v43, v8, v14, s[8:9]
	s_waitcnt lgkmcnt(0)
	;;#ASMSTART
	v_cvt_f32_f16 v22, v22;
	;;#ASMEND
	s_waitcnt vmcnt(1)
	;;#ASMSTART
	v_cvt_f32_f16 v23, v33;
	;;#ASMEND
	v_lshlrev_b32_e32 v43, 2, v43
	v_fmac_f32_e32 v20, v22, v23
	ds_read_u16 v24, v11 offset:26
	s_waitcnt lgkmcnt(0)
	;;#ASMSTART
	v_cvt_f32_f16 v18, v24;
	;;#ASMEND
	s_waitcnt vmcnt(0)
	;;#ASMSTART
	v_cvt_f32_f16 v19, v34;
	;;#ASMEND
	v_cmp_lt_i32_e64 s[8:9], v15, v9
	v_fmac_f32_e32 v20, v18, v19
	ds_bpermute_b32 v18, v43, v20
	v_cndmask_b32_e64 v19, v8, v15, s[8:9]
	v_lshlrev_b32_e32 v19, 2, v19
	v_cmp_lt_i32_e64 s[8:9], v16, v9
	s_waitcnt lgkmcnt(0)
	v_add_f32_e32 v18, v20, v18
	ds_bpermute_b32 v19, v19, v18
	v_cndmask_b32_e64 v20, v8, v16, s[8:9]
	s_waitcnt lgkmcnt(0)
	v_add_f32_e32 v18, v18, v19
	v_lshlrev_b32_e32 v19, 2, v20
	ds_bpermute_b32 v19, v19, v18
	s_and_saveexec_b64 s[34:35], vcc
	s_cbranch_execz .LBB67_8
; %bb.10:                               ;   in Loop: Header=BB67_9 Depth=1
	v_add_u32_e32 v20, s15, v12
	v_cvt_f32_i32_e32 v20, v20
	s_waitcnt lgkmcnt(0)
	v_add_f32_e32 v18, v18, v19
	v_cmp_gt_i32_e64 s[8:9], s17, v12
	v_max_f32_e32 v19, v10, v10
	v_mul_f32_e32 v20, s10, v20
	v_cndmask_b32_e64 v20, 0, v20, s[0:1]
	v_fmac_f32_e32 v20, s11, v18
	v_cndmask_b32_e64 v18, 0, v20, s[8:9]
	ds_write_b32 v13, v18
	v_max_f32_e32 v18, v19, v20
	v_cndmask_b32_e64 v10, v10, v18, s[8:9]
	s_branch .LBB67_8
.LBB67_11:
	s_or_b64 exec, exec, s[30:31]
.LBB67_12:
	s_or_b64 exec, exec, s[28:29]
	v_xor_b32_e32 v2, 32, v8
	v_cmp_lt_i32_e32 vcc, v2, v9
	v_xor_b32_e32 v5, 16, v8
	v_max_f32_e32 v4, v10, v10
	v_cndmask_b32_e32 v2, v8, v2, vcc
	v_lshlrev_b32_e32 v3, 2, v2
	ds_bpermute_b32 v2, v3, v10
	v_cmp_lt_i32_e32 vcc, v5, v9
	v_xor_b32_e32 v10, 8, v8
	v_and_b32_e32 v16, 63, v0
	s_waitcnt lgkmcnt(0)
	v_max_f32_e32 v2, v2, v2
	v_max_f32_e32 v2, v4, v2
	v_cndmask_b32_e32 v4, v8, v5, vcc
	v_lshlrev_b32_e32 v5, 2, v4
	ds_bpermute_b32 v4, v5, v2
	v_cmp_lt_i32_e32 vcc, v10, v9
	s_waitcnt lgkmcnt(0)
	v_max_f32_e32 v4, v4, v4
	v_max_f32_e32 v4, v2, v4
	v_cndmask_b32_e32 v2, v8, v10, vcc
	v_lshlrev_b32_e32 v11, 2, v2
	ds_bpermute_b32 v10, v11, v4
	v_cmp_eq_u32_e32 vcc, 0, v16
	v_lshlrev_b32_e32 v2, 2, v1
	s_and_saveexec_b64 s[0:1], vcc
	s_cbranch_execz .LBB67_14
; %bb.13:
	s_waitcnt lgkmcnt(0)
	v_max_f32_e32 v10, v10, v10
	v_max_f32_e32 v4, v4, v4
	;; [unrolled: 1-line block ×3, first 2 shown]
	ds_write_b32 v2, v4 offset:224
.LBB67_14:
	s_or_b64 exec, exec, s[0:1]
	v_cmp_gt_u32_e64 s[0:1], 2, v16
	v_mov_b32_e32 v12, 0xff7fffff
	v_lshlrev_b32_e32 v4, 2, v16
	s_waitcnt lgkmcnt(0)
	s_barrier
	s_and_saveexec_b64 s[8:9], s[0:1]
	s_cbranch_execz .LBB67_16
; %bb.15:
	ds_read_b32 v12, v4 offset:224
.LBB67_16:
	s_or_b64 exec, exec, s[8:9]
	v_xor_b32_e32 v10, 1, v8
	v_cmp_lt_i32_e64 s[8:9], v10, v9
	v_lshlrev_b32_e32 v14, 2, v8
	s_nop 0
	v_cndmask_b32_e64 v10, v8, v10, s[8:9]
	v_lshlrev_b32_e32 v10, 2, v10
	s_waitcnt lgkmcnt(0)
	ds_bpermute_b32 v13, v10, v12
	v_max_f32_e32 v12, v12, v12
	s_lshl_b32 s8, s33, 3
	s_min_i32 s12, s8, s17
	v_cmp_gt_i32_e64 s[8:9], s12, v0
	s_waitcnt lgkmcnt(0)
	v_max_f32_e32 v13, v13, v13
	v_max_f32_e32 v13, v12, v13
	v_and_b32_e32 v12, 0xffffff00, v14
	ds_bpermute_b32 v14, v12, v13
	v_mov_b32_e32 v13, 0
	s_and_saveexec_b64 s[28:29], s[8:9]
	s_cbranch_execz .LBB67_20
; %bb.17:
	v_mov_b32_e32 v13, 0xf0
	v_lshl_add_u32 v15, v0, 2, v13
	s_mov_b64 s[30:31], 0
	v_mov_b32_e32 v13, 0
	v_mov_b32_e32 v17, v0
.LBB67_18:                              ; =>This Inner Loop Header: Depth=1
	ds_read_b32 v18, v15
	v_add_u32_e32 v17, 0x80, v17
	v_cmp_le_i32_e64 s[10:11], s12, v17
	s_or_b64 s[30:31], s[10:11], s[30:31]
	s_waitcnt lgkmcnt(0)
	v_sub_f32_e32 v18, v18, v14
	v_mul_f32_e32 v18, 0x3fb8aa3b, v18
	v_exp_f32_e32 v18, v18
	ds_write_b32 v15, v18
	v_add_f32_e32 v13, v13, v18
	v_add_u32_e32 v15, 0x200, v15
	s_andn2_b64 exec, exec, s[30:31]
	s_cbranch_execnz .LBB67_18
; %bb.19:
	s_or_b64 exec, exec, s[30:31]
.LBB67_20:
	s_or_b64 exec, exec, s[28:29]
	ds_bpermute_b32 v3, v3, v13
	s_waitcnt lgkmcnt(0)
	v_add_f32_e32 v3, v13, v3
	ds_bpermute_b32 v5, v5, v3
	s_waitcnt lgkmcnt(0)
	v_add_f32_e32 v3, v3, v5
	ds_bpermute_b32 v5, v11, v3
	v_xor_b32_e32 v11, 4, v8
	v_cmp_lt_i32_e64 s[10:11], v11, v9
	s_waitcnt lgkmcnt(0)
	v_add_f32_e32 v3, v3, v5
	v_cndmask_b32_e64 v11, v8, v11, s[10:11]
	v_lshlrev_b32_e32 v11, 2, v11
	ds_bpermute_b32 v5, v11, v3
	v_xor_b32_e32 v11, 2, v8
	v_cmp_lt_i32_e64 s[10:11], v11, v9
	s_waitcnt lgkmcnt(0)
	v_add_f32_e32 v3, v3, v5
	v_cndmask_b32_e64 v8, v8, v11, s[10:11]
	v_lshlrev_b32_e32 v5, 2, v8
	ds_bpermute_b32 v5, v5, v3
	s_waitcnt lgkmcnt(0)
	v_add_f32_e32 v3, v3, v5
	ds_bpermute_b32 v5, v10, v3
	s_waitcnt lgkmcnt(0)
	v_add_f32_e32 v3, v3, v5
	s_and_saveexec_b64 s[10:11], vcc
	s_cbranch_execz .LBB67_22
; %bb.21:
	ds_write_b32 v2, v3 offset:232
.LBB67_22:
	s_or_b64 exec, exec, s[10:11]
	s_waitcnt lgkmcnt(0)
	s_barrier
	s_and_saveexec_b64 s[10:11], s[0:1]
	s_cbranch_execz .LBB67_24
; %bb.23:
	ds_read_b32 v3, v4 offset:232
.LBB67_24:
	s_or_b64 exec, exec, s[10:11]
	s_waitcnt lgkmcnt(0)
	ds_bpermute_b32 v2, v10, v3
	s_waitcnt lgkmcnt(0)
	v_add_f32_e32 v2, v3, v2
	ds_bpermute_b32 v2, v12, v2
	s_and_saveexec_b64 s[0:1], s[8:9]
	s_cbranch_execz .LBB67_37
; %bb.25:
	s_waitcnt lgkmcnt(0)
	v_add_f32_e32 v2, 0x358637bd, v2
	v_div_scale_f32 v3, s[8:9], v2, v2, 1.0
	v_rcp_f32_e32 v4, v3
	v_div_scale_f32 v5, vcc, 1.0, v2, 1.0
	s_movk_i32 s8, 0x7f
	v_fma_f32 v8, -v3, v4, 1.0
	v_fmac_f32_e32 v4, v8, v4
	v_mul_f32_e32 v8, v5, v4
	v_fma_f32 v9, -v3, v8, v5
	v_fmac_f32_e32 v8, v9, v4
	v_fma_f32 v3, -v3, v8, v5
	v_div_fmas_f32 v3, v3, v4, v8
	v_xad_u32 v4, v0, -1, s12
	v_div_fixup_f32 v2, v3, v2, 1.0
	v_cmp_lt_u32_e32 vcc, s8, v4
	s_mov_b64 s[10:11], -1
	v_mov_b32_e32 v3, v0
	s_and_saveexec_b64 s[8:9], vcc
	s_cbranch_execz .LBB67_34
; %bb.26:
	v_lshrrev_b32_e32 v4, 7, v4
	v_add_u32_e32 v8, -1, v4
	v_lshrrev_b32_e32 v5, 1, v8
	v_mov_b32_e32 v3, v2
	v_add_u32_e32 v5, 1, v5
	v_cmp_lt_u32_e32 vcc, 13, v8
	v_mov_b32_e32 v10, 0
	s_and_saveexec_b64 s[10:11], vcc
	s_cbranch_execz .LBB67_30
; %bb.27:
	v_mov_b32_e32 v9, 0xf0
	v_and_b32_e32 v8, -8, v5
	v_lshl_add_u32 v9, v0, 2, v9
	s_mov_b32 s15, 0
	s_mov_b64 s[28:29], 0
.LBB67_28:                              ; =>This Inner Loop Header: Depth=1
	ds_read2st64_b32 v[10:11], v9 offset1:2
	ds_read2st64_b32 v[12:13], v9 offset0:4 offset1:6
	ds_read2st64_b32 v[14:15], v9 offset0:8 offset1:10
	;; [unrolled: 1-line block ×3, first 2 shown]
	v_add_u32_e32 v8, -8, v8
	s_waitcnt lgkmcnt(3)
	v_pk_mul_f32 v[10:11], v[2:3], v[10:11]
	s_waitcnt lgkmcnt(2)
	v_pk_mul_f32 v[12:13], v[2:3], v[12:13]
	ds_write2st64_b32 v9, v10, v11 offset1:2
	ds_write2st64_b32 v9, v12, v13 offset0:4 offset1:6
	ds_read2st64_b32 v[12:13], v9 offset0:16 offset1:18
	s_waitcnt lgkmcnt(4)
	v_pk_mul_f32 v[10:11], v[2:3], v[14:15]
	ds_write2st64_b32 v9, v10, v11 offset0:8 offset1:10
	s_waitcnt lgkmcnt(4)
	v_pk_mul_f32 v[10:11], v[2:3], v[18:19]
	ds_write2st64_b32 v9, v10, v11 offset0:12 offset1:14
	ds_read2st64_b32 v[10:11], v9 offset0:20 offset1:22
	s_waitcnt lgkmcnt(3)
	v_pk_mul_f32 v[12:13], v[2:3], v[12:13]
	ds_read2st64_b32 v[14:15], v9 offset0:24 offset1:26
	ds_write2st64_b32 v9, v12, v13 offset0:16 offset1:18
	ds_read2st64_b32 v[12:13], v9 offset0:28 offset1:30
	s_waitcnt lgkmcnt(3)
	v_pk_mul_f32 v[10:11], v[2:3], v[10:11]
	ds_write2st64_b32 v9, v10, v11 offset0:20 offset1:22
	s_waitcnt lgkmcnt(3)
	v_pk_mul_f32 v[10:11], v[2:3], v[14:15]
	ds_write2st64_b32 v9, v10, v11 offset0:24 offset1:26
	s_waitcnt lgkmcnt(2)
	v_pk_mul_f32 v[10:11], v[2:3], v[12:13]
	s_add_i32 s15, s15, 16
	v_cmp_eq_u32_e32 vcc, 0, v8
	ds_write2st64_b32 v9, v10, v11 offset0:28 offset1:30
	v_add_u32_e32 v9, 0x2000, v9
	s_or_b64 s[28:29], vcc, s[28:29]
	v_mov_b32_e32 v10, s15
	s_andn2_b64 exec, exec, s[28:29]
	s_cbranch_execnz .LBB67_28
; %bb.29:
	s_or_b64 exec, exec, s[28:29]
.LBB67_30:
	s_or_b64 exec, exec, s[10:11]
	v_and_b32_e32 v5, 7, v5
	v_cmp_ne_u32_e32 vcc, 0, v5
	s_and_saveexec_b64 s[10:11], vcc
	s_cbranch_execz .LBB67_33
; %bb.31:
	v_lshlrev_b32_e32 v8, 9, v10
	v_lshlrev_b32_e32 v9, 2, v0
	s_movk_i32 s15, 0xf0
	v_add3_u32 v8, v8, v9, s15
	s_mov_b64 s[28:29], 0
.LBB67_32:                              ; =>This Inner Loop Header: Depth=1
	ds_read2st64_b32 v[10:11], v8 offset1:2
	v_add_u32_e32 v5, -1, v5
	v_cmp_eq_u32_e32 vcc, 0, v5
	s_or_b64 s[28:29], vcc, s[28:29]
	s_waitcnt lgkmcnt(0)
	v_pk_mul_f32 v[10:11], v[2:3], v[10:11]
	ds_write2st64_b32 v8, v10, v11 offset1:2
	v_add_u32_e32 v8, 0x400, v8
	s_andn2_b64 exec, exec, s[28:29]
	s_cbranch_execnz .LBB67_32
.LBB67_33:
	s_or_b64 exec, exec, s[10:11]
	v_add_u32_e32 v4, 1, v4
	v_and_b32_e32 v5, 0x3fffffe, v4
	v_cmp_ne_u32_e32 vcc, v4, v5
	v_lshl_add_u32 v3, v5, 7, v0
	s_orn2_b64 s[10:11], vcc, exec
.LBB67_34:
	s_or_b64 exec, exec, s[8:9]
	s_and_b64 exec, exec, s[10:11]
	s_cbranch_execz .LBB67_37
; %bb.35:
	v_mov_b32_e32 v4, 0xf0
	v_lshl_add_u32 v4, v3, 2, v4
	s_mov_b64 s[8:9], 0
.LBB67_36:                              ; =>This Inner Loop Header: Depth=1
	ds_read_b32 v5, v4
	v_add_u32_e32 v3, 0x80, v3
	v_cmp_le_i32_e32 vcc, s12, v3
	s_or_b64 s[8:9], vcc, s[8:9]
	s_waitcnt lgkmcnt(0)
	v_mul_f32_e32 v5, v2, v5
	ds_write_b32 v4, v5
	v_add_u32_e32 v4, 0x200, v4
	s_andn2_b64 exec, exec, s[8:9]
	s_cbranch_execnz .LBB67_36
.LBB67_37:
	s_or_b64 exec, exec, s[0:1]
	v_mov_b32_e32 v18, 0
	v_mov_b32_e32 v17, 0
	s_waitcnt lgkmcnt(0)
	s_barrier
	s_and_saveexec_b64 s[8:9], s[2:3]
	s_cbranch_execz .LBB67_47
; %bb.38:
	s_ashr_i32 s15, s14, 31
	s_lshl_b64 s[0:1], s[14:15], 1
	s_add_u32 s10, s26, s0
	v_or_b32_e32 v3, 64, v16
	s_movk_i32 s0, 0x70
	s_addc_u32 s11, s27, s1
	s_add_i32 s26, s33, -1
	v_cmp_gt_u32_e32 vcc, s0, v3
	s_lshl_b64 s[0:1], s[24:25], 2
	s_add_u32 s0, s22, s0
	v_lshlrev_b32_e32 v2, 3, v16
	v_mov_b32_e32 v9, 0
	v_lshlrev_b32_e32 v4, 3, v3
	v_mov_b32_e32 v3, 0xf0
	v_and_b32_e32 v8, 60, v7
	s_addc_u32 s1, s23, s1
	s_mov_b32 s28, s13
	s_mov_b32 s27, s17
	;; [unrolled: 1-line block ×8, first 2 shown]
	v_lshlrev_b32_e32 v19, 3, v1
	v_lshl_add_u32 v20, v1, 5, v3
	v_lshl_add_u64 v[10:11], s[0:1], 0, v[8:9]
	s_mov_b64 s[12:13], 0
	v_lshlrev_b32_e32 v12, 1, v2
	v_mov_b32_e32 v13, v9
	s_mov_b32 s22, 0x5040100
	v_lshlrev_b32_e32 v8, 1, v4
	v_mov_b32_e32 v17, v9
	v_mov_b32_e32 v18, v9
	s_branch .LBB67_41
.LBB67_39:                              ;   in Loop: Header=BB67_41 Depth=1
	s_or_b64 exec, exec, s[14:15]
	s_waitcnt vmcnt(0)
	;;#ASMSTART
	v_pk_mul_f16 v2, v25, v2;

	;;#ASMEND
	;;#ASMSTART
	v_pk_mul_f16 v3, v24, v3;

	;;#ASMEND
	;; [unrolled: 4-line block ×4, first 2 shown]
	s_nop 0
	;;#ASMSTART
	v_pk_add_f16 v2, v2, v3;

	;;#ASMEND
	s_nop 0
	;;#ASMSTART
	v_pk_add_f16 v2, v2, v4;

	;;#ASMEND
	;; [unrolled: 5-line block ×3, first 2 shown]
	s_nop 0
	v_lshrrev_b32_e32 v3, 16, v2
	v_and_b32_e32 v2, 0xffff, v2
	;;#ASMSTART
	v_cvt_f32_f16 v2, v2;
	;;#ASMEND
	;;#ASMSTART
	v_cvt_f32_f16 v3, v3;
	;;#ASMEND
	s_nop 0
	v_add_f32_e32 v2, v2, v3
	v_add_f32_e32 v17, v17, v2
.LBB67_40:                              ;   in Loop: Header=BB67_41 Depth=1
	s_or_b64 exec, exec, s[2:3]
	v_add_u32_e32 v1, 2, v1
	v_add_f32_e32 v2, v7, v21
	v_cmp_le_i32_e64 s[0:1], s33, v1
	v_add_f32_e32 v18, v18, v2
	v_add_u32_e32 v19, 16, v19
	v_add_u32_e32 v20, 64, v20
	s_or_b64 s[12:13], s[0:1], s[12:13]
	v_lshl_add_u64 v[10:11], v[10:11], 0, 8
	s_andn2_b64 exec, exec, s[12:13]
	s_cbranch_execz .LBB67_46
.LBB67_41:                              ; =>This Inner Loop Header: Depth=1
	global_load_dword v14, v[10:11], off
	ds_read2_b64 v[2:5], v20 offset1:1
	ds_read2_b64 v[26:29], v20 offset0:2 offset1:3
	s_waitcnt lgkmcnt(1)
	;;#ASMSTART
	v_cvt_f16_f32 v7, v2;

	;;#ASMEND
	;;#ASMSTART
	v_cvt_f16_f32 v21, v3;

	;;#ASMEND
	;; [unrolled: 4-line block ×4, first 2 shown]
	s_waitcnt lgkmcnt(0)
	;;#ASMSTART
	v_cvt_f16_f32 v26, v26;

	;;#ASMEND
	;;#ASMSTART
	v_cvt_f16_f32 v27, v27;

	;;#ASMEND
	;; [unrolled: 4-line block ×4, first 2 shown]
	s_waitcnt vmcnt(0)
	v_mad_i64_i32 v[2:3], s[0:1], v14, s28, 0
	v_lshl_add_u64 v[14:15], v[2:3], 1, s[10:11]
	v_lshl_add_u64 v[2:3], v[14:15], 0, v[12:13]
	global_load_dwordx4 v[2:5], v[2:3], off
	v_cmp_eq_u32_e64 s[0:1], s26, v1
	s_and_saveexec_b64 s[14:15], s[0:1]
	s_cbranch_execz .LBB67_43
; %bb.42:                               ;   in Loop: Header=BB67_41 Depth=1
	v_or_b32_e32 v33, 7, v19
	v_or_b32_e32 v34, 6, v19
	s_waitcnt vmcnt(0)
	v_lshrrev_b32_e32 v35, 16, v5
	v_cmp_gt_i32_e64 s[2:3], s36, v33
	v_or_b32_e32 v31, 5, v19
	v_or_b32_e32 v32, 4, v19
	v_cndmask_b32_e64 v33, 0, v35, s[2:3]
	v_cmp_gt_i32_e64 s[2:3], s35, v34
	v_or_b32_e32 v25, 3, v19
	v_or_b32_e32 v30, 2, v19
	v_cndmask_b32_e64 v5, 0, v5, s[2:3]
	v_perm_b32 v5, v33, v5, s22
	v_lshrrev_b32_e32 v33, 16, v4
	v_cmp_gt_i32_e64 s[2:3], s34, v31
	v_add_u32_e32 v24, 1, v19
	s_nop 0
	v_cndmask_b32_e64 v31, 0, v33, s[2:3]
	v_cmp_gt_i32_e64 s[2:3], s31, v32
	s_nop 1
	v_cndmask_b32_e64 v4, 0, v4, s[2:3]
	v_perm_b32 v4, v31, v4, s22
	v_lshrrev_b32_e32 v31, 16, v3
	v_cmp_gt_i32_e64 s[2:3], s30, v25
	s_nop 1
	v_cndmask_b32_e64 v25, 0, v31, s[2:3]
	v_cmp_gt_i32_e64 s[2:3], s29, v30
	s_nop 1
	v_cndmask_b32_e64 v3, 0, v3, s[2:3]
	v_perm_b32 v3, v25, v3, s22
	v_lshrrev_b32_e32 v25, 16, v2
	v_cmp_gt_i32_e64 s[2:3], s27, v24
	s_nop 1
	v_cndmask_b32_e64 v24, 0, v25, s[2:3]
	v_cmp_gt_i32_e64 s[2:3], s17, v19
	s_nop 1
	v_cndmask_b32_e64 v2, 0, v2, s[2:3]
	v_perm_b32 v2, v24, v2, s22
.LBB67_43:                              ;   in Loop: Header=BB67_41 Depth=1
	s_or_b64 exec, exec, s[14:15]
	v_and_b32_e32 v7, 0xffff, v7
	v_lshl_or_b32 v25, v21, 16, v7
	v_and_b32_e32 v7, 0xffff, v22
	v_lshl_or_b32 v24, v23, 16, v7
	;; [unrolled: 2-line block ×3, first 2 shown]
	v_and_b32_e32 v7, 0xffff, v28
	s_waitcnt vmcnt(0)
	;;#ASMSTART
	v_pk_mul_f16 v2, v25, v2;

	;;#ASMEND
	v_lshl_or_b32 v22, v29, 16, v7
	;;#ASMSTART
	v_pk_mul_f16 v3, v24, v3;

	;;#ASMEND
	;;#ASMSTART
	v_pk_mul_f16 v4, v23, v4;

	;;#ASMEND
	;;#ASMSTART
	v_pk_mul_f16 v5, v22, v5;

	;;#ASMEND
	s_nop 0
	;;#ASMSTART
	v_pk_add_f16 v2, v2, v3;

	;;#ASMEND
	s_nop 0
	;;#ASMSTART
	v_pk_add_f16 v2, v2, v4;

	;;#ASMEND
	;; [unrolled: 5-line block ×3, first 2 shown]
	s_nop 0
	v_lshrrev_b32_e32 v3, 16, v2
	v_and_b32_e32 v2, 0xffff, v2
	;;#ASMSTART
	v_cvt_f32_f16 v7, v2;
	;;#ASMEND
	;;#ASMSTART
	v_cvt_f32_f16 v21, v3;
	;;#ASMEND
	s_and_saveexec_b64 s[2:3], vcc
	s_cbranch_execz .LBB67_40
; %bb.44:                               ;   in Loop: Header=BB67_41 Depth=1
	v_lshl_add_u64 v[2:3], v[14:15], 0, v[8:9]
	global_load_dwordx4 v[2:5], v[2:3], off
	s_and_saveexec_b64 s[14:15], s[0:1]
	s_cbranch_execz .LBB67_39
; %bb.45:                               ;   in Loop: Header=BB67_41 Depth=1
	v_or_b32_e32 v29, 7, v19
	v_or_b32_e32 v30, 6, v19
	s_waitcnt vmcnt(0)
	v_lshrrev_b32_e32 v31, 16, v5
	v_cmp_gt_i32_e64 s[0:1], s36, v29
	v_or_b32_e32 v27, 5, v19
	v_or_b32_e32 v28, 4, v19
	v_cndmask_b32_e64 v29, 0, v31, s[0:1]
	v_cmp_gt_i32_e64 s[0:1], s35, v30
	v_or_b32_e32 v15, 3, v19
	v_or_b32_e32 v26, 2, v19
	v_cndmask_b32_e64 v5, 0, v5, s[0:1]
	v_perm_b32 v5, v29, v5, s22
	v_lshrrev_b32_e32 v29, 16, v4
	v_cmp_gt_i32_e64 s[0:1], s34, v27
	v_add_u32_e32 v14, 1, v19
	s_nop 0
	v_cndmask_b32_e64 v27, 0, v29, s[0:1]
	v_cmp_gt_i32_e64 s[0:1], s31, v28
	s_nop 1
	v_cndmask_b32_e64 v4, 0, v4, s[0:1]
	v_perm_b32 v4, v27, v4, s22
	v_lshrrev_b32_e32 v27, 16, v3
	v_cmp_gt_i32_e64 s[0:1], s30, v15
	s_nop 1
	v_cndmask_b32_e64 v15, 0, v27, s[0:1]
	v_cmp_gt_i32_e64 s[0:1], s29, v26
	s_nop 1
	v_cndmask_b32_e64 v3, 0, v3, s[0:1]
	v_perm_b32 v3, v15, v3, s22
	v_lshrrev_b32_e32 v15, 16, v2
	v_cmp_gt_i32_e64 s[0:1], s27, v14
	s_nop 1
	v_cndmask_b32_e64 v14, 0, v15, s[0:1]
	v_cmp_gt_i32_e64 s[0:1], s17, v19
	s_nop 1
	v_cndmask_b32_e64 v2, 0, v2, s[0:1]
	v_perm_b32 v2, v14, v2, s22
	s_branch .LBB67_39
.LBB67_46:
	s_or_b64 exec, exec, s[12:13]
.LBB67_47:
	s_or_b64 exec, exec, s[8:9]
	v_and_b32_e32 v1, 0x3c0, v0
	v_cmp_eq_u32_e32 vcc, 64, v1
	s_barrier
	s_and_saveexec_b64 s[0:1], vcc
	s_cbranch_execz .LBB67_50
; %bb.48:
	v_mov_b32_e32 v1, 0xf0
	v_lshl_add_u32 v2, v16, 2, v1
	ds_write_b32 v2, v18
	s_and_b64 exec, exec, s[6:7]
	s_cbranch_execz .LBB67_50
; %bb.49:
	v_lshl_add_u32 v1, v0, 2, v1
	ds_write_b32 v1, v17
.LBB67_50:
	s_or_b64 exec, exec, s[0:1]
	v_cmp_gt_u32_e32 vcc, 64, v0
	v_or_b32_e32 v1, 64, v0
	s_waitcnt lgkmcnt(0)
	s_barrier
	s_and_saveexec_b64 s[2:3], vcc
	s_cbranch_execz .LBB67_54
; %bb.51:
	v_mov_b32_e32 v2, 0xf0
	v_lshl_add_u32 v2, v0, 2, v2
	ds_read_b32 v0, v2
	s_movk_i32 s0, 0x70
	v_cmp_gt_u32_e64 s[0:1], s0, v1
	s_and_saveexec_b64 s[6:7], s[0:1]
	s_cbranch_execz .LBB67_53
; %bb.52:
	ds_read_b32 v2, v2 offset:256
	s_waitcnt lgkmcnt(0)
	v_add_f32_e32 v17, v17, v2
.LBB67_53:
	s_or_b64 exec, exec, s[6:7]
	s_waitcnt lgkmcnt(0)
	v_add_f32_e32 v18, v18, v0
.LBB67_54:
	s_or_b64 exec, exec, s[2:3]
	s_barrier
	s_and_saveexec_b64 s[0:1], vcc
	s_cbranch_execz .LBB67_57
; %bb.55:
	s_mul_i32 s0, s16, s19
	s_mul_i32 s0, s0, s5
	s_mulk_i32 s0, 0x70
	s_ashr_i32 s1, s0, 31
	s_lshl_b64 s[0:1], s[0:1], 1
	s_add_u32 s3, s20, s0
	s_mul_i32 s0, s19, s18
	s_addc_u32 s5, s21, s1
	s_ashr_i32 s1, s0, 31
	s_lshl_b64 s[0:1], s[0:1], 1
	s_add_u32 s3, s3, s0
	s_mul_i32 s0, s4, 0x70
	s_addc_u32 s5, s5, s1
	s_ashr_i32 s1, s0, 31
	s_lshl_b64 s[0:1], s[0:1], 1
	s_movk_i32 s2, 0x70
	s_add_u32 s0, s3, s0
	s_addc_u32 s1, s5, s1
	v_cmp_gt_u32_e32 vcc, s2, v1
	;;#ASMSTART
	v_cvt_f16_f32 v0, v18;

	;;#ASMEND
	global_store_short v6, v0, s[0:1]
	s_and_b64 exec, exec, vcc
	s_cbranch_execz .LBB67_57
; %bb.56:
	v_mov_b32_e32 v7, 0
	v_lshl_add_u64 v[0:1], s[0:1], 0, v[6:7]
	;;#ASMSTART
	v_cvt_f16_f32 v2, v17;

	;;#ASMEND
	global_store_short v[0:1], v2, off offset:128
.LBB67_57:
	s_endpgm
	.section	.rodata,"a",@progbits
	.p2align	6, 0x0
	.amdhsa_kernel _ZN4vllm25paged_attention_v1_kernelIttLi112ELi8ELi128ELNS_18Fp8KVCacheDataTypeE0ELb0EEEvPT_PKS2_PKT0_S8_ifPKiSA_iPKfiiiSC_SC_iiiii
		.amdhsa_group_segment_fixed_size 240
		.amdhsa_private_segment_fixed_size 0
		.amdhsa_kernarg_size 384
		.amdhsa_user_sgpr_count 2
		.amdhsa_user_sgpr_dispatch_ptr 0
		.amdhsa_user_sgpr_queue_ptr 0
		.amdhsa_user_sgpr_kernarg_segment_ptr 1
		.amdhsa_user_sgpr_dispatch_id 0
		.amdhsa_user_sgpr_kernarg_preload_length 0
		.amdhsa_user_sgpr_kernarg_preload_offset 0
		.amdhsa_user_sgpr_private_segment_size 0
		.amdhsa_uses_dynamic_stack 0
		.amdhsa_enable_private_segment 0
		.amdhsa_system_sgpr_workgroup_id_x 1
		.amdhsa_system_sgpr_workgroup_id_y 1
		.amdhsa_system_sgpr_workgroup_id_z 1
		.amdhsa_system_sgpr_workgroup_info 0
		.amdhsa_system_vgpr_workitem_id 0
		.amdhsa_next_free_vgpr 44
		.amdhsa_next_free_sgpr 37
		.amdhsa_accum_offset 44
		.amdhsa_reserve_vcc 1
		.amdhsa_float_round_mode_32 0
		.amdhsa_float_round_mode_16_64 0
		.amdhsa_float_denorm_mode_32 3
		.amdhsa_float_denorm_mode_16_64 3
		.amdhsa_dx10_clamp 1
		.amdhsa_ieee_mode 1
		.amdhsa_fp16_overflow 0
		.amdhsa_tg_split 0
		.amdhsa_exception_fp_ieee_invalid_op 0
		.amdhsa_exception_fp_denorm_src 0
		.amdhsa_exception_fp_ieee_div_zero 0
		.amdhsa_exception_fp_ieee_overflow 0
		.amdhsa_exception_fp_ieee_underflow 0
		.amdhsa_exception_fp_ieee_inexact 0
		.amdhsa_exception_int_div_zero 0
	.end_amdhsa_kernel
	.section	.text._ZN4vllm25paged_attention_v1_kernelIttLi112ELi8ELi128ELNS_18Fp8KVCacheDataTypeE0ELb0EEEvPT_PKS2_PKT0_S8_ifPKiSA_iPKfiiiSC_SC_iiiii,"axG",@progbits,_ZN4vllm25paged_attention_v1_kernelIttLi112ELi8ELi128ELNS_18Fp8KVCacheDataTypeE0ELb0EEEvPT_PKS2_PKT0_S8_ifPKiSA_iPKfiiiSC_SC_iiiii,comdat
.Lfunc_end67:
	.size	_ZN4vllm25paged_attention_v1_kernelIttLi112ELi8ELi128ELNS_18Fp8KVCacheDataTypeE0ELb0EEEvPT_PKS2_PKT0_S8_ifPKiSA_iPKfiiiSC_SC_iiiii, .Lfunc_end67-_ZN4vllm25paged_attention_v1_kernelIttLi112ELi8ELi128ELNS_18Fp8KVCacheDataTypeE0ELb0EEEvPT_PKS2_PKT0_S8_ifPKiSA_iPKfiiiSC_SC_iiiii
                                        ; -- End function
	.section	.AMDGPU.csdata,"",@progbits
; Kernel info:
; codeLenInByte = 4512
; NumSgprs: 43
; NumVgprs: 44
; NumAgprs: 0
; TotalNumVgprs: 44
; ScratchSize: 0
; MemoryBound: 0
; FloatMode: 240
; IeeeMode: 1
; LDSByteSize: 240 bytes/workgroup (compile time only)
; SGPRBlocks: 5
; VGPRBlocks: 5
; NumSGPRsForWavesPerEU: 43
; NumVGPRsForWavesPerEU: 44
; AccumOffset: 44
; Occupancy: 8
; WaveLimiterHint : 1
; COMPUTE_PGM_RSRC2:SCRATCH_EN: 0
; COMPUTE_PGM_RSRC2:USER_SGPR: 2
; COMPUTE_PGM_RSRC2:TRAP_HANDLER: 0
; COMPUTE_PGM_RSRC2:TGID_X_EN: 1
; COMPUTE_PGM_RSRC2:TGID_Y_EN: 1
; COMPUTE_PGM_RSRC2:TGID_Z_EN: 1
; COMPUTE_PGM_RSRC2:TIDIG_COMP_CNT: 0
; COMPUTE_PGM_RSRC3_GFX90A:ACCUM_OFFSET: 10
; COMPUTE_PGM_RSRC3_GFX90A:TG_SPLIT: 0
	.section	.text._ZN4vllm25paged_attention_v1_kernelIttLi120ELi8ELi128ELNS_18Fp8KVCacheDataTypeE0ELb0EEEvPT_PKS2_PKT0_S8_ifPKiSA_iPKfiiiSC_SC_iiiii,"axG",@progbits,_ZN4vllm25paged_attention_v1_kernelIttLi120ELi8ELi128ELNS_18Fp8KVCacheDataTypeE0ELb0EEEvPT_PKS2_PKT0_S8_ifPKiSA_iPKfiiiSC_SC_iiiii,comdat
	.protected	_ZN4vllm25paged_attention_v1_kernelIttLi120ELi8ELi128ELNS_18Fp8KVCacheDataTypeE0ELb0EEEvPT_PKS2_PKT0_S8_ifPKiSA_iPKfiiiSC_SC_iiiii ; -- Begin function _ZN4vllm25paged_attention_v1_kernelIttLi120ELi8ELi128ELNS_18Fp8KVCacheDataTypeE0ELb0EEEvPT_PKS2_PKT0_S8_ifPKiSA_iPKfiiiSC_SC_iiiii
	.globl	_ZN4vllm25paged_attention_v1_kernelIttLi120ELi8ELi128ELNS_18Fp8KVCacheDataTypeE0ELb0EEEvPT_PKS2_PKT0_S8_ifPKiSA_iPKfiiiSC_SC_iiiii
	.p2align	8
	.type	_ZN4vllm25paged_attention_v1_kernelIttLi120ELi8ELi128ELNS_18Fp8KVCacheDataTypeE0ELb0EEEvPT_PKS2_PKT0_S8_ifPKiSA_iPKfiiiSC_SC_iiiii,@function
_ZN4vllm25paged_attention_v1_kernelIttLi120ELi8ELi128ELNS_18Fp8KVCacheDataTypeE0ELb0EEEvPT_PKS2_PKT0_S8_ifPKiSA_iPKfiiiSC_SC_iiiii: ; @_ZN4vllm25paged_attention_v1_kernelIttLi120ELi8ELi128ELNS_18Fp8KVCacheDataTypeE0ELb0EEEvPT_PKS2_PKT0_S8_ifPKiSA_iPKfiiiSC_SC_iiiii
; %bb.0:
	s_load_dword s5, s[0:1], 0x80
	s_load_dwordx2 s[6:7], s[0:1], 0x30
	s_load_dwordx2 s[10:11], s[0:1], 0x20
	s_mov_b32 s16, s3
	s_ashr_i32 s17, s3, 31
	s_lshl_b64 s[8:9], s[16:17], 2
	s_waitcnt lgkmcnt(0)
	s_add_u32 s6, s6, s8
	s_addc_u32 s7, s7, s9
	s_abs_i32 s3, s10
	v_cvt_f32_u32_e32 v1, s3
	s_xor_b32 s8, s5, s10
	s_sub_i32 s10, 0, s3
	s_abs_i32 s9, s5
	v_rcp_iflag_f32_e32 v1, v1
	s_ashr_i32 s8, s8, 31
	v_mul_f32_e32 v1, 0x4f7ffffe, v1
	v_cvt_u32_f32_e32 v1, v1
	s_nop 0
	v_readfirstlane_b32 s12, v1
	s_mul_i32 s10, s10, s12
	s_mul_hi_u32 s10, s12, s10
	s_add_i32 s12, s12, s10
	s_mul_hi_u32 s10, s9, s12
	s_mul_i32 s12, s10, s3
	s_sub_i32 s9, s9, s12
	s_add_i32 s12, s10, 1
	s_sub_i32 s13, s9, s3
	s_cmp_ge_u32 s9, s3
	s_cselect_b32 s10, s12, s10
	s_cselect_b32 s9, s13, s9
	s_add_i32 s12, s10, 1
	s_cmp_ge_u32 s9, s3
	s_cselect_b32 s3, s12, s10
	s_xor_b32 s3, s3, s8
	s_sub_i32 s12, s3, s8
	s_abs_i32 s20, s12
	v_cvt_f32_u32_e32 v1, s20
	s_load_dwordx2 s[8:9], s[0:1], 0x40
	s_sub_i32 s3, 0, s20
	s_abs_i32 s21, s2
	v_rcp_iflag_f32_e32 v1, v1
	s_mov_b32 s10, 0
	v_mul_f32_e32 v1, 0x4f7ffffe, v1
	v_cvt_u32_f32_e32 v1, v1
	s_nop 0
	v_readfirstlane_b32 s13, v1
	s_mul_i32 s3, s3, s13
	s_mul_hi_u32 s3, s13, s3
	s_add_i32 s13, s13, s3
	s_waitcnt lgkmcnt(0)
	s_cmp_eq_u64 s[8:9], 0
	s_mul_hi_u32 s24, s21, s13
	s_cbranch_scc1 .LBB68_2
; %bb.1:
	s_ashr_i32 s3, s2, 31
	s_lshl_b64 s[14:15], s[2:3], 2
	s_add_u32 s8, s8, s14
	s_addc_u32 s9, s9, s15
	s_load_dword s10, s[8:9], 0x0
.LBB68_2:
	s_load_dword s17, s[6:7], 0x0
	s_ashr_i32 s9, s12, 31
	s_load_dwordx4 s[12:15], s[0:1], 0x48
	s_movk_i32 s3, 0x78
	s_ashr_i32 s8, s2, 31
	v_and_b32_e32 v4, 7, v0
	s_mul_i32 s18, s2, 0x78
	v_cmp_gt_u32_e64 s[6:7], s3, v0
	v_lshlrev_b32_e32 v6, 1, v0
	s_and_saveexec_b64 s[2:3], s[6:7]
	s_cbranch_execz .LBB68_4
; %bb.3:
	s_load_dwordx2 s[22:23], s[0:1], 0x8
	s_waitcnt lgkmcnt(0)
	s_mul_i32 s26, s16, s12
	s_ashr_i32 s27, s26, 31
	s_lshl_b64 s[26:27], s[26:27], 1
	v_lshrrev_b32_e32 v2, 2, v0
	s_add_u32 s12, s22, s26
	s_addc_u32 s15, s23, s27
	s_ashr_i32 s19, s18, 31
	s_lshl_b64 s[22:23], s[18:19], 1
	s_add_u32 s22, s12, s22
	s_addc_u32 s23, s15, s23
	global_load_ushort v1, v6, s[22:23]
	v_and_b32_e32 v2, 0xfe, v2
	v_mad_u32_u24 v2, v4, 30, v2
	s_waitcnt vmcnt(0)
	ds_write_b16 v2, v1
.LBB68_4:
	s_or_b64 exec, exec, s[2:3]
	s_waitcnt lgkmcnt(0)
	s_add_i32 s3, s17, 7
	s_ashr_i32 s12, s3, 31
	s_lshr_b32 s12, s12, 29
	s_add_i32 s3, s3, s12
	s_ashr_i32 s33, s3, 3
	s_xor_b32 s3, s8, s9
	s_mul_i32 s8, s24, s20
	s_sub_i32 s8, s21, s8
	s_add_i32 s9, s24, 1
	s_sub_i32 s12, s8, s20
	s_load_dwordx2 s[22:23], s[0:1], 0x28
	s_load_dword s2, s[0:1], 0x38
	s_cmp_ge_u32 s8, s20
	s_cselect_b32 s9, s9, s24
	s_cselect_b32 s8, s12, s8
	s_add_i32 s12, s9, 1
	s_cmp_ge_u32 s8, s20
	s_cselect_b32 s8, s12, s9
	v_lshrrev_b32_e32 v1, 6, v0
	s_xor_b32 s8, s8, s3
	s_waitcnt lgkmcnt(0)
	s_mul_i32 s24, s16, s2
	s_sub_i32 s12, s8, s3
	s_ashr_i32 s25, s24, 31
	v_cmp_gt_i32_e64 s[2:3], s33, v1
	v_cmp_le_i32_e32 vcc, s33, v1
	v_mbcnt_lo_u32_b32 v14, -1, 0
	s_barrier
	s_waitcnt lgkmcnt(0)
                                        ; implicit-def: $sgpr15
                                        ; implicit-def: $vgpr8
                                        ; implicit-def: $vgpr9
	s_and_saveexec_b64 s[8:9], vcc
	s_xor_b64 s[8:9], exec, s[8:9]
; %bb.5:
	v_mbcnt_hi_u32_b32 v8, -1, v14
	v_and_b32_e32 v2, 64, v8
	v_add_u32_e32 v9, 64, v2
	s_mov_b32 s15, 0xff7fffff
                                        ; implicit-def: $vgpr4
                                        ; implicit-def: $vgpr14
; %bb.6:
	s_or_saveexec_b64 s[28:29], s[8:9]
	s_load_dwordx2 s[20:21], s[0:1], 0x0
	s_load_dwordx2 s[26:27], s[0:1], 0x18
	s_load_dword s19, s[0:1], 0x88
	v_mov_b32_e32 v10, s15
	s_mul_i32 s14, s12, s14
	v_lshrrev_b32_e32 v7, 4, v0
	s_xor_b64 exec, exec, s[28:29]
	s_cbranch_execz .LBB68_12
; %bb.7:
	s_load_dwordx2 s[0:1], s[0:1], 0x10
	s_ashr_i32 s15, s14, 31
	s_lshl_b64 s[8:9], s[14:15], 1
	v_bfe_u32 v5, v0, 3, 3
	v_lshlrev_b32_e32 v8, 4, v5
	s_waitcnt lgkmcnt(0)
	s_add_u32 s0, s0, s8
	s_addc_u32 s1, s1, s9
	v_mov_b32_e32 v9, 0
	s_sub_i32 s15, 1, s17
	s_lshl_b64 s[8:9], s[24:25], 2
	v_lshl_add_u64 v[2:3], s[0:1], 0, v[8:9]
	v_lshlrev_b32_e32 v8, 1, v4
	v_mul_u32_u24_e32 v11, 30, v4
	v_cmp_eq_u32_e32 vcc, 0, v4
	v_lshlrev_b32_e32 v4, 2, v5
	s_add_u32 s8, s22, s8
	v_lshl_add_u64 v[2:3], v[2:3], 0, v[8:9]
	v_lshl_or_b32 v4, v1, 5, v4
	v_and_b32_e32 v8, 60, v7
	s_addc_u32 s9, s23, s9
	v_lshl_or_b32 v12, v1, 3, v5
	v_add_u32_e32 v13, 0x100, v4
	v_lshl_add_u64 v[4:5], s[8:9], 0, v[8:9]
	v_mbcnt_hi_u32_b32 v8, -1, v14
	v_and_b32_e32 v9, 64, v8
	s_mov_b32 s12, s13
	v_cmp_neq_f32_e64 s[0:1], s10, 0
	s_mov_b64 s[30:31], 0
	v_mov_b32_e32 v10, 0xff7fffff
	v_add_u32_e32 v9, 64, v9
	v_xor_b32_e32 v14, 4, v8
	v_xor_b32_e32 v15, 2, v8
	;; [unrolled: 1-line block ×3, first 2 shown]
	v_mov_b32_e32 v17, v1
	s_branch .LBB68_9
.LBB68_8:                               ;   in Loop: Header=BB68_9 Depth=1
	s_or_b64 exec, exec, s[34:35]
	v_add_u32_e32 v17, 2, v17
	v_cmp_le_i32_e64 s[8:9], s33, v17
	v_add_u32_e32 v12, 16, v12
	v_add_u32_e32 v13, 64, v13
	s_or_b64 s[30:31], s[8:9], s[30:31]
	v_lshl_add_u64 v[4:5], v[4:5], 0, 8
	s_andn2_b64 exec, exec, s[30:31]
	s_cbranch_execz .LBB68_11
.LBB68_9:                               ; =>This Inner Loop Header: Depth=1
	global_load_dword v18, v[4:5], off
	s_waitcnt vmcnt(0) lgkmcnt(0)
	v_mad_i64_i32 v[18:19], s[8:9], v18, s12, 0
	v_lshl_add_u64 v[18:19], v[18:19], 1, v[2:3]
	global_load_ushort v20, v[18:19], off
	global_load_ushort v21, v[18:19], off offset:128
	global_load_ushort v22, v[18:19], off offset:256
	;; [unrolled: 1-line block ×10, first 2 shown]
	ds_read_u16 v31, v11
	global_load_ushort v32, v[18:19], off offset:1408
	global_load_ushort v33, v[18:19], off offset:1536
	global_load_ushort v34, v[18:19], off offset:1664
	global_load_ushort v35, v[18:19], off offset:1792
	s_waitcnt lgkmcnt(0)
	;;#ASMSTART
	v_cvt_f32_f16 v18, v31;
	;;#ASMEND
	v_cmp_lt_i32_e64 s[8:9], v14, v9
	s_waitcnt vmcnt(14)
	;;#ASMSTART
	v_cvt_f32_f16 v19, v20;
	;;#ASMEND
	ds_read_u16 v20, v11 offset:2
	s_waitcnt lgkmcnt(0)
	;;#ASMSTART
	v_cvt_f32_f16 v20, v20;
	;;#ASMEND
	s_waitcnt vmcnt(13)
	;;#ASMSTART
	v_cvt_f32_f16 v21, v21;
	;;#ASMEND
	ds_read_u16 v31, v11 offset:4
	v_mul_f32_e32 v20, v20, v21
	v_fmac_f32_e32 v20, v18, v19
	s_waitcnt lgkmcnt(0)
	;;#ASMSTART
	v_cvt_f32_f16 v31, v31;
	;;#ASMEND
	s_waitcnt vmcnt(12)
	;;#ASMSTART
	v_cvt_f32_f16 v22, v22;
	;;#ASMEND
	ds_read_u16 v36, v11 offset:6
	v_fmac_f32_e32 v20, v31, v22
	s_waitcnt lgkmcnt(0)
	;;#ASMSTART
	v_cvt_f32_f16 v36, v36;
	;;#ASMEND
	s_waitcnt vmcnt(11)
	;;#ASMSTART
	v_cvt_f32_f16 v23, v23;
	;;#ASMEND
	ds_read_u16 v37, v11 offset:8
	v_fmac_f32_e32 v20, v36, v23
	s_waitcnt lgkmcnt(0)
	;;#ASMSTART
	v_cvt_f32_f16 v37, v37;
	;;#ASMEND
	s_waitcnt vmcnt(10)
	;;#ASMSTART
	v_cvt_f32_f16 v24, v24;
	;;#ASMEND
	ds_read_u16 v38, v11 offset:10
	v_fmac_f32_e32 v20, v37, v24
	s_waitcnt lgkmcnt(0)
	;;#ASMSTART
	v_cvt_f32_f16 v38, v38;
	;;#ASMEND
	s_waitcnt vmcnt(9)
	;;#ASMSTART
	v_cvt_f32_f16 v25, v25;
	;;#ASMEND
	ds_read_u16 v39, v11 offset:12
	v_fmac_f32_e32 v20, v38, v25
	s_waitcnt lgkmcnt(0)
	;;#ASMSTART
	v_cvt_f32_f16 v39, v39;
	;;#ASMEND
	s_waitcnt vmcnt(8)
	;;#ASMSTART
	v_cvt_f32_f16 v26, v26;
	;;#ASMEND
	ds_read_u16 v40, v11 offset:14
	v_fmac_f32_e32 v20, v39, v26
	s_waitcnt lgkmcnt(0)
	;;#ASMSTART
	v_cvt_f32_f16 v40, v40;
	;;#ASMEND
	s_waitcnt vmcnt(7)
	;;#ASMSTART
	v_cvt_f32_f16 v27, v27;
	;;#ASMEND
	ds_read_u16 v41, v11 offset:16
	v_fmac_f32_e32 v20, v40, v27
	s_waitcnt lgkmcnt(0)
	;;#ASMSTART
	v_cvt_f32_f16 v41, v41;
	;;#ASMEND
	s_waitcnt vmcnt(6)
	;;#ASMSTART
	v_cvt_f32_f16 v28, v28;
	;;#ASMEND
	ds_read_u16 v42, v11 offset:18
	v_fmac_f32_e32 v20, v41, v28
	s_waitcnt lgkmcnt(0)
	;;#ASMSTART
	v_cvt_f32_f16 v42, v42;
	;;#ASMEND
	s_waitcnt vmcnt(5)
	;;#ASMSTART
	v_cvt_f32_f16 v29, v29;
	;;#ASMEND
	ds_read_u16 v43, v11 offset:20
	v_fmac_f32_e32 v20, v42, v29
	s_waitcnt lgkmcnt(0)
	;;#ASMSTART
	v_cvt_f32_f16 v43, v43;
	;;#ASMEND
	s_waitcnt vmcnt(4)
	;;#ASMSTART
	v_cvt_f32_f16 v30, v30;
	;;#ASMEND
	ds_read_u16 v44, v11 offset:22
	v_fmac_f32_e32 v20, v43, v30
	s_waitcnt lgkmcnt(0)
	;;#ASMSTART
	v_cvt_f32_f16 v18, v44;
	;;#ASMEND
	s_waitcnt vmcnt(3)
	;;#ASMSTART
	v_cvt_f32_f16 v19, v32;
	;;#ASMEND
	ds_read_u16 v21, v11 offset:24
	v_fmac_f32_e32 v20, v18, v19
	s_waitcnt lgkmcnt(0)
	;;#ASMSTART
	v_cvt_f32_f16 v21, v21;
	;;#ASMEND
	s_waitcnt vmcnt(2)
	;;#ASMSTART
	v_cvt_f32_f16 v22, v33;
	;;#ASMEND
	ds_read_u16 v23, v11 offset:26
	v_fmac_f32_e32 v20, v21, v22
	v_cndmask_b32_e64 v45, v8, v14, s[8:9]
	s_waitcnt lgkmcnt(0)
	;;#ASMSTART
	v_cvt_f32_f16 v23, v23;
	;;#ASMEND
	s_waitcnt vmcnt(1)
	;;#ASMSTART
	v_cvt_f32_f16 v24, v34;
	;;#ASMEND
	v_lshlrev_b32_e32 v45, 2, v45
	v_fmac_f32_e32 v20, v23, v24
	ds_read_u16 v25, v11 offset:28
	s_waitcnt lgkmcnt(0)
	;;#ASMSTART
	v_cvt_f32_f16 v18, v25;
	;;#ASMEND
	s_waitcnt vmcnt(0)
	;;#ASMSTART
	v_cvt_f32_f16 v19, v35;
	;;#ASMEND
	v_cmp_lt_i32_e64 s[8:9], v15, v9
	v_fmac_f32_e32 v20, v18, v19
	ds_bpermute_b32 v18, v45, v20
	v_cndmask_b32_e64 v19, v8, v15, s[8:9]
	v_lshlrev_b32_e32 v19, 2, v19
	v_cmp_lt_i32_e64 s[8:9], v16, v9
	s_waitcnt lgkmcnt(0)
	v_add_f32_e32 v18, v20, v18
	ds_bpermute_b32 v19, v19, v18
	v_cndmask_b32_e64 v20, v8, v16, s[8:9]
	s_waitcnt lgkmcnt(0)
	v_add_f32_e32 v18, v18, v19
	v_lshlrev_b32_e32 v19, 2, v20
	ds_bpermute_b32 v19, v19, v18
	s_and_saveexec_b64 s[34:35], vcc
	s_cbranch_execz .LBB68_8
; %bb.10:                               ;   in Loop: Header=BB68_9 Depth=1
	v_add_u32_e32 v20, s15, v12
	v_cvt_f32_i32_e32 v20, v20
	s_waitcnt lgkmcnt(0)
	v_add_f32_e32 v18, v18, v19
	v_cmp_gt_i32_e64 s[8:9], s17, v12
	v_max_f32_e32 v19, v10, v10
	v_mul_f32_e32 v20, s10, v20
	v_cndmask_b32_e64 v20, 0, v20, s[0:1]
	v_fmac_f32_e32 v20, s11, v18
	v_cndmask_b32_e64 v18, 0, v20, s[8:9]
	ds_write_b32 v13, v18
	v_max_f32_e32 v18, v19, v20
	v_cndmask_b32_e64 v10, v10, v18, s[8:9]
	s_branch .LBB68_8
.LBB68_11:
	s_or_b64 exec, exec, s[30:31]
.LBB68_12:
	s_or_b64 exec, exec, s[28:29]
	v_xor_b32_e32 v2, 32, v8
	v_cmp_lt_i32_e32 vcc, v2, v9
	v_xor_b32_e32 v5, 16, v8
	v_max_f32_e32 v4, v10, v10
	v_cndmask_b32_e32 v2, v8, v2, vcc
	v_lshlrev_b32_e32 v3, 2, v2
	ds_bpermute_b32 v2, v3, v10
	v_cmp_lt_i32_e32 vcc, v5, v9
	v_xor_b32_e32 v10, 8, v8
	v_and_b32_e32 v16, 63, v0
	s_waitcnt lgkmcnt(0)
	v_max_f32_e32 v2, v2, v2
	v_max_f32_e32 v2, v4, v2
	v_cndmask_b32_e32 v4, v8, v5, vcc
	v_lshlrev_b32_e32 v5, 2, v4
	ds_bpermute_b32 v4, v5, v2
	v_cmp_lt_i32_e32 vcc, v10, v9
	s_waitcnt lgkmcnt(0)
	v_max_f32_e32 v4, v4, v4
	v_max_f32_e32 v4, v2, v4
	v_cndmask_b32_e32 v2, v8, v10, vcc
	v_lshlrev_b32_e32 v11, 2, v2
	ds_bpermute_b32 v10, v11, v4
	v_cmp_eq_u32_e32 vcc, 0, v16
	v_lshlrev_b32_e32 v2, 2, v1
	s_and_saveexec_b64 s[0:1], vcc
	s_cbranch_execz .LBB68_14
; %bb.13:
	s_waitcnt lgkmcnt(0)
	v_max_f32_e32 v10, v10, v10
	v_max_f32_e32 v4, v4, v4
	;; [unrolled: 1-line block ×3, first 2 shown]
	ds_write_b32 v2, v4 offset:240
.LBB68_14:
	s_or_b64 exec, exec, s[0:1]
	v_cmp_gt_u32_e64 s[0:1], 2, v16
	v_mov_b32_e32 v12, 0xff7fffff
	v_lshlrev_b32_e32 v4, 2, v16
	s_waitcnt lgkmcnt(0)
	s_barrier
	s_and_saveexec_b64 s[8:9], s[0:1]
	s_cbranch_execz .LBB68_16
; %bb.15:
	ds_read_b32 v12, v4 offset:240
.LBB68_16:
	s_or_b64 exec, exec, s[8:9]
	v_xor_b32_e32 v10, 1, v8
	v_cmp_lt_i32_e64 s[8:9], v10, v9
	v_lshlrev_b32_e32 v14, 2, v8
	s_nop 0
	v_cndmask_b32_e64 v10, v8, v10, s[8:9]
	v_lshlrev_b32_e32 v10, 2, v10
	s_waitcnt lgkmcnt(0)
	ds_bpermute_b32 v13, v10, v12
	v_max_f32_e32 v12, v12, v12
	s_lshl_b32 s8, s33, 3
	s_min_i32 s12, s8, s17
	v_cmp_gt_i32_e64 s[8:9], s12, v0
	s_waitcnt lgkmcnt(0)
	v_max_f32_e32 v13, v13, v13
	v_max_f32_e32 v13, v12, v13
	v_and_b32_e32 v12, 0xffffff00, v14
	ds_bpermute_b32 v14, v12, v13
	v_mov_b32_e32 v13, 0
	s_and_saveexec_b64 s[28:29], s[8:9]
	s_cbranch_execz .LBB68_20
; %bb.17:
	v_mov_b32_e32 v13, 0x100
	v_lshl_add_u32 v15, v0, 2, v13
	s_mov_b64 s[30:31], 0
	v_mov_b32_e32 v13, 0
	v_mov_b32_e32 v17, v0
.LBB68_18:                              ; =>This Inner Loop Header: Depth=1
	ds_read_b32 v18, v15
	v_add_u32_e32 v17, 0x80, v17
	v_cmp_le_i32_e64 s[10:11], s12, v17
	s_or_b64 s[30:31], s[10:11], s[30:31]
	s_waitcnt lgkmcnt(0)
	v_sub_f32_e32 v18, v18, v14
	v_mul_f32_e32 v18, 0x3fb8aa3b, v18
	v_exp_f32_e32 v18, v18
	ds_write_b32 v15, v18
	v_add_f32_e32 v13, v13, v18
	v_add_u32_e32 v15, 0x200, v15
	s_andn2_b64 exec, exec, s[30:31]
	s_cbranch_execnz .LBB68_18
; %bb.19:
	s_or_b64 exec, exec, s[30:31]
.LBB68_20:
	s_or_b64 exec, exec, s[28:29]
	ds_bpermute_b32 v3, v3, v13
	s_waitcnt lgkmcnt(0)
	v_add_f32_e32 v3, v13, v3
	ds_bpermute_b32 v5, v5, v3
	s_waitcnt lgkmcnt(0)
	v_add_f32_e32 v3, v3, v5
	ds_bpermute_b32 v5, v11, v3
	v_xor_b32_e32 v11, 4, v8
	v_cmp_lt_i32_e64 s[10:11], v11, v9
	s_waitcnt lgkmcnt(0)
	v_add_f32_e32 v3, v3, v5
	v_cndmask_b32_e64 v11, v8, v11, s[10:11]
	v_lshlrev_b32_e32 v11, 2, v11
	ds_bpermute_b32 v5, v11, v3
	v_xor_b32_e32 v11, 2, v8
	v_cmp_lt_i32_e64 s[10:11], v11, v9
	s_waitcnt lgkmcnt(0)
	v_add_f32_e32 v3, v3, v5
	v_cndmask_b32_e64 v8, v8, v11, s[10:11]
	v_lshlrev_b32_e32 v5, 2, v8
	ds_bpermute_b32 v5, v5, v3
	s_waitcnt lgkmcnt(0)
	v_add_f32_e32 v3, v3, v5
	ds_bpermute_b32 v5, v10, v3
	s_waitcnt lgkmcnt(0)
	v_add_f32_e32 v3, v3, v5
	s_and_saveexec_b64 s[10:11], vcc
	s_cbranch_execz .LBB68_22
; %bb.21:
	ds_write_b32 v2, v3 offset:248
.LBB68_22:
	s_or_b64 exec, exec, s[10:11]
	s_waitcnt lgkmcnt(0)
	s_barrier
	s_and_saveexec_b64 s[10:11], s[0:1]
	s_cbranch_execz .LBB68_24
; %bb.23:
	ds_read_b32 v3, v4 offset:248
.LBB68_24:
	s_or_b64 exec, exec, s[10:11]
	s_waitcnt lgkmcnt(0)
	ds_bpermute_b32 v2, v10, v3
	s_waitcnt lgkmcnt(0)
	v_add_f32_e32 v2, v3, v2
	ds_bpermute_b32 v2, v12, v2
	s_and_saveexec_b64 s[0:1], s[8:9]
	s_cbranch_execz .LBB68_37
; %bb.25:
	s_waitcnt lgkmcnt(0)
	v_add_f32_e32 v2, 0x358637bd, v2
	v_div_scale_f32 v3, s[8:9], v2, v2, 1.0
	v_rcp_f32_e32 v4, v3
	v_div_scale_f32 v5, vcc, 1.0, v2, 1.0
	s_movk_i32 s8, 0x7f
	v_fma_f32 v8, -v3, v4, 1.0
	v_fmac_f32_e32 v4, v8, v4
	v_mul_f32_e32 v8, v5, v4
	v_fma_f32 v9, -v3, v8, v5
	v_fmac_f32_e32 v8, v9, v4
	v_fma_f32 v3, -v3, v8, v5
	v_div_fmas_f32 v3, v3, v4, v8
	v_xad_u32 v4, v0, -1, s12
	v_div_fixup_f32 v2, v3, v2, 1.0
	v_cmp_lt_u32_e32 vcc, s8, v4
	s_mov_b64 s[10:11], -1
	v_mov_b32_e32 v3, v0
	s_and_saveexec_b64 s[8:9], vcc
	s_cbranch_execz .LBB68_34
; %bb.26:
	v_lshrrev_b32_e32 v4, 7, v4
	v_add_u32_e32 v8, -1, v4
	v_lshrrev_b32_e32 v5, 1, v8
	v_mov_b32_e32 v3, v2
	v_add_u32_e32 v5, 1, v5
	v_cmp_lt_u32_e32 vcc, 13, v8
	v_mov_b32_e32 v10, 0
	s_and_saveexec_b64 s[10:11], vcc
	s_cbranch_execz .LBB68_30
; %bb.27:
	v_mov_b32_e32 v9, 0x100
	v_and_b32_e32 v8, -8, v5
	v_lshl_add_u32 v9, v0, 2, v9
	s_mov_b32 s15, 0
	s_mov_b64 s[28:29], 0
.LBB68_28:                              ; =>This Inner Loop Header: Depth=1
	ds_read2st64_b32 v[10:11], v9 offset1:2
	ds_read2st64_b32 v[12:13], v9 offset0:4 offset1:6
	ds_read2st64_b32 v[14:15], v9 offset0:8 offset1:10
	;; [unrolled: 1-line block ×3, first 2 shown]
	v_add_u32_e32 v8, -8, v8
	s_waitcnt lgkmcnt(3)
	v_pk_mul_f32 v[10:11], v[2:3], v[10:11]
	s_waitcnt lgkmcnt(2)
	v_pk_mul_f32 v[12:13], v[2:3], v[12:13]
	ds_write2st64_b32 v9, v10, v11 offset1:2
	ds_write2st64_b32 v9, v12, v13 offset0:4 offset1:6
	ds_read2st64_b32 v[12:13], v9 offset0:16 offset1:18
	s_waitcnt lgkmcnt(4)
	v_pk_mul_f32 v[10:11], v[2:3], v[14:15]
	ds_write2st64_b32 v9, v10, v11 offset0:8 offset1:10
	s_waitcnt lgkmcnt(4)
	v_pk_mul_f32 v[10:11], v[2:3], v[18:19]
	ds_write2st64_b32 v9, v10, v11 offset0:12 offset1:14
	ds_read2st64_b32 v[10:11], v9 offset0:20 offset1:22
	s_waitcnt lgkmcnt(3)
	v_pk_mul_f32 v[12:13], v[2:3], v[12:13]
	ds_read2st64_b32 v[14:15], v9 offset0:24 offset1:26
	ds_write2st64_b32 v9, v12, v13 offset0:16 offset1:18
	ds_read2st64_b32 v[12:13], v9 offset0:28 offset1:30
	s_waitcnt lgkmcnt(3)
	v_pk_mul_f32 v[10:11], v[2:3], v[10:11]
	ds_write2st64_b32 v9, v10, v11 offset0:20 offset1:22
	s_waitcnt lgkmcnt(3)
	v_pk_mul_f32 v[10:11], v[2:3], v[14:15]
	ds_write2st64_b32 v9, v10, v11 offset0:24 offset1:26
	s_waitcnt lgkmcnt(2)
	v_pk_mul_f32 v[10:11], v[2:3], v[12:13]
	s_add_i32 s15, s15, 16
	v_cmp_eq_u32_e32 vcc, 0, v8
	ds_write2st64_b32 v9, v10, v11 offset0:28 offset1:30
	v_add_u32_e32 v9, 0x2000, v9
	s_or_b64 s[28:29], vcc, s[28:29]
	v_mov_b32_e32 v10, s15
	s_andn2_b64 exec, exec, s[28:29]
	s_cbranch_execnz .LBB68_28
; %bb.29:
	s_or_b64 exec, exec, s[28:29]
.LBB68_30:
	s_or_b64 exec, exec, s[10:11]
	v_and_b32_e32 v5, 7, v5
	v_cmp_ne_u32_e32 vcc, 0, v5
	s_and_saveexec_b64 s[10:11], vcc
	s_cbranch_execz .LBB68_33
; %bb.31:
	v_lshlrev_b32_e32 v8, 9, v10
	v_lshlrev_b32_e32 v9, 2, v0
	s_movk_i32 s15, 0x100
	v_add3_u32 v8, v8, v9, s15
	s_mov_b64 s[28:29], 0
.LBB68_32:                              ; =>This Inner Loop Header: Depth=1
	ds_read2st64_b32 v[10:11], v8 offset1:2
	v_add_u32_e32 v5, -1, v5
	v_cmp_eq_u32_e32 vcc, 0, v5
	s_or_b64 s[28:29], vcc, s[28:29]
	s_waitcnt lgkmcnt(0)
	v_pk_mul_f32 v[10:11], v[2:3], v[10:11]
	ds_write2st64_b32 v8, v10, v11 offset1:2
	v_add_u32_e32 v8, 0x400, v8
	s_andn2_b64 exec, exec, s[28:29]
	s_cbranch_execnz .LBB68_32
.LBB68_33:
	s_or_b64 exec, exec, s[10:11]
	v_add_u32_e32 v4, 1, v4
	v_and_b32_e32 v5, 0x3fffffe, v4
	v_cmp_ne_u32_e32 vcc, v4, v5
	v_lshl_add_u32 v3, v5, 7, v0
	s_orn2_b64 s[10:11], vcc, exec
.LBB68_34:
	s_or_b64 exec, exec, s[8:9]
	s_and_b64 exec, exec, s[10:11]
	s_cbranch_execz .LBB68_37
; %bb.35:
	v_mov_b32_e32 v4, 0x100
	v_lshl_add_u32 v4, v3, 2, v4
	s_mov_b64 s[8:9], 0
.LBB68_36:                              ; =>This Inner Loop Header: Depth=1
	ds_read_b32 v5, v4
	v_add_u32_e32 v3, 0x80, v3
	v_cmp_le_i32_e32 vcc, s12, v3
	s_or_b64 s[8:9], vcc, s[8:9]
	s_waitcnt lgkmcnt(0)
	v_mul_f32_e32 v5, v2, v5
	ds_write_b32 v4, v5
	v_add_u32_e32 v4, 0x200, v4
	s_andn2_b64 exec, exec, s[8:9]
	s_cbranch_execnz .LBB68_36
.LBB68_37:
	s_or_b64 exec, exec, s[0:1]
	v_mov_b32_e32 v18, 0
	v_mov_b32_e32 v17, 0
	s_waitcnt lgkmcnt(0)
	s_barrier
	s_and_saveexec_b64 s[8:9], s[2:3]
	s_cbranch_execz .LBB68_47
; %bb.38:
	s_ashr_i32 s15, s14, 31
	s_lshl_b64 s[0:1], s[14:15], 1
	s_add_u32 s10, s26, s0
	v_or_b32_e32 v3, 64, v16
	s_movk_i32 s0, 0x78
	s_addc_u32 s11, s27, s1
	s_add_i32 s26, s33, -1
	v_cmp_gt_u32_e32 vcc, s0, v3
	s_lshl_b64 s[0:1], s[24:25], 2
	s_add_u32 s0, s22, s0
	v_lshlrev_b32_e32 v2, 3, v16
	v_mov_b32_e32 v9, 0
	v_lshlrev_b32_e32 v4, 3, v3
	v_mov_b32_e32 v3, 0x100
	v_and_b32_e32 v8, 60, v7
	s_addc_u32 s1, s23, s1
	s_mov_b32 s28, s13
	s_mov_b32 s27, s17
	;; [unrolled: 1-line block ×8, first 2 shown]
	v_lshlrev_b32_e32 v19, 3, v1
	v_lshl_add_u32 v20, v1, 5, v3
	v_lshl_add_u64 v[10:11], s[0:1], 0, v[8:9]
	s_mov_b64 s[12:13], 0
	v_lshlrev_b32_e32 v12, 1, v2
	v_mov_b32_e32 v13, v9
	s_mov_b32 s22, 0x5040100
	v_lshlrev_b32_e32 v8, 1, v4
	v_mov_b32_e32 v17, v9
	v_mov_b32_e32 v18, v9
	s_branch .LBB68_41
.LBB68_39:                              ;   in Loop: Header=BB68_41 Depth=1
	s_or_b64 exec, exec, s[14:15]
	s_waitcnt vmcnt(0)
	;;#ASMSTART
	v_pk_mul_f16 v2, v25, v2;

	;;#ASMEND
	;;#ASMSTART
	v_pk_mul_f16 v3, v24, v3;

	;;#ASMEND
	;; [unrolled: 4-line block ×4, first 2 shown]
	s_nop 0
	;;#ASMSTART
	v_pk_add_f16 v2, v2, v3;

	;;#ASMEND
	s_nop 0
	;;#ASMSTART
	v_pk_add_f16 v2, v2, v4;

	;;#ASMEND
	;; [unrolled: 5-line block ×3, first 2 shown]
	s_nop 0
	v_lshrrev_b32_e32 v3, 16, v2
	v_and_b32_e32 v2, 0xffff, v2
	;;#ASMSTART
	v_cvt_f32_f16 v2, v2;
	;;#ASMEND
	;;#ASMSTART
	v_cvt_f32_f16 v3, v3;
	;;#ASMEND
	s_nop 0
	v_add_f32_e32 v2, v2, v3
	v_add_f32_e32 v17, v17, v2
.LBB68_40:                              ;   in Loop: Header=BB68_41 Depth=1
	s_or_b64 exec, exec, s[2:3]
	v_add_u32_e32 v1, 2, v1
	v_add_f32_e32 v2, v7, v21
	v_cmp_le_i32_e64 s[0:1], s33, v1
	v_add_f32_e32 v18, v18, v2
	v_add_u32_e32 v19, 16, v19
	v_add_u32_e32 v20, 64, v20
	s_or_b64 s[12:13], s[0:1], s[12:13]
	v_lshl_add_u64 v[10:11], v[10:11], 0, 8
	s_andn2_b64 exec, exec, s[12:13]
	s_cbranch_execz .LBB68_46
.LBB68_41:                              ; =>This Inner Loop Header: Depth=1
	global_load_dword v14, v[10:11], off
	ds_read2_b64 v[2:5], v20 offset1:1
	ds_read2_b64 v[26:29], v20 offset0:2 offset1:3
	s_waitcnt lgkmcnt(1)
	;;#ASMSTART
	v_cvt_f16_f32 v7, v2;

	;;#ASMEND
	;;#ASMSTART
	v_cvt_f16_f32 v21, v3;

	;;#ASMEND
	;; [unrolled: 4-line block ×4, first 2 shown]
	s_waitcnt lgkmcnt(0)
	;;#ASMSTART
	v_cvt_f16_f32 v26, v26;

	;;#ASMEND
	;;#ASMSTART
	v_cvt_f16_f32 v27, v27;

	;;#ASMEND
	;; [unrolled: 4-line block ×4, first 2 shown]
	s_waitcnt vmcnt(0)
	v_mad_i64_i32 v[2:3], s[0:1], v14, s28, 0
	v_lshl_add_u64 v[14:15], v[2:3], 1, s[10:11]
	v_lshl_add_u64 v[2:3], v[14:15], 0, v[12:13]
	global_load_dwordx4 v[2:5], v[2:3], off
	v_cmp_eq_u32_e64 s[0:1], s26, v1
	s_and_saveexec_b64 s[14:15], s[0:1]
	s_cbranch_execz .LBB68_43
; %bb.42:                               ;   in Loop: Header=BB68_41 Depth=1
	v_or_b32_e32 v33, 7, v19
	v_or_b32_e32 v34, 6, v19
	s_waitcnt vmcnt(0)
	v_lshrrev_b32_e32 v35, 16, v5
	v_cmp_gt_i32_e64 s[2:3], s36, v33
	v_or_b32_e32 v31, 5, v19
	v_or_b32_e32 v32, 4, v19
	v_cndmask_b32_e64 v33, 0, v35, s[2:3]
	v_cmp_gt_i32_e64 s[2:3], s35, v34
	v_or_b32_e32 v25, 3, v19
	v_or_b32_e32 v30, 2, v19
	v_cndmask_b32_e64 v5, 0, v5, s[2:3]
	v_perm_b32 v5, v33, v5, s22
	v_lshrrev_b32_e32 v33, 16, v4
	v_cmp_gt_i32_e64 s[2:3], s34, v31
	v_add_u32_e32 v24, 1, v19
	s_nop 0
	v_cndmask_b32_e64 v31, 0, v33, s[2:3]
	v_cmp_gt_i32_e64 s[2:3], s31, v32
	s_nop 1
	v_cndmask_b32_e64 v4, 0, v4, s[2:3]
	v_perm_b32 v4, v31, v4, s22
	v_lshrrev_b32_e32 v31, 16, v3
	v_cmp_gt_i32_e64 s[2:3], s30, v25
	s_nop 1
	v_cndmask_b32_e64 v25, 0, v31, s[2:3]
	v_cmp_gt_i32_e64 s[2:3], s29, v30
	s_nop 1
	v_cndmask_b32_e64 v3, 0, v3, s[2:3]
	v_perm_b32 v3, v25, v3, s22
	v_lshrrev_b32_e32 v25, 16, v2
	v_cmp_gt_i32_e64 s[2:3], s27, v24
	s_nop 1
	v_cndmask_b32_e64 v24, 0, v25, s[2:3]
	v_cmp_gt_i32_e64 s[2:3], s17, v19
	s_nop 1
	v_cndmask_b32_e64 v2, 0, v2, s[2:3]
	v_perm_b32 v2, v24, v2, s22
.LBB68_43:                              ;   in Loop: Header=BB68_41 Depth=1
	s_or_b64 exec, exec, s[14:15]
	v_and_b32_e32 v7, 0xffff, v7
	v_lshl_or_b32 v25, v21, 16, v7
	v_and_b32_e32 v7, 0xffff, v22
	v_lshl_or_b32 v24, v23, 16, v7
	;; [unrolled: 2-line block ×3, first 2 shown]
	v_and_b32_e32 v7, 0xffff, v28
	s_waitcnt vmcnt(0)
	;;#ASMSTART
	v_pk_mul_f16 v2, v25, v2;

	;;#ASMEND
	v_lshl_or_b32 v22, v29, 16, v7
	;;#ASMSTART
	v_pk_mul_f16 v3, v24, v3;

	;;#ASMEND
	;;#ASMSTART
	v_pk_mul_f16 v4, v23, v4;

	;;#ASMEND
	;; [unrolled: 4-line block ×3, first 2 shown]
	s_nop 0
	;;#ASMSTART
	v_pk_add_f16 v2, v2, v3;

	;;#ASMEND
	s_nop 0
	;;#ASMSTART
	v_pk_add_f16 v2, v2, v4;

	;;#ASMEND
	;; [unrolled: 5-line block ×3, first 2 shown]
	s_nop 0
	v_lshrrev_b32_e32 v3, 16, v2
	v_and_b32_e32 v2, 0xffff, v2
	;;#ASMSTART
	v_cvt_f32_f16 v7, v2;
	;;#ASMEND
	;;#ASMSTART
	v_cvt_f32_f16 v21, v3;
	;;#ASMEND
	s_and_saveexec_b64 s[2:3], vcc
	s_cbranch_execz .LBB68_40
; %bb.44:                               ;   in Loop: Header=BB68_41 Depth=1
	v_lshl_add_u64 v[2:3], v[14:15], 0, v[8:9]
	global_load_dwordx4 v[2:5], v[2:3], off
	s_and_saveexec_b64 s[14:15], s[0:1]
	s_cbranch_execz .LBB68_39
; %bb.45:                               ;   in Loop: Header=BB68_41 Depth=1
	v_or_b32_e32 v29, 7, v19
	v_or_b32_e32 v30, 6, v19
	s_waitcnt vmcnt(0)
	v_lshrrev_b32_e32 v31, 16, v5
	v_cmp_gt_i32_e64 s[0:1], s36, v29
	v_or_b32_e32 v27, 5, v19
	v_or_b32_e32 v28, 4, v19
	v_cndmask_b32_e64 v29, 0, v31, s[0:1]
	v_cmp_gt_i32_e64 s[0:1], s35, v30
	v_or_b32_e32 v15, 3, v19
	v_or_b32_e32 v26, 2, v19
	v_cndmask_b32_e64 v5, 0, v5, s[0:1]
	v_perm_b32 v5, v29, v5, s22
	v_lshrrev_b32_e32 v29, 16, v4
	v_cmp_gt_i32_e64 s[0:1], s34, v27
	v_add_u32_e32 v14, 1, v19
	s_nop 0
	v_cndmask_b32_e64 v27, 0, v29, s[0:1]
	v_cmp_gt_i32_e64 s[0:1], s31, v28
	s_nop 1
	v_cndmask_b32_e64 v4, 0, v4, s[0:1]
	v_perm_b32 v4, v27, v4, s22
	v_lshrrev_b32_e32 v27, 16, v3
	v_cmp_gt_i32_e64 s[0:1], s30, v15
	s_nop 1
	v_cndmask_b32_e64 v15, 0, v27, s[0:1]
	v_cmp_gt_i32_e64 s[0:1], s29, v26
	s_nop 1
	v_cndmask_b32_e64 v3, 0, v3, s[0:1]
	v_perm_b32 v3, v15, v3, s22
	v_lshrrev_b32_e32 v15, 16, v2
	v_cmp_gt_i32_e64 s[0:1], s27, v14
	s_nop 1
	v_cndmask_b32_e64 v14, 0, v15, s[0:1]
	v_cmp_gt_i32_e64 s[0:1], s17, v19
	s_nop 1
	v_cndmask_b32_e64 v2, 0, v2, s[0:1]
	v_perm_b32 v2, v14, v2, s22
	s_branch .LBB68_39
.LBB68_46:
	s_or_b64 exec, exec, s[12:13]
.LBB68_47:
	s_or_b64 exec, exec, s[8:9]
	v_and_b32_e32 v1, 0x3c0, v0
	v_cmp_eq_u32_e32 vcc, 64, v1
	s_barrier
	s_and_saveexec_b64 s[0:1], vcc
	s_cbranch_execz .LBB68_50
; %bb.48:
	v_mov_b32_e32 v1, 0x100
	v_lshl_add_u32 v2, v16, 2, v1
	ds_write_b32 v2, v18
	s_and_b64 exec, exec, s[6:7]
	s_cbranch_execz .LBB68_50
; %bb.49:
	v_lshl_add_u32 v1, v0, 2, v1
	ds_write_b32 v1, v17
.LBB68_50:
	s_or_b64 exec, exec, s[0:1]
	v_cmp_gt_u32_e32 vcc, 64, v0
	v_or_b32_e32 v1, 64, v0
	s_waitcnt lgkmcnt(0)
	s_barrier
	s_and_saveexec_b64 s[2:3], vcc
	s_cbranch_execz .LBB68_54
; %bb.51:
	v_mov_b32_e32 v2, 0x100
	v_lshl_add_u32 v2, v0, 2, v2
	ds_read_b32 v0, v2
	s_movk_i32 s0, 0x78
	v_cmp_gt_u32_e64 s[0:1], s0, v1
	s_and_saveexec_b64 s[6:7], s[0:1]
	s_cbranch_execz .LBB68_53
; %bb.52:
	ds_read_b32 v2, v2 offset:256
	s_waitcnt lgkmcnt(0)
	v_add_f32_e32 v17, v17, v2
.LBB68_53:
	s_or_b64 exec, exec, s[6:7]
	s_waitcnt lgkmcnt(0)
	v_add_f32_e32 v18, v18, v0
.LBB68_54:
	s_or_b64 exec, exec, s[2:3]
	s_barrier
	s_and_saveexec_b64 s[0:1], vcc
	s_cbranch_execz .LBB68_57
; %bb.55:
	s_mul_i32 s0, s16, s19
	s_mul_i32 s0, s0, s5
	s_mulk_i32 s0, 0x78
	s_ashr_i32 s1, s0, 31
	s_lshl_b64 s[0:1], s[0:1], 1
	s_add_u32 s3, s20, s0
	s_mul_i32 s0, s19, s18
	s_addc_u32 s5, s21, s1
	s_ashr_i32 s1, s0, 31
	s_lshl_b64 s[0:1], s[0:1], 1
	s_add_u32 s3, s3, s0
	s_mul_i32 s0, s4, 0x78
	s_addc_u32 s5, s5, s1
	s_ashr_i32 s1, s0, 31
	s_lshl_b64 s[0:1], s[0:1], 1
	s_movk_i32 s2, 0x78
	s_add_u32 s0, s3, s0
	s_addc_u32 s1, s5, s1
	v_cmp_gt_u32_e32 vcc, s2, v1
	;;#ASMSTART
	v_cvt_f16_f32 v0, v18;

	;;#ASMEND
	global_store_short v6, v0, s[0:1]
	s_and_b64 exec, exec, vcc
	s_cbranch_execz .LBB68_57
; %bb.56:
	v_mov_b32_e32 v7, 0
	v_lshl_add_u64 v[0:1], s[0:1], 0, v[6:7]
	;;#ASMSTART
	v_cvt_f16_f32 v2, v17;

	;;#ASMEND
	global_store_short v[0:1], v2, off offset:128
.LBB68_57:
	s_endpgm
	.section	.rodata,"a",@progbits
	.p2align	6, 0x0
	.amdhsa_kernel _ZN4vllm25paged_attention_v1_kernelIttLi120ELi8ELi128ELNS_18Fp8KVCacheDataTypeE0ELb0EEEvPT_PKS2_PKT0_S8_ifPKiSA_iPKfiiiSC_SC_iiiii
		.amdhsa_group_segment_fixed_size 256
		.amdhsa_private_segment_fixed_size 0
		.amdhsa_kernarg_size 384
		.amdhsa_user_sgpr_count 2
		.amdhsa_user_sgpr_dispatch_ptr 0
		.amdhsa_user_sgpr_queue_ptr 0
		.amdhsa_user_sgpr_kernarg_segment_ptr 1
		.amdhsa_user_sgpr_dispatch_id 0
		.amdhsa_user_sgpr_kernarg_preload_length 0
		.amdhsa_user_sgpr_kernarg_preload_offset 0
		.amdhsa_user_sgpr_private_segment_size 0
		.amdhsa_uses_dynamic_stack 0
		.amdhsa_enable_private_segment 0
		.amdhsa_system_sgpr_workgroup_id_x 1
		.amdhsa_system_sgpr_workgroup_id_y 1
		.amdhsa_system_sgpr_workgroup_id_z 1
		.amdhsa_system_sgpr_workgroup_info 0
		.amdhsa_system_vgpr_workitem_id 0
		.amdhsa_next_free_vgpr 46
		.amdhsa_next_free_sgpr 37
		.amdhsa_accum_offset 48
		.amdhsa_reserve_vcc 1
		.amdhsa_float_round_mode_32 0
		.amdhsa_float_round_mode_16_64 0
		.amdhsa_float_denorm_mode_32 3
		.amdhsa_float_denorm_mode_16_64 3
		.amdhsa_dx10_clamp 1
		.amdhsa_ieee_mode 1
		.amdhsa_fp16_overflow 0
		.amdhsa_tg_split 0
		.amdhsa_exception_fp_ieee_invalid_op 0
		.amdhsa_exception_fp_denorm_src 0
		.amdhsa_exception_fp_ieee_div_zero 0
		.amdhsa_exception_fp_ieee_overflow 0
		.amdhsa_exception_fp_ieee_underflow 0
		.amdhsa_exception_fp_ieee_inexact 0
		.amdhsa_exception_int_div_zero 0
	.end_amdhsa_kernel
	.section	.text._ZN4vllm25paged_attention_v1_kernelIttLi120ELi8ELi128ELNS_18Fp8KVCacheDataTypeE0ELb0EEEvPT_PKS2_PKT0_S8_ifPKiSA_iPKfiiiSC_SC_iiiii,"axG",@progbits,_ZN4vllm25paged_attention_v1_kernelIttLi120ELi8ELi128ELNS_18Fp8KVCacheDataTypeE0ELb0EEEvPT_PKS2_PKT0_S8_ifPKiSA_iPKfiiiSC_SC_iiiii,comdat
.Lfunc_end68:
	.size	_ZN4vllm25paged_attention_v1_kernelIttLi120ELi8ELi128ELNS_18Fp8KVCacheDataTypeE0ELb0EEEvPT_PKS2_PKT0_S8_ifPKiSA_iPKfiiiSC_SC_iiiii, .Lfunc_end68-_ZN4vllm25paged_attention_v1_kernelIttLi120ELi8ELi128ELNS_18Fp8KVCacheDataTypeE0ELb0EEEvPT_PKS2_PKT0_S8_ifPKiSA_iPKfiiiSC_SC_iiiii
                                        ; -- End function
	.section	.AMDGPU.csdata,"",@progbits
; Kernel info:
; codeLenInByte = 4556
; NumSgprs: 43
; NumVgprs: 46
; NumAgprs: 0
; TotalNumVgprs: 46
; ScratchSize: 0
; MemoryBound: 0
; FloatMode: 240
; IeeeMode: 1
; LDSByteSize: 256 bytes/workgroup (compile time only)
; SGPRBlocks: 5
; VGPRBlocks: 5
; NumSGPRsForWavesPerEU: 43
; NumVGPRsForWavesPerEU: 46
; AccumOffset: 48
; Occupancy: 8
; WaveLimiterHint : 1
; COMPUTE_PGM_RSRC2:SCRATCH_EN: 0
; COMPUTE_PGM_RSRC2:USER_SGPR: 2
; COMPUTE_PGM_RSRC2:TRAP_HANDLER: 0
; COMPUTE_PGM_RSRC2:TGID_X_EN: 1
; COMPUTE_PGM_RSRC2:TGID_Y_EN: 1
; COMPUTE_PGM_RSRC2:TGID_Z_EN: 1
; COMPUTE_PGM_RSRC2:TIDIG_COMP_CNT: 0
; COMPUTE_PGM_RSRC3_GFX90A:ACCUM_OFFSET: 11
; COMPUTE_PGM_RSRC3_GFX90A:TG_SPLIT: 0
	.section	.text._ZN4vllm25paged_attention_v1_kernelIttLi128ELi8ELi128ELNS_18Fp8KVCacheDataTypeE0ELb0EEEvPT_PKS2_PKT0_S8_ifPKiSA_iPKfiiiSC_SC_iiiii,"axG",@progbits,_ZN4vllm25paged_attention_v1_kernelIttLi128ELi8ELi128ELNS_18Fp8KVCacheDataTypeE0ELb0EEEvPT_PKS2_PKT0_S8_ifPKiSA_iPKfiiiSC_SC_iiiii,comdat
	.protected	_ZN4vllm25paged_attention_v1_kernelIttLi128ELi8ELi128ELNS_18Fp8KVCacheDataTypeE0ELb0EEEvPT_PKS2_PKT0_S8_ifPKiSA_iPKfiiiSC_SC_iiiii ; -- Begin function _ZN4vllm25paged_attention_v1_kernelIttLi128ELi8ELi128ELNS_18Fp8KVCacheDataTypeE0ELb0EEEvPT_PKS2_PKT0_S8_ifPKiSA_iPKfiiiSC_SC_iiiii
	.globl	_ZN4vllm25paged_attention_v1_kernelIttLi128ELi8ELi128ELNS_18Fp8KVCacheDataTypeE0ELb0EEEvPT_PKS2_PKT0_S8_ifPKiSA_iPKfiiiSC_SC_iiiii
	.p2align	8
	.type	_ZN4vllm25paged_attention_v1_kernelIttLi128ELi8ELi128ELNS_18Fp8KVCacheDataTypeE0ELb0EEEvPT_PKS2_PKT0_S8_ifPKiSA_iPKfiiiSC_SC_iiiii,@function
_ZN4vllm25paged_attention_v1_kernelIttLi128ELi8ELi128ELNS_18Fp8KVCacheDataTypeE0ELb0EEEvPT_PKS2_PKT0_S8_ifPKiSA_iPKfiiiSC_SC_iiiii: ; @_ZN4vllm25paged_attention_v1_kernelIttLi128ELi8ELi128ELNS_18Fp8KVCacheDataTypeE0ELb0EEEvPT_PKS2_PKT0_S8_ifPKiSA_iPKfiiiSC_SC_iiiii
; %bb.0:
	s_load_dword s5, s[0:1], 0x80
	s_load_dwordx2 s[6:7], s[0:1], 0x30
	s_load_dwordx2 s[8:9], s[0:1], 0x20
	s_mov_b32 s10, s3
	s_ashr_i32 s11, s3, 31
	s_lshl_b64 s[12:13], s[10:11], 2
	s_waitcnt lgkmcnt(0)
	s_add_u32 s6, s6, s12
	s_addc_u32 s7, s7, s13
	s_abs_i32 s3, s8
	v_cvt_f32_u32_e32 v1, s3
	s_sub_i32 s12, 0, s3
	s_abs_i32 s11, s5
	s_xor_b32 s8, s5, s8
	v_rcp_iflag_f32_e32 v1, v1
	s_ashr_i32 s8, s8, 31
	v_mul_f32_e32 v1, 0x4f7ffffe, v1
	v_cvt_u32_f32_e32 v1, v1
	s_nop 0
	v_readfirstlane_b32 s13, v1
	s_mul_i32 s12, s12, s13
	s_mul_hi_u32 s12, s13, s12
	s_add_i32 s13, s13, s12
	s_mul_hi_u32 s12, s11, s13
	s_mul_i32 s13, s12, s3
	s_sub_i32 s11, s11, s13
	s_add_i32 s13, s12, 1
	s_sub_i32 s14, s11, s3
	s_cmp_ge_u32 s11, s3
	s_cselect_b32 s12, s13, s12
	s_cselect_b32 s11, s14, s11
	s_add_i32 s13, s12, 1
	s_cmp_ge_u32 s11, s3
	s_cselect_b32 s3, s13, s12
	s_xor_b32 s3, s3, s8
	s_sub_i32 s14, s3, s8
	s_abs_i32 s18, s14
	v_cvt_f32_u32_e32 v1, s18
	s_load_dwordx2 s[12:13], s[0:1], 0x40
	s_sub_i32 s3, 0, s18
	s_abs_i32 s19, s2
	v_rcp_iflag_f32_e32 v1, v1
	s_mov_b32 s8, 0
	v_mul_f32_e32 v1, 0x4f7ffffe, v1
	v_cvt_u32_f32_e32 v1, v1
	s_nop 0
	v_readfirstlane_b32 s11, v1
	s_mul_i32 s3, s3, s11
	s_mul_hi_u32 s3, s11, s3
	s_add_i32 s11, s11, s3
	s_waitcnt lgkmcnt(0)
	s_cmp_eq_u64 s[12:13], 0
	s_mul_hi_u32 s22, s19, s11
	s_cbranch_scc1 .LBB69_2
; %bb.1:
	s_ashr_i32 s3, s2, 31
	s_lshl_b64 s[16:17], s[2:3], 2
	s_add_u32 s12, s12, s16
	s_addc_u32 s13, s13, s17
	s_load_dword s8, s[12:13], 0x0
.LBB69_2:
	s_load_dword s11, s[6:7], 0x0
	s_ashr_i32 s7, s14, 31
	s_load_dwordx4 s[12:15], s[0:1], 0x48
	s_ashr_i32 s6, s2, 31
	s_lshl_b32 s16, s2, 7
	s_movk_i32 s2, 0x80
	v_and_b32_e32 v4, 7, v0
	v_cmp_gt_u32_e32 vcc, s2, v0
	v_lshlrev_b32_e32 v1, 1, v0
	s_and_saveexec_b64 s[2:3], vcc
	s_cbranch_execz .LBB69_4
; %bb.3:
	s_load_dwordx2 s[20:21], s[0:1], 0x8
	s_waitcnt lgkmcnt(0)
	s_mul_i32 s24, s10, s12
	s_ashr_i32 s25, s24, 31
	s_lshl_b64 s[24:25], s[24:25], 1
	v_lshrrev_b32_e32 v3, 2, v0
	s_add_u32 s12, s20, s24
	s_addc_u32 s15, s21, s25
	s_ashr_i32 s17, s16, 31
	s_lshl_b64 s[20:21], s[16:17], 1
	s_add_u32 s20, s12, s20
	s_addc_u32 s21, s15, s21
	global_load_ushort v2, v1, s[20:21]
	v_and_b32_e32 v3, 0xfe, v3
	v_lshl_add_u32 v3, v4, 5, v3
	s_waitcnt vmcnt(0)
	ds_write_b16 v3, v2
.LBB69_4:
	s_or_b64 exec, exec, s[2:3]
	s_waitcnt lgkmcnt(0)
	s_add_i32 s3, s11, 7
	s_ashr_i32 s12, s3, 31
	s_lshr_b32 s12, s12, 29
	s_add_i32 s3, s3, s12
	s_ashr_i32 s17, s3, 3
	s_xor_b32 s3, s6, s7
	s_mul_i32 s6, s22, s18
	s_sub_i32 s6, s19, s6
	s_add_i32 s7, s22, 1
	s_sub_i32 s12, s6, s18
	s_load_dwordx2 s[20:21], s[0:1], 0x28
	s_load_dword s2, s[0:1], 0x38
	s_cmp_ge_u32 s6, s18
	s_cselect_b32 s7, s7, s22
	s_cselect_b32 s6, s12, s6
	s_add_i32 s12, s7, 1
	s_cmp_ge_u32 s6, s18
	s_cselect_b32 s6, s12, s7
	v_lshrrev_b32_e32 v14, 6, v0
	s_xor_b32 s6, s6, s3
	s_waitcnt lgkmcnt(0)
	s_mul_i32 s22, s10, s2
	s_sub_i32 s15, s6, s3
	s_ashr_i32 s23, s22, 31
	v_cmp_gt_i32_e64 s[6:7], s17, v14
	v_cmp_le_i32_e32 vcc, s17, v14
	v_mbcnt_lo_u32_b32 v13, -1, 0
	s_barrier
	s_waitcnt lgkmcnt(0)
                                        ; implicit-def: $sgpr28
                                        ; implicit-def: $vgpr6
                                        ; implicit-def: $vgpr7
	s_and_saveexec_b64 s[2:3], vcc
	s_xor_b64 s[2:3], exec, s[2:3]
; %bb.5:
	v_mbcnt_hi_u32_b32 v6, -1, v13
	v_and_b32_e32 v2, 64, v6
	v_add_u32_e32 v7, 64, v2
	s_mov_b32 s28, 0xff7fffff
                                        ; implicit-def: $vgpr4
                                        ; implicit-def: $vgpr13
; %bb.6:
	s_or_saveexec_b64 s[26:27], s[2:3]
	s_load_dwordx2 s[18:19], s[0:1], 0x0
	s_load_dwordx2 s[24:25], s[0:1], 0x18
	s_load_dword s12, s[0:1], 0x88
	v_mov_b32_e32 v8, s28
	s_mul_i32 s14, s15, s14
	v_lshrrev_b32_e32 v10, 4, v0
	s_xor_b64 exec, exec, s[26:27]
	s_cbranch_execz .LBB69_12
; %bb.7:
	s_load_dwordx2 s[0:1], s[0:1], 0x10
	s_ashr_i32 s15, s14, 31
	s_lshl_b64 s[2:3], s[14:15], 1
	v_bfe_u32 v5, v0, 3, 3
	v_lshlrev_b32_e32 v6, 4, v5
	s_waitcnt lgkmcnt(0)
	s_add_u32 s0, s0, s2
	s_addc_u32 s1, s1, s3
	v_mov_b32_e32 v7, 0
	v_lshl_add_u64 v[2:3], s[0:1], 0, v[6:7]
	s_sub_i32 s15, 1, s11
	s_lshl_b64 s[0:1], s[22:23], 2
	v_lshlrev_b32_e32 v6, 1, v4
	v_lshlrev_b32_e32 v9, 5, v4
	v_cmp_eq_u32_e32 vcc, 0, v4
	v_lshlrev_b32_e32 v4, 2, v5
	s_add_u32 s0, s20, s0
	v_lshl_add_u64 v[2:3], v[2:3], 0, v[6:7]
	v_lshl_or_b32 v4, v14, 5, v4
	v_and_b32_e32 v6, 60, v10
	s_addc_u32 s1, s21, s1
	v_lshl_or_b32 v11, v14, 3, v5
	v_add_u32_e32 v12, 0x110, v4
	v_lshl_add_u64 v[4:5], s[0:1], 0, v[6:7]
	v_mbcnt_hi_u32_b32 v6, -1, v13
	v_and_b32_e32 v7, 64, v6
	s_mov_b32 s33, s13
	v_cmp_neq_f32_e64 s[2:3], s8, 0
	s_mov_b64 s[28:29], 0
	v_mov_b32_e32 v8, 0xff7fffff
	v_add_u32_e32 v7, 64, v7
	v_xor_b32_e32 v13, 4, v6
	v_xor_b32_e32 v15, 2, v6
	;; [unrolled: 1-line block ×3, first 2 shown]
	v_mov_b32_e32 v17, v14
	s_branch .LBB69_9
.LBB69_8:                               ;   in Loop: Header=BB69_9 Depth=1
	s_or_b64 exec, exec, s[30:31]
	v_add_u32_e32 v17, 2, v17
	v_cmp_le_i32_e64 s[0:1], s17, v17
	v_add_u32_e32 v11, 16, v11
	v_add_u32_e32 v12, 64, v12
	s_or_b64 s[28:29], s[0:1], s[28:29]
	v_lshl_add_u64 v[4:5], v[4:5], 0, 8
	s_andn2_b64 exec, exec, s[28:29]
	s_cbranch_execz .LBB69_11
.LBB69_9:                               ; =>This Inner Loop Header: Depth=1
	global_load_dword v18, v[4:5], off
	s_waitcnt vmcnt(0) lgkmcnt(0)
	v_mad_i64_i32 v[18:19], s[0:1], v18, s33, 0
	v_lshl_add_u64 v[18:19], v[18:19], 1, v[2:3]
	global_load_ushort v20, v[18:19], off
	global_load_ushort v21, v[18:19], off offset:128
	global_load_ushort v22, v[18:19], off offset:256
	;; [unrolled: 1-line block ×10, first 2 shown]
	ds_read_u16 v31, v9
	global_load_ushort v32, v[18:19], off offset:1408
	global_load_ushort v33, v[18:19], off offset:1536
	;; [unrolled: 1-line block ×5, first 2 shown]
	s_waitcnt lgkmcnt(0)
	;;#ASMSTART
	v_cvt_f32_f16 v18, v31;
	;;#ASMEND
	v_cmp_lt_i32_e64 s[0:1], v13, v7
	s_waitcnt vmcnt(15)
	;;#ASMSTART
	v_cvt_f32_f16 v19, v20;
	;;#ASMEND
	ds_read_u16 v20, v9 offset:2
	s_waitcnt lgkmcnt(0)
	;;#ASMSTART
	v_cvt_f32_f16 v20, v20;
	;;#ASMEND
	s_waitcnt vmcnt(14)
	;;#ASMSTART
	v_cvt_f32_f16 v21, v21;
	;;#ASMEND
	ds_read_u16 v31, v9 offset:4
	v_mul_f32_e32 v20, v20, v21
	v_fmac_f32_e32 v20, v18, v19
	s_waitcnt lgkmcnt(0)
	;;#ASMSTART
	v_cvt_f32_f16 v31, v31;
	;;#ASMEND
	s_waitcnt vmcnt(13)
	;;#ASMSTART
	v_cvt_f32_f16 v22, v22;
	;;#ASMEND
	ds_read_u16 v37, v9 offset:6
	v_fmac_f32_e32 v20, v31, v22
	s_waitcnt lgkmcnt(0)
	;;#ASMSTART
	v_cvt_f32_f16 v37, v37;
	;;#ASMEND
	s_waitcnt vmcnt(12)
	;;#ASMSTART
	v_cvt_f32_f16 v23, v23;
	;;#ASMEND
	ds_read_u16 v38, v9 offset:8
	;; [unrolled: 10-line block ×12, first 2 shown]
	v_fmac_f32_e32 v20, v21, v22
	v_cndmask_b32_e64 v46, v6, v13, s[0:1]
	s_waitcnt lgkmcnt(0)
	;;#ASMSTART
	v_cvt_f32_f16 v23, v23;
	;;#ASMEND
	s_waitcnt vmcnt(1)
	;;#ASMSTART
	v_cvt_f32_f16 v24, v35;
	;;#ASMEND
	v_lshlrev_b32_e32 v46, 2, v46
	v_fmac_f32_e32 v20, v23, v24
	ds_read_u16 v25, v9 offset:30
	s_waitcnt lgkmcnt(0)
	;;#ASMSTART
	v_cvt_f32_f16 v18, v25;
	;;#ASMEND
	s_waitcnt vmcnt(0)
	;;#ASMSTART
	v_cvt_f32_f16 v19, v36;
	;;#ASMEND
	v_cmp_lt_i32_e64 s[0:1], v15, v7
	v_fmac_f32_e32 v20, v18, v19
	ds_bpermute_b32 v18, v46, v20
	v_cndmask_b32_e64 v19, v6, v15, s[0:1]
	v_lshlrev_b32_e32 v19, 2, v19
	v_cmp_lt_i32_e64 s[0:1], v16, v7
	s_waitcnt lgkmcnt(0)
	v_add_f32_e32 v18, v20, v18
	ds_bpermute_b32 v19, v19, v18
	v_cndmask_b32_e64 v20, v6, v16, s[0:1]
	s_waitcnt lgkmcnt(0)
	v_add_f32_e32 v18, v18, v19
	v_lshlrev_b32_e32 v19, 2, v20
	ds_bpermute_b32 v19, v19, v18
	s_and_saveexec_b64 s[30:31], vcc
	s_cbranch_execz .LBB69_8
; %bb.10:                               ;   in Loop: Header=BB69_9 Depth=1
	v_add_u32_e32 v20, s15, v11
	v_cvt_f32_i32_e32 v20, v20
	s_waitcnt lgkmcnt(0)
	v_add_f32_e32 v18, v18, v19
	v_cmp_gt_i32_e64 s[0:1], s11, v11
	v_max_f32_e32 v19, v8, v8
	v_mul_f32_e32 v20, s8, v20
	v_cndmask_b32_e64 v20, 0, v20, s[2:3]
	v_fmac_f32_e32 v20, s9, v18
	v_cndmask_b32_e64 v18, 0, v20, s[0:1]
	ds_write_b32 v12, v18
	v_max_f32_e32 v18, v19, v20
	v_cndmask_b32_e64 v8, v8, v18, s[0:1]
	s_branch .LBB69_8
.LBB69_11:
	s_or_b64 exec, exec, s[28:29]
.LBB69_12:
	s_or_b64 exec, exec, s[26:27]
	v_xor_b32_e32 v2, 32, v6
	v_cmp_lt_i32_e32 vcc, v2, v7
	v_xor_b32_e32 v5, 16, v6
	v_max_f32_e32 v4, v8, v8
	v_cndmask_b32_e32 v2, v6, v2, vcc
	v_lshlrev_b32_e32 v3, 2, v2
	ds_bpermute_b32 v2, v3, v8
	v_cmp_lt_i32_e32 vcc, v5, v7
	v_xor_b32_e32 v8, 8, v6
	v_and_b32_e32 v15, 63, v0
	s_waitcnt lgkmcnt(0)
	v_max_f32_e32 v2, v2, v2
	v_max_f32_e32 v2, v4, v2
	v_cndmask_b32_e32 v4, v6, v5, vcc
	v_lshlrev_b32_e32 v5, 2, v4
	ds_bpermute_b32 v4, v5, v2
	v_cmp_lt_i32_e32 vcc, v8, v7
	s_waitcnt lgkmcnt(0)
	v_max_f32_e32 v4, v4, v4
	v_max_f32_e32 v4, v2, v4
	v_cndmask_b32_e32 v2, v6, v8, vcc
	v_lshlrev_b32_e32 v9, 2, v2
	ds_bpermute_b32 v8, v9, v4
	v_cmp_eq_u32_e32 vcc, 0, v15
	v_lshlrev_b32_e32 v2, 2, v14
	s_and_saveexec_b64 s[0:1], vcc
	s_cbranch_execz .LBB69_14
; %bb.13:
	s_waitcnt lgkmcnt(0)
	v_max_f32_e32 v8, v8, v8
	v_max_f32_e32 v4, v4, v4
	;; [unrolled: 1-line block ×3, first 2 shown]
	ds_write_b32 v2, v4 offset:256
.LBB69_14:
	s_or_b64 exec, exec, s[0:1]
	v_cmp_gt_u32_e64 s[0:1], 2, v15
	v_mov_b32_e32 v11, 0xff7fffff
	v_lshlrev_b32_e32 v4, 2, v15
	s_waitcnt lgkmcnt(0)
	s_barrier
	s_and_saveexec_b64 s[2:3], s[0:1]
	s_cbranch_execz .LBB69_16
; %bb.15:
	ds_read_b32 v11, v4 offset:256
.LBB69_16:
	s_or_b64 exec, exec, s[2:3]
	v_xor_b32_e32 v8, 1, v6
	v_cmp_lt_i32_e64 s[2:3], v8, v7
	v_lshlrev_b32_e32 v13, 2, v6
	s_nop 0
	v_cndmask_b32_e64 v8, v6, v8, s[2:3]
	v_lshlrev_b32_e32 v8, 2, v8
	s_waitcnt lgkmcnt(0)
	ds_bpermute_b32 v12, v8, v11
	v_max_f32_e32 v11, v11, v11
	s_lshl_b32 s2, s17, 3
	s_min_i32 s15, s2, s11
	v_cmp_gt_i32_e64 s[2:3], s15, v0
	s_waitcnt lgkmcnt(0)
	v_max_f32_e32 v12, v12, v12
	v_max_f32_e32 v12, v11, v12
	v_and_b32_e32 v11, 0xffffff00, v13
	ds_bpermute_b32 v13, v11, v12
	v_mov_b32_e32 v12, 0
	s_and_saveexec_b64 s[26:27], s[2:3]
	s_cbranch_execz .LBB69_20
; %bb.17:
	v_mov_b32_e32 v12, 0x110
	v_lshl_add_u32 v16, v0, 2, v12
	s_mov_b64 s[28:29], 0
	v_mov_b32_e32 v12, 0
	v_mov_b32_e32 v17, v0
.LBB69_18:                              ; =>This Inner Loop Header: Depth=1
	ds_read_b32 v18, v16
	v_add_u32_e32 v17, 0x80, v17
	v_cmp_le_i32_e64 s[8:9], s15, v17
	s_or_b64 s[28:29], s[8:9], s[28:29]
	s_waitcnt lgkmcnt(0)
	v_sub_f32_e32 v18, v18, v13
	v_mul_f32_e32 v18, 0x3fb8aa3b, v18
	v_exp_f32_e32 v18, v18
	ds_write_b32 v16, v18
	v_add_f32_e32 v12, v12, v18
	v_add_u32_e32 v16, 0x200, v16
	s_andn2_b64 exec, exec, s[28:29]
	s_cbranch_execnz .LBB69_18
; %bb.19:
	s_or_b64 exec, exec, s[28:29]
.LBB69_20:
	s_or_b64 exec, exec, s[26:27]
	ds_bpermute_b32 v3, v3, v12
	s_waitcnt lgkmcnt(0)
	v_add_f32_e32 v3, v12, v3
	ds_bpermute_b32 v5, v5, v3
	s_waitcnt lgkmcnt(0)
	v_add_f32_e32 v3, v3, v5
	ds_bpermute_b32 v5, v9, v3
	v_xor_b32_e32 v9, 4, v6
	v_cmp_lt_i32_e64 s[8:9], v9, v7
	s_waitcnt lgkmcnt(0)
	v_add_f32_e32 v3, v3, v5
	v_cndmask_b32_e64 v9, v6, v9, s[8:9]
	v_lshlrev_b32_e32 v9, 2, v9
	ds_bpermute_b32 v5, v9, v3
	v_xor_b32_e32 v9, 2, v6
	v_cmp_lt_i32_e64 s[8:9], v9, v7
	s_waitcnt lgkmcnt(0)
	v_add_f32_e32 v3, v3, v5
	v_cndmask_b32_e64 v6, v6, v9, s[8:9]
	v_lshlrev_b32_e32 v5, 2, v6
	ds_bpermute_b32 v5, v5, v3
	s_waitcnt lgkmcnt(0)
	v_add_f32_e32 v3, v3, v5
	ds_bpermute_b32 v5, v8, v3
	s_waitcnt lgkmcnt(0)
	v_add_f32_e32 v3, v3, v5
	s_and_saveexec_b64 s[8:9], vcc
	s_cbranch_execz .LBB69_22
; %bb.21:
	ds_write_b32 v2, v3 offset:264
.LBB69_22:
	s_or_b64 exec, exec, s[8:9]
	s_waitcnt lgkmcnt(0)
	s_barrier
	s_and_saveexec_b64 s[8:9], s[0:1]
	s_cbranch_execz .LBB69_24
; %bb.23:
	ds_read_b32 v3, v4 offset:264
.LBB69_24:
	s_or_b64 exec, exec, s[8:9]
	s_waitcnt lgkmcnt(0)
	ds_bpermute_b32 v2, v8, v3
	s_waitcnt lgkmcnt(0)
	v_add_f32_e32 v2, v3, v2
	ds_bpermute_b32 v2, v11, v2
	s_and_saveexec_b64 s[0:1], s[2:3]
	s_cbranch_execz .LBB69_37
; %bb.25:
	s_waitcnt lgkmcnt(0)
	v_add_f32_e32 v2, 0x358637bd, v2
	v_div_scale_f32 v3, s[2:3], v2, v2, 1.0
	v_rcp_f32_e32 v4, v3
	v_div_scale_f32 v5, vcc, 1.0, v2, 1.0
	s_movk_i32 s2, 0x7f
	v_fma_f32 v6, -v3, v4, 1.0
	v_fmac_f32_e32 v4, v6, v4
	v_mul_f32_e32 v6, v5, v4
	v_fma_f32 v7, -v3, v6, v5
	v_fmac_f32_e32 v6, v7, v4
	v_fma_f32 v3, -v3, v6, v5
	v_div_fmas_f32 v3, v3, v4, v6
	v_xad_u32 v4, v0, -1, s15
	v_div_fixup_f32 v2, v3, v2, 1.0
	v_cmp_lt_u32_e32 vcc, s2, v4
	s_mov_b64 s[8:9], -1
	v_mov_b32_e32 v3, v0
	s_and_saveexec_b64 s[2:3], vcc
	s_cbranch_execz .LBB69_34
; %bb.26:
	v_lshrrev_b32_e32 v4, 7, v4
	v_add_u32_e32 v6, -1, v4
	v_lshrrev_b32_e32 v5, 1, v6
	v_mov_b32_e32 v3, v2
	v_add_u32_e32 v5, 1, v5
	v_cmp_lt_u32_e32 vcc, 13, v6
	v_mov_b32_e32 v8, 0
	s_and_saveexec_b64 s[8:9], vcc
	s_cbranch_execz .LBB69_30
; %bb.27:
	v_mov_b32_e32 v7, 0x110
	v_and_b32_e32 v6, -8, v5
	v_lshl_add_u32 v7, v0, 2, v7
	s_mov_b32 s28, 0
	s_mov_b64 s[26:27], 0
.LBB69_28:                              ; =>This Inner Loop Header: Depth=1
	ds_read2st64_b32 v[8:9], v7 offset1:2
	ds_read2st64_b32 v[12:13], v7 offset0:4 offset1:6
	ds_read2st64_b32 v[16:17], v7 offset0:8 offset1:10
	;; [unrolled: 1-line block ×3, first 2 shown]
	v_add_u32_e32 v6, -8, v6
	s_waitcnt lgkmcnt(3)
	v_pk_mul_f32 v[8:9], v[2:3], v[8:9]
	s_waitcnt lgkmcnt(2)
	v_pk_mul_f32 v[12:13], v[2:3], v[12:13]
	ds_write2st64_b32 v7, v8, v9 offset1:2
	ds_write2st64_b32 v7, v12, v13 offset0:4 offset1:6
	ds_read2st64_b32 v[12:13], v7 offset0:16 offset1:18
	s_waitcnt lgkmcnt(4)
	v_pk_mul_f32 v[8:9], v[2:3], v[16:17]
	ds_write2st64_b32 v7, v8, v9 offset0:8 offset1:10
	s_waitcnt lgkmcnt(4)
	v_pk_mul_f32 v[8:9], v[2:3], v[18:19]
	ds_write2st64_b32 v7, v8, v9 offset0:12 offset1:14
	ds_read2st64_b32 v[8:9], v7 offset0:20 offset1:22
	s_waitcnt lgkmcnt(3)
	v_pk_mul_f32 v[12:13], v[2:3], v[12:13]
	ds_read2st64_b32 v[16:17], v7 offset0:24 offset1:26
	ds_write2st64_b32 v7, v12, v13 offset0:16 offset1:18
	ds_read2st64_b32 v[12:13], v7 offset0:28 offset1:30
	s_waitcnt lgkmcnt(3)
	v_pk_mul_f32 v[8:9], v[2:3], v[8:9]
	ds_write2st64_b32 v7, v8, v9 offset0:20 offset1:22
	s_waitcnt lgkmcnt(3)
	v_pk_mul_f32 v[8:9], v[2:3], v[16:17]
	ds_write2st64_b32 v7, v8, v9 offset0:24 offset1:26
	s_waitcnt lgkmcnt(2)
	v_pk_mul_f32 v[8:9], v[2:3], v[12:13]
	s_add_i32 s28, s28, 16
	v_cmp_eq_u32_e32 vcc, 0, v6
	ds_write2st64_b32 v7, v8, v9 offset0:28 offset1:30
	v_add_u32_e32 v7, 0x2000, v7
	s_or_b64 s[26:27], vcc, s[26:27]
	v_mov_b32_e32 v8, s28
	s_andn2_b64 exec, exec, s[26:27]
	s_cbranch_execnz .LBB69_28
; %bb.29:
	s_or_b64 exec, exec, s[26:27]
.LBB69_30:
	s_or_b64 exec, exec, s[8:9]
	v_and_b32_e32 v5, 7, v5
	v_cmp_ne_u32_e32 vcc, 0, v5
	s_and_saveexec_b64 s[8:9], vcc
	s_cbranch_execz .LBB69_33
; %bb.31:
	v_lshlrev_b32_e32 v6, 9, v8
	v_lshlrev_b32_e32 v7, 2, v0
	s_movk_i32 s26, 0x110
	v_add3_u32 v6, v6, v7, s26
	s_mov_b64 s[26:27], 0
.LBB69_32:                              ; =>This Inner Loop Header: Depth=1
	ds_read2st64_b32 v[8:9], v6 offset1:2
	v_add_u32_e32 v5, -1, v5
	v_cmp_eq_u32_e32 vcc, 0, v5
	s_or_b64 s[26:27], vcc, s[26:27]
	s_waitcnt lgkmcnt(0)
	v_pk_mul_f32 v[8:9], v[2:3], v[8:9]
	ds_write2st64_b32 v6, v8, v9 offset1:2
	v_add_u32_e32 v6, 0x400, v6
	s_andn2_b64 exec, exec, s[26:27]
	s_cbranch_execnz .LBB69_32
.LBB69_33:
	s_or_b64 exec, exec, s[8:9]
	v_add_u32_e32 v4, 1, v4
	v_and_b32_e32 v5, 0x3fffffe, v4
	v_cmp_ne_u32_e32 vcc, v4, v5
	v_lshl_add_u32 v3, v5, 7, v0
	s_orn2_b64 s[8:9], vcc, exec
.LBB69_34:
	s_or_b64 exec, exec, s[2:3]
	s_and_b64 exec, exec, s[8:9]
	s_cbranch_execz .LBB69_37
; %bb.35:
	v_mov_b32_e32 v4, 0x110
	v_lshl_add_u32 v4, v3, 2, v4
	s_mov_b64 s[2:3], 0
.LBB69_36:                              ; =>This Inner Loop Header: Depth=1
	ds_read_b32 v5, v4
	v_add_u32_e32 v3, 0x80, v3
	v_cmp_le_i32_e32 vcc, s15, v3
	s_or_b64 s[2:3], vcc, s[2:3]
	s_waitcnt lgkmcnt(0)
	v_mul_f32_e32 v5, v2, v5
	ds_write_b32 v4, v5
	v_add_u32_e32 v4, 0x200, v4
	s_andn2_b64 exec, exec, s[2:3]
	s_cbranch_execnz .LBB69_36
.LBB69_37:
	s_or_b64 exec, exec, s[0:1]
	s_mov_b32 s0, 0
	s_mov_b32 s1, s0
	v_mov_b64_e32 v[6:7], s[0:1]
	s_waitcnt lgkmcnt(0)
	s_barrier
	s_and_saveexec_b64 s[2:3], s[6:7]
	s_cbranch_execz .LBB69_45
; %bb.38:
	s_ashr_i32 s15, s14, 31
	s_lshl_b64 s[0:1], s[14:15], 1
	s_add_u32 s0, s24, s0
	s_addc_u32 s1, s25, s1
	v_lshlrev_b32_e32 v6, 4, v15
	v_mov_b32_e32 v7, 0
	s_add_i32 s14, s17, -1
	v_lshl_add_u64 v[8:9], s[0:1], 0, v[6:7]
	s_lshl_b64 s[0:1], s[22:23], 2
	s_add_u32 s0, s20, s0
	v_mov_b32_e32 v2, 0x110
	v_and_b32_e32 v6, 60, v10
	s_addc_u32 s1, s21, s1
	s_mov_b32 s15, s11
	s_mov_b32 s24, s11
	s_mov_b32 s25, s11
	s_mov_b32 s26, s11
	s_mov_b32 s27, s11
	s_mov_b32 s28, s11
	s_mov_b32 s29, s11
	v_lshlrev_b32_e32 v16, 3, v14
	v_lshl_add_u32 v17, v14, 5, v2
	v_lshl_add_u64 v[10:11], s[0:1], 0, v[6:7]
	s_mov_b64 s[6:7], 0
	s_mov_b32 s20, 0x5040100
	v_mov_b32_e32 v6, v7
	s_branch .LBB69_40
.LBB69_39:                              ;   in Loop: Header=BB69_40 Depth=1
	s_or_b64 exec, exec, s[0:1]
	s_waitcnt vmcnt(0)
	;;#ASMSTART
	v_pk_mul_f16 v2, v28, v2;

	;;#ASMEND
	;;#ASMSTART
	v_pk_mul_f16 v3, v27, v3;

	;;#ASMEND
	;; [unrolled: 4-line block ×4, first 2 shown]
	v_add_u32_e32 v14, 2, v14
	;;#ASMSTART
	v_pk_add_f16 v2, v2, v3;

	;;#ASMEND
	v_add_f32_e32 v12, v29, v30
	;;#ASMSTART
	v_pk_add_f16 v2, v2, v4;

	;;#ASMEND
	v_cmp_le_i32_e32 vcc, s17, v14
	;;#ASMSTART
	v_pk_add_f16 v2, v2, v5;

	;;#ASMEND
	v_add_f32_e32 v6, v6, v12
	v_lshrrev_b32_e32 v3, 16, v2
	v_and_b32_e32 v2, 0xffff, v2
	;;#ASMSTART
	v_cvt_f32_f16 v2, v2;
	;;#ASMEND
	;;#ASMSTART
	v_cvt_f32_f16 v3, v3;
	;;#ASMEND
	v_add_u32_e32 v16, 16, v16
	v_add_f32_e32 v2, v2, v3
	v_add_f32_e32 v7, v7, v2
	v_add_u32_e32 v17, 64, v17
	s_or_b64 s[6:7], vcc, s[6:7]
	v_lshl_add_u64 v[10:11], v[10:11], 0, 8
	s_andn2_b64 exec, exec, s[6:7]
	s_cbranch_execz .LBB69_44
.LBB69_40:                              ; =>This Inner Loop Header: Depth=1
	global_load_dword v12, v[10:11], off
	ds_read2_b64 v[2:5], v17 offset1:1
	ds_read2_b64 v[18:21], v17 offset0:2 offset1:3
	v_cmp_eq_u32_e32 vcc, s14, v14
	v_or_b32_e32 v22, 5, v16
	s_waitcnt lgkmcnt(1)
	;;#ASMSTART
	v_cvt_f16_f32 v25, v2;

	;;#ASMEND
	;;#ASMSTART
	v_cvt_f16_f32 v26, v3;

	;;#ASMEND
	;; [unrolled: 4-line block ×4, first 2 shown]
	s_waitcnt lgkmcnt(0)
	;;#ASMSTART
	v_cvt_f16_f32 v30, v18;

	;;#ASMEND
	;;#ASMSTART
	v_cvt_f16_f32 v31, v19;

	;;#ASMEND
	;; [unrolled: 4-line block ×4, first 2 shown]
	v_add_u32_e32 v18, 1, v16
	v_or_b32_e32 v20, 3, v16
	v_or_b32_e32 v19, 2, v16
	;; [unrolled: 1-line block ×5, first 2 shown]
	s_waitcnt vmcnt(0)
	v_mad_i64_i32 v[2:3], s[0:1], v12, s13, 0
	v_lshl_add_u64 v[12:13], v[2:3], 1, v[8:9]
	global_load_dwordx4 v[2:5], v[12:13], off
	s_and_saveexec_b64 s[8:9], vcc
	s_cbranch_execz .LBB69_42
; %bb.41:                               ;   in Loop: Header=BB69_40 Depth=1
	s_waitcnt vmcnt(0)
	v_lshrrev_b32_e32 v28, 16, v5
	v_cmp_gt_i32_e64 s[0:1], s29, v24
	s_nop 1
	v_cndmask_b32_e64 v28, 0, v28, s[0:1]
	v_cmp_gt_i32_e64 s[0:1], s28, v23
	s_nop 1
	v_cndmask_b32_e64 v5, 0, v5, s[0:1]
	v_perm_b32 v5, v28, v5, s20
	v_lshrrev_b32_e32 v28, 16, v4
	v_cmp_gt_i32_e64 s[0:1], s27, v22
	s_nop 1
	v_cndmask_b32_e64 v28, 0, v28, s[0:1]
	v_cmp_gt_i32_e64 s[0:1], s26, v21
	s_nop 1
	v_cndmask_b32_e64 v4, 0, v4, s[0:1]
	v_perm_b32 v4, v28, v4, s20
	;; [unrolled: 8-line block ×4, first 2 shown]
.LBB69_42:                              ;   in Loop: Header=BB69_40 Depth=1
	s_or_b64 exec, exec, s[8:9]
	v_and_b32_e32 v25, 0xffff, v25
	v_lshl_or_b32 v28, v26, 16, v25
	v_and_b32_e32 v25, 0xffff, v27
	v_lshl_or_b32 v27, v29, 16, v25
	;; [unrolled: 2-line block ×3, first 2 shown]
	v_and_b32_e32 v25, 0xffff, v32
	s_waitcnt vmcnt(0)
	;;#ASMSTART
	v_pk_mul_f16 v2, v28, v2;

	;;#ASMEND
	v_lshl_or_b32 v25, v33, 16, v25
	;;#ASMSTART
	v_pk_mul_f16 v3, v27, v3;

	;;#ASMEND
	;;#ASMSTART
	v_pk_mul_f16 v4, v26, v4;

	;;#ASMEND
	;; [unrolled: 4-line block ×3, first 2 shown]
	s_nop 0
	;;#ASMSTART
	v_pk_add_f16 v2, v2, v3;

	;;#ASMEND
	s_nop 0
	;;#ASMSTART
	v_pk_add_f16 v2, v2, v4;

	;;#ASMEND
	;; [unrolled: 5-line block ×3, first 2 shown]
	s_nop 0
	v_lshrrev_b32_e32 v3, 16, v2
	v_and_b32_e32 v2, 0xffff, v2
	;;#ASMSTART
	v_cvt_f32_f16 v29, v2;
	;;#ASMEND
	;;#ASMSTART
	v_cvt_f32_f16 v30, v3;
	;;#ASMEND
	global_load_dwordx4 v[2:5], v[12:13], off offset:1024
	s_and_saveexec_b64 s[0:1], vcc
	s_cbranch_execz .LBB69_39
; %bb.43:                               ;   in Loop: Header=BB69_40 Depth=1
	s_waitcnt vmcnt(0)
	v_lshrrev_b32_e32 v12, 16, v5
	v_cmp_gt_i32_e32 vcc, s29, v24
	s_nop 1
	v_cndmask_b32_e32 v12, 0, v12, vcc
	v_cmp_gt_i32_e32 vcc, s28, v23
	s_nop 1
	v_cndmask_b32_e32 v5, 0, v5, vcc
	v_perm_b32 v5, v12, v5, s20
	v_lshrrev_b32_e32 v12, 16, v4
	v_cmp_gt_i32_e32 vcc, s27, v22
	s_nop 1
	v_cndmask_b32_e32 v12, 0, v12, vcc
	v_cmp_gt_i32_e32 vcc, s26, v21
	s_nop 1
	v_cndmask_b32_e32 v4, 0, v4, vcc
	v_perm_b32 v4, v12, v4, s20
	;; [unrolled: 8-line block ×4, first 2 shown]
	s_branch .LBB69_39
.LBB69_44:
	s_or_b64 exec, exec, s[6:7]
.LBB69_45:
	s_or_b64 exec, exec, s[2:3]
	v_and_b32_e32 v2, 0x3c0, v0
	v_cmp_eq_u32_e32 vcc, 64, v2
	s_barrier
	s_and_saveexec_b64 s[0:1], vcc
	s_cbranch_execz .LBB69_47
; %bb.46:
	v_mov_b32_e32 v2, 0x110
	v_lshl_add_u32 v3, v0, 2, v2
	v_lshl_add_u32 v2, v15, 2, v2
	ds_write_b32 v2, v6
	ds_write_b32 v3, v7
.LBB69_47:
	s_or_b64 exec, exec, s[0:1]
	v_cmp_gt_u32_e32 vcc, 64, v0
	s_waitcnt lgkmcnt(0)
	s_barrier
	s_and_saveexec_b64 s[0:1], vcc
	s_cbranch_execz .LBB69_49
; %bb.48:
	v_mov_b32_e32 v2, 0x110
	v_lshl_add_u32 v0, v0, 2, v2
	ds_read2st64_b32 v[2:3], v0 offset1:1
	s_waitcnt lgkmcnt(0)
	v_pk_add_f32 v[6:7], v[6:7], v[2:3]
.LBB69_49:
	s_or_b64 exec, exec, s[0:1]
	s_barrier
	s_and_saveexec_b64 s[0:1], vcc
	s_cbranch_execz .LBB69_51
; %bb.50:
	s_mul_i32 s0, s10, s12
	s_mul_i32 s0, s0, s5
	s_lshl_b32 s0, s0, 7
	s_ashr_i32 s1, s0, 31
	s_lshl_b64 s[0:1], s[0:1], 1
	s_add_u32 s2, s18, s0
	s_mul_i32 s0, s12, s16
	s_addc_u32 s3, s19, s1
	s_ashr_i32 s1, s0, 31
	s_lshl_b64 s[0:1], s[0:1], 1
	s_add_u32 s2, s2, s0
	s_addc_u32 s3, s3, s1
	s_lshl_b32 s0, s4, 7
	s_ashr_i32 s1, s0, 31
	s_lshl_b64 s[0:1], s[0:1], 1
	s_add_u32 s0, s2, s0
	s_addc_u32 s1, s3, s1
	;;#ASMSTART
	v_cvt_f16_f32 v0, v6;

	;;#ASMEND
	global_store_short v1, v0, s[0:1]
	;;#ASMSTART
	v_cvt_f16_f32 v0, v7;

	;;#ASMEND
	global_store_short v1, v0, s[0:1] offset:128
.LBB69_51:
	s_endpgm
	.section	.rodata,"a",@progbits
	.p2align	6, 0x0
	.amdhsa_kernel _ZN4vllm25paged_attention_v1_kernelIttLi128ELi8ELi128ELNS_18Fp8KVCacheDataTypeE0ELb0EEEvPT_PKS2_PKT0_S8_ifPKiSA_iPKfiiiSC_SC_iiiii
		.amdhsa_group_segment_fixed_size 272
		.amdhsa_private_segment_fixed_size 0
		.amdhsa_kernarg_size 384
		.amdhsa_user_sgpr_count 2
		.amdhsa_user_sgpr_dispatch_ptr 0
		.amdhsa_user_sgpr_queue_ptr 0
		.amdhsa_user_sgpr_kernarg_segment_ptr 1
		.amdhsa_user_sgpr_dispatch_id 0
		.amdhsa_user_sgpr_kernarg_preload_length 0
		.amdhsa_user_sgpr_kernarg_preload_offset 0
		.amdhsa_user_sgpr_private_segment_size 0
		.amdhsa_uses_dynamic_stack 0
		.amdhsa_enable_private_segment 0
		.amdhsa_system_sgpr_workgroup_id_x 1
		.amdhsa_system_sgpr_workgroup_id_y 1
		.amdhsa_system_sgpr_workgroup_id_z 1
		.amdhsa_system_sgpr_workgroup_info 0
		.amdhsa_system_vgpr_workitem_id 0
		.amdhsa_next_free_vgpr 48
		.amdhsa_next_free_sgpr 34
		.amdhsa_accum_offset 48
		.amdhsa_reserve_vcc 1
		.amdhsa_float_round_mode_32 0
		.amdhsa_float_round_mode_16_64 0
		.amdhsa_float_denorm_mode_32 3
		.amdhsa_float_denorm_mode_16_64 3
		.amdhsa_dx10_clamp 1
		.amdhsa_ieee_mode 1
		.amdhsa_fp16_overflow 0
		.amdhsa_tg_split 0
		.amdhsa_exception_fp_ieee_invalid_op 0
		.amdhsa_exception_fp_denorm_src 0
		.amdhsa_exception_fp_ieee_div_zero 0
		.amdhsa_exception_fp_ieee_overflow 0
		.amdhsa_exception_fp_ieee_underflow 0
		.amdhsa_exception_fp_ieee_inexact 0
		.amdhsa_exception_int_div_zero 0
	.end_amdhsa_kernel
	.section	.text._ZN4vllm25paged_attention_v1_kernelIttLi128ELi8ELi128ELNS_18Fp8KVCacheDataTypeE0ELb0EEEvPT_PKS2_PKT0_S8_ifPKiSA_iPKfiiiSC_SC_iiiii,"axG",@progbits,_ZN4vllm25paged_attention_v1_kernelIttLi128ELi8ELi128ELNS_18Fp8KVCacheDataTypeE0ELb0EEEvPT_PKS2_PKT0_S8_ifPKiSA_iPKfiiiSC_SC_iiiii,comdat
.Lfunc_end69:
	.size	_ZN4vllm25paged_attention_v1_kernelIttLi128ELi8ELi128ELNS_18Fp8KVCacheDataTypeE0ELb0EEEvPT_PKS2_PKT0_S8_ifPKiSA_iPKfiiiSC_SC_iiiii, .Lfunc_end69-_ZN4vllm25paged_attention_v1_kernelIttLi128ELi8ELi128ELNS_18Fp8KVCacheDataTypeE0ELb0EEEvPT_PKS2_PKT0_S8_ifPKiSA_iPKfiiiSC_SC_iiiii
                                        ; -- End function
	.section	.AMDGPU.csdata,"",@progbits
; Kernel info:
; codeLenInByte = 4356
; NumSgprs: 40
; NumVgprs: 48
; NumAgprs: 0
; TotalNumVgprs: 48
; ScratchSize: 0
; MemoryBound: 0
; FloatMode: 240
; IeeeMode: 1
; LDSByteSize: 272 bytes/workgroup (compile time only)
; SGPRBlocks: 4
; VGPRBlocks: 5
; NumSGPRsForWavesPerEU: 40
; NumVGPRsForWavesPerEU: 48
; AccumOffset: 48
; Occupancy: 8
; WaveLimiterHint : 1
; COMPUTE_PGM_RSRC2:SCRATCH_EN: 0
; COMPUTE_PGM_RSRC2:USER_SGPR: 2
; COMPUTE_PGM_RSRC2:TRAP_HANDLER: 0
; COMPUTE_PGM_RSRC2:TGID_X_EN: 1
; COMPUTE_PGM_RSRC2:TGID_Y_EN: 1
; COMPUTE_PGM_RSRC2:TGID_Z_EN: 1
; COMPUTE_PGM_RSRC2:TIDIG_COMP_CNT: 0
; COMPUTE_PGM_RSRC3_GFX90A:ACCUM_OFFSET: 11
; COMPUTE_PGM_RSRC3_GFX90A:TG_SPLIT: 0
	.section	.text._ZN4vllm25paged_attention_v1_kernelIttLi192ELi8ELi128ELNS_18Fp8KVCacheDataTypeE0ELb0EEEvPT_PKS2_PKT0_S8_ifPKiSA_iPKfiiiSC_SC_iiiii,"axG",@progbits,_ZN4vllm25paged_attention_v1_kernelIttLi192ELi8ELi128ELNS_18Fp8KVCacheDataTypeE0ELb0EEEvPT_PKS2_PKT0_S8_ifPKiSA_iPKfiiiSC_SC_iiiii,comdat
	.protected	_ZN4vllm25paged_attention_v1_kernelIttLi192ELi8ELi128ELNS_18Fp8KVCacheDataTypeE0ELb0EEEvPT_PKS2_PKT0_S8_ifPKiSA_iPKfiiiSC_SC_iiiii ; -- Begin function _ZN4vllm25paged_attention_v1_kernelIttLi192ELi8ELi128ELNS_18Fp8KVCacheDataTypeE0ELb0EEEvPT_PKS2_PKT0_S8_ifPKiSA_iPKfiiiSC_SC_iiiii
	.globl	_ZN4vllm25paged_attention_v1_kernelIttLi192ELi8ELi128ELNS_18Fp8KVCacheDataTypeE0ELb0EEEvPT_PKS2_PKT0_S8_ifPKiSA_iPKfiiiSC_SC_iiiii
	.p2align	8
	.type	_ZN4vllm25paged_attention_v1_kernelIttLi192ELi8ELi128ELNS_18Fp8KVCacheDataTypeE0ELb0EEEvPT_PKS2_PKT0_S8_ifPKiSA_iPKfiiiSC_SC_iiiii,@function
_ZN4vllm25paged_attention_v1_kernelIttLi192ELi8ELi128ELNS_18Fp8KVCacheDataTypeE0ELb0EEEvPT_PKS2_PKT0_S8_ifPKiSA_iPKfiiiSC_SC_iiiii: ; @_ZN4vllm25paged_attention_v1_kernelIttLi192ELi8ELi128ELNS_18Fp8KVCacheDataTypeE0ELb0EEEvPT_PKS2_PKT0_S8_ifPKiSA_iPKfiiiSC_SC_iiiii
; %bb.0:
	s_load_dword s5, s[0:1], 0x80
	s_load_dwordx2 s[6:7], s[0:1], 0x30
	s_load_dwordx2 s[26:27], s[0:1], 0x20
	s_mov_b32 s16, s3
	s_ashr_i32 s17, s3, 31
	s_lshl_b64 s[8:9], s[16:17], 2
	s_waitcnt lgkmcnt(0)
	s_add_u32 s6, s6, s8
	s_addc_u32 s7, s7, s9
	s_abs_i32 s3, s26
	v_cvt_f32_u32_e32 v1, s3
	s_sub_i32 s10, 0, s3
	s_abs_i32 s9, s5
	s_xor_b32 s8, s5, s26
	v_rcp_iflag_f32_e32 v1, v1
	s_ashr_i32 s8, s8, 31
	s_mov_b32 s26, 0
	v_mul_f32_e32 v1, 0x4f7ffffe, v1
	v_cvt_u32_f32_e32 v1, v1
	s_nop 0
	v_readfirstlane_b32 s11, v1
	s_mul_i32 s10, s10, s11
	s_mul_hi_u32 s10, s11, s10
	s_add_i32 s11, s11, s10
	s_mul_hi_u32 s10, s9, s11
	s_mul_i32 s11, s10, s3
	s_sub_i32 s9, s9, s11
	s_add_i32 s11, s10, 1
	s_sub_i32 s12, s9, s3
	s_cmp_ge_u32 s9, s3
	s_cselect_b32 s10, s11, s10
	s_cselect_b32 s9, s12, s9
	s_add_i32 s11, s10, 1
	s_cmp_ge_u32 s9, s3
	s_cselect_b32 s3, s11, s10
	s_xor_b32 s3, s3, s8
	s_sub_i32 s34, s3, s8
	s_abs_i32 s30, s34
	v_cvt_f32_u32_e32 v1, s30
	s_load_dwordx2 s[8:9], s[0:1], 0x40
	s_sub_i32 s3, 0, s30
	s_abs_i32 s31, s2
	v_rcp_iflag_f32_e32 v1, v1
	s_nop 0
	v_mul_f32_e32 v1, 0x4f7ffffe, v1
	v_cvt_u32_f32_e32 v1, v1
	s_nop 0
	v_readfirstlane_b32 s12, v1
	s_mul_i32 s3, s3, s12
	s_mul_hi_u32 s3, s12, s3
	s_add_i32 s12, s12, s3
	s_waitcnt lgkmcnt(0)
	s_cmp_eq_u64 s[8:9], 0
	s_cbranch_scc1 .LBB70_2
; %bb.1:
	s_ashr_i32 s3, s2, 31
	s_lshl_b64 s[10:11], s[2:3], 2
	s_add_u32 s8, s8, s10
	s_addc_u32 s9, s9, s11
	s_load_dword s26, s[8:9], 0x0
.LBB70_2:
	s_load_dwordx2 s[18:19], s[0:1], 0x0
	s_nop 0
	s_load_dwordx4 s[8:11], s[0:1], 0x10
	s_mul_hi_u32 s3, s31, s12
	s_load_dword s17, s[0:1], 0x88
	s_load_dword s33, s[6:7], 0x0
	s_load_dwordx2 s[22:23], s[0:1], 0x28
	s_load_dwordx4 s[12:15], s[0:1], 0x48
	v_and_b32_e32 v11, 7, v0
	s_movk_i32 s6, 0xc0
	s_mul_i32 s20, s2, 0xc0
	s_ashr_i32 s21, s20, 31
	v_cmp_gt_u32_e32 vcc, s6, v0
	v_lshlrev_b32_e32 v2, 1, v11
	s_and_saveexec_b64 s[6:7], vcc
	s_cbranch_execz .LBB70_5
; %bb.3:
	s_load_dwordx2 s[24:25], s[0:1], 0x8
	s_waitcnt lgkmcnt(0)
	s_mul_i32 s28, s16, s12
	s_ashr_i32 s29, s28, 31
	s_lshl_b64 s[28:29], s[28:29], 1
	s_lshl_b64 s[36:37], s[20:21], 1
	s_add_u32 s12, s28, s36
	s_addc_u32 s15, s29, s37
	v_lshrrev_b32_e32 v4, 3, v0
	s_add_u32 s24, s24, s12
	v_add_u32_e32 v1, -16, v4
	v_lshlrev_b32_e32 v3, 1, v4
	v_lshl_or_b32 v4, v4, 4, v2
	v_mov_b32_e32 v5, 0
	s_addc_u32 s25, s25, s15
	v_mad_u32_u24 v3, v11, 48, v3
	v_lshl_add_u64 v[4:5], s[24:25], 0, v[4:5]
	s_mov_b64 s[24:25], 0
	s_mov_b64 s[28:29], 0x100
.LBB70_4:                               ; =>This Inner Loop Header: Depth=1
	global_load_ushort v6, v[4:5], off
	v_add_u32_e32 v1, 16, v1
	v_cmp_lt_u32_e32 vcc, 7, v1
	v_lshl_add_u64 v[4:5], v[4:5], 0, s[28:29]
	s_or_b64 s[24:25], vcc, s[24:25]
	s_waitcnt vmcnt(0)
	ds_write_b16 v3, v6
	v_add_u32_e32 v3, 32, v3
	s_andn2_b64 exec, exec, s[24:25]
	s_cbranch_execnz .LBB70_4
.LBB70_5:
	s_or_b64 exec, exec, s[6:7]
	s_load_dword s0, s[0:1], 0x38
	s_waitcnt lgkmcnt(0)
	s_add_i32 s1, s33, 7
	s_ashr_i32 s7, s1, 31
	s_lshr_b32 s7, s7, 29
	s_ashr_i32 s2, s2, 31
	s_ashr_i32 s6, s34, 31
	s_add_i32 s1, s1, s7
	s_ashr_i32 s12, s1, 3
	s_xor_b32 s1, s2, s6
	s_mul_i32 s2, s3, s30
	s_sub_i32 s2, s31, s2
	s_add_i32 s6, s3, 1
	s_sub_i32 s7, s2, s30
	s_cmp_ge_u32 s2, s30
	s_cselect_b32 s3, s6, s3
	s_cselect_b32 s2, s7, s2
	s_add_i32 s6, s3, 1
	s_cmp_ge_u32 s2, s30
	s_cselect_b32 s2, s6, s3
	v_lshrrev_b32_e32 v1, 6, v0
	s_xor_b32 s2, s2, s1
	s_mul_i32 s24, s16, s0
	s_sub_i32 s6, s2, s1
	s_ashr_i32 s25, s24, 31
	v_cmp_gt_i32_e64 s[0:1], s12, v1
	v_cmp_le_i32_e32 vcc, s12, v1
	v_mbcnt_lo_u32_b32 v13, -1, 0
	s_barrier
	s_waitcnt lgkmcnt(0)
                                        ; implicit-def: $sgpr7
                                        ; implicit-def: $vgpr6
                                        ; implicit-def: $vgpr7
	s_and_saveexec_b64 s[2:3], vcc
	s_xor_b64 s[2:3], exec, s[2:3]
; %bb.6:
	v_mbcnt_hi_u32_b32 v6, -1, v13
	v_and_b32_e32 v2, 64, v6
	v_add_u32_e32 v7, 64, v2
	s_mov_b32 s7, 0xff7fffff
                                        ; implicit-def: $vgpr2
                                        ; implicit-def: $vgpr11
                                        ; implicit-def: $vgpr13
; %bb.7:
	s_or_saveexec_b64 s[28:29], s[2:3]
	v_mov_b32_e32 v9, s7
	s_mul_i32 s14, s6, s14
	v_lshrrev_b32_e32 v8, 4, v0
	s_xor_b64 exec, exec, s[28:29]
	s_cbranch_execz .LBB70_13
; %bb.8:
	s_ashr_i32 s15, s14, 31
	s_lshl_b64 s[2:3], s[14:15], 1
	v_bfe_u32 v9, v0, 3, 3
	s_add_u32 s2, s8, s2
	s_addc_u32 s3, s9, s3
	v_lshlrev_b32_e32 v4, 4, v9
	v_mov_b32_e32 v5, 0
	v_lshl_add_u64 v[6:7], s[2:3], 0, v[4:5]
	v_mov_b32_e32 v3, v5
	s_sub_i32 s15, 1, s33
	v_lshlrev_b32_e32 v4, 2, v9
	s_lshl_b64 s[6:7], s[24:25], 2
	v_lshl_add_u64 v[2:3], v[6:7], 0, v[2:3]
	v_lshl_or_b32 v4, v1, 5, v4
	s_add_u32 s6, s22, s6
	v_mbcnt_hi_u32_b32 v6, -1, v13
	v_add_u32_e32 v12, 0x190, v4
	v_and_b32_e32 v4, 60, v8
	s_addc_u32 s7, s23, s7
	v_and_b32_e32 v7, 64, v6
	s_mov_b32 s21, s13
	v_mul_u32_u24_e32 v10, 48, v11
	v_cmp_eq_u32_e32 vcc, 0, v11
	v_cmp_neq_f32_e64 s[2:3], s26, 0
	v_lshl_or_b32 v11, v1, 3, v9
	v_lshl_add_u64 v[4:5], s[6:7], 0, v[4:5]
	s_mov_b64 s[8:9], 0
	v_mov_b32_e32 v9, 0xff7fffff
	v_add_u32_e32 v7, 64, v7
	v_xor_b32_e32 v13, 4, v6
	v_xor_b32_e32 v14, 2, v6
	;; [unrolled: 1-line block ×3, first 2 shown]
	v_mov_b32_e32 v16, v1
	s_branch .LBB70_10
.LBB70_9:                               ;   in Loop: Header=BB70_10 Depth=1
	s_or_b64 exec, exec, s[30:31]
	v_add_u32_e32 v16, 2, v16
	v_cmp_le_i32_e64 s[6:7], s12, v16
	v_add_u32_e32 v11, 16, v11
	v_add_u32_e32 v12, 64, v12
	s_or_b64 s[8:9], s[6:7], s[8:9]
	v_lshl_add_u64 v[4:5], v[4:5], 0, 8
	s_andn2_b64 exec, exec, s[8:9]
	s_cbranch_execz .LBB70_12
.LBB70_10:                              ; =>This Inner Loop Header: Depth=1
	global_load_dword v17, v[4:5], off
	s_waitcnt vmcnt(0) lgkmcnt(0)
	v_mad_i64_i32 v[18:19], s[6:7], v17, s21, 0
	v_lshl_add_u64 v[18:19], v[18:19], 1, v[2:3]
	global_load_ushort v17, v[18:19], off
	global_load_ushort v20, v[18:19], off offset:128
	global_load_ushort v21, v[18:19], off offset:256
	;; [unrolled: 1-line block ×9, first 2 shown]
	ds_read_u16 v29, v10
	global_load_ushort v30, v[18:19], off offset:1280
	global_load_ushort v31, v[18:19], off offset:1408
	;; [unrolled: 1-line block ×14, first 2 shown]
	s_waitcnt lgkmcnt(0)
	;;#ASMSTART
	v_cvt_f32_f16 v18, v29;
	;;#ASMEND
	v_cmp_lt_i32_e64 s[6:7], v13, v7
	s_waitcnt vmcnt(23)
	;;#ASMSTART
	v_cvt_f32_f16 v17, v17;
	;;#ASMEND
	ds_read_u16 v19, v10 offset:2
	s_waitcnt lgkmcnt(0)
	;;#ASMSTART
	v_cvt_f32_f16 v19, v19;
	;;#ASMEND
	s_waitcnt vmcnt(22)
	;;#ASMSTART
	v_cvt_f32_f16 v20, v20;
	;;#ASMEND
	ds_read_u16 v29, v10 offset:4
	v_mul_f32_e32 v19, v19, v20
	v_fmac_f32_e32 v19, v18, v17
	s_waitcnt lgkmcnt(0)
	;;#ASMSTART
	v_cvt_f32_f16 v29, v29;
	;;#ASMEND
	s_waitcnt vmcnt(21)
	;;#ASMSTART
	v_cvt_f32_f16 v21, v21;
	;;#ASMEND
	ds_read_u16 v44, v10 offset:6
	v_fmac_f32_e32 v19, v29, v21
	s_waitcnt lgkmcnt(0)
	;;#ASMSTART
	v_cvt_f32_f16 v44, v44;
	;;#ASMEND
	s_waitcnt vmcnt(20)
	;;#ASMSTART
	v_cvt_f32_f16 v22, v22;
	;;#ASMEND
	ds_read_u16 v45, v10 offset:8
	;; [unrolled: 10-line block ×19, first 2 shown]
	v_fmac_f32_e32 v19, v22, v23
	s_waitcnt lgkmcnt(0)
	;;#ASMSTART
	v_cvt_f32_f16 v24, v24;
	;;#ASMEND
	s_waitcnt vmcnt(2)
	;;#ASMSTART
	v_cvt_f32_f16 v25, v41;
	;;#ASMEND
	v_cndmask_b32_e64 v59, v6, v13, s[6:7]
	v_fmac_f32_e32 v19, v24, v25
	ds_read_u16 v26, v10 offset:44
	s_waitcnt lgkmcnt(0)
	;;#ASMSTART
	v_cvt_f32_f16 v17, v26;
	;;#ASMEND
	s_waitcnt vmcnt(1)
	;;#ASMSTART
	v_cvt_f32_f16 v18, v42;
	;;#ASMEND
	v_lshlrev_b32_e32 v59, 2, v59
	v_fmac_f32_e32 v19, v17, v18
	ds_read_u16 v26, v10 offset:46
	s_waitcnt lgkmcnt(0)
	;;#ASMSTART
	v_cvt_f32_f16 v17, v26;
	;;#ASMEND
	s_waitcnt vmcnt(0)
	;;#ASMSTART
	v_cvt_f32_f16 v18, v43;
	;;#ASMEND
	v_cmp_lt_i32_e64 s[6:7], v14, v7
	v_fmac_f32_e32 v19, v17, v18
	ds_bpermute_b32 v17, v59, v19
	v_cndmask_b32_e64 v18, v6, v14, s[6:7]
	v_lshlrev_b32_e32 v18, 2, v18
	v_cmp_lt_i32_e64 s[6:7], v15, v7
	s_waitcnt lgkmcnt(0)
	v_add_f32_e32 v17, v19, v17
	ds_bpermute_b32 v18, v18, v17
	v_cndmask_b32_e64 v19, v6, v15, s[6:7]
	s_waitcnt lgkmcnt(0)
	v_add_f32_e32 v17, v17, v18
	v_lshlrev_b32_e32 v18, 2, v19
	ds_bpermute_b32 v18, v18, v17
	s_and_saveexec_b64 s[30:31], vcc
	s_cbranch_execz .LBB70_9
; %bb.11:                               ;   in Loop: Header=BB70_10 Depth=1
	v_add_u32_e32 v19, s15, v11
	v_cvt_f32_i32_e32 v19, v19
	s_waitcnt lgkmcnt(0)
	v_add_f32_e32 v17, v17, v18
	v_cmp_gt_i32_e64 s[6:7], s33, v11
	v_max_f32_e32 v18, v9, v9
	v_mul_f32_e32 v19, s26, v19
	v_cndmask_b32_e64 v19, 0, v19, s[2:3]
	v_fmac_f32_e32 v19, s27, v17
	v_cndmask_b32_e64 v17, 0, v19, s[6:7]
	ds_write_b32 v12, v17
	v_max_f32_e32 v17, v18, v19
	v_cndmask_b32_e64 v9, v9, v17, s[6:7]
	s_branch .LBB70_9
.LBB70_12:
	s_or_b64 exec, exec, s[8:9]
.LBB70_13:
	s_or_b64 exec, exec, s[28:29]
	v_xor_b32_e32 v2, 32, v6
	v_cmp_lt_i32_e32 vcc, v2, v7
	v_xor_b32_e32 v5, 16, v6
	v_max_f32_e32 v4, v9, v9
	v_cndmask_b32_e32 v2, v6, v2, vcc
	v_lshlrev_b32_e32 v3, 2, v2
	ds_bpermute_b32 v2, v3, v9
	v_cmp_lt_i32_e32 vcc, v5, v7
	v_xor_b32_e32 v9, 8, v6
	v_and_b32_e32 v16, 63, v0
	s_waitcnt lgkmcnt(0)
	v_max_f32_e32 v2, v2, v2
	v_max_f32_e32 v2, v4, v2
	v_cndmask_b32_e32 v4, v6, v5, vcc
	v_lshlrev_b32_e32 v5, 2, v4
	ds_bpermute_b32 v4, v5, v2
	v_cmp_lt_i32_e32 vcc, v9, v7
	s_waitcnt lgkmcnt(0)
	v_max_f32_e32 v4, v4, v4
	v_max_f32_e32 v4, v2, v4
	v_cndmask_b32_e32 v2, v6, v9, vcc
	v_lshlrev_b32_e32 v10, 2, v2
	ds_bpermute_b32 v9, v10, v4
	v_cmp_eq_u32_e32 vcc, 0, v16
	v_lshlrev_b32_e32 v2, 2, v1
	s_and_saveexec_b64 s[2:3], vcc
	s_cbranch_execz .LBB70_15
; %bb.14:
	s_waitcnt lgkmcnt(0)
	v_max_f32_e32 v9, v9, v9
	v_max_f32_e32 v4, v4, v4
	;; [unrolled: 1-line block ×3, first 2 shown]
	ds_write_b32 v2, v4 offset:384
.LBB70_15:
	s_or_b64 exec, exec, s[2:3]
	v_cmp_gt_u32_e64 s[2:3], 2, v16
	v_mov_b32_e32 v11, 0xff7fffff
	v_lshlrev_b32_e32 v4, 2, v16
	s_waitcnt lgkmcnt(0)
	s_barrier
	s_and_saveexec_b64 s[6:7], s[2:3]
	s_cbranch_execz .LBB70_17
; %bb.16:
	ds_read_b32 v11, v4 offset:384
.LBB70_17:
	s_or_b64 exec, exec, s[6:7]
	v_xor_b32_e32 v9, 1, v6
	v_cmp_lt_i32_e64 s[6:7], v9, v7
	v_lshlrev_b32_e32 v13, 2, v6
	s_nop 0
	v_cndmask_b32_e64 v9, v6, v9, s[6:7]
	v_lshlrev_b32_e32 v9, 2, v9
	s_waitcnt lgkmcnt(0)
	ds_bpermute_b32 v12, v9, v11
	v_max_f32_e32 v11, v11, v11
	s_lshl_b32 s6, s12, 3
	s_min_i32 s15, s6, s33
	v_cmp_gt_i32_e64 s[6:7], s15, v0
	s_waitcnt lgkmcnt(0)
	v_max_f32_e32 v12, v12, v12
	v_max_f32_e32 v12, v11, v12
	v_and_b32_e32 v11, 0xffffff00, v13
	ds_bpermute_b32 v13, v11, v12
	v_mov_b32_e32 v12, 0
	s_and_saveexec_b64 s[26:27], s[6:7]
	s_cbranch_execz .LBB70_21
; %bb.18:
	v_mov_b32_e32 v12, 0x190
	v_lshl_add_u32 v14, v0, 2, v12
	s_mov_b64 s[28:29], 0
	v_mov_b32_e32 v12, 0
	v_mov_b32_e32 v15, v0
.LBB70_19:                              ; =>This Inner Loop Header: Depth=1
	ds_read_b32 v17, v14
	v_add_u32_e32 v15, 0x80, v15
	v_cmp_le_i32_e64 s[8:9], s15, v15
	s_or_b64 s[28:29], s[8:9], s[28:29]
	s_waitcnt lgkmcnt(0)
	v_sub_f32_e32 v17, v17, v13
	v_mul_f32_e32 v17, 0x3fb8aa3b, v17
	v_exp_f32_e32 v17, v17
	ds_write_b32 v14, v17
	v_add_f32_e32 v12, v12, v17
	v_add_u32_e32 v14, 0x200, v14
	s_andn2_b64 exec, exec, s[28:29]
	s_cbranch_execnz .LBB70_19
; %bb.20:
	s_or_b64 exec, exec, s[28:29]
.LBB70_21:
	s_or_b64 exec, exec, s[26:27]
	ds_bpermute_b32 v3, v3, v12
	s_waitcnt lgkmcnt(0)
	v_add_f32_e32 v3, v12, v3
	ds_bpermute_b32 v5, v5, v3
	s_waitcnt lgkmcnt(0)
	v_add_f32_e32 v3, v3, v5
	ds_bpermute_b32 v5, v10, v3
	v_xor_b32_e32 v10, 4, v6
	v_cmp_lt_i32_e64 s[8:9], v10, v7
	s_waitcnt lgkmcnt(0)
	v_add_f32_e32 v3, v3, v5
	v_cndmask_b32_e64 v10, v6, v10, s[8:9]
	v_lshlrev_b32_e32 v10, 2, v10
	ds_bpermute_b32 v5, v10, v3
	v_xor_b32_e32 v10, 2, v6
	v_cmp_lt_i32_e64 s[8:9], v10, v7
	s_waitcnt lgkmcnt(0)
	v_add_f32_e32 v3, v3, v5
	v_cndmask_b32_e64 v6, v6, v10, s[8:9]
	v_lshlrev_b32_e32 v5, 2, v6
	ds_bpermute_b32 v5, v5, v3
	s_waitcnt lgkmcnt(0)
	v_add_f32_e32 v3, v3, v5
	ds_bpermute_b32 v5, v9, v3
	s_waitcnt lgkmcnt(0)
	v_add_f32_e32 v3, v3, v5
	s_and_saveexec_b64 s[8:9], vcc
	s_cbranch_execz .LBB70_23
; %bb.22:
	ds_write_b32 v2, v3 offset:392
.LBB70_23:
	s_or_b64 exec, exec, s[8:9]
	s_waitcnt lgkmcnt(0)
	s_barrier
	s_and_saveexec_b64 s[8:9], s[2:3]
	s_cbranch_execz .LBB70_25
; %bb.24:
	ds_read_b32 v3, v4 offset:392
.LBB70_25:
	s_or_b64 exec, exec, s[8:9]
	s_waitcnt lgkmcnt(0)
	ds_bpermute_b32 v2, v9, v3
	s_waitcnt lgkmcnt(0)
	v_add_f32_e32 v2, v3, v2
	ds_bpermute_b32 v2, v11, v2
	s_and_saveexec_b64 s[2:3], s[6:7]
	s_cbranch_execz .LBB70_38
; %bb.26:
	s_waitcnt lgkmcnt(0)
	v_add_f32_e32 v2, 0x358637bd, v2
	v_div_scale_f32 v3, s[6:7], v2, v2, 1.0
	v_rcp_f32_e32 v4, v3
	v_div_scale_f32 v5, vcc, 1.0, v2, 1.0
	s_movk_i32 s6, 0x7f
	v_fma_f32 v6, -v3, v4, 1.0
	v_fmac_f32_e32 v4, v6, v4
	v_mul_f32_e32 v6, v5, v4
	v_fma_f32 v7, -v3, v6, v5
	v_fmac_f32_e32 v6, v7, v4
	v_fma_f32 v3, -v3, v6, v5
	v_div_fmas_f32 v3, v3, v4, v6
	v_xad_u32 v4, v0, -1, s15
	v_div_fixup_f32 v2, v3, v2, 1.0
	v_cmp_lt_u32_e32 vcc, s6, v4
	s_mov_b64 s[8:9], -1
	v_mov_b32_e32 v3, v0
	s_and_saveexec_b64 s[6:7], vcc
	s_cbranch_execz .LBB70_35
; %bb.27:
	v_lshrrev_b32_e32 v4, 7, v4
	v_add_u32_e32 v6, -1, v4
	v_lshrrev_b32_e32 v5, 1, v6
	v_mov_b32_e32 v3, v2
	v_add_u32_e32 v5, 1, v5
	v_cmp_lt_u32_e32 vcc, 13, v6
	v_mov_b32_e32 v9, 0
	s_and_saveexec_b64 s[8:9], vcc
	s_cbranch_execz .LBB70_31
; %bb.28:
	v_mov_b32_e32 v7, 0x190
	v_and_b32_e32 v6, -8, v5
	v_lshl_add_u32 v7, v0, 2, v7
	s_mov_b32 s21, 0
	s_mov_b64 s[26:27], 0
.LBB70_29:                              ; =>This Inner Loop Header: Depth=1
	ds_read2st64_b32 v[10:11], v7 offset1:2
	ds_read2st64_b32 v[12:13], v7 offset0:4 offset1:6
	ds_read2st64_b32 v[14:15], v7 offset0:8 offset1:10
	ds_read2st64_b32 v[18:19], v7 offset0:12 offset1:14
	v_add_u32_e32 v6, -8, v6
	s_waitcnt lgkmcnt(3)
	v_pk_mul_f32 v[10:11], v[2:3], v[10:11]
	s_waitcnt lgkmcnt(2)
	v_pk_mul_f32 v[12:13], v[2:3], v[12:13]
	ds_write2st64_b32 v7, v10, v11 offset1:2
	ds_write2st64_b32 v7, v12, v13 offset0:4 offset1:6
	ds_read2st64_b32 v[12:13], v7 offset0:16 offset1:18
	s_waitcnt lgkmcnt(4)
	v_pk_mul_f32 v[10:11], v[2:3], v[14:15]
	ds_write2st64_b32 v7, v10, v11 offset0:8 offset1:10
	s_waitcnt lgkmcnt(4)
	v_pk_mul_f32 v[10:11], v[2:3], v[18:19]
	ds_write2st64_b32 v7, v10, v11 offset0:12 offset1:14
	ds_read2st64_b32 v[10:11], v7 offset0:20 offset1:22
	s_waitcnt lgkmcnt(3)
	v_pk_mul_f32 v[12:13], v[2:3], v[12:13]
	ds_read2st64_b32 v[14:15], v7 offset0:24 offset1:26
	ds_write2st64_b32 v7, v12, v13 offset0:16 offset1:18
	ds_read2st64_b32 v[12:13], v7 offset0:28 offset1:30
	s_waitcnt lgkmcnt(3)
	v_pk_mul_f32 v[10:11], v[2:3], v[10:11]
	ds_write2st64_b32 v7, v10, v11 offset0:20 offset1:22
	s_waitcnt lgkmcnt(3)
	v_pk_mul_f32 v[10:11], v[2:3], v[14:15]
	ds_write2st64_b32 v7, v10, v11 offset0:24 offset1:26
	s_waitcnt lgkmcnt(2)
	v_pk_mul_f32 v[10:11], v[2:3], v[12:13]
	s_add_i32 s21, s21, 16
	v_cmp_eq_u32_e32 vcc, 0, v6
	ds_write2st64_b32 v7, v10, v11 offset0:28 offset1:30
	v_add_u32_e32 v7, 0x2000, v7
	s_or_b64 s[26:27], vcc, s[26:27]
	v_mov_b32_e32 v9, s21
	s_andn2_b64 exec, exec, s[26:27]
	s_cbranch_execnz .LBB70_29
; %bb.30:
	s_or_b64 exec, exec, s[26:27]
.LBB70_31:
	s_or_b64 exec, exec, s[8:9]
	v_and_b32_e32 v5, 7, v5
	v_cmp_ne_u32_e32 vcc, 0, v5
	s_and_saveexec_b64 s[8:9], vcc
	s_cbranch_execz .LBB70_34
; %bb.32:
	v_lshlrev_b32_e32 v6, 9, v9
	v_lshlrev_b32_e32 v7, 2, v0
	s_movk_i32 s21, 0x190
	v_add3_u32 v6, v6, v7, s21
	s_mov_b64 s[26:27], 0
.LBB70_33:                              ; =>This Inner Loop Header: Depth=1
	ds_read2st64_b32 v[10:11], v6 offset1:2
	v_add_u32_e32 v5, -1, v5
	v_cmp_eq_u32_e32 vcc, 0, v5
	s_or_b64 s[26:27], vcc, s[26:27]
	s_waitcnt lgkmcnt(0)
	v_pk_mul_f32 v[10:11], v[2:3], v[10:11]
	ds_write2st64_b32 v6, v10, v11 offset1:2
	v_add_u32_e32 v6, 0x400, v6
	s_andn2_b64 exec, exec, s[26:27]
	s_cbranch_execnz .LBB70_33
.LBB70_34:
	s_or_b64 exec, exec, s[8:9]
	v_add_u32_e32 v4, 1, v4
	v_and_b32_e32 v5, 0x3fffffe, v4
	v_cmp_ne_u32_e32 vcc, v4, v5
	v_lshl_add_u32 v3, v5, 7, v0
	s_orn2_b64 s[8:9], vcc, exec
.LBB70_35:
	s_or_b64 exec, exec, s[6:7]
	s_and_b64 exec, exec, s[8:9]
	s_cbranch_execz .LBB70_38
; %bb.36:
	v_mov_b32_e32 v4, 0x190
	v_lshl_add_u32 v4, v3, 2, v4
	s_mov_b64 s[6:7], 0
.LBB70_37:                              ; =>This Inner Loop Header: Depth=1
	ds_read_b32 v5, v4
	v_add_u32_e32 v3, 0x80, v3
	v_cmp_le_i32_e32 vcc, s15, v3
	s_or_b64 s[6:7], vcc, s[6:7]
	s_waitcnt lgkmcnt(0)
	v_mul_f32_e32 v5, v2, v5
	ds_write_b32 v4, v5
	v_add_u32_e32 v4, 0x200, v4
	s_andn2_b64 exec, exec, s[6:7]
	s_cbranch_execnz .LBB70_37
.LBB70_38:
	s_or_b64 exec, exec, s[2:3]
	v_mov_b32_e32 v6, 0
	v_mov_b32_e32 v9, 0
	;; [unrolled: 1-line block ×3, first 2 shown]
	s_waitcnt lgkmcnt(0)
	s_barrier
	s_and_saveexec_b64 s[2:3], s[0:1]
	s_cbranch_execz .LBB70_48
; %bb.39:
	s_ashr_i32 s15, s14, 31
	s_lshl_b64 s[0:1], s[14:15], 1
	s_add_u32 s0, s10, s0
	s_addc_u32 s1, s11, s1
	v_lshlrev_b32_e32 v6, 4, v16
	v_mov_b32_e32 v7, 0
	s_add_i32 s10, s12, -1
	v_lshl_add_u64 v[10:11], s[0:1], 0, v[6:7]
	s_lshl_b64 s[0:1], s[24:25], 2
	s_add_u32 s0, s22, s0
	v_mov_b32_e32 v2, 0x190
	v_and_b32_e32 v6, 60, v8
	s_addc_u32 s1, s23, s1
	s_mov_b32 s11, s33
	s_mov_b32 s14, s33
	s_mov_b32 s15, s33
	s_mov_b32 s21, s33
	s_mov_b32 s26, s33
	s_mov_b32 s27, s33
	s_mov_b32 s28, s33
	v_lshlrev_b32_e32 v17, 3, v1
	v_lshl_add_u32 v18, v1, 5, v2
	v_lshl_add_u64 v[12:13], s[0:1], 0, v[6:7]
	s_mov_b64 s[6:7], 0
	s_mov_b32 s22, 0x5040100
	v_mov_b32_e32 v9, v7
	v_mov_b32_e32 v6, v7
	s_branch .LBB70_41
.LBB70_40:                              ;   in Loop: Header=BB70_41 Depth=1
	s_or_b64 exec, exec, s[0:1]
	s_waitcnt vmcnt(0)
	;;#ASMSTART
	v_pk_mul_f16 v2, v28, v2;

	;;#ASMEND
	;;#ASMSTART
	v_pk_mul_f16 v3, v27, v3;

	;;#ASMEND
	;; [unrolled: 4-line block ×4, first 2 shown]
	v_add_f32_e32 v8, v29, v30
	;;#ASMSTART
	v_pk_add_f16 v2, v2, v3;

	;;#ASMEND
	v_add_u32_e32 v1, 2, v1
	;;#ASMSTART
	v_pk_add_f16 v2, v2, v4;

	;;#ASMEND
	v_add_f32_e32 v7, v7, v8
	;;#ASMSTART
	v_pk_add_f16 v2, v2, v5;

	;;#ASMEND
	v_add_f32_e32 v8, v31, v32
	v_lshrrev_b32_e32 v3, 16, v2
	v_and_b32_e32 v2, 0xffff, v2
	;;#ASMSTART
	v_cvt_f32_f16 v2, v2;
	;;#ASMEND
	;;#ASMSTART
	v_cvt_f32_f16 v3, v3;
	;;#ASMEND
	v_cmp_le_i32_e32 vcc, s12, v1
	v_add_f32_e32 v2, v2, v3
	v_add_f32_e32 v9, v9, v8
	;; [unrolled: 1-line block ×3, first 2 shown]
	v_add_u32_e32 v17, 16, v17
	v_add_u32_e32 v18, 64, v18
	s_or_b64 s[6:7], vcc, s[6:7]
	v_lshl_add_u64 v[12:13], v[12:13], 0, 8
	s_andn2_b64 exec, exec, s[6:7]
	s_cbranch_execz .LBB70_47
.LBB70_41:                              ; =>This Inner Loop Header: Depth=1
	global_load_dword v8, v[12:13], off
	ds_read2_b64 v[2:5], v18 offset1:1
	ds_read2_b64 v[20:23], v18 offset0:2 offset1:3
	v_cmp_eq_u32_e32 vcc, s10, v1
	v_or_b32_e32 v19, 2, v17
	s_waitcnt lgkmcnt(1)
	;;#ASMSTART
	v_cvt_f16_f32 v25, v2;

	;;#ASMEND
	;;#ASMSTART
	v_cvt_f16_f32 v26, v3;

	;;#ASMEND
	;; [unrolled: 4-line block ×4, first 2 shown]
	s_waitcnt lgkmcnt(0)
	;;#ASMSTART
	v_cvt_f16_f32 v30, v20;

	;;#ASMEND
	;;#ASMSTART
	v_cvt_f16_f32 v31, v21;

	;;#ASMEND
	;; [unrolled: 4-line block ×4, first 2 shown]
	v_or_b32_e32 v20, 3, v17
	v_or_b32_e32 v22, 5, v17
	;; [unrolled: 1-line block ×5, first 2 shown]
	s_waitcnt vmcnt(0)
	v_mad_i64_i32 v[2:3], s[0:1], v8, s13, 0
	v_lshl_add_u64 v[14:15], v[2:3], 1, v[10:11]
	global_load_dwordx4 v[2:5], v[14:15], off
	v_add_u32_e32 v8, 1, v17
	s_and_saveexec_b64 s[8:9], vcc
	s_cbranch_execz .LBB70_43
; %bb.42:                               ;   in Loop: Header=BB70_41 Depth=1
	s_waitcnt vmcnt(0)
	v_lshrrev_b32_e32 v28, 16, v5
	v_cmp_gt_i32_e64 s[0:1], s28, v24
	s_nop 1
	v_cndmask_b32_e64 v28, 0, v28, s[0:1]
	v_cmp_gt_i32_e64 s[0:1], s27, v23
	s_nop 1
	v_cndmask_b32_e64 v5, 0, v5, s[0:1]
	v_perm_b32 v5, v28, v5, s22
	v_lshrrev_b32_e32 v28, 16, v4
	v_cmp_gt_i32_e64 s[0:1], s26, v22
	s_nop 1
	v_cndmask_b32_e64 v28, 0, v28, s[0:1]
	v_cmp_gt_i32_e64 s[0:1], s21, v21
	s_nop 1
	v_cndmask_b32_e64 v4, 0, v4, s[0:1]
	v_perm_b32 v4, v28, v4, s22
	;; [unrolled: 8-line block ×4, first 2 shown]
.LBB70_43:                              ;   in Loop: Header=BB70_41 Depth=1
	s_or_b64 exec, exec, s[8:9]
	v_and_b32_e32 v25, 0xffff, v25
	v_lshl_or_b32 v28, v26, 16, v25
	v_and_b32_e32 v25, 0xffff, v27
	v_lshl_or_b32 v27, v29, 16, v25
	v_and_b32_e32 v25, 0xffff, v30
	v_lshl_or_b32 v26, v31, 16, v25
	v_and_b32_e32 v25, 0xffff, v32
	s_waitcnt vmcnt(0)
	;;#ASMSTART
	v_pk_mul_f16 v2, v28, v2;

	;;#ASMEND
	v_lshl_or_b32 v25, v33, 16, v25
	;;#ASMSTART
	v_pk_mul_f16 v3, v27, v3;

	;;#ASMEND
	;;#ASMSTART
	v_pk_mul_f16 v4, v26, v4;

	;;#ASMEND
	;; [unrolled: 4-line block ×3, first 2 shown]
	s_nop 0
	;;#ASMSTART
	v_pk_add_f16 v2, v2, v3;

	;;#ASMEND
	s_nop 0
	;;#ASMSTART
	v_pk_add_f16 v2, v2, v4;

	;;#ASMEND
	;; [unrolled: 5-line block ×3, first 2 shown]
	s_nop 0
	v_lshrrev_b32_e32 v3, 16, v2
	v_and_b32_e32 v2, 0xffff, v2
	;;#ASMSTART
	v_cvt_f32_f16 v29, v2;
	;;#ASMEND
	;;#ASMSTART
	v_cvt_f32_f16 v30, v3;
	;;#ASMEND
	global_load_dwordx4 v[2:5], v[14:15], off offset:1024
	s_and_saveexec_b64 s[8:9], vcc
	s_cbranch_execz .LBB70_45
; %bb.44:                               ;   in Loop: Header=BB70_41 Depth=1
	s_waitcnt vmcnt(0)
	v_lshrrev_b32_e32 v31, 16, v5
	v_cmp_gt_i32_e64 s[0:1], s28, v24
	s_nop 1
	v_cndmask_b32_e64 v31, 0, v31, s[0:1]
	v_cmp_gt_i32_e64 s[0:1], s27, v23
	s_nop 1
	v_cndmask_b32_e64 v5, 0, v5, s[0:1]
	v_perm_b32 v5, v31, v5, s22
	v_lshrrev_b32_e32 v31, 16, v4
	v_cmp_gt_i32_e64 s[0:1], s26, v22
	s_nop 1
	v_cndmask_b32_e64 v31, 0, v31, s[0:1]
	v_cmp_gt_i32_e64 s[0:1], s21, v21
	s_nop 1
	v_cndmask_b32_e64 v4, 0, v4, s[0:1]
	v_perm_b32 v4, v31, v4, s22
	;; [unrolled: 8-line block ×4, first 2 shown]
.LBB70_45:                              ;   in Loop: Header=BB70_41 Depth=1
	s_or_b64 exec, exec, s[8:9]
	s_waitcnt vmcnt(0)
	;;#ASMSTART
	v_pk_mul_f16 v2, v28, v2;

	;;#ASMEND
	;;#ASMSTART
	v_pk_mul_f16 v3, v27, v3;

	;;#ASMEND
	;; [unrolled: 4-line block ×4, first 2 shown]
	s_nop 0
	;;#ASMSTART
	v_pk_add_f16 v2, v2, v3;

	;;#ASMEND
	s_nop 0
	;;#ASMSTART
	v_pk_add_f16 v2, v2, v4;

	;;#ASMEND
	s_nop 0
	;;#ASMSTART
	v_pk_add_f16 v2, v2, v5;

	;;#ASMEND
	s_nop 0
	v_lshrrev_b32_e32 v3, 16, v2
	v_and_b32_e32 v2, 0xffff, v2
	;;#ASMSTART
	v_cvt_f32_f16 v31, v2;
	;;#ASMEND
	;;#ASMSTART
	v_cvt_f32_f16 v32, v3;
	;;#ASMEND
	global_load_dwordx4 v[2:5], v[14:15], off offset:2048
	s_and_saveexec_b64 s[0:1], vcc
	s_cbranch_execz .LBB70_40
; %bb.46:                               ;   in Loop: Header=BB70_41 Depth=1
	s_waitcnt vmcnt(0)
	v_lshrrev_b32_e32 v14, 16, v5
	v_cmp_gt_i32_e32 vcc, s28, v24
	s_nop 1
	v_cndmask_b32_e32 v14, 0, v14, vcc
	v_cmp_gt_i32_e32 vcc, s27, v23
	s_nop 1
	v_cndmask_b32_e32 v5, 0, v5, vcc
	v_perm_b32 v5, v14, v5, s22
	v_lshrrev_b32_e32 v14, 16, v4
	v_cmp_gt_i32_e32 vcc, s26, v22
	s_nop 1
	v_cndmask_b32_e32 v14, 0, v14, vcc
	v_cmp_gt_i32_e32 vcc, s21, v21
	s_nop 1
	v_cndmask_b32_e32 v4, 0, v4, vcc
	v_perm_b32 v4, v14, v4, s22
	;; [unrolled: 8-line block ×4, first 2 shown]
	s_branch .LBB70_40
.LBB70_47:
	s_or_b64 exec, exec, s[6:7]
.LBB70_48:
	s_or_b64 exec, exec, s[2:3]
	v_and_b32_e32 v1, 0x3c0, v0
	v_cmp_eq_u32_e32 vcc, 64, v1
	s_barrier
	s_and_saveexec_b64 s[0:1], vcc
	s_cbranch_execz .LBB70_50
; %bb.49:
	v_mov_b32_e32 v1, 0x190
	v_lshl_add_u32 v2, v16, 2, v1
	v_lshl_add_u32 v1, v0, 2, v1
	ds_write_b32 v2, v7
	ds_write_b32 v1, v9
	ds_write_b32 v2, v6 offset:512
.LBB70_50:
	s_or_b64 exec, exec, s[0:1]
	v_cmp_gt_u32_e32 vcc, 64, v0
	s_waitcnt lgkmcnt(0)
	s_barrier
	s_and_saveexec_b64 s[0:1], vcc
	s_cbranch_execz .LBB70_52
; %bb.51:
	v_mov_b32_e32 v1, 0x190
	v_lshl_add_u32 v1, v0, 2, v1
	ds_read2st64_b32 v[2:3], v1 offset1:1
	ds_read_b32 v1, v1 offset:512
	v_mov_b32_e32 v8, v7
	s_waitcnt lgkmcnt(1)
	v_pk_add_f32 v[8:9], v[8:9], v[2:3]
	s_waitcnt lgkmcnt(0)
	v_add_f32_e32 v6, v6, v1
	v_mov_b32_e32 v7, v8
.LBB70_52:
	s_or_b64 exec, exec, s[0:1]
	s_barrier
	s_and_saveexec_b64 s[0:1], vcc
	s_cbranch_execz .LBB70_54
; %bb.53:
	s_mul_i32 s0, s16, s17
	s_mul_i32 s0, s0, s5
	s_mulk_i32 s0, 0xc0
	s_ashr_i32 s1, s0, 31
	s_lshl_b64 s[0:1], s[0:1], 1
	s_add_u32 s2, s18, s0
	s_mul_i32 s0, s17, s20
	s_addc_u32 s3, s19, s1
	s_ashr_i32 s1, s0, 31
	s_lshl_b64 s[0:1], s[0:1], 1
	s_add_u32 s2, s2, s0
	s_mul_i32 s0, s4, 0xc0
	s_addc_u32 s3, s3, s1
	s_ashr_i32 s1, s0, 31
	s_lshl_b64 s[0:1], s[0:1], 1
	s_add_u32 s0, s2, s0
	s_addc_u32 s1, s3, s1
	v_lshlrev_b32_e32 v0, 1, v0
	;;#ASMSTART
	v_cvt_f16_f32 v1, v7;

	;;#ASMEND
	global_store_short v0, v1, s[0:1]
	;;#ASMSTART
	v_cvt_f16_f32 v1, v9;

	;;#ASMEND
	global_store_short v0, v1, s[0:1] offset:128
	;;#ASMSTART
	v_cvt_f16_f32 v1, v6;

	;;#ASMEND
	global_store_short v0, v1, s[0:1] offset:256
.LBB70_54:
	s_endpgm
	.section	.rodata,"a",@progbits
	.p2align	6, 0x0
	.amdhsa_kernel _ZN4vllm25paged_attention_v1_kernelIttLi192ELi8ELi128ELNS_18Fp8KVCacheDataTypeE0ELb0EEEvPT_PKS2_PKT0_S8_ifPKiSA_iPKfiiiSC_SC_iiiii
		.amdhsa_group_segment_fixed_size 400
		.amdhsa_private_segment_fixed_size 0
		.amdhsa_kernarg_size 384
		.amdhsa_user_sgpr_count 2
		.amdhsa_user_sgpr_dispatch_ptr 0
		.amdhsa_user_sgpr_queue_ptr 0
		.amdhsa_user_sgpr_kernarg_segment_ptr 1
		.amdhsa_user_sgpr_dispatch_id 0
		.amdhsa_user_sgpr_kernarg_preload_length 0
		.amdhsa_user_sgpr_kernarg_preload_offset 0
		.amdhsa_user_sgpr_private_segment_size 0
		.amdhsa_uses_dynamic_stack 0
		.amdhsa_enable_private_segment 0
		.amdhsa_system_sgpr_workgroup_id_x 1
		.amdhsa_system_sgpr_workgroup_id_y 1
		.amdhsa_system_sgpr_workgroup_id_z 1
		.amdhsa_system_sgpr_workgroup_info 0
		.amdhsa_system_vgpr_workitem_id 0
		.amdhsa_next_free_vgpr 61
		.amdhsa_next_free_sgpr 38
		.amdhsa_accum_offset 64
		.amdhsa_reserve_vcc 1
		.amdhsa_float_round_mode_32 0
		.amdhsa_float_round_mode_16_64 0
		.amdhsa_float_denorm_mode_32 3
		.amdhsa_float_denorm_mode_16_64 3
		.amdhsa_dx10_clamp 1
		.amdhsa_ieee_mode 1
		.amdhsa_fp16_overflow 0
		.amdhsa_tg_split 0
		.amdhsa_exception_fp_ieee_invalid_op 0
		.amdhsa_exception_fp_denorm_src 0
		.amdhsa_exception_fp_ieee_div_zero 0
		.amdhsa_exception_fp_ieee_overflow 0
		.amdhsa_exception_fp_ieee_underflow 0
		.amdhsa_exception_fp_ieee_inexact 0
		.amdhsa_exception_int_div_zero 0
	.end_amdhsa_kernel
	.section	.text._ZN4vllm25paged_attention_v1_kernelIttLi192ELi8ELi128ELNS_18Fp8KVCacheDataTypeE0ELb0EEEvPT_PKS2_PKT0_S8_ifPKiSA_iPKfiiiSC_SC_iiiii,"axG",@progbits,_ZN4vllm25paged_attention_v1_kernelIttLi192ELi8ELi128ELNS_18Fp8KVCacheDataTypeE0ELb0EEEvPT_PKS2_PKT0_S8_ifPKiSA_iPKfiiiSC_SC_iiiii,comdat
.Lfunc_end70:
	.size	_ZN4vllm25paged_attention_v1_kernelIttLi192ELi8ELi128ELNS_18Fp8KVCacheDataTypeE0ELb0EEEvPT_PKS2_PKT0_S8_ifPKiSA_iPKfiiiSC_SC_iiiii, .Lfunc_end70-_ZN4vllm25paged_attention_v1_kernelIttLi192ELi8ELi128ELNS_18Fp8KVCacheDataTypeE0ELb0EEEvPT_PKS2_PKT0_S8_ifPKiSA_iPKfiiiSC_SC_iiiii
                                        ; -- End function
	.section	.AMDGPU.csdata,"",@progbits
; Kernel info:
; codeLenInByte = 5172
; NumSgprs: 44
; NumVgprs: 61
; NumAgprs: 0
; TotalNumVgprs: 61
; ScratchSize: 0
; MemoryBound: 0
; FloatMode: 240
; IeeeMode: 1
; LDSByteSize: 400 bytes/workgroup (compile time only)
; SGPRBlocks: 5
; VGPRBlocks: 7
; NumSGPRsForWavesPerEU: 44
; NumVGPRsForWavesPerEU: 61
; AccumOffset: 64
; Occupancy: 8
; WaveLimiterHint : 1
; COMPUTE_PGM_RSRC2:SCRATCH_EN: 0
; COMPUTE_PGM_RSRC2:USER_SGPR: 2
; COMPUTE_PGM_RSRC2:TRAP_HANDLER: 0
; COMPUTE_PGM_RSRC2:TGID_X_EN: 1
; COMPUTE_PGM_RSRC2:TGID_Y_EN: 1
; COMPUTE_PGM_RSRC2:TGID_Z_EN: 1
; COMPUTE_PGM_RSRC2:TIDIG_COMP_CNT: 0
; COMPUTE_PGM_RSRC3_GFX90A:ACCUM_OFFSET: 15
; COMPUTE_PGM_RSRC3_GFX90A:TG_SPLIT: 0
	.section	.text._ZN4vllm25paged_attention_v1_kernelIttLi256ELi8ELi128ELNS_18Fp8KVCacheDataTypeE0ELb0EEEvPT_PKS2_PKT0_S8_ifPKiSA_iPKfiiiSC_SC_iiiii,"axG",@progbits,_ZN4vllm25paged_attention_v1_kernelIttLi256ELi8ELi128ELNS_18Fp8KVCacheDataTypeE0ELb0EEEvPT_PKS2_PKT0_S8_ifPKiSA_iPKfiiiSC_SC_iiiii,comdat
	.protected	_ZN4vllm25paged_attention_v1_kernelIttLi256ELi8ELi128ELNS_18Fp8KVCacheDataTypeE0ELb0EEEvPT_PKS2_PKT0_S8_ifPKiSA_iPKfiiiSC_SC_iiiii ; -- Begin function _ZN4vllm25paged_attention_v1_kernelIttLi256ELi8ELi128ELNS_18Fp8KVCacheDataTypeE0ELb0EEEvPT_PKS2_PKT0_S8_ifPKiSA_iPKfiiiSC_SC_iiiii
	.globl	_ZN4vllm25paged_attention_v1_kernelIttLi256ELi8ELi128ELNS_18Fp8KVCacheDataTypeE0ELb0EEEvPT_PKS2_PKT0_S8_ifPKiSA_iPKfiiiSC_SC_iiiii
	.p2align	8
	.type	_ZN4vllm25paged_attention_v1_kernelIttLi256ELi8ELi128ELNS_18Fp8KVCacheDataTypeE0ELb0EEEvPT_PKS2_PKT0_S8_ifPKiSA_iPKfiiiSC_SC_iiiii,@function
_ZN4vllm25paged_attention_v1_kernelIttLi256ELi8ELi128ELNS_18Fp8KVCacheDataTypeE0ELb0EEEvPT_PKS2_PKT0_S8_ifPKiSA_iPKfiiiSC_SC_iiiii: ; @_ZN4vllm25paged_attention_v1_kernelIttLi256ELi8ELi128ELNS_18Fp8KVCacheDataTypeE0ELb0EEEvPT_PKS2_PKT0_S8_ifPKiSA_iPKfiiiSC_SC_iiiii
; %bb.0:
	s_load_dword s5, s[0:1], 0x80
	s_load_dwordx2 s[6:7], s[0:1], 0x30
	s_load_dwordx2 s[26:27], s[0:1], 0x20
	s_mov_b32 s16, s3
	s_ashr_i32 s17, s3, 31
	s_lshl_b64 s[8:9], s[16:17], 2
	s_waitcnt lgkmcnt(0)
	s_add_u32 s6, s6, s8
	s_addc_u32 s7, s7, s9
	s_abs_i32 s3, s26
	v_cvt_f32_u32_e32 v1, s3
	s_sub_i32 s10, 0, s3
	s_abs_i32 s9, s5
	s_xor_b32 s8, s5, s26
	v_rcp_iflag_f32_e32 v1, v1
	s_ashr_i32 s8, s8, 31
	s_mov_b32 s26, 0
	v_mul_f32_e32 v1, 0x4f7ffffe, v1
	v_cvt_u32_f32_e32 v1, v1
	s_nop 0
	v_readfirstlane_b32 s11, v1
	s_mul_i32 s10, s10, s11
	s_mul_hi_u32 s10, s11, s10
	s_add_i32 s11, s11, s10
	s_mul_hi_u32 s10, s9, s11
	s_mul_i32 s11, s10, s3
	s_sub_i32 s9, s9, s11
	s_add_i32 s11, s10, 1
	s_sub_i32 s12, s9, s3
	s_cmp_ge_u32 s9, s3
	s_cselect_b32 s10, s11, s10
	s_cselect_b32 s9, s12, s9
	s_add_i32 s11, s10, 1
	s_cmp_ge_u32 s9, s3
	s_cselect_b32 s3, s11, s10
	s_xor_b32 s3, s3, s8
	s_sub_i32 s34, s3, s8
	s_abs_i32 s30, s34
	v_cvt_f32_u32_e32 v1, s30
	s_load_dwordx2 s[8:9], s[0:1], 0x40
	s_sub_i32 s3, 0, s30
	s_abs_i32 s31, s2
	v_rcp_iflag_f32_e32 v1, v1
	s_nop 0
	v_mul_f32_e32 v1, 0x4f7ffffe, v1
	v_cvt_u32_f32_e32 v1, v1
	s_nop 0
	v_readfirstlane_b32 s12, v1
	s_mul_i32 s3, s3, s12
	s_mul_hi_u32 s3, s12, s3
	s_add_i32 s12, s12, s3
	s_waitcnt lgkmcnt(0)
	s_cmp_eq_u64 s[8:9], 0
	s_cbranch_scc1 .LBB71_2
; %bb.1:
	s_ashr_i32 s3, s2, 31
	s_lshl_b64 s[10:11], s[2:3], 2
	s_add_u32 s8, s8, s10
	s_addc_u32 s9, s9, s11
	s_load_dword s26, s[8:9], 0x0
.LBB71_2:
	s_load_dwordx2 s[18:19], s[0:1], 0x0
	s_nop 0
	s_load_dwordx4 s[8:11], s[0:1], 0x10
	s_mul_hi_u32 s3, s31, s12
	s_load_dword s17, s[0:1], 0x88
	s_load_dword s33, s[6:7], 0x0
	s_load_dwordx2 s[22:23], s[0:1], 0x28
	s_load_dwordx4 s[12:15], s[0:1], 0x48
	v_and_b32_e32 v11, 7, v0
	s_lshl_b32 s20, s2, 8
	s_movk_i32 s6, 0x100
	s_ashr_i32 s21, s20, 31
	v_cmp_gt_u32_e32 vcc, s6, v0
	v_lshlrev_b32_e32 v2, 1, v11
	s_and_saveexec_b64 s[6:7], vcc
	s_cbranch_execz .LBB71_5
; %bb.3:
	s_load_dwordx2 s[24:25], s[0:1], 0x8
	s_waitcnt lgkmcnt(0)
	s_mul_i32 s28, s16, s12
	s_ashr_i32 s29, s28, 31
	s_lshl_b64 s[28:29], s[28:29], 1
	s_lshl_b64 s[36:37], s[20:21], 1
	s_add_u32 s12, s28, s36
	s_addc_u32 s15, s29, s37
	v_lshrrev_b32_e32 v4, 3, v0
	s_add_u32 s24, s24, s12
	v_add_u32_e32 v1, -16, v4
	v_lshlrev_b32_e32 v3, 1, v4
	v_lshl_or_b32 v4, v4, 4, v2
	v_mov_b32_e32 v5, 0
	s_addc_u32 s25, s25, s15
	v_lshl_add_u32 v3, v11, 6, v3
	v_lshl_add_u64 v[4:5], s[24:25], 0, v[4:5]
	s_mov_b64 s[24:25], 0
	s_mov_b64 s[28:29], 0x100
.LBB71_4:                               ; =>This Inner Loop Header: Depth=1
	global_load_ushort v6, v[4:5], off
	v_add_co_u32_e32 v1, vcc, 16, v1
	s_xor_b64 s[36:37], vcc, -1
	s_and_b64 s[36:37], exec, s[36:37]
	v_lshl_add_u64 v[4:5], v[4:5], 0, s[28:29]
	s_or_b64 s[24:25], s[36:37], s[24:25]
	s_waitcnt vmcnt(0)
	ds_write_b16 v3, v6
	v_add_u32_e32 v3, 32, v3
	s_andn2_b64 exec, exec, s[24:25]
	s_cbranch_execnz .LBB71_4
.LBB71_5:
	s_or_b64 exec, exec, s[6:7]
	s_load_dword s0, s[0:1], 0x38
	s_waitcnt lgkmcnt(0)
	s_add_i32 s1, s33, 7
	s_ashr_i32 s7, s1, 31
	s_lshr_b32 s7, s7, 29
	s_ashr_i32 s2, s2, 31
	s_ashr_i32 s6, s34, 31
	s_add_i32 s1, s1, s7
	s_ashr_i32 s12, s1, 3
	s_xor_b32 s1, s2, s6
	s_mul_i32 s2, s3, s30
	s_sub_i32 s2, s31, s2
	s_add_i32 s6, s3, 1
	s_sub_i32 s7, s2, s30
	s_cmp_ge_u32 s2, s30
	s_cselect_b32 s3, s6, s3
	s_cselect_b32 s2, s7, s2
	s_add_i32 s6, s3, 1
	s_cmp_ge_u32 s2, s30
	s_cselect_b32 s2, s6, s3
	v_lshrrev_b32_e32 v1, 6, v0
	s_xor_b32 s2, s2, s1
	s_mul_i32 s24, s16, s0
	s_sub_i32 s6, s2, s1
	s_ashr_i32 s25, s24, 31
	v_cmp_gt_i32_e64 s[0:1], s12, v1
	v_cmp_le_i32_e32 vcc, s12, v1
	v_mbcnt_lo_u32_b32 v13, -1, 0
	s_barrier
	s_waitcnt lgkmcnt(0)
                                        ; implicit-def: $sgpr7
                                        ; implicit-def: $vgpr7
                                        ; implicit-def: $vgpr8
	s_and_saveexec_b64 s[2:3], vcc
	s_xor_b64 s[2:3], exec, s[2:3]
; %bb.6:
	v_mbcnt_hi_u32_b32 v7, -1, v13
	v_and_b32_e32 v2, 64, v7
	v_add_u32_e32 v8, 64, v2
	s_mov_b32 s7, 0xff7fffff
                                        ; implicit-def: $vgpr2
                                        ; implicit-def: $vgpr11
                                        ; implicit-def: $vgpr13
; %bb.7:
	s_or_saveexec_b64 s[28:29], s[2:3]
	v_mov_b32_e32 v9, s7
	s_mul_i32 s14, s6, s14
	v_lshrrev_b32_e32 v6, 4, v0
	s_xor_b64 exec, exec, s[28:29]
	s_cbranch_execz .LBB71_13
; %bb.8:
	s_ashr_i32 s15, s14, 31
	s_lshl_b64 s[2:3], s[14:15], 1
	v_bfe_u32 v7, v0, 3, 3
	s_add_u32 s2, s8, s2
	s_addc_u32 s3, s9, s3
	v_lshlrev_b32_e32 v4, 4, v7
	v_mov_b32_e32 v5, 0
	v_lshl_add_u64 v[8:9], s[2:3], 0, v[4:5]
	s_sub_i32 s15, 1, s33
	v_lshlrev_b32_e32 v4, 2, v7
	s_lshl_b64 s[6:7], s[24:25], 2
	v_mov_b32_e32 v3, v5
	v_lshlrev_b32_e32 v10, 6, v11
	v_cmp_eq_u32_e32 vcc, 0, v11
	v_lshl_or_b32 v11, v1, 3, v7
	v_lshl_or_b32 v4, v1, 5, v4
	s_add_u32 s6, s22, s6
	v_mbcnt_hi_u32_b32 v7, -1, v13
	v_lshl_add_u64 v[2:3], v[8:9], 0, v[2:3]
	v_add_u32_e32 v12, 0x210, v4
	v_and_b32_e32 v4, 60, v6
	s_addc_u32 s7, s23, s7
	v_and_b32_e32 v8, 64, v7
	s_mov_b32 s21, s13
	v_cmp_neq_f32_e64 s[2:3], s26, 0
	v_lshl_add_u64 v[4:5], s[6:7], 0, v[4:5]
	s_mov_b64 s[8:9], 0
	v_mov_b32_e32 v9, 0xff7fffff
	v_add_u32_e32 v8, 64, v8
	v_xor_b32_e32 v13, 4, v7
	v_xor_b32_e32 v14, 2, v7
	;; [unrolled: 1-line block ×3, first 2 shown]
	v_mov_b32_e32 v16, v1
	s_branch .LBB71_10
.LBB71_9:                               ;   in Loop: Header=BB71_10 Depth=1
	s_or_b64 exec, exec, s[30:31]
	v_add_u32_e32 v16, 2, v16
	v_cmp_le_i32_e64 s[6:7], s12, v16
	v_add_u32_e32 v11, 16, v11
	v_add_u32_e32 v12, 64, v12
	s_or_b64 s[8:9], s[6:7], s[8:9]
	v_lshl_add_u64 v[4:5], v[4:5], 0, 8
	s_andn2_b64 exec, exec, s[8:9]
	s_cbranch_execz .LBB71_12
.LBB71_10:                              ; =>This Inner Loop Header: Depth=1
	global_load_dword v17, v[4:5], off
	s_waitcnt vmcnt(0) lgkmcnt(0)
	v_mad_i64_i32 v[18:19], s[6:7], v17, s21, 0
	v_lshl_add_u64 v[20:21], v[18:19], 1, v[2:3]
	global_load_ushort v19, v[20:21], off
	global_load_ushort v22, v[20:21], off offset:128
	global_load_ushort v23, v[20:21], off offset:256
	;; [unrolled: 1-line block ×7, first 2 shown]
	ds_read_u16 v29, v10
	global_load_ushort v30, v[20:21], off offset:1024
	global_load_ushort v31, v[20:21], off offset:1152
	;; [unrolled: 1-line block ×24, first 2 shown]
	s_waitcnt lgkmcnt(0)
	;;#ASMSTART
	v_cvt_f32_f16 v20, v29;
	;;#ASMEND
	v_cmp_lt_i32_e64 s[6:7], v13, v8
	s_waitcnt vmcnt(31)
	;;#ASMSTART
	v_cvt_f32_f16 v19, v19;
	;;#ASMEND
	ds_read_u16 v21, v10 offset:2
	s_waitcnt lgkmcnt(0)
	;;#ASMSTART
	v_cvt_f32_f16 v21, v21;
	;;#ASMEND
	s_waitcnt vmcnt(30)
	;;#ASMSTART
	v_cvt_f32_f16 v22, v22;
	;;#ASMEND
	ds_read_u16 v29, v10 offset:4
	v_mul_f32_e32 v21, v21, v22
	v_fmac_f32_e32 v21, v20, v19
	s_waitcnt lgkmcnt(0)
	;;#ASMSTART
	v_cvt_f32_f16 v29, v29;
	;;#ASMEND
	s_waitcnt vmcnt(29)
	;;#ASMSTART
	v_cvt_f32_f16 v23, v23;
	;;#ASMEND
	ds_read_u16 v52, v10 offset:6
	v_fmac_f32_e32 v21, v29, v23
	s_waitcnt lgkmcnt(0)
	;;#ASMSTART
	v_cvt_f32_f16 v52, v52;
	;;#ASMEND
	s_waitcnt vmcnt(28)
	;;#ASMSTART
	v_cvt_f32_f16 v24, v24;
	;;#ASMEND
	ds_read_u16 v53, v10 offset:8
	;; [unrolled: 10-line block ×27, first 2 shown]
	v_fmac_f32_e32 v21, v23, v24
	s_waitcnt lgkmcnt(0)
	;;#ASMSTART
	v_cvt_f32_f16 v25, v25;
	;;#ASMEND
	s_waitcnt vmcnt(2)
	;;#ASMSTART
	v_cvt_f32_f16 v26, v51;
	;;#ASMEND
	v_cndmask_b32_e64 v59, v7, v13, s[6:7]
	v_fmac_f32_e32 v21, v25, v26
	ds_read_u16 v27, v10 offset:60
	s_waitcnt lgkmcnt(0)
	;;#ASMSTART
	v_cvt_f32_f16 v22, v27;
	;;#ASMEND
	s_waitcnt vmcnt(1)
	;;#ASMSTART
	v_cvt_f32_f16 v18, v18;
	;;#ASMEND
	v_lshlrev_b32_e32 v59, 2, v59
	v_fmac_f32_e32 v21, v22, v18
	ds_read_u16 v27, v10 offset:62
	s_waitcnt lgkmcnt(0)
	;;#ASMSTART
	v_cvt_f32_f16 v18, v27;
	;;#ASMEND
	s_waitcnt vmcnt(0)
	;;#ASMSTART
	v_cvt_f32_f16 v17, v17;
	;;#ASMEND
	v_cmp_lt_i32_e64 s[6:7], v14, v8
	v_fmac_f32_e32 v21, v18, v17
	ds_bpermute_b32 v17, v59, v21
	v_cndmask_b32_e64 v18, v7, v14, s[6:7]
	v_lshlrev_b32_e32 v18, 2, v18
	v_cmp_lt_i32_e64 s[6:7], v15, v8
	s_waitcnt lgkmcnt(0)
	v_add_f32_e32 v17, v21, v17
	ds_bpermute_b32 v18, v18, v17
	v_cndmask_b32_e64 v19, v7, v15, s[6:7]
	s_waitcnt lgkmcnt(0)
	v_add_f32_e32 v17, v17, v18
	v_lshlrev_b32_e32 v18, 2, v19
	ds_bpermute_b32 v18, v18, v17
	s_and_saveexec_b64 s[30:31], vcc
	s_cbranch_execz .LBB71_9
; %bb.11:                               ;   in Loop: Header=BB71_10 Depth=1
	v_add_u32_e32 v19, s15, v11
	v_cvt_f32_i32_e32 v19, v19
	s_waitcnt lgkmcnt(0)
	v_add_f32_e32 v17, v17, v18
	v_cmp_gt_i32_e64 s[6:7], s33, v11
	v_max_f32_e32 v18, v9, v9
	v_mul_f32_e32 v19, s26, v19
	v_cndmask_b32_e64 v19, 0, v19, s[2:3]
	v_fmac_f32_e32 v19, s27, v17
	v_cndmask_b32_e64 v17, 0, v19, s[6:7]
	ds_write_b32 v12, v17
	v_max_f32_e32 v17, v18, v19
	v_cndmask_b32_e64 v9, v9, v17, s[6:7]
	s_branch .LBB71_9
.LBB71_12:
	s_or_b64 exec, exec, s[8:9]
.LBB71_13:
	s_or_b64 exec, exec, s[28:29]
	v_xor_b32_e32 v2, 32, v7
	v_cmp_lt_i32_e32 vcc, v2, v8
	v_xor_b32_e32 v5, 16, v7
	v_max_f32_e32 v4, v9, v9
	v_cndmask_b32_e32 v2, v7, v2, vcc
	v_lshlrev_b32_e32 v3, 2, v2
	ds_bpermute_b32 v2, v3, v9
	v_cmp_lt_i32_e32 vcc, v5, v8
	v_xor_b32_e32 v9, 8, v7
	s_waitcnt lgkmcnt(1)
	v_and_b32_e32 v18, 63, v0
	s_waitcnt lgkmcnt(0)
	v_max_f32_e32 v2, v2, v2
	v_max_f32_e32 v2, v4, v2
	v_cndmask_b32_e32 v4, v7, v5, vcc
	v_lshlrev_b32_e32 v5, 2, v4
	ds_bpermute_b32 v4, v5, v2
	v_cmp_lt_i32_e32 vcc, v9, v8
	s_waitcnt lgkmcnt(0)
	v_max_f32_e32 v4, v4, v4
	v_max_f32_e32 v4, v2, v4
	v_cndmask_b32_e32 v2, v7, v9, vcc
	v_lshlrev_b32_e32 v10, 2, v2
	ds_bpermute_b32 v9, v10, v4
	v_cmp_eq_u32_e32 vcc, 0, v18
	v_lshlrev_b32_e32 v2, 2, v1
	s_and_saveexec_b64 s[2:3], vcc
	s_cbranch_execz .LBB71_15
; %bb.14:
	s_waitcnt lgkmcnt(0)
	v_max_f32_e32 v9, v9, v9
	v_max_f32_e32 v4, v4, v4
	;; [unrolled: 1-line block ×3, first 2 shown]
	ds_write_b32 v2, v4 offset:512
.LBB71_15:
	s_or_b64 exec, exec, s[2:3]
	v_cmp_gt_u32_e64 s[2:3], 2, v18
	v_mov_b32_e32 v11, 0xff7fffff
	v_lshlrev_b32_e32 v4, 2, v18
	s_waitcnt lgkmcnt(0)
	s_barrier
	s_and_saveexec_b64 s[6:7], s[2:3]
	s_cbranch_execz .LBB71_17
; %bb.16:
	ds_read_b32 v11, v4 offset:512
.LBB71_17:
	s_or_b64 exec, exec, s[6:7]
	v_xor_b32_e32 v9, 1, v7
	v_cmp_lt_i32_e64 s[6:7], v9, v8
	v_lshlrev_b32_e32 v13, 2, v7
	s_nop 0
	v_cndmask_b32_e64 v9, v7, v9, s[6:7]
	v_lshlrev_b32_e32 v9, 2, v9
	s_waitcnt lgkmcnt(0)
	ds_bpermute_b32 v12, v9, v11
	v_max_f32_e32 v11, v11, v11
	s_lshl_b32 s6, s12, 3
	s_min_i32 s15, s6, s33
	v_cmp_gt_i32_e64 s[6:7], s15, v0
	s_waitcnt lgkmcnt(0)
	v_max_f32_e32 v12, v12, v12
	v_max_f32_e32 v12, v11, v12
	v_and_b32_e32 v11, 0xffffff00, v13
	ds_bpermute_b32 v13, v11, v12
	v_mov_b32_e32 v12, 0
	s_and_saveexec_b64 s[26:27], s[6:7]
	s_cbranch_execz .LBB71_21
; %bb.18:
	v_mov_b32_e32 v12, 0x210
	v_lshl_add_u32 v14, v0, 2, v12
	s_mov_b64 s[28:29], 0
	v_mov_b32_e32 v12, 0
	v_mov_b32_e32 v15, v0
.LBB71_19:                              ; =>This Inner Loop Header: Depth=1
	ds_read_b32 v16, v14
	v_add_u32_e32 v15, 0x80, v15
	v_cmp_le_i32_e64 s[8:9], s15, v15
	s_or_b64 s[28:29], s[8:9], s[28:29]
	s_waitcnt lgkmcnt(0)
	v_sub_f32_e32 v16, v16, v13
	v_mul_f32_e32 v16, 0x3fb8aa3b, v16
	v_exp_f32_e32 v16, v16
	ds_write_b32 v14, v16
	v_add_f32_e32 v12, v12, v16
	v_add_u32_e32 v14, 0x200, v14
	s_andn2_b64 exec, exec, s[28:29]
	s_cbranch_execnz .LBB71_19
; %bb.20:
	s_or_b64 exec, exec, s[28:29]
.LBB71_21:
	s_or_b64 exec, exec, s[26:27]
	ds_bpermute_b32 v3, v3, v12
	s_waitcnt lgkmcnt(0)
	v_add_f32_e32 v3, v12, v3
	ds_bpermute_b32 v5, v5, v3
	s_waitcnt lgkmcnt(0)
	v_add_f32_e32 v3, v3, v5
	ds_bpermute_b32 v5, v10, v3
	v_xor_b32_e32 v10, 4, v7
	v_cmp_lt_i32_e64 s[8:9], v10, v8
	s_waitcnt lgkmcnt(0)
	v_add_f32_e32 v3, v3, v5
	v_cndmask_b32_e64 v10, v7, v10, s[8:9]
	v_lshlrev_b32_e32 v10, 2, v10
	ds_bpermute_b32 v5, v10, v3
	v_xor_b32_e32 v10, 2, v7
	v_cmp_lt_i32_e64 s[8:9], v10, v8
	s_waitcnt lgkmcnt(0)
	v_add_f32_e32 v3, v3, v5
	v_cndmask_b32_e64 v7, v7, v10, s[8:9]
	v_lshlrev_b32_e32 v5, 2, v7
	ds_bpermute_b32 v5, v5, v3
	s_waitcnt lgkmcnt(0)
	v_add_f32_e32 v3, v3, v5
	ds_bpermute_b32 v5, v9, v3
	s_waitcnt lgkmcnt(0)
	v_add_f32_e32 v3, v3, v5
	s_and_saveexec_b64 s[8:9], vcc
	s_cbranch_execz .LBB71_23
; %bb.22:
	ds_write_b32 v2, v3 offset:520
.LBB71_23:
	s_or_b64 exec, exec, s[8:9]
	s_waitcnt lgkmcnt(0)
	s_barrier
	s_and_saveexec_b64 s[8:9], s[2:3]
	s_cbranch_execz .LBB71_25
; %bb.24:
	ds_read_b32 v3, v4 offset:520
.LBB71_25:
	s_or_b64 exec, exec, s[8:9]
	s_waitcnt lgkmcnt(0)
	ds_bpermute_b32 v2, v9, v3
	s_waitcnt lgkmcnt(0)
	v_add_f32_e32 v2, v3, v2
	ds_bpermute_b32 v2, v11, v2
	s_and_saveexec_b64 s[2:3], s[6:7]
	s_cbranch_execz .LBB71_38
; %bb.26:
	s_waitcnt lgkmcnt(0)
	v_add_f32_e32 v2, 0x358637bd, v2
	v_div_scale_f32 v3, s[6:7], v2, v2, 1.0
	v_rcp_f32_e32 v4, v3
	v_div_scale_f32 v5, vcc, 1.0, v2, 1.0
	s_movk_i32 s6, 0x7f
	v_fma_f32 v7, -v3, v4, 1.0
	v_fmac_f32_e32 v4, v7, v4
	v_mul_f32_e32 v7, v5, v4
	v_fma_f32 v8, -v3, v7, v5
	v_fmac_f32_e32 v7, v8, v4
	v_fma_f32 v3, -v3, v7, v5
	v_div_fmas_f32 v3, v3, v4, v7
	v_xad_u32 v4, v0, -1, s15
	v_div_fixup_f32 v2, v3, v2, 1.0
	v_cmp_lt_u32_e32 vcc, s6, v4
	s_mov_b64 s[8:9], -1
	v_mov_b32_e32 v3, v0
	s_and_saveexec_b64 s[6:7], vcc
	s_cbranch_execz .LBB71_35
; %bb.27:
	v_lshrrev_b32_e32 v4, 7, v4
	v_add_u32_e32 v7, -1, v4
	v_lshrrev_b32_e32 v5, 1, v7
	v_mov_b32_e32 v3, v2
	v_add_u32_e32 v5, 1, v5
	v_cmp_lt_u32_e32 vcc, 13, v7
	v_mov_b32_e32 v9, 0
	s_and_saveexec_b64 s[8:9], vcc
	s_cbranch_execz .LBB71_31
; %bb.28:
	v_mov_b32_e32 v8, 0x210
	v_and_b32_e32 v7, -8, v5
	v_lshl_add_u32 v8, v0, 2, v8
	s_mov_b32 s21, 0
	s_mov_b64 s[26:27], 0
.LBB71_29:                              ; =>This Inner Loop Header: Depth=1
	ds_read2st64_b32 v[10:11], v8 offset1:2
	ds_read2st64_b32 v[12:13], v8 offset0:4 offset1:6
	ds_read2st64_b32 v[14:15], v8 offset0:8 offset1:10
	ds_read2st64_b32 v[16:17], v8 offset0:12 offset1:14
	v_add_u32_e32 v7, -8, v7
	s_waitcnt lgkmcnt(3)
	v_pk_mul_f32 v[10:11], v[2:3], v[10:11]
	s_waitcnt lgkmcnt(2)
	v_pk_mul_f32 v[12:13], v[2:3], v[12:13]
	ds_write2st64_b32 v8, v10, v11 offset1:2
	ds_write2st64_b32 v8, v12, v13 offset0:4 offset1:6
	ds_read2st64_b32 v[12:13], v8 offset0:16 offset1:18
	s_waitcnt lgkmcnt(4)
	v_pk_mul_f32 v[10:11], v[2:3], v[14:15]
	ds_write2st64_b32 v8, v10, v11 offset0:8 offset1:10
	s_waitcnt lgkmcnt(4)
	v_pk_mul_f32 v[10:11], v[2:3], v[16:17]
	ds_write2st64_b32 v8, v10, v11 offset0:12 offset1:14
	ds_read2st64_b32 v[10:11], v8 offset0:20 offset1:22
	s_waitcnt lgkmcnt(3)
	v_pk_mul_f32 v[12:13], v[2:3], v[12:13]
	ds_read2st64_b32 v[14:15], v8 offset0:24 offset1:26
	ds_write2st64_b32 v8, v12, v13 offset0:16 offset1:18
	ds_read2st64_b32 v[12:13], v8 offset0:28 offset1:30
	s_waitcnt lgkmcnt(3)
	v_pk_mul_f32 v[10:11], v[2:3], v[10:11]
	ds_write2st64_b32 v8, v10, v11 offset0:20 offset1:22
	s_waitcnt lgkmcnt(3)
	v_pk_mul_f32 v[10:11], v[2:3], v[14:15]
	ds_write2st64_b32 v8, v10, v11 offset0:24 offset1:26
	s_waitcnt lgkmcnt(2)
	v_pk_mul_f32 v[10:11], v[2:3], v[12:13]
	s_add_i32 s21, s21, 16
	v_cmp_eq_u32_e32 vcc, 0, v7
	ds_write2st64_b32 v8, v10, v11 offset0:28 offset1:30
	v_add_u32_e32 v8, 0x2000, v8
	s_or_b64 s[26:27], vcc, s[26:27]
	v_mov_b32_e32 v9, s21
	s_andn2_b64 exec, exec, s[26:27]
	s_cbranch_execnz .LBB71_29
; %bb.30:
	s_or_b64 exec, exec, s[26:27]
.LBB71_31:
	s_or_b64 exec, exec, s[8:9]
	v_and_b32_e32 v5, 7, v5
	v_cmp_ne_u32_e32 vcc, 0, v5
	s_and_saveexec_b64 s[8:9], vcc
	s_cbranch_execz .LBB71_34
; %bb.32:
	v_lshlrev_b32_e32 v7, 9, v9
	v_lshlrev_b32_e32 v8, 2, v0
	s_movk_i32 s21, 0x210
	v_add3_u32 v7, v7, v8, s21
	s_mov_b64 s[26:27], 0
.LBB71_33:                              ; =>This Inner Loop Header: Depth=1
	ds_read2st64_b32 v[8:9], v7 offset1:2
	v_add_u32_e32 v5, -1, v5
	v_cmp_eq_u32_e32 vcc, 0, v5
	s_or_b64 s[26:27], vcc, s[26:27]
	s_waitcnt lgkmcnt(0)
	v_pk_mul_f32 v[8:9], v[2:3], v[8:9]
	ds_write2st64_b32 v7, v8, v9 offset1:2
	v_add_u32_e32 v7, 0x400, v7
	s_andn2_b64 exec, exec, s[26:27]
	s_cbranch_execnz .LBB71_33
.LBB71_34:
	s_or_b64 exec, exec, s[8:9]
	v_add_u32_e32 v4, 1, v4
	v_and_b32_e32 v5, 0x3fffffe, v4
	v_cmp_ne_u32_e32 vcc, v4, v5
	v_lshl_add_u32 v3, v5, 7, v0
	s_orn2_b64 s[8:9], vcc, exec
.LBB71_35:
	s_or_b64 exec, exec, s[6:7]
	s_and_b64 exec, exec, s[8:9]
	s_cbranch_execz .LBB71_38
; %bb.36:
	v_mov_b32_e32 v4, 0x210
	v_lshl_add_u32 v4, v3, 2, v4
	s_mov_b64 s[6:7], 0
.LBB71_37:                              ; =>This Inner Loop Header: Depth=1
	ds_read_b32 v5, v4
	v_add_u32_e32 v3, 0x80, v3
	v_cmp_le_i32_e32 vcc, s15, v3
	s_or_b64 s[6:7], vcc, s[6:7]
	s_waitcnt lgkmcnt(0)
	v_mul_f32_e32 v5, v2, v5
	ds_write_b32 v4, v5
	v_add_u32_e32 v4, 0x200, v4
	s_andn2_b64 exec, exec, s[6:7]
	s_cbranch_execnz .LBB71_37
.LBB71_38:
	s_or_b64 exec, exec, s[2:3]
	s_mov_b32 s28, 0
	s_mov_b32 s29, s28
	;; [unrolled: 1-line block ×4, first 2 shown]
	s_waitcnt lgkmcnt(0)
	v_mov_b64_e32 v[2:3], s[28:29]
	v_mov_b64_e32 v[4:5], s[30:31]
	s_barrier
	s_and_saveexec_b64 s[2:3], s[0:1]
	s_cbranch_execz .LBB71_50
; %bb.39:
	s_ashr_i32 s15, s14, 31
	s_lshl_b64 s[0:1], s[14:15], 1
	s_add_u32 s0, s10, s0
	s_addc_u32 s1, s11, s1
	v_lshlrev_b32_e32 v10, 4, v18
	v_mov_b32_e32 v11, 0
	s_add_i32 s10, s12, -1
	v_lshl_add_u64 v[12:13], s[0:1], 0, v[10:11]
	s_lshl_b64 s[0:1], s[24:25], 2
	s_add_u32 s0, s22, s0
	v_mov_b32_e32 v3, 0x210
	v_and_b32_e32 v10, 60, v6
	s_addc_u32 s1, s23, s1
	s_mov_b32 s11, s33
	s_mov_b32 s14, s33
	;; [unrolled: 1-line block ×7, first 2 shown]
	v_lshlrev_b32_e32 v2, 3, v1
	v_lshl_add_u32 v19, v1, 5, v3
	v_lshl_add_u64 v[14:15], s[0:1], 0, v[10:11]
	s_mov_b64 s[6:7], 0
	s_mov_b32 s22, 0x5040100
	v_mov_b32_e32 v3, v11
	v_mov_b32_e32 v4, v11
	;; [unrolled: 1-line block ×3, first 2 shown]
	s_branch .LBB71_41
.LBB71_40:                              ;   in Loop: Header=BB71_41 Depth=1
	s_or_b64 exec, exec, s[0:1]
	s_waitcnt vmcnt(0)
	;;#ASMSTART
	v_pk_mul_f16 v6, v29, v6;

	;;#ASMEND
	;;#ASMSTART
	v_pk_mul_f16 v7, v28, v7;

	;;#ASMEND
	;; [unrolled: 4-line block ×4, first 2 shown]
	v_add_f32_e32 v10, v30, v31
	;;#ASMSTART
	v_pk_add_f16 v6, v6, v7;

	;;#ASMEND
	v_add_f32_e32 v11, v11, v10
	;;#ASMSTART
	v_pk_add_f16 v6, v6, v8;

	;;#ASMEND
	;; [unrolled: 5-line block ×3, first 2 shown]
	v_add_u32_e32 v1, 2, v1
	v_lshrrev_b32_e32 v7, 16, v6
	v_and_b32_e32 v6, 0xffff, v6
	;;#ASMSTART
	v_cvt_f32_f16 v6, v6;
	;;#ASMEND
	v_add_f32_e32 v3, v3, v10
	v_add_f32_e32 v10, v34, v35
	;;#ASMSTART
	v_cvt_f32_f16 v7, v7;
	;;#ASMEND
	v_cmp_le_i32_e32 vcc, s12, v1
	v_add_f32_e32 v6, v6, v7
	v_add_f32_e32 v4, v4, v10
	;; [unrolled: 1-line block ×3, first 2 shown]
	v_add_u32_e32 v2, 16, v2
	v_add_u32_e32 v19, 64, v19
	s_or_b64 s[6:7], vcc, s[6:7]
	v_lshl_add_u64 v[14:15], v[14:15], 0, 8
	s_andn2_b64 exec, exec, s[6:7]
	s_cbranch_execz .LBB71_49
.LBB71_41:                              ; =>This Inner Loop Header: Depth=1
	global_load_dword v10, v[14:15], off
	ds_read2_b64 v[6:9], v19 offset1:1
	ds_read2_b64 v[20:23], v19 offset0:2 offset1:3
	v_cmp_eq_u32_e32 vcc, s10, v1
	v_or_b32_e32 v25, 7, v2
	s_waitcnt lgkmcnt(1)
	;;#ASMSTART
	v_cvt_f16_f32 v26, v6;

	;;#ASMEND
	;;#ASMSTART
	v_cvt_f16_f32 v27, v7;

	;;#ASMEND
	;; [unrolled: 4-line block ×4, first 2 shown]
	s_waitcnt lgkmcnt(0)
	;;#ASMSTART
	v_cvt_f16_f32 v31, v20;

	;;#ASMEND
	;;#ASMSTART
	v_cvt_f16_f32 v32, v21;

	;;#ASMEND
	;; [unrolled: 4-line block ×4, first 2 shown]
	v_or_b32_e32 v21, 3, v2
	v_or_b32_e32 v20, 2, v2
	;; [unrolled: 1-line block ×5, first 2 shown]
	s_waitcnt vmcnt(0)
	v_mad_i64_i32 v[6:7], s[0:1], v10, s13, 0
	v_lshl_add_u64 v[16:17], v[6:7], 1, v[12:13]
	global_load_dwordx4 v[6:9], v[16:17], off
	v_add_u32_e32 v10, 1, v2
	s_and_saveexec_b64 s[8:9], vcc
	s_cbranch_execz .LBB71_43
; %bb.42:                               ;   in Loop: Header=BB71_41 Depth=1
	s_waitcnt vmcnt(0)
	v_lshrrev_b32_e32 v29, 16, v9
	v_cmp_gt_i32_e64 s[0:1], s28, v25
	s_nop 1
	v_cndmask_b32_e64 v29, 0, v29, s[0:1]
	v_cmp_gt_i32_e64 s[0:1], s27, v24
	s_nop 1
	v_cndmask_b32_e64 v9, 0, v9, s[0:1]
	v_perm_b32 v9, v29, v9, s22
	v_lshrrev_b32_e32 v29, 16, v8
	v_cmp_gt_i32_e64 s[0:1], s26, v23
	s_nop 1
	v_cndmask_b32_e64 v29, 0, v29, s[0:1]
	v_cmp_gt_i32_e64 s[0:1], s21, v22
	s_nop 1
	v_cndmask_b32_e64 v8, 0, v8, s[0:1]
	v_perm_b32 v8, v29, v8, s22
	;; [unrolled: 8-line block ×4, first 2 shown]
.LBB71_43:                              ;   in Loop: Header=BB71_41 Depth=1
	s_or_b64 exec, exec, s[8:9]
	v_and_b32_e32 v26, 0xffff, v26
	v_lshl_or_b32 v29, v27, 16, v26
	v_and_b32_e32 v26, 0xffff, v28
	v_lshl_or_b32 v28, v30, 16, v26
	;; [unrolled: 2-line block ×3, first 2 shown]
	v_and_b32_e32 v26, 0xffff, v33
	s_waitcnt vmcnt(0)
	;;#ASMSTART
	v_pk_mul_f16 v6, v29, v6;

	;;#ASMEND
	v_lshl_or_b32 v26, v34, 16, v26
	;;#ASMSTART
	v_pk_mul_f16 v7, v28, v7;

	;;#ASMEND
	;;#ASMSTART
	v_pk_mul_f16 v8, v27, v8;

	;;#ASMEND
	;; [unrolled: 4-line block ×3, first 2 shown]
	s_nop 0
	;;#ASMSTART
	v_pk_add_f16 v6, v6, v7;

	;;#ASMEND
	s_nop 0
	;;#ASMSTART
	v_pk_add_f16 v6, v6, v8;

	;;#ASMEND
	;; [unrolled: 5-line block ×3, first 2 shown]
	s_nop 0
	v_lshrrev_b32_e32 v7, 16, v6
	v_and_b32_e32 v6, 0xffff, v6
	;;#ASMSTART
	v_cvt_f32_f16 v30, v6;
	;;#ASMEND
	;;#ASMSTART
	v_cvt_f32_f16 v31, v7;
	;;#ASMEND
	global_load_dwordx4 v[6:9], v[16:17], off offset:1024
	s_and_saveexec_b64 s[8:9], vcc
	s_cbranch_execz .LBB71_45
; %bb.44:                               ;   in Loop: Header=BB71_41 Depth=1
	s_waitcnt vmcnt(0)
	v_lshrrev_b32_e32 v32, 16, v9
	v_cmp_gt_i32_e64 s[0:1], s28, v25
	s_nop 1
	v_cndmask_b32_e64 v32, 0, v32, s[0:1]
	v_cmp_gt_i32_e64 s[0:1], s27, v24
	s_nop 1
	v_cndmask_b32_e64 v9, 0, v9, s[0:1]
	v_perm_b32 v9, v32, v9, s22
	v_lshrrev_b32_e32 v32, 16, v8
	v_cmp_gt_i32_e64 s[0:1], s26, v23
	s_nop 1
	v_cndmask_b32_e64 v32, 0, v32, s[0:1]
	v_cmp_gt_i32_e64 s[0:1], s21, v22
	s_nop 1
	v_cndmask_b32_e64 v8, 0, v8, s[0:1]
	v_perm_b32 v8, v32, v8, s22
	;; [unrolled: 8-line block ×4, first 2 shown]
.LBB71_45:                              ;   in Loop: Header=BB71_41 Depth=1
	s_or_b64 exec, exec, s[8:9]
	s_waitcnt vmcnt(0)
	;;#ASMSTART
	v_pk_mul_f16 v6, v29, v6;

	;;#ASMEND
	;;#ASMSTART
	v_pk_mul_f16 v7, v28, v7;

	;;#ASMEND
	;; [unrolled: 4-line block ×4, first 2 shown]
	s_nop 0
	;;#ASMSTART
	v_pk_add_f16 v6, v6, v7;

	;;#ASMEND
	s_nop 0
	;;#ASMSTART
	v_pk_add_f16 v6, v6, v8;

	;;#ASMEND
	;; [unrolled: 5-line block ×3, first 2 shown]
	s_nop 0
	v_lshrrev_b32_e32 v7, 16, v6
	v_and_b32_e32 v6, 0xffff, v6
	;;#ASMSTART
	v_cvt_f32_f16 v32, v6;
	;;#ASMEND
	;;#ASMSTART
	v_cvt_f32_f16 v33, v7;
	;;#ASMEND
	global_load_dwordx4 v[6:9], v[16:17], off offset:2048
	s_and_saveexec_b64 s[8:9], vcc
	s_cbranch_execz .LBB71_47
; %bb.46:                               ;   in Loop: Header=BB71_41 Depth=1
	s_waitcnt vmcnt(0)
	v_lshrrev_b32_e32 v34, 16, v9
	v_cmp_gt_i32_e64 s[0:1], s28, v25
	s_nop 1
	v_cndmask_b32_e64 v34, 0, v34, s[0:1]
	v_cmp_gt_i32_e64 s[0:1], s27, v24
	s_nop 1
	v_cndmask_b32_e64 v9, 0, v9, s[0:1]
	v_perm_b32 v9, v34, v9, s22
	v_lshrrev_b32_e32 v34, 16, v8
	v_cmp_gt_i32_e64 s[0:1], s26, v23
	s_nop 1
	v_cndmask_b32_e64 v34, 0, v34, s[0:1]
	v_cmp_gt_i32_e64 s[0:1], s21, v22
	s_nop 1
	v_cndmask_b32_e64 v8, 0, v8, s[0:1]
	v_perm_b32 v8, v34, v8, s22
	;; [unrolled: 8-line block ×4, first 2 shown]
.LBB71_47:                              ;   in Loop: Header=BB71_41 Depth=1
	s_or_b64 exec, exec, s[8:9]
	s_waitcnt vmcnt(0)
	;;#ASMSTART
	v_pk_mul_f16 v6, v29, v6;

	;;#ASMEND
	;;#ASMSTART
	v_pk_mul_f16 v7, v28, v7;

	;;#ASMEND
	;; [unrolled: 4-line block ×4, first 2 shown]
	s_nop 0
	;;#ASMSTART
	v_pk_add_f16 v6, v6, v7;

	;;#ASMEND
	s_nop 0
	;;#ASMSTART
	v_pk_add_f16 v6, v6, v8;

	;;#ASMEND
	;; [unrolled: 5-line block ×3, first 2 shown]
	s_nop 0
	v_lshrrev_b32_e32 v7, 16, v6
	v_and_b32_e32 v6, 0xffff, v6
	;;#ASMSTART
	v_cvt_f32_f16 v34, v6;
	;;#ASMEND
	;;#ASMSTART
	v_cvt_f32_f16 v35, v7;
	;;#ASMEND
	global_load_dwordx4 v[6:9], v[16:17], off offset:3072
	s_and_saveexec_b64 s[0:1], vcc
	s_cbranch_execz .LBB71_40
; %bb.48:                               ;   in Loop: Header=BB71_41 Depth=1
	s_waitcnt vmcnt(0)
	v_lshrrev_b32_e32 v16, 16, v9
	v_cmp_gt_i32_e32 vcc, s28, v25
	s_nop 1
	v_cndmask_b32_e32 v16, 0, v16, vcc
	v_cmp_gt_i32_e32 vcc, s27, v24
	s_nop 1
	v_cndmask_b32_e32 v9, 0, v9, vcc
	v_perm_b32 v9, v16, v9, s22
	v_lshrrev_b32_e32 v16, 16, v8
	v_cmp_gt_i32_e32 vcc, s26, v23
	s_nop 1
	v_cndmask_b32_e32 v16, 0, v16, vcc
	v_cmp_gt_i32_e32 vcc, s21, v22
	s_nop 1
	v_cndmask_b32_e32 v8, 0, v8, vcc
	v_perm_b32 v8, v16, v8, s22
	v_lshrrev_b32_e32 v16, 16, v7
	v_cmp_gt_i32_e32 vcc, s15, v21
	s_nop 1
	v_cndmask_b32_e32 v16, 0, v16, vcc
	v_cmp_gt_i32_e32 vcc, s14, v20
	s_nop 1
	v_cndmask_b32_e32 v7, 0, v7, vcc
	v_perm_b32 v7, v16, v7, s22
	v_lshrrev_b32_e32 v16, 16, v6
	v_cmp_gt_i32_e32 vcc, s11, v10
	s_nop 1
	v_cndmask_b32_e32 v10, 0, v16, vcc
	v_cmp_gt_i32_e32 vcc, s33, v2
	s_nop 1
	v_cndmask_b32_e32 v6, 0, v6, vcc
	v_perm_b32 v6, v10, v6, s22
	s_branch .LBB71_40
.LBB71_49:
	s_or_b64 exec, exec, s[6:7]
	v_mov_b32_e32 v2, v11
.LBB71_50:
	s_or_b64 exec, exec, s[2:3]
	v_and_b32_e32 v1, 0x3c0, v0
	v_cmp_eq_u32_e32 vcc, 64, v1
	s_barrier
	s_and_saveexec_b64 s[0:1], vcc
	s_cbranch_execz .LBB71_52
; %bb.51:
	v_lshlrev_b32_e32 v1, 2, v0
	v_mov_b32_e32 v7, 0x210
	v_or_b32_e32 v6, 0x300, v1
	v_lshl_add_u32 v7, v18, 2, v7
	v_add_u32_e32 v6, 0x210, v6
	v_add_u32_e32 v1, 0x210, v1
	ds_write_b32 v7, v2
	ds_write_b32 v1, v3
	ds_write_b32 v7, v4 offset:512
	ds_write_b32 v6, v5
.LBB71_52:
	s_or_b64 exec, exec, s[0:1]
	v_cmp_gt_u32_e32 vcc, 64, v0
	s_waitcnt lgkmcnt(0)
	s_barrier
	s_and_saveexec_b64 s[0:1], vcc
	s_cbranch_execz .LBB71_54
; %bb.53:
	v_mov_b32_e32 v1, 0x210
	v_lshl_add_u32 v1, v0, 2, v1
	ds_read2st64_b32 v[6:7], v1 offset0:2 offset1:3
	ds_read2st64_b32 v[8:9], v1 offset1:1
	s_waitcnt lgkmcnt(1)
	v_pk_add_f32 v[4:5], v[4:5], v[6:7]
	s_waitcnt lgkmcnt(0)
	v_pk_add_f32 v[2:3], v[2:3], v[8:9]
.LBB71_54:
	s_or_b64 exec, exec, s[0:1]
	s_barrier
	s_and_saveexec_b64 s[0:1], vcc
	s_cbranch_execz .LBB71_56
; %bb.55:
	s_mul_i32 s0, s16, s17
	s_mul_i32 s0, s0, s5
	s_lshl_b32 s0, s0, 8
	s_ashr_i32 s1, s0, 31
	s_lshl_b64 s[0:1], s[0:1], 1
	s_add_u32 s2, s18, s0
	s_mul_i32 s0, s17, s20
	s_addc_u32 s3, s19, s1
	s_ashr_i32 s1, s0, 31
	s_lshl_b64 s[0:1], s[0:1], 1
	s_add_u32 s2, s2, s0
	s_addc_u32 s3, s3, s1
	s_lshl_b32 s0, s4, 8
	s_ashr_i32 s1, s0, 31
	s_lshl_b64 s[0:1], s[0:1], 1
	s_add_u32 s0, s2, s0
	s_addc_u32 s1, s3, s1
	v_lshlrev_b32_e32 v0, 1, v0
	;;#ASMSTART
	v_cvt_f16_f32 v1, v2;

	;;#ASMEND
	global_store_short v0, v1, s[0:1]
	;;#ASMSTART
	v_cvt_f16_f32 v1, v3;

	;;#ASMEND
	global_store_short v0, v1, s[0:1] offset:128
	;;#ASMSTART
	v_cvt_f16_f32 v1, v4;

	;;#ASMEND
	global_store_short v0, v1, s[0:1] offset:256
	;; [unrolled: 5-line block ×3, first 2 shown]
.LBB71_56:
	s_endpgm
	.section	.rodata,"a",@progbits
	.p2align	6, 0x0
	.amdhsa_kernel _ZN4vllm25paged_attention_v1_kernelIttLi256ELi8ELi128ELNS_18Fp8KVCacheDataTypeE0ELb0EEEvPT_PKS2_PKT0_S8_ifPKiSA_iPKfiiiSC_SC_iiiii
		.amdhsa_group_segment_fixed_size 528
		.amdhsa_private_segment_fixed_size 0
		.amdhsa_kernarg_size 384
		.amdhsa_user_sgpr_count 2
		.amdhsa_user_sgpr_dispatch_ptr 0
		.amdhsa_user_sgpr_queue_ptr 0
		.amdhsa_user_sgpr_kernarg_segment_ptr 1
		.amdhsa_user_sgpr_dispatch_id 0
		.amdhsa_user_sgpr_kernarg_preload_length 0
		.amdhsa_user_sgpr_kernarg_preload_offset 0
		.amdhsa_user_sgpr_private_segment_size 0
		.amdhsa_uses_dynamic_stack 0
		.amdhsa_enable_private_segment 0
		.amdhsa_system_sgpr_workgroup_id_x 1
		.amdhsa_system_sgpr_workgroup_id_y 1
		.amdhsa_system_sgpr_workgroup_id_z 1
		.amdhsa_system_sgpr_workgroup_info 0
		.amdhsa_system_vgpr_workitem_id 0
		.amdhsa_next_free_vgpr 60
		.amdhsa_next_free_sgpr 38
		.amdhsa_accum_offset 60
		.amdhsa_reserve_vcc 1
		.amdhsa_float_round_mode_32 0
		.amdhsa_float_round_mode_16_64 0
		.amdhsa_float_denorm_mode_32 3
		.amdhsa_float_denorm_mode_16_64 3
		.amdhsa_dx10_clamp 1
		.amdhsa_ieee_mode 1
		.amdhsa_fp16_overflow 0
		.amdhsa_tg_split 0
		.amdhsa_exception_fp_ieee_invalid_op 0
		.amdhsa_exception_fp_denorm_src 0
		.amdhsa_exception_fp_ieee_div_zero 0
		.amdhsa_exception_fp_ieee_overflow 0
		.amdhsa_exception_fp_ieee_underflow 0
		.amdhsa_exception_fp_ieee_inexact 0
		.amdhsa_exception_int_div_zero 0
	.end_amdhsa_kernel
	.section	.text._ZN4vllm25paged_attention_v1_kernelIttLi256ELi8ELi128ELNS_18Fp8KVCacheDataTypeE0ELb0EEEvPT_PKS2_PKT0_S8_ifPKiSA_iPKfiiiSC_SC_iiiii,"axG",@progbits,_ZN4vllm25paged_attention_v1_kernelIttLi256ELi8ELi128ELNS_18Fp8KVCacheDataTypeE0ELb0EEEvPT_PKS2_PKT0_S8_ifPKiSA_iPKfiiiSC_SC_iiiii,comdat
.Lfunc_end71:
	.size	_ZN4vllm25paged_attention_v1_kernelIttLi256ELi8ELi128ELNS_18Fp8KVCacheDataTypeE0ELb0EEEvPT_PKS2_PKT0_S8_ifPKiSA_iPKfiiiSC_SC_iiiii, .Lfunc_end71-_ZN4vllm25paged_attention_v1_kernelIttLi256ELi8ELi128ELNS_18Fp8KVCacheDataTypeE0ELb0EEEvPT_PKS2_PKT0_S8_ifPKiSA_iPKfiiiSC_SC_iiiii
                                        ; -- End function
	.section	.AMDGPU.csdata,"",@progbits
; Kernel info:
; codeLenInByte = 5928
; NumSgprs: 44
; NumVgprs: 60
; NumAgprs: 0
; TotalNumVgprs: 60
; ScratchSize: 0
; MemoryBound: 0
; FloatMode: 240
; IeeeMode: 1
; LDSByteSize: 528 bytes/workgroup (compile time only)
; SGPRBlocks: 5
; VGPRBlocks: 7
; NumSGPRsForWavesPerEU: 44
; NumVGPRsForWavesPerEU: 60
; AccumOffset: 60
; Occupancy: 8
; WaveLimiterHint : 1
; COMPUTE_PGM_RSRC2:SCRATCH_EN: 0
; COMPUTE_PGM_RSRC2:USER_SGPR: 2
; COMPUTE_PGM_RSRC2:TRAP_HANDLER: 0
; COMPUTE_PGM_RSRC2:TGID_X_EN: 1
; COMPUTE_PGM_RSRC2:TGID_Y_EN: 1
; COMPUTE_PGM_RSRC2:TGID_Z_EN: 1
; COMPUTE_PGM_RSRC2:TIDIG_COMP_CNT: 0
; COMPUTE_PGM_RSRC3_GFX90A:ACCUM_OFFSET: 14
; COMPUTE_PGM_RSRC3_GFX90A:TG_SPLIT: 0
	.section	.text._ZN4vllm25paged_attention_v1_kernelIttLi32ELi16ELi128ELNS_18Fp8KVCacheDataTypeE0ELb1EEEvPT_PKS2_PKT0_S8_ifPKiSA_iPKfiiiSC_SC_iiiii,"axG",@progbits,_ZN4vllm25paged_attention_v1_kernelIttLi32ELi16ELi128ELNS_18Fp8KVCacheDataTypeE0ELb1EEEvPT_PKS2_PKT0_S8_ifPKiSA_iPKfiiiSC_SC_iiiii,comdat
	.protected	_ZN4vllm25paged_attention_v1_kernelIttLi32ELi16ELi128ELNS_18Fp8KVCacheDataTypeE0ELb1EEEvPT_PKS2_PKT0_S8_ifPKiSA_iPKfiiiSC_SC_iiiii ; -- Begin function _ZN4vllm25paged_attention_v1_kernelIttLi32ELi16ELi128ELNS_18Fp8KVCacheDataTypeE0ELb1EEEvPT_PKS2_PKT0_S8_ifPKiSA_iPKfiiiSC_SC_iiiii
	.globl	_ZN4vllm25paged_attention_v1_kernelIttLi32ELi16ELi128ELNS_18Fp8KVCacheDataTypeE0ELb1EEEvPT_PKS2_PKT0_S8_ifPKiSA_iPKfiiiSC_SC_iiiii
	.p2align	8
	.type	_ZN4vllm25paged_attention_v1_kernelIttLi32ELi16ELi128ELNS_18Fp8KVCacheDataTypeE0ELb1EEEvPT_PKS2_PKT0_S8_ifPKiSA_iPKfiiiSC_SC_iiiii,@function
_ZN4vllm25paged_attention_v1_kernelIttLi32ELi16ELi128ELNS_18Fp8KVCacheDataTypeE0ELb1EEEvPT_PKS2_PKT0_S8_ifPKiSA_iPKfiiiSC_SC_iiiii: ; @_ZN4vllm25paged_attention_v1_kernelIttLi32ELi16ELi128ELNS_18Fp8KVCacheDataTypeE0ELb1EEEvPT_PKS2_PKT0_S8_ifPKiSA_iPKfiiiSC_SC_iiiii
; %bb.0:
	s_load_dword s5, s[0:1], 0x80
	s_load_dwordx2 s[6:7], s[0:1], 0x30
	s_load_dwordx2 s[30:31], s[0:1], 0x20
	s_mov_b32 s10, s3
	s_ashr_i32 s11, s3, 31
	s_lshl_b64 s[8:9], s[10:11], 2
	s_waitcnt lgkmcnt(0)
	s_add_u32 s6, s6, s8
	s_addc_u32 s7, s7, s9
	s_abs_i32 s3, s30
	v_cvt_f32_u32_e32 v1, s3
	s_sub_i32 s11, 0, s3
	s_abs_i32 s9, s5
	s_xor_b32 s8, s5, s30
	v_rcp_iflag_f32_e32 v1, v1
	s_ashr_i32 s8, s8, 31
	s_mov_b32 s42, 0
	v_mul_f32_e32 v1, 0x4f7ffffe, v1
	v_cvt_u32_f32_e32 v1, v1
	s_nop 0
	v_readfirstlane_b32 s12, v1
	s_mul_i32 s11, s11, s12
	s_mul_hi_u32 s11, s12, s11
	s_add_i32 s12, s12, s11
	s_mul_hi_u32 s11, s9, s12
	s_mul_i32 s12, s11, s3
	s_sub_i32 s9, s9, s12
	s_add_i32 s12, s11, 1
	s_sub_i32 s13, s9, s3
	s_cmp_ge_u32 s9, s3
	s_cselect_b32 s11, s12, s11
	s_cselect_b32 s9, s13, s9
	s_add_i32 s12, s11, 1
	s_cmp_ge_u32 s9, s3
	s_cselect_b32 s3, s12, s11
	s_xor_b32 s3, s3, s8
	s_sub_i32 s16, s3, s8
	s_abs_i32 s22, s16
	v_cvt_f32_u32_e32 v1, s22
	s_load_dwordx2 s[8:9], s[0:1], 0x40
	s_sub_i32 s3, 0, s22
	s_abs_i32 s23, s2
	v_rcp_iflag_f32_e32 v1, v1
	s_nop 0
	v_mul_f32_e32 v1, 0x4f7ffffe, v1
	v_cvt_u32_f32_e32 v1, v1
	s_nop 0
	v_readfirstlane_b32 s11, v1
	s_mul_i32 s3, s3, s11
	s_mul_hi_u32 s3, s11, s3
	s_add_i32 s11, s11, s3
	s_waitcnt lgkmcnt(0)
	s_cmp_eq_u64 s[8:9], 0
	s_mul_hi_u32 s24, s23, s11
	s_cbranch_scc1 .LBB72_2
; %bb.1:
	s_ashr_i32 s3, s2, 31
	s_lshl_b64 s[12:13], s[2:3], 2
	s_add_u32 s8, s8, s12
	s_addc_u32 s9, s9, s13
	s_load_dword s42, s[8:9], 0x0
.LBB72_2:
	s_load_dword s11, s[6:7], 0x0
	s_load_dwordx4 s[12:15], s[0:1], 0x48
	s_ashr_i32 s3, s2, 31
	s_ashr_i32 s9, s16, 31
	v_and_b32_e32 v4, 3, v0
	s_lshl_b32 s20, s2, 5
	v_cmp_gt_u32_e32 vcc, 16, v0
	s_and_saveexec_b64 s[6:7], vcc
	s_cbranch_execz .LBB72_4
; %bb.3:
	s_load_dwordx2 s[16:17], s[0:1], 0x8
	s_waitcnt lgkmcnt(0)
	s_mul_i32 s18, s10, s12
	s_ashr_i32 s19, s18, 31
	s_lshl_b64 s[18:19], s[18:19], 1
	v_lshlrev_b32_e32 v1, 2, v0
	s_add_u32 s8, s16, s18
	s_addc_u32 s12, s17, s19
	s_ashr_i32 s21, s20, 31
	s_lshl_b64 s[16:17], s[20:21], 1
	s_add_u32 s16, s8, s16
	s_addc_u32 s17, s12, s17
	global_load_dword v1, v1, s[16:17]
	v_and_b32_e32 v2, 0x3fc, v0
	v_lshl_add_u32 v2, v4, 4, v2
	s_waitcnt vmcnt(0)
	ds_write_b32 v2, v1
.LBB72_4:
	s_or_b64 exec, exec, s[6:7]
	s_mul_i32 s6, s24, s22
	s_sub_i32 s6, s23, s6
	s_xor_b32 s3, s3, s9
	s_add_i32 s7, s24, 1
	s_sub_i32 s9, s6, s22
	s_load_dwordx4 s[16:19], s[0:1], 0x68
	s_load_dword s8, s[0:1], 0x78
	s_cmp_ge_u32 s6, s22
	s_cselect_b32 s7, s7, s24
	s_cselect_b32 s6, s9, s6
	s_add_i32 s9, s7, 1
	s_cmp_ge_u32 s6, s22
	s_cselect_b32 s6, s9, s7
	s_waitcnt lgkmcnt(0)
	s_abs_i32 s21, s19
	v_cvt_f32_u32_e32 v1, s21
	s_xor_b32 s6, s6, s3
	s_sub_i32 s3, s6, s3
	s_sub_i32 s6, 0, s21
	v_rcp_iflag_f32_e32 v1, v1
	s_add_i32 s12, s11, -1
	s_abs_i32 s9, s12
	v_mul_f32_e32 v1, 0x4f7ffffe, v1
	v_cvt_u32_f32_e32 v1, v1
	s_barrier
	v_readfirstlane_b32 s33, v1
	s_mul_i32 s6, s6, s33
	s_mul_hi_u32 s6, s33, s6
	s_add_i32 s33, s33, s6
	s_cmp_lt_i32 s8, 0
	s_mul_hi_u32 s15, s9, s33
	s_cbranch_scc0 .LBB72_6
; %bb.5:
	s_mul_i32 s6, s16, s30
	s_add_i32 s6, s3, s6
	s_mul_i32 s6, s6, s8
	s_sub_i32 s40, 1, s6
	s_mov_b64 s[6:7], 0
	s_branch .LBB72_7
.LBB72_6:
	s_mov_b64 s[6:7], -1
                                        ; implicit-def: $sgpr40
.LBB72_7:
	s_load_dwordx2 s[24:25], s[0:1], 0x28
	s_ashr_i32 s26, s12, 31
	s_andn2_b64 vcc, exec, s[6:7]
	s_ashr_i32 s19, s19, 31
	s_cbranch_vccnz .LBB72_9
; %bb.8:
	s_mul_i32 s6, s5, s16
	s_add_i32 s2, s6, s2
	s_mul_i32 s2, s2, s8
	s_add_i32 s40, s2, 1
.LBB72_9:
	s_load_dword s2, s[0:1], 0x38
	s_load_dwordx2 s[22:23], s[0:1], 0x0
	s_load_dwordx2 s[28:29], s[0:1], 0x18
	s_load_dword s12, s[0:1], 0x88
	s_xor_b32 s6, s26, s19
	s_waitcnt lgkmcnt(0)
	s_mul_i32 s26, s10, s2
	s_mul_i32 s2, s15, s21
	s_sub_i32 s2, s9, s2
	s_ashr_i32 s27, s26, 31
	s_add_i32 s7, s15, 1
	s_sub_i32 s8, s2, s21
	s_cmp_ge_u32 s2, s21
	s_cselect_b32 s7, s7, s15
	s_cselect_b32 s2, s8, s2
	s_add_i32 s8, s7, 1
	s_cmp_ge_u32 s2, s21
	s_cselect_b32 s2, s8, s7
	s_xor_b32 s2, s2, s6
	s_sub_i32 s41, s2, s6
	s_add_i32 s2, s11, 15
	s_ashr_i32 s6, s2, 31
	s_lshr_b32 s6, s6, 28
	s_add_i32 s2, s2, s6
	s_ashr_i32 s16, s2, 4
	v_lshrrev_b32_e32 v1, 6, v0
	v_cmp_gt_i32_e64 s[6:7], s16, v1
	v_mov_b32_e32 v9, 0xff7fffff
	s_mul_i32 s14, s3, s14
	v_lshrrev_b32_e32 v10, 4, v0
	v_lshlrev_b32_e32 v12, 4, v1
	v_mbcnt_lo_u32_b32 v6, -1, 0
	s_and_saveexec_b64 s[34:35], s[6:7]
	s_cbranch_execz .LBB72_19
; %bb.10:
	s_load_dwordx2 s[0:1], s[0:1], 0x10
	s_ashr_i32 s15, s14, 31
	s_sub_i32 s30, s41, s17
	s_lshl_b64 s[2:3], s[14:15], 1
	v_bfe_u32 v7, v0, 2, 4
	s_waitcnt lgkmcnt(0)
	s_add_u32 s0, s0, s2
	s_addc_u32 s1, s1, s3
	s_abs_i32 s15, s18
	v_cvt_f32_u32_e32 v5, s15
	v_lshlrev_b32_e32 v14, 4, v7
	v_mov_b32_e32 v15, 0
	v_lshl_add_u64 v[2:3], s[0:1], 0, v[14:15]
	v_rcp_iflag_f32_e32 v5, v5
	v_lshlrev_b32_e32 v8, 2, v0
	s_sub_i32 s0, 0, s15
	v_cmp_eq_u32_e32 vcc, 0, v4
	v_mul_f32_e32 v5, 0x4f7ffffe, v5
	v_cvt_u32_f32_e32 v5, v5
	v_and_b32_e32 v14, 12, v8
	v_lshlrev_b32_e32 v8, 4, v4
	v_lshlrev_b32_e32 v9, 2, v7
	v_mul_lo_u32 v4, s0, v5
	s_lshl_b64 s[0:1], s[26:27], 2
	s_add_u32 s0, s24, s0
	v_lshl_add_u64 v[2:3], v[2:3], 0, v[14:15]
	v_mul_hi_u32 v4, v5, v4
	v_and_b32_e32 v14, 60, v10
	s_addc_u32 s1, s25, s1
	v_lshl_or_b32 v9, v1, 6, v9
	v_add_u32_e32 v11, v5, v4
	v_lshl_add_u64 v[4:5], s[0:1], 0, v[14:15]
	v_add_u32_e32 v14, 0x50, v9
	v_subrev_u32_e32 v9, s11, v7
	v_mbcnt_hi_u32_b32 v17, -1, v6
	v_add_u32_e32 v15, 1, v9
	v_and_b32_e32 v9, 64, v17
	s_mov_b32 s43, s13
	v_cmp_neq_f32_e64 s[2:3], s42, 0
	v_lshlrev_b32_e32 v13, 4, v1
	s_mov_b64 s[36:37], 0
	v_mov_b32_e32 v16, 0xff7fffff
	v_add_u32_e32 v18, 64, v9
	v_xor_b32_e32 v19, 2, v17
	v_xor_b32_e32 v20, 1, v17
	v_mov_b32_e32 v9, 0xff7fffff
	v_mov_b32_e32 v21, v1
	s_branch .LBB72_13
.LBB72_11:                              ;   in Loop: Header=BB72_13 Depth=1
	s_or_b64 exec, exec, s[38:39]
.LBB72_12:                              ;   in Loop: Header=BB72_13 Depth=1
	s_or_b64 exec, exec, s[8:9]
	v_add_u32_e32 v21, 2, v21
	v_cmp_le_i32_e64 s[0:1], s16, v21
	v_lshl_add_u64 v[4:5], v[4:5], 0, 8
	v_add_u32_e32 v13, 32, v13
	s_or_b64 s[36:37], s[0:1], s[36:37]
	v_add_u32_e32 v14, 0x80, v14
	s_andn2_b64 exec, exec, s[36:37]
	s_cbranch_execz .LBB72_18
.LBB72_13:                              ; =>This Inner Loop Header: Depth=1
	v_mul_hi_u32 v22, v13, s33
	s_waitcnt lgkmcnt(0)
	v_mul_lo_u32 v23, v22, s21
	v_sub_u32_e32 v23, v13, v23
	v_add_u32_e32 v24, 1, v22
	v_cmp_le_u32_e64 s[0:1], s21, v23
	s_nop 1
	v_cndmask_b32_e64 v22, v22, v24, s[0:1]
	v_subrev_u32_e32 v24, s21, v23
	v_cndmask_b32_e64 v23, v23, v24, s[0:1]
	v_add_u32_e32 v24, 1, v22
	v_cmp_le_u32_e64 s[0:1], s21, v23
	s_nop 1
	v_cndmask_b32_e64 v22, v22, v24, s[0:1]
	v_xor_b32_e32 v22, s19, v22
	v_subrev_u32_e32 v22, s19, v22
	v_add_u32_e32 v23, s40, v22
	v_sub_u32_e32 v25, 0, v23
	v_ashrrev_i32_e32 v24, 31, v23
	v_max_i32_e32 v23, v23, v25
	v_mul_hi_u32 v25, v23, v11
	v_mul_lo_u32 v25, v25, s15
	v_sub_u32_e32 v23, v23, v25
	v_subrev_u32_e32 v25, s15, v23
	v_cmp_le_u32_e64 s[0:1], s15, v23
	v_cmp_ge_i32_e64 s[8:9], s30, v22
	s_nop 0
	v_cndmask_b32_e64 v23, v23, v25, s[0:1]
	v_subrev_u32_e32 v25, s15, v23
	v_cmp_le_u32_e64 s[0:1], s15, v23
	s_nop 1
	v_cndmask_b32_e64 v23, v23, v25, s[0:1]
	v_xor_b32_e32 v23, v23, v24
	v_sub_u32_e32 v23, v23, v24
	v_cmp_ne_u32_e64 s[0:1], 0, v23
	s_and_b64 s[0:1], s[0:1], s[8:9]
	s_and_b64 s[38:39], vcc, s[0:1]
	s_and_saveexec_b64 s[8:9], s[38:39]
	s_cbranch_execz .LBB72_15
; %bb.14:                               ;   in Loop: Header=BB72_13 Depth=1
	ds_write_b32 v14, v16
.LBB72_15:                              ;   in Loop: Header=BB72_13 Depth=1
	s_or_b64 exec, exec, s[8:9]
	s_xor_b64 s[0:1], s[0:1], -1
	s_and_saveexec_b64 s[8:9], s[0:1]
	s_cbranch_execz .LBB72_12
; %bb.16:                               ;   in Loop: Header=BB72_13 Depth=1
	global_load_dword v22, v[4:5], off
	s_waitcnt vmcnt(0)
	v_mad_i64_i32 v[22:23], s[0:1], v22, s43, 0
	v_lshl_add_u64 v[22:23], v[22:23], 1, v[2:3]
	global_load_dword v24, v[22:23], off
	global_load_dword v25, v[22:23], off offset:256
	global_load_dword v26, v[22:23], off offset:512
	;; [unrolled: 1-line block ×3, first 2 shown]
	ds_read_b32 v22, v8
	v_cmp_lt_i32_e64 s[0:1], v19, v18
	s_waitcnt lgkmcnt(0)
	v_lshrrev_b32_e32 v28, 16, v22
	v_and_b32_e32 v22, 0xffff, v22
	;;#ASMSTART
	v_cvt_f32_f16 v22, v22;
	;;#ASMEND
	;;#ASMSTART
	v_cvt_f32_f16 v28, v28;
	;;#ASMEND
	v_cndmask_b32_e64 v23, v17, v19, s[0:1]
	v_lshlrev_b32_e32 v23, 2, v23
	v_cmp_lt_i32_e64 s[0:1], v20, v18
	s_waitcnt vmcnt(3)
	v_lshrrev_b32_e32 v29, 16, v24
	v_and_b32_e32 v24, 0xffff, v24
	;;#ASMSTART
	v_cvt_f32_f16 v24, v24;
	;;#ASMEND
	;;#ASMSTART
	v_cvt_f32_f16 v29, v29;
	;;#ASMEND
	ds_read_b32 v30, v8 offset:4
	s_waitcnt vmcnt(2)
	v_lshrrev_b32_e32 v31, 16, v25
	v_and_b32_e32 v25, 0xffff, v25
	s_waitcnt vmcnt(1)
	v_lshrrev_b32_e32 v32, 16, v26
	v_and_b32_e32 v26, 0xffff, v26
	s_waitcnt lgkmcnt(0)
	v_lshrrev_b32_e32 v33, 16, v30
	v_and_b32_e32 v30, 0xffff, v30
	;;#ASMSTART
	v_cvt_f32_f16 v30, v30;
	;;#ASMEND
	;;#ASMSTART
	v_cvt_f32_f16 v33, v33;
	;;#ASMEND
	;;#ASMSTART
	v_cvt_f32_f16 v25, v25;
	;;#ASMEND
	;;#ASMSTART
	v_cvt_f32_f16 v31, v31;
	;;#ASMEND
	ds_read_b32 v34, v8 offset:8
	v_mul_f32_e32 v25, v30, v25
	v_mul_f32_e32 v30, v33, v31
	v_fmac_f32_e32 v25, v22, v24
	v_fmac_f32_e32 v30, v28, v29
	s_waitcnt lgkmcnt(0)
	v_lshrrev_b32_e32 v31, 16, v34
	v_and_b32_e32 v33, 0xffff, v34
	;;#ASMSTART
	v_cvt_f32_f16 v33, v33;
	;;#ASMEND
	;;#ASMSTART
	v_cvt_f32_f16 v31, v31;
	;;#ASMEND
	;; [unrolled: 3-line block ×4, first 2 shown]
	ds_read_b32 v34, v8 offset:12
	s_waitcnt vmcnt(0)
	v_lshrrev_b32_e32 v35, 16, v27
	v_and_b32_e32 v27, 0xffff, v27
	v_fmac_f32_e32 v25, v33, v26
	v_fmac_f32_e32 v30, v31, v32
	s_waitcnt lgkmcnt(0)
	v_lshrrev_b32_e32 v22, 16, v34
	v_and_b32_e32 v24, 0xffff, v34
	;;#ASMSTART
	v_cvt_f32_f16 v24, v24;
	;;#ASMEND
	;;#ASMSTART
	v_cvt_f32_f16 v22, v22;
	;;#ASMEND
	;; [unrolled: 3-line block ×4, first 2 shown]
	s_nop 0
	v_fmac_f32_e32 v25, v24, v26
	v_fmac_f32_e32 v30, v22, v27
	v_add_f32_e32 v22, v25, v30
	ds_bpermute_b32 v23, v23, v22
	v_cndmask_b32_e64 v24, v17, v20, s[0:1]
	s_waitcnt lgkmcnt(0)
	v_add_f32_e32 v22, v22, v23
	v_lshlrev_b32_e32 v23, 2, v24
	ds_bpermute_b32 v23, v23, v22
	s_and_saveexec_b64 s[38:39], vcc
	s_cbranch_execz .LBB72_11
; %bb.17:                               ;   in Loop: Header=BB72_13 Depth=1
	v_add_u32_e32 v24, v15, v13
	v_cvt_f32_i32_e32 v24, v24
	s_waitcnt lgkmcnt(0)
	v_add_f32_e32 v22, v22, v23
	v_add_u32_e32 v25, v7, v13
	v_cmp_gt_i32_e64 s[0:1], s11, v25
	v_mul_f32_e32 v23, s42, v24
	v_cndmask_b32_e64 v23, 0, v23, s[2:3]
	v_fmac_f32_e32 v23, s31, v22
	v_cndmask_b32_e64 v22, 0, v23, s[0:1]
	ds_write_b32 v14, v22
	v_max_f32_e32 v22, v9, v9
	v_max_f32_e32 v22, v22, v23
	v_cndmask_b32_e64 v9, v9, v22, s[0:1]
	s_branch .LBB72_11
.LBB72_18:
	s_or_b64 exec, exec, s[36:37]
.LBB72_19:
	s_or_b64 exec, exec, s[34:35]
	v_mbcnt_hi_u32_b32 v2, -1, v6
	v_and_b32_e32 v3, 64, v2
	v_add_u32_e32 v3, 64, v3
	v_xor_b32_e32 v4, 32, v2
	v_cmp_lt_i32_e32 vcc, v4, v3
	v_xor_b32_e32 v7, 16, v2
	v_max_f32_e32 v6, v9, v9
	v_cndmask_b32_e32 v4, v2, v4, vcc
	v_lshlrev_b32_e32 v4, 2, v4
	ds_bpermute_b32 v5, v4, v9
	v_cmp_lt_i32_e32 vcc, v7, v3
	v_xor_b32_e32 v8, 8, v2
	v_xor_b32_e32 v9, 4, v2
	v_and_b32_e32 v13, 63, v0
	s_waitcnt lgkmcnt(0)
	v_max_f32_e32 v5, v5, v5
	v_max_f32_e32 v6, v6, v5
	v_cndmask_b32_e32 v5, v2, v7, vcc
	v_lshlrev_b32_e32 v5, 2, v5
	ds_bpermute_b32 v7, v5, v6
	v_cmp_lt_i32_e32 vcc, v8, v3
	s_waitcnt lgkmcnt(0)
	v_max_f32_e32 v7, v7, v7
	v_max_f32_e32 v6, v6, v7
	v_cndmask_b32_e32 v7, v2, v8, vcc
	v_lshlrev_b32_e32 v8, 2, v7
	ds_bpermute_b32 v7, v8, v6
	v_cmp_lt_i32_e32 vcc, v9, v3
	s_waitcnt lgkmcnt(0)
	v_max_f32_e32 v7, v7, v7
	v_max_f32_e32 v7, v6, v7
	v_cndmask_b32_e32 v6, v2, v9, vcc
	v_lshlrev_b32_e32 v9, 2, v6
	ds_bpermute_b32 v11, v9, v7
	v_cmp_eq_u32_e32 vcc, 0, v13
	v_lshlrev_b32_e32 v6, 2, v1
	s_and_saveexec_b64 s[0:1], vcc
	s_cbranch_execz .LBB72_21
; %bb.20:
	s_waitcnt lgkmcnt(0)
	v_max_f32_e32 v11, v11, v11
	v_max_f32_e32 v7, v7, v7
	;; [unrolled: 1-line block ×3, first 2 shown]
	ds_write_b32 v6, v7 offset:64
.LBB72_21:
	s_or_b64 exec, exec, s[0:1]
	v_cmp_gt_u32_e64 s[0:1], 2, v13
	s_waitcnt lgkmcnt(0)
	v_mov_b32_e32 v11, 0xff7fffff
	v_lshlrev_b32_e32 v7, 2, v13
	s_barrier
	s_and_saveexec_b64 s[2:3], s[0:1]
	s_cbranch_execz .LBB72_23
; %bb.22:
	ds_read_b32 v11, v7 offset:64
.LBB72_23:
	s_or_b64 exec, exec, s[2:3]
	v_xor_b32_e32 v14, 1, v2
	v_cmp_lt_i32_e64 s[2:3], v14, v3
	v_lshlrev_b32_e32 v16, 2, v2
	s_nop 0
	v_cndmask_b32_e64 v14, v2, v14, s[2:3]
	v_lshlrev_b32_e32 v14, 2, v14
	s_waitcnt lgkmcnt(0)
	ds_bpermute_b32 v15, v14, v11
	v_max_f32_e32 v11, v11, v11
	s_lshl_b32 s2, s16, 4
	s_min_i32 s15, s2, s11
	v_cmp_gt_i32_e64 s[2:3], s15, v0
	s_waitcnt lgkmcnt(0)
	v_max_f32_e32 v15, v15, v15
	v_max_f32_e32 v15, v11, v15
	v_and_b32_e32 v11, 0x100, v16
	ds_bpermute_b32 v16, v11, v15
	v_mov_b32_e32 v15, 0
	s_and_saveexec_b64 s[30:31], s[2:3]
	s_cbranch_execz .LBB72_27
; %bb.24:
	v_mov_b32_e32 v15, 0x50
	v_lshl_add_u32 v17, v0, 2, v15
	s_mov_b64 s[34:35], 0
	v_mov_b32_e32 v15, 0
	v_mov_b32_e32 v18, v0
.LBB72_25:                              ; =>This Inner Loop Header: Depth=1
	ds_read_b32 v19, v17
	v_add_u32_e32 v18, 0x80, v18
	v_cmp_le_i32_e64 s[8:9], s15, v18
	s_or_b64 s[34:35], s[8:9], s[34:35]
	s_waitcnt lgkmcnt(0)
	v_sub_f32_e32 v19, v19, v16
	v_mul_f32_e32 v19, 0x3fb8aa3b, v19
	v_exp_f32_e32 v19, v19
	ds_write_b32 v17, v19
	v_add_f32_e32 v15, v15, v19
	v_add_u32_e32 v17, 0x200, v17
	s_andn2_b64 exec, exec, s[34:35]
	s_cbranch_execnz .LBB72_25
; %bb.26:
	s_or_b64 exec, exec, s[34:35]
.LBB72_27:
	s_or_b64 exec, exec, s[30:31]
	ds_bpermute_b32 v4, v4, v15
	s_waitcnt lgkmcnt(0)
	v_add_f32_e32 v4, v15, v4
	ds_bpermute_b32 v5, v5, v4
	s_waitcnt lgkmcnt(0)
	v_add_f32_e32 v4, v4, v5
	ds_bpermute_b32 v5, v8, v4
	v_xor_b32_e32 v8, 2, v2
	v_cmp_lt_i32_e64 s[8:9], v8, v3
	s_waitcnt lgkmcnt(0)
	v_add_f32_e32 v4, v4, v5
	ds_bpermute_b32 v5, v9, v4
	v_cndmask_b32_e64 v2, v2, v8, s[8:9]
	v_lshlrev_b32_e32 v2, 2, v2
	s_waitcnt lgkmcnt(0)
	v_add_f32_e32 v3, v4, v5
	ds_bpermute_b32 v2, v2, v3
	s_waitcnt lgkmcnt(0)
	v_add_f32_e32 v2, v3, v2
	ds_bpermute_b32 v3, v14, v2
	s_waitcnt lgkmcnt(0)
	v_add_f32_e32 v2, v2, v3
	s_and_saveexec_b64 s[8:9], vcc
	s_cbranch_execz .LBB72_29
; %bb.28:
	ds_write_b32 v6, v2 offset:72
.LBB72_29:
	s_or_b64 exec, exec, s[8:9]
	s_waitcnt lgkmcnt(0)
	s_barrier
	s_and_saveexec_b64 s[8:9], s[0:1]
	s_cbranch_execz .LBB72_31
; %bb.30:
	ds_read_b32 v2, v7 offset:72
.LBB72_31:
	s_or_b64 exec, exec, s[8:9]
	s_waitcnt lgkmcnt(0)
	ds_bpermute_b32 v3, v14, v2
	s_waitcnt lgkmcnt(0)
	v_add_f32_e32 v2, v2, v3
	ds_bpermute_b32 v2, v11, v2
	s_and_saveexec_b64 s[0:1], s[2:3]
	s_cbranch_execz .LBB72_44
; %bb.32:
	s_waitcnt lgkmcnt(0)
	v_add_f32_e32 v2, 0x358637bd, v2
	v_div_scale_f32 v3, s[2:3], v2, v2, 1.0
	v_rcp_f32_e32 v4, v3
	v_div_scale_f32 v5, vcc, 1.0, v2, 1.0
	s_movk_i32 s2, 0x7f
	v_fma_f32 v6, -v3, v4, 1.0
	v_fmac_f32_e32 v4, v6, v4
	v_mul_f32_e32 v6, v5, v4
	v_fma_f32 v7, -v3, v6, v5
	v_fmac_f32_e32 v6, v7, v4
	v_fma_f32 v3, -v3, v6, v5
	v_div_fmas_f32 v3, v3, v4, v6
	v_xad_u32 v4, v0, -1, s15
	v_div_fixup_f32 v2, v3, v2, 1.0
	v_cmp_lt_u32_e32 vcc, s2, v4
	s_mov_b64 s[8:9], -1
	v_mov_b32_e32 v3, v0
	s_and_saveexec_b64 s[2:3], vcc
	s_cbranch_execz .LBB72_41
; %bb.33:
	v_lshrrev_b32_e32 v4, 7, v4
	v_add_u32_e32 v6, -1, v4
	v_lshrrev_b32_e32 v5, 1, v6
	v_mov_b32_e32 v3, v2
	v_add_u32_e32 v5, 1, v5
	v_cmp_lt_u32_e32 vcc, 13, v6
	v_mov_b32_e32 v8, 0
	s_and_saveexec_b64 s[8:9], vcc
	s_cbranch_execz .LBB72_37
; %bb.34:
	v_mov_b32_e32 v7, 0x50
	v_and_b32_e32 v6, -8, v5
	v_lshl_add_u32 v7, v0, 2, v7
	s_mov_b32 s34, 0
	s_mov_b64 s[30:31], 0
.LBB72_35:                              ; =>This Inner Loop Header: Depth=1
	ds_read2st64_b32 v[8:9], v7 offset1:2
	ds_read2st64_b32 v[16:17], v7 offset0:4 offset1:6
	ds_read2st64_b32 v[18:19], v7 offset0:8 offset1:10
	;; [unrolled: 1-line block ×3, first 2 shown]
	v_add_u32_e32 v6, -8, v6
	s_waitcnt lgkmcnt(3)
	v_pk_mul_f32 v[8:9], v[2:3], v[8:9]
	s_waitcnt lgkmcnt(2)
	v_pk_mul_f32 v[16:17], v[2:3], v[16:17]
	ds_write2st64_b32 v7, v8, v9 offset1:2
	ds_write2st64_b32 v7, v16, v17 offset0:4 offset1:6
	ds_read2st64_b32 v[16:17], v7 offset0:16 offset1:18
	s_waitcnt lgkmcnt(4)
	v_pk_mul_f32 v[8:9], v[2:3], v[18:19]
	ds_write2st64_b32 v7, v8, v9 offset0:8 offset1:10
	s_waitcnt lgkmcnt(4)
	v_pk_mul_f32 v[8:9], v[2:3], v[20:21]
	ds_write2st64_b32 v7, v8, v9 offset0:12 offset1:14
	ds_read2st64_b32 v[8:9], v7 offset0:20 offset1:22
	s_waitcnt lgkmcnt(3)
	v_pk_mul_f32 v[16:17], v[2:3], v[16:17]
	ds_read2st64_b32 v[18:19], v7 offset0:24 offset1:26
	ds_write2st64_b32 v7, v16, v17 offset0:16 offset1:18
	ds_read2st64_b32 v[16:17], v7 offset0:28 offset1:30
	s_waitcnt lgkmcnt(3)
	v_pk_mul_f32 v[8:9], v[2:3], v[8:9]
	ds_write2st64_b32 v7, v8, v9 offset0:20 offset1:22
	s_waitcnt lgkmcnt(3)
	v_pk_mul_f32 v[8:9], v[2:3], v[18:19]
	ds_write2st64_b32 v7, v8, v9 offset0:24 offset1:26
	s_waitcnt lgkmcnt(2)
	v_pk_mul_f32 v[8:9], v[2:3], v[16:17]
	s_add_i32 s34, s34, 16
	v_cmp_eq_u32_e32 vcc, 0, v6
	ds_write2st64_b32 v7, v8, v9 offset0:28 offset1:30
	v_add_u32_e32 v7, 0x2000, v7
	s_or_b64 s[30:31], vcc, s[30:31]
	v_mov_b32_e32 v8, s34
	s_andn2_b64 exec, exec, s[30:31]
	s_cbranch_execnz .LBB72_35
; %bb.36:
	s_or_b64 exec, exec, s[30:31]
.LBB72_37:
	s_or_b64 exec, exec, s[8:9]
	v_and_b32_e32 v5, 7, v5
	v_cmp_ne_u32_e32 vcc, 0, v5
	s_and_saveexec_b64 s[8:9], vcc
	s_cbranch_execz .LBB72_40
; %bb.38:
	v_lshlrev_b32_e32 v6, 9, v8
	v_lshlrev_b32_e32 v7, 2, v0
	s_movk_i32 s30, 0x50
	v_add3_u32 v6, v6, v7, s30
	s_mov_b64 s[30:31], 0
.LBB72_39:                              ; =>This Inner Loop Header: Depth=1
	ds_read2st64_b32 v[8:9], v6 offset1:2
	v_add_u32_e32 v5, -1, v5
	v_cmp_eq_u32_e32 vcc, 0, v5
	s_or_b64 s[30:31], vcc, s[30:31]
	s_waitcnt lgkmcnt(0)
	v_pk_mul_f32 v[8:9], v[2:3], v[8:9]
	ds_write2st64_b32 v6, v8, v9 offset1:2
	v_add_u32_e32 v6, 0x400, v6
	s_andn2_b64 exec, exec, s[30:31]
	s_cbranch_execnz .LBB72_39
.LBB72_40:
	s_or_b64 exec, exec, s[8:9]
	v_add_u32_e32 v4, 1, v4
	v_and_b32_e32 v5, 0x3fffffe, v4
	v_cmp_ne_u32_e32 vcc, v4, v5
	v_lshl_add_u32 v3, v5, 7, v0
	s_orn2_b64 s[8:9], vcc, exec
.LBB72_41:
	s_or_b64 exec, exec, s[2:3]
	s_and_b64 exec, exec, s[8:9]
	s_cbranch_execz .LBB72_44
; %bb.42:
	v_mov_b32_e32 v4, 0x50
	v_lshl_add_u32 v4, v3, 2, v4
	s_mov_b64 s[2:3], 0
.LBB72_43:                              ; =>This Inner Loop Header: Depth=1
	ds_read_b32 v5, v4
	v_add_u32_e32 v3, 0x80, v3
	v_cmp_le_i32_e32 vcc, s15, v3
	s_or_b64 s[2:3], vcc, s[2:3]
	s_waitcnt lgkmcnt(0)
	v_mul_f32_e32 v5, v2, v5
	ds_write_b32 v4, v5
	v_add_u32_e32 v4, 0x200, v4
	s_andn2_b64 exec, exec, s[2:3]
	s_cbranch_execnz .LBB72_43
.LBB72_44:
	s_or_b64 exec, exec, s[0:1]
	v_mov_b32_e32 v7, 0
	s_waitcnt lgkmcnt(0)
	s_barrier
	s_and_saveexec_b64 s[2:3], s[6:7]
	s_cbranch_execz .LBB72_52
; %bb.45:
	s_ashr_i32 s15, s14, 31
	s_sub_i32 s17, s41, s17
	s_lshl_b64 s[0:1], s[14:15], 1
	v_lshlrev_b32_e32 v2, 3, v0
	s_add_u32 s0, s28, s0
	v_and_b32_e32 v15, 8, v2
	s_addc_u32 s1, s29, s1
	v_lshlrev_b32_e32 v2, 4, v0
	s_abs_i32 s14, s18
	v_and_b32_e32 v6, 0x3f0, v2
	v_cvt_f32_u32_e32 v2, s14
	v_mov_b32_e32 v7, 0
	v_lshl_add_u64 v[8:9], s[0:1], 0, v[6:7]
	s_sub_i32 s0, 0, s14
	v_rcp_iflag_f32_e32 v2, v2
	s_add_i32 s15, s16, -1
	v_and_b32_e32 v6, 60, v10
	s_mov_b32 s18, s11
	v_mul_f32_e32 v2, 0x4f7ffffe, v2
	v_cvt_u32_f32_e32 v2, v2
	s_mov_b32 s28, s11
	s_mov_b32 s29, s11
	s_mov_b32 s30, s11
	v_mul_lo_u32 v3, s0, v2
	v_mul_hi_u32 v3, v2, v3
	v_add_u32_e32 v16, v2, v3
	s_lshl_b64 s[0:1], s[26:27], 2
	v_and_b32_e32 v2, 1, v0
	s_add_u32 s0, s24, s0
	v_lshlrev_b32_e32 v2, 5, v2
	s_addc_u32 s1, s25, s1
	v_lshl_or_b32 v2, v1, 6, v2
	s_mov_b32 s31, s11
	s_mov_b32 s34, s11
	;; [unrolled: 1-line block ×3, first 2 shown]
	v_lshl_add_u64 v[10:11], s[0:1], 0, v[6:7]
	v_add_u32_e32 v6, 0x50, v2
	s_mov_b64 s[6:7], 0
	s_mov_b32 s24, 0x5040100
	s_branch .LBB72_48
.LBB72_46:                              ;   in Loop: Header=BB72_48 Depth=1
	s_or_b64 exec, exec, s[8:9]
	v_and_b32_e32 v17, 0xffff, v17
	v_lshl_or_b32 v17, v18, 16, v17
	v_and_b32_e32 v18, 0xffff, v19
	v_lshl_or_b32 v18, v20, 16, v18
	v_and_b32_e32 v19, 0xffff, v21
	v_and_b32_e32 v20, 0xffff, v23
	s_waitcnt vmcnt(0)
	;;#ASMSTART
	v_pk_mul_f16 v2, v17, v2;

	;;#ASMEND
	v_lshl_or_b32 v19, v22, 16, v19
	v_lshl_or_b32 v20, v24, 16, v20
	;;#ASMSTART
	v_pk_mul_f16 v3, v18, v3;

	;;#ASMEND
	;;#ASMSTART
	v_pk_mul_f16 v4, v19, v4;

	;;#ASMEND
	;; [unrolled: 4-line block ×3, first 2 shown]
	s_nop 0
	;;#ASMSTART
	v_pk_add_f16 v2, v2, v3;

	;;#ASMEND
	s_nop 0
	;;#ASMSTART
	v_pk_add_f16 v2, v2, v4;

	;;#ASMEND
	s_nop 0
	;;#ASMSTART
	v_pk_add_f16 v2, v2, v5;

	;;#ASMEND
	s_nop 0
	v_lshrrev_b32_e32 v3, 16, v2
	v_and_b32_e32 v2, 0xffff, v2
	;;#ASMSTART
	v_cvt_f32_f16 v2, v2;
	;;#ASMEND
	;;#ASMSTART
	v_cvt_f32_f16 v3, v3;
	;;#ASMEND
	s_nop 0
	v_add_f32_e32 v2, v2, v3
	v_add_f32_e32 v7, v7, v2
.LBB72_47:                              ;   in Loop: Header=BB72_48 Depth=1
	s_or_b64 exec, exec, s[0:1]
	v_add_u32_e32 v1, 2, v1
	v_cmp_le_i32_e32 vcc, s16, v1
	v_lshl_add_u64 v[10:11], v[10:11], 0, 8
	v_add_u32_e32 v12, 32, v12
	s_or_b64 s[6:7], vcc, s[6:7]
	v_add_u32_e32 v6, 0x80, v6
	s_andn2_b64 exec, exec, s[6:7]
	s_cbranch_execz .LBB72_51
.LBB72_48:                              ; =>This Inner Loop Header: Depth=1
	v_mul_hi_u32 v2, v12, s33
	v_mul_lo_u32 v3, v2, s21
	v_sub_u32_e32 v3, v12, v3
	v_add_u32_e32 v4, 1, v2
	v_cmp_le_u32_e32 vcc, s21, v3
	s_nop 1
	v_cndmask_b32_e32 v2, v2, v4, vcc
	v_subrev_u32_e32 v4, s21, v3
	v_cndmask_b32_e32 v3, v3, v4, vcc
	v_add_u32_e32 v4, 1, v2
	v_cmp_le_u32_e32 vcc, s21, v3
	s_nop 1
	v_cndmask_b32_e32 v2, v2, v4, vcc
	v_xor_b32_e32 v2, s19, v2
	v_subrev_u32_e32 v2, s19, v2
	v_add_u32_e32 v3, s40, v2
	v_sub_u32_e32 v5, 0, v3
	v_ashrrev_i32_e32 v4, 31, v3
	v_max_i32_e32 v3, v3, v5
	v_mul_hi_u32 v5, v3, v16
	v_mul_lo_u32 v5, v5, s14
	v_sub_u32_e32 v3, v3, v5
	v_subrev_u32_e32 v5, s14, v3
	v_cmp_le_u32_e32 vcc, s14, v3
	v_cmp_lt_i32_e64 s[0:1], s17, v2
	s_nop 0
	v_cndmask_b32_e32 v3, v3, v5, vcc
	v_subrev_u32_e32 v5, s14, v3
	v_cmp_le_u32_e32 vcc, s14, v3
	s_nop 1
	v_cndmask_b32_e32 v3, v3, v5, vcc
	v_xor_b32_e32 v3, v3, v4
	v_sub_u32_e32 v3, v3, v4
	v_cmp_eq_u32_e32 vcc, 0, v3
	s_or_b64 s[8:9], vcc, s[0:1]
	s_and_saveexec_b64 s[0:1], s[8:9]
	s_cbranch_execz .LBB72_47
; %bb.49:                               ;   in Loop: Header=BB72_48 Depth=1
	global_load_dword v26, v[10:11], off
	ds_read2_b64 v[2:5], v6 offset1:1
	ds_read2_b64 v[22:25], v6 offset0:2 offset1:3
	v_cmp_eq_u32_e32 vcc, s15, v1
	s_waitcnt lgkmcnt(1)
	;;#ASMSTART
	v_cvt_f16_f32 v17, v2;

	;;#ASMEND
	;;#ASMSTART
	v_cvt_f16_f32 v18, v3;

	;;#ASMEND
	;; [unrolled: 4-line block ×4, first 2 shown]
	s_waitcnt lgkmcnt(0)
	;;#ASMSTART
	v_cvt_f16_f32 v21, v22;

	;;#ASMEND
	;;#ASMSTART
	v_cvt_f16_f32 v22, v23;

	;;#ASMEND
	;; [unrolled: 4-line block ×4, first 2 shown]
	s_waitcnt vmcnt(0)
	v_mad_i64_i32 v[2:3], s[8:9], v26, s13, 0
	v_lshl_add_u64 v[2:3], v[2:3], 1, v[8:9]
	global_load_dwordx4 v[2:5], v[2:3], off
	s_and_saveexec_b64 s[8:9], vcc
	s_cbranch_execz .LBB72_46
; %bb.50:                               ;   in Loop: Header=BB72_48 Depth=1
	v_add_u32_e32 v25, v15, v12
	v_or_b32_e32 v31, 7, v25
	v_or_b32_e32 v32, 6, v25
	s_waitcnt vmcnt(0)
	v_lshrrev_b32_e32 v33, 16, v5
	v_cmp_gt_i32_e32 vcc, s35, v31
	v_or_b32_e32 v29, 5, v25
	v_or_b32_e32 v30, 4, v25
	v_cndmask_b32_e32 v31, 0, v33, vcc
	v_cmp_gt_i32_e32 vcc, s34, v32
	v_or_b32_e32 v27, 3, v25
	v_or_b32_e32 v28, 2, v25
	v_cndmask_b32_e32 v5, 0, v5, vcc
	v_perm_b32 v5, v31, v5, s24
	v_lshrrev_b32_e32 v31, 16, v4
	v_cmp_gt_i32_e32 vcc, s31, v29
	v_add_u32_e32 v26, 1, v25
	s_nop 0
	v_cndmask_b32_e32 v29, 0, v31, vcc
	v_cmp_gt_i32_e32 vcc, s30, v30
	s_nop 1
	v_cndmask_b32_e32 v4, 0, v4, vcc
	v_perm_b32 v4, v29, v4, s24
	v_lshrrev_b32_e32 v29, 16, v3
	v_cmp_gt_i32_e32 vcc, s29, v27
	s_nop 1
	v_cndmask_b32_e32 v27, 0, v29, vcc
	v_cmp_gt_i32_e32 vcc, s28, v28
	s_nop 1
	v_cndmask_b32_e32 v3, 0, v3, vcc
	v_perm_b32 v3, v27, v3, s24
	v_lshrrev_b32_e32 v27, 16, v2
	v_cmp_gt_i32_e32 vcc, s18, v26
	s_nop 1
	v_cndmask_b32_e32 v26, 0, v27, vcc
	v_cmp_gt_i32_e32 vcc, s11, v25
	s_nop 1
	v_cndmask_b32_e32 v2, 0, v2, vcc
	v_perm_b32 v2, v26, v2, s24
	s_branch .LBB72_46
.LBB72_51:
	s_or_b64 exec, exec, s[6:7]
.LBB72_52:
	s_or_b64 exec, exec, s[2:3]
	ds_bpermute_b32 v1, v14, v7
	v_and_b32_e32 v2, 0x3c1, v0
	v_cmp_eq_u32_e32 vcc, 64, v2
	s_waitcnt lgkmcnt(0)
	s_barrier
	v_add_f32_e32 v1, v7, v1
	s_and_saveexec_b64 s[0:1], vcc
	s_cbranch_execz .LBB72_54
; %bb.53:
	v_mov_b32_e32 v3, 0x50
	v_lshl_add_u32 v3, v13, 1, v3
	ds_write_b32 v3, v1
.LBB72_54:
	s_or_b64 exec, exec, s[0:1]
	v_cmp_eq_u32_e32 vcc, 0, v2
	s_waitcnt lgkmcnt(0)
	s_barrier
	s_and_saveexec_b64 s[0:1], vcc
	s_cbranch_execz .LBB72_56
; %bb.55:
	v_mov_b32_e32 v2, 0x50
	v_lshl_add_u32 v2, v0, 1, v2
	ds_read_b32 v2, v2
	s_waitcnt lgkmcnt(0)
	v_add_f32_e32 v1, v1, v2
.LBB72_56:
	s_or_b64 exec, exec, s[0:1]
	s_barrier
	s_and_saveexec_b64 s[0:1], vcc
	s_cbranch_execz .LBB72_58
; %bb.57:
	s_mul_i32 s0, s10, s12
	s_mul_i32 s0, s0, s5
	s_lshl_b32 s0, s0, 5
	s_ashr_i32 s1, s0, 31
	s_lshl_b64 s[0:1], s[0:1], 1
	s_add_u32 s2, s22, s0
	s_mul_i32 s0, s12, s20
	s_addc_u32 s3, s23, s1
	s_ashr_i32 s1, s0, 31
	s_lshl_b64 s[0:1], s[0:1], 1
	s_add_u32 s2, s2, s0
	s_addc_u32 s3, s3, s1
	s_lshl_b32 s0, s4, 5
	s_ashr_i32 s1, s0, 31
	s_lshl_b64 s[0:1], s[0:1], 1
	s_add_u32 s0, s2, s0
	s_addc_u32 s1, s3, s1
	;;#ASMSTART
	v_cvt_f16_f32 v1, v1;

	;;#ASMEND
	global_store_short v0, v1, s[0:1]
.LBB72_58:
	s_endpgm
	.section	.rodata,"a",@progbits
	.p2align	6, 0x0
	.amdhsa_kernel _ZN4vllm25paged_attention_v1_kernelIttLi32ELi16ELi128ELNS_18Fp8KVCacheDataTypeE0ELb1EEEvPT_PKS2_PKT0_S8_ifPKiSA_iPKfiiiSC_SC_iiiii
		.amdhsa_group_segment_fixed_size 80
		.amdhsa_private_segment_fixed_size 0
		.amdhsa_kernarg_size 384
		.amdhsa_user_sgpr_count 2
		.amdhsa_user_sgpr_dispatch_ptr 0
		.amdhsa_user_sgpr_queue_ptr 0
		.amdhsa_user_sgpr_kernarg_segment_ptr 1
		.amdhsa_user_sgpr_dispatch_id 0
		.amdhsa_user_sgpr_kernarg_preload_length 0
		.amdhsa_user_sgpr_kernarg_preload_offset 0
		.amdhsa_user_sgpr_private_segment_size 0
		.amdhsa_uses_dynamic_stack 0
		.amdhsa_enable_private_segment 0
		.amdhsa_system_sgpr_workgroup_id_x 1
		.amdhsa_system_sgpr_workgroup_id_y 1
		.amdhsa_system_sgpr_workgroup_id_z 1
		.amdhsa_system_sgpr_workgroup_info 0
		.amdhsa_system_vgpr_workitem_id 0
		.amdhsa_next_free_vgpr 36
		.amdhsa_next_free_sgpr 44
		.amdhsa_accum_offset 36
		.amdhsa_reserve_vcc 1
		.amdhsa_float_round_mode_32 0
		.amdhsa_float_round_mode_16_64 0
		.amdhsa_float_denorm_mode_32 3
		.amdhsa_float_denorm_mode_16_64 3
		.amdhsa_dx10_clamp 1
		.amdhsa_ieee_mode 1
		.amdhsa_fp16_overflow 0
		.amdhsa_tg_split 0
		.amdhsa_exception_fp_ieee_invalid_op 0
		.amdhsa_exception_fp_denorm_src 0
		.amdhsa_exception_fp_ieee_div_zero 0
		.amdhsa_exception_fp_ieee_overflow 0
		.amdhsa_exception_fp_ieee_underflow 0
		.amdhsa_exception_fp_ieee_inexact 0
		.amdhsa_exception_int_div_zero 0
	.end_amdhsa_kernel
	.section	.text._ZN4vllm25paged_attention_v1_kernelIttLi32ELi16ELi128ELNS_18Fp8KVCacheDataTypeE0ELb1EEEvPT_PKS2_PKT0_S8_ifPKiSA_iPKfiiiSC_SC_iiiii,"axG",@progbits,_ZN4vllm25paged_attention_v1_kernelIttLi32ELi16ELi128ELNS_18Fp8KVCacheDataTypeE0ELb1EEEvPT_PKS2_PKT0_S8_ifPKiSA_iPKfiiiSC_SC_iiiii,comdat
.Lfunc_end72:
	.size	_ZN4vllm25paged_attention_v1_kernelIttLi32ELi16ELi128ELNS_18Fp8KVCacheDataTypeE0ELb1EEEvPT_PKS2_PKT0_S8_ifPKiSA_iPKfiiiSC_SC_iiiii, .Lfunc_end72-_ZN4vllm25paged_attention_v1_kernelIttLi32ELi16ELi128ELNS_18Fp8KVCacheDataTypeE0ELb1EEEvPT_PKS2_PKT0_S8_ifPKiSA_iPKfiiiSC_SC_iiiii
                                        ; -- End function
	.section	.AMDGPU.csdata,"",@progbits
; Kernel info:
; codeLenInByte = 4356
; NumSgprs: 50
; NumVgprs: 36
; NumAgprs: 0
; TotalNumVgprs: 36
; ScratchSize: 0
; MemoryBound: 0
; FloatMode: 240
; IeeeMode: 1
; LDSByteSize: 80 bytes/workgroup (compile time only)
; SGPRBlocks: 6
; VGPRBlocks: 4
; NumSGPRsForWavesPerEU: 50
; NumVGPRsForWavesPerEU: 36
; AccumOffset: 36
; Occupancy: 8
; WaveLimiterHint : 1
; COMPUTE_PGM_RSRC2:SCRATCH_EN: 0
; COMPUTE_PGM_RSRC2:USER_SGPR: 2
; COMPUTE_PGM_RSRC2:TRAP_HANDLER: 0
; COMPUTE_PGM_RSRC2:TGID_X_EN: 1
; COMPUTE_PGM_RSRC2:TGID_Y_EN: 1
; COMPUTE_PGM_RSRC2:TGID_Z_EN: 1
; COMPUTE_PGM_RSRC2:TIDIG_COMP_CNT: 0
; COMPUTE_PGM_RSRC3_GFX90A:ACCUM_OFFSET: 8
; COMPUTE_PGM_RSRC3_GFX90A:TG_SPLIT: 0
	.section	.text._ZN4vllm25paged_attention_v1_kernelIttLi64ELi16ELi128ELNS_18Fp8KVCacheDataTypeE0ELb1EEEvPT_PKS2_PKT0_S8_ifPKiSA_iPKfiiiSC_SC_iiiii,"axG",@progbits,_ZN4vllm25paged_attention_v1_kernelIttLi64ELi16ELi128ELNS_18Fp8KVCacheDataTypeE0ELb1EEEvPT_PKS2_PKT0_S8_ifPKiSA_iPKfiiiSC_SC_iiiii,comdat
	.protected	_ZN4vllm25paged_attention_v1_kernelIttLi64ELi16ELi128ELNS_18Fp8KVCacheDataTypeE0ELb1EEEvPT_PKS2_PKT0_S8_ifPKiSA_iPKfiiiSC_SC_iiiii ; -- Begin function _ZN4vllm25paged_attention_v1_kernelIttLi64ELi16ELi128ELNS_18Fp8KVCacheDataTypeE0ELb1EEEvPT_PKS2_PKT0_S8_ifPKiSA_iPKfiiiSC_SC_iiiii
	.globl	_ZN4vllm25paged_attention_v1_kernelIttLi64ELi16ELi128ELNS_18Fp8KVCacheDataTypeE0ELb1EEEvPT_PKS2_PKT0_S8_ifPKiSA_iPKfiiiSC_SC_iiiii
	.p2align	8
	.type	_ZN4vllm25paged_attention_v1_kernelIttLi64ELi16ELi128ELNS_18Fp8KVCacheDataTypeE0ELb1EEEvPT_PKS2_PKT0_S8_ifPKiSA_iPKfiiiSC_SC_iiiii,@function
_ZN4vllm25paged_attention_v1_kernelIttLi64ELi16ELi128ELNS_18Fp8KVCacheDataTypeE0ELb1EEEvPT_PKS2_PKT0_S8_ifPKiSA_iPKfiiiSC_SC_iiiii: ; @_ZN4vllm25paged_attention_v1_kernelIttLi64ELi16ELi128ELNS_18Fp8KVCacheDataTypeE0ELb1EEEvPT_PKS2_PKT0_S8_ifPKiSA_iPKfiiiSC_SC_iiiii
; %bb.0:
	s_load_dword s5, s[0:1], 0x80
	s_load_dwordx2 s[6:7], s[0:1], 0x30
	s_load_dwordx2 s[30:31], s[0:1], 0x20
	s_mov_b32 s10, s3
	s_ashr_i32 s11, s3, 31
	s_lshl_b64 s[8:9], s[10:11], 2
	s_waitcnt lgkmcnt(0)
	s_add_u32 s6, s6, s8
	s_addc_u32 s7, s7, s9
	s_abs_i32 s3, s30
	v_cvt_f32_u32_e32 v1, s3
	s_sub_i32 s11, 0, s3
	s_abs_i32 s9, s5
	s_xor_b32 s8, s5, s30
	v_rcp_iflag_f32_e32 v1, v1
	s_ashr_i32 s8, s8, 31
	s_mov_b32 s42, 0
	v_mul_f32_e32 v1, 0x4f7ffffe, v1
	v_cvt_u32_f32_e32 v1, v1
	s_nop 0
	v_readfirstlane_b32 s12, v1
	s_mul_i32 s11, s11, s12
	s_mul_hi_u32 s11, s12, s11
	s_add_i32 s12, s12, s11
	s_mul_hi_u32 s11, s9, s12
	s_mul_i32 s12, s11, s3
	s_sub_i32 s9, s9, s12
	s_add_i32 s12, s11, 1
	s_sub_i32 s13, s9, s3
	s_cmp_ge_u32 s9, s3
	s_cselect_b32 s11, s12, s11
	s_cselect_b32 s9, s13, s9
	s_add_i32 s12, s11, 1
	s_cmp_ge_u32 s9, s3
	s_cselect_b32 s3, s12, s11
	s_xor_b32 s3, s3, s8
	s_sub_i32 s16, s3, s8
	s_abs_i32 s22, s16
	v_cvt_f32_u32_e32 v1, s22
	s_load_dwordx2 s[8:9], s[0:1], 0x40
	s_sub_i32 s3, 0, s22
	s_abs_i32 s23, s2
	v_rcp_iflag_f32_e32 v1, v1
	s_nop 0
	v_mul_f32_e32 v1, 0x4f7ffffe, v1
	v_cvt_u32_f32_e32 v1, v1
	s_nop 0
	v_readfirstlane_b32 s11, v1
	s_mul_i32 s3, s3, s11
	s_mul_hi_u32 s3, s11, s3
	s_add_i32 s11, s11, s3
	s_waitcnt lgkmcnt(0)
	s_cmp_eq_u64 s[8:9], 0
	s_mul_hi_u32 s24, s23, s11
	s_cbranch_scc1 .LBB73_2
; %bb.1:
	s_ashr_i32 s3, s2, 31
	s_lshl_b64 s[12:13], s[2:3], 2
	s_add_u32 s8, s8, s12
	s_addc_u32 s9, s9, s13
	s_load_dword s42, s[8:9], 0x0
.LBB73_2:
	s_load_dword s11, s[6:7], 0x0
	s_load_dwordx4 s[12:15], s[0:1], 0x48
	s_ashr_i32 s3, s2, 31
	s_ashr_i32 s9, s16, 31
	v_and_b32_e32 v4, 3, v0
	s_lshl_b32 s20, s2, 6
	v_cmp_gt_u32_e32 vcc, 32, v0
	s_and_saveexec_b64 s[6:7], vcc
	s_cbranch_execz .LBB73_4
; %bb.3:
	s_load_dwordx2 s[16:17], s[0:1], 0x8
	s_waitcnt lgkmcnt(0)
	s_mul_i32 s18, s10, s12
	s_ashr_i32 s19, s18, 31
	s_lshl_b64 s[18:19], s[18:19], 1
	v_lshlrev_b32_e32 v1, 2, v0
	s_add_u32 s8, s16, s18
	s_addc_u32 s12, s17, s19
	s_ashr_i32 s21, s20, 31
	s_lshl_b64 s[16:17], s[20:21], 1
	s_add_u32 s16, s8, s16
	s_addc_u32 s17, s12, s17
	global_load_dword v1, v1, s[16:17]
	v_and_b32_e32 v2, 0x3fc, v0
	v_lshl_add_u32 v2, v4, 5, v2
	s_waitcnt vmcnt(0)
	ds_write_b32 v2, v1
.LBB73_4:
	s_or_b64 exec, exec, s[6:7]
	s_mul_i32 s6, s24, s22
	s_sub_i32 s6, s23, s6
	s_xor_b32 s3, s3, s9
	s_add_i32 s7, s24, 1
	s_sub_i32 s9, s6, s22
	s_load_dwordx4 s[16:19], s[0:1], 0x68
	s_load_dword s8, s[0:1], 0x78
	s_cmp_ge_u32 s6, s22
	s_cselect_b32 s7, s7, s24
	s_cselect_b32 s6, s9, s6
	s_add_i32 s9, s7, 1
	s_cmp_ge_u32 s6, s22
	s_cselect_b32 s6, s9, s7
	s_waitcnt lgkmcnt(0)
	s_abs_i32 s21, s19
	v_cvt_f32_u32_e32 v1, s21
	s_xor_b32 s6, s6, s3
	s_sub_i32 s3, s6, s3
	s_sub_i32 s6, 0, s21
	v_rcp_iflag_f32_e32 v1, v1
	s_add_i32 s15, s11, -1
	s_abs_i32 s9, s15
	v_mul_f32_e32 v1, 0x4f7ffffe, v1
	v_cvt_u32_f32_e32 v1, v1
	s_barrier
	v_readfirstlane_b32 s33, v1
	s_mul_i32 s6, s6, s33
	s_mul_hi_u32 s6, s33, s6
	s_add_i32 s33, s33, s6
	s_cmp_lt_i32 s8, 0
	s_mul_hi_u32 s12, s9, s33
	s_cbranch_scc0 .LBB73_6
; %bb.5:
	s_mul_i32 s6, s16, s30
	s_add_i32 s6, s3, s6
	s_mul_i32 s6, s6, s8
	s_sub_i32 s40, 1, s6
	s_mov_b64 s[6:7], 0
	s_branch .LBB73_7
.LBB73_6:
	s_mov_b64 s[6:7], -1
                                        ; implicit-def: $sgpr40
.LBB73_7:
	s_load_dwordx2 s[24:25], s[0:1], 0x28
	s_ashr_i32 s15, s15, 31
	s_andn2_b64 vcc, exec, s[6:7]
	s_ashr_i32 s19, s19, 31
	s_cbranch_vccnz .LBB73_9
; %bb.8:
	s_mul_i32 s6, s5, s16
	s_add_i32 s2, s6, s2
	s_mul_i32 s2, s2, s8
	s_add_i32 s40, s2, 1
.LBB73_9:
	s_load_dword s2, s[0:1], 0x38
	s_load_dwordx2 s[22:23], s[0:1], 0x0
	s_load_dwordx2 s[28:29], s[0:1], 0x18
	s_load_dword s16, s[0:1], 0x88
	s_xor_b32 s6, s15, s19
	s_waitcnt lgkmcnt(0)
	s_mul_i32 s26, s10, s2
	s_mul_i32 s2, s12, s21
	s_sub_i32 s2, s9, s2
	s_ashr_i32 s27, s26, 31
	s_add_i32 s7, s12, 1
	s_sub_i32 s8, s2, s21
	s_cmp_ge_u32 s2, s21
	s_cselect_b32 s7, s7, s12
	s_cselect_b32 s2, s8, s2
	s_add_i32 s8, s7, 1
	s_cmp_ge_u32 s2, s21
	s_cselect_b32 s2, s8, s7
	s_xor_b32 s2, s2, s6
	s_sub_i32 s12, s2, s6
	s_add_i32 s2, s11, 15
	s_ashr_i32 s6, s2, 31
	s_lshr_b32 s6, s6, 28
	s_add_i32 s2, s2, s6
	s_ashr_i32 s41, s2, 4
	v_lshrrev_b32_e32 v1, 6, v0
	v_cmp_gt_i32_e64 s[6:7], s41, v1
	v_mov_b32_e32 v9, 0xff7fffff
	s_mul_i32 s14, s3, s14
	v_lshrrev_b32_e32 v10, 4, v0
	v_lshlrev_b32_e32 v14, 4, v1
	v_mbcnt_lo_u32_b32 v6, -1, 0
	s_and_saveexec_b64 s[34:35], s[6:7]
	s_cbranch_execz .LBB73_19
; %bb.10:
	s_load_dwordx2 s[0:1], s[0:1], 0x10
	s_ashr_i32 s15, s14, 31
	s_sub_i32 s30, s12, s17
	s_lshl_b64 s[2:3], s[14:15], 1
	v_bfe_u32 v7, v0, 2, 4
	s_waitcnt lgkmcnt(0)
	s_add_u32 s0, s0, s2
	s_addc_u32 s1, s1, s3
	s_abs_i32 s15, s18
	v_cvt_f32_u32_e32 v5, s15
	v_lshlrev_b32_e32 v12, 4, v7
	v_mov_b32_e32 v13, 0
	v_lshl_add_u64 v[2:3], s[0:1], 0, v[12:13]
	v_rcp_iflag_f32_e32 v5, v5
	v_lshlrev_b32_e32 v8, 2, v0
	s_sub_i32 s0, 0, s15
	v_cmp_eq_u32_e32 vcc, 0, v4
	v_mul_f32_e32 v5, 0x4f7ffffe, v5
	v_cvt_u32_f32_e32 v5, v5
	v_and_b32_e32 v12, 12, v8
	v_lshlrev_b32_e32 v8, 5, v4
	v_lshlrev_b32_e32 v9, 2, v7
	v_mul_lo_u32 v4, s0, v5
	s_lshl_b64 s[0:1], s[26:27], 2
	s_add_u32 s0, s24, s0
	v_lshl_add_u64 v[2:3], v[2:3], 0, v[12:13]
	v_mul_hi_u32 v4, v5, v4
	v_and_b32_e32 v12, 60, v10
	s_addc_u32 s1, s25, s1
	v_lshl_or_b32 v9, v1, 6, v9
	v_add_u32_e32 v11, v5, v4
	v_lshl_add_u64 v[4:5], s[0:1], 0, v[12:13]
	v_add_u32_e32 v13, 0x90, v9
	v_subrev_u32_e32 v9, s11, v7
	v_mbcnt_hi_u32_b32 v17, -1, v6
	v_add_u32_e32 v15, 1, v9
	v_and_b32_e32 v9, 64, v17
	s_mov_b32 s43, s13
	v_cmp_neq_f32_e64 s[2:3], s42, 0
	v_lshlrev_b32_e32 v12, 4, v1
	s_mov_b64 s[36:37], 0
	v_mov_b32_e32 v16, 0xff7fffff
	v_add_u32_e32 v18, 64, v9
	v_xor_b32_e32 v19, 2, v17
	v_xor_b32_e32 v20, 1, v17
	v_mov_b32_e32 v9, 0xff7fffff
	v_mov_b32_e32 v21, v1
	s_branch .LBB73_13
.LBB73_11:                              ;   in Loop: Header=BB73_13 Depth=1
	s_or_b64 exec, exec, s[38:39]
.LBB73_12:                              ;   in Loop: Header=BB73_13 Depth=1
	s_or_b64 exec, exec, s[8:9]
	v_add_u32_e32 v21, 2, v21
	v_cmp_le_i32_e64 s[0:1], s41, v21
	v_lshl_add_u64 v[4:5], v[4:5], 0, 8
	v_add_u32_e32 v12, 32, v12
	s_or_b64 s[36:37], s[0:1], s[36:37]
	v_add_u32_e32 v13, 0x80, v13
	s_andn2_b64 exec, exec, s[36:37]
	s_cbranch_execz .LBB73_18
.LBB73_13:                              ; =>This Inner Loop Header: Depth=1
	v_mul_hi_u32 v22, v12, s33
	s_waitcnt lgkmcnt(0)
	v_mul_lo_u32 v23, v22, s21
	v_sub_u32_e32 v23, v12, v23
	v_add_u32_e32 v24, 1, v22
	v_cmp_le_u32_e64 s[0:1], s21, v23
	s_nop 1
	v_cndmask_b32_e64 v22, v22, v24, s[0:1]
	v_subrev_u32_e32 v24, s21, v23
	v_cndmask_b32_e64 v23, v23, v24, s[0:1]
	v_add_u32_e32 v24, 1, v22
	v_cmp_le_u32_e64 s[0:1], s21, v23
	s_nop 1
	v_cndmask_b32_e64 v22, v22, v24, s[0:1]
	v_xor_b32_e32 v22, s19, v22
	v_subrev_u32_e32 v22, s19, v22
	v_add_u32_e32 v23, s40, v22
	v_sub_u32_e32 v25, 0, v23
	v_ashrrev_i32_e32 v24, 31, v23
	v_max_i32_e32 v23, v23, v25
	v_mul_hi_u32 v25, v23, v11
	v_mul_lo_u32 v25, v25, s15
	v_sub_u32_e32 v23, v23, v25
	v_subrev_u32_e32 v25, s15, v23
	v_cmp_le_u32_e64 s[0:1], s15, v23
	v_cmp_ge_i32_e64 s[8:9], s30, v22
	s_nop 0
	v_cndmask_b32_e64 v23, v23, v25, s[0:1]
	v_subrev_u32_e32 v25, s15, v23
	v_cmp_le_u32_e64 s[0:1], s15, v23
	s_nop 1
	v_cndmask_b32_e64 v23, v23, v25, s[0:1]
	v_xor_b32_e32 v23, v23, v24
	v_sub_u32_e32 v23, v23, v24
	v_cmp_ne_u32_e64 s[0:1], 0, v23
	s_and_b64 s[0:1], s[0:1], s[8:9]
	s_and_b64 s[38:39], vcc, s[0:1]
	s_and_saveexec_b64 s[8:9], s[38:39]
	s_cbranch_execz .LBB73_15
; %bb.14:                               ;   in Loop: Header=BB73_13 Depth=1
	ds_write_b32 v13, v16
.LBB73_15:                              ;   in Loop: Header=BB73_13 Depth=1
	s_or_b64 exec, exec, s[8:9]
	s_xor_b64 s[0:1], s[0:1], -1
	s_and_saveexec_b64 s[8:9], s[0:1]
	s_cbranch_execz .LBB73_12
; %bb.16:                               ;   in Loop: Header=BB73_13 Depth=1
	global_load_dword v22, v[4:5], off
	s_waitcnt vmcnt(0)
	v_mad_i64_i32 v[22:23], s[0:1], v22, s43, 0
	v_lshl_add_u64 v[22:23], v[22:23], 1, v[2:3]
	global_load_dword v24, v[22:23], off
	global_load_dword v25, v[22:23], off offset:256
	global_load_dword v26, v[22:23], off offset:512
	;; [unrolled: 1-line block ×7, first 2 shown]
	ds_read_b32 v22, v8
	v_cmp_lt_i32_e64 s[0:1], v19, v18
	s_waitcnt lgkmcnt(0)
	v_lshrrev_b32_e32 v32, 16, v22
	v_and_b32_e32 v22, 0xffff, v22
	;;#ASMSTART
	v_cvt_f32_f16 v22, v22;
	;;#ASMEND
	;;#ASMSTART
	v_cvt_f32_f16 v32, v32;
	;;#ASMEND
	v_cndmask_b32_e64 v23, v17, v19, s[0:1]
	v_lshlrev_b32_e32 v23, 2, v23
	v_cmp_lt_i32_e64 s[0:1], v20, v18
	s_waitcnt vmcnt(7)
	v_lshrrev_b32_e32 v33, 16, v24
	v_and_b32_e32 v24, 0xffff, v24
	;;#ASMSTART
	v_cvt_f32_f16 v24, v24;
	;;#ASMEND
	;;#ASMSTART
	v_cvt_f32_f16 v33, v33;
	;;#ASMEND
	ds_read_b32 v34, v8 offset:4
	s_waitcnt vmcnt(6)
	v_lshrrev_b32_e32 v35, 16, v25
	v_and_b32_e32 v25, 0xffff, v25
	s_waitcnt vmcnt(5)
	v_lshrrev_b32_e32 v36, 16, v26
	v_and_b32_e32 v26, 0xffff, v26
	s_waitcnt lgkmcnt(0)
	v_lshrrev_b32_e32 v37, 16, v34
	v_and_b32_e32 v34, 0xffff, v34
	;;#ASMSTART
	v_cvt_f32_f16 v34, v34;
	;;#ASMEND
	;;#ASMSTART
	v_cvt_f32_f16 v37, v37;
	;;#ASMEND
	;;#ASMSTART
	v_cvt_f32_f16 v25, v25;
	;;#ASMEND
	;;#ASMSTART
	v_cvt_f32_f16 v35, v35;
	;;#ASMEND
	ds_read_b32 v38, v8 offset:8
	s_waitcnt vmcnt(4)
	v_lshrrev_b32_e32 v39, 16, v27
	v_and_b32_e32 v27, 0xffff, v27
	s_waitcnt vmcnt(3)
	v_lshrrev_b32_e32 v40, 16, v28
	v_and_b32_e32 v28, 0xffff, v28
	s_waitcnt lgkmcnt(0)
	v_lshrrev_b32_e32 v41, 16, v38
	v_and_b32_e32 v38, 0xffff, v38
	;;#ASMSTART
	v_cvt_f32_f16 v38, v38;
	;;#ASMEND
	;;#ASMSTART
	v_cvt_f32_f16 v41, v41;
	;;#ASMEND
	;; [unrolled: 3-line block ×4, first 2 shown]
	ds_read_b32 v42, v8 offset:12
	v_mul_f32_e32 v25, v34, v25
	v_mul_f32_e32 v34, v37, v35
	s_waitcnt vmcnt(2)
	v_lshrrev_b32_e32 v43, 16, v29
	v_and_b32_e32 v29, 0xffff, v29
	s_waitcnt lgkmcnt(0)
	v_lshrrev_b32_e32 v45, 16, v42
	v_and_b32_e32 v42, 0xffff, v42
	;;#ASMSTART
	v_cvt_f32_f16 v42, v42;
	;;#ASMEND
	;;#ASMSTART
	v_cvt_f32_f16 v45, v45;
	;;#ASMEND
	;; [unrolled: 3-line block ×4, first 2 shown]
	ds_read_b32 v46, v8 offset:16
	v_fmac_f32_e32 v25, v22, v24
	v_fmac_f32_e32 v34, v32, v33
	;; [unrolled: 1-line block ×4, first 2 shown]
	s_waitcnt lgkmcnt(0)
	v_lshrrev_b32_e32 v35, 16, v46
	v_and_b32_e32 v37, 0xffff, v46
	;;#ASMSTART
	v_cvt_f32_f16 v37, v37;
	;;#ASMEND
	;;#ASMSTART
	v_cvt_f32_f16 v35, v35;
	;;#ASMEND
	;; [unrolled: 3-line block ×4, first 2 shown]
	ds_read_b32 v46, v8 offset:20
	s_waitcnt vmcnt(1)
	v_lshrrev_b32_e32 v44, 16, v30
	v_and_b32_e32 v30, 0xffff, v30
	v_fmac_f32_e32 v25, v37, v28
	v_fmac_f32_e32 v34, v41, v36
	s_waitcnt lgkmcnt(0)
	v_lshrrev_b32_e32 v22, 16, v46
	v_and_b32_e32 v24, 0xffff, v46
	;;#ASMSTART
	v_cvt_f32_f16 v24, v24;
	;;#ASMEND
	;;#ASMSTART
	v_cvt_f32_f16 v22, v22;
	;;#ASMEND
	;; [unrolled: 3-line block ×4, first 2 shown]
	ds_read_b32 v32, v8 offset:24
	v_fmac_f32_e32 v34, v45, v39
	v_fmac_f32_e32 v34, v35, v40
	;; [unrolled: 1-line block ×4, first 2 shown]
	s_waitcnt lgkmcnt(0)
	v_lshrrev_b32_e32 v27, 16, v32
	v_and_b32_e32 v28, 0xffff, v32
	;;#ASMSTART
	v_cvt_f32_f16 v28, v28;
	;;#ASMEND
	;;#ASMSTART
	v_cvt_f32_f16 v27, v27;
	;;#ASMEND
	;; [unrolled: 3-line block ×4, first 2 shown]
	ds_read_b32 v33, v8 offset:28
	v_fmac_f32_e32 v25, v28, v30
	v_fmac_f32_e32 v34, v27, v32
	s_waitcnt vmcnt(0)
	v_lshrrev_b32_e32 v47, 16, v31
	v_and_b32_e32 v31, 0xffff, v31
	s_waitcnt lgkmcnt(0)
	v_lshrrev_b32_e32 v22, 16, v33
	v_and_b32_e32 v24, 0xffff, v33
	;;#ASMSTART
	v_cvt_f32_f16 v24, v24;
	;;#ASMEND
	;;#ASMSTART
	v_cvt_f32_f16 v22, v22;
	;;#ASMEND
	;; [unrolled: 3-line block ×4, first 2 shown]
	s_nop 0
	v_fmac_f32_e32 v25, v24, v26
	v_fmac_f32_e32 v34, v22, v27
	v_add_f32_e32 v22, v25, v34
	ds_bpermute_b32 v23, v23, v22
	v_cndmask_b32_e64 v24, v17, v20, s[0:1]
	s_waitcnt lgkmcnt(0)
	v_add_f32_e32 v22, v22, v23
	v_lshlrev_b32_e32 v23, 2, v24
	ds_bpermute_b32 v23, v23, v22
	s_and_saveexec_b64 s[38:39], vcc
	s_cbranch_execz .LBB73_11
; %bb.17:                               ;   in Loop: Header=BB73_13 Depth=1
	v_add_u32_e32 v24, v15, v12
	v_cvt_f32_i32_e32 v24, v24
	s_waitcnt lgkmcnt(0)
	v_add_f32_e32 v22, v22, v23
	v_add_u32_e32 v25, v7, v12
	v_cmp_gt_i32_e64 s[0:1], s11, v25
	v_mul_f32_e32 v23, s42, v24
	v_cndmask_b32_e64 v23, 0, v23, s[2:3]
	v_fmac_f32_e32 v23, s31, v22
	v_cndmask_b32_e64 v22, 0, v23, s[0:1]
	ds_write_b32 v13, v22
	v_max_f32_e32 v22, v9, v9
	v_max_f32_e32 v22, v22, v23
	v_cndmask_b32_e64 v9, v9, v22, s[0:1]
	s_branch .LBB73_11
.LBB73_18:
	s_or_b64 exec, exec, s[36:37]
.LBB73_19:
	s_or_b64 exec, exec, s[34:35]
	v_mbcnt_hi_u32_b32 v2, -1, v6
	v_and_b32_e32 v3, 64, v2
	v_add_u32_e32 v3, 64, v3
	v_xor_b32_e32 v4, 32, v2
	v_cmp_lt_i32_e32 vcc, v4, v3
	v_xor_b32_e32 v7, 16, v2
	v_max_f32_e32 v6, v9, v9
	v_cndmask_b32_e32 v4, v2, v4, vcc
	v_lshlrev_b32_e32 v4, 2, v4
	ds_bpermute_b32 v5, v4, v9
	v_cmp_lt_i32_e32 vcc, v7, v3
	v_xor_b32_e32 v8, 8, v2
	v_xor_b32_e32 v9, 4, v2
	v_and_b32_e32 v15, 63, v0
	s_waitcnt lgkmcnt(0)
	v_max_f32_e32 v5, v5, v5
	v_max_f32_e32 v6, v6, v5
	v_cndmask_b32_e32 v5, v2, v7, vcc
	v_lshlrev_b32_e32 v5, 2, v5
	ds_bpermute_b32 v7, v5, v6
	v_cmp_lt_i32_e32 vcc, v8, v3
	s_waitcnt lgkmcnt(0)
	v_max_f32_e32 v7, v7, v7
	v_max_f32_e32 v6, v6, v7
	v_cndmask_b32_e32 v7, v2, v8, vcc
	v_lshlrev_b32_e32 v8, 2, v7
	ds_bpermute_b32 v7, v8, v6
	v_cmp_lt_i32_e32 vcc, v9, v3
	s_waitcnt lgkmcnt(0)
	v_max_f32_e32 v7, v7, v7
	v_max_f32_e32 v7, v6, v7
	v_cndmask_b32_e32 v6, v2, v9, vcc
	v_lshlrev_b32_e32 v9, 2, v6
	ds_bpermute_b32 v11, v9, v7
	v_cmp_eq_u32_e32 vcc, 0, v15
	v_lshlrev_b32_e32 v6, 2, v1
	s_and_saveexec_b64 s[0:1], vcc
	s_cbranch_execz .LBB73_21
; %bb.20:
	s_waitcnt lgkmcnt(0)
	v_max_f32_e32 v11, v11, v11
	v_max_f32_e32 v7, v7, v7
	;; [unrolled: 1-line block ×3, first 2 shown]
	ds_write_b32 v6, v7 offset:128
.LBB73_21:
	s_or_b64 exec, exec, s[0:1]
	v_cmp_gt_u32_e64 s[0:1], 2, v15
	s_waitcnt lgkmcnt(0)
	v_mov_b32_e32 v11, 0xff7fffff
	v_lshlrev_b32_e32 v7, 2, v15
	s_barrier
	s_and_saveexec_b64 s[2:3], s[0:1]
	s_cbranch_execz .LBB73_23
; %bb.22:
	ds_read_b32 v11, v7 offset:128
.LBB73_23:
	s_or_b64 exec, exec, s[2:3]
	v_xor_b32_e32 v12, 1, v2
	v_cmp_lt_i32_e64 s[2:3], v12, v3
	v_lshlrev_b32_e32 v13, 2, v2
	s_nop 0
	v_cndmask_b32_e64 v12, v2, v12, s[2:3]
	v_lshlrev_b32_e32 v16, 2, v12
	s_waitcnt lgkmcnt(0)
	ds_bpermute_b32 v12, v16, v11
	v_max_f32_e32 v11, v11, v11
	s_lshl_b32 s2, s41, 4
	s_min_i32 s15, s2, s11
	v_cmp_gt_i32_e64 s[2:3], s15, v0
	s_waitcnt lgkmcnt(0)
	v_max_f32_e32 v12, v12, v12
	v_max_f32_e32 v12, v11, v12
	v_and_b32_e32 v11, 0x100, v13
	ds_bpermute_b32 v13, v11, v12
	v_mov_b32_e32 v12, 0
	s_and_saveexec_b64 s[30:31], s[2:3]
	s_cbranch_execz .LBB73_27
; %bb.24:
	v_mov_b32_e32 v12, 0x90
	v_lshl_add_u32 v17, v0, 2, v12
	s_mov_b64 s[34:35], 0
	v_mov_b32_e32 v12, 0
	v_mov_b32_e32 v18, v0
.LBB73_25:                              ; =>This Inner Loop Header: Depth=1
	ds_read_b32 v19, v17
	v_add_u32_e32 v18, 0x80, v18
	v_cmp_le_i32_e64 s[8:9], s15, v18
	s_or_b64 s[34:35], s[8:9], s[34:35]
	s_waitcnt lgkmcnt(0)
	v_sub_f32_e32 v19, v19, v13
	v_mul_f32_e32 v19, 0x3fb8aa3b, v19
	v_exp_f32_e32 v19, v19
	ds_write_b32 v17, v19
	v_add_f32_e32 v12, v12, v19
	v_add_u32_e32 v17, 0x200, v17
	s_andn2_b64 exec, exec, s[34:35]
	s_cbranch_execnz .LBB73_25
; %bb.26:
	s_or_b64 exec, exec, s[34:35]
.LBB73_27:
	s_or_b64 exec, exec, s[30:31]
	ds_bpermute_b32 v4, v4, v12
	s_waitcnt lgkmcnt(0)
	v_add_f32_e32 v4, v12, v4
	ds_bpermute_b32 v5, v5, v4
	s_waitcnt lgkmcnt(0)
	v_add_f32_e32 v4, v4, v5
	ds_bpermute_b32 v5, v8, v4
	v_xor_b32_e32 v8, 2, v2
	v_cmp_lt_i32_e64 s[8:9], v8, v3
	s_waitcnt lgkmcnt(0)
	v_add_f32_e32 v4, v4, v5
	ds_bpermute_b32 v5, v9, v4
	v_cndmask_b32_e64 v2, v2, v8, s[8:9]
	v_lshlrev_b32_e32 v2, 2, v2
	s_waitcnt lgkmcnt(0)
	v_add_f32_e32 v3, v4, v5
	ds_bpermute_b32 v2, v2, v3
	s_waitcnt lgkmcnt(0)
	v_add_f32_e32 v2, v3, v2
	ds_bpermute_b32 v3, v16, v2
	s_waitcnt lgkmcnt(0)
	v_add_f32_e32 v2, v2, v3
	s_and_saveexec_b64 s[8:9], vcc
	s_cbranch_execz .LBB73_29
; %bb.28:
	ds_write_b32 v6, v2 offset:136
.LBB73_29:
	s_or_b64 exec, exec, s[8:9]
	s_waitcnt lgkmcnt(0)
	s_barrier
	s_and_saveexec_b64 s[8:9], s[0:1]
	s_cbranch_execz .LBB73_31
; %bb.30:
	ds_read_b32 v2, v7 offset:136
.LBB73_31:
	s_or_b64 exec, exec, s[8:9]
	s_waitcnt lgkmcnt(0)
	ds_bpermute_b32 v3, v16, v2
	s_waitcnt lgkmcnt(0)
	v_add_f32_e32 v2, v2, v3
	ds_bpermute_b32 v2, v11, v2
	s_and_saveexec_b64 s[0:1], s[2:3]
	s_cbranch_execz .LBB73_44
; %bb.32:
	s_waitcnt lgkmcnt(0)
	v_add_f32_e32 v2, 0x358637bd, v2
	v_div_scale_f32 v3, s[2:3], v2, v2, 1.0
	v_rcp_f32_e32 v4, v3
	v_div_scale_f32 v5, vcc, 1.0, v2, 1.0
	s_movk_i32 s2, 0x7f
	v_fma_f32 v6, -v3, v4, 1.0
	v_fmac_f32_e32 v4, v6, v4
	v_mul_f32_e32 v6, v5, v4
	v_fma_f32 v7, -v3, v6, v5
	v_fmac_f32_e32 v6, v7, v4
	v_fma_f32 v3, -v3, v6, v5
	v_div_fmas_f32 v3, v3, v4, v6
	v_xad_u32 v4, v0, -1, s15
	v_div_fixup_f32 v2, v3, v2, 1.0
	v_cmp_lt_u32_e32 vcc, s2, v4
	s_mov_b64 s[8:9], -1
	v_mov_b32_e32 v3, v0
	s_and_saveexec_b64 s[2:3], vcc
	s_cbranch_execz .LBB73_41
; %bb.33:
	v_lshrrev_b32_e32 v4, 7, v4
	v_add_u32_e32 v6, -1, v4
	v_lshrrev_b32_e32 v5, 1, v6
	v_mov_b32_e32 v3, v2
	v_add_u32_e32 v5, 1, v5
	v_cmp_lt_u32_e32 vcc, 13, v6
	v_mov_b32_e32 v8, 0
	s_and_saveexec_b64 s[8:9], vcc
	s_cbranch_execz .LBB73_37
; %bb.34:
	v_mov_b32_e32 v7, 0x90
	v_and_b32_e32 v6, -8, v5
	v_lshl_add_u32 v7, v0, 2, v7
	s_mov_b32 s34, 0
	s_mov_b64 s[30:31], 0
.LBB73_35:                              ; =>This Inner Loop Header: Depth=1
	ds_read2st64_b32 v[8:9], v7 offset1:2
	ds_read2st64_b32 v[12:13], v7 offset0:4 offset1:6
	ds_read2st64_b32 v[18:19], v7 offset0:8 offset1:10
	;; [unrolled: 1-line block ×3, first 2 shown]
	v_add_u32_e32 v6, -8, v6
	s_waitcnt lgkmcnt(3)
	v_pk_mul_f32 v[8:9], v[2:3], v[8:9]
	s_waitcnt lgkmcnt(2)
	v_pk_mul_f32 v[12:13], v[2:3], v[12:13]
	ds_write2st64_b32 v7, v8, v9 offset1:2
	ds_write2st64_b32 v7, v12, v13 offset0:4 offset1:6
	ds_read2st64_b32 v[12:13], v7 offset0:16 offset1:18
	s_waitcnt lgkmcnt(4)
	v_pk_mul_f32 v[8:9], v[2:3], v[18:19]
	ds_write2st64_b32 v7, v8, v9 offset0:8 offset1:10
	s_waitcnt lgkmcnt(4)
	v_pk_mul_f32 v[8:9], v[2:3], v[20:21]
	ds_write2st64_b32 v7, v8, v9 offset0:12 offset1:14
	ds_read2st64_b32 v[8:9], v7 offset0:20 offset1:22
	s_waitcnt lgkmcnt(3)
	v_pk_mul_f32 v[12:13], v[2:3], v[12:13]
	ds_read2st64_b32 v[18:19], v7 offset0:24 offset1:26
	ds_write2st64_b32 v7, v12, v13 offset0:16 offset1:18
	ds_read2st64_b32 v[12:13], v7 offset0:28 offset1:30
	s_waitcnt lgkmcnt(3)
	v_pk_mul_f32 v[8:9], v[2:3], v[8:9]
	ds_write2st64_b32 v7, v8, v9 offset0:20 offset1:22
	s_waitcnt lgkmcnt(3)
	v_pk_mul_f32 v[8:9], v[2:3], v[18:19]
	ds_write2st64_b32 v7, v8, v9 offset0:24 offset1:26
	s_waitcnt lgkmcnt(2)
	v_pk_mul_f32 v[8:9], v[2:3], v[12:13]
	s_add_i32 s34, s34, 16
	v_cmp_eq_u32_e32 vcc, 0, v6
	ds_write2st64_b32 v7, v8, v9 offset0:28 offset1:30
	v_add_u32_e32 v7, 0x2000, v7
	s_or_b64 s[30:31], vcc, s[30:31]
	v_mov_b32_e32 v8, s34
	s_andn2_b64 exec, exec, s[30:31]
	s_cbranch_execnz .LBB73_35
; %bb.36:
	s_or_b64 exec, exec, s[30:31]
.LBB73_37:
	s_or_b64 exec, exec, s[8:9]
	v_and_b32_e32 v5, 7, v5
	v_cmp_ne_u32_e32 vcc, 0, v5
	s_and_saveexec_b64 s[8:9], vcc
	s_cbranch_execz .LBB73_40
; %bb.38:
	v_lshlrev_b32_e32 v6, 9, v8
	v_lshlrev_b32_e32 v7, 2, v0
	s_movk_i32 s30, 0x90
	v_add3_u32 v6, v6, v7, s30
	s_mov_b64 s[30:31], 0
.LBB73_39:                              ; =>This Inner Loop Header: Depth=1
	ds_read2st64_b32 v[8:9], v6 offset1:2
	v_add_u32_e32 v5, -1, v5
	v_cmp_eq_u32_e32 vcc, 0, v5
	s_or_b64 s[30:31], vcc, s[30:31]
	s_waitcnt lgkmcnt(0)
	v_pk_mul_f32 v[8:9], v[2:3], v[8:9]
	ds_write2st64_b32 v6, v8, v9 offset1:2
	v_add_u32_e32 v6, 0x400, v6
	s_andn2_b64 exec, exec, s[30:31]
	s_cbranch_execnz .LBB73_39
.LBB73_40:
	s_or_b64 exec, exec, s[8:9]
	v_add_u32_e32 v4, 1, v4
	v_and_b32_e32 v5, 0x3fffffe, v4
	v_cmp_ne_u32_e32 vcc, v4, v5
	v_lshl_add_u32 v3, v5, 7, v0
	s_orn2_b64 s[8:9], vcc, exec
.LBB73_41:
	s_or_b64 exec, exec, s[2:3]
	s_and_b64 exec, exec, s[8:9]
	s_cbranch_execz .LBB73_44
; %bb.42:
	v_mov_b32_e32 v4, 0x90
	v_lshl_add_u32 v4, v3, 2, v4
	s_mov_b64 s[2:3], 0
.LBB73_43:                              ; =>This Inner Loop Header: Depth=1
	ds_read_b32 v5, v4
	v_add_u32_e32 v3, 0x80, v3
	v_cmp_le_i32_e32 vcc, s15, v3
	s_or_b64 s[2:3], vcc, s[2:3]
	s_waitcnt lgkmcnt(0)
	v_mul_f32_e32 v5, v2, v5
	ds_write_b32 v4, v5
	v_add_u32_e32 v4, 0x200, v4
	s_andn2_b64 exec, exec, s[2:3]
	s_cbranch_execnz .LBB73_43
.LBB73_44:
	s_or_b64 exec, exec, s[0:1]
	v_mov_b32_e32 v7, 0
	v_and_b32_e32 v17, 1, v0
	v_mov_b32_e32 v6, 0
	s_waitcnt lgkmcnt(0)
	s_barrier
	s_and_saveexec_b64 s[2:3], s[6:7]
	s_cbranch_execz .LBB73_54
; %bb.45:
	s_ashr_i32 s15, s14, 31
	s_sub_i32 s17, s12, s17
	s_lshl_b64 s[0:1], s[14:15], 1
	s_add_u32 s0, s28, s0
	v_lshlrev_b32_e32 v2, 3, v0
	s_addc_u32 s1, s29, s1
	s_abs_i32 s14, s18
	v_and_b32_e32 v18, 8, v2
	v_cvt_f32_u32_e32 v2, s14
	s_sub_i32 s6, 0, s14
	v_mov_b32_e32 v7, 0
	s_add_i32 s15, s41, -1
	v_rcp_iflag_f32_e32 v2, v2
	s_mov_b32 s30, s13
	s_mov_b32 s18, s11
	;; [unrolled: 1-line block ×3, first 2 shown]
	v_mul_f32_e32 v2, 0x4f7ffffe, v2
	v_cvt_u32_f32_e32 v2, v2
	s_mov_b32 s29, s11
	s_mov_b32 s31, s11
	;; [unrolled: 1-line block ×3, first 2 shown]
	v_mul_lo_u32 v3, s6, v2
	v_mul_hi_u32 v3, v2, v3
	v_add_u32_e32 v19, v2, v3
	v_lshlrev_b32_e32 v2, 4, v0
	v_and_b32_e32 v6, 0x3f0, v2
	v_lshl_add_u64 v[8:9], s[0:1], 0, v[6:7]
	s_lshl_b64 s[0:1], s[26:27], 2
	s_add_u32 s0, s24, s0
	v_lshlrev_b32_e32 v2, 5, v17
	v_and_b32_e32 v6, 60, v10
	s_addc_u32 s1, s25, s1
	v_lshl_or_b32 v2, v1, 6, v2
	s_mov_b32 s35, s11
	s_mov_b32 s36, s11
	v_lshl_add_u64 v[10:11], s[0:1], 0, v[6:7]
	v_add_u32_e32 v20, 0x90, v2
	s_mov_b64 s[6:7], 0
	s_mov_b32 s24, 0x5040100
	v_mov_b32_e32 v6, v7
	s_branch .LBB73_48
.LBB73_46:                              ;   in Loop: Header=BB73_48 Depth=1
	s_or_b64 exec, exec, s[0:1]
	s_waitcnt vmcnt(0)
	;;#ASMSTART
	v_pk_mul_f16 v2, v32, v2;

	;;#ASMEND
	;;#ASMSTART
	v_pk_mul_f16 v3, v31, v3;

	;;#ASMEND
	;; [unrolled: 4-line block ×4, first 2 shown]
	v_add_f32_e32 v12, v33, v34
	;;#ASMSTART
	v_pk_add_f16 v2, v2, v3;

	;;#ASMEND
	v_add_f32_e32 v6, v6, v12
	;;#ASMSTART
	v_pk_add_f16 v2, v2, v4;

	;;#ASMEND
	s_nop 0
	;;#ASMSTART
	v_pk_add_f16 v2, v2, v5;

	;;#ASMEND
	s_nop 0
	v_lshrrev_b32_e32 v3, 16, v2
	v_and_b32_e32 v2, 0xffff, v2
	;;#ASMSTART
	v_cvt_f32_f16 v2, v2;
	;;#ASMEND
	;;#ASMSTART
	v_cvt_f32_f16 v3, v3;
	;;#ASMEND
	s_nop 0
	v_add_f32_e32 v2, v2, v3
	v_add_f32_e32 v7, v7, v2
.LBB73_47:                              ;   in Loop: Header=BB73_48 Depth=1
	s_or_b64 exec, exec, s[8:9]
	v_add_u32_e32 v1, 2, v1
	v_cmp_le_i32_e32 vcc, s41, v1
	v_lshl_add_u64 v[10:11], v[10:11], 0, 8
	v_add_u32_e32 v14, 32, v14
	s_or_b64 s[6:7], vcc, s[6:7]
	v_add_u32_e32 v20, 0x80, v20
	s_andn2_b64 exec, exec, s[6:7]
	s_cbranch_execz .LBB73_53
.LBB73_48:                              ; =>This Inner Loop Header: Depth=1
	v_mul_hi_u32 v2, v14, s33
	v_mul_lo_u32 v3, v2, s21
	v_sub_u32_e32 v3, v14, v3
	v_add_u32_e32 v4, 1, v2
	v_cmp_le_u32_e32 vcc, s21, v3
	s_nop 1
	v_cndmask_b32_e32 v2, v2, v4, vcc
	v_subrev_u32_e32 v4, s21, v3
	v_cndmask_b32_e32 v3, v3, v4, vcc
	v_add_u32_e32 v4, 1, v2
	v_cmp_le_u32_e32 vcc, s21, v3
	s_nop 1
	v_cndmask_b32_e32 v2, v2, v4, vcc
	v_xor_b32_e32 v2, s19, v2
	v_subrev_u32_e32 v2, s19, v2
	v_add_u32_e32 v3, s40, v2
	v_sub_u32_e32 v5, 0, v3
	v_ashrrev_i32_e32 v4, 31, v3
	v_max_i32_e32 v3, v3, v5
	v_mul_hi_u32 v5, v3, v19
	v_mul_lo_u32 v5, v5, s14
	v_sub_u32_e32 v3, v3, v5
	v_subrev_u32_e32 v5, s14, v3
	v_cmp_le_u32_e32 vcc, s14, v3
	v_cmp_lt_i32_e64 s[0:1], s17, v2
	s_nop 0
	v_cndmask_b32_e32 v3, v3, v5, vcc
	v_subrev_u32_e32 v5, s14, v3
	v_cmp_le_u32_e32 vcc, s14, v3
	s_nop 1
	v_cndmask_b32_e32 v3, v3, v5, vcc
	v_xor_b32_e32 v3, v3, v4
	v_sub_u32_e32 v3, v3, v4
	v_cmp_eq_u32_e32 vcc, 0, v3
	s_or_b64 s[0:1], vcc, s[0:1]
	s_and_saveexec_b64 s[8:9], s[0:1]
	s_cbranch_execz .LBB73_47
; %bb.49:                               ;   in Loop: Header=BB73_48 Depth=1
	global_load_dword v12, v[10:11], off
	ds_read2_b64 v[2:5], v20 offset1:1
	ds_read2_b64 v[22:25], v20 offset0:2 offset1:3
	v_add_u32_e32 v21, v18, v14
	v_cmp_eq_u32_e32 vcc, s15, v1
	s_waitcnt lgkmcnt(1)
	;;#ASMSTART
	v_cvt_f16_f32 v29, v2;

	;;#ASMEND
	;;#ASMSTART
	v_cvt_f16_f32 v30, v3;

	;;#ASMEND
	;; [unrolled: 4-line block ×4, first 2 shown]
	s_waitcnt lgkmcnt(0)
	;;#ASMSTART
	v_cvt_f16_f32 v34, v22;

	;;#ASMEND
	;;#ASMSTART
	v_cvt_f16_f32 v35, v23;

	;;#ASMEND
	;; [unrolled: 4-line block ×4, first 2 shown]
	v_add_u32_e32 v22, 1, v21
	v_or_b32_e32 v24, 3, v21
	v_or_b32_e32 v23, 2, v21
	;; [unrolled: 1-line block ×6, first 2 shown]
	s_waitcnt vmcnt(0)
	v_mad_i64_i32 v[2:3], s[0:1], v12, s30, 0
	v_lshl_add_u64 v[12:13], v[2:3], 1, v[8:9]
	global_load_dwordx4 v[2:5], v[12:13], off
	s_and_saveexec_b64 s[12:13], vcc
	s_cbranch_execz .LBB73_51
; %bb.50:                               ;   in Loop: Header=BB73_48 Depth=1
	s_waitcnt vmcnt(0)
	v_lshrrev_b32_e32 v32, 16, v5
	v_cmp_gt_i32_e64 s[0:1], s36, v28
	s_nop 1
	v_cndmask_b32_e64 v32, 0, v32, s[0:1]
	v_cmp_gt_i32_e64 s[0:1], s35, v27
	s_nop 1
	v_cndmask_b32_e64 v5, 0, v5, s[0:1]
	v_perm_b32 v5, v32, v5, s24
	v_lshrrev_b32_e32 v32, 16, v4
	v_cmp_gt_i32_e64 s[0:1], s34, v26
	s_nop 1
	v_cndmask_b32_e64 v32, 0, v32, s[0:1]
	v_cmp_gt_i32_e64 s[0:1], s31, v25
	s_nop 1
	v_cndmask_b32_e64 v4, 0, v4, s[0:1]
	v_perm_b32 v4, v32, v4, s24
	;; [unrolled: 8-line block ×4, first 2 shown]
.LBB73_51:                              ;   in Loop: Header=BB73_48 Depth=1
	s_or_b64 exec, exec, s[12:13]
	v_and_b32_e32 v29, 0xffff, v29
	v_lshl_or_b32 v32, v30, 16, v29
	v_and_b32_e32 v29, 0xffff, v31
	v_lshl_or_b32 v31, v33, 16, v29
	;; [unrolled: 2-line block ×3, first 2 shown]
	v_and_b32_e32 v29, 0xffff, v36
	s_waitcnt vmcnt(0)
	;;#ASMSTART
	v_pk_mul_f16 v2, v32, v2;

	;;#ASMEND
	v_lshl_or_b32 v29, v37, 16, v29
	;;#ASMSTART
	v_pk_mul_f16 v3, v31, v3;

	;;#ASMEND
	;;#ASMSTART
	v_pk_mul_f16 v4, v30, v4;

	;;#ASMEND
	;; [unrolled: 4-line block ×3, first 2 shown]
	s_nop 0
	;;#ASMSTART
	v_pk_add_f16 v2, v2, v3;

	;;#ASMEND
	s_nop 0
	;;#ASMSTART
	v_pk_add_f16 v2, v2, v4;

	;;#ASMEND
	;; [unrolled: 5-line block ×3, first 2 shown]
	s_nop 0
	v_lshrrev_b32_e32 v3, 16, v2
	v_and_b32_e32 v2, 0xffff, v2
	;;#ASMSTART
	v_cvt_f32_f16 v33, v2;
	;;#ASMEND
	;;#ASMSTART
	v_cvt_f32_f16 v34, v3;
	;;#ASMEND
	global_load_dwordx4 v[2:5], v[12:13], off offset:1024
	s_and_saveexec_b64 s[0:1], vcc
	s_cbranch_execz .LBB73_46
; %bb.52:                               ;   in Loop: Header=BB73_48 Depth=1
	s_waitcnt vmcnt(0)
	v_lshrrev_b32_e32 v12, 16, v5
	v_cmp_gt_i32_e32 vcc, s36, v28
	s_nop 1
	v_cndmask_b32_e32 v12, 0, v12, vcc
	v_cmp_gt_i32_e32 vcc, s35, v27
	s_nop 1
	v_cndmask_b32_e32 v5, 0, v5, vcc
	v_perm_b32 v5, v12, v5, s24
	v_lshrrev_b32_e32 v12, 16, v4
	v_cmp_gt_i32_e32 vcc, s34, v26
	s_nop 1
	v_cndmask_b32_e32 v12, 0, v12, vcc
	v_cmp_gt_i32_e32 vcc, s31, v25
	s_nop 1
	v_cndmask_b32_e32 v4, 0, v4, vcc
	v_perm_b32 v4, v12, v4, s24
	;; [unrolled: 8-line block ×4, first 2 shown]
	s_branch .LBB73_46
.LBB73_53:
	s_or_b64 exec, exec, s[6:7]
.LBB73_54:
	s_or_b64 exec, exec, s[2:3]
	ds_bpermute_b32 v2, v16, v6
	ds_bpermute_b32 v3, v16, v7
	v_and_b32_e32 v1, 0x3c1, v0
	v_cmp_eq_u32_e32 vcc, 64, v1
	s_waitcnt lgkmcnt(0)
	s_barrier
	v_pk_add_f32 v[2:3], v[6:7], v[2:3]
	s_and_saveexec_b64 s[0:1], vcc
	s_cbranch_execz .LBB73_56
; %bb.55:
	v_mov_b32_e32 v4, 0x90
	v_lshl_add_u32 v4, v15, 1, v4
	ds_write2_b32 v4, v2, v3 offset1:32
.LBB73_56:
	s_or_b64 exec, exec, s[0:1]
	v_cmp_gt_u32_e32 vcc, 64, v0
	s_waitcnt lgkmcnt(0)
	s_barrier
	s_and_saveexec_b64 s[0:1], vcc
	s_cbranch_execz .LBB73_62
; %bb.57:
	v_cmp_eq_u32_e32 vcc, 0, v17
	v_lshrrev_b32_e32 v4, 1, v0
	s_and_saveexec_b64 s[2:3], vcc
	s_cbranch_execz .LBB73_59
; %bb.58:
	v_mov_b32_e32 v5, 0x90
	v_lshl_add_u32 v5, v4, 2, v5
	ds_read_b32 v5, v5
	s_waitcnt lgkmcnt(0)
	v_add_f32_e32 v2, v2, v5
.LBB73_59:
	s_or_b64 exec, exec, s[2:3]
	s_and_saveexec_b64 s[2:3], vcc
	s_cbranch_execz .LBB73_61
; %bb.60:
	v_mov_b32_e32 v5, 0x90
	v_lshl_add_u32 v4, v4, 2, v5
	ds_read_b32 v4, v4 offset:128
	s_waitcnt lgkmcnt(0)
	v_add_f32_e32 v3, v3, v4
.LBB73_61:
	s_or_b64 exec, exec, s[2:3]
.LBB73_62:
	s_or_b64 exec, exec, s[0:1]
	v_cmp_eq_u32_e32 vcc, 0, v1
	s_barrier
	s_and_saveexec_b64 s[0:1], vcc
	s_cbranch_execz .LBB73_64
; %bb.63:
	s_mul_i32 s0, s10, s16
	s_mul_i32 s0, s0, s5
	s_lshl_b32 s0, s0, 6
	s_ashr_i32 s1, s0, 31
	s_lshl_b64 s[0:1], s[0:1], 1
	s_add_u32 s2, s22, s0
	s_mul_i32 s0, s16, s20
	s_addc_u32 s3, s23, s1
	s_ashr_i32 s1, s0, 31
	s_lshl_b64 s[0:1], s[0:1], 1
	s_add_u32 s2, s2, s0
	s_addc_u32 s3, s3, s1
	s_lshl_b32 s0, s4, 6
	s_ashr_i32 s1, s0, 31
	s_lshl_b64 s[0:1], s[0:1], 1
	s_add_u32 s0, s2, s0
	s_addc_u32 s1, s3, s1
	;;#ASMSTART
	v_cvt_f16_f32 v1, v2;

	;;#ASMEND
	global_store_short v0, v1, s[0:1]
	;;#ASMSTART
	v_cvt_f16_f32 v1, v3;

	;;#ASMEND
	global_store_short v0, v1, s[0:1] offset:64
.LBB73_64:
	s_endpgm
	.section	.rodata,"a",@progbits
	.p2align	6, 0x0
	.amdhsa_kernel _ZN4vllm25paged_attention_v1_kernelIttLi64ELi16ELi128ELNS_18Fp8KVCacheDataTypeE0ELb1EEEvPT_PKS2_PKT0_S8_ifPKiSA_iPKfiiiSC_SC_iiiii
		.amdhsa_group_segment_fixed_size 144
		.amdhsa_private_segment_fixed_size 0
		.amdhsa_kernarg_size 384
		.amdhsa_user_sgpr_count 2
		.amdhsa_user_sgpr_dispatch_ptr 0
		.amdhsa_user_sgpr_queue_ptr 0
		.amdhsa_user_sgpr_kernarg_segment_ptr 1
		.amdhsa_user_sgpr_dispatch_id 0
		.amdhsa_user_sgpr_kernarg_preload_length 0
		.amdhsa_user_sgpr_kernarg_preload_offset 0
		.amdhsa_user_sgpr_private_segment_size 0
		.amdhsa_uses_dynamic_stack 0
		.amdhsa_enable_private_segment 0
		.amdhsa_system_sgpr_workgroup_id_x 1
		.amdhsa_system_sgpr_workgroup_id_y 1
		.amdhsa_system_sgpr_workgroup_id_z 1
		.amdhsa_system_sgpr_workgroup_info 0
		.amdhsa_system_vgpr_workitem_id 0
		.amdhsa_next_free_vgpr 48
		.amdhsa_next_free_sgpr 44
		.amdhsa_accum_offset 48
		.amdhsa_reserve_vcc 1
		.amdhsa_float_round_mode_32 0
		.amdhsa_float_round_mode_16_64 0
		.amdhsa_float_denorm_mode_32 3
		.amdhsa_float_denorm_mode_16_64 3
		.amdhsa_dx10_clamp 1
		.amdhsa_ieee_mode 1
		.amdhsa_fp16_overflow 0
		.amdhsa_tg_split 0
		.amdhsa_exception_fp_ieee_invalid_op 0
		.amdhsa_exception_fp_denorm_src 0
		.amdhsa_exception_fp_ieee_div_zero 0
		.amdhsa_exception_fp_ieee_overflow 0
		.amdhsa_exception_fp_ieee_underflow 0
		.amdhsa_exception_fp_ieee_inexact 0
		.amdhsa_exception_int_div_zero 0
	.end_amdhsa_kernel
	.section	.text._ZN4vllm25paged_attention_v1_kernelIttLi64ELi16ELi128ELNS_18Fp8KVCacheDataTypeE0ELb1EEEvPT_PKS2_PKT0_S8_ifPKiSA_iPKfiiiSC_SC_iiiii,"axG",@progbits,_ZN4vllm25paged_attention_v1_kernelIttLi64ELi16ELi128ELNS_18Fp8KVCacheDataTypeE0ELb1EEEvPT_PKS2_PKT0_S8_ifPKiSA_iPKfiiiSC_SC_iiiii,comdat
.Lfunc_end73:
	.size	_ZN4vllm25paged_attention_v1_kernelIttLi64ELi16ELi128ELNS_18Fp8KVCacheDataTypeE0ELb1EEEvPT_PKS2_PKT0_S8_ifPKiSA_iPKfiiiSC_SC_iiiii, .Lfunc_end73-_ZN4vllm25paged_attention_v1_kernelIttLi64ELi16ELi128ELNS_18Fp8KVCacheDataTypeE0ELb1EEEvPT_PKS2_PKT0_S8_ifPKiSA_iPKfiiiSC_SC_iiiii
                                        ; -- End function
	.section	.AMDGPU.csdata,"",@progbits
; Kernel info:
; codeLenInByte = 5160
; NumSgprs: 50
; NumVgprs: 48
; NumAgprs: 0
; TotalNumVgprs: 48
; ScratchSize: 0
; MemoryBound: 0
; FloatMode: 240
; IeeeMode: 1
; LDSByteSize: 144 bytes/workgroup (compile time only)
; SGPRBlocks: 6
; VGPRBlocks: 5
; NumSGPRsForWavesPerEU: 50
; NumVGPRsForWavesPerEU: 48
; AccumOffset: 48
; Occupancy: 8
; WaveLimiterHint : 1
; COMPUTE_PGM_RSRC2:SCRATCH_EN: 0
; COMPUTE_PGM_RSRC2:USER_SGPR: 2
; COMPUTE_PGM_RSRC2:TRAP_HANDLER: 0
; COMPUTE_PGM_RSRC2:TGID_X_EN: 1
; COMPUTE_PGM_RSRC2:TGID_Y_EN: 1
; COMPUTE_PGM_RSRC2:TGID_Z_EN: 1
; COMPUTE_PGM_RSRC2:TIDIG_COMP_CNT: 0
; COMPUTE_PGM_RSRC3_GFX90A:ACCUM_OFFSET: 11
; COMPUTE_PGM_RSRC3_GFX90A:TG_SPLIT: 0
	.section	.text._ZN4vllm25paged_attention_v1_kernelIttLi80ELi16ELi128ELNS_18Fp8KVCacheDataTypeE0ELb1EEEvPT_PKS2_PKT0_S8_ifPKiSA_iPKfiiiSC_SC_iiiii,"axG",@progbits,_ZN4vllm25paged_attention_v1_kernelIttLi80ELi16ELi128ELNS_18Fp8KVCacheDataTypeE0ELb1EEEvPT_PKS2_PKT0_S8_ifPKiSA_iPKfiiiSC_SC_iiiii,comdat
	.protected	_ZN4vllm25paged_attention_v1_kernelIttLi80ELi16ELi128ELNS_18Fp8KVCacheDataTypeE0ELb1EEEvPT_PKS2_PKT0_S8_ifPKiSA_iPKfiiiSC_SC_iiiii ; -- Begin function _ZN4vllm25paged_attention_v1_kernelIttLi80ELi16ELi128ELNS_18Fp8KVCacheDataTypeE0ELb1EEEvPT_PKS2_PKT0_S8_ifPKiSA_iPKfiiiSC_SC_iiiii
	.globl	_ZN4vllm25paged_attention_v1_kernelIttLi80ELi16ELi128ELNS_18Fp8KVCacheDataTypeE0ELb1EEEvPT_PKS2_PKT0_S8_ifPKiSA_iPKfiiiSC_SC_iiiii
	.p2align	8
	.type	_ZN4vllm25paged_attention_v1_kernelIttLi80ELi16ELi128ELNS_18Fp8KVCacheDataTypeE0ELb1EEEvPT_PKS2_PKT0_S8_ifPKiSA_iPKfiiiSC_SC_iiiii,@function
_ZN4vllm25paged_attention_v1_kernelIttLi80ELi16ELi128ELNS_18Fp8KVCacheDataTypeE0ELb1EEEvPT_PKS2_PKT0_S8_ifPKiSA_iPKfiiiSC_SC_iiiii: ; @_ZN4vllm25paged_attention_v1_kernelIttLi80ELi16ELi128ELNS_18Fp8KVCacheDataTypeE0ELb1EEEvPT_PKS2_PKT0_S8_ifPKiSA_iPKfiiiSC_SC_iiiii
; %bb.0:
	s_load_dword s5, s[0:1], 0x80
	s_load_dwordx2 s[6:7], s[0:1], 0x30
	s_load_dwordx2 s[30:31], s[0:1], 0x20
	s_mov_b32 s10, s3
	s_ashr_i32 s11, s3, 31
	s_lshl_b64 s[8:9], s[10:11], 2
	s_waitcnt lgkmcnt(0)
	s_add_u32 s6, s6, s8
	s_addc_u32 s7, s7, s9
	s_abs_i32 s3, s30
	v_cvt_f32_u32_e32 v1, s3
	s_sub_i32 s11, 0, s3
	s_abs_i32 s9, s5
	s_xor_b32 s8, s5, s30
	v_rcp_iflag_f32_e32 v1, v1
	s_ashr_i32 s8, s8, 31
	s_mov_b32 s43, 0
	v_mul_f32_e32 v1, 0x4f7ffffe, v1
	v_cvt_u32_f32_e32 v1, v1
	s_nop 0
	v_readfirstlane_b32 s12, v1
	s_mul_i32 s11, s11, s12
	s_mul_hi_u32 s11, s12, s11
	s_add_i32 s12, s12, s11
	s_mul_hi_u32 s11, s9, s12
	s_mul_i32 s12, s11, s3
	s_sub_i32 s9, s9, s12
	s_add_i32 s12, s11, 1
	s_sub_i32 s13, s9, s3
	s_cmp_ge_u32 s9, s3
	s_cselect_b32 s11, s12, s11
	s_cselect_b32 s9, s13, s9
	s_add_i32 s12, s11, 1
	s_cmp_ge_u32 s9, s3
	s_cselect_b32 s3, s12, s11
	s_xor_b32 s3, s3, s8
	s_sub_i32 s16, s3, s8
	s_abs_i32 s11, s16
	v_cvt_f32_u32_e32 v1, s11
	s_load_dwordx2 s[8:9], s[0:1], 0x40
	s_sub_i32 s3, 0, s11
	s_abs_i32 s22, s2
	v_rcp_iflag_f32_e32 v1, v1
	s_nop 0
	v_mul_f32_e32 v1, 0x4f7ffffe, v1
	v_cvt_u32_f32_e32 v1, v1
	s_nop 0
	v_readfirstlane_b32 s12, v1
	s_mul_i32 s3, s3, s12
	s_mul_hi_u32 s3, s12, s3
	s_add_i32 s12, s12, s3
	s_waitcnt lgkmcnt(0)
	s_cmp_eq_u64 s[8:9], 0
	s_mul_hi_u32 s23, s22, s12
	s_cbranch_scc1 .LBB74_2
; %bb.1:
	s_ashr_i32 s3, s2, 31
	s_lshl_b64 s[12:13], s[2:3], 2
	s_add_u32 s8, s8, s12
	s_addc_u32 s9, s9, s13
	s_load_dword s43, s[8:9], 0x0
.LBB74_2:
	s_load_dword s33, s[6:7], 0x0
	s_load_dwordx4 s[12:15], s[0:1], 0x48
	s_ashr_i32 s3, s2, 31
	s_ashr_i32 s9, s16, 31
	v_and_b32_e32 v4, 3, v0
	s_mul_i32 s20, s2, 0x50
	v_cmp_gt_u32_e32 vcc, 40, v0
	s_and_saveexec_b64 s[6:7], vcc
	s_cbranch_execz .LBB74_4
; %bb.3:
	s_load_dwordx2 s[16:17], s[0:1], 0x8
	s_waitcnt lgkmcnt(0)
	s_mul_i32 s18, s10, s12
	s_ashr_i32 s19, s18, 31
	s_lshl_b64 s[18:19], s[18:19], 1
	v_lshlrev_b32_e32 v1, 2, v0
	s_add_u32 s8, s16, s18
	s_addc_u32 s12, s17, s19
	s_ashr_i32 s21, s20, 31
	s_lshl_b64 s[16:17], s[20:21], 1
	s_add_u32 s16, s8, s16
	s_addc_u32 s17, s12, s17
	global_load_dword v1, v1, s[16:17]
	v_and_b32_e32 v2, 0x3fc, v0
	v_mad_u32_u24 v2, v4, 40, v2
	s_waitcnt vmcnt(0)
	ds_write_b32 v2, v1
.LBB74_4:
	s_or_b64 exec, exec, s[6:7]
	s_mul_i32 s6, s23, s11
	s_sub_i32 s6, s22, s6
	s_xor_b32 s3, s3, s9
	s_add_i32 s7, s23, 1
	s_sub_i32 s9, s6, s11
	s_load_dwordx4 s[16:19], s[0:1], 0x68
	s_load_dword s8, s[0:1], 0x78
	s_cmp_ge_u32 s6, s11
	s_cselect_b32 s7, s7, s23
	s_cselect_b32 s6, s9, s6
	s_add_i32 s9, s7, 1
	s_cmp_ge_u32 s6, s11
	s_cselect_b32 s6, s9, s7
	s_waitcnt lgkmcnt(0)
	s_abs_i32 s21, s19
	v_cvt_f32_u32_e32 v1, s21
	s_xor_b32 s6, s6, s3
	s_sub_i32 s3, s6, s3
	s_sub_i32 s6, 0, s21
	v_rcp_iflag_f32_e32 v1, v1
	s_add_i32 s11, s33, -1
	s_abs_i32 s9, s11
	v_mul_f32_e32 v1, 0x4f7ffffe, v1
	v_cvt_u32_f32_e32 v1, v1
	s_barrier
	v_readfirstlane_b32 s40, v1
	s_mul_i32 s6, s6, s40
	s_mul_hi_u32 s6, s40, s6
	s_add_i32 s40, s40, s6
	s_cmp_lt_i32 s8, 0
	s_mul_hi_u32 s12, s9, s40
	s_cbranch_scc0 .LBB74_6
; %bb.5:
	s_mul_i32 s6, s16, s30
	s_add_i32 s6, s3, s6
	s_mul_i32 s6, s6, s8
	s_sub_i32 s41, 1, s6
	s_mov_b64 s[6:7], 0
	s_branch .LBB74_7
.LBB74_6:
	s_mov_b64 s[6:7], -1
                                        ; implicit-def: $sgpr41
.LBB74_7:
	s_load_dwordx2 s[24:25], s[0:1], 0x28
	s_ashr_i32 s15, s11, 31
	s_andn2_b64 vcc, exec, s[6:7]
	s_ashr_i32 s19, s19, 31
	s_cbranch_vccnz .LBB74_9
; %bb.8:
	s_mul_i32 s6, s5, s16
	s_add_i32 s2, s6, s2
	s_mul_i32 s2, s2, s8
	s_add_i32 s41, s2, 1
.LBB74_9:
	s_load_dword s2, s[0:1], 0x38
	s_load_dwordx2 s[22:23], s[0:1], 0x0
	s_load_dwordx2 s[28:29], s[0:1], 0x18
	s_load_dword s11, s[0:1], 0x88
	s_xor_b32 s6, s15, s19
	s_waitcnt lgkmcnt(0)
	s_mul_i32 s26, s10, s2
	s_mul_i32 s2, s12, s21
	s_sub_i32 s2, s9, s2
	s_ashr_i32 s27, s26, 31
	s_add_i32 s7, s12, 1
	s_sub_i32 s8, s2, s21
	s_cmp_ge_u32 s2, s21
	s_cselect_b32 s7, s7, s12
	s_cselect_b32 s2, s8, s2
	s_add_i32 s8, s7, 1
	s_cmp_ge_u32 s2, s21
	s_cselect_b32 s2, s8, s7
	s_xor_b32 s2, s2, s6
	s_sub_i32 s12, s2, s6
	s_add_i32 s2, s33, 15
	s_ashr_i32 s6, s2, 31
	s_lshr_b32 s6, s6, 28
	s_add_i32 s2, s2, s6
	s_ashr_i32 s42, s2, 4
	v_lshrrev_b32_e32 v1, 6, v0
	v_cmp_gt_i32_e64 s[6:7], s42, v1
	v_mov_b32_e32 v11, 0xff7fffff
	s_mul_i32 s14, s3, s14
	v_lshrrev_b32_e32 v10, 4, v0
	v_lshlrev_b32_e32 v9, 4, v1
	v_mbcnt_lo_u32_b32 v6, -1, 0
	s_and_saveexec_b64 s[34:35], s[6:7]
	s_cbranch_execz .LBB74_19
; %bb.10:
	s_load_dwordx2 s[0:1], s[0:1], 0x10
	s_ashr_i32 s15, s14, 31
	s_sub_i32 s16, s12, s17
	s_lshl_b64 s[2:3], s[14:15], 1
	v_bfe_u32 v7, v0, 2, 4
	s_waitcnt lgkmcnt(0)
	s_add_u32 s0, s0, s2
	s_addc_u32 s1, s1, s3
	s_abs_i32 s15, s18
	v_cvt_f32_u32_e32 v5, s15
	v_lshlrev_b32_e32 v14, 4, v7
	v_mov_b32_e32 v15, 0
	v_lshl_add_u64 v[2:3], s[0:1], 0, v[14:15]
	v_rcp_iflag_f32_e32 v5, v5
	v_lshlrev_b32_e32 v8, 2, v0
	s_sub_i32 s0, 0, s15
	v_cmp_eq_u32_e32 vcc, 0, v4
	v_mul_f32_e32 v5, 0x4f7ffffe, v5
	v_cvt_u32_f32_e32 v5, v5
	v_and_b32_e32 v14, 12, v8
	v_mul_u32_u24_e32 v8, 40, v4
	v_lshlrev_b32_e32 v11, 2, v7
	v_mul_lo_u32 v4, s0, v5
	s_lshl_b64 s[0:1], s[26:27], 2
	s_add_u32 s0, s24, s0
	v_lshl_add_u64 v[2:3], v[2:3], 0, v[14:15]
	v_mul_hi_u32 v4, v5, v4
	v_and_b32_e32 v14, 60, v10
	s_addc_u32 s1, s25, s1
	v_lshl_or_b32 v11, v1, 6, v11
	v_add_u32_e32 v12, v5, v4
	v_lshl_add_u64 v[4:5], s[0:1], 0, v[14:15]
	v_add_u32_e32 v14, 0xb0, v11
	v_subrev_u32_e32 v11, s33, v7
	v_mbcnt_hi_u32_b32 v17, -1, v6
	v_add_u32_e32 v15, 1, v11
	v_and_b32_e32 v11, 64, v17
	s_mov_b32 s30, s13
	v_cmp_neq_f32_e64 s[2:3], s43, 0
	v_lshlrev_b32_e32 v13, 4, v1
	s_mov_b64 s[36:37], 0
	v_mov_b32_e32 v16, 0xff7fffff
	v_add_u32_e32 v18, 64, v11
	v_xor_b32_e32 v19, 2, v17
	v_xor_b32_e32 v20, 1, v17
	v_mov_b32_e32 v11, 0xff7fffff
	v_mov_b32_e32 v21, v1
	s_branch .LBB74_13
.LBB74_11:                              ;   in Loop: Header=BB74_13 Depth=1
	s_or_b64 exec, exec, s[38:39]
.LBB74_12:                              ;   in Loop: Header=BB74_13 Depth=1
	s_or_b64 exec, exec, s[8:9]
	v_add_u32_e32 v21, 2, v21
	v_cmp_le_i32_e64 s[0:1], s42, v21
	v_lshl_add_u64 v[4:5], v[4:5], 0, 8
	v_add_u32_e32 v13, 32, v13
	s_or_b64 s[36:37], s[0:1], s[36:37]
	v_add_u32_e32 v14, 0x80, v14
	s_andn2_b64 exec, exec, s[36:37]
	s_cbranch_execz .LBB74_18
.LBB74_13:                              ; =>This Inner Loop Header: Depth=1
	v_mul_hi_u32 v22, v13, s40
	s_waitcnt lgkmcnt(0)
	v_mul_lo_u32 v23, v22, s21
	v_sub_u32_e32 v23, v13, v23
	v_add_u32_e32 v24, 1, v22
	v_cmp_le_u32_e64 s[0:1], s21, v23
	s_nop 1
	v_cndmask_b32_e64 v22, v22, v24, s[0:1]
	v_subrev_u32_e32 v24, s21, v23
	v_cndmask_b32_e64 v23, v23, v24, s[0:1]
	v_add_u32_e32 v24, 1, v22
	v_cmp_le_u32_e64 s[0:1], s21, v23
	s_nop 1
	v_cndmask_b32_e64 v22, v22, v24, s[0:1]
	v_xor_b32_e32 v22, s19, v22
	v_subrev_u32_e32 v22, s19, v22
	v_add_u32_e32 v23, s41, v22
	v_sub_u32_e32 v25, 0, v23
	v_ashrrev_i32_e32 v24, 31, v23
	v_max_i32_e32 v23, v23, v25
	v_mul_hi_u32 v25, v23, v12
	v_mul_lo_u32 v25, v25, s15
	v_sub_u32_e32 v23, v23, v25
	v_subrev_u32_e32 v25, s15, v23
	v_cmp_le_u32_e64 s[0:1], s15, v23
	v_cmp_ge_i32_e64 s[8:9], s16, v22
	s_nop 0
	v_cndmask_b32_e64 v23, v23, v25, s[0:1]
	v_subrev_u32_e32 v25, s15, v23
	v_cmp_le_u32_e64 s[0:1], s15, v23
	s_nop 1
	v_cndmask_b32_e64 v23, v23, v25, s[0:1]
	v_xor_b32_e32 v23, v23, v24
	v_sub_u32_e32 v23, v23, v24
	v_cmp_ne_u32_e64 s[0:1], 0, v23
	s_and_b64 s[0:1], s[0:1], s[8:9]
	s_and_b64 s[38:39], vcc, s[0:1]
	s_and_saveexec_b64 s[8:9], s[38:39]
	s_cbranch_execz .LBB74_15
; %bb.14:                               ;   in Loop: Header=BB74_13 Depth=1
	ds_write_b32 v14, v16
.LBB74_15:                              ;   in Loop: Header=BB74_13 Depth=1
	s_or_b64 exec, exec, s[8:9]
	s_xor_b64 s[0:1], s[0:1], -1
	s_and_saveexec_b64 s[8:9], s[0:1]
	s_cbranch_execz .LBB74_12
; %bb.16:                               ;   in Loop: Header=BB74_13 Depth=1
	global_load_dword v22, v[4:5], off
	s_waitcnt vmcnt(0)
	v_mad_i64_i32 v[22:23], s[0:1], v22, s30, 0
	v_lshl_add_u64 v[22:23], v[22:23], 1, v[2:3]
	global_load_dword v24, v[22:23], off
	global_load_dword v25, v[22:23], off offset:256
	global_load_dword v26, v[22:23], off offset:512
	;; [unrolled: 1-line block ×9, first 2 shown]
	ds_read_b32 v22, v8
	v_cmp_lt_i32_e64 s[0:1], v19, v18
	s_waitcnt lgkmcnt(0)
	v_lshrrev_b32_e32 v34, 16, v22
	v_and_b32_e32 v22, 0xffff, v22
	;;#ASMSTART
	v_cvt_f32_f16 v22, v22;
	;;#ASMEND
	;;#ASMSTART
	v_cvt_f32_f16 v34, v34;
	;;#ASMEND
	v_cndmask_b32_e64 v23, v17, v19, s[0:1]
	v_lshlrev_b32_e32 v23, 2, v23
	v_cmp_lt_i32_e64 s[0:1], v20, v18
	s_waitcnt vmcnt(9)
	v_lshrrev_b32_e32 v35, 16, v24
	v_and_b32_e32 v24, 0xffff, v24
	;;#ASMSTART
	v_cvt_f32_f16 v24, v24;
	;;#ASMEND
	;;#ASMSTART
	v_cvt_f32_f16 v35, v35;
	;;#ASMEND
	ds_read_b32 v36, v8 offset:4
	s_waitcnt vmcnt(8)
	v_lshrrev_b32_e32 v37, 16, v25
	v_and_b32_e32 v25, 0xffff, v25
	s_waitcnt vmcnt(7)
	v_lshrrev_b32_e32 v38, 16, v26
	v_and_b32_e32 v26, 0xffff, v26
	s_waitcnt lgkmcnt(0)
	v_lshrrev_b32_e32 v39, 16, v36
	v_and_b32_e32 v36, 0xffff, v36
	;;#ASMSTART
	v_cvt_f32_f16 v36, v36;
	;;#ASMEND
	;;#ASMSTART
	v_cvt_f32_f16 v39, v39;
	;;#ASMEND
	;; [unrolled: 3-line block ×4, first 2 shown]
	ds_read_b32 v40, v8 offset:8
	s_waitcnt vmcnt(6)
	v_lshrrev_b32_e32 v41, 16, v27
	v_and_b32_e32 v27, 0xffff, v27
	s_waitcnt vmcnt(5)
	v_lshrrev_b32_e32 v42, 16, v28
	v_and_b32_e32 v28, 0xffff, v28
	s_waitcnt lgkmcnt(0)
	v_lshrrev_b32_e32 v43, 16, v40
	v_and_b32_e32 v40, 0xffff, v40
	;;#ASMSTART
	v_cvt_f32_f16 v40, v40;
	;;#ASMEND
	;;#ASMSTART
	v_cvt_f32_f16 v43, v43;
	;;#ASMEND
	;; [unrolled: 3-line block ×4, first 2 shown]
	ds_read_b32 v44, v8 offset:12
	s_waitcnt vmcnt(4)
	v_lshrrev_b32_e32 v45, 16, v29
	v_and_b32_e32 v29, 0xffff, v29
	v_mul_f32_e32 v25, v36, v25
	v_mul_f32_e32 v36, v39, v37
	s_waitcnt lgkmcnt(0)
	v_lshrrev_b32_e32 v47, 16, v44
	v_and_b32_e32 v44, 0xffff, v44
	;;#ASMSTART
	v_cvt_f32_f16 v44, v44;
	;;#ASMEND
	;;#ASMSTART
	v_cvt_f32_f16 v47, v47;
	;;#ASMEND
	;;#ASMSTART
	v_cvt_f32_f16 v27, v27;
	;;#ASMEND
	;;#ASMSTART
	v_cvt_f32_f16 v41, v41;
	;;#ASMEND
	ds_read_b32 v48, v8 offset:16
	s_waitcnt vmcnt(3)
	v_lshrrev_b32_e32 v46, 16, v30
	v_and_b32_e32 v30, 0xffff, v30
	v_fmac_f32_e32 v25, v22, v24
	v_fmac_f32_e32 v36, v34, v35
	s_waitcnt lgkmcnt(0)
	v_lshrrev_b32_e32 v51, 16, v48
	v_and_b32_e32 v48, 0xffff, v48
	;;#ASMSTART
	v_cvt_f32_f16 v48, v48;
	;;#ASMEND
	;;#ASMSTART
	v_cvt_f32_f16 v51, v51;
	;;#ASMEND
	;; [unrolled: 3-line block ×4, first 2 shown]
	ds_read_b32 v52, v8 offset:20
	v_fmac_f32_e32 v25, v40, v26
	v_fmac_f32_e32 v25, v44, v27
	s_waitcnt vmcnt(2)
	v_lshrrev_b32_e32 v49, 16, v31
	v_and_b32_e32 v31, 0xffff, v31
	s_waitcnt lgkmcnt(0)
	v_lshrrev_b32_e32 v37, 16, v52
	v_and_b32_e32 v39, 0xffff, v52
	;;#ASMSTART
	v_cvt_f32_f16 v39, v39;
	;;#ASMEND
	;;#ASMSTART
	v_cvt_f32_f16 v37, v37;
	;;#ASMEND
	;; [unrolled: 3-line block ×4, first 2 shown]
	ds_read_b32 v52, v8 offset:24
	v_fmac_f32_e32 v25, v48, v28
	v_fmac_f32_e32 v36, v43, v38
	;; [unrolled: 1-line block ×4, first 2 shown]
	s_waitcnt lgkmcnt(0)
	v_lshrrev_b32_e32 v22, 16, v52
	v_and_b32_e32 v24, 0xffff, v52
	;;#ASMSTART
	v_cvt_f32_f16 v24, v24;
	;;#ASMEND
	;;#ASMSTART
	v_cvt_f32_f16 v22, v22;
	;;#ASMEND
	;; [unrolled: 3-line block ×4, first 2 shown]
	ds_read_b32 v34, v8 offset:28
	v_fmac_f32_e32 v25, v39, v29
	v_fmac_f32_e32 v36, v37, v45
	;; [unrolled: 1-line block ×4, first 2 shown]
	s_waitcnt lgkmcnt(0)
	v_lshrrev_b32_e32 v27, 16, v34
	v_and_b32_e32 v28, 0xffff, v34
	;;#ASMSTART
	v_cvt_f32_f16 v28, v28;
	;;#ASMEND
	;;#ASMSTART
	v_cvt_f32_f16 v27, v27;
	;;#ASMEND
	;; [unrolled: 3-line block ×4, first 2 shown]
	ds_read_b32 v35, v8 offset:32
	s_waitcnt vmcnt(1)
	v_lshrrev_b32_e32 v50, 16, v32
	v_and_b32_e32 v32, 0xffff, v32
	v_fmac_f32_e32 v25, v28, v31
	v_fmac_f32_e32 v36, v27, v34
	s_waitcnt lgkmcnt(0)
	v_lshrrev_b32_e32 v22, 16, v35
	v_and_b32_e32 v24, 0xffff, v35
	;;#ASMSTART
	v_cvt_f32_f16 v24, v24;
	;;#ASMEND
	;;#ASMSTART
	v_cvt_f32_f16 v22, v22;
	;;#ASMEND
	;; [unrolled: 3-line block ×4, first 2 shown]
	ds_read_b32 v30, v8 offset:36
	v_fmac_f32_e32 v25, v24, v26
	v_fmac_f32_e32 v36, v22, v29
	s_waitcnt vmcnt(0)
	v_lshrrev_b32_e32 v53, 16, v33
	v_and_b32_e32 v33, 0xffff, v33
	s_waitcnt lgkmcnt(0)
	v_lshrrev_b32_e32 v22, 16, v30
	v_and_b32_e32 v24, 0xffff, v30
	;;#ASMSTART
	v_cvt_f32_f16 v24, v24;
	;;#ASMEND
	;;#ASMSTART
	v_cvt_f32_f16 v22, v22;
	;;#ASMEND
	;;#ASMSTART
	v_cvt_f32_f16 v26, v33;
	;;#ASMEND
	;;#ASMSTART
	v_cvt_f32_f16 v27, v53;
	;;#ASMEND
	s_nop 0
	v_fmac_f32_e32 v25, v24, v26
	v_fmac_f32_e32 v36, v22, v27
	v_add_f32_e32 v22, v25, v36
	ds_bpermute_b32 v23, v23, v22
	v_cndmask_b32_e64 v24, v17, v20, s[0:1]
	s_waitcnt lgkmcnt(0)
	v_add_f32_e32 v22, v22, v23
	v_lshlrev_b32_e32 v23, 2, v24
	ds_bpermute_b32 v23, v23, v22
	s_and_saveexec_b64 s[38:39], vcc
	s_cbranch_execz .LBB74_11
; %bb.17:                               ;   in Loop: Header=BB74_13 Depth=1
	v_add_u32_e32 v24, v15, v13
	v_cvt_f32_i32_e32 v24, v24
	s_waitcnt lgkmcnt(0)
	v_add_f32_e32 v22, v22, v23
	v_add_u32_e32 v25, v7, v13
	v_cmp_gt_i32_e64 s[0:1], s33, v25
	v_mul_f32_e32 v23, s43, v24
	v_cndmask_b32_e64 v23, 0, v23, s[2:3]
	v_fmac_f32_e32 v23, s31, v22
	v_cndmask_b32_e64 v22, 0, v23, s[0:1]
	ds_write_b32 v14, v22
	v_max_f32_e32 v22, v11, v11
	v_max_f32_e32 v22, v22, v23
	v_cndmask_b32_e64 v11, v11, v22, s[0:1]
	s_branch .LBB74_11
.LBB74_18:
	s_or_b64 exec, exec, s[36:37]
.LBB74_19:
	s_or_b64 exec, exec, s[34:35]
	v_mbcnt_hi_u32_b32 v2, -1, v6
	v_and_b32_e32 v3, 64, v2
	v_add_u32_e32 v3, 64, v3
	v_xor_b32_e32 v4, 32, v2
	v_cmp_lt_i32_e32 vcc, v4, v3
	v_xor_b32_e32 v7, 16, v2
	v_max_f32_e32 v6, v11, v11
	v_cndmask_b32_e32 v4, v2, v4, vcc
	v_lshlrev_b32_e32 v5, 2, v4
	ds_bpermute_b32 v4, v5, v11
	v_cmp_lt_i32_e32 vcc, v7, v3
	v_xor_b32_e32 v8, 8, v2
	v_xor_b32_e32 v12, 4, v2
	s_waitcnt lgkmcnt(0)
	v_max_f32_e32 v4, v4, v4
	v_max_f32_e32 v4, v6, v4
	v_cndmask_b32_e32 v6, v2, v7, vcc
	v_lshlrev_b32_e32 v6, 2, v6
	ds_bpermute_b32 v7, v6, v4
	v_cmp_lt_i32_e32 vcc, v8, v3
	s_waitcnt lgkmcnt(0)
	v_max_f32_e32 v7, v7, v7
	v_max_f32_e32 v4, v4, v7
	v_cndmask_b32_e32 v7, v2, v8, vcc
	v_lshlrev_b32_e32 v11, 2, v7
	ds_bpermute_b32 v7, v11, v4
	v_cmp_lt_i32_e32 vcc, v12, v3
	s_waitcnt lgkmcnt(0)
	v_max_f32_e32 v7, v7, v7
	v_max_f32_e32 v8, v4, v7
	v_cndmask_b32_e32 v4, v2, v12, vcc
	v_lshlrev_b32_e32 v12, 2, v4
	ds_bpermute_b32 v13, v12, v8
	v_and_b32_e32 v4, 63, v0
	v_cmp_eq_u32_e32 vcc, 0, v4
	v_lshlrev_b32_e32 v7, 2, v1
	s_and_saveexec_b64 s[0:1], vcc
	s_cbranch_execz .LBB74_21
; %bb.20:
	s_waitcnt lgkmcnt(0)
	v_max_f32_e32 v13, v13, v13
	v_max_f32_e32 v8, v8, v8
	v_max_f32_e32 v8, v8, v13
	ds_write_b32 v7, v8 offset:160
.LBB74_21:
	s_or_b64 exec, exec, s[0:1]
	v_cmp_gt_u32_e64 s[0:1], 2, v4
	s_waitcnt lgkmcnt(0)
	v_mov_b32_e32 v13, 0xff7fffff
	v_lshlrev_b32_e32 v8, 2, v4
	s_barrier
	s_and_saveexec_b64 s[2:3], s[0:1]
	s_cbranch_execz .LBB74_23
; %bb.22:
	ds_read_b32 v13, v8 offset:160
.LBB74_23:
	s_or_b64 exec, exec, s[2:3]
	v_xor_b32_e32 v14, 1, v2
	v_cmp_lt_i32_e64 s[2:3], v14, v3
	v_lshlrev_b32_e32 v15, 2, v2
	s_nop 0
	v_cndmask_b32_e64 v14, v2, v14, s[2:3]
	v_lshlrev_b32_e32 v20, 2, v14
	s_waitcnt lgkmcnt(0)
	ds_bpermute_b32 v14, v20, v13
	v_max_f32_e32 v13, v13, v13
	s_lshl_b32 s2, s42, 4
	s_min_i32 s15, s2, s33
	v_cmp_gt_i32_e64 s[2:3], s15, v0
	s_waitcnt lgkmcnt(0)
	v_max_f32_e32 v14, v14, v14
	v_max_f32_e32 v14, v13, v14
	v_and_b32_e32 v13, 0x100, v15
	ds_bpermute_b32 v15, v13, v14
	v_mov_b32_e32 v14, 0
	s_and_saveexec_b64 s[30:31], s[2:3]
	s_cbranch_execz .LBB74_27
; %bb.24:
	v_mov_b32_e32 v14, 0xb0
	v_lshl_add_u32 v16, v0, 2, v14
	s_mov_b64 s[34:35], 0
	v_mov_b32_e32 v14, 0
	v_mov_b32_e32 v17, v0
.LBB74_25:                              ; =>This Inner Loop Header: Depth=1
	ds_read_b32 v18, v16
	v_add_u32_e32 v17, 0x80, v17
	v_cmp_le_i32_e64 s[8:9], s15, v17
	s_or_b64 s[34:35], s[8:9], s[34:35]
	s_waitcnt lgkmcnt(0)
	v_sub_f32_e32 v18, v18, v15
	v_mul_f32_e32 v18, 0x3fb8aa3b, v18
	v_exp_f32_e32 v18, v18
	ds_write_b32 v16, v18
	v_add_f32_e32 v14, v14, v18
	v_add_u32_e32 v16, 0x200, v16
	s_andn2_b64 exec, exec, s[34:35]
	s_cbranch_execnz .LBB74_25
; %bb.26:
	s_or_b64 exec, exec, s[34:35]
.LBB74_27:
	s_or_b64 exec, exec, s[30:31]
	ds_bpermute_b32 v5, v5, v14
	s_waitcnt lgkmcnt(0)
	v_add_f32_e32 v5, v14, v5
	ds_bpermute_b32 v6, v6, v5
	s_waitcnt lgkmcnt(0)
	v_add_f32_e32 v5, v5, v6
	ds_bpermute_b32 v6, v11, v5
	v_xor_b32_e32 v11, 2, v2
	v_cmp_lt_i32_e64 s[8:9], v11, v3
	s_waitcnt lgkmcnt(0)
	v_add_f32_e32 v5, v5, v6
	ds_bpermute_b32 v6, v12, v5
	v_cndmask_b32_e64 v2, v2, v11, s[8:9]
	v_lshlrev_b32_e32 v2, 2, v2
	s_waitcnt lgkmcnt(0)
	v_add_f32_e32 v3, v5, v6
	ds_bpermute_b32 v2, v2, v3
	s_waitcnt lgkmcnt(0)
	v_add_f32_e32 v2, v3, v2
	ds_bpermute_b32 v3, v20, v2
	s_waitcnt lgkmcnt(0)
	v_add_f32_e32 v2, v2, v3
	s_and_saveexec_b64 s[8:9], vcc
	s_cbranch_execz .LBB74_29
; %bb.28:
	ds_write_b32 v7, v2 offset:168
.LBB74_29:
	s_or_b64 exec, exec, s[8:9]
	s_waitcnt lgkmcnt(0)
	s_barrier
	s_and_saveexec_b64 s[8:9], s[0:1]
	s_cbranch_execz .LBB74_31
; %bb.30:
	ds_read_b32 v2, v8 offset:168
.LBB74_31:
	s_or_b64 exec, exec, s[8:9]
	s_waitcnt lgkmcnt(0)
	ds_bpermute_b32 v3, v20, v2
	s_waitcnt lgkmcnt(0)
	v_add_f32_e32 v2, v2, v3
	ds_bpermute_b32 v2, v13, v2
	s_and_saveexec_b64 s[0:1], s[2:3]
	s_cbranch_execz .LBB74_44
; %bb.32:
	s_waitcnt lgkmcnt(0)
	v_add_f32_e32 v2, 0x358637bd, v2
	v_div_scale_f32 v3, s[2:3], v2, v2, 1.0
	v_rcp_f32_e32 v5, v3
	v_div_scale_f32 v6, vcc, 1.0, v2, 1.0
	s_movk_i32 s2, 0x7f
	v_fma_f32 v7, -v3, v5, 1.0
	v_fmac_f32_e32 v5, v7, v5
	v_mul_f32_e32 v7, v6, v5
	v_fma_f32 v8, -v3, v7, v6
	v_fmac_f32_e32 v7, v8, v5
	v_fma_f32 v3, -v3, v7, v6
	v_div_fmas_f32 v3, v3, v5, v7
	v_xad_u32 v5, v0, -1, s15
	v_div_fixup_f32 v2, v3, v2, 1.0
	v_cmp_lt_u32_e32 vcc, s2, v5
	s_mov_b64 s[8:9], -1
	v_mov_b32_e32 v3, v0
	s_and_saveexec_b64 s[2:3], vcc
	s_cbranch_execz .LBB74_41
; %bb.33:
	v_lshrrev_b32_e32 v5, 7, v5
	v_add_u32_e32 v7, -1, v5
	v_lshrrev_b32_e32 v6, 1, v7
	v_mov_b32_e32 v3, v2
	v_add_u32_e32 v6, 1, v6
	v_cmp_lt_u32_e32 vcc, 13, v7
	v_mov_b32_e32 v11, 0
	s_and_saveexec_b64 s[8:9], vcc
	s_cbranch_execz .LBB74_37
; %bb.34:
	v_mov_b32_e32 v8, 0xb0
	v_and_b32_e32 v7, -8, v6
	v_lshl_add_u32 v8, v0, 2, v8
	s_mov_b32 s16, 0
	s_mov_b64 s[30:31], 0
.LBB74_35:                              ; =>This Inner Loop Header: Depth=1
	ds_read2st64_b32 v[12:13], v8 offset1:2
	ds_read2st64_b32 v[14:15], v8 offset0:4 offset1:6
	ds_read2st64_b32 v[16:17], v8 offset0:8 offset1:10
	;; [unrolled: 1-line block ×3, first 2 shown]
	v_add_u32_e32 v7, -8, v7
	s_waitcnt lgkmcnt(3)
	v_pk_mul_f32 v[12:13], v[2:3], v[12:13]
	s_waitcnt lgkmcnt(2)
	v_pk_mul_f32 v[14:15], v[2:3], v[14:15]
	ds_write2st64_b32 v8, v12, v13 offset1:2
	ds_write2st64_b32 v8, v14, v15 offset0:4 offset1:6
	ds_read2st64_b32 v[14:15], v8 offset0:16 offset1:18
	s_waitcnt lgkmcnt(4)
	v_pk_mul_f32 v[12:13], v[2:3], v[16:17]
	ds_write2st64_b32 v8, v12, v13 offset0:8 offset1:10
	s_waitcnt lgkmcnt(4)
	v_pk_mul_f32 v[12:13], v[2:3], v[18:19]
	ds_write2st64_b32 v8, v12, v13 offset0:12 offset1:14
	ds_read2st64_b32 v[12:13], v8 offset0:20 offset1:22
	s_waitcnt lgkmcnt(3)
	v_pk_mul_f32 v[14:15], v[2:3], v[14:15]
	ds_read2st64_b32 v[16:17], v8 offset0:24 offset1:26
	ds_write2st64_b32 v8, v14, v15 offset0:16 offset1:18
	ds_read2st64_b32 v[14:15], v8 offset0:28 offset1:30
	s_waitcnt lgkmcnt(3)
	v_pk_mul_f32 v[12:13], v[2:3], v[12:13]
	ds_write2st64_b32 v8, v12, v13 offset0:20 offset1:22
	s_waitcnt lgkmcnt(3)
	v_pk_mul_f32 v[12:13], v[2:3], v[16:17]
	ds_write2st64_b32 v8, v12, v13 offset0:24 offset1:26
	s_waitcnt lgkmcnt(2)
	v_pk_mul_f32 v[12:13], v[2:3], v[14:15]
	s_add_i32 s16, s16, 16
	v_cmp_eq_u32_e32 vcc, 0, v7
	ds_write2st64_b32 v8, v12, v13 offset0:28 offset1:30
	v_add_u32_e32 v8, 0x2000, v8
	s_or_b64 s[30:31], vcc, s[30:31]
	v_mov_b32_e32 v11, s16
	s_andn2_b64 exec, exec, s[30:31]
	s_cbranch_execnz .LBB74_35
; %bb.36:
	s_or_b64 exec, exec, s[30:31]
.LBB74_37:
	s_or_b64 exec, exec, s[8:9]
	v_and_b32_e32 v6, 7, v6
	v_cmp_ne_u32_e32 vcc, 0, v6
	s_and_saveexec_b64 s[8:9], vcc
	s_cbranch_execz .LBB74_40
; %bb.38:
	v_lshlrev_b32_e32 v7, 9, v11
	v_lshlrev_b32_e32 v8, 2, v0
	s_movk_i32 s16, 0xb0
	v_add3_u32 v7, v7, v8, s16
	s_mov_b64 s[30:31], 0
.LBB74_39:                              ; =>This Inner Loop Header: Depth=1
	ds_read2st64_b32 v[12:13], v7 offset1:2
	v_add_u32_e32 v6, -1, v6
	v_cmp_eq_u32_e32 vcc, 0, v6
	s_or_b64 s[30:31], vcc, s[30:31]
	s_waitcnt lgkmcnt(0)
	v_pk_mul_f32 v[12:13], v[2:3], v[12:13]
	ds_write2st64_b32 v7, v12, v13 offset1:2
	v_add_u32_e32 v7, 0x400, v7
	s_andn2_b64 exec, exec, s[30:31]
	s_cbranch_execnz .LBB74_39
.LBB74_40:
	s_or_b64 exec, exec, s[8:9]
	v_add_u32_e32 v5, 1, v5
	v_and_b32_e32 v6, 0x3fffffe, v5
	v_cmp_ne_u32_e32 vcc, v5, v6
	v_lshl_add_u32 v3, v6, 7, v0
	s_orn2_b64 s[8:9], vcc, exec
.LBB74_41:
	s_or_b64 exec, exec, s[2:3]
	s_and_b64 exec, exec, s[8:9]
	s_cbranch_execz .LBB74_44
; %bb.42:
	v_mov_b32_e32 v5, 0xb0
	v_lshl_add_u32 v5, v3, 2, v5
	s_mov_b64 s[2:3], 0
.LBB74_43:                              ; =>This Inner Loop Header: Depth=1
	ds_read_b32 v6, v5
	v_add_u32_e32 v3, 0x80, v3
	v_cmp_le_i32_e32 vcc, s15, v3
	s_or_b64 s[2:3], vcc, s[2:3]
	s_waitcnt lgkmcnt(0)
	v_mul_f32_e32 v6, v2, v6
	ds_write_b32 v5, v6
	v_add_u32_e32 v5, 0x200, v5
	s_andn2_b64 exec, exec, s[2:3]
	s_cbranch_execnz .LBB74_43
.LBB74_44:
	s_or_b64 exec, exec, s[0:1]
	s_mov_b32 s0, 0
	v_mov_b32_e32 v8, 0
	v_lshrrev_b32_e32 v22, 1, v4
	v_and_b32_e32 v21, 1, v0
	v_mov_b32_e32 v7, 0
	v_mov_b32_e32 v6, 0
	s_waitcnt lgkmcnt(0)
	s_barrier
	s_and_saveexec_b64 s[8:9], s[6:7]
	s_cbranch_execz .LBB74_58
; %bb.45:
	s_ashr_i32 s15, s14, 31
	s_sub_i32 s30, s12, s17
	s_lshl_b64 s[2:3], s[14:15], 1
	s_add_u32 s6, s28, s2
	s_addc_u32 s7, s29, s3
	s_abs_i32 s18, s18
	v_cvt_f32_u32_e32 v5, s18
	v_lshlrev_b32_e32 v2, 3, v0
	v_and_b32_e32 v23, 8, v2
	v_or_b32_e32 v3, 64, v22
	s_movk_i32 s1, 0x50
	v_cmp_gt_u32_e32 vcc, s1, v3
	v_lshl_or_b32 v4, v3, 4, v23
	v_rcp_iflag_f32_e32 v3, v5
	s_add_i32 s28, s42, -1
	s_sub_i32 s1, 0, s18
	s_lshl_b64 s[2:3], s[26:27], 2
	v_mul_f32_e32 v3, 0x4f7ffffe, v3
	v_cvt_u32_f32_e32 v3, v3
	s_add_u32 s2, s24, s2
	v_mov_b32_e32 v11, 0
	v_and_b32_e32 v10, 60, v10
	v_mul_lo_u32 v5, s1, v3
	v_mul_hi_u32 v5, v3, v5
	s_addc_u32 s3, s25, s3
	v_add_u32_e32 v24, v3, v5
	v_lshl_add_u64 v[12:13], s[2:3], 0, v[10:11]
	v_lshlrev_b32_e32 v3, 5, v21
	s_mov_b32 s2, s0
	v_lshl_or_b32 v2, v22, 4, v23
	v_lshl_or_b32 v3, v1, 6, v3
	s_mov_b32 s1, s0
	v_mov_b32_e32 v8, s2
	s_mov_b32 s31, s13
	s_mov_b32 s29, s33
	s_mov_b32 s34, s33
	s_mov_b32 s35, s33
	s_mov_b32 s36, s33
	s_mov_b32 s37, s33
	s_mov_b32 s38, s33
	s_mov_b32 s39, s33
	v_add_u32_e32 v25, 0xb0, v3
	s_mov_b64 s[12:13], 0
	v_mov_b32_e32 v7, s1
	v_mov_b32_e32 v6, s0
	v_lshlrev_b32_e32 v10, 1, v2
	s_mov_b32 s24, 0x5040100
	v_lshlrev_b32_e32 v14, 1, v4
	s_branch .LBB74_49
.LBB74_46:                              ;   in Loop: Header=BB74_49 Depth=1
	s_or_b64 exec, exec, s[16:17]
	s_waitcnt vmcnt(0)
	;;#ASMSTART
	v_pk_mul_f16 v2, v30, v2;

	;;#ASMEND
	;;#ASMSTART
	v_pk_mul_f16 v3, v29, v3;

	;;#ASMEND
	;; [unrolled: 4-line block ×4, first 2 shown]
	s_nop 0
	;;#ASMSTART
	v_pk_add_f16 v2, v2, v3;

	;;#ASMEND
	s_nop 0
	;;#ASMSTART
	v_pk_add_f16 v2, v2, v4;

	;;#ASMEND
	s_nop 0
	;;#ASMSTART
	v_pk_add_f16 v2, v2, v5;

	;;#ASMEND
	s_nop 0
	v_lshrrev_b32_e32 v3, 16, v2
	v_and_b32_e32 v2, 0xffff, v2
	;;#ASMSTART
	v_cvt_f32_f16 v2, v2;
	;;#ASMEND
	;;#ASMSTART
	v_cvt_f32_f16 v3, v3;
	;;#ASMEND
	s_nop 0
	v_add_f32_e32 v2, v2, v3
	v_add_f32_e32 v8, v8, v2
.LBB74_47:                              ;   in Loop: Header=BB74_49 Depth=1
	s_or_b64 exec, exec, s[2:3]
.LBB74_48:                              ;   in Loop: Header=BB74_49 Depth=1
	s_or_b64 exec, exec, s[14:15]
	v_add_u32_e32 v1, 2, v1
	v_cmp_le_i32_e64 s[0:1], s42, v1
	v_lshl_add_u64 v[12:13], v[12:13], 0, 8
	v_add_u32_e32 v9, 32, v9
	s_or_b64 s[12:13], s[0:1], s[12:13]
	v_add_u32_e32 v25, 0x80, v25
	s_andn2_b64 exec, exec, s[12:13]
	s_cbranch_execz .LBB74_57
.LBB74_49:                              ; =>This Inner Loop Header: Depth=1
	v_mul_hi_u32 v2, v9, s40
	v_mul_lo_u32 v3, v2, s21
	v_sub_u32_e32 v3, v9, v3
	v_add_u32_e32 v4, 1, v2
	v_cmp_le_u32_e64 s[0:1], s21, v3
	s_nop 1
	v_cndmask_b32_e64 v2, v2, v4, s[0:1]
	v_subrev_u32_e32 v4, s21, v3
	v_cndmask_b32_e64 v3, v3, v4, s[0:1]
	v_add_u32_e32 v4, 1, v2
	v_cmp_le_u32_e64 s[0:1], s21, v3
	s_nop 1
	v_cndmask_b32_e64 v2, v2, v4, s[0:1]
	v_xor_b32_e32 v2, s19, v2
	v_subrev_u32_e32 v2, s19, v2
	v_add_u32_e32 v3, s41, v2
	v_sub_u32_e32 v5, 0, v3
	v_ashrrev_i32_e32 v4, 31, v3
	v_max_i32_e32 v3, v3, v5
	v_mul_hi_u32 v5, v3, v24
	v_mul_lo_u32 v5, v5, s18
	v_sub_u32_e32 v3, v3, v5
	v_subrev_u32_e32 v5, s18, v3
	v_cmp_le_u32_e64 s[0:1], s18, v3
	v_cmp_lt_i32_e64 s[2:3], s30, v2
	s_nop 0
	v_cndmask_b32_e64 v3, v3, v5, s[0:1]
	v_subrev_u32_e32 v5, s18, v3
	v_cmp_le_u32_e64 s[0:1], s18, v3
	s_nop 1
	v_cndmask_b32_e64 v3, v3, v5, s[0:1]
	v_xor_b32_e32 v3, v3, v4
	v_sub_u32_e32 v3, v3, v4
	v_cmp_eq_u32_e64 s[0:1], 0, v3
	s_or_b64 s[0:1], s[0:1], s[2:3]
	s_and_saveexec_b64 s[14:15], s[0:1]
	s_cbranch_execz .LBB74_48
; %bb.50:                               ;   in Loop: Header=BB74_49 Depth=1
	global_load_dword v26, v[12:13], off
	ds_read2_b64 v[2:5], v25 offset1:1
	ds_read2_b64 v[16:19], v25 offset0:2 offset1:3
	s_waitcnt lgkmcnt(1)
	;;#ASMSTART
	v_cvt_f16_f32 v15, v2;

	;;#ASMEND
	;;#ASMSTART
	v_cvt_f16_f32 v27, v3;

	;;#ASMEND
	;; [unrolled: 4-line block ×4, first 2 shown]
	s_waitcnt lgkmcnt(0)
	;;#ASMSTART
	v_cvt_f16_f32 v31, v16;

	;;#ASMEND
	;;#ASMSTART
	v_cvt_f16_f32 v32, v17;

	;;#ASMEND
	;; [unrolled: 4-line block ×4, first 2 shown]
	s_waitcnt vmcnt(0)
	v_mad_i64_i32 v[2:3], s[0:1], v26, s31, 0
	v_lshl_add_u64 v[16:17], v[2:3], 1, s[6:7]
	v_lshl_add_u64 v[18:19], v[16:17], 0, v[10:11]
	global_load_dwordx4 v[2:5], v[18:19], off
	v_add_u32_e32 v26, v23, v9
	v_cmp_eq_u32_e64 s[0:1], s28, v1
	s_and_saveexec_b64 s[16:17], s[0:1]
	s_cbranch_execz .LBB74_52
; %bb.51:                               ;   in Loop: Header=BB74_49 Depth=1
	v_or_b32_e32 v39, 7, v26
	v_or_b32_e32 v40, 6, v26
	s_waitcnt vmcnt(0)
	v_lshrrev_b32_e32 v41, 16, v5
	v_cmp_gt_i32_e64 s[2:3], s39, v39
	v_or_b32_e32 v37, 5, v26
	v_or_b32_e32 v38, 4, v26
	v_cndmask_b32_e64 v39, 0, v41, s[2:3]
	v_cmp_gt_i32_e64 s[2:3], s38, v40
	v_or_b32_e32 v35, 3, v26
	v_or_b32_e32 v36, 2, v26
	v_cndmask_b32_e64 v5, 0, v5, s[2:3]
	v_perm_b32 v5, v39, v5, s24
	v_lshrrev_b32_e32 v39, 16, v4
	v_cmp_gt_i32_e64 s[2:3], s37, v37
	v_add_u32_e32 v30, 1, v26
	s_nop 0
	v_cndmask_b32_e64 v37, 0, v39, s[2:3]
	v_cmp_gt_i32_e64 s[2:3], s36, v38
	s_nop 1
	v_cndmask_b32_e64 v4, 0, v4, s[2:3]
	v_perm_b32 v4, v37, v4, s24
	v_lshrrev_b32_e32 v37, 16, v3
	v_cmp_gt_i32_e64 s[2:3], s35, v35
	s_nop 1
	v_cndmask_b32_e64 v35, 0, v37, s[2:3]
	v_cmp_gt_i32_e64 s[2:3], s34, v36
	s_nop 1
	v_cndmask_b32_e64 v3, 0, v3, s[2:3]
	v_perm_b32 v3, v35, v3, s24
	v_lshrrev_b32_e32 v35, 16, v2
	v_cmp_gt_i32_e64 s[2:3], s29, v30
	s_nop 1
	v_cndmask_b32_e64 v30, 0, v35, s[2:3]
	v_cmp_gt_i32_e64 s[2:3], s33, v26
	s_nop 1
	v_cndmask_b32_e64 v2, 0, v2, s[2:3]
	v_perm_b32 v2, v30, v2, s24
.LBB74_52:                              ;   in Loop: Header=BB74_49 Depth=1
	s_or_b64 exec, exec, s[16:17]
	v_and_b32_e32 v15, 0xffff, v15
	v_lshl_or_b32 v30, v27, 16, v15
	v_and_b32_e32 v15, 0xffff, v28
	v_lshl_or_b32 v29, v29, 16, v15
	;; [unrolled: 2-line block ×3, first 2 shown]
	v_and_b32_e32 v15, 0xffff, v33
	s_waitcnt vmcnt(0)
	;;#ASMSTART
	v_pk_mul_f16 v2, v30, v2;

	;;#ASMEND
	v_lshl_or_b32 v27, v34, 16, v15
	;;#ASMSTART
	v_pk_mul_f16 v3, v29, v3;

	;;#ASMEND
	;;#ASMSTART
	v_pk_mul_f16 v4, v28, v4;

	;;#ASMEND
	;; [unrolled: 4-line block ×3, first 2 shown]
	s_nop 0
	;;#ASMSTART
	v_pk_add_f16 v2, v2, v3;

	;;#ASMEND
	s_nop 0
	;;#ASMSTART
	v_pk_add_f16 v2, v2, v4;

	;;#ASMEND
	;; [unrolled: 5-line block ×3, first 2 shown]
	s_nop 0
	v_lshrrev_b32_e32 v3, 16, v2
	v_and_b32_e32 v2, 0xffff, v2
	;;#ASMSTART
	v_cvt_f32_f16 v15, v2;
	;;#ASMEND
	;;#ASMSTART
	v_cvt_f32_f16 v31, v3;
	;;#ASMEND
	global_load_dwordx4 v[2:5], v[18:19], off offset:1024
	s_and_saveexec_b64 s[16:17], s[0:1]
	s_cbranch_execz .LBB74_54
; %bb.53:                               ;   in Loop: Header=BB74_49 Depth=1
	v_or_b32_e32 v35, 7, v26
	v_or_b32_e32 v36, 6, v26
	s_waitcnt vmcnt(0)
	v_lshrrev_b32_e32 v37, 16, v5
	v_cmp_gt_i32_e64 s[2:3], s39, v35
	v_or_b32_e32 v33, 5, v26
	v_or_b32_e32 v34, 4, v26
	v_cndmask_b32_e64 v35, 0, v37, s[2:3]
	v_cmp_gt_i32_e64 s[2:3], s38, v36
	v_or_b32_e32 v19, 3, v26
	v_or_b32_e32 v32, 2, v26
	v_cndmask_b32_e64 v5, 0, v5, s[2:3]
	v_perm_b32 v5, v35, v5, s24
	v_lshrrev_b32_e32 v35, 16, v4
	v_cmp_gt_i32_e64 s[2:3], s37, v33
	v_add_u32_e32 v18, 1, v26
	s_nop 0
	v_cndmask_b32_e64 v33, 0, v35, s[2:3]
	v_cmp_gt_i32_e64 s[2:3], s36, v34
	s_nop 1
	v_cndmask_b32_e64 v4, 0, v4, s[2:3]
	v_perm_b32 v4, v33, v4, s24
	v_lshrrev_b32_e32 v33, 16, v3
	v_cmp_gt_i32_e64 s[2:3], s35, v19
	s_nop 1
	v_cndmask_b32_e64 v19, 0, v33, s[2:3]
	v_cmp_gt_i32_e64 s[2:3], s34, v32
	s_nop 1
	v_cndmask_b32_e64 v3, 0, v3, s[2:3]
	v_perm_b32 v3, v19, v3, s24
	v_lshrrev_b32_e32 v19, 16, v2
	v_cmp_gt_i32_e64 s[2:3], s29, v18
	s_nop 1
	v_cndmask_b32_e64 v18, 0, v19, s[2:3]
	v_cmp_gt_i32_e64 s[2:3], s33, v26
	s_nop 1
	v_cndmask_b32_e64 v2, 0, v2, s[2:3]
	v_perm_b32 v2, v18, v2, s24
.LBB74_54:                              ;   in Loop: Header=BB74_49 Depth=1
	s_or_b64 exec, exec, s[16:17]
	s_waitcnt vmcnt(0)
	;;#ASMSTART
	v_pk_mul_f16 v2, v30, v2;

	;;#ASMEND
	;;#ASMSTART
	v_pk_mul_f16 v3, v29, v3;

	;;#ASMEND
	;; [unrolled: 4-line block ×4, first 2 shown]
	v_add_f32_e32 v15, v15, v31
	;;#ASMSTART
	v_pk_add_f16 v2, v2, v3;

	;;#ASMEND
	v_add_f32_e32 v6, v6, v15
	;;#ASMSTART
	v_pk_add_f16 v2, v2, v4;

	;;#ASMEND
	s_nop 0
	;;#ASMSTART
	v_pk_add_f16 v2, v2, v5;

	;;#ASMEND
	s_nop 0
	v_lshrrev_b32_e32 v3, 16, v2
	v_and_b32_e32 v2, 0xffff, v2
	;;#ASMSTART
	v_cvt_f32_f16 v2, v2;
	;;#ASMEND
	;;#ASMSTART
	v_cvt_f32_f16 v3, v3;
	;;#ASMEND
	s_nop 0
	v_add_f32_e32 v2, v2, v3
	v_add_f32_e32 v7, v7, v2
	s_and_saveexec_b64 s[2:3], vcc
	s_cbranch_execz .LBB74_47
; %bb.55:                               ;   in Loop: Header=BB74_49 Depth=1
	v_mov_b32_e32 v15, v11
	v_lshl_add_u64 v[2:3], v[16:17], 0, v[14:15]
	global_load_dwordx4 v[2:5], v[2:3], off
	s_and_saveexec_b64 s[16:17], s[0:1]
	s_cbranch_execz .LBB74_46
; %bb.56:                               ;   in Loop: Header=BB74_49 Depth=1
	v_or_b32_e32 v31, 7, v26
	v_or_b32_e32 v32, 6, v26
	s_waitcnt vmcnt(0)
	v_lshrrev_b32_e32 v33, 16, v5
	v_cmp_gt_i32_e64 s[0:1], s39, v31
	v_or_b32_e32 v18, 5, v26
	v_or_b32_e32 v19, 4, v26
	v_cndmask_b32_e64 v31, 0, v33, s[0:1]
	v_cmp_gt_i32_e64 s[0:1], s38, v32
	v_or_b32_e32 v16, 3, v26
	v_or_b32_e32 v17, 2, v26
	v_cndmask_b32_e64 v5, 0, v5, s[0:1]
	v_perm_b32 v5, v31, v5, s24
	v_lshrrev_b32_e32 v31, 16, v4
	v_cmp_gt_i32_e64 s[0:1], s37, v18
	v_add_u32_e32 v15, 1, v26
	s_nop 0
	v_cndmask_b32_e64 v18, 0, v31, s[0:1]
	v_cmp_gt_i32_e64 s[0:1], s36, v19
	s_nop 1
	v_cndmask_b32_e64 v4, 0, v4, s[0:1]
	v_perm_b32 v4, v18, v4, s24
	v_lshrrev_b32_e32 v18, 16, v3
	v_cmp_gt_i32_e64 s[0:1], s35, v16
	s_nop 1
	v_cndmask_b32_e64 v16, 0, v18, s[0:1]
	v_cmp_gt_i32_e64 s[0:1], s34, v17
	s_nop 1
	v_cndmask_b32_e64 v3, 0, v3, s[0:1]
	v_perm_b32 v3, v16, v3, s24
	v_lshrrev_b32_e32 v16, 16, v2
	v_cmp_gt_i32_e64 s[0:1], s29, v15
	s_nop 1
	v_cndmask_b32_e64 v15, 0, v16, s[0:1]
	v_cmp_gt_i32_e64 s[0:1], s33, v26
	s_nop 1
	v_cndmask_b32_e64 v2, 0, v2, s[0:1]
	v_perm_b32 v2, v15, v2, s24
	s_branch .LBB74_46
.LBB74_57:
	s_or_b64 exec, exec, s[12:13]
.LBB74_58:
	s_or_b64 exec, exec, s[8:9]
	ds_bpermute_b32 v2, v20, v6
	ds_bpermute_b32 v3, v20, v7
	;; [unrolled: 1-line block ×3, first 2 shown]
	v_and_b32_e32 v4, 0x3c0, v0
	v_cmp_eq_u32_e32 vcc, 64, v4
	s_waitcnt lgkmcnt(0)
	v_pk_add_f32 v[2:3], v[6:7], v[2:3]
	v_add_f32_e32 v1, v8, v1
	s_barrier
	s_and_saveexec_b64 s[2:3], vcc
	s_cbranch_execz .LBB74_63
; %bb.59:
	v_cmp_eq_u32_e32 vcc, 0, v21
	s_and_saveexec_b64 s[0:1], vcc
	s_cbranch_execz .LBB74_61
; %bb.60:
	v_mov_b32_e32 v4, 0xb0
	v_lshl_add_u32 v4, v22, 2, v4
	ds_write2_b32 v4, v2, v3 offset1:32
.LBB74_61:
	s_or_b64 exec, exec, s[0:1]
	v_or_b32_e32 v4, 64, v22
	s_movk_i32 s0, 0x50
	v_cmp_gt_u32_e64 s[0:1], s0, v4
	s_and_b64 s[0:1], vcc, s[0:1]
	s_and_b64 exec, exec, s[0:1]
	s_cbranch_execz .LBB74_63
; %bb.62:
	v_mov_b32_e32 v4, 0xb0
	v_lshl_add_u32 v4, v22, 2, v4
	ds_write_b32 v4, v1 offset:256
.LBB74_63:
	s_or_b64 exec, exec, s[2:3]
	v_cmp_gt_u32_e32 vcc, 64, v0
	v_lshrrev_b32_e32 v0, 1, v0
	s_waitcnt lgkmcnt(0)
	s_barrier
	s_and_saveexec_b64 s[6:7], vcc
	s_cbranch_execz .LBB74_71
; %bb.64:
	v_cmp_eq_u32_e64 s[0:1], 0, v21
	s_and_saveexec_b64 s[2:3], s[0:1]
	s_cbranch_execz .LBB74_66
; %bb.65:
	v_mov_b32_e32 v4, 0xb0
	v_lshl_add_u32 v4, v0, 2, v4
	ds_read_b32 v4, v4
	s_waitcnt lgkmcnt(0)
	v_add_f32_e32 v2, v2, v4
.LBB74_66:
	s_or_b64 exec, exec, s[2:3]
	s_and_saveexec_b64 s[2:3], s[0:1]
	s_cbranch_execz .LBB74_68
; %bb.67:
	v_mov_b32_e32 v4, 0xb0
	v_lshl_add_u32 v4, v0, 2, v4
	ds_read_b32 v4, v4 offset:128
	s_waitcnt lgkmcnt(0)
	v_add_f32_e32 v3, v3, v4
.LBB74_68:
	s_or_b64 exec, exec, s[2:3]
	v_or_b32_e32 v4, 64, v0
	s_movk_i32 s2, 0x50
	v_cmp_gt_u32_e64 s[2:3], s2, v4
	s_and_b64 s[2:3], s[0:1], s[2:3]
	s_and_saveexec_b64 s[0:1], s[2:3]
	s_cbranch_execz .LBB74_70
; %bb.69:
	v_mov_b32_e32 v4, 0xb0
	v_lshl_add_u32 v4, v0, 2, v4
	ds_read_b32 v4, v4 offset:256
	s_waitcnt lgkmcnt(0)
	v_add_f32_e32 v1, v1, v4
.LBB74_70:
	s_or_b64 exec, exec, s[0:1]
.LBB74_71:
	s_or_b64 exec, exec, s[6:7]
	s_barrier
	s_and_saveexec_b64 s[0:1], vcc
	s_cbranch_execz .LBB74_76
; %bb.72:
	s_mul_i32 s0, s10, s11
	s_mul_i32 s0, s0, s5
	s_mulk_i32 s0, 0x50
	s_ashr_i32 s1, s0, 31
	s_lshl_b64 s[0:1], s[0:1], 1
	s_add_u32 s2, s22, s0
	s_mul_i32 s0, s11, s20
	s_addc_u32 s3, s23, s1
	s_ashr_i32 s1, s0, 31
	s_lshl_b64 s[0:1], s[0:1], 1
	s_add_u32 s2, s2, s0
	s_mul_i32 s0, s4, 0x50
	s_addc_u32 s3, s3, s1
	s_ashr_i32 s1, s0, 31
	s_lshl_b64 s[0:1], s[0:1], 1
	s_add_u32 s2, s2, s0
	s_movk_i32 s5, 0x50
	s_addc_u32 s3, s3, s1
	v_cmp_eq_u32_e32 vcc, 0, v21
	v_lshlrev_b32_e32 v4, 1, v0
	s_and_saveexec_b64 s[0:1], vcc
	s_cbranch_execz .LBB74_74
; %bb.73:
	;;#ASMSTART
	v_cvt_f16_f32 v2, v2;

	;;#ASMEND
	global_store_short v4, v2, s[2:3]
	;;#ASMSTART
	v_cvt_f16_f32 v2, v3;

	;;#ASMEND
	global_store_short v4, v2, s[2:3] offset:64
.LBB74_74:
	s_or_b64 exec, exec, s[0:1]
	v_or_b32_e32 v0, 64, v0
	v_cmp_gt_u32_e64 s[0:1], s5, v0
	s_and_b64 s[0:1], vcc, s[0:1]
	s_and_b64 exec, exec, s[0:1]
	s_cbranch_execz .LBB74_76
; %bb.75:
	;;#ASMSTART
	v_cvt_f16_f32 v0, v1;

	;;#ASMEND
	global_store_short v4, v0, s[2:3] offset:128
.LBB74_76:
	s_endpgm
	.section	.rodata,"a",@progbits
	.p2align	6, 0x0
	.amdhsa_kernel _ZN4vllm25paged_attention_v1_kernelIttLi80ELi16ELi128ELNS_18Fp8KVCacheDataTypeE0ELb1EEEvPT_PKS2_PKT0_S8_ifPKiSA_iPKfiiiSC_SC_iiiii
		.amdhsa_group_segment_fixed_size 176
		.amdhsa_private_segment_fixed_size 0
		.amdhsa_kernarg_size 384
		.amdhsa_user_sgpr_count 2
		.amdhsa_user_sgpr_dispatch_ptr 0
		.amdhsa_user_sgpr_queue_ptr 0
		.amdhsa_user_sgpr_kernarg_segment_ptr 1
		.amdhsa_user_sgpr_dispatch_id 0
		.amdhsa_user_sgpr_kernarg_preload_length 0
		.amdhsa_user_sgpr_kernarg_preload_offset 0
		.amdhsa_user_sgpr_private_segment_size 0
		.amdhsa_uses_dynamic_stack 0
		.amdhsa_enable_private_segment 0
		.amdhsa_system_sgpr_workgroup_id_x 1
		.amdhsa_system_sgpr_workgroup_id_y 1
		.amdhsa_system_sgpr_workgroup_id_z 1
		.amdhsa_system_sgpr_workgroup_info 0
		.amdhsa_system_vgpr_workitem_id 0
		.amdhsa_next_free_vgpr 54
		.amdhsa_next_free_sgpr 44
		.amdhsa_accum_offset 56
		.amdhsa_reserve_vcc 1
		.amdhsa_float_round_mode_32 0
		.amdhsa_float_round_mode_16_64 0
		.amdhsa_float_denorm_mode_32 3
		.amdhsa_float_denorm_mode_16_64 3
		.amdhsa_dx10_clamp 1
		.amdhsa_ieee_mode 1
		.amdhsa_fp16_overflow 0
		.amdhsa_tg_split 0
		.amdhsa_exception_fp_ieee_invalid_op 0
		.amdhsa_exception_fp_denorm_src 0
		.amdhsa_exception_fp_ieee_div_zero 0
		.amdhsa_exception_fp_ieee_overflow 0
		.amdhsa_exception_fp_ieee_underflow 0
		.amdhsa_exception_fp_ieee_inexact 0
		.amdhsa_exception_int_div_zero 0
	.end_amdhsa_kernel
	.section	.text._ZN4vllm25paged_attention_v1_kernelIttLi80ELi16ELi128ELNS_18Fp8KVCacheDataTypeE0ELb1EEEvPT_PKS2_PKT0_S8_ifPKiSA_iPKfiiiSC_SC_iiiii,"axG",@progbits,_ZN4vllm25paged_attention_v1_kernelIttLi80ELi16ELi128ELNS_18Fp8KVCacheDataTypeE0ELb1EEEvPT_PKS2_PKT0_S8_ifPKiSA_iPKfiiiSC_SC_iiiii,comdat
.Lfunc_end74:
	.size	_ZN4vllm25paged_attention_v1_kernelIttLi80ELi16ELi128ELNS_18Fp8KVCacheDataTypeE0ELb1EEEvPT_PKS2_PKT0_S8_ifPKiSA_iPKfiiiSC_SC_iiiii, .Lfunc_end74-_ZN4vllm25paged_attention_v1_kernelIttLi80ELi16ELi128ELNS_18Fp8KVCacheDataTypeE0ELb1EEEvPT_PKS2_PKT0_S8_ifPKiSA_iPKfiiiSC_SC_iiiii
                                        ; -- End function
	.section	.AMDGPU.csdata,"",@progbits
; Kernel info:
; codeLenInByte = 6120
; NumSgprs: 50
; NumVgprs: 54
; NumAgprs: 0
; TotalNumVgprs: 54
; ScratchSize: 0
; MemoryBound: 0
; FloatMode: 240
; IeeeMode: 1
; LDSByteSize: 176 bytes/workgroup (compile time only)
; SGPRBlocks: 6
; VGPRBlocks: 6
; NumSGPRsForWavesPerEU: 50
; NumVGPRsForWavesPerEU: 54
; AccumOffset: 56
; Occupancy: 8
; WaveLimiterHint : 1
; COMPUTE_PGM_RSRC2:SCRATCH_EN: 0
; COMPUTE_PGM_RSRC2:USER_SGPR: 2
; COMPUTE_PGM_RSRC2:TRAP_HANDLER: 0
; COMPUTE_PGM_RSRC2:TGID_X_EN: 1
; COMPUTE_PGM_RSRC2:TGID_Y_EN: 1
; COMPUTE_PGM_RSRC2:TGID_Z_EN: 1
; COMPUTE_PGM_RSRC2:TIDIG_COMP_CNT: 0
; COMPUTE_PGM_RSRC3_GFX90A:ACCUM_OFFSET: 13
; COMPUTE_PGM_RSRC3_GFX90A:TG_SPLIT: 0
	.section	.text._ZN4vllm25paged_attention_v1_kernelIttLi96ELi16ELi128ELNS_18Fp8KVCacheDataTypeE0ELb1EEEvPT_PKS2_PKT0_S8_ifPKiSA_iPKfiiiSC_SC_iiiii,"axG",@progbits,_ZN4vllm25paged_attention_v1_kernelIttLi96ELi16ELi128ELNS_18Fp8KVCacheDataTypeE0ELb1EEEvPT_PKS2_PKT0_S8_ifPKiSA_iPKfiiiSC_SC_iiiii,comdat
	.protected	_ZN4vllm25paged_attention_v1_kernelIttLi96ELi16ELi128ELNS_18Fp8KVCacheDataTypeE0ELb1EEEvPT_PKS2_PKT0_S8_ifPKiSA_iPKfiiiSC_SC_iiiii ; -- Begin function _ZN4vllm25paged_attention_v1_kernelIttLi96ELi16ELi128ELNS_18Fp8KVCacheDataTypeE0ELb1EEEvPT_PKS2_PKT0_S8_ifPKiSA_iPKfiiiSC_SC_iiiii
	.globl	_ZN4vllm25paged_attention_v1_kernelIttLi96ELi16ELi128ELNS_18Fp8KVCacheDataTypeE0ELb1EEEvPT_PKS2_PKT0_S8_ifPKiSA_iPKfiiiSC_SC_iiiii
	.p2align	8
	.type	_ZN4vllm25paged_attention_v1_kernelIttLi96ELi16ELi128ELNS_18Fp8KVCacheDataTypeE0ELb1EEEvPT_PKS2_PKT0_S8_ifPKiSA_iPKfiiiSC_SC_iiiii,@function
_ZN4vllm25paged_attention_v1_kernelIttLi96ELi16ELi128ELNS_18Fp8KVCacheDataTypeE0ELb1EEEvPT_PKS2_PKT0_S8_ifPKiSA_iPKfiiiSC_SC_iiiii: ; @_ZN4vllm25paged_attention_v1_kernelIttLi96ELi16ELi128ELNS_18Fp8KVCacheDataTypeE0ELb1EEEvPT_PKS2_PKT0_S8_ifPKiSA_iPKfiiiSC_SC_iiiii
; %bb.0:
	s_load_dword s5, s[0:1], 0x80
	s_load_dwordx2 s[6:7], s[0:1], 0x30
	s_load_dwordx2 s[30:31], s[0:1], 0x20
	s_mov_b32 s10, s3
	s_ashr_i32 s11, s3, 31
	s_lshl_b64 s[8:9], s[10:11], 2
	s_waitcnt lgkmcnt(0)
	s_add_u32 s6, s6, s8
	s_addc_u32 s7, s7, s9
	s_abs_i32 s3, s30
	v_cvt_f32_u32_e32 v1, s3
	s_sub_i32 s11, 0, s3
	s_abs_i32 s9, s5
	s_xor_b32 s8, s5, s30
	v_rcp_iflag_f32_e32 v1, v1
	s_ashr_i32 s8, s8, 31
	s_mov_b32 s42, 0
	v_mul_f32_e32 v1, 0x4f7ffffe, v1
	v_cvt_u32_f32_e32 v1, v1
	s_nop 0
	v_readfirstlane_b32 s12, v1
	s_mul_i32 s11, s11, s12
	s_mul_hi_u32 s11, s12, s11
	s_add_i32 s12, s12, s11
	s_mul_hi_u32 s11, s9, s12
	s_mul_i32 s12, s11, s3
	s_sub_i32 s9, s9, s12
	s_add_i32 s12, s11, 1
	s_sub_i32 s13, s9, s3
	s_cmp_ge_u32 s9, s3
	s_cselect_b32 s11, s12, s11
	s_cselect_b32 s9, s13, s9
	s_add_i32 s12, s11, 1
	s_cmp_ge_u32 s9, s3
	s_cselect_b32 s3, s12, s11
	s_xor_b32 s3, s3, s8
	s_sub_i32 s16, s3, s8
	s_abs_i32 s11, s16
	v_cvt_f32_u32_e32 v1, s11
	s_load_dwordx2 s[8:9], s[0:1], 0x40
	s_sub_i32 s3, 0, s11
	s_abs_i32 s22, s2
	v_rcp_iflag_f32_e32 v1, v1
	s_nop 0
	v_mul_f32_e32 v1, 0x4f7ffffe, v1
	v_cvt_u32_f32_e32 v1, v1
	s_nop 0
	v_readfirstlane_b32 s12, v1
	s_mul_i32 s3, s3, s12
	s_mul_hi_u32 s3, s12, s3
	s_add_i32 s12, s12, s3
	s_waitcnt lgkmcnt(0)
	s_cmp_eq_u64 s[8:9], 0
	s_mul_hi_u32 s23, s22, s12
	s_cbranch_scc1 .LBB75_2
; %bb.1:
	s_ashr_i32 s3, s2, 31
	s_lshl_b64 s[12:13], s[2:3], 2
	s_add_u32 s8, s8, s12
	s_addc_u32 s9, s9, s13
	s_load_dword s42, s[8:9], 0x0
.LBB75_2:
	s_load_dword s33, s[6:7], 0x0
	s_load_dwordx4 s[12:15], s[0:1], 0x48
	s_ashr_i32 s3, s2, 31
	s_ashr_i32 s9, s16, 31
	v_and_b32_e32 v4, 3, v0
	s_mul_i32 s20, s2, 0x60
	v_cmp_gt_u32_e32 vcc, 48, v0
	s_and_saveexec_b64 s[6:7], vcc
	s_cbranch_execz .LBB75_4
; %bb.3:
	s_load_dwordx2 s[16:17], s[0:1], 0x8
	s_waitcnt lgkmcnt(0)
	s_mul_i32 s18, s10, s12
	s_ashr_i32 s19, s18, 31
	s_lshl_b64 s[18:19], s[18:19], 1
	v_lshlrev_b32_e32 v1, 2, v0
	s_add_u32 s8, s16, s18
	s_addc_u32 s12, s17, s19
	s_ashr_i32 s21, s20, 31
	s_lshl_b64 s[16:17], s[20:21], 1
	s_add_u32 s16, s8, s16
	s_addc_u32 s17, s12, s17
	global_load_dword v1, v1, s[16:17]
	v_and_b32_e32 v2, 0x3fc, v0
	v_mad_u32_u24 v2, v4, 48, v2
	s_waitcnt vmcnt(0)
	ds_write_b32 v2, v1
.LBB75_4:
	s_or_b64 exec, exec, s[6:7]
	s_mul_i32 s6, s23, s11
	s_sub_i32 s6, s22, s6
	s_xor_b32 s3, s3, s9
	s_add_i32 s7, s23, 1
	s_sub_i32 s9, s6, s11
	s_load_dwordx4 s[16:19], s[0:1], 0x68
	s_load_dword s8, s[0:1], 0x78
	s_cmp_ge_u32 s6, s11
	s_cselect_b32 s7, s7, s23
	s_cselect_b32 s6, s9, s6
	s_add_i32 s9, s7, 1
	s_cmp_ge_u32 s6, s11
	s_cselect_b32 s6, s9, s7
	s_waitcnt lgkmcnt(0)
	s_abs_i32 s21, s19
	v_cvt_f32_u32_e32 v1, s21
	s_xor_b32 s6, s6, s3
	s_sub_i32 s3, s6, s3
	s_sub_i32 s6, 0, s21
	v_rcp_iflag_f32_e32 v1, v1
	s_add_i32 s11, s33, -1
	s_abs_i32 s9, s11
	v_mul_f32_e32 v1, 0x4f7ffffe, v1
	v_cvt_u32_f32_e32 v1, v1
	s_barrier
	v_readfirstlane_b32 s40, v1
	s_mul_i32 s6, s6, s40
	s_mul_hi_u32 s6, s40, s6
	s_add_i32 s40, s40, s6
	s_cmp_lt_i32 s8, 0
	s_mul_hi_u32 s12, s9, s40
	s_cbranch_scc0 .LBB75_6
; %bb.5:
	s_mul_i32 s6, s16, s30
	s_add_i32 s6, s3, s6
	s_mul_i32 s6, s6, s8
	s_sub_i32 s41, 1, s6
	s_mov_b64 s[6:7], 0
	s_branch .LBB75_7
.LBB75_6:
	s_mov_b64 s[6:7], -1
                                        ; implicit-def: $sgpr41
.LBB75_7:
	s_load_dwordx2 s[24:25], s[0:1], 0x28
	s_ashr_i32 s15, s11, 31
	s_andn2_b64 vcc, exec, s[6:7]
	s_ashr_i32 s19, s19, 31
	s_cbranch_vccnz .LBB75_9
; %bb.8:
	s_mul_i32 s6, s5, s16
	s_add_i32 s2, s6, s2
	s_mul_i32 s2, s2, s8
	s_add_i32 s41, s2, 1
.LBB75_9:
	s_load_dword s2, s[0:1], 0x38
	s_load_dwordx2 s[22:23], s[0:1], 0x0
	s_load_dwordx2 s[28:29], s[0:1], 0x18
	s_load_dword s11, s[0:1], 0x88
	s_xor_b32 s6, s15, s19
	s_waitcnt lgkmcnt(0)
	s_mul_i32 s26, s10, s2
	s_mul_i32 s2, s12, s21
	s_sub_i32 s2, s9, s2
	s_ashr_i32 s27, s26, 31
	s_add_i32 s7, s12, 1
	s_sub_i32 s8, s2, s21
	s_cmp_ge_u32 s2, s21
	s_cselect_b32 s7, s7, s12
	s_cselect_b32 s2, s8, s2
	s_add_i32 s8, s7, 1
	s_cmp_ge_u32 s2, s21
	s_cselect_b32 s2, s8, s7
	s_xor_b32 s2, s2, s6
	s_sub_i32 s12, s2, s6
	s_add_i32 s2, s33, 15
	s_ashr_i32 s6, s2, 31
	s_lshr_b32 s6, s6, 28
	s_add_i32 s2, s2, s6
	s_ashr_i32 s16, s2, 4
	v_lshrrev_b32_e32 v1, 6, v0
	v_cmp_gt_i32_e64 s[6:7], s16, v1
	v_mov_b32_e32 v10, 0xff7fffff
	s_mul_i32 s14, s3, s14
	v_lshrrev_b32_e32 v12, 4, v0
	v_lshlrev_b32_e32 v9, 4, v1
	v_mbcnt_lo_u32_b32 v6, -1, 0
	s_and_saveexec_b64 s[34:35], s[6:7]
	s_cbranch_execz .LBB75_19
; %bb.10:
	s_load_dwordx2 s[0:1], s[0:1], 0x10
	s_ashr_i32 s15, s14, 31
	s_sub_i32 s30, s12, s17
	s_lshl_b64 s[2:3], s[14:15], 1
	v_bfe_u32 v7, v0, 2, 4
	s_waitcnt lgkmcnt(0)
	s_add_u32 s0, s0, s2
	s_addc_u32 s1, s1, s3
	s_abs_i32 s15, s18
	v_cvt_f32_u32_e32 v5, s15
	v_lshlrev_b32_e32 v14, 4, v7
	v_mov_b32_e32 v15, 0
	v_lshl_add_u64 v[2:3], s[0:1], 0, v[14:15]
	v_rcp_iflag_f32_e32 v5, v5
	v_lshlrev_b32_e32 v8, 2, v0
	s_sub_i32 s0, 0, s15
	v_cmp_eq_u32_e32 vcc, 0, v4
	v_mul_f32_e32 v5, 0x4f7ffffe, v5
	v_cvt_u32_f32_e32 v5, v5
	v_and_b32_e32 v14, 12, v8
	v_mul_u32_u24_e32 v8, 48, v4
	v_lshlrev_b32_e32 v10, 2, v7
	v_mul_lo_u32 v4, s0, v5
	s_lshl_b64 s[0:1], s[26:27], 2
	s_add_u32 s0, s24, s0
	v_lshl_add_u64 v[2:3], v[2:3], 0, v[14:15]
	v_mul_hi_u32 v4, v5, v4
	v_and_b32_e32 v14, 60, v12
	s_addc_u32 s1, s25, s1
	v_lshl_or_b32 v10, v1, 6, v10
	v_add_u32_e32 v11, v5, v4
	v_lshl_add_u64 v[4:5], s[0:1], 0, v[14:15]
	v_add_u32_e32 v14, 0xd0, v10
	v_subrev_u32_e32 v10, s33, v7
	v_mbcnt_hi_u32_b32 v17, -1, v6
	v_add_u32_e32 v15, 1, v10
	v_and_b32_e32 v10, 64, v17
	s_mov_b32 s43, s13
	v_cmp_neq_f32_e64 s[2:3], s42, 0
	v_lshlrev_b32_e32 v13, 4, v1
	s_mov_b64 s[36:37], 0
	v_mov_b32_e32 v16, 0xff7fffff
	v_add_u32_e32 v18, 64, v10
	v_xor_b32_e32 v19, 2, v17
	v_xor_b32_e32 v20, 1, v17
	v_mov_b32_e32 v10, 0xff7fffff
	v_mov_b32_e32 v21, v1
	s_branch .LBB75_13
.LBB75_11:                              ;   in Loop: Header=BB75_13 Depth=1
	s_or_b64 exec, exec, s[38:39]
.LBB75_12:                              ;   in Loop: Header=BB75_13 Depth=1
	s_or_b64 exec, exec, s[8:9]
	v_add_u32_e32 v21, 2, v21
	v_cmp_le_i32_e64 s[0:1], s16, v21
	v_lshl_add_u64 v[4:5], v[4:5], 0, 8
	v_add_u32_e32 v13, 32, v13
	s_or_b64 s[36:37], s[0:1], s[36:37]
	v_add_u32_e32 v14, 0x80, v14
	s_andn2_b64 exec, exec, s[36:37]
	s_cbranch_execz .LBB75_18
.LBB75_13:                              ; =>This Inner Loop Header: Depth=1
	v_mul_hi_u32 v22, v13, s40
	s_waitcnt lgkmcnt(0)
	v_mul_lo_u32 v23, v22, s21
	v_sub_u32_e32 v23, v13, v23
	v_add_u32_e32 v24, 1, v22
	v_cmp_le_u32_e64 s[0:1], s21, v23
	s_nop 1
	v_cndmask_b32_e64 v22, v22, v24, s[0:1]
	v_subrev_u32_e32 v24, s21, v23
	v_cndmask_b32_e64 v23, v23, v24, s[0:1]
	v_add_u32_e32 v24, 1, v22
	v_cmp_le_u32_e64 s[0:1], s21, v23
	s_nop 1
	v_cndmask_b32_e64 v22, v22, v24, s[0:1]
	v_xor_b32_e32 v22, s19, v22
	v_subrev_u32_e32 v22, s19, v22
	v_add_u32_e32 v23, s41, v22
	v_sub_u32_e32 v25, 0, v23
	v_ashrrev_i32_e32 v24, 31, v23
	v_max_i32_e32 v23, v23, v25
	v_mul_hi_u32 v25, v23, v11
	v_mul_lo_u32 v25, v25, s15
	v_sub_u32_e32 v23, v23, v25
	v_subrev_u32_e32 v25, s15, v23
	v_cmp_le_u32_e64 s[0:1], s15, v23
	v_cmp_ge_i32_e64 s[8:9], s30, v22
	s_nop 0
	v_cndmask_b32_e64 v23, v23, v25, s[0:1]
	v_subrev_u32_e32 v25, s15, v23
	v_cmp_le_u32_e64 s[0:1], s15, v23
	s_nop 1
	v_cndmask_b32_e64 v23, v23, v25, s[0:1]
	v_xor_b32_e32 v23, v23, v24
	v_sub_u32_e32 v23, v23, v24
	v_cmp_ne_u32_e64 s[0:1], 0, v23
	s_and_b64 s[0:1], s[0:1], s[8:9]
	s_and_b64 s[38:39], vcc, s[0:1]
	s_and_saveexec_b64 s[8:9], s[38:39]
	s_cbranch_execz .LBB75_15
; %bb.14:                               ;   in Loop: Header=BB75_13 Depth=1
	ds_write_b32 v14, v16
.LBB75_15:                              ;   in Loop: Header=BB75_13 Depth=1
	s_or_b64 exec, exec, s[8:9]
	s_xor_b64 s[0:1], s[0:1], -1
	s_and_saveexec_b64 s[8:9], s[0:1]
	s_cbranch_execz .LBB75_12
; %bb.16:                               ;   in Loop: Header=BB75_13 Depth=1
	global_load_dword v22, v[4:5], off
	s_waitcnt vmcnt(0)
	v_mad_i64_i32 v[22:23], s[0:1], v22, s43, 0
	v_lshl_add_u64 v[22:23], v[22:23], 1, v[2:3]
	global_load_dword v24, v[22:23], off
	global_load_dword v25, v[22:23], off offset:256
	global_load_dword v26, v[22:23], off offset:512
	;; [unrolled: 1-line block ×11, first 2 shown]
	ds_read_b32 v22, v8
	v_cmp_lt_i32_e64 s[0:1], v19, v18
	s_waitcnt lgkmcnt(0)
	v_lshrrev_b32_e32 v36, 16, v22
	v_and_b32_e32 v22, 0xffff, v22
	;;#ASMSTART
	v_cvt_f32_f16 v22, v22;
	;;#ASMEND
	;;#ASMSTART
	v_cvt_f32_f16 v36, v36;
	;;#ASMEND
	v_cndmask_b32_e64 v23, v17, v19, s[0:1]
	v_lshlrev_b32_e32 v23, 2, v23
	v_cmp_lt_i32_e64 s[0:1], v20, v18
	s_waitcnt vmcnt(11)
	v_lshrrev_b32_e32 v37, 16, v24
	v_and_b32_e32 v24, 0xffff, v24
	;;#ASMSTART
	v_cvt_f32_f16 v24, v24;
	;;#ASMEND
	;;#ASMSTART
	v_cvt_f32_f16 v37, v37;
	;;#ASMEND
	ds_read_b32 v38, v8 offset:4
	s_waitcnt vmcnt(10)
	v_lshrrev_b32_e32 v39, 16, v25
	v_and_b32_e32 v25, 0xffff, v25
	s_waitcnt vmcnt(9)
	v_lshrrev_b32_e32 v40, 16, v26
	v_and_b32_e32 v26, 0xffff, v26
	s_waitcnt lgkmcnt(0)
	v_lshrrev_b32_e32 v41, 16, v38
	v_and_b32_e32 v38, 0xffff, v38
	;;#ASMSTART
	v_cvt_f32_f16 v38, v38;
	;;#ASMEND
	;;#ASMSTART
	v_cvt_f32_f16 v41, v41;
	;;#ASMEND
	;;#ASMSTART
	v_cvt_f32_f16 v25, v25;
	;;#ASMEND
	;;#ASMSTART
	v_cvt_f32_f16 v39, v39;
	;;#ASMEND
	ds_read_b32 v42, v8 offset:8
	s_waitcnt vmcnt(8)
	v_lshrrev_b32_e32 v43, 16, v27
	v_and_b32_e32 v27, 0xffff, v27
	s_waitcnt vmcnt(7)
	v_lshrrev_b32_e32 v44, 16, v28
	v_and_b32_e32 v28, 0xffff, v28
	s_waitcnt lgkmcnt(0)
	v_lshrrev_b32_e32 v45, 16, v42
	v_and_b32_e32 v42, 0xffff, v42
	;;#ASMSTART
	v_cvt_f32_f16 v42, v42;
	;;#ASMEND
	;;#ASMSTART
	v_cvt_f32_f16 v45, v45;
	;;#ASMEND
	;; [unrolled: 22-line block ×3, first 2 shown]
	;;#ASMSTART
	v_cvt_f32_f16 v27, v27;
	;;#ASMEND
	;;#ASMSTART
	v_cvt_f32_f16 v43, v43;
	;;#ASMEND
	ds_read_b32 v50, v8 offset:16
	v_mul_f32_e32 v25, v38, v25
	v_mul_f32_e32 v38, v41, v39
	s_waitcnt vmcnt(4)
	v_lshrrev_b32_e32 v51, 16, v31
	v_and_b32_e32 v31, 0xffff, v31
	s_waitcnt lgkmcnt(0)
	v_lshrrev_b32_e32 v53, 16, v50
	v_and_b32_e32 v50, 0xffff, v50
	;;#ASMSTART
	v_cvt_f32_f16 v50, v50;
	;;#ASMEND
	;;#ASMSTART
	v_cvt_f32_f16 v53, v53;
	;;#ASMEND
	;; [unrolled: 3-line block ×4, first 2 shown]
	ds_read_b32 v54, v8 offset:20
	v_fmac_f32_e32 v25, v22, v24
	v_fmac_f32_e32 v38, v36, v37
	;; [unrolled: 1-line block ×4, first 2 shown]
	s_waitcnt lgkmcnt(0)
	v_lshrrev_b32_e32 v57, 16, v54
	v_and_b32_e32 v54, 0xffff, v54
	;;#ASMSTART
	v_cvt_f32_f16 v54, v54;
	;;#ASMEND
	;;#ASMSTART
	v_cvt_f32_f16 v57, v57;
	;;#ASMEND
	;; [unrolled: 3-line block ×4, first 2 shown]
	ds_read_b32 v58, v8 offset:24
	s_waitcnt vmcnt(3)
	v_lshrrev_b32_e32 v52, 16, v32
	v_and_b32_e32 v32, 0xffff, v32
	v_fmac_f32_e32 v25, v50, v28
	v_fmac_f32_e32 v38, v45, v40
	s_waitcnt lgkmcnt(0)
	v_lshrrev_b32_e32 v39, 16, v58
	v_and_b32_e32 v41, 0xffff, v58
	;;#ASMSTART
	v_cvt_f32_f16 v41, v41;
	;;#ASMEND
	;;#ASMSTART
	v_cvt_f32_f16 v39, v39;
	;;#ASMEND
	;; [unrolled: 3-line block ×4, first 2 shown]
	ds_read_b32 v58, v8 offset:28
	v_fmac_f32_e32 v38, v49, v43
	v_fmac_f32_e32 v38, v53, v44
	;; [unrolled: 1-line block ×3, first 2 shown]
	s_waitcnt vmcnt(2)
	v_lshrrev_b32_e32 v55, 16, v33
	s_waitcnt lgkmcnt(0)
	v_lshrrev_b32_e32 v22, 16, v58
	v_and_b32_e32 v24, 0xffff, v58
	;;#ASMSTART
	v_cvt_f32_f16 v24, v24;
	;;#ASMEND
	;;#ASMSTART
	v_cvt_f32_f16 v22, v22;
	;;#ASMEND
	;; [unrolled: 3-line block ×4, first 2 shown]
	ds_read_b32 v36, v8 offset:32
	v_and_b32_e32 v33, 0xffff, v33
	v_fmac_f32_e32 v38, v57, v47
	v_fmac_f32_e32 v25, v41, v30
	;; [unrolled: 1-line block ×3, first 2 shown]
	s_waitcnt lgkmcnt(0)
	v_lshrrev_b32_e32 v27, 16, v36
	v_and_b32_e32 v28, 0xffff, v36
	;;#ASMSTART
	v_cvt_f32_f16 v28, v28;
	;;#ASMEND
	;;#ASMSTART
	v_cvt_f32_f16 v27, v27;
	;;#ASMEND
	;; [unrolled: 3-line block ×4, first 2 shown]
	ds_read_b32 v37, v8 offset:36
	v_fmac_f32_e32 v25, v24, v26
	v_fmac_f32_e32 v38, v22, v31
	s_waitcnt vmcnt(1)
	v_lshrrev_b32_e32 v56, 16, v34
	v_and_b32_e32 v34, 0xffff, v34
	s_waitcnt lgkmcnt(0)
	v_lshrrev_b32_e32 v29, 16, v37
	v_and_b32_e32 v30, 0xffff, v37
	;;#ASMSTART
	v_cvt_f32_f16 v30, v30;
	;;#ASMEND
	;;#ASMSTART
	v_cvt_f32_f16 v29, v29;
	;;#ASMEND
	;; [unrolled: 3-line block ×4, first 2 shown]
	ds_read_b32 v39, v8 offset:40
	v_fmac_f32_e32 v25, v28, v32
	v_fmac_f32_e32 v38, v27, v36
	;; [unrolled: 1-line block ×4, first 2 shown]
	s_waitcnt lgkmcnt(0)
	v_lshrrev_b32_e32 v22, 16, v39
	v_and_b32_e32 v24, 0xffff, v39
	;;#ASMSTART
	v_cvt_f32_f16 v24, v24;
	;;#ASMEND
	;;#ASMSTART
	v_cvt_f32_f16 v22, v22;
	;;#ASMEND
	;; [unrolled: 3-line block ×4, first 2 shown]
	ds_read_b32 v28, v8 offset:44
	v_fmac_f32_e32 v25, v24, v26
	v_fmac_f32_e32 v38, v22, v27
	s_waitcnt vmcnt(0)
	v_lshrrev_b32_e32 v59, 16, v35
	v_and_b32_e32 v35, 0xffff, v35
	s_waitcnt lgkmcnt(0)
	v_lshrrev_b32_e32 v22, 16, v28
	v_and_b32_e32 v24, 0xffff, v28
	;;#ASMSTART
	v_cvt_f32_f16 v24, v24;
	;;#ASMEND
	;;#ASMSTART
	v_cvt_f32_f16 v22, v22;
	;;#ASMEND
	;; [unrolled: 3-line block ×4, first 2 shown]
	s_nop 0
	v_fmac_f32_e32 v25, v24, v26
	v_fmac_f32_e32 v38, v22, v27
	v_add_f32_e32 v22, v25, v38
	ds_bpermute_b32 v23, v23, v22
	v_cndmask_b32_e64 v24, v17, v20, s[0:1]
	s_waitcnt lgkmcnt(0)
	v_add_f32_e32 v22, v22, v23
	v_lshlrev_b32_e32 v23, 2, v24
	ds_bpermute_b32 v23, v23, v22
	s_and_saveexec_b64 s[38:39], vcc
	s_cbranch_execz .LBB75_11
; %bb.17:                               ;   in Loop: Header=BB75_13 Depth=1
	v_add_u32_e32 v24, v15, v13
	v_cvt_f32_i32_e32 v24, v24
	s_waitcnt lgkmcnt(0)
	v_add_f32_e32 v22, v22, v23
	v_add_u32_e32 v25, v7, v13
	v_cmp_gt_i32_e64 s[0:1], s33, v25
	v_mul_f32_e32 v23, s42, v24
	v_cndmask_b32_e64 v23, 0, v23, s[2:3]
	v_fmac_f32_e32 v23, s31, v22
	v_cndmask_b32_e64 v22, 0, v23, s[0:1]
	ds_write_b32 v14, v22
	v_max_f32_e32 v22, v10, v10
	v_max_f32_e32 v22, v22, v23
	v_cndmask_b32_e64 v10, v10, v22, s[0:1]
	s_branch .LBB75_11
.LBB75_18:
	s_or_b64 exec, exec, s[36:37]
.LBB75_19:
	s_or_b64 exec, exec, s[34:35]
	v_mbcnt_hi_u32_b32 v2, -1, v6
	v_and_b32_e32 v3, 64, v2
	v_add_u32_e32 v3, 64, v3
	v_xor_b32_e32 v4, 32, v2
	v_cmp_lt_i32_e32 vcc, v4, v3
	v_xor_b32_e32 v7, 16, v2
	v_max_f32_e32 v6, v10, v10
	v_cndmask_b32_e32 v4, v2, v4, vcc
	v_lshlrev_b32_e32 v4, 2, v4
	ds_bpermute_b32 v5, v4, v10
	v_cmp_lt_i32_e32 vcc, v7, v3
	v_xor_b32_e32 v8, 8, v2
	v_xor_b32_e32 v10, 4, v2
	v_and_b32_e32 v16, 63, v0
	s_waitcnt lgkmcnt(0)
	v_max_f32_e32 v5, v5, v5
	v_max_f32_e32 v6, v6, v5
	v_cndmask_b32_e32 v5, v2, v7, vcc
	v_lshlrev_b32_e32 v5, 2, v5
	ds_bpermute_b32 v7, v5, v6
	v_cmp_lt_i32_e32 vcc, v8, v3
	s_waitcnt lgkmcnt(0)
	v_max_f32_e32 v7, v7, v7
	v_max_f32_e32 v6, v6, v7
	v_cndmask_b32_e32 v7, v2, v8, vcc
	v_lshlrev_b32_e32 v8, 2, v7
	ds_bpermute_b32 v7, v8, v6
	v_cmp_lt_i32_e32 vcc, v10, v3
	s_waitcnt lgkmcnt(0)
	v_max_f32_e32 v7, v7, v7
	v_max_f32_e32 v7, v6, v7
	v_cndmask_b32_e32 v6, v2, v10, vcc
	v_lshlrev_b32_e32 v10, 2, v6
	ds_bpermute_b32 v11, v10, v7
	v_cmp_eq_u32_e32 vcc, 0, v16
	v_lshlrev_b32_e32 v6, 2, v1
	s_and_saveexec_b64 s[0:1], vcc
	s_cbranch_execz .LBB75_21
; %bb.20:
	s_waitcnt lgkmcnt(0)
	v_max_f32_e32 v11, v11, v11
	v_max_f32_e32 v7, v7, v7
	;; [unrolled: 1-line block ×3, first 2 shown]
	ds_write_b32 v6, v7 offset:192
.LBB75_21:
	s_or_b64 exec, exec, s[0:1]
	v_cmp_gt_u32_e64 s[0:1], 2, v16
	s_waitcnt lgkmcnt(0)
	v_mov_b32_e32 v11, 0xff7fffff
	v_lshlrev_b32_e32 v7, 2, v16
	s_barrier
	s_and_saveexec_b64 s[2:3], s[0:1]
	s_cbranch_execz .LBB75_23
; %bb.22:
	ds_read_b32 v11, v7 offset:192
.LBB75_23:
	s_or_b64 exec, exec, s[2:3]
	v_xor_b32_e32 v13, 1, v2
	v_cmp_lt_i32_e64 s[2:3], v13, v3
	v_lshlrev_b32_e32 v14, 2, v2
	s_nop 0
	v_cndmask_b32_e64 v13, v2, v13, s[2:3]
	v_lshlrev_b32_e32 v17, 2, v13
	s_waitcnt lgkmcnt(0)
	ds_bpermute_b32 v13, v17, v11
	v_max_f32_e32 v11, v11, v11
	s_lshl_b32 s2, s16, 4
	s_min_i32 s15, s2, s33
	v_cmp_gt_i32_e64 s[2:3], s15, v0
	s_waitcnt lgkmcnt(0)
	v_max_f32_e32 v13, v13, v13
	v_max_f32_e32 v13, v11, v13
	v_and_b32_e32 v11, 0x100, v14
	ds_bpermute_b32 v14, v11, v13
	v_mov_b32_e32 v13, 0
	s_and_saveexec_b64 s[30:31], s[2:3]
	s_cbranch_execz .LBB75_27
; %bb.24:
	v_mov_b32_e32 v13, 0xd0
	v_lshl_add_u32 v15, v0, 2, v13
	s_mov_b64 s[34:35], 0
	v_mov_b32_e32 v13, 0
	v_mov_b32_e32 v18, v0
.LBB75_25:                              ; =>This Inner Loop Header: Depth=1
	ds_read_b32 v19, v15
	v_add_u32_e32 v18, 0x80, v18
	v_cmp_le_i32_e64 s[8:9], s15, v18
	s_or_b64 s[34:35], s[8:9], s[34:35]
	s_waitcnt lgkmcnt(0)
	v_sub_f32_e32 v19, v19, v14
	v_mul_f32_e32 v19, 0x3fb8aa3b, v19
	v_exp_f32_e32 v19, v19
	ds_write_b32 v15, v19
	v_add_f32_e32 v13, v13, v19
	v_add_u32_e32 v15, 0x200, v15
	s_andn2_b64 exec, exec, s[34:35]
	s_cbranch_execnz .LBB75_25
; %bb.26:
	s_or_b64 exec, exec, s[34:35]
.LBB75_27:
	s_or_b64 exec, exec, s[30:31]
	ds_bpermute_b32 v4, v4, v13
	s_waitcnt lgkmcnt(0)
	v_add_f32_e32 v4, v13, v4
	ds_bpermute_b32 v5, v5, v4
	s_waitcnt lgkmcnt(0)
	v_add_f32_e32 v4, v4, v5
	ds_bpermute_b32 v5, v8, v4
	v_xor_b32_e32 v8, 2, v2
	v_cmp_lt_i32_e64 s[8:9], v8, v3
	s_waitcnt lgkmcnt(0)
	v_add_f32_e32 v4, v4, v5
	ds_bpermute_b32 v5, v10, v4
	v_cndmask_b32_e64 v2, v2, v8, s[8:9]
	v_lshlrev_b32_e32 v2, 2, v2
	s_waitcnt lgkmcnt(0)
	v_add_f32_e32 v3, v4, v5
	ds_bpermute_b32 v2, v2, v3
	s_waitcnt lgkmcnt(0)
	v_add_f32_e32 v2, v3, v2
	ds_bpermute_b32 v3, v17, v2
	s_waitcnt lgkmcnt(0)
	v_add_f32_e32 v2, v2, v3
	s_and_saveexec_b64 s[8:9], vcc
	s_cbranch_execz .LBB75_29
; %bb.28:
	ds_write_b32 v6, v2 offset:200
.LBB75_29:
	s_or_b64 exec, exec, s[8:9]
	s_waitcnt lgkmcnt(0)
	s_barrier
	s_and_saveexec_b64 s[8:9], s[0:1]
	s_cbranch_execz .LBB75_31
; %bb.30:
	ds_read_b32 v2, v7 offset:200
.LBB75_31:
	s_or_b64 exec, exec, s[8:9]
	s_waitcnt lgkmcnt(0)
	ds_bpermute_b32 v3, v17, v2
	s_waitcnt lgkmcnt(0)
	v_add_f32_e32 v2, v2, v3
	ds_bpermute_b32 v2, v11, v2
	s_and_saveexec_b64 s[0:1], s[2:3]
	s_cbranch_execz .LBB75_44
; %bb.32:
	s_waitcnt lgkmcnt(0)
	v_add_f32_e32 v2, 0x358637bd, v2
	v_div_scale_f32 v3, s[2:3], v2, v2, 1.0
	v_rcp_f32_e32 v4, v3
	v_div_scale_f32 v5, vcc, 1.0, v2, 1.0
	s_movk_i32 s2, 0x7f
	v_fma_f32 v6, -v3, v4, 1.0
	v_fmac_f32_e32 v4, v6, v4
	v_mul_f32_e32 v6, v5, v4
	v_fma_f32 v7, -v3, v6, v5
	v_fmac_f32_e32 v6, v7, v4
	v_fma_f32 v3, -v3, v6, v5
	v_div_fmas_f32 v3, v3, v4, v6
	v_xad_u32 v4, v0, -1, s15
	v_div_fixup_f32 v2, v3, v2, 1.0
	v_cmp_lt_u32_e32 vcc, s2, v4
	s_mov_b64 s[8:9], -1
	v_mov_b32_e32 v3, v0
	s_and_saveexec_b64 s[2:3], vcc
	s_cbranch_execz .LBB75_41
; %bb.33:
	v_lshrrev_b32_e32 v4, 7, v4
	v_add_u32_e32 v6, -1, v4
	v_lshrrev_b32_e32 v5, 1, v6
	v_mov_b32_e32 v3, v2
	v_add_u32_e32 v5, 1, v5
	v_cmp_lt_u32_e32 vcc, 13, v6
	v_mov_b32_e32 v8, 0
	s_and_saveexec_b64 s[8:9], vcc
	s_cbranch_execz .LBB75_37
; %bb.34:
	v_mov_b32_e32 v7, 0xd0
	v_and_b32_e32 v6, -8, v5
	v_lshl_add_u32 v7, v0, 2, v7
	s_mov_b32 s34, 0
	s_mov_b64 s[30:31], 0
.LBB75_35:                              ; =>This Inner Loop Header: Depth=1
	ds_read2st64_b32 v[10:11], v7 offset1:2
	ds_read2st64_b32 v[14:15], v7 offset0:4 offset1:6
	ds_read2st64_b32 v[18:19], v7 offset0:8 offset1:10
	;; [unrolled: 1-line block ×3, first 2 shown]
	v_add_u32_e32 v6, -8, v6
	s_waitcnt lgkmcnt(3)
	v_pk_mul_f32 v[10:11], v[2:3], v[10:11]
	s_waitcnt lgkmcnt(2)
	v_pk_mul_f32 v[14:15], v[2:3], v[14:15]
	ds_write2st64_b32 v7, v10, v11 offset1:2
	ds_write2st64_b32 v7, v14, v15 offset0:4 offset1:6
	ds_read2st64_b32 v[14:15], v7 offset0:16 offset1:18
	s_waitcnt lgkmcnt(4)
	v_pk_mul_f32 v[10:11], v[2:3], v[18:19]
	ds_write2st64_b32 v7, v10, v11 offset0:8 offset1:10
	s_waitcnt lgkmcnt(4)
	v_pk_mul_f32 v[10:11], v[2:3], v[20:21]
	ds_write2st64_b32 v7, v10, v11 offset0:12 offset1:14
	ds_read2st64_b32 v[10:11], v7 offset0:20 offset1:22
	s_waitcnt lgkmcnt(3)
	v_pk_mul_f32 v[14:15], v[2:3], v[14:15]
	ds_read2st64_b32 v[18:19], v7 offset0:24 offset1:26
	ds_write2st64_b32 v7, v14, v15 offset0:16 offset1:18
	ds_read2st64_b32 v[14:15], v7 offset0:28 offset1:30
	s_waitcnt lgkmcnt(3)
	v_pk_mul_f32 v[10:11], v[2:3], v[10:11]
	ds_write2st64_b32 v7, v10, v11 offset0:20 offset1:22
	s_waitcnt lgkmcnt(3)
	v_pk_mul_f32 v[10:11], v[2:3], v[18:19]
	ds_write2st64_b32 v7, v10, v11 offset0:24 offset1:26
	s_waitcnt lgkmcnt(2)
	v_pk_mul_f32 v[10:11], v[2:3], v[14:15]
	s_add_i32 s34, s34, 16
	v_cmp_eq_u32_e32 vcc, 0, v6
	ds_write2st64_b32 v7, v10, v11 offset0:28 offset1:30
	v_add_u32_e32 v7, 0x2000, v7
	s_or_b64 s[30:31], vcc, s[30:31]
	v_mov_b32_e32 v8, s34
	s_andn2_b64 exec, exec, s[30:31]
	s_cbranch_execnz .LBB75_35
; %bb.36:
	s_or_b64 exec, exec, s[30:31]
.LBB75_37:
	s_or_b64 exec, exec, s[8:9]
	v_and_b32_e32 v5, 7, v5
	v_cmp_ne_u32_e32 vcc, 0, v5
	s_and_saveexec_b64 s[8:9], vcc
	s_cbranch_execz .LBB75_40
; %bb.38:
	v_lshlrev_b32_e32 v6, 9, v8
	v_lshlrev_b32_e32 v7, 2, v0
	s_movk_i32 s30, 0xd0
	v_add3_u32 v6, v6, v7, s30
	s_mov_b64 s[30:31], 0
.LBB75_39:                              ; =>This Inner Loop Header: Depth=1
	ds_read2st64_b32 v[10:11], v6 offset1:2
	v_add_u32_e32 v5, -1, v5
	v_cmp_eq_u32_e32 vcc, 0, v5
	s_or_b64 s[30:31], vcc, s[30:31]
	s_waitcnt lgkmcnt(0)
	v_pk_mul_f32 v[10:11], v[2:3], v[10:11]
	ds_write2st64_b32 v6, v10, v11 offset1:2
	v_add_u32_e32 v6, 0x400, v6
	s_andn2_b64 exec, exec, s[30:31]
	s_cbranch_execnz .LBB75_39
.LBB75_40:
	s_or_b64 exec, exec, s[8:9]
	v_add_u32_e32 v4, 1, v4
	v_and_b32_e32 v5, 0x3fffffe, v4
	v_cmp_ne_u32_e32 vcc, v4, v5
	v_lshl_add_u32 v3, v5, 7, v0
	s_orn2_b64 s[8:9], vcc, exec
.LBB75_41:
	s_or_b64 exec, exec, s[2:3]
	s_and_b64 exec, exec, s[8:9]
	s_cbranch_execz .LBB75_44
; %bb.42:
	v_mov_b32_e32 v4, 0xd0
	v_lshl_add_u32 v4, v3, 2, v4
	s_mov_b64 s[2:3], 0
.LBB75_43:                              ; =>This Inner Loop Header: Depth=1
	ds_read_b32 v5, v4
	v_add_u32_e32 v3, 0x80, v3
	v_cmp_le_i32_e32 vcc, s15, v3
	s_or_b64 s[2:3], vcc, s[2:3]
	s_waitcnt lgkmcnt(0)
	v_mul_f32_e32 v5, v2, v5
	ds_write_b32 v4, v5
	v_add_u32_e32 v4, 0x200, v4
	s_andn2_b64 exec, exec, s[2:3]
	s_cbranch_execnz .LBB75_43
.LBB75_44:
	s_or_b64 exec, exec, s[0:1]
	v_mov_b32_e32 v8, 0
	v_and_b32_e32 v18, 1, v0
	v_mov_b32_e32 v7, 0
	v_mov_b32_e32 v6, 0
	s_waitcnt lgkmcnt(0)
	s_barrier
	s_and_saveexec_b64 s[2:3], s[6:7]
	s_cbranch_execz .LBB75_56
; %bb.45:
	s_ashr_i32 s15, s14, 31
	s_sub_i32 s17, s12, s17
	s_lshl_b64 s[0:1], s[14:15], 1
	s_add_u32 s0, s28, s0
	v_lshlrev_b32_e32 v2, 3, v0
	s_addc_u32 s1, s29, s1
	s_abs_i32 s14, s18
	v_and_b32_e32 v19, 8, v2
	v_cvt_f32_u32_e32 v2, s14
	s_sub_i32 s6, 0, s14
	s_add_i32 s15, s16, -1
	s_mov_b32 s44, 0
	v_rcp_iflag_f32_e32 v2, v2
	s_mov_b32 s45, s44
	s_mov_b32 s46, s44
	v_mov_b32_e32 v6, s44
	v_mul_f32_e32 v2, 0x4f7ffffe, v2
	v_cvt_u32_f32_e32 v2, v2
	s_mov_b32 s30, s13
	s_mov_b32 s18, s33
	;; [unrolled: 1-line block ×3, first 2 shown]
	v_mul_lo_u32 v3, s6, v2
	v_mul_hi_u32 v3, v2, v3
	v_add_u32_e32 v20, v2, v3
	v_lshlrev_b32_e32 v2, 4, v0
	v_mov_b32_e32 v3, 0
	v_and_b32_e32 v2, 0x3f0, v2
	v_lshl_add_u64 v[10:11], s[0:1], 0, v[2:3]
	s_lshl_b64 s[0:1], s[26:27], 2
	s_add_u32 s0, s24, s0
	v_and_b32_e32 v2, 60, v12
	s_addc_u32 s1, s25, s1
	v_lshl_add_u64 v[12:13], s[0:1], 0, v[2:3]
	v_lshlrev_b32_e32 v2, 5, v18
	v_lshl_or_b32 v2, v1, 6, v2
	s_mov_b32 s29, s33
	s_mov_b32 s31, s33
	;; [unrolled: 1-line block ×5, first 2 shown]
	v_add_u32_e32 v21, 0xd0, v2
	s_mov_b64 s[6:7], 0
	v_mov_b32_e32 v7, s45
	v_mov_b32_e32 v8, s46
	s_mov_b32 s24, 0x5040100
	s_branch .LBB75_48
.LBB75_46:                              ;   in Loop: Header=BB75_48 Depth=1
	s_or_b64 exec, exec, s[0:1]
	s_waitcnt vmcnt(0)
	;;#ASMSTART
	v_pk_mul_f16 v2, v33, v2;

	;;#ASMEND
	;;#ASMSTART
	v_pk_mul_f16 v3, v32, v3;

	;;#ASMEND
	;; [unrolled: 4-line block ×4, first 2 shown]
	v_add_f32_e32 v14, v34, v35
	;;#ASMSTART
	v_pk_add_f16 v2, v2, v3;

	;;#ASMEND
	v_add_f32_e32 v6, v6, v14
	;;#ASMSTART
	v_pk_add_f16 v2, v2, v4;

	;;#ASMEND
	;; [unrolled: 5-line block ×3, first 2 shown]
	v_add_f32_e32 v7, v7, v14
	v_lshrrev_b32_e32 v3, 16, v2
	v_and_b32_e32 v2, 0xffff, v2
	;;#ASMSTART
	v_cvt_f32_f16 v2, v2;
	;;#ASMEND
	;;#ASMSTART
	v_cvt_f32_f16 v3, v3;
	;;#ASMEND
	s_nop 0
	v_add_f32_e32 v2, v2, v3
	v_add_f32_e32 v8, v8, v2
.LBB75_47:                              ;   in Loop: Header=BB75_48 Depth=1
	s_or_b64 exec, exec, s[8:9]
	v_add_u32_e32 v1, 2, v1
	v_cmp_le_i32_e32 vcc, s16, v1
	v_lshl_add_u64 v[12:13], v[12:13], 0, 8
	v_add_u32_e32 v9, 32, v9
	s_or_b64 s[6:7], vcc, s[6:7]
	v_add_u32_e32 v21, 0x80, v21
	s_andn2_b64 exec, exec, s[6:7]
	s_cbranch_execz .LBB75_55
.LBB75_48:                              ; =>This Inner Loop Header: Depth=1
	v_mul_hi_u32 v2, v9, s40
	v_mul_lo_u32 v3, v2, s21
	v_sub_u32_e32 v3, v9, v3
	v_add_u32_e32 v4, 1, v2
	v_cmp_le_u32_e32 vcc, s21, v3
	s_nop 1
	v_cndmask_b32_e32 v2, v2, v4, vcc
	v_subrev_u32_e32 v4, s21, v3
	v_cndmask_b32_e32 v3, v3, v4, vcc
	v_add_u32_e32 v4, 1, v2
	v_cmp_le_u32_e32 vcc, s21, v3
	s_nop 1
	v_cndmask_b32_e32 v2, v2, v4, vcc
	v_xor_b32_e32 v2, s19, v2
	v_subrev_u32_e32 v2, s19, v2
	v_add_u32_e32 v3, s41, v2
	v_sub_u32_e32 v5, 0, v3
	v_ashrrev_i32_e32 v4, 31, v3
	v_max_i32_e32 v3, v3, v5
	v_mul_hi_u32 v5, v3, v20
	v_mul_lo_u32 v5, v5, s14
	v_sub_u32_e32 v3, v3, v5
	v_subrev_u32_e32 v5, s14, v3
	v_cmp_le_u32_e32 vcc, s14, v3
	v_cmp_lt_i32_e64 s[0:1], s17, v2
	s_nop 0
	v_cndmask_b32_e32 v3, v3, v5, vcc
	v_subrev_u32_e32 v5, s14, v3
	v_cmp_le_u32_e32 vcc, s14, v3
	s_nop 1
	v_cndmask_b32_e32 v3, v3, v5, vcc
	v_xor_b32_e32 v3, v3, v4
	v_sub_u32_e32 v3, v3, v4
	v_cmp_eq_u32_e32 vcc, 0, v3
	s_or_b64 s[0:1], vcc, s[0:1]
	s_and_saveexec_b64 s[8:9], s[0:1]
	s_cbranch_execz .LBB75_47
; %bb.49:                               ;   in Loop: Header=BB75_48 Depth=1
	global_load_dword v14, v[12:13], off
	ds_read2_b64 v[2:5], v21 offset1:1
	ds_read2_b64 v[22:25], v21 offset0:2 offset1:3
	v_cmp_eq_u32_e32 vcc, s15, v1
	s_waitcnt lgkmcnt(1)
	;;#ASMSTART
	v_cvt_f16_f32 v30, v2;

	;;#ASMEND
	;;#ASMSTART
	v_cvt_f16_f32 v31, v3;

	;;#ASMEND
	;; [unrolled: 4-line block ×4, first 2 shown]
	s_waitcnt lgkmcnt(0)
	;;#ASMSTART
	v_cvt_f16_f32 v35, v22;

	;;#ASMEND
	;;#ASMSTART
	v_cvt_f16_f32 v36, v23;

	;;#ASMEND
	;; [unrolled: 4-line block ×4, first 2 shown]
	v_add_u32_e32 v22, v19, v9
	v_add_u32_e32 v23, 1, v22
	v_or_b32_e32 v25, 3, v22
	v_or_b32_e32 v24, 2, v22
	;; [unrolled: 1-line block ×6, first 2 shown]
	s_waitcnt vmcnt(0)
	v_mad_i64_i32 v[2:3], s[0:1], v14, s30, 0
	v_lshl_add_u64 v[14:15], v[2:3], 1, v[10:11]
	global_load_dwordx4 v[2:5], v[14:15], off
	s_and_saveexec_b64 s[12:13], vcc
	s_cbranch_execz .LBB75_51
; %bb.50:                               ;   in Loop: Header=BB75_48 Depth=1
	s_waitcnt vmcnt(0)
	v_lshrrev_b32_e32 v33, 16, v5
	v_cmp_gt_i32_e64 s[0:1], s36, v29
	s_nop 1
	v_cndmask_b32_e64 v33, 0, v33, s[0:1]
	v_cmp_gt_i32_e64 s[0:1], s35, v28
	s_nop 1
	v_cndmask_b32_e64 v5, 0, v5, s[0:1]
	v_perm_b32 v5, v33, v5, s24
	v_lshrrev_b32_e32 v33, 16, v4
	v_cmp_gt_i32_e64 s[0:1], s34, v27
	s_nop 1
	v_cndmask_b32_e64 v33, 0, v33, s[0:1]
	v_cmp_gt_i32_e64 s[0:1], s31, v26
	s_nop 1
	v_cndmask_b32_e64 v4, 0, v4, s[0:1]
	v_perm_b32 v4, v33, v4, s24
	;; [unrolled: 8-line block ×4, first 2 shown]
.LBB75_51:                              ;   in Loop: Header=BB75_48 Depth=1
	s_or_b64 exec, exec, s[12:13]
	v_and_b32_e32 v30, 0xffff, v30
	v_lshl_or_b32 v33, v31, 16, v30
	v_and_b32_e32 v30, 0xffff, v32
	v_lshl_or_b32 v32, v34, 16, v30
	;; [unrolled: 2-line block ×3, first 2 shown]
	v_and_b32_e32 v30, 0xffff, v37
	s_waitcnt vmcnt(0)
	;;#ASMSTART
	v_pk_mul_f16 v2, v33, v2;

	;;#ASMEND
	v_lshl_or_b32 v30, v38, 16, v30
	;;#ASMSTART
	v_pk_mul_f16 v3, v32, v3;

	;;#ASMEND
	;;#ASMSTART
	v_pk_mul_f16 v4, v31, v4;

	;;#ASMEND
	;; [unrolled: 4-line block ×3, first 2 shown]
	s_nop 0
	;;#ASMSTART
	v_pk_add_f16 v2, v2, v3;

	;;#ASMEND
	s_nop 0
	;;#ASMSTART
	v_pk_add_f16 v2, v2, v4;

	;;#ASMEND
	;; [unrolled: 5-line block ×3, first 2 shown]
	s_nop 0
	v_lshrrev_b32_e32 v3, 16, v2
	v_and_b32_e32 v2, 0xffff, v2
	;;#ASMSTART
	v_cvt_f32_f16 v34, v2;
	;;#ASMEND
	;;#ASMSTART
	v_cvt_f32_f16 v35, v3;
	;;#ASMEND
	global_load_dwordx4 v[2:5], v[14:15], off offset:1024
	s_and_saveexec_b64 s[12:13], vcc
	s_cbranch_execz .LBB75_53
; %bb.52:                               ;   in Loop: Header=BB75_48 Depth=1
	s_waitcnt vmcnt(0)
	v_lshrrev_b32_e32 v36, 16, v5
	v_cmp_gt_i32_e64 s[0:1], s36, v29
	s_nop 1
	v_cndmask_b32_e64 v36, 0, v36, s[0:1]
	v_cmp_gt_i32_e64 s[0:1], s35, v28
	s_nop 1
	v_cndmask_b32_e64 v5, 0, v5, s[0:1]
	v_perm_b32 v5, v36, v5, s24
	v_lshrrev_b32_e32 v36, 16, v4
	v_cmp_gt_i32_e64 s[0:1], s34, v27
	s_nop 1
	v_cndmask_b32_e64 v36, 0, v36, s[0:1]
	v_cmp_gt_i32_e64 s[0:1], s31, v26
	s_nop 1
	v_cndmask_b32_e64 v4, 0, v4, s[0:1]
	v_perm_b32 v4, v36, v4, s24
	;; [unrolled: 8-line block ×4, first 2 shown]
.LBB75_53:                              ;   in Loop: Header=BB75_48 Depth=1
	s_or_b64 exec, exec, s[12:13]
	s_waitcnt vmcnt(0)
	;;#ASMSTART
	v_pk_mul_f16 v2, v33, v2;

	;;#ASMEND
	;;#ASMSTART
	v_pk_mul_f16 v3, v32, v3;

	;;#ASMEND
	;;#ASMSTART
	v_pk_mul_f16 v4, v31, v4;

	;;#ASMEND
	;;#ASMSTART
	v_pk_mul_f16 v5, v30, v5;

	;;#ASMEND
	s_nop 0
	;;#ASMSTART
	v_pk_add_f16 v2, v2, v3;

	;;#ASMEND
	s_nop 0
	;;#ASMSTART
	v_pk_add_f16 v2, v2, v4;

	;;#ASMEND
	;; [unrolled: 5-line block ×3, first 2 shown]
	s_nop 0
	v_lshrrev_b32_e32 v3, 16, v2
	v_and_b32_e32 v2, 0xffff, v2
	;;#ASMSTART
	v_cvt_f32_f16 v36, v2;
	;;#ASMEND
	;;#ASMSTART
	v_cvt_f32_f16 v37, v3;
	;;#ASMEND
	global_load_dwordx4 v[2:5], v[14:15], off offset:2048
	s_and_saveexec_b64 s[0:1], vcc
	s_cbranch_execz .LBB75_46
; %bb.54:                               ;   in Loop: Header=BB75_48 Depth=1
	s_waitcnt vmcnt(0)
	v_lshrrev_b32_e32 v14, 16, v5
	v_cmp_gt_i32_e32 vcc, s36, v29
	s_nop 1
	v_cndmask_b32_e32 v14, 0, v14, vcc
	v_cmp_gt_i32_e32 vcc, s35, v28
	s_nop 1
	v_cndmask_b32_e32 v5, 0, v5, vcc
	v_perm_b32 v5, v14, v5, s24
	v_lshrrev_b32_e32 v14, 16, v4
	v_cmp_gt_i32_e32 vcc, s34, v27
	s_nop 1
	v_cndmask_b32_e32 v14, 0, v14, vcc
	v_cmp_gt_i32_e32 vcc, s31, v26
	s_nop 1
	v_cndmask_b32_e32 v4, 0, v4, vcc
	v_perm_b32 v4, v14, v4, s24
	;; [unrolled: 8-line block ×4, first 2 shown]
	s_branch .LBB75_46
.LBB75_55:
	s_or_b64 exec, exec, s[6:7]
.LBB75_56:
	s_or_b64 exec, exec, s[2:3]
	ds_bpermute_b32 v2, v17, v6
	ds_bpermute_b32 v3, v17, v7
	;; [unrolled: 1-line block ×3, first 2 shown]
	v_and_b32_e32 v4, 0x3c1, v0
	v_cmp_eq_u32_e32 vcc, 64, v4
	s_waitcnt lgkmcnt(0)
	v_pk_add_f32 v[2:3], v[6:7], v[2:3]
	v_add_f32_e32 v1, v8, v1
	s_barrier
	s_and_saveexec_b64 s[0:1], vcc
	s_cbranch_execz .LBB75_58
; %bb.57:
	v_mov_b32_e32 v5, 0xd0
	v_lshl_add_u32 v5, v16, 1, v5
	ds_write2_b32 v5, v2, v3 offset1:32
	ds_write_b32 v5, v1 offset:256
.LBB75_58:
	s_or_b64 exec, exec, s[0:1]
	v_cmp_gt_u32_e32 vcc, 64, v0
	s_waitcnt lgkmcnt(0)
	s_barrier
	s_and_saveexec_b64 s[0:1], vcc
	s_cbranch_execz .LBB75_64
; %bb.59:
	v_cmp_eq_u32_e32 vcc, 0, v18
	v_lshrrev_b32_e32 v5, 1, v0
	s_and_saveexec_b64 s[2:3], vcc
	s_cbranch_execnz .LBB75_67
; %bb.60:
	s_or_b64 exec, exec, s[2:3]
	s_and_saveexec_b64 s[2:3], vcc
	s_cbranch_execnz .LBB75_68
.LBB75_61:
	s_or_b64 exec, exec, s[2:3]
	s_and_saveexec_b64 s[2:3], vcc
	s_cbranch_execz .LBB75_63
.LBB75_62:
	v_mov_b32_e32 v6, 0xd0
	v_lshl_add_u32 v5, v5, 2, v6
	ds_read_b32 v5, v5 offset:256
	s_waitcnt lgkmcnt(0)
	v_add_f32_e32 v1, v1, v5
.LBB75_63:
	s_or_b64 exec, exec, s[2:3]
.LBB75_64:
	s_or_b64 exec, exec, s[0:1]
	v_cmp_eq_u32_e32 vcc, 0, v4
	s_barrier
	s_and_saveexec_b64 s[0:1], vcc
	s_cbranch_execz .LBB75_66
; %bb.65:
	s_mul_i32 s0, s10, s11
	s_mul_i32 s0, s0, s5
	s_mulk_i32 s0, 0x60
	s_ashr_i32 s1, s0, 31
	s_lshl_b64 s[0:1], s[0:1], 1
	s_add_u32 s2, s22, s0
	s_mul_i32 s0, s11, s20
	s_addc_u32 s3, s23, s1
	s_ashr_i32 s1, s0, 31
	s_lshl_b64 s[0:1], s[0:1], 1
	s_add_u32 s2, s2, s0
	s_mul_i32 s0, s4, 0x60
	s_addc_u32 s3, s3, s1
	s_ashr_i32 s1, s0, 31
	s_lshl_b64 s[0:1], s[0:1], 1
	s_add_u32 s0, s2, s0
	s_addc_u32 s1, s3, s1
	;;#ASMSTART
	v_cvt_f16_f32 v2, v2;

	;;#ASMEND
	global_store_short v0, v2, s[0:1]
	;;#ASMSTART
	v_cvt_f16_f32 v2, v3;

	;;#ASMEND
	global_store_short v0, v2, s[0:1] offset:64
	;;#ASMSTART
	v_cvt_f16_f32 v1, v1;

	;;#ASMEND
	global_store_short v0, v1, s[0:1] offset:128
.LBB75_66:
	s_endpgm
.LBB75_67:
	v_mov_b32_e32 v6, 0xd0
	v_lshl_add_u32 v6, v5, 2, v6
	ds_read_b32 v6, v6
	s_waitcnt lgkmcnt(0)
	v_add_f32_e32 v2, v2, v6
	s_or_b64 exec, exec, s[2:3]
	s_and_saveexec_b64 s[2:3], vcc
	s_cbranch_execz .LBB75_61
.LBB75_68:
	v_mov_b32_e32 v6, 0xd0
	v_lshl_add_u32 v6, v5, 2, v6
	ds_read_b32 v6, v6 offset:128
	s_waitcnt lgkmcnt(0)
	v_add_f32_e32 v3, v3, v6
	s_or_b64 exec, exec, s[2:3]
	s_and_saveexec_b64 s[2:3], vcc
	s_cbranch_execnz .LBB75_62
	s_branch .LBB75_63
	.section	.rodata,"a",@progbits
	.p2align	6, 0x0
	.amdhsa_kernel _ZN4vllm25paged_attention_v1_kernelIttLi96ELi16ELi128ELNS_18Fp8KVCacheDataTypeE0ELb1EEEvPT_PKS2_PKT0_S8_ifPKiSA_iPKfiiiSC_SC_iiiii
		.amdhsa_group_segment_fixed_size 208
		.amdhsa_private_segment_fixed_size 0
		.amdhsa_kernarg_size 384
		.amdhsa_user_sgpr_count 2
		.amdhsa_user_sgpr_dispatch_ptr 0
		.amdhsa_user_sgpr_queue_ptr 0
		.amdhsa_user_sgpr_kernarg_segment_ptr 1
		.amdhsa_user_sgpr_dispatch_id 0
		.amdhsa_user_sgpr_kernarg_preload_length 0
		.amdhsa_user_sgpr_kernarg_preload_offset 0
		.amdhsa_user_sgpr_private_segment_size 0
		.amdhsa_uses_dynamic_stack 0
		.amdhsa_enable_private_segment 0
		.amdhsa_system_sgpr_workgroup_id_x 1
		.amdhsa_system_sgpr_workgroup_id_y 1
		.amdhsa_system_sgpr_workgroup_id_z 1
		.amdhsa_system_sgpr_workgroup_info 0
		.amdhsa_system_vgpr_workitem_id 0
		.amdhsa_next_free_vgpr 60
		.amdhsa_next_free_sgpr 47
		.amdhsa_accum_offset 60
		.amdhsa_reserve_vcc 1
		.amdhsa_float_round_mode_32 0
		.amdhsa_float_round_mode_16_64 0
		.amdhsa_float_denorm_mode_32 3
		.amdhsa_float_denorm_mode_16_64 3
		.amdhsa_dx10_clamp 1
		.amdhsa_ieee_mode 1
		.amdhsa_fp16_overflow 0
		.amdhsa_tg_split 0
		.amdhsa_exception_fp_ieee_invalid_op 0
		.amdhsa_exception_fp_denorm_src 0
		.amdhsa_exception_fp_ieee_div_zero 0
		.amdhsa_exception_fp_ieee_overflow 0
		.amdhsa_exception_fp_ieee_underflow 0
		.amdhsa_exception_fp_ieee_inexact 0
		.amdhsa_exception_int_div_zero 0
	.end_amdhsa_kernel
	.section	.text._ZN4vllm25paged_attention_v1_kernelIttLi96ELi16ELi128ELNS_18Fp8KVCacheDataTypeE0ELb1EEEvPT_PKS2_PKT0_S8_ifPKiSA_iPKfiiiSC_SC_iiiii,"axG",@progbits,_ZN4vllm25paged_attention_v1_kernelIttLi96ELi16ELi128ELNS_18Fp8KVCacheDataTypeE0ELb1EEEvPT_PKS2_PKT0_S8_ifPKiSA_iPKfiiiSC_SC_iiiii,comdat
.Lfunc_end75:
	.size	_ZN4vllm25paged_attention_v1_kernelIttLi96ELi16ELi128ELNS_18Fp8KVCacheDataTypeE0ELb1EEEvPT_PKS2_PKT0_S8_ifPKiSA_iPKfiiiSC_SC_iiiii, .Lfunc_end75-_ZN4vllm25paged_attention_v1_kernelIttLi96ELi16ELi128ELNS_18Fp8KVCacheDataTypeE0ELb1EEEvPT_PKS2_PKT0_S8_ifPKiSA_iPKfiiiSC_SC_iiiii
                                        ; -- End function
	.section	.AMDGPU.csdata,"",@progbits
; Kernel info:
; codeLenInByte = 5988
; NumSgprs: 53
; NumVgprs: 60
; NumAgprs: 0
; TotalNumVgprs: 60
; ScratchSize: 0
; MemoryBound: 0
; FloatMode: 240
; IeeeMode: 1
; LDSByteSize: 208 bytes/workgroup (compile time only)
; SGPRBlocks: 6
; VGPRBlocks: 7
; NumSGPRsForWavesPerEU: 53
; NumVGPRsForWavesPerEU: 60
; AccumOffset: 60
; Occupancy: 8
; WaveLimiterHint : 1
; COMPUTE_PGM_RSRC2:SCRATCH_EN: 0
; COMPUTE_PGM_RSRC2:USER_SGPR: 2
; COMPUTE_PGM_RSRC2:TRAP_HANDLER: 0
; COMPUTE_PGM_RSRC2:TGID_X_EN: 1
; COMPUTE_PGM_RSRC2:TGID_Y_EN: 1
; COMPUTE_PGM_RSRC2:TGID_Z_EN: 1
; COMPUTE_PGM_RSRC2:TIDIG_COMP_CNT: 0
; COMPUTE_PGM_RSRC3_GFX90A:ACCUM_OFFSET: 14
; COMPUTE_PGM_RSRC3_GFX90A:TG_SPLIT: 0
	.section	.text._ZN4vllm25paged_attention_v1_kernelIttLi112ELi16ELi128ELNS_18Fp8KVCacheDataTypeE0ELb1EEEvPT_PKS2_PKT0_S8_ifPKiSA_iPKfiiiSC_SC_iiiii,"axG",@progbits,_ZN4vllm25paged_attention_v1_kernelIttLi112ELi16ELi128ELNS_18Fp8KVCacheDataTypeE0ELb1EEEvPT_PKS2_PKT0_S8_ifPKiSA_iPKfiiiSC_SC_iiiii,comdat
	.protected	_ZN4vllm25paged_attention_v1_kernelIttLi112ELi16ELi128ELNS_18Fp8KVCacheDataTypeE0ELb1EEEvPT_PKS2_PKT0_S8_ifPKiSA_iPKfiiiSC_SC_iiiii ; -- Begin function _ZN4vllm25paged_attention_v1_kernelIttLi112ELi16ELi128ELNS_18Fp8KVCacheDataTypeE0ELb1EEEvPT_PKS2_PKT0_S8_ifPKiSA_iPKfiiiSC_SC_iiiii
	.globl	_ZN4vllm25paged_attention_v1_kernelIttLi112ELi16ELi128ELNS_18Fp8KVCacheDataTypeE0ELb1EEEvPT_PKS2_PKT0_S8_ifPKiSA_iPKfiiiSC_SC_iiiii
	.p2align	8
	.type	_ZN4vllm25paged_attention_v1_kernelIttLi112ELi16ELi128ELNS_18Fp8KVCacheDataTypeE0ELb1EEEvPT_PKS2_PKT0_S8_ifPKiSA_iPKfiiiSC_SC_iiiii,@function
_ZN4vllm25paged_attention_v1_kernelIttLi112ELi16ELi128ELNS_18Fp8KVCacheDataTypeE0ELb1EEEvPT_PKS2_PKT0_S8_ifPKiSA_iPKfiiiSC_SC_iiiii: ; @_ZN4vllm25paged_attention_v1_kernelIttLi112ELi16ELi128ELNS_18Fp8KVCacheDataTypeE0ELb1EEEvPT_PKS2_PKT0_S8_ifPKiSA_iPKfiiiSC_SC_iiiii
; %bb.0:
	s_load_dword s5, s[0:1], 0x80
	s_load_dwordx2 s[6:7], s[0:1], 0x30
	s_load_dwordx2 s[30:31], s[0:1], 0x20
	s_mov_b32 s10, s3
	s_ashr_i32 s11, s3, 31
	s_lshl_b64 s[8:9], s[10:11], 2
	s_waitcnt lgkmcnt(0)
	s_add_u32 s6, s6, s8
	s_addc_u32 s7, s7, s9
	s_abs_i32 s3, s30
	v_cvt_f32_u32_e32 v1, s3
	s_sub_i32 s11, 0, s3
	s_abs_i32 s9, s5
	s_xor_b32 s8, s5, s30
	v_rcp_iflag_f32_e32 v1, v1
	s_ashr_i32 s8, s8, 31
	s_mov_b32 s43, 0
	v_mul_f32_e32 v1, 0x4f7ffffe, v1
	v_cvt_u32_f32_e32 v1, v1
	s_nop 0
	v_readfirstlane_b32 s12, v1
	s_mul_i32 s11, s11, s12
	s_mul_hi_u32 s11, s12, s11
	s_add_i32 s12, s12, s11
	s_mul_hi_u32 s11, s9, s12
	s_mul_i32 s12, s11, s3
	s_sub_i32 s9, s9, s12
	s_add_i32 s12, s11, 1
	s_sub_i32 s13, s9, s3
	s_cmp_ge_u32 s9, s3
	s_cselect_b32 s11, s12, s11
	s_cselect_b32 s9, s13, s9
	s_add_i32 s12, s11, 1
	s_cmp_ge_u32 s9, s3
	s_cselect_b32 s3, s12, s11
	s_xor_b32 s3, s3, s8
	s_sub_i32 s16, s3, s8
	s_abs_i32 s11, s16
	v_cvt_f32_u32_e32 v1, s11
	s_load_dwordx2 s[8:9], s[0:1], 0x40
	s_sub_i32 s3, 0, s11
	s_abs_i32 s22, s2
	v_rcp_iflag_f32_e32 v1, v1
	s_nop 0
	v_mul_f32_e32 v1, 0x4f7ffffe, v1
	v_cvt_u32_f32_e32 v1, v1
	s_nop 0
	v_readfirstlane_b32 s12, v1
	s_mul_i32 s3, s3, s12
	s_mul_hi_u32 s3, s12, s3
	s_add_i32 s12, s12, s3
	s_waitcnt lgkmcnt(0)
	s_cmp_eq_u64 s[8:9], 0
	s_mul_hi_u32 s23, s22, s12
	s_cbranch_scc1 .LBB76_2
; %bb.1:
	s_ashr_i32 s3, s2, 31
	s_lshl_b64 s[12:13], s[2:3], 2
	s_add_u32 s8, s8, s12
	s_addc_u32 s9, s9, s13
	s_load_dword s43, s[8:9], 0x0
.LBB76_2:
	s_load_dword s33, s[6:7], 0x0
	s_load_dwordx4 s[12:15], s[0:1], 0x48
	s_ashr_i32 s3, s2, 31
	s_ashr_i32 s9, s16, 31
	v_and_b32_e32 v4, 3, v0
	s_mul_i32 s20, s2, 0x70
	v_cmp_gt_u32_e32 vcc, 56, v0
	s_and_saveexec_b64 s[6:7], vcc
	s_cbranch_execz .LBB76_4
; %bb.3:
	s_load_dwordx2 s[16:17], s[0:1], 0x8
	s_waitcnt lgkmcnt(0)
	s_mul_i32 s18, s10, s12
	s_ashr_i32 s19, s18, 31
	s_lshl_b64 s[18:19], s[18:19], 1
	v_lshlrev_b32_e32 v1, 2, v0
	s_add_u32 s8, s16, s18
	s_addc_u32 s12, s17, s19
	s_ashr_i32 s21, s20, 31
	s_lshl_b64 s[16:17], s[20:21], 1
	s_add_u32 s16, s8, s16
	s_addc_u32 s17, s12, s17
	global_load_dword v1, v1, s[16:17]
	v_and_b32_e32 v2, 0x3fc, v0
	v_mad_u32_u24 v2, v4, 56, v2
	s_waitcnt vmcnt(0)
	ds_write_b32 v2, v1
.LBB76_4:
	s_or_b64 exec, exec, s[6:7]
	s_mul_i32 s6, s23, s11
	s_sub_i32 s6, s22, s6
	s_xor_b32 s3, s3, s9
	s_add_i32 s7, s23, 1
	s_sub_i32 s9, s6, s11
	s_load_dwordx4 s[16:19], s[0:1], 0x68
	s_load_dword s8, s[0:1], 0x78
	s_cmp_ge_u32 s6, s11
	s_cselect_b32 s7, s7, s23
	s_cselect_b32 s6, s9, s6
	s_add_i32 s9, s7, 1
	s_cmp_ge_u32 s6, s11
	s_cselect_b32 s6, s9, s7
	s_waitcnt lgkmcnt(0)
	s_abs_i32 s21, s19
	v_cvt_f32_u32_e32 v1, s21
	s_xor_b32 s6, s6, s3
	s_sub_i32 s3, s6, s3
	s_sub_i32 s6, 0, s21
	v_rcp_iflag_f32_e32 v1, v1
	s_add_i32 s11, s33, -1
	s_abs_i32 s9, s11
	v_mul_f32_e32 v1, 0x4f7ffffe, v1
	v_cvt_u32_f32_e32 v1, v1
	s_barrier
	v_readfirstlane_b32 s40, v1
	s_mul_i32 s6, s6, s40
	s_mul_hi_u32 s6, s40, s6
	s_add_i32 s40, s40, s6
	s_cmp_lt_i32 s8, 0
	s_mul_hi_u32 s12, s9, s40
	s_cbranch_scc0 .LBB76_6
; %bb.5:
	s_mul_i32 s6, s16, s30
	s_add_i32 s6, s3, s6
	s_mul_i32 s6, s6, s8
	s_sub_i32 s41, 1, s6
	s_mov_b64 s[6:7], 0
	s_branch .LBB76_7
.LBB76_6:
	s_mov_b64 s[6:7], -1
                                        ; implicit-def: $sgpr41
.LBB76_7:
	s_load_dwordx2 s[24:25], s[0:1], 0x28
	s_ashr_i32 s15, s11, 31
	s_andn2_b64 vcc, exec, s[6:7]
	s_ashr_i32 s19, s19, 31
	s_cbranch_vccnz .LBB76_9
; %bb.8:
	s_mul_i32 s6, s5, s16
	s_add_i32 s2, s6, s2
	s_mul_i32 s2, s2, s8
	s_add_i32 s41, s2, 1
.LBB76_9:
	s_load_dword s2, s[0:1], 0x38
	s_load_dwordx2 s[22:23], s[0:1], 0x0
	s_load_dwordx2 s[28:29], s[0:1], 0x18
	s_load_dword s11, s[0:1], 0x88
	s_xor_b32 s6, s15, s19
	s_waitcnt lgkmcnt(0)
	s_mul_i32 s26, s10, s2
	s_mul_i32 s2, s12, s21
	s_sub_i32 s2, s9, s2
	s_ashr_i32 s27, s26, 31
	s_add_i32 s7, s12, 1
	s_sub_i32 s8, s2, s21
	s_cmp_ge_u32 s2, s21
	s_cselect_b32 s7, s7, s12
	s_cselect_b32 s2, s8, s2
	s_add_i32 s8, s7, 1
	s_cmp_ge_u32 s2, s21
	s_cselect_b32 s2, s8, s7
	s_xor_b32 s2, s2, s6
	s_sub_i32 s12, s2, s6
	s_add_i32 s2, s33, 15
	s_ashr_i32 s6, s2, 31
	s_lshr_b32 s6, s6, 28
	s_add_i32 s2, s2, s6
	s_ashr_i32 s42, s2, 4
	v_lshrrev_b32_e32 v1, 6, v0
	v_cmp_gt_i32_e64 s[6:7], s42, v1
	v_mov_b32_e32 v10, 0xff7fffff
	s_mul_i32 s14, s3, s14
	v_lshrrev_b32_e32 v6, 4, v0
	v_lshlrev_b32_e32 v20, 4, v1
	v_mbcnt_lo_u32_b32 v7, -1, 0
	s_and_saveexec_b64 s[34:35], s[6:7]
	s_cbranch_execz .LBB76_19
; %bb.10:
	s_load_dwordx2 s[0:1], s[0:1], 0x10
	s_ashr_i32 s15, s14, 31
	s_sub_i32 s16, s12, s17
	s_lshl_b64 s[2:3], s[14:15], 1
	v_bfe_u32 v8, v0, 2, 4
	s_waitcnt lgkmcnt(0)
	s_add_u32 s0, s0, s2
	s_addc_u32 s1, s1, s3
	s_abs_i32 s15, s18
	v_cvt_f32_u32_e32 v5, s15
	v_lshlrev_b32_e32 v12, 4, v8
	v_mov_b32_e32 v13, 0
	v_lshl_add_u64 v[2:3], s[0:1], 0, v[12:13]
	v_rcp_iflag_f32_e32 v5, v5
	v_lshlrev_b32_e32 v9, 2, v0
	s_sub_i32 s0, 0, s15
	v_cmp_eq_u32_e32 vcc, 0, v4
	v_mul_f32_e32 v5, 0x4f7ffffe, v5
	v_cvt_u32_f32_e32 v5, v5
	v_and_b32_e32 v12, 12, v9
	v_mul_u32_u24_e32 v9, 56, v4
	v_lshlrev_b32_e32 v10, 2, v8
	v_mul_lo_u32 v4, s0, v5
	s_lshl_b64 s[0:1], s[26:27], 2
	s_add_u32 s0, s24, s0
	v_lshl_add_u64 v[2:3], v[2:3], 0, v[12:13]
	v_mul_hi_u32 v4, v5, v4
	v_and_b32_e32 v12, 60, v6
	s_addc_u32 s1, s25, s1
	v_lshl_or_b32 v10, v1, 6, v10
	v_add_u32_e32 v11, v5, v4
	v_lshl_add_u64 v[4:5], s[0:1], 0, v[12:13]
	v_add_u32_e32 v13, 0xf0, v10
	v_subrev_u32_e32 v10, s33, v8
	v_mbcnt_hi_u32_b32 v16, -1, v7
	v_add_u32_e32 v14, 1, v10
	v_and_b32_e32 v10, 64, v16
	s_mov_b32 s30, s13
	v_cmp_neq_f32_e64 s[2:3], s43, 0
	v_lshlrev_b32_e32 v12, 4, v1
	s_mov_b64 s[36:37], 0
	v_mov_b32_e32 v15, 0xff7fffff
	v_add_u32_e32 v17, 64, v10
	v_xor_b32_e32 v18, 2, v16
	v_xor_b32_e32 v19, 1, v16
	v_mov_b32_e32 v10, 0xff7fffff
	v_mov_b32_e32 v21, v1
	s_branch .LBB76_13
.LBB76_11:                              ;   in Loop: Header=BB76_13 Depth=1
	s_or_b64 exec, exec, s[38:39]
.LBB76_12:                              ;   in Loop: Header=BB76_13 Depth=1
	s_or_b64 exec, exec, s[8:9]
	v_add_u32_e32 v21, 2, v21
	v_cmp_le_i32_e64 s[0:1], s42, v21
	v_lshl_add_u64 v[4:5], v[4:5], 0, 8
	v_add_u32_e32 v12, 32, v12
	s_or_b64 s[36:37], s[0:1], s[36:37]
	v_add_u32_e32 v13, 0x80, v13
	s_andn2_b64 exec, exec, s[36:37]
	s_cbranch_execz .LBB76_18
.LBB76_13:                              ; =>This Inner Loop Header: Depth=1
	v_mul_hi_u32 v22, v12, s40
	s_waitcnt lgkmcnt(0)
	v_mul_lo_u32 v23, v22, s21
	v_sub_u32_e32 v23, v12, v23
	v_add_u32_e32 v24, 1, v22
	v_cmp_le_u32_e64 s[0:1], s21, v23
	s_nop 1
	v_cndmask_b32_e64 v22, v22, v24, s[0:1]
	v_subrev_u32_e32 v24, s21, v23
	v_cndmask_b32_e64 v23, v23, v24, s[0:1]
	v_add_u32_e32 v24, 1, v22
	v_cmp_le_u32_e64 s[0:1], s21, v23
	s_nop 1
	v_cndmask_b32_e64 v22, v22, v24, s[0:1]
	v_xor_b32_e32 v22, s19, v22
	v_subrev_u32_e32 v22, s19, v22
	v_add_u32_e32 v23, s41, v22
	v_sub_u32_e32 v25, 0, v23
	v_ashrrev_i32_e32 v24, 31, v23
	v_max_i32_e32 v23, v23, v25
	v_mul_hi_u32 v25, v23, v11
	v_mul_lo_u32 v25, v25, s15
	v_sub_u32_e32 v23, v23, v25
	v_subrev_u32_e32 v25, s15, v23
	v_cmp_le_u32_e64 s[0:1], s15, v23
	v_cmp_ge_i32_e64 s[8:9], s16, v22
	s_nop 0
	v_cndmask_b32_e64 v23, v23, v25, s[0:1]
	v_subrev_u32_e32 v25, s15, v23
	v_cmp_le_u32_e64 s[0:1], s15, v23
	s_nop 1
	v_cndmask_b32_e64 v23, v23, v25, s[0:1]
	v_xor_b32_e32 v23, v23, v24
	v_sub_u32_e32 v23, v23, v24
	v_cmp_ne_u32_e64 s[0:1], 0, v23
	s_and_b64 s[0:1], s[0:1], s[8:9]
	s_and_b64 s[38:39], vcc, s[0:1]
	s_and_saveexec_b64 s[8:9], s[38:39]
	s_cbranch_execz .LBB76_15
; %bb.14:                               ;   in Loop: Header=BB76_13 Depth=1
	ds_write_b32 v13, v15
.LBB76_15:                              ;   in Loop: Header=BB76_13 Depth=1
	s_or_b64 exec, exec, s[8:9]
	s_xor_b64 s[0:1], s[0:1], -1
	s_and_saveexec_b64 s[8:9], s[0:1]
	s_cbranch_execz .LBB76_12
; %bb.16:                               ;   in Loop: Header=BB76_13 Depth=1
	global_load_dword v22, v[4:5], off
	s_waitcnt vmcnt(0)
	v_mad_i64_i32 v[22:23], s[0:1], v22, s30, 0
	v_lshl_add_u64 v[22:23], v[22:23], 1, v[2:3]
	global_load_dword v24, v[22:23], off
	global_load_dword v25, v[22:23], off offset:256
	global_load_dword v26, v[22:23], off offset:512
	;; [unrolled: 1-line block ×12, first 2 shown]
	ds_read_b32 v37, v9
	global_load_dword v22, v[22:23], off offset:3328
	v_cmp_lt_i32_e64 s[0:1], v18, v17
	s_waitcnt lgkmcnt(0)
	v_lshrrev_b32_e32 v38, 16, v37
	v_and_b32_e32 v37, 0xffff, v37
	;;#ASMSTART
	v_cvt_f32_f16 v37, v37;
	;;#ASMEND
	;;#ASMSTART
	v_cvt_f32_f16 v38, v38;
	;;#ASMEND
	v_cndmask_b32_e64 v23, v16, v18, s[0:1]
	v_lshlrev_b32_e32 v23, 2, v23
	v_cmp_lt_i32_e64 s[0:1], v19, v17
	s_waitcnt vmcnt(13)
	v_lshrrev_b32_e32 v39, 16, v24
	v_and_b32_e32 v24, 0xffff, v24
	;;#ASMSTART
	v_cvt_f32_f16 v24, v24;
	;;#ASMEND
	;;#ASMSTART
	v_cvt_f32_f16 v39, v39;
	;;#ASMEND
	ds_read_b32 v40, v9 offset:4
	s_waitcnt vmcnt(12)
	v_lshrrev_b32_e32 v41, 16, v25
	v_and_b32_e32 v25, 0xffff, v25
	s_waitcnt vmcnt(11)
	v_lshrrev_b32_e32 v42, 16, v26
	v_and_b32_e32 v26, 0xffff, v26
	s_waitcnt lgkmcnt(0)
	v_lshrrev_b32_e32 v43, 16, v40
	v_and_b32_e32 v40, 0xffff, v40
	;;#ASMSTART
	v_cvt_f32_f16 v40, v40;
	;;#ASMEND
	;;#ASMSTART
	v_cvt_f32_f16 v43, v43;
	;;#ASMEND
	;;#ASMSTART
	v_cvt_f32_f16 v25, v25;
	;;#ASMEND
	;;#ASMSTART
	v_cvt_f32_f16 v41, v41;
	;;#ASMEND
	ds_read_b32 v44, v9 offset:8
	s_waitcnt vmcnt(10)
	v_lshrrev_b32_e32 v45, 16, v27
	v_and_b32_e32 v27, 0xffff, v27
	s_waitcnt vmcnt(9)
	v_lshrrev_b32_e32 v46, 16, v28
	v_and_b32_e32 v28, 0xffff, v28
	s_waitcnt lgkmcnt(0)
	v_lshrrev_b32_e32 v47, 16, v44
	v_and_b32_e32 v44, 0xffff, v44
	;;#ASMSTART
	v_cvt_f32_f16 v44, v44;
	;;#ASMEND
	;;#ASMSTART
	v_cvt_f32_f16 v47, v47;
	;;#ASMEND
	;; [unrolled: 22-line block ×3, first 2 shown]
	;;#ASMSTART
	v_cvt_f32_f16 v27, v27;
	;;#ASMEND
	;;#ASMSTART
	v_cvt_f32_f16 v45, v45;
	;;#ASMEND
	ds_read_b32 v52, v9 offset:16
	s_waitcnt vmcnt(6)
	v_lshrrev_b32_e32 v53, 16, v31
	v_and_b32_e32 v31, 0xffff, v31
	v_mul_f32_e32 v25, v40, v25
	v_mul_f32_e32 v40, v43, v41
	s_waitcnt lgkmcnt(0)
	v_lshrrev_b32_e32 v55, 16, v52
	v_and_b32_e32 v52, 0xffff, v52
	;;#ASMSTART
	v_cvt_f32_f16 v52, v52;
	;;#ASMEND
	;;#ASMSTART
	v_cvt_f32_f16 v55, v55;
	;;#ASMEND
	;; [unrolled: 3-line block ×4, first 2 shown]
	ds_read_b32 v56, v9 offset:20
	v_fmac_f32_e32 v25, v37, v24
	s_waitcnt vmcnt(5)
	v_lshrrev_b32_e32 v54, 16, v32
	v_and_b32_e32 v32, 0xffff, v32
	v_fmac_f32_e32 v25, v44, v26
	s_waitcnt lgkmcnt(0)
	v_lshrrev_b32_e32 v59, 16, v56
	v_and_b32_e32 v56, 0xffff, v56
	;;#ASMSTART
	v_cvt_f32_f16 v56, v56;
	;;#ASMEND
	;;#ASMSTART
	v_cvt_f32_f16 v59, v59;
	;;#ASMEND
	;; [unrolled: 3-line block ×4, first 2 shown]
	ds_read_b32 v60, v9 offset:24
	v_fmac_f32_e32 v40, v38, v39
	v_fmac_f32_e32 v25, v48, v27
	s_waitcnt vmcnt(4)
	v_lshrrev_b32_e32 v57, 16, v33
	v_and_b32_e32 v33, 0xffff, v33
	s_waitcnt lgkmcnt(0)
	v_lshrrev_b32_e32 v63, 16, v60
	v_and_b32_e32 v60, 0xffff, v60
	;;#ASMSTART
	v_cvt_f32_f16 v60, v60;
	;;#ASMEND
	;;#ASMSTART
	v_cvt_f32_f16 v63, v63;
	;;#ASMEND
	;; [unrolled: 3-line block ×4, first 2 shown]
	ds_read_b32 v64, v9 offset:28
	v_fmac_f32_e32 v25, v52, v28
	v_fmac_f32_e32 v25, v56, v29
	s_waitcnt vmcnt(3)
	v_lshrrev_b32_e32 v58, 16, v34
	v_and_b32_e32 v34, 0xffff, v34
	s_waitcnt lgkmcnt(0)
	v_lshrrev_b32_e32 v41, 16, v64
	v_and_b32_e32 v43, 0xffff, v64
	;;#ASMSTART
	v_cvt_f32_f16 v43, v43;
	;;#ASMEND
	;;#ASMSTART
	v_cvt_f32_f16 v41, v41;
	;;#ASMEND
	;; [unrolled: 3-line block ×4, first 2 shown]
	ds_read_b32 v64, v9 offset:32
	v_fmac_f32_e32 v40, v47, v42
	v_fmac_f32_e32 v25, v60, v30
	;; [unrolled: 1-line block ×4, first 2 shown]
	s_waitcnt lgkmcnt(0)
	v_lshrrev_b32_e32 v24, 16, v64
	v_and_b32_e32 v26, 0xffff, v64
	;;#ASMSTART
	v_cvt_f32_f16 v26, v26;
	;;#ASMEND
	;;#ASMSTART
	v_cvt_f32_f16 v24, v24;
	;;#ASMEND
	;; [unrolled: 3-line block ×4, first 2 shown]
	ds_read_b32 v38, v9 offset:36
	v_fmac_f32_e32 v40, v59, v49
	v_fmac_f32_e32 v40, v63, v50
	v_fmac_f32_e32 v25, v43, v31
	v_fmac_f32_e32 v40, v41, v53
	s_waitcnt lgkmcnt(0)
	v_lshrrev_b32_e32 v27, 16, v38
	v_and_b32_e32 v28, 0xffff, v38
	;;#ASMSTART
	v_cvt_f32_f16 v28, v28;
	;;#ASMEND
	;;#ASMSTART
	v_cvt_f32_f16 v27, v27;
	;;#ASMEND
	;; [unrolled: 3-line block ×4, first 2 shown]
	ds_read_b32 v39, v9 offset:40
	s_waitcnt vmcnt(2)
	v_lshrrev_b32_e32 v61, 16, v35
	v_and_b32_e32 v35, 0xffff, v35
	v_fmac_f32_e32 v25, v26, v32
	v_fmac_f32_e32 v40, v24, v37
	s_waitcnt lgkmcnt(0)
	v_lshrrev_b32_e32 v29, 16, v39
	v_and_b32_e32 v30, 0xffff, v39
	;;#ASMSTART
	v_cvt_f32_f16 v30, v30;
	;;#ASMEND
	;;#ASMSTART
	v_cvt_f32_f16 v29, v29;
	;;#ASMEND
	;; [unrolled: 3-line block ×4, first 2 shown]
	ds_read_b32 v42, v9 offset:44
	v_fmac_f32_e32 v25, v28, v33
	v_fmac_f32_e32 v40, v27, v38
	s_waitcnt vmcnt(1)
	v_lshrrev_b32_e32 v62, 16, v36
	v_and_b32_e32 v36, 0xffff, v36
	s_waitcnt lgkmcnt(0)
	v_lshrrev_b32_e32 v24, 16, v42
	v_and_b32_e32 v26, 0xffff, v42
	;;#ASMSTART
	v_cvt_f32_f16 v26, v26;
	;;#ASMEND
	;;#ASMSTART
	v_cvt_f32_f16 v24, v24;
	;;#ASMEND
	;; [unrolled: 3-line block ×4, first 2 shown]
	ds_read_b32 v35, v9 offset:48
	v_fmac_f32_e32 v25, v30, v34
	v_fmac_f32_e32 v40, v29, v39
	;; [unrolled: 1-line block ×4, first 2 shown]
	s_waitcnt lgkmcnt(0)
	v_lshrrev_b32_e32 v27, 16, v35
	v_and_b32_e32 v28, 0xffff, v35
	;;#ASMSTART
	v_cvt_f32_f16 v28, v28;
	;;#ASMEND
	;;#ASMSTART
	v_cvt_f32_f16 v27, v27;
	;;#ASMEND
	;; [unrolled: 3-line block ×4, first 2 shown]
	ds_read_b32 v33, v9 offset:52
	s_waitcnt vmcnt(0)
	v_lshrrev_b32_e32 v65, 16, v22
	v_and_b32_e32 v22, 0xffff, v22
	v_fmac_f32_e32 v25, v28, v29
	v_fmac_f32_e32 v40, v27, v30
	s_waitcnt lgkmcnt(0)
	v_lshrrev_b32_e32 v24, 16, v33
	v_and_b32_e32 v26, 0xffff, v33
	;;#ASMSTART
	v_cvt_f32_f16 v26, v26;
	;;#ASMEND
	;;#ASMSTART
	v_cvt_f32_f16 v24, v24;
	;;#ASMEND
	;; [unrolled: 3-line block ×4, first 2 shown]
	s_nop 0
	v_fmac_f32_e32 v25, v26, v22
	v_fmac_f32_e32 v40, v24, v27
	v_add_f32_e32 v22, v25, v40
	ds_bpermute_b32 v23, v23, v22
	v_cndmask_b32_e64 v24, v16, v19, s[0:1]
	s_waitcnt lgkmcnt(0)
	v_add_f32_e32 v22, v22, v23
	v_lshlrev_b32_e32 v23, 2, v24
	ds_bpermute_b32 v23, v23, v22
	s_and_saveexec_b64 s[38:39], vcc
	s_cbranch_execz .LBB76_11
; %bb.17:                               ;   in Loop: Header=BB76_13 Depth=1
	v_add_u32_e32 v24, v14, v12
	v_cvt_f32_i32_e32 v24, v24
	s_waitcnt lgkmcnt(0)
	v_add_f32_e32 v22, v22, v23
	v_add_u32_e32 v25, v8, v12
	v_cmp_gt_i32_e64 s[0:1], s33, v25
	v_mul_f32_e32 v23, s43, v24
	v_cndmask_b32_e64 v23, 0, v23, s[2:3]
	v_fmac_f32_e32 v23, s31, v22
	v_cndmask_b32_e64 v22, 0, v23, s[0:1]
	ds_write_b32 v13, v22
	v_max_f32_e32 v22, v10, v10
	v_max_f32_e32 v22, v22, v23
	v_cndmask_b32_e64 v10, v10, v22, s[0:1]
	s_branch .LBB76_11
.LBB76_18:
	s_or_b64 exec, exec, s[36:37]
.LBB76_19:
	s_or_b64 exec, exec, s[34:35]
	v_mbcnt_hi_u32_b32 v2, -1, v7
	v_and_b32_e32 v3, 64, v2
	v_add_u32_e32 v3, 64, v3
	v_xor_b32_e32 v4, 32, v2
	v_cmp_lt_i32_e32 vcc, v4, v3
	v_xor_b32_e32 v8, 16, v2
	v_max_f32_e32 v7, v10, v10
	v_cndmask_b32_e32 v4, v2, v4, vcc
	v_lshlrev_b32_e32 v5, 2, v4
	ds_bpermute_b32 v4, v5, v10
	v_cmp_lt_i32_e32 vcc, v8, v3
	v_xor_b32_e32 v9, 8, v2
	v_xor_b32_e32 v11, 4, v2
	s_waitcnt lgkmcnt(0)
	v_max_f32_e32 v4, v4, v4
	v_max_f32_e32 v4, v7, v4
	v_cndmask_b32_e32 v7, v2, v8, vcc
	v_lshlrev_b32_e32 v7, 2, v7
	ds_bpermute_b32 v8, v7, v4
	v_cmp_lt_i32_e32 vcc, v9, v3
	s_waitcnt lgkmcnt(0)
	v_max_f32_e32 v8, v8, v8
	v_max_f32_e32 v4, v4, v8
	v_cndmask_b32_e32 v8, v2, v9, vcc
	v_lshlrev_b32_e32 v10, 2, v8
	ds_bpermute_b32 v8, v10, v4
	v_cmp_lt_i32_e32 vcc, v11, v3
	s_waitcnt lgkmcnt(0)
	v_max_f32_e32 v8, v8, v8
	v_max_f32_e32 v9, v4, v8
	v_cndmask_b32_e32 v4, v2, v11, vcc
	v_lshlrev_b32_e32 v11, 2, v4
	ds_bpermute_b32 v12, v11, v9
	v_and_b32_e32 v4, 63, v0
	v_cmp_eq_u32_e32 vcc, 0, v4
	v_lshlrev_b32_e32 v8, 2, v1
	s_and_saveexec_b64 s[0:1], vcc
	s_cbranch_execz .LBB76_21
; %bb.20:
	s_waitcnt lgkmcnt(0)
	v_max_f32_e32 v12, v12, v12
	v_max_f32_e32 v9, v9, v9
	;; [unrolled: 1-line block ×3, first 2 shown]
	ds_write_b32 v8, v9 offset:224
.LBB76_21:
	s_or_b64 exec, exec, s[0:1]
	v_cmp_gt_u32_e64 s[0:1], 2, v4
	s_waitcnt lgkmcnt(0)
	v_mov_b32_e32 v12, 0xff7fffff
	v_lshlrev_b32_e32 v9, 2, v4
	s_barrier
	s_and_saveexec_b64 s[2:3], s[0:1]
	s_cbranch_execz .LBB76_23
; %bb.22:
	ds_read_b32 v12, v9 offset:224
.LBB76_23:
	s_or_b64 exec, exec, s[2:3]
	v_xor_b32_e32 v13, 1, v2
	v_cmp_lt_i32_e64 s[2:3], v13, v3
	v_lshlrev_b32_e32 v14, 2, v2
	s_nop 0
	v_cndmask_b32_e64 v13, v2, v13, s[2:3]
	v_lshlrev_b32_e32 v21, 2, v13
	s_waitcnt lgkmcnt(0)
	ds_bpermute_b32 v13, v21, v12
	v_max_f32_e32 v12, v12, v12
	s_lshl_b32 s2, s42, 4
	s_min_i32 s15, s2, s33
	v_cmp_gt_i32_e64 s[2:3], s15, v0
	s_waitcnt lgkmcnt(0)
	v_max_f32_e32 v13, v13, v13
	v_max_f32_e32 v13, v12, v13
	v_and_b32_e32 v12, 0x100, v14
	ds_bpermute_b32 v14, v12, v13
	v_mov_b32_e32 v13, 0
	s_and_saveexec_b64 s[30:31], s[2:3]
	s_cbranch_execz .LBB76_27
; %bb.24:
	v_mov_b32_e32 v13, 0xf0
	v_lshl_add_u32 v15, v0, 2, v13
	s_mov_b64 s[34:35], 0
	v_mov_b32_e32 v13, 0
	v_mov_b32_e32 v16, v0
.LBB76_25:                              ; =>This Inner Loop Header: Depth=1
	ds_read_b32 v17, v15
	v_add_u32_e32 v16, 0x80, v16
	v_cmp_le_i32_e64 s[8:9], s15, v16
	s_or_b64 s[34:35], s[8:9], s[34:35]
	s_waitcnt lgkmcnt(0)
	v_sub_f32_e32 v17, v17, v14
	v_mul_f32_e32 v17, 0x3fb8aa3b, v17
	v_exp_f32_e32 v17, v17
	ds_write_b32 v15, v17
	v_add_f32_e32 v13, v13, v17
	v_add_u32_e32 v15, 0x200, v15
	s_andn2_b64 exec, exec, s[34:35]
	s_cbranch_execnz .LBB76_25
; %bb.26:
	s_or_b64 exec, exec, s[34:35]
.LBB76_27:
	s_or_b64 exec, exec, s[30:31]
	ds_bpermute_b32 v5, v5, v13
	s_waitcnt lgkmcnt(0)
	v_add_f32_e32 v5, v13, v5
	ds_bpermute_b32 v7, v7, v5
	s_waitcnt lgkmcnt(0)
	v_add_f32_e32 v5, v5, v7
	ds_bpermute_b32 v7, v10, v5
	v_xor_b32_e32 v10, 2, v2
	v_cmp_lt_i32_e64 s[8:9], v10, v3
	s_waitcnt lgkmcnt(0)
	v_add_f32_e32 v5, v5, v7
	ds_bpermute_b32 v7, v11, v5
	v_cndmask_b32_e64 v2, v2, v10, s[8:9]
	v_lshlrev_b32_e32 v2, 2, v2
	s_waitcnt lgkmcnt(0)
	v_add_f32_e32 v3, v5, v7
	ds_bpermute_b32 v2, v2, v3
	s_waitcnt lgkmcnt(0)
	v_add_f32_e32 v2, v3, v2
	ds_bpermute_b32 v3, v21, v2
	s_waitcnt lgkmcnt(0)
	v_add_f32_e32 v2, v2, v3
	s_and_saveexec_b64 s[8:9], vcc
	s_cbranch_execz .LBB76_29
; %bb.28:
	ds_write_b32 v8, v2 offset:232
.LBB76_29:
	s_or_b64 exec, exec, s[8:9]
	s_waitcnt lgkmcnt(0)
	s_barrier
	s_and_saveexec_b64 s[8:9], s[0:1]
	s_cbranch_execz .LBB76_31
; %bb.30:
	ds_read_b32 v2, v9 offset:232
.LBB76_31:
	s_or_b64 exec, exec, s[8:9]
	s_waitcnt lgkmcnt(0)
	ds_bpermute_b32 v3, v21, v2
	s_waitcnt lgkmcnt(0)
	v_add_f32_e32 v2, v2, v3
	ds_bpermute_b32 v2, v12, v2
	s_and_saveexec_b64 s[0:1], s[2:3]
	s_cbranch_execz .LBB76_44
; %bb.32:
	s_waitcnt lgkmcnt(0)
	v_add_f32_e32 v2, 0x358637bd, v2
	v_div_scale_f32 v3, s[2:3], v2, v2, 1.0
	v_rcp_f32_e32 v5, v3
	v_div_scale_f32 v7, vcc, 1.0, v2, 1.0
	s_movk_i32 s2, 0x7f
	v_fma_f32 v8, -v3, v5, 1.0
	v_fmac_f32_e32 v5, v8, v5
	v_mul_f32_e32 v8, v7, v5
	v_fma_f32 v9, -v3, v8, v7
	v_fmac_f32_e32 v8, v9, v5
	v_fma_f32 v3, -v3, v8, v7
	v_div_fmas_f32 v3, v3, v5, v8
	v_xad_u32 v5, v0, -1, s15
	v_div_fixup_f32 v2, v3, v2, 1.0
	v_cmp_lt_u32_e32 vcc, s2, v5
	s_mov_b64 s[8:9], -1
	v_mov_b32_e32 v3, v0
	s_and_saveexec_b64 s[2:3], vcc
	s_cbranch_execz .LBB76_41
; %bb.33:
	v_lshrrev_b32_e32 v5, 7, v5
	v_add_u32_e32 v8, -1, v5
	v_lshrrev_b32_e32 v7, 1, v8
	v_mov_b32_e32 v3, v2
	v_add_u32_e32 v7, 1, v7
	v_cmp_lt_u32_e32 vcc, 13, v8
	v_mov_b32_e32 v10, 0
	s_and_saveexec_b64 s[8:9], vcc
	s_cbranch_execz .LBB76_37
; %bb.34:
	v_mov_b32_e32 v9, 0xf0
	v_and_b32_e32 v8, -8, v7
	v_lshl_add_u32 v9, v0, 2, v9
	s_mov_b32 s16, 0
	s_mov_b64 s[30:31], 0
.LBB76_35:                              ; =>This Inner Loop Header: Depth=1
	ds_read2st64_b32 v[10:11], v9 offset1:2
	ds_read2st64_b32 v[12:13], v9 offset0:4 offset1:6
	ds_read2st64_b32 v[14:15], v9 offset0:8 offset1:10
	;; [unrolled: 1-line block ×3, first 2 shown]
	v_add_u32_e32 v8, -8, v8
	s_waitcnt lgkmcnt(3)
	v_pk_mul_f32 v[10:11], v[2:3], v[10:11]
	s_waitcnt lgkmcnt(2)
	v_pk_mul_f32 v[12:13], v[2:3], v[12:13]
	ds_write2st64_b32 v9, v10, v11 offset1:2
	ds_write2st64_b32 v9, v12, v13 offset0:4 offset1:6
	ds_read2st64_b32 v[12:13], v9 offset0:16 offset1:18
	s_waitcnt lgkmcnt(4)
	v_pk_mul_f32 v[10:11], v[2:3], v[14:15]
	ds_write2st64_b32 v9, v10, v11 offset0:8 offset1:10
	s_waitcnt lgkmcnt(4)
	v_pk_mul_f32 v[10:11], v[2:3], v[16:17]
	ds_write2st64_b32 v9, v10, v11 offset0:12 offset1:14
	ds_read2st64_b32 v[10:11], v9 offset0:20 offset1:22
	s_waitcnt lgkmcnt(3)
	v_pk_mul_f32 v[12:13], v[2:3], v[12:13]
	ds_read2st64_b32 v[14:15], v9 offset0:24 offset1:26
	ds_write2st64_b32 v9, v12, v13 offset0:16 offset1:18
	ds_read2st64_b32 v[12:13], v9 offset0:28 offset1:30
	s_waitcnt lgkmcnt(3)
	v_pk_mul_f32 v[10:11], v[2:3], v[10:11]
	ds_write2st64_b32 v9, v10, v11 offset0:20 offset1:22
	s_waitcnt lgkmcnt(3)
	v_pk_mul_f32 v[10:11], v[2:3], v[14:15]
	ds_write2st64_b32 v9, v10, v11 offset0:24 offset1:26
	s_waitcnt lgkmcnt(2)
	v_pk_mul_f32 v[10:11], v[2:3], v[12:13]
	s_add_i32 s16, s16, 16
	v_cmp_eq_u32_e32 vcc, 0, v8
	ds_write2st64_b32 v9, v10, v11 offset0:28 offset1:30
	v_add_u32_e32 v9, 0x2000, v9
	s_or_b64 s[30:31], vcc, s[30:31]
	v_mov_b32_e32 v10, s16
	s_andn2_b64 exec, exec, s[30:31]
	s_cbranch_execnz .LBB76_35
; %bb.36:
	s_or_b64 exec, exec, s[30:31]
.LBB76_37:
	s_or_b64 exec, exec, s[8:9]
	v_and_b32_e32 v7, 7, v7
	v_cmp_ne_u32_e32 vcc, 0, v7
	s_and_saveexec_b64 s[8:9], vcc
	s_cbranch_execz .LBB76_40
; %bb.38:
	v_lshlrev_b32_e32 v8, 9, v10
	v_lshlrev_b32_e32 v9, 2, v0
	s_movk_i32 s16, 0xf0
	v_add3_u32 v8, v8, v9, s16
	s_mov_b64 s[30:31], 0
.LBB76_39:                              ; =>This Inner Loop Header: Depth=1
	ds_read2st64_b32 v[10:11], v8 offset1:2
	v_add_u32_e32 v7, -1, v7
	v_cmp_eq_u32_e32 vcc, 0, v7
	s_or_b64 s[30:31], vcc, s[30:31]
	s_waitcnt lgkmcnt(0)
	v_pk_mul_f32 v[10:11], v[2:3], v[10:11]
	ds_write2st64_b32 v8, v10, v11 offset1:2
	v_add_u32_e32 v8, 0x400, v8
	s_andn2_b64 exec, exec, s[30:31]
	s_cbranch_execnz .LBB76_39
.LBB76_40:
	s_or_b64 exec, exec, s[8:9]
	v_add_u32_e32 v5, 1, v5
	v_and_b32_e32 v7, 0x3fffffe, v5
	v_cmp_ne_u32_e32 vcc, v5, v7
	v_lshl_add_u32 v3, v7, 7, v0
	s_orn2_b64 s[8:9], vcc, exec
.LBB76_41:
	s_or_b64 exec, exec, s[2:3]
	s_and_b64 exec, exec, s[8:9]
	s_cbranch_execz .LBB76_44
; %bb.42:
	v_mov_b32_e32 v5, 0xf0
	v_lshl_add_u32 v5, v3, 2, v5
	s_mov_b64 s[2:3], 0
.LBB76_43:                              ; =>This Inner Loop Header: Depth=1
	ds_read_b32 v7, v5
	v_add_u32_e32 v3, 0x80, v3
	v_cmp_le_i32_e32 vcc, s15, v3
	s_or_b64 s[2:3], vcc, s[2:3]
	s_waitcnt lgkmcnt(0)
	v_mul_f32_e32 v7, v2, v7
	ds_write_b32 v5, v7
	v_add_u32_e32 v5, 0x200, v5
	s_andn2_b64 exec, exec, s[2:3]
	s_cbranch_execnz .LBB76_43
.LBB76_44:
	s_or_b64 exec, exec, s[0:1]
	s_mov_b32 s0, 0
	v_mov_b32_e32 v5, 0
	v_lshrrev_b32_e32 v23, 1, v4
	v_and_b32_e32 v22, 1, v0
	v_mov_b32_e32 v4, 0
	v_mov_b32_e32 v3, 0
	s_waitcnt lgkmcnt(0)
	v_mov_b32_e32 v2, 0
	s_barrier
	s_and_saveexec_b64 s[8:9], s[6:7]
	s_cbranch_execz .LBB76_60
; %bb.45:
	s_ashr_i32 s15, s14, 31
	s_sub_i32 s30, s12, s17
	s_lshl_b64 s[2:3], s[14:15], 1
	s_add_u32 s6, s28, s2
	s_addc_u32 s7, s29, s3
	s_abs_i32 s18, s18
	v_cvt_f32_u32_e32 v3, s18
	v_lshlrev_b32_e32 v2, 3, v0
	v_and_b32_e32 v24, 8, v2
	v_or_b32_e32 v2, 0x60, v23
	s_movk_i32 s1, 0x70
	v_cmp_gt_u32_e32 vcc, s1, v2
	v_lshl_or_b32 v14, v2, 4, v24
	v_rcp_iflag_f32_e32 v2, v3
	s_sub_i32 s1, 0, s18
	s_add_i32 s28, s42, -1
	s_lshl_b64 s[2:3], s[26:27], 2
	v_mul_f32_e32 v2, 0x4f7ffffe, v2
	v_cvt_u32_f32_e32 v2, v2
	s_add_u32 s2, s24, s2
	v_mov_b32_e32 v11, 0
	v_and_b32_e32 v10, 60, v6
	v_mul_lo_u32 v3, s1, v2
	v_mul_hi_u32 v3, v2, v3
	v_add_u32_e32 v25, v2, v3
	s_addc_u32 s3, s25, s3
	v_lshlrev_b32_e32 v2, 5, v22
	v_lshl_add_u64 v[12:13], s[2:3], 0, v[10:11]
	v_lshl_or_b32 v2, v1, 6, v2
	s_mov_b32 s2, s0
	s_mov_b32 s3, s0
	v_lshl_or_b32 v8, v23, 4, v24
	v_add_u32_e32 v26, 0xf0, v2
	s_mov_b32 s1, s0
	v_mov_b64_e32 v[4:5], s[2:3]
	s_mov_b32 s31, s13
	s_mov_b32 s29, s33
	;; [unrolled: 1-line block ×8, first 2 shown]
	s_mov_b64 s[12:13], 0
	v_mov_b64_e32 v[2:3], s[0:1]
	v_lshlrev_b32_e32 v10, 1, v8
	s_mov_b32 s24, 0x5040100
	v_lshlrev_b32_e32 v14, 1, v14
	s_branch .LBB76_49
.LBB76_46:                              ;   in Loop: Header=BB76_49 Depth=1
	s_or_b64 exec, exec, s[16:17]
	s_waitcnt vmcnt(0)
	;;#ASMSTART
	v_pk_mul_f16 v6, v31, v6;

	;;#ASMEND
	;;#ASMSTART
	v_pk_mul_f16 v7, v30, v7;

	;;#ASMEND
	;; [unrolled: 4-line block ×4, first 2 shown]
	s_nop 0
	;;#ASMSTART
	v_pk_add_f16 v6, v6, v7;

	;;#ASMEND
	s_nop 0
	;;#ASMSTART
	v_pk_add_f16 v6, v6, v8;

	;;#ASMEND
	;; [unrolled: 5-line block ×3, first 2 shown]
	s_nop 0
	v_lshrrev_b32_e32 v7, 16, v6
	v_and_b32_e32 v6, 0xffff, v6
	;;#ASMSTART
	v_cvt_f32_f16 v6, v6;
	;;#ASMEND
	;;#ASMSTART
	v_cvt_f32_f16 v7, v7;
	;;#ASMEND
	s_nop 0
	v_add_f32_e32 v6, v6, v7
	v_add_f32_e32 v5, v5, v6
.LBB76_47:                              ;   in Loop: Header=BB76_49 Depth=1
	s_or_b64 exec, exec, s[2:3]
.LBB76_48:                              ;   in Loop: Header=BB76_49 Depth=1
	s_or_b64 exec, exec, s[14:15]
	v_add_u32_e32 v1, 2, v1
	v_cmp_le_i32_e64 s[0:1], s42, v1
	v_lshl_add_u64 v[12:13], v[12:13], 0, 8
	v_add_u32_e32 v20, 32, v20
	s_or_b64 s[12:13], s[0:1], s[12:13]
	v_add_u32_e32 v26, 0x80, v26
	s_andn2_b64 exec, exec, s[12:13]
	s_cbranch_execz .LBB76_59
.LBB76_49:                              ; =>This Inner Loop Header: Depth=1
	v_mul_hi_u32 v6, v20, s40
	v_mul_lo_u32 v7, v6, s21
	v_sub_u32_e32 v7, v20, v7
	v_add_u32_e32 v8, 1, v6
	v_cmp_le_u32_e64 s[0:1], s21, v7
	s_nop 1
	v_cndmask_b32_e64 v6, v6, v8, s[0:1]
	v_subrev_u32_e32 v8, s21, v7
	v_cndmask_b32_e64 v7, v7, v8, s[0:1]
	v_add_u32_e32 v8, 1, v6
	v_cmp_le_u32_e64 s[0:1], s21, v7
	s_nop 1
	v_cndmask_b32_e64 v6, v6, v8, s[0:1]
	v_xor_b32_e32 v6, s19, v6
	v_subrev_u32_e32 v6, s19, v6
	v_add_u32_e32 v7, s41, v6
	v_sub_u32_e32 v9, 0, v7
	v_ashrrev_i32_e32 v8, 31, v7
	v_max_i32_e32 v7, v7, v9
	v_mul_hi_u32 v9, v7, v25
	v_mul_lo_u32 v9, v9, s18
	v_sub_u32_e32 v7, v7, v9
	v_subrev_u32_e32 v9, s18, v7
	v_cmp_le_u32_e64 s[0:1], s18, v7
	v_cmp_lt_i32_e64 s[2:3], s30, v6
	s_nop 0
	v_cndmask_b32_e64 v7, v7, v9, s[0:1]
	v_subrev_u32_e32 v9, s18, v7
	v_cmp_le_u32_e64 s[0:1], s18, v7
	s_nop 1
	v_cndmask_b32_e64 v7, v7, v9, s[0:1]
	v_xor_b32_e32 v7, v7, v8
	v_sub_u32_e32 v7, v7, v8
	v_cmp_eq_u32_e64 s[0:1], 0, v7
	s_or_b64 s[0:1], s[0:1], s[2:3]
	s_and_saveexec_b64 s[14:15], s[0:1]
	s_cbranch_execz .LBB76_48
; %bb.50:                               ;   in Loop: Header=BB76_49 Depth=1
	global_load_dword v27, v[12:13], off
	ds_read2_b64 v[6:9], v26 offset1:1
	ds_read2_b64 v[16:19], v26 offset0:2 offset1:3
	s_waitcnt lgkmcnt(1)
	;;#ASMSTART
	v_cvt_f16_f32 v15, v6;

	;;#ASMEND
	;;#ASMSTART
	v_cvt_f16_f32 v28, v7;

	;;#ASMEND
	;; [unrolled: 4-line block ×4, first 2 shown]
	s_waitcnt lgkmcnt(0)
	;;#ASMSTART
	v_cvt_f16_f32 v32, v16;

	;;#ASMEND
	;;#ASMSTART
	v_cvt_f16_f32 v33, v17;

	;;#ASMEND
	;; [unrolled: 4-line block ×4, first 2 shown]
	s_waitcnt vmcnt(0)
	v_mad_i64_i32 v[6:7], s[0:1], v27, s31, 0
	v_lshl_add_u64 v[16:17], v[6:7], 1, s[6:7]
	v_lshl_add_u64 v[18:19], v[16:17], 0, v[10:11]
	global_load_dwordx4 v[6:9], v[18:19], off
	v_add_u32_e32 v27, v24, v20
	v_cmp_eq_u32_e64 s[0:1], s28, v1
	s_and_saveexec_b64 s[16:17], s[0:1]
	s_cbranch_execz .LBB76_52
; %bb.51:                               ;   in Loop: Header=BB76_49 Depth=1
	v_or_b32_e32 v40, 7, v27
	v_or_b32_e32 v41, 6, v27
	s_waitcnt vmcnt(0)
	v_lshrrev_b32_e32 v42, 16, v9
	v_cmp_gt_i32_e64 s[2:3], s39, v40
	v_or_b32_e32 v38, 5, v27
	v_or_b32_e32 v39, 4, v27
	v_cndmask_b32_e64 v40, 0, v42, s[2:3]
	v_cmp_gt_i32_e64 s[2:3], s38, v41
	v_or_b32_e32 v36, 3, v27
	v_or_b32_e32 v37, 2, v27
	v_cndmask_b32_e64 v9, 0, v9, s[2:3]
	v_perm_b32 v9, v40, v9, s24
	v_lshrrev_b32_e32 v40, 16, v8
	v_cmp_gt_i32_e64 s[2:3], s37, v38
	v_add_u32_e32 v31, 1, v27
	s_nop 0
	v_cndmask_b32_e64 v38, 0, v40, s[2:3]
	v_cmp_gt_i32_e64 s[2:3], s36, v39
	s_nop 1
	v_cndmask_b32_e64 v8, 0, v8, s[2:3]
	v_perm_b32 v8, v38, v8, s24
	v_lshrrev_b32_e32 v38, 16, v7
	v_cmp_gt_i32_e64 s[2:3], s35, v36
	s_nop 1
	v_cndmask_b32_e64 v36, 0, v38, s[2:3]
	v_cmp_gt_i32_e64 s[2:3], s34, v37
	s_nop 1
	v_cndmask_b32_e64 v7, 0, v7, s[2:3]
	v_perm_b32 v7, v36, v7, s24
	v_lshrrev_b32_e32 v36, 16, v6
	v_cmp_gt_i32_e64 s[2:3], s29, v31
	s_nop 1
	v_cndmask_b32_e64 v31, 0, v36, s[2:3]
	v_cmp_gt_i32_e64 s[2:3], s33, v27
	s_nop 1
	v_cndmask_b32_e64 v6, 0, v6, s[2:3]
	v_perm_b32 v6, v31, v6, s24
.LBB76_52:                              ;   in Loop: Header=BB76_49 Depth=1
	s_or_b64 exec, exec, s[16:17]
	v_and_b32_e32 v15, 0xffff, v15
	v_lshl_or_b32 v31, v28, 16, v15
	v_and_b32_e32 v15, 0xffff, v29
	v_lshl_or_b32 v30, v30, 16, v15
	;; [unrolled: 2-line block ×3, first 2 shown]
	v_and_b32_e32 v15, 0xffff, v34
	s_waitcnt vmcnt(0)
	;;#ASMSTART
	v_pk_mul_f16 v6, v31, v6;

	;;#ASMEND
	v_lshl_or_b32 v28, v35, 16, v15
	;;#ASMSTART
	v_pk_mul_f16 v7, v30, v7;

	;;#ASMEND
	;;#ASMSTART
	v_pk_mul_f16 v8, v29, v8;

	;;#ASMEND
	;;#ASMSTART
	v_pk_mul_f16 v9, v28, v9;

	;;#ASMEND
	s_nop 0
	;;#ASMSTART
	v_pk_add_f16 v6, v6, v7;

	;;#ASMEND
	s_nop 0
	;;#ASMSTART
	v_pk_add_f16 v6, v6, v8;

	;;#ASMEND
	;; [unrolled: 5-line block ×3, first 2 shown]
	s_nop 0
	v_lshrrev_b32_e32 v7, 16, v6
	v_and_b32_e32 v6, 0xffff, v6
	;;#ASMSTART
	v_cvt_f32_f16 v15, v6;
	;;#ASMEND
	;;#ASMSTART
	v_cvt_f32_f16 v32, v7;
	;;#ASMEND
	global_load_dwordx4 v[6:9], v[18:19], off offset:1024
	s_and_saveexec_b64 s[16:17], s[0:1]
	s_cbranch_execz .LBB76_54
; %bb.53:                               ;   in Loop: Header=BB76_49 Depth=1
	v_or_b32_e32 v38, 7, v27
	v_or_b32_e32 v39, 6, v27
	s_waitcnt vmcnt(0)
	v_lshrrev_b32_e32 v40, 16, v9
	v_cmp_gt_i32_e64 s[2:3], s39, v38
	v_or_b32_e32 v36, 5, v27
	v_or_b32_e32 v37, 4, v27
	v_cndmask_b32_e64 v38, 0, v40, s[2:3]
	v_cmp_gt_i32_e64 s[2:3], s38, v39
	v_or_b32_e32 v34, 3, v27
	v_or_b32_e32 v35, 2, v27
	v_cndmask_b32_e64 v9, 0, v9, s[2:3]
	v_perm_b32 v9, v38, v9, s24
	v_lshrrev_b32_e32 v38, 16, v8
	v_cmp_gt_i32_e64 s[2:3], s37, v36
	v_add_u32_e32 v33, 1, v27
	s_nop 0
	v_cndmask_b32_e64 v36, 0, v38, s[2:3]
	v_cmp_gt_i32_e64 s[2:3], s36, v37
	s_nop 1
	v_cndmask_b32_e64 v8, 0, v8, s[2:3]
	v_perm_b32 v8, v36, v8, s24
	v_lshrrev_b32_e32 v36, 16, v7
	v_cmp_gt_i32_e64 s[2:3], s35, v34
	s_nop 1
	v_cndmask_b32_e64 v34, 0, v36, s[2:3]
	v_cmp_gt_i32_e64 s[2:3], s34, v35
	s_nop 1
	v_cndmask_b32_e64 v7, 0, v7, s[2:3]
	v_perm_b32 v7, v34, v7, s24
	v_lshrrev_b32_e32 v34, 16, v6
	v_cmp_gt_i32_e64 s[2:3], s29, v33
	s_nop 1
	v_cndmask_b32_e64 v33, 0, v34, s[2:3]
	v_cmp_gt_i32_e64 s[2:3], s33, v27
	s_nop 1
	v_cndmask_b32_e64 v6, 0, v6, s[2:3]
	v_perm_b32 v6, v33, v6, s24
.LBB76_54:                              ;   in Loop: Header=BB76_49 Depth=1
	s_or_b64 exec, exec, s[16:17]
	s_waitcnt vmcnt(0)
	;;#ASMSTART
	v_pk_mul_f16 v6, v31, v6;

	;;#ASMEND
	;;#ASMSTART
	v_pk_mul_f16 v7, v30, v7;

	;;#ASMEND
	;; [unrolled: 4-line block ×4, first 2 shown]
	s_nop 0
	;;#ASMSTART
	v_pk_add_f16 v6, v6, v7;

	;;#ASMEND
	s_nop 0
	;;#ASMSTART
	v_pk_add_f16 v6, v6, v8;

	;;#ASMEND
	;; [unrolled: 5-line block ×3, first 2 shown]
	s_nop 0
	v_lshrrev_b32_e32 v7, 16, v6
	v_and_b32_e32 v6, 0xffff, v6
	;;#ASMSTART
	v_cvt_f32_f16 v33, v6;
	;;#ASMEND
	;;#ASMSTART
	v_cvt_f32_f16 v34, v7;
	;;#ASMEND
	global_load_dwordx4 v[6:9], v[18:19], off offset:2048
	s_and_saveexec_b64 s[16:17], s[0:1]
	s_cbranch_execz .LBB76_56
; %bb.55:                               ;   in Loop: Header=BB76_49 Depth=1
	v_or_b32_e32 v38, 7, v27
	v_or_b32_e32 v39, 6, v27
	s_waitcnt vmcnt(0)
	v_lshrrev_b32_e32 v40, 16, v9
	v_cmp_gt_i32_e64 s[2:3], s39, v38
	v_or_b32_e32 v36, 5, v27
	v_or_b32_e32 v37, 4, v27
	v_cndmask_b32_e64 v38, 0, v40, s[2:3]
	v_cmp_gt_i32_e64 s[2:3], s38, v39
	v_or_b32_e32 v19, 3, v27
	v_or_b32_e32 v35, 2, v27
	v_cndmask_b32_e64 v9, 0, v9, s[2:3]
	v_perm_b32 v9, v38, v9, s24
	v_lshrrev_b32_e32 v38, 16, v8
	v_cmp_gt_i32_e64 s[2:3], s37, v36
	v_add_u32_e32 v18, 1, v27
	s_nop 0
	v_cndmask_b32_e64 v36, 0, v38, s[2:3]
	v_cmp_gt_i32_e64 s[2:3], s36, v37
	s_nop 1
	v_cndmask_b32_e64 v8, 0, v8, s[2:3]
	v_perm_b32 v8, v36, v8, s24
	v_lshrrev_b32_e32 v36, 16, v7
	v_cmp_gt_i32_e64 s[2:3], s35, v19
	s_nop 1
	v_cndmask_b32_e64 v19, 0, v36, s[2:3]
	v_cmp_gt_i32_e64 s[2:3], s34, v35
	s_nop 1
	v_cndmask_b32_e64 v7, 0, v7, s[2:3]
	v_perm_b32 v7, v19, v7, s24
	v_lshrrev_b32_e32 v19, 16, v6
	v_cmp_gt_i32_e64 s[2:3], s29, v18
	s_nop 1
	v_cndmask_b32_e64 v18, 0, v19, s[2:3]
	v_cmp_gt_i32_e64 s[2:3], s33, v27
	s_nop 1
	v_cndmask_b32_e64 v6, 0, v6, s[2:3]
	v_perm_b32 v6, v18, v6, s24
.LBB76_56:                              ;   in Loop: Header=BB76_49 Depth=1
	s_or_b64 exec, exec, s[16:17]
	s_waitcnt vmcnt(0)
	;;#ASMSTART
	v_pk_mul_f16 v6, v31, v6;

	;;#ASMEND
	;;#ASMSTART
	v_pk_mul_f16 v7, v30, v7;

	;;#ASMEND
	;; [unrolled: 4-line block ×4, first 2 shown]
	v_add_f32_e32 v15, v15, v32
	;;#ASMSTART
	v_pk_add_f16 v6, v6, v7;

	;;#ASMEND
	v_add_f32_e32 v2, v2, v15
	;;#ASMSTART
	v_pk_add_f16 v6, v6, v8;

	;;#ASMEND
	;; [unrolled: 5-line block ×3, first 2 shown]
	v_add_f32_e32 v3, v3, v15
	v_lshrrev_b32_e32 v7, 16, v6
	v_and_b32_e32 v6, 0xffff, v6
	;;#ASMSTART
	v_cvt_f32_f16 v6, v6;
	;;#ASMEND
	;;#ASMSTART
	v_cvt_f32_f16 v7, v7;
	;;#ASMEND
	s_nop 0
	v_add_f32_e32 v6, v6, v7
	v_add_f32_e32 v4, v4, v6
	s_and_saveexec_b64 s[2:3], vcc
	s_cbranch_execz .LBB76_47
; %bb.57:                               ;   in Loop: Header=BB76_49 Depth=1
	v_mov_b32_e32 v15, v11
	v_lshl_add_u64 v[6:7], v[16:17], 0, v[14:15]
	global_load_dwordx4 v[6:9], v[6:7], off
	s_and_saveexec_b64 s[16:17], s[0:1]
	s_cbranch_execz .LBB76_46
; %bb.58:                               ;   in Loop: Header=BB76_49 Depth=1
	v_or_b32_e32 v32, 7, v27
	v_or_b32_e32 v33, 6, v27
	s_waitcnt vmcnt(0)
	v_lshrrev_b32_e32 v34, 16, v9
	v_cmp_gt_i32_e64 s[0:1], s39, v32
	v_or_b32_e32 v18, 5, v27
	v_or_b32_e32 v19, 4, v27
	v_cndmask_b32_e64 v32, 0, v34, s[0:1]
	v_cmp_gt_i32_e64 s[0:1], s38, v33
	v_or_b32_e32 v16, 3, v27
	v_or_b32_e32 v17, 2, v27
	v_cndmask_b32_e64 v9, 0, v9, s[0:1]
	v_perm_b32 v9, v32, v9, s24
	v_lshrrev_b32_e32 v32, 16, v8
	v_cmp_gt_i32_e64 s[0:1], s37, v18
	v_add_u32_e32 v15, 1, v27
	s_nop 0
	v_cndmask_b32_e64 v18, 0, v32, s[0:1]
	v_cmp_gt_i32_e64 s[0:1], s36, v19
	s_nop 1
	v_cndmask_b32_e64 v8, 0, v8, s[0:1]
	v_perm_b32 v8, v18, v8, s24
	v_lshrrev_b32_e32 v18, 16, v7
	v_cmp_gt_i32_e64 s[0:1], s35, v16
	s_nop 1
	v_cndmask_b32_e64 v16, 0, v18, s[0:1]
	v_cmp_gt_i32_e64 s[0:1], s34, v17
	s_nop 1
	v_cndmask_b32_e64 v7, 0, v7, s[0:1]
	v_perm_b32 v7, v16, v7, s24
	v_lshrrev_b32_e32 v16, 16, v6
	v_cmp_gt_i32_e64 s[0:1], s29, v15
	s_nop 1
	v_cndmask_b32_e64 v15, 0, v16, s[0:1]
	v_cmp_gt_i32_e64 s[0:1], s33, v27
	s_nop 1
	v_cndmask_b32_e64 v6, 0, v6, s[0:1]
	v_perm_b32 v6, v15, v6, s24
	s_branch .LBB76_46
.LBB76_59:
	s_or_b64 exec, exec, s[12:13]
.LBB76_60:
	s_or_b64 exec, exec, s[8:9]
	ds_bpermute_b32 v6, v21, v2
	ds_bpermute_b32 v7, v21, v3
	;; [unrolled: 1-line block ×4, first 2 shown]
	v_and_b32_e32 v1, 0x3c0, v0
	v_cmp_eq_u32_e32 vcc, 64, v1
	s_waitcnt lgkmcnt(2)
	v_pk_add_f32 v[6:7], v[2:3], v[6:7]
	s_waitcnt lgkmcnt(0)
	v_pk_add_f32 v[2:3], v[4:5], v[8:9]
	s_barrier
	s_and_saveexec_b64 s[2:3], vcc
	s_cbranch_execz .LBB76_65
; %bb.61:
	v_cmp_eq_u32_e32 vcc, 0, v22
	s_and_saveexec_b64 s[0:1], vcc
	s_cbranch_execz .LBB76_63
; %bb.62:
	v_mov_b32_e32 v1, 0xf0
	v_lshl_add_u32 v1, v23, 2, v1
	ds_write2_b32 v1, v6, v7 offset1:32
	ds_write_b32 v1, v2 offset:256
.LBB76_63:
	s_or_b64 exec, exec, s[0:1]
	v_or_b32_e32 v1, 0x60, v23
	s_movk_i32 s0, 0x70
	v_cmp_gt_u32_e64 s[0:1], s0, v1
	s_and_b64 s[0:1], vcc, s[0:1]
	s_and_b64 exec, exec, s[0:1]
	s_cbranch_execz .LBB76_65
; %bb.64:
	v_mov_b32_e32 v1, 0xf0
	v_lshl_add_u32 v1, v23, 2, v1
	ds_write_b32 v1, v3 offset:384
.LBB76_65:
	s_or_b64 exec, exec, s[2:3]
	v_cmp_gt_u32_e32 vcc, 64, v0
	v_lshrrev_b32_e32 v0, 1, v0
	s_waitcnt lgkmcnt(0)
	s_barrier
	s_and_saveexec_b64 s[6:7], vcc
	s_cbranch_execz .LBB76_73
; %bb.66:
	v_cmp_eq_u32_e64 s[0:1], 0, v22
	s_and_saveexec_b64 s[2:3], s[0:1]
	s_cbranch_execnz .LBB76_79
; %bb.67:
	s_or_b64 exec, exec, s[2:3]
	s_and_saveexec_b64 s[2:3], s[0:1]
	s_cbranch_execnz .LBB76_80
.LBB76_68:
	s_or_b64 exec, exec, s[2:3]
	s_and_saveexec_b64 s[2:3], s[0:1]
	s_cbranch_execz .LBB76_70
.LBB76_69:
	v_mov_b32_e32 v1, 0xf0
	v_lshl_add_u32 v1, v0, 2, v1
	ds_read_b32 v1, v1 offset:256
	s_waitcnt lgkmcnt(0)
	v_add_f32_e32 v2, v2, v1
.LBB76_70:
	s_or_b64 exec, exec, s[2:3]
	v_or_b32_e32 v1, 0x60, v0
	s_movk_i32 s2, 0x70
	v_cmp_gt_u32_e64 s[2:3], s2, v1
	s_and_b64 s[2:3], s[0:1], s[2:3]
	s_and_saveexec_b64 s[0:1], s[2:3]
	s_cbranch_execz .LBB76_72
; %bb.71:
	v_mov_b32_e32 v1, 0xf0
	v_lshl_add_u32 v1, v0, 2, v1
	ds_read_b32 v1, v1 offset:384
	s_waitcnt lgkmcnt(0)
	v_add_f32_e32 v3, v3, v1
.LBB76_72:
	s_or_b64 exec, exec, s[0:1]
.LBB76_73:
	s_or_b64 exec, exec, s[6:7]
	s_barrier
	s_and_saveexec_b64 s[0:1], vcc
	s_cbranch_execz .LBB76_78
; %bb.74:
	s_mul_i32 s0, s10, s11
	s_mul_i32 s0, s0, s5
	s_mulk_i32 s0, 0x70
	s_ashr_i32 s1, s0, 31
	s_lshl_b64 s[0:1], s[0:1], 1
	s_add_u32 s2, s22, s0
	s_mul_i32 s0, s11, s20
	s_addc_u32 s3, s23, s1
	s_ashr_i32 s1, s0, 31
	s_lshl_b64 s[0:1], s[0:1], 1
	s_add_u32 s2, s2, s0
	s_mul_i32 s0, s4, 0x70
	s_addc_u32 s3, s3, s1
	s_ashr_i32 s1, s0, 31
	s_lshl_b64 s[0:1], s[0:1], 1
	s_add_u32 s2, s2, s0
	s_movk_i32 s5, 0x70
	s_addc_u32 s3, s3, s1
	v_cmp_eq_u32_e32 vcc, 0, v22
	v_lshlrev_b32_e32 v1, 1, v0
	s_and_saveexec_b64 s[0:1], vcc
	s_cbranch_execz .LBB76_76
; %bb.75:
	;;#ASMSTART
	v_cvt_f16_f32 v4, v6;

	;;#ASMEND
	global_store_short v1, v4, s[2:3]
	;;#ASMSTART
	v_cvt_f16_f32 v4, v7;

	;;#ASMEND
	global_store_short v1, v4, s[2:3] offset:64
	;;#ASMSTART
	v_cvt_f16_f32 v2, v2;

	;;#ASMEND
	global_store_short v1, v2, s[2:3] offset:128
.LBB76_76:
	s_or_b64 exec, exec, s[0:1]
	v_or_b32_e32 v0, 0x60, v0
	v_cmp_gt_u32_e64 s[0:1], s5, v0
	s_and_b64 s[0:1], vcc, s[0:1]
	s_and_b64 exec, exec, s[0:1]
	s_cbranch_execz .LBB76_78
; %bb.77:
	;;#ASMSTART
	v_cvt_f16_f32 v0, v3;

	;;#ASMEND
	global_store_short v1, v0, s[2:3] offset:192
.LBB76_78:
	s_endpgm
.LBB76_79:
	v_mov_b32_e32 v1, 0xf0
	v_lshl_add_u32 v1, v0, 2, v1
	ds_read_b32 v1, v1
	s_waitcnt lgkmcnt(0)
	v_add_f32_e32 v6, v6, v1
	s_or_b64 exec, exec, s[2:3]
	s_and_saveexec_b64 s[2:3], s[0:1]
	s_cbranch_execz .LBB76_68
.LBB76_80:
	v_mov_b32_e32 v1, 0xf0
	v_lshl_add_u32 v1, v0, 2, v1
	ds_read_b32 v1, v1 offset:128
	s_waitcnt lgkmcnt(0)
	v_add_f32_e32 v7, v7, v1
	s_or_b64 exec, exec, s[2:3]
	s_and_saveexec_b64 s[2:3], s[0:1]
	s_cbranch_execnz .LBB76_69
	s_branch .LBB76_70
	.section	.rodata,"a",@progbits
	.p2align	6, 0x0
	.amdhsa_kernel _ZN4vllm25paged_attention_v1_kernelIttLi112ELi16ELi128ELNS_18Fp8KVCacheDataTypeE0ELb1EEEvPT_PKS2_PKT0_S8_ifPKiSA_iPKfiiiSC_SC_iiiii
		.amdhsa_group_segment_fixed_size 240
		.amdhsa_private_segment_fixed_size 0
		.amdhsa_kernarg_size 384
		.amdhsa_user_sgpr_count 2
		.amdhsa_user_sgpr_dispatch_ptr 0
		.amdhsa_user_sgpr_queue_ptr 0
		.amdhsa_user_sgpr_kernarg_segment_ptr 1
		.amdhsa_user_sgpr_dispatch_id 0
		.amdhsa_user_sgpr_kernarg_preload_length 0
		.amdhsa_user_sgpr_kernarg_preload_offset 0
		.amdhsa_user_sgpr_private_segment_size 0
		.amdhsa_uses_dynamic_stack 0
		.amdhsa_enable_private_segment 0
		.amdhsa_system_sgpr_workgroup_id_x 1
		.amdhsa_system_sgpr_workgroup_id_y 1
		.amdhsa_system_sgpr_workgroup_id_z 1
		.amdhsa_system_sgpr_workgroup_info 0
		.amdhsa_system_vgpr_workitem_id 0
		.amdhsa_next_free_vgpr 66
		.amdhsa_next_free_sgpr 44
		.amdhsa_accum_offset 68
		.amdhsa_reserve_vcc 1
		.amdhsa_float_round_mode_32 0
		.amdhsa_float_round_mode_16_64 0
		.amdhsa_float_denorm_mode_32 3
		.amdhsa_float_denorm_mode_16_64 3
		.amdhsa_dx10_clamp 1
		.amdhsa_ieee_mode 1
		.amdhsa_fp16_overflow 0
		.amdhsa_tg_split 0
		.amdhsa_exception_fp_ieee_invalid_op 0
		.amdhsa_exception_fp_denorm_src 0
		.amdhsa_exception_fp_ieee_div_zero 0
		.amdhsa_exception_fp_ieee_overflow 0
		.amdhsa_exception_fp_ieee_underflow 0
		.amdhsa_exception_fp_ieee_inexact 0
		.amdhsa_exception_int_div_zero 0
	.end_amdhsa_kernel
	.section	.text._ZN4vllm25paged_attention_v1_kernelIttLi112ELi16ELi128ELNS_18Fp8KVCacheDataTypeE0ELb1EEEvPT_PKS2_PKT0_S8_ifPKiSA_iPKfiiiSC_SC_iiiii,"axG",@progbits,_ZN4vllm25paged_attention_v1_kernelIttLi112ELi16ELi128ELNS_18Fp8KVCacheDataTypeE0ELb1EEEvPT_PKS2_PKT0_S8_ifPKiSA_iPKfiiiSC_SC_iiiii,comdat
.Lfunc_end76:
	.size	_ZN4vllm25paged_attention_v1_kernelIttLi112ELi16ELi128ELNS_18Fp8KVCacheDataTypeE0ELb1EEEvPT_PKS2_PKT0_S8_ifPKiSA_iPKfiiiSC_SC_iiiii, .Lfunc_end76-_ZN4vllm25paged_attention_v1_kernelIttLi112ELi16ELi128ELNS_18Fp8KVCacheDataTypeE0ELb1EEEvPT_PKS2_PKT0_S8_ifPKiSA_iPKfiiiSC_SC_iiiii
                                        ; -- End function
	.section	.AMDGPU.csdata,"",@progbits
; Kernel info:
; codeLenInByte = 6960
; NumSgprs: 50
; NumVgprs: 66
; NumAgprs: 0
; TotalNumVgprs: 66
; ScratchSize: 0
; MemoryBound: 0
; FloatMode: 240
; IeeeMode: 1
; LDSByteSize: 240 bytes/workgroup (compile time only)
; SGPRBlocks: 6
; VGPRBlocks: 8
; NumSGPRsForWavesPerEU: 50
; NumVGPRsForWavesPerEU: 66
; AccumOffset: 68
; Occupancy: 7
; WaveLimiterHint : 1
; COMPUTE_PGM_RSRC2:SCRATCH_EN: 0
; COMPUTE_PGM_RSRC2:USER_SGPR: 2
; COMPUTE_PGM_RSRC2:TRAP_HANDLER: 0
; COMPUTE_PGM_RSRC2:TGID_X_EN: 1
; COMPUTE_PGM_RSRC2:TGID_Y_EN: 1
; COMPUTE_PGM_RSRC2:TGID_Z_EN: 1
; COMPUTE_PGM_RSRC2:TIDIG_COMP_CNT: 0
; COMPUTE_PGM_RSRC3_GFX90A:ACCUM_OFFSET: 16
; COMPUTE_PGM_RSRC3_GFX90A:TG_SPLIT: 0
	.section	.text._ZN4vllm25paged_attention_v1_kernelIttLi120ELi16ELi128ELNS_18Fp8KVCacheDataTypeE0ELb1EEEvPT_PKS2_PKT0_S8_ifPKiSA_iPKfiiiSC_SC_iiiii,"axG",@progbits,_ZN4vllm25paged_attention_v1_kernelIttLi120ELi16ELi128ELNS_18Fp8KVCacheDataTypeE0ELb1EEEvPT_PKS2_PKT0_S8_ifPKiSA_iPKfiiiSC_SC_iiiii,comdat
	.protected	_ZN4vllm25paged_attention_v1_kernelIttLi120ELi16ELi128ELNS_18Fp8KVCacheDataTypeE0ELb1EEEvPT_PKS2_PKT0_S8_ifPKiSA_iPKfiiiSC_SC_iiiii ; -- Begin function _ZN4vllm25paged_attention_v1_kernelIttLi120ELi16ELi128ELNS_18Fp8KVCacheDataTypeE0ELb1EEEvPT_PKS2_PKT0_S8_ifPKiSA_iPKfiiiSC_SC_iiiii
	.globl	_ZN4vllm25paged_attention_v1_kernelIttLi120ELi16ELi128ELNS_18Fp8KVCacheDataTypeE0ELb1EEEvPT_PKS2_PKT0_S8_ifPKiSA_iPKfiiiSC_SC_iiiii
	.p2align	8
	.type	_ZN4vllm25paged_attention_v1_kernelIttLi120ELi16ELi128ELNS_18Fp8KVCacheDataTypeE0ELb1EEEvPT_PKS2_PKT0_S8_ifPKiSA_iPKfiiiSC_SC_iiiii,@function
_ZN4vllm25paged_attention_v1_kernelIttLi120ELi16ELi128ELNS_18Fp8KVCacheDataTypeE0ELb1EEEvPT_PKS2_PKT0_S8_ifPKiSA_iPKfiiiSC_SC_iiiii: ; @_ZN4vllm25paged_attention_v1_kernelIttLi120ELi16ELi128ELNS_18Fp8KVCacheDataTypeE0ELb1EEEvPT_PKS2_PKT0_S8_ifPKiSA_iPKfiiiSC_SC_iiiii
; %bb.0:
	s_load_dword s5, s[0:1], 0x80
	s_load_dwordx2 s[6:7], s[0:1], 0x30
	s_load_dwordx2 s[30:31], s[0:1], 0x20
	s_mov_b32 s10, s3
	s_ashr_i32 s11, s3, 31
	s_lshl_b64 s[8:9], s[10:11], 2
	s_waitcnt lgkmcnt(0)
	s_add_u32 s6, s6, s8
	s_addc_u32 s7, s7, s9
	s_abs_i32 s3, s30
	v_cvt_f32_u32_e32 v1, s3
	s_sub_i32 s11, 0, s3
	s_abs_i32 s9, s5
	s_xor_b32 s8, s5, s30
	v_rcp_iflag_f32_e32 v1, v1
	s_ashr_i32 s8, s8, 31
	s_mov_b32 s43, 0
	v_mul_f32_e32 v1, 0x4f7ffffe, v1
	v_cvt_u32_f32_e32 v1, v1
	s_nop 0
	v_readfirstlane_b32 s12, v1
	s_mul_i32 s11, s11, s12
	s_mul_hi_u32 s11, s12, s11
	s_add_i32 s12, s12, s11
	s_mul_hi_u32 s11, s9, s12
	s_mul_i32 s12, s11, s3
	s_sub_i32 s9, s9, s12
	s_add_i32 s12, s11, 1
	s_sub_i32 s13, s9, s3
	s_cmp_ge_u32 s9, s3
	s_cselect_b32 s11, s12, s11
	s_cselect_b32 s9, s13, s9
	s_add_i32 s12, s11, 1
	s_cmp_ge_u32 s9, s3
	s_cselect_b32 s3, s12, s11
	s_xor_b32 s3, s3, s8
	s_sub_i32 s16, s3, s8
	s_abs_i32 s11, s16
	v_cvt_f32_u32_e32 v1, s11
	s_load_dwordx2 s[8:9], s[0:1], 0x40
	s_sub_i32 s3, 0, s11
	s_abs_i32 s22, s2
	v_rcp_iflag_f32_e32 v1, v1
	s_nop 0
	v_mul_f32_e32 v1, 0x4f7ffffe, v1
	v_cvt_u32_f32_e32 v1, v1
	s_nop 0
	v_readfirstlane_b32 s12, v1
	s_mul_i32 s3, s3, s12
	s_mul_hi_u32 s3, s12, s3
	s_add_i32 s12, s12, s3
	s_waitcnt lgkmcnt(0)
	s_cmp_eq_u64 s[8:9], 0
	s_mul_hi_u32 s23, s22, s12
	s_cbranch_scc1 .LBB77_2
; %bb.1:
	s_ashr_i32 s3, s2, 31
	s_lshl_b64 s[12:13], s[2:3], 2
	s_add_u32 s8, s8, s12
	s_addc_u32 s9, s9, s13
	s_load_dword s43, s[8:9], 0x0
.LBB77_2:
	s_load_dword s33, s[6:7], 0x0
	s_load_dwordx4 s[12:15], s[0:1], 0x48
	s_ashr_i32 s3, s2, 31
	s_ashr_i32 s9, s16, 31
	v_and_b32_e32 v4, 3, v0
	s_mul_i32 s20, s2, 0x78
	v_cmp_gt_u32_e32 vcc, 60, v0
	s_and_saveexec_b64 s[6:7], vcc
	s_cbranch_execz .LBB77_4
; %bb.3:
	s_load_dwordx2 s[16:17], s[0:1], 0x8
	s_waitcnt lgkmcnt(0)
	s_mul_i32 s18, s10, s12
	s_ashr_i32 s19, s18, 31
	s_lshl_b64 s[18:19], s[18:19], 1
	v_lshlrev_b32_e32 v1, 2, v0
	s_add_u32 s8, s16, s18
	s_addc_u32 s12, s17, s19
	s_ashr_i32 s21, s20, 31
	s_lshl_b64 s[16:17], s[20:21], 1
	s_add_u32 s16, s8, s16
	s_addc_u32 s17, s12, s17
	global_load_dword v1, v1, s[16:17]
	v_and_b32_e32 v2, 0x3fc, v0
	v_mad_u32_u24 v2, v4, 60, v2
	s_waitcnt vmcnt(0)
	ds_write_b32 v2, v1
.LBB77_4:
	s_or_b64 exec, exec, s[6:7]
	s_mul_i32 s6, s23, s11
	s_sub_i32 s6, s22, s6
	s_xor_b32 s3, s3, s9
	s_add_i32 s7, s23, 1
	s_sub_i32 s9, s6, s11
	s_load_dwordx4 s[16:19], s[0:1], 0x68
	s_load_dword s8, s[0:1], 0x78
	s_cmp_ge_u32 s6, s11
	s_cselect_b32 s7, s7, s23
	s_cselect_b32 s6, s9, s6
	s_add_i32 s9, s7, 1
	s_cmp_ge_u32 s6, s11
	s_cselect_b32 s6, s9, s7
	s_waitcnt lgkmcnt(0)
	s_abs_i32 s21, s19
	v_cvt_f32_u32_e32 v1, s21
	s_xor_b32 s6, s6, s3
	s_sub_i32 s3, s6, s3
	s_sub_i32 s6, 0, s21
	v_rcp_iflag_f32_e32 v1, v1
	s_add_i32 s11, s33, -1
	s_abs_i32 s9, s11
	v_mul_f32_e32 v1, 0x4f7ffffe, v1
	v_cvt_u32_f32_e32 v1, v1
	s_barrier
	v_readfirstlane_b32 s40, v1
	s_mul_i32 s6, s6, s40
	s_mul_hi_u32 s6, s40, s6
	s_add_i32 s40, s40, s6
	s_cmp_lt_i32 s8, 0
	s_mul_hi_u32 s12, s9, s40
	s_cbranch_scc0 .LBB77_6
; %bb.5:
	s_mul_i32 s6, s16, s30
	s_add_i32 s6, s3, s6
	s_mul_i32 s6, s6, s8
	s_sub_i32 s41, 1, s6
	s_mov_b64 s[6:7], 0
	s_branch .LBB77_7
.LBB77_6:
	s_mov_b64 s[6:7], -1
                                        ; implicit-def: $sgpr41
.LBB77_7:
	s_load_dwordx2 s[24:25], s[0:1], 0x28
	s_ashr_i32 s15, s11, 31
	s_andn2_b64 vcc, exec, s[6:7]
	s_ashr_i32 s19, s19, 31
	s_cbranch_vccnz .LBB77_9
; %bb.8:
	s_mul_i32 s6, s5, s16
	s_add_i32 s2, s6, s2
	s_mul_i32 s2, s2, s8
	s_add_i32 s41, s2, 1
.LBB77_9:
	s_load_dword s2, s[0:1], 0x38
	s_load_dwordx2 s[22:23], s[0:1], 0x0
	s_load_dwordx2 s[28:29], s[0:1], 0x18
	s_load_dword s11, s[0:1], 0x88
	s_xor_b32 s6, s15, s19
	s_waitcnt lgkmcnt(0)
	s_mul_i32 s26, s10, s2
	s_mul_i32 s2, s12, s21
	s_sub_i32 s2, s9, s2
	s_ashr_i32 s27, s26, 31
	s_add_i32 s7, s12, 1
	s_sub_i32 s8, s2, s21
	s_cmp_ge_u32 s2, s21
	s_cselect_b32 s7, s7, s12
	s_cselect_b32 s2, s8, s2
	s_add_i32 s8, s7, 1
	s_cmp_ge_u32 s2, s21
	s_cselect_b32 s2, s8, s7
	s_xor_b32 s2, s2, s6
	s_sub_i32 s12, s2, s6
	s_add_i32 s2, s33, 15
	s_ashr_i32 s6, s2, 31
	s_lshr_b32 s6, s6, 28
	s_add_i32 s2, s2, s6
	s_ashr_i32 s42, s2, 4
	v_lshrrev_b32_e32 v1, 6, v0
	v_cmp_gt_i32_e64 s[6:7], s42, v1
	v_mov_b32_e32 v10, 0xff7fffff
	s_mul_i32 s14, s3, s14
	v_lshrrev_b32_e32 v6, 4, v0
	v_lshlrev_b32_e32 v20, 4, v1
	v_mbcnt_lo_u32_b32 v7, -1, 0
	s_and_saveexec_b64 s[34:35], s[6:7]
	s_cbranch_execz .LBB77_19
; %bb.10:
	s_load_dwordx2 s[0:1], s[0:1], 0x10
	s_ashr_i32 s15, s14, 31
	s_sub_i32 s16, s12, s17
	s_lshl_b64 s[2:3], s[14:15], 1
	v_bfe_u32 v8, v0, 2, 4
	s_waitcnt lgkmcnt(0)
	s_add_u32 s0, s0, s2
	s_addc_u32 s1, s1, s3
	s_abs_i32 s15, s18
	v_cvt_f32_u32_e32 v5, s15
	v_lshlrev_b32_e32 v12, 4, v8
	v_mov_b32_e32 v13, 0
	v_lshl_add_u64 v[2:3], s[0:1], 0, v[12:13]
	v_rcp_iflag_f32_e32 v5, v5
	v_lshlrev_b32_e32 v9, 2, v0
	s_sub_i32 s0, 0, s15
	v_cmp_eq_u32_e32 vcc, 0, v4
	v_mul_f32_e32 v5, 0x4f7ffffe, v5
	v_cvt_u32_f32_e32 v5, v5
	v_and_b32_e32 v12, 12, v9
	v_mul_u32_u24_e32 v9, 60, v4
	v_lshlrev_b32_e32 v10, 2, v8
	v_mul_lo_u32 v4, s0, v5
	s_lshl_b64 s[0:1], s[26:27], 2
	s_add_u32 s0, s24, s0
	v_lshl_add_u64 v[2:3], v[2:3], 0, v[12:13]
	v_mul_hi_u32 v4, v5, v4
	v_and_b32_e32 v12, 60, v6
	s_addc_u32 s1, s25, s1
	v_lshl_or_b32 v10, v1, 6, v10
	v_add_u32_e32 v11, v5, v4
	v_lshl_add_u64 v[4:5], s[0:1], 0, v[12:13]
	v_add_u32_e32 v13, 0x100, v10
	v_subrev_u32_e32 v10, s33, v8
	v_mbcnt_hi_u32_b32 v16, -1, v7
	v_add_u32_e32 v14, 1, v10
	v_and_b32_e32 v10, 64, v16
	s_mov_b32 s30, s13
	v_cmp_neq_f32_e64 s[2:3], s43, 0
	v_lshlrev_b32_e32 v12, 4, v1
	s_mov_b64 s[36:37], 0
	v_mov_b32_e32 v15, 0xff7fffff
	v_add_u32_e32 v17, 64, v10
	v_xor_b32_e32 v18, 2, v16
	v_xor_b32_e32 v19, 1, v16
	v_mov_b32_e32 v10, 0xff7fffff
	v_mov_b32_e32 v21, v1
	s_branch .LBB77_13
.LBB77_11:                              ;   in Loop: Header=BB77_13 Depth=1
	s_or_b64 exec, exec, s[38:39]
.LBB77_12:                              ;   in Loop: Header=BB77_13 Depth=1
	s_or_b64 exec, exec, s[8:9]
	v_add_u32_e32 v21, 2, v21
	v_cmp_le_i32_e64 s[0:1], s42, v21
	v_lshl_add_u64 v[4:5], v[4:5], 0, 8
	v_add_u32_e32 v12, 32, v12
	s_or_b64 s[36:37], s[0:1], s[36:37]
	v_add_u32_e32 v13, 0x80, v13
	s_andn2_b64 exec, exec, s[36:37]
	s_cbranch_execz .LBB77_18
.LBB77_13:                              ; =>This Inner Loop Header: Depth=1
	v_mul_hi_u32 v22, v12, s40
	s_waitcnt lgkmcnt(0)
	v_mul_lo_u32 v23, v22, s21
	v_sub_u32_e32 v23, v12, v23
	v_add_u32_e32 v24, 1, v22
	v_cmp_le_u32_e64 s[0:1], s21, v23
	s_nop 1
	v_cndmask_b32_e64 v22, v22, v24, s[0:1]
	v_subrev_u32_e32 v24, s21, v23
	v_cndmask_b32_e64 v23, v23, v24, s[0:1]
	v_add_u32_e32 v24, 1, v22
	v_cmp_le_u32_e64 s[0:1], s21, v23
	s_nop 1
	v_cndmask_b32_e64 v22, v22, v24, s[0:1]
	v_xor_b32_e32 v22, s19, v22
	v_subrev_u32_e32 v22, s19, v22
	v_add_u32_e32 v23, s41, v22
	v_sub_u32_e32 v25, 0, v23
	v_ashrrev_i32_e32 v24, 31, v23
	v_max_i32_e32 v23, v23, v25
	v_mul_hi_u32 v25, v23, v11
	v_mul_lo_u32 v25, v25, s15
	v_sub_u32_e32 v23, v23, v25
	v_subrev_u32_e32 v25, s15, v23
	v_cmp_le_u32_e64 s[0:1], s15, v23
	v_cmp_ge_i32_e64 s[8:9], s16, v22
	s_nop 0
	v_cndmask_b32_e64 v23, v23, v25, s[0:1]
	v_subrev_u32_e32 v25, s15, v23
	v_cmp_le_u32_e64 s[0:1], s15, v23
	s_nop 1
	v_cndmask_b32_e64 v23, v23, v25, s[0:1]
	v_xor_b32_e32 v23, v23, v24
	v_sub_u32_e32 v23, v23, v24
	v_cmp_ne_u32_e64 s[0:1], 0, v23
	s_and_b64 s[0:1], s[0:1], s[8:9]
	s_and_b64 s[38:39], vcc, s[0:1]
	s_and_saveexec_b64 s[8:9], s[38:39]
	s_cbranch_execz .LBB77_15
; %bb.14:                               ;   in Loop: Header=BB77_13 Depth=1
	ds_write_b32 v13, v15
.LBB77_15:                              ;   in Loop: Header=BB77_13 Depth=1
	s_or_b64 exec, exec, s[8:9]
	s_xor_b64 s[0:1], s[0:1], -1
	s_and_saveexec_b64 s[8:9], s[0:1]
	s_cbranch_execz .LBB77_12
; %bb.16:                               ;   in Loop: Header=BB77_13 Depth=1
	global_load_dword v22, v[4:5], off
	s_waitcnt vmcnt(0)
	v_mad_i64_i32 v[22:23], s[0:1], v22, s30, 0
	v_lshl_add_u64 v[28:29], v[22:23], 1, v[2:3]
	global_load_dword v30, v[28:29], off
	global_load_dword v31, v[28:29], off offset:256
	global_load_dword v32, v[28:29], off offset:512
	;; [unrolled: 1-line block ×12, first 2 shown]
	ds_read_b32 v39, v9
	global_load_dword v23, v[28:29], off offset:3328
	global_load_dword v22, v[28:29], off offset:3584
	v_cmp_lt_i32_e64 s[0:1], v18, v17
	s_waitcnt lgkmcnt(0)
	v_lshrrev_b32_e32 v29, 16, v39
	v_and_b32_e32 v39, 0xffff, v39
	;;#ASMSTART
	v_cvt_f32_f16 v39, v39;
	;;#ASMEND
	;;#ASMSTART
	v_cvt_f32_f16 v29, v29;
	;;#ASMEND
	v_cndmask_b32_e64 v28, v16, v18, s[0:1]
	v_lshlrev_b32_e32 v28, 2, v28
	v_cmp_lt_i32_e64 s[0:1], v19, v17
	s_waitcnt vmcnt(14)
	v_lshrrev_b32_e32 v40, 16, v30
	v_and_b32_e32 v30, 0xffff, v30
	;;#ASMSTART
	v_cvt_f32_f16 v30, v30;
	;;#ASMEND
	;;#ASMSTART
	v_cvt_f32_f16 v40, v40;
	;;#ASMEND
	ds_read_b32 v41, v9 offset:4
	s_waitcnt vmcnt(13)
	v_lshrrev_b32_e32 v42, 16, v31
	v_and_b32_e32 v31, 0xffff, v31
	s_waitcnt vmcnt(12)
	v_lshrrev_b32_e32 v43, 16, v32
	v_and_b32_e32 v32, 0xffff, v32
	s_waitcnt lgkmcnt(0)
	v_lshrrev_b32_e32 v44, 16, v41
	v_and_b32_e32 v41, 0xffff, v41
	;;#ASMSTART
	v_cvt_f32_f16 v41, v41;
	;;#ASMEND
	;;#ASMSTART
	v_cvt_f32_f16 v44, v44;
	;;#ASMEND
	;;#ASMSTART
	v_cvt_f32_f16 v31, v31;
	;;#ASMEND
	;;#ASMSTART
	v_cvt_f32_f16 v42, v42;
	;;#ASMEND
	ds_read_b32 v45, v9 offset:8
	s_waitcnt vmcnt(11)
	v_lshrrev_b32_e32 v46, 16, v33
	v_and_b32_e32 v33, 0xffff, v33
	s_waitcnt vmcnt(10)
	v_lshrrev_b32_e32 v47, 16, v34
	v_and_b32_e32 v34, 0xffff, v34
	s_waitcnt lgkmcnt(0)
	v_lshrrev_b32_e32 v48, 16, v45
	v_and_b32_e32 v45, 0xffff, v45
	;;#ASMSTART
	v_cvt_f32_f16 v45, v45;
	;;#ASMEND
	;;#ASMSTART
	v_cvt_f32_f16 v48, v48;
	;;#ASMEND
	;; [unrolled: 22-line block ×3, first 2 shown]
	;;#ASMSTART
	v_cvt_f32_f16 v33, v33;
	;;#ASMEND
	;;#ASMSTART
	v_cvt_f32_f16 v46, v46;
	;;#ASMEND
	ds_read_b32 v53, v9 offset:16
	s_waitcnt vmcnt(7)
	v_lshrrev_b32_e32 v54, 16, v37
	v_and_b32_e32 v37, 0xffff, v37
	v_mul_f32_e32 v31, v41, v31
	v_mul_f32_e32 v41, v44, v42
	s_waitcnt lgkmcnt(0)
	v_lshrrev_b32_e32 v56, 16, v53
	v_and_b32_e32 v53, 0xffff, v53
	;;#ASMSTART
	v_cvt_f32_f16 v53, v53;
	;;#ASMEND
	;;#ASMSTART
	v_cvt_f32_f16 v56, v56;
	;;#ASMEND
	;; [unrolled: 3-line block ×4, first 2 shown]
	ds_read_b32 v57, v9 offset:20
	s_waitcnt vmcnt(6)
	v_lshrrev_b32_e32 v55, 16, v38
	v_and_b32_e32 v38, 0xffff, v38
	v_fmac_f32_e32 v31, v39, v30
	v_fmac_f32_e32 v41, v29, v40
	s_waitcnt lgkmcnt(0)
	v_lshrrev_b32_e32 v60, 16, v57
	v_and_b32_e32 v57, 0xffff, v57
	;;#ASMSTART
	v_cvt_f32_f16 v57, v57;
	;;#ASMEND
	;;#ASMSTART
	v_cvt_f32_f16 v60, v60;
	;;#ASMEND
	;; [unrolled: 3-line block ×4, first 2 shown]
	ds_read_b32 v61, v9 offset:24
	v_fmac_f32_e32 v31, v45, v32
	s_waitcnt vmcnt(5)
	v_lshrrev_b32_e32 v58, 16, v27
	v_and_b32_e32 v27, 0xffff, v27
	v_fmac_f32_e32 v31, v49, v33
	s_waitcnt lgkmcnt(0)
	v_lshrrev_b32_e32 v64, 16, v61
	v_and_b32_e32 v61, 0xffff, v61
	;;#ASMSTART
	v_cvt_f32_f16 v61, v61;
	;;#ASMEND
	;;#ASMSTART
	v_cvt_f32_f16 v64, v64;
	;;#ASMEND
	;;#ASMSTART
	v_cvt_f32_f16 v36, v36;
	;;#ASMEND
	;;#ASMSTART
	v_cvt_f32_f16 v51, v51;
	;;#ASMEND
	ds_read_b32 v65, v9 offset:28
	v_fmac_f32_e32 v31, v53, v34
	s_waitcnt vmcnt(4)
	v_lshrrev_b32_e32 v59, 16, v26
	v_and_b32_e32 v26, 0xffff, v26
	v_fmac_f32_e32 v31, v57, v35
	s_waitcnt lgkmcnt(0)
	v_lshrrev_b32_e32 v68, 16, v65
	v_and_b32_e32 v65, 0xffff, v65
	;;#ASMSTART
	v_cvt_f32_f16 v65, v65;
	;;#ASMEND
	;;#ASMSTART
	v_cvt_f32_f16 v68, v68;
	;;#ASMEND
	;; [unrolled: 3-line block ×4, first 2 shown]
	ds_read_b32 v69, v9 offset:32
	v_fmac_f32_e32 v41, v48, v43
	v_fmac_f32_e32 v31, v61, v36
	s_waitcnt vmcnt(3)
	v_lshrrev_b32_e32 v62, 16, v25
	v_and_b32_e32 v25, 0xffff, v25
	s_waitcnt lgkmcnt(0)
	v_lshrrev_b32_e32 v29, 16, v69
	v_and_b32_e32 v30, 0xffff, v69
	;;#ASMSTART
	v_cvt_f32_f16 v30, v30;
	;;#ASMEND
	;;#ASMSTART
	v_cvt_f32_f16 v29, v29;
	;;#ASMEND
	;; [unrolled: 3-line block ×4, first 2 shown]
	ds_read_b32 v40, v9 offset:36
	v_fmac_f32_e32 v31, v65, v37
	v_fmac_f32_e32 v41, v52, v46
	;; [unrolled: 1-line block ×4, first 2 shown]
	s_waitcnt lgkmcnt(0)
	v_lshrrev_b32_e32 v32, 16, v40
	v_and_b32_e32 v33, 0xffff, v40
	;;#ASMSTART
	v_cvt_f32_f16 v33, v33;
	;;#ASMEND
	;;#ASMSTART
	v_cvt_f32_f16 v32, v32;
	;;#ASMEND
	;; [unrolled: 3-line block ×4, first 2 shown]
	ds_read_b32 v42, v9 offset:40
	v_fmac_f32_e32 v41, v64, v51
	v_fmac_f32_e32 v41, v68, v54
	;; [unrolled: 1-line block ×3, first 2 shown]
	s_waitcnt vmcnt(2)
	v_lshrrev_b32_e32 v63, 16, v24
	s_waitcnt lgkmcnt(0)
	v_lshrrev_b32_e32 v34, 16, v42
	v_and_b32_e32 v35, 0xffff, v42
	;;#ASMSTART
	v_cvt_f32_f16 v35, v35;
	;;#ASMEND
	;;#ASMSTART
	v_cvt_f32_f16 v34, v34;
	;;#ASMEND
	;;#ASMSTART
	v_cvt_f32_f16 v26, v26;
	;;#ASMEND
	;;#ASMSTART
	v_cvt_f32_f16 v42, v59;
	;;#ASMEND
	ds_read_b32 v43, v9 offset:44
	v_and_b32_e32 v24, 0xffff, v24
	v_fmac_f32_e32 v41, v29, v39
	v_fmac_f32_e32 v31, v33, v27
	;; [unrolled: 1-line block ×3, first 2 shown]
	s_waitcnt lgkmcnt(0)
	v_lshrrev_b32_e32 v36, 16, v43
	v_and_b32_e32 v37, 0xffff, v43
	;;#ASMSTART
	v_cvt_f32_f16 v37, v37;
	;;#ASMEND
	;;#ASMSTART
	v_cvt_f32_f16 v36, v36;
	;;#ASMEND
	;; [unrolled: 3-line block ×4, first 2 shown]
	ds_read_b32 v44, v9 offset:48
	v_fmac_f32_e32 v31, v35, v26
	s_waitcnt vmcnt(1)
	v_lshrrev_b32_e32 v66, 16, v23
	v_and_b32_e32 v23, 0xffff, v23
	v_fmac_f32_e32 v31, v37, v25
	s_waitcnt lgkmcnt(0)
	v_lshrrev_b32_e32 v27, 16, v44
	v_and_b32_e32 v29, 0xffff, v44
	;;#ASMSTART
	v_cvt_f32_f16 v29, v29;
	;;#ASMEND
	;;#ASMSTART
	v_cvt_f32_f16 v27, v27;
	;;#ASMEND
	;; [unrolled: 3-line block ×4, first 2 shown]
	ds_read_b32 v32, v9 offset:52
	v_fmac_f32_e32 v41, v34, v42
	v_fmac_f32_e32 v41, v36, v43
	;; [unrolled: 1-line block ×4, first 2 shown]
	s_waitcnt lgkmcnt(0)
	v_lshrrev_b32_e32 v25, 16, v32
	v_and_b32_e32 v26, 0xffff, v32
	;;#ASMSTART
	v_cvt_f32_f16 v26, v26;
	;;#ASMEND
	;;#ASMSTART
	v_cvt_f32_f16 v25, v25;
	;;#ASMEND
	;; [unrolled: 3-line block ×4, first 2 shown]
	ds_read_b32 v33, v9 offset:56
	s_waitcnt vmcnt(0)
	v_lshrrev_b32_e32 v67, 16, v22
	v_and_b32_e32 v22, 0xffff, v22
	v_fmac_f32_e32 v31, v26, v23
	v_fmac_f32_e32 v41, v25, v32
	s_waitcnt lgkmcnt(0)
	v_lshrrev_b32_e32 v23, 16, v33
	v_and_b32_e32 v24, 0xffff, v33
	;;#ASMSTART
	v_cvt_f32_f16 v24, v24;
	;;#ASMEND
	;;#ASMSTART
	v_cvt_f32_f16 v23, v23;
	;;#ASMEND
	;; [unrolled: 3-line block ×4, first 2 shown]
	s_nop 0
	v_fmac_f32_e32 v31, v24, v22
	v_fmac_f32_e32 v41, v23, v25
	v_add_f32_e32 v22, v31, v41
	ds_bpermute_b32 v23, v28, v22
	v_cndmask_b32_e64 v24, v16, v19, s[0:1]
	s_waitcnt lgkmcnt(0)
	v_add_f32_e32 v22, v22, v23
	v_lshlrev_b32_e32 v23, 2, v24
	ds_bpermute_b32 v23, v23, v22
	s_and_saveexec_b64 s[38:39], vcc
	s_cbranch_execz .LBB77_11
; %bb.17:                               ;   in Loop: Header=BB77_13 Depth=1
	v_add_u32_e32 v24, v14, v12
	v_cvt_f32_i32_e32 v24, v24
	s_waitcnt lgkmcnt(0)
	v_add_f32_e32 v22, v22, v23
	v_add_u32_e32 v25, v8, v12
	v_cmp_gt_i32_e64 s[0:1], s33, v25
	v_mul_f32_e32 v23, s43, v24
	v_cndmask_b32_e64 v23, 0, v23, s[2:3]
	v_fmac_f32_e32 v23, s31, v22
	v_cndmask_b32_e64 v22, 0, v23, s[0:1]
	ds_write_b32 v13, v22
	v_max_f32_e32 v22, v10, v10
	v_max_f32_e32 v22, v22, v23
	v_cndmask_b32_e64 v10, v10, v22, s[0:1]
	s_branch .LBB77_11
.LBB77_18:
	s_or_b64 exec, exec, s[36:37]
.LBB77_19:
	s_or_b64 exec, exec, s[34:35]
	v_mbcnt_hi_u32_b32 v2, -1, v7
	v_and_b32_e32 v3, 64, v2
	v_add_u32_e32 v3, 64, v3
	v_xor_b32_e32 v4, 32, v2
	v_cmp_lt_i32_e32 vcc, v4, v3
	v_xor_b32_e32 v8, 16, v2
	v_max_f32_e32 v7, v10, v10
	v_cndmask_b32_e32 v4, v2, v4, vcc
	v_lshlrev_b32_e32 v5, 2, v4
	ds_bpermute_b32 v4, v5, v10
	v_cmp_lt_i32_e32 vcc, v8, v3
	v_xor_b32_e32 v9, 8, v2
	v_xor_b32_e32 v11, 4, v2
	s_waitcnt lgkmcnt(0)
	v_max_f32_e32 v4, v4, v4
	v_max_f32_e32 v4, v7, v4
	v_cndmask_b32_e32 v7, v2, v8, vcc
	v_lshlrev_b32_e32 v7, 2, v7
	ds_bpermute_b32 v8, v7, v4
	v_cmp_lt_i32_e32 vcc, v9, v3
	s_waitcnt lgkmcnt(0)
	v_max_f32_e32 v8, v8, v8
	v_max_f32_e32 v4, v4, v8
	v_cndmask_b32_e32 v8, v2, v9, vcc
	v_lshlrev_b32_e32 v10, 2, v8
	ds_bpermute_b32 v8, v10, v4
	v_cmp_lt_i32_e32 vcc, v11, v3
	s_waitcnt lgkmcnt(0)
	v_max_f32_e32 v8, v8, v8
	v_max_f32_e32 v9, v4, v8
	v_cndmask_b32_e32 v4, v2, v11, vcc
	v_lshlrev_b32_e32 v11, 2, v4
	ds_bpermute_b32 v12, v11, v9
	v_and_b32_e32 v4, 63, v0
	v_cmp_eq_u32_e32 vcc, 0, v4
	v_lshlrev_b32_e32 v8, 2, v1
	s_and_saveexec_b64 s[0:1], vcc
	s_cbranch_execz .LBB77_21
; %bb.20:
	s_waitcnt lgkmcnt(0)
	v_max_f32_e32 v12, v12, v12
	v_max_f32_e32 v9, v9, v9
	;; [unrolled: 1-line block ×3, first 2 shown]
	ds_write_b32 v8, v9 offset:240
.LBB77_21:
	s_or_b64 exec, exec, s[0:1]
	v_cmp_gt_u32_e64 s[0:1], 2, v4
	s_waitcnt lgkmcnt(0)
	v_mov_b32_e32 v12, 0xff7fffff
	v_lshlrev_b32_e32 v9, 2, v4
	s_barrier
	s_and_saveexec_b64 s[2:3], s[0:1]
	s_cbranch_execz .LBB77_23
; %bb.22:
	ds_read_b32 v12, v9 offset:240
.LBB77_23:
	s_or_b64 exec, exec, s[2:3]
	v_xor_b32_e32 v13, 1, v2
	v_cmp_lt_i32_e64 s[2:3], v13, v3
	v_lshlrev_b32_e32 v14, 2, v2
	s_nop 0
	v_cndmask_b32_e64 v13, v2, v13, s[2:3]
	v_lshlrev_b32_e32 v21, 2, v13
	s_waitcnt lgkmcnt(0)
	ds_bpermute_b32 v13, v21, v12
	v_max_f32_e32 v12, v12, v12
	s_lshl_b32 s2, s42, 4
	s_min_i32 s15, s2, s33
	v_cmp_gt_i32_e64 s[2:3], s15, v0
	s_waitcnt lgkmcnt(0)
	v_max_f32_e32 v13, v13, v13
	v_max_f32_e32 v13, v12, v13
	v_and_b32_e32 v12, 0x100, v14
	ds_bpermute_b32 v14, v12, v13
	v_mov_b32_e32 v13, 0
	s_and_saveexec_b64 s[30:31], s[2:3]
	s_cbranch_execz .LBB77_27
; %bb.24:
	v_mov_b32_e32 v13, 0x100
	v_lshl_add_u32 v15, v0, 2, v13
	s_mov_b64 s[34:35], 0
	v_mov_b32_e32 v13, 0
	v_mov_b32_e32 v16, v0
.LBB77_25:                              ; =>This Inner Loop Header: Depth=1
	ds_read_b32 v17, v15
	v_add_u32_e32 v16, 0x80, v16
	v_cmp_le_i32_e64 s[8:9], s15, v16
	s_or_b64 s[34:35], s[8:9], s[34:35]
	s_waitcnt lgkmcnt(0)
	v_sub_f32_e32 v17, v17, v14
	v_mul_f32_e32 v17, 0x3fb8aa3b, v17
	v_exp_f32_e32 v17, v17
	ds_write_b32 v15, v17
	v_add_f32_e32 v13, v13, v17
	v_add_u32_e32 v15, 0x200, v15
	s_andn2_b64 exec, exec, s[34:35]
	s_cbranch_execnz .LBB77_25
; %bb.26:
	s_or_b64 exec, exec, s[34:35]
.LBB77_27:
	s_or_b64 exec, exec, s[30:31]
	ds_bpermute_b32 v5, v5, v13
	s_waitcnt lgkmcnt(0)
	v_add_f32_e32 v5, v13, v5
	ds_bpermute_b32 v7, v7, v5
	s_waitcnt lgkmcnt(0)
	v_add_f32_e32 v5, v5, v7
	ds_bpermute_b32 v7, v10, v5
	v_xor_b32_e32 v10, 2, v2
	v_cmp_lt_i32_e64 s[8:9], v10, v3
	s_waitcnt lgkmcnt(0)
	v_add_f32_e32 v5, v5, v7
	ds_bpermute_b32 v7, v11, v5
	v_cndmask_b32_e64 v2, v2, v10, s[8:9]
	v_lshlrev_b32_e32 v2, 2, v2
	s_waitcnt lgkmcnt(0)
	v_add_f32_e32 v3, v5, v7
	ds_bpermute_b32 v2, v2, v3
	s_waitcnt lgkmcnt(0)
	v_add_f32_e32 v2, v3, v2
	ds_bpermute_b32 v3, v21, v2
	s_waitcnt lgkmcnt(0)
	v_add_f32_e32 v2, v2, v3
	s_and_saveexec_b64 s[8:9], vcc
	s_cbranch_execz .LBB77_29
; %bb.28:
	ds_write_b32 v8, v2 offset:248
.LBB77_29:
	s_or_b64 exec, exec, s[8:9]
	s_waitcnt lgkmcnt(0)
	s_barrier
	s_and_saveexec_b64 s[8:9], s[0:1]
	s_cbranch_execz .LBB77_31
; %bb.30:
	ds_read_b32 v2, v9 offset:248
.LBB77_31:
	s_or_b64 exec, exec, s[8:9]
	s_waitcnt lgkmcnt(0)
	ds_bpermute_b32 v3, v21, v2
	s_waitcnt lgkmcnt(0)
	v_add_f32_e32 v2, v2, v3
	ds_bpermute_b32 v2, v12, v2
	s_and_saveexec_b64 s[0:1], s[2:3]
	s_cbranch_execz .LBB77_44
; %bb.32:
	s_waitcnt lgkmcnt(0)
	v_add_f32_e32 v2, 0x358637bd, v2
	v_div_scale_f32 v3, s[2:3], v2, v2, 1.0
	v_rcp_f32_e32 v5, v3
	v_div_scale_f32 v7, vcc, 1.0, v2, 1.0
	s_movk_i32 s2, 0x7f
	v_fma_f32 v8, -v3, v5, 1.0
	v_fmac_f32_e32 v5, v8, v5
	v_mul_f32_e32 v8, v7, v5
	v_fma_f32 v9, -v3, v8, v7
	v_fmac_f32_e32 v8, v9, v5
	v_fma_f32 v3, -v3, v8, v7
	v_div_fmas_f32 v3, v3, v5, v8
	v_xad_u32 v5, v0, -1, s15
	v_div_fixup_f32 v2, v3, v2, 1.0
	v_cmp_lt_u32_e32 vcc, s2, v5
	s_mov_b64 s[8:9], -1
	v_mov_b32_e32 v3, v0
	s_and_saveexec_b64 s[2:3], vcc
	s_cbranch_execz .LBB77_41
; %bb.33:
	v_lshrrev_b32_e32 v5, 7, v5
	v_add_u32_e32 v8, -1, v5
	v_lshrrev_b32_e32 v7, 1, v8
	v_mov_b32_e32 v3, v2
	v_add_u32_e32 v7, 1, v7
	v_cmp_lt_u32_e32 vcc, 13, v8
	v_mov_b32_e32 v10, 0
	s_and_saveexec_b64 s[8:9], vcc
	s_cbranch_execz .LBB77_37
; %bb.34:
	v_mov_b32_e32 v9, 0x100
	v_and_b32_e32 v8, -8, v7
	v_lshl_add_u32 v9, v0, 2, v9
	s_mov_b32 s16, 0
	s_mov_b64 s[30:31], 0
.LBB77_35:                              ; =>This Inner Loop Header: Depth=1
	ds_read2st64_b32 v[10:11], v9 offset1:2
	ds_read2st64_b32 v[12:13], v9 offset0:4 offset1:6
	ds_read2st64_b32 v[14:15], v9 offset0:8 offset1:10
	;; [unrolled: 1-line block ×3, first 2 shown]
	v_add_u32_e32 v8, -8, v8
	s_waitcnt lgkmcnt(3)
	v_pk_mul_f32 v[10:11], v[2:3], v[10:11]
	s_waitcnt lgkmcnt(2)
	v_pk_mul_f32 v[12:13], v[2:3], v[12:13]
	ds_write2st64_b32 v9, v10, v11 offset1:2
	ds_write2st64_b32 v9, v12, v13 offset0:4 offset1:6
	ds_read2st64_b32 v[12:13], v9 offset0:16 offset1:18
	s_waitcnt lgkmcnt(4)
	v_pk_mul_f32 v[10:11], v[2:3], v[14:15]
	ds_write2st64_b32 v9, v10, v11 offset0:8 offset1:10
	s_waitcnt lgkmcnt(4)
	v_pk_mul_f32 v[10:11], v[2:3], v[16:17]
	ds_write2st64_b32 v9, v10, v11 offset0:12 offset1:14
	ds_read2st64_b32 v[10:11], v9 offset0:20 offset1:22
	s_waitcnt lgkmcnt(3)
	v_pk_mul_f32 v[12:13], v[2:3], v[12:13]
	ds_read2st64_b32 v[14:15], v9 offset0:24 offset1:26
	ds_write2st64_b32 v9, v12, v13 offset0:16 offset1:18
	ds_read2st64_b32 v[12:13], v9 offset0:28 offset1:30
	s_waitcnt lgkmcnt(3)
	v_pk_mul_f32 v[10:11], v[2:3], v[10:11]
	ds_write2st64_b32 v9, v10, v11 offset0:20 offset1:22
	s_waitcnt lgkmcnt(3)
	v_pk_mul_f32 v[10:11], v[2:3], v[14:15]
	ds_write2st64_b32 v9, v10, v11 offset0:24 offset1:26
	s_waitcnt lgkmcnt(2)
	v_pk_mul_f32 v[10:11], v[2:3], v[12:13]
	s_add_i32 s16, s16, 16
	v_cmp_eq_u32_e32 vcc, 0, v8
	ds_write2st64_b32 v9, v10, v11 offset0:28 offset1:30
	v_add_u32_e32 v9, 0x2000, v9
	s_or_b64 s[30:31], vcc, s[30:31]
	v_mov_b32_e32 v10, s16
	s_andn2_b64 exec, exec, s[30:31]
	s_cbranch_execnz .LBB77_35
; %bb.36:
	s_or_b64 exec, exec, s[30:31]
.LBB77_37:
	s_or_b64 exec, exec, s[8:9]
	v_and_b32_e32 v7, 7, v7
	v_cmp_ne_u32_e32 vcc, 0, v7
	s_and_saveexec_b64 s[8:9], vcc
	s_cbranch_execz .LBB77_40
; %bb.38:
	v_lshlrev_b32_e32 v8, 9, v10
	v_lshlrev_b32_e32 v9, 2, v0
	s_movk_i32 s16, 0x100
	v_add3_u32 v8, v8, v9, s16
	s_mov_b64 s[30:31], 0
.LBB77_39:                              ; =>This Inner Loop Header: Depth=1
	ds_read2st64_b32 v[10:11], v8 offset1:2
	v_add_u32_e32 v7, -1, v7
	v_cmp_eq_u32_e32 vcc, 0, v7
	s_or_b64 s[30:31], vcc, s[30:31]
	s_waitcnt lgkmcnt(0)
	v_pk_mul_f32 v[10:11], v[2:3], v[10:11]
	ds_write2st64_b32 v8, v10, v11 offset1:2
	v_add_u32_e32 v8, 0x400, v8
	s_andn2_b64 exec, exec, s[30:31]
	s_cbranch_execnz .LBB77_39
.LBB77_40:
	s_or_b64 exec, exec, s[8:9]
	v_add_u32_e32 v5, 1, v5
	v_and_b32_e32 v7, 0x3fffffe, v5
	v_cmp_ne_u32_e32 vcc, v5, v7
	v_lshl_add_u32 v3, v7, 7, v0
	s_orn2_b64 s[8:9], vcc, exec
.LBB77_41:
	s_or_b64 exec, exec, s[2:3]
	s_and_b64 exec, exec, s[8:9]
	s_cbranch_execz .LBB77_44
; %bb.42:
	v_mov_b32_e32 v5, 0x100
	v_lshl_add_u32 v5, v3, 2, v5
	s_mov_b64 s[2:3], 0
.LBB77_43:                              ; =>This Inner Loop Header: Depth=1
	ds_read_b32 v7, v5
	v_add_u32_e32 v3, 0x80, v3
	v_cmp_le_i32_e32 vcc, s15, v3
	s_or_b64 s[2:3], vcc, s[2:3]
	s_waitcnt lgkmcnt(0)
	v_mul_f32_e32 v7, v2, v7
	ds_write_b32 v5, v7
	v_add_u32_e32 v5, 0x200, v5
	s_andn2_b64 exec, exec, s[2:3]
	s_cbranch_execnz .LBB77_43
.LBB77_44:
	s_or_b64 exec, exec, s[0:1]
	s_mov_b32 s0, 0
	v_mov_b32_e32 v5, 0
	v_lshrrev_b32_e32 v23, 1, v4
	v_and_b32_e32 v22, 1, v0
	v_mov_b32_e32 v4, 0
	v_mov_b32_e32 v3, 0
	s_waitcnt lgkmcnt(0)
	v_mov_b32_e32 v2, 0
	s_barrier
	s_and_saveexec_b64 s[8:9], s[6:7]
	s_cbranch_execz .LBB77_60
; %bb.45:
	s_ashr_i32 s15, s14, 31
	s_sub_i32 s30, s12, s17
	s_lshl_b64 s[2:3], s[14:15], 1
	s_add_u32 s6, s28, s2
	s_addc_u32 s7, s29, s3
	s_abs_i32 s18, s18
	v_cvt_f32_u32_e32 v3, s18
	v_lshlrev_b32_e32 v2, 3, v0
	v_and_b32_e32 v24, 8, v2
	v_or_b32_e32 v2, 0x60, v23
	s_movk_i32 s1, 0x78
	v_cmp_gt_u32_e32 vcc, s1, v2
	v_lshl_or_b32 v14, v2, 4, v24
	v_rcp_iflag_f32_e32 v2, v3
	s_sub_i32 s1, 0, s18
	s_add_i32 s28, s42, -1
	s_lshl_b64 s[2:3], s[26:27], 2
	v_mul_f32_e32 v2, 0x4f7ffffe, v2
	v_cvt_u32_f32_e32 v2, v2
	s_add_u32 s2, s24, s2
	v_mov_b32_e32 v11, 0
	v_and_b32_e32 v10, 60, v6
	v_mul_lo_u32 v3, s1, v2
	v_mul_hi_u32 v3, v2, v3
	v_add_u32_e32 v25, v2, v3
	s_addc_u32 s3, s25, s3
	v_lshlrev_b32_e32 v2, 5, v22
	v_lshl_add_u64 v[12:13], s[2:3], 0, v[10:11]
	v_lshl_or_b32 v2, v1, 6, v2
	s_mov_b32 s2, s0
	s_mov_b32 s3, s0
	v_lshl_or_b32 v8, v23, 4, v24
	v_add_u32_e32 v26, 0x100, v2
	s_mov_b32 s1, s0
	v_mov_b64_e32 v[4:5], s[2:3]
	s_mov_b32 s31, s13
	s_mov_b32 s29, s33
	s_mov_b32 s34, s33
	s_mov_b32 s35, s33
	s_mov_b32 s36, s33
	s_mov_b32 s37, s33
	s_mov_b32 s38, s33
	s_mov_b32 s39, s33
	s_mov_b64 s[12:13], 0
	v_mov_b64_e32 v[2:3], s[0:1]
	v_lshlrev_b32_e32 v10, 1, v8
	s_mov_b32 s24, 0x5040100
	v_lshlrev_b32_e32 v14, 1, v14
	s_branch .LBB77_49
.LBB77_46:                              ;   in Loop: Header=BB77_49 Depth=1
	s_or_b64 exec, exec, s[16:17]
	s_waitcnt vmcnt(0)
	;;#ASMSTART
	v_pk_mul_f16 v6, v31, v6;

	;;#ASMEND
	;;#ASMSTART
	v_pk_mul_f16 v7, v30, v7;

	;;#ASMEND
	;; [unrolled: 4-line block ×4, first 2 shown]
	s_nop 0
	;;#ASMSTART
	v_pk_add_f16 v6, v6, v7;

	;;#ASMEND
	s_nop 0
	;;#ASMSTART
	v_pk_add_f16 v6, v6, v8;

	;;#ASMEND
	s_nop 0
	;;#ASMSTART
	v_pk_add_f16 v6, v6, v9;

	;;#ASMEND
	s_nop 0
	v_lshrrev_b32_e32 v7, 16, v6
	v_and_b32_e32 v6, 0xffff, v6
	;;#ASMSTART
	v_cvt_f32_f16 v6, v6;
	;;#ASMEND
	;;#ASMSTART
	v_cvt_f32_f16 v7, v7;
	;;#ASMEND
	s_nop 0
	v_add_f32_e32 v6, v6, v7
	v_add_f32_e32 v5, v5, v6
.LBB77_47:                              ;   in Loop: Header=BB77_49 Depth=1
	s_or_b64 exec, exec, s[2:3]
.LBB77_48:                              ;   in Loop: Header=BB77_49 Depth=1
	s_or_b64 exec, exec, s[14:15]
	v_add_u32_e32 v1, 2, v1
	v_cmp_le_i32_e64 s[0:1], s42, v1
	v_lshl_add_u64 v[12:13], v[12:13], 0, 8
	v_add_u32_e32 v20, 32, v20
	s_or_b64 s[12:13], s[0:1], s[12:13]
	v_add_u32_e32 v26, 0x80, v26
	s_andn2_b64 exec, exec, s[12:13]
	s_cbranch_execz .LBB77_59
.LBB77_49:                              ; =>This Inner Loop Header: Depth=1
	v_mul_hi_u32 v6, v20, s40
	v_mul_lo_u32 v7, v6, s21
	v_sub_u32_e32 v7, v20, v7
	v_add_u32_e32 v8, 1, v6
	v_cmp_le_u32_e64 s[0:1], s21, v7
	s_nop 1
	v_cndmask_b32_e64 v6, v6, v8, s[0:1]
	v_subrev_u32_e32 v8, s21, v7
	v_cndmask_b32_e64 v7, v7, v8, s[0:1]
	v_add_u32_e32 v8, 1, v6
	v_cmp_le_u32_e64 s[0:1], s21, v7
	s_nop 1
	v_cndmask_b32_e64 v6, v6, v8, s[0:1]
	v_xor_b32_e32 v6, s19, v6
	v_subrev_u32_e32 v6, s19, v6
	v_add_u32_e32 v7, s41, v6
	v_sub_u32_e32 v9, 0, v7
	v_ashrrev_i32_e32 v8, 31, v7
	v_max_i32_e32 v7, v7, v9
	v_mul_hi_u32 v9, v7, v25
	v_mul_lo_u32 v9, v9, s18
	v_sub_u32_e32 v7, v7, v9
	v_subrev_u32_e32 v9, s18, v7
	v_cmp_le_u32_e64 s[0:1], s18, v7
	v_cmp_lt_i32_e64 s[2:3], s30, v6
	s_nop 0
	v_cndmask_b32_e64 v7, v7, v9, s[0:1]
	v_subrev_u32_e32 v9, s18, v7
	v_cmp_le_u32_e64 s[0:1], s18, v7
	s_nop 1
	v_cndmask_b32_e64 v7, v7, v9, s[0:1]
	v_xor_b32_e32 v7, v7, v8
	v_sub_u32_e32 v7, v7, v8
	v_cmp_eq_u32_e64 s[0:1], 0, v7
	s_or_b64 s[0:1], s[0:1], s[2:3]
	s_and_saveexec_b64 s[14:15], s[0:1]
	s_cbranch_execz .LBB77_48
; %bb.50:                               ;   in Loop: Header=BB77_49 Depth=1
	global_load_dword v27, v[12:13], off
	ds_read2_b64 v[6:9], v26 offset1:1
	ds_read2_b64 v[16:19], v26 offset0:2 offset1:3
	s_waitcnt lgkmcnt(1)
	;;#ASMSTART
	v_cvt_f16_f32 v15, v6;

	;;#ASMEND
	;;#ASMSTART
	v_cvt_f16_f32 v28, v7;

	;;#ASMEND
	;; [unrolled: 4-line block ×4, first 2 shown]
	s_waitcnt lgkmcnt(0)
	;;#ASMSTART
	v_cvt_f16_f32 v32, v16;

	;;#ASMEND
	;;#ASMSTART
	v_cvt_f16_f32 v33, v17;

	;;#ASMEND
	;; [unrolled: 4-line block ×4, first 2 shown]
	s_waitcnt vmcnt(0)
	v_mad_i64_i32 v[6:7], s[0:1], v27, s31, 0
	v_lshl_add_u64 v[16:17], v[6:7], 1, s[6:7]
	v_lshl_add_u64 v[18:19], v[16:17], 0, v[10:11]
	global_load_dwordx4 v[6:9], v[18:19], off
	v_add_u32_e32 v27, v24, v20
	v_cmp_eq_u32_e64 s[0:1], s28, v1
	s_and_saveexec_b64 s[16:17], s[0:1]
	s_cbranch_execz .LBB77_52
; %bb.51:                               ;   in Loop: Header=BB77_49 Depth=1
	v_or_b32_e32 v40, 7, v27
	v_or_b32_e32 v41, 6, v27
	s_waitcnt vmcnt(0)
	v_lshrrev_b32_e32 v42, 16, v9
	v_cmp_gt_i32_e64 s[2:3], s39, v40
	v_or_b32_e32 v38, 5, v27
	v_or_b32_e32 v39, 4, v27
	v_cndmask_b32_e64 v40, 0, v42, s[2:3]
	v_cmp_gt_i32_e64 s[2:3], s38, v41
	v_or_b32_e32 v36, 3, v27
	v_or_b32_e32 v37, 2, v27
	v_cndmask_b32_e64 v9, 0, v9, s[2:3]
	v_perm_b32 v9, v40, v9, s24
	v_lshrrev_b32_e32 v40, 16, v8
	v_cmp_gt_i32_e64 s[2:3], s37, v38
	v_add_u32_e32 v31, 1, v27
	s_nop 0
	v_cndmask_b32_e64 v38, 0, v40, s[2:3]
	v_cmp_gt_i32_e64 s[2:3], s36, v39
	s_nop 1
	v_cndmask_b32_e64 v8, 0, v8, s[2:3]
	v_perm_b32 v8, v38, v8, s24
	v_lshrrev_b32_e32 v38, 16, v7
	v_cmp_gt_i32_e64 s[2:3], s35, v36
	s_nop 1
	v_cndmask_b32_e64 v36, 0, v38, s[2:3]
	v_cmp_gt_i32_e64 s[2:3], s34, v37
	s_nop 1
	v_cndmask_b32_e64 v7, 0, v7, s[2:3]
	v_perm_b32 v7, v36, v7, s24
	v_lshrrev_b32_e32 v36, 16, v6
	v_cmp_gt_i32_e64 s[2:3], s29, v31
	s_nop 1
	v_cndmask_b32_e64 v31, 0, v36, s[2:3]
	v_cmp_gt_i32_e64 s[2:3], s33, v27
	s_nop 1
	v_cndmask_b32_e64 v6, 0, v6, s[2:3]
	v_perm_b32 v6, v31, v6, s24
.LBB77_52:                              ;   in Loop: Header=BB77_49 Depth=1
	s_or_b64 exec, exec, s[16:17]
	v_and_b32_e32 v15, 0xffff, v15
	v_lshl_or_b32 v31, v28, 16, v15
	v_and_b32_e32 v15, 0xffff, v29
	v_lshl_or_b32 v30, v30, 16, v15
	v_and_b32_e32 v15, 0xffff, v32
	v_lshl_or_b32 v29, v33, 16, v15
	v_and_b32_e32 v15, 0xffff, v34
	s_waitcnt vmcnt(0)
	;;#ASMSTART
	v_pk_mul_f16 v6, v31, v6;

	;;#ASMEND
	v_lshl_or_b32 v28, v35, 16, v15
	;;#ASMSTART
	v_pk_mul_f16 v7, v30, v7;

	;;#ASMEND
	;;#ASMSTART
	v_pk_mul_f16 v8, v29, v8;

	;;#ASMEND
	;; [unrolled: 4-line block ×3, first 2 shown]
	s_nop 0
	;;#ASMSTART
	v_pk_add_f16 v6, v6, v7;

	;;#ASMEND
	s_nop 0
	;;#ASMSTART
	v_pk_add_f16 v6, v6, v8;

	;;#ASMEND
	;; [unrolled: 5-line block ×3, first 2 shown]
	s_nop 0
	v_lshrrev_b32_e32 v7, 16, v6
	v_and_b32_e32 v6, 0xffff, v6
	;;#ASMSTART
	v_cvt_f32_f16 v15, v6;
	;;#ASMEND
	;;#ASMSTART
	v_cvt_f32_f16 v32, v7;
	;;#ASMEND
	global_load_dwordx4 v[6:9], v[18:19], off offset:1024
	s_and_saveexec_b64 s[16:17], s[0:1]
	s_cbranch_execz .LBB77_54
; %bb.53:                               ;   in Loop: Header=BB77_49 Depth=1
	v_or_b32_e32 v38, 7, v27
	v_or_b32_e32 v39, 6, v27
	s_waitcnt vmcnt(0)
	v_lshrrev_b32_e32 v40, 16, v9
	v_cmp_gt_i32_e64 s[2:3], s39, v38
	v_or_b32_e32 v36, 5, v27
	v_or_b32_e32 v37, 4, v27
	v_cndmask_b32_e64 v38, 0, v40, s[2:3]
	v_cmp_gt_i32_e64 s[2:3], s38, v39
	v_or_b32_e32 v34, 3, v27
	v_or_b32_e32 v35, 2, v27
	v_cndmask_b32_e64 v9, 0, v9, s[2:3]
	v_perm_b32 v9, v38, v9, s24
	v_lshrrev_b32_e32 v38, 16, v8
	v_cmp_gt_i32_e64 s[2:3], s37, v36
	v_add_u32_e32 v33, 1, v27
	s_nop 0
	v_cndmask_b32_e64 v36, 0, v38, s[2:3]
	v_cmp_gt_i32_e64 s[2:3], s36, v37
	s_nop 1
	v_cndmask_b32_e64 v8, 0, v8, s[2:3]
	v_perm_b32 v8, v36, v8, s24
	v_lshrrev_b32_e32 v36, 16, v7
	v_cmp_gt_i32_e64 s[2:3], s35, v34
	s_nop 1
	v_cndmask_b32_e64 v34, 0, v36, s[2:3]
	v_cmp_gt_i32_e64 s[2:3], s34, v35
	s_nop 1
	v_cndmask_b32_e64 v7, 0, v7, s[2:3]
	v_perm_b32 v7, v34, v7, s24
	v_lshrrev_b32_e32 v34, 16, v6
	v_cmp_gt_i32_e64 s[2:3], s29, v33
	s_nop 1
	v_cndmask_b32_e64 v33, 0, v34, s[2:3]
	v_cmp_gt_i32_e64 s[2:3], s33, v27
	s_nop 1
	v_cndmask_b32_e64 v6, 0, v6, s[2:3]
	v_perm_b32 v6, v33, v6, s24
.LBB77_54:                              ;   in Loop: Header=BB77_49 Depth=1
	s_or_b64 exec, exec, s[16:17]
	s_waitcnt vmcnt(0)
	;;#ASMSTART
	v_pk_mul_f16 v6, v31, v6;

	;;#ASMEND
	;;#ASMSTART
	v_pk_mul_f16 v7, v30, v7;

	;;#ASMEND
	;; [unrolled: 4-line block ×4, first 2 shown]
	s_nop 0
	;;#ASMSTART
	v_pk_add_f16 v6, v6, v7;

	;;#ASMEND
	s_nop 0
	;;#ASMSTART
	v_pk_add_f16 v6, v6, v8;

	;;#ASMEND
	;; [unrolled: 5-line block ×3, first 2 shown]
	s_nop 0
	v_lshrrev_b32_e32 v7, 16, v6
	v_and_b32_e32 v6, 0xffff, v6
	;;#ASMSTART
	v_cvt_f32_f16 v33, v6;
	;;#ASMEND
	;;#ASMSTART
	v_cvt_f32_f16 v34, v7;
	;;#ASMEND
	global_load_dwordx4 v[6:9], v[18:19], off offset:2048
	s_and_saveexec_b64 s[16:17], s[0:1]
	s_cbranch_execz .LBB77_56
; %bb.55:                               ;   in Loop: Header=BB77_49 Depth=1
	v_or_b32_e32 v38, 7, v27
	v_or_b32_e32 v39, 6, v27
	s_waitcnt vmcnt(0)
	v_lshrrev_b32_e32 v40, 16, v9
	v_cmp_gt_i32_e64 s[2:3], s39, v38
	v_or_b32_e32 v36, 5, v27
	v_or_b32_e32 v37, 4, v27
	v_cndmask_b32_e64 v38, 0, v40, s[2:3]
	v_cmp_gt_i32_e64 s[2:3], s38, v39
	v_or_b32_e32 v19, 3, v27
	v_or_b32_e32 v35, 2, v27
	v_cndmask_b32_e64 v9, 0, v9, s[2:3]
	v_perm_b32 v9, v38, v9, s24
	v_lshrrev_b32_e32 v38, 16, v8
	v_cmp_gt_i32_e64 s[2:3], s37, v36
	v_add_u32_e32 v18, 1, v27
	s_nop 0
	v_cndmask_b32_e64 v36, 0, v38, s[2:3]
	v_cmp_gt_i32_e64 s[2:3], s36, v37
	s_nop 1
	v_cndmask_b32_e64 v8, 0, v8, s[2:3]
	v_perm_b32 v8, v36, v8, s24
	v_lshrrev_b32_e32 v36, 16, v7
	v_cmp_gt_i32_e64 s[2:3], s35, v19
	s_nop 1
	v_cndmask_b32_e64 v19, 0, v36, s[2:3]
	v_cmp_gt_i32_e64 s[2:3], s34, v35
	s_nop 1
	v_cndmask_b32_e64 v7, 0, v7, s[2:3]
	v_perm_b32 v7, v19, v7, s24
	v_lshrrev_b32_e32 v19, 16, v6
	v_cmp_gt_i32_e64 s[2:3], s29, v18
	s_nop 1
	v_cndmask_b32_e64 v18, 0, v19, s[2:3]
	v_cmp_gt_i32_e64 s[2:3], s33, v27
	s_nop 1
	v_cndmask_b32_e64 v6, 0, v6, s[2:3]
	v_perm_b32 v6, v18, v6, s24
.LBB77_56:                              ;   in Loop: Header=BB77_49 Depth=1
	s_or_b64 exec, exec, s[16:17]
	s_waitcnt vmcnt(0)
	;;#ASMSTART
	v_pk_mul_f16 v6, v31, v6;

	;;#ASMEND
	;;#ASMSTART
	v_pk_mul_f16 v7, v30, v7;

	;;#ASMEND
	;; [unrolled: 4-line block ×4, first 2 shown]
	v_add_f32_e32 v15, v15, v32
	;;#ASMSTART
	v_pk_add_f16 v6, v6, v7;

	;;#ASMEND
	v_add_f32_e32 v2, v2, v15
	;;#ASMSTART
	v_pk_add_f16 v6, v6, v8;

	;;#ASMEND
	v_add_f32_e32 v15, v33, v34
	;;#ASMSTART
	v_pk_add_f16 v6, v6, v9;

	;;#ASMEND
	v_add_f32_e32 v3, v3, v15
	v_lshrrev_b32_e32 v7, 16, v6
	v_and_b32_e32 v6, 0xffff, v6
	;;#ASMSTART
	v_cvt_f32_f16 v6, v6;
	;;#ASMEND
	;;#ASMSTART
	v_cvt_f32_f16 v7, v7;
	;;#ASMEND
	s_nop 0
	v_add_f32_e32 v6, v6, v7
	v_add_f32_e32 v4, v4, v6
	s_and_saveexec_b64 s[2:3], vcc
	s_cbranch_execz .LBB77_47
; %bb.57:                               ;   in Loop: Header=BB77_49 Depth=1
	v_mov_b32_e32 v15, v11
	v_lshl_add_u64 v[6:7], v[16:17], 0, v[14:15]
	global_load_dwordx4 v[6:9], v[6:7], off
	s_and_saveexec_b64 s[16:17], s[0:1]
	s_cbranch_execz .LBB77_46
; %bb.58:                               ;   in Loop: Header=BB77_49 Depth=1
	v_or_b32_e32 v32, 7, v27
	v_or_b32_e32 v33, 6, v27
	s_waitcnt vmcnt(0)
	v_lshrrev_b32_e32 v34, 16, v9
	v_cmp_gt_i32_e64 s[0:1], s39, v32
	v_or_b32_e32 v18, 5, v27
	v_or_b32_e32 v19, 4, v27
	v_cndmask_b32_e64 v32, 0, v34, s[0:1]
	v_cmp_gt_i32_e64 s[0:1], s38, v33
	v_or_b32_e32 v16, 3, v27
	v_or_b32_e32 v17, 2, v27
	v_cndmask_b32_e64 v9, 0, v9, s[0:1]
	v_perm_b32 v9, v32, v9, s24
	v_lshrrev_b32_e32 v32, 16, v8
	v_cmp_gt_i32_e64 s[0:1], s37, v18
	v_add_u32_e32 v15, 1, v27
	s_nop 0
	v_cndmask_b32_e64 v18, 0, v32, s[0:1]
	v_cmp_gt_i32_e64 s[0:1], s36, v19
	s_nop 1
	v_cndmask_b32_e64 v8, 0, v8, s[0:1]
	v_perm_b32 v8, v18, v8, s24
	v_lshrrev_b32_e32 v18, 16, v7
	v_cmp_gt_i32_e64 s[0:1], s35, v16
	s_nop 1
	v_cndmask_b32_e64 v16, 0, v18, s[0:1]
	v_cmp_gt_i32_e64 s[0:1], s34, v17
	s_nop 1
	v_cndmask_b32_e64 v7, 0, v7, s[0:1]
	v_perm_b32 v7, v16, v7, s24
	v_lshrrev_b32_e32 v16, 16, v6
	v_cmp_gt_i32_e64 s[0:1], s29, v15
	s_nop 1
	v_cndmask_b32_e64 v15, 0, v16, s[0:1]
	v_cmp_gt_i32_e64 s[0:1], s33, v27
	s_nop 1
	v_cndmask_b32_e64 v6, 0, v6, s[0:1]
	v_perm_b32 v6, v15, v6, s24
	s_branch .LBB77_46
.LBB77_59:
	s_or_b64 exec, exec, s[12:13]
.LBB77_60:
	s_or_b64 exec, exec, s[8:9]
	ds_bpermute_b32 v6, v21, v2
	ds_bpermute_b32 v7, v21, v3
	;; [unrolled: 1-line block ×4, first 2 shown]
	v_and_b32_e32 v1, 0x3c0, v0
	v_cmp_eq_u32_e32 vcc, 64, v1
	s_waitcnt lgkmcnt(2)
	v_pk_add_f32 v[6:7], v[2:3], v[6:7]
	s_waitcnt lgkmcnt(0)
	v_pk_add_f32 v[2:3], v[4:5], v[8:9]
	s_barrier
	s_and_saveexec_b64 s[2:3], vcc
	s_cbranch_execz .LBB77_65
; %bb.61:
	v_cmp_eq_u32_e32 vcc, 0, v22
	s_and_saveexec_b64 s[0:1], vcc
	s_cbranch_execz .LBB77_63
; %bb.62:
	v_mov_b32_e32 v1, 0x100
	v_lshl_add_u32 v1, v23, 2, v1
	ds_write2_b32 v1, v6, v7 offset1:32
	ds_write_b32 v1, v2 offset:256
.LBB77_63:
	s_or_b64 exec, exec, s[0:1]
	v_or_b32_e32 v1, 0x60, v23
	s_movk_i32 s0, 0x78
	v_cmp_gt_u32_e64 s[0:1], s0, v1
	s_and_b64 s[0:1], vcc, s[0:1]
	s_and_b64 exec, exec, s[0:1]
	s_cbranch_execz .LBB77_65
; %bb.64:
	v_mov_b32_e32 v1, 0x100
	v_lshl_add_u32 v1, v23, 2, v1
	ds_write_b32 v1, v3 offset:384
.LBB77_65:
	s_or_b64 exec, exec, s[2:3]
	v_cmp_gt_u32_e32 vcc, 64, v0
	v_lshrrev_b32_e32 v0, 1, v0
	s_waitcnt lgkmcnt(0)
	s_barrier
	s_and_saveexec_b64 s[6:7], vcc
	s_cbranch_execz .LBB77_73
; %bb.66:
	v_cmp_eq_u32_e64 s[0:1], 0, v22
	s_and_saveexec_b64 s[2:3], s[0:1]
	s_cbranch_execnz .LBB77_79
; %bb.67:
	s_or_b64 exec, exec, s[2:3]
	s_and_saveexec_b64 s[2:3], s[0:1]
	s_cbranch_execnz .LBB77_80
.LBB77_68:
	s_or_b64 exec, exec, s[2:3]
	s_and_saveexec_b64 s[2:3], s[0:1]
	s_cbranch_execz .LBB77_70
.LBB77_69:
	v_mov_b32_e32 v1, 0x100
	v_lshl_add_u32 v1, v0, 2, v1
	ds_read_b32 v1, v1 offset:256
	s_waitcnt lgkmcnt(0)
	v_add_f32_e32 v2, v2, v1
.LBB77_70:
	s_or_b64 exec, exec, s[2:3]
	v_or_b32_e32 v1, 0x60, v0
	s_movk_i32 s2, 0x78
	v_cmp_gt_u32_e64 s[2:3], s2, v1
	s_and_b64 s[2:3], s[0:1], s[2:3]
	s_and_saveexec_b64 s[0:1], s[2:3]
	s_cbranch_execz .LBB77_72
; %bb.71:
	v_mov_b32_e32 v1, 0x100
	v_lshl_add_u32 v1, v0, 2, v1
	ds_read_b32 v1, v1 offset:384
	s_waitcnt lgkmcnt(0)
	v_add_f32_e32 v3, v3, v1
.LBB77_72:
	s_or_b64 exec, exec, s[0:1]
.LBB77_73:
	s_or_b64 exec, exec, s[6:7]
	s_barrier
	s_and_saveexec_b64 s[0:1], vcc
	s_cbranch_execz .LBB77_78
; %bb.74:
	s_mul_i32 s0, s10, s11
	s_mul_i32 s0, s0, s5
	s_mulk_i32 s0, 0x78
	s_ashr_i32 s1, s0, 31
	s_lshl_b64 s[0:1], s[0:1], 1
	s_add_u32 s2, s22, s0
	s_mul_i32 s0, s11, s20
	s_addc_u32 s3, s23, s1
	s_ashr_i32 s1, s0, 31
	s_lshl_b64 s[0:1], s[0:1], 1
	s_add_u32 s2, s2, s0
	s_mul_i32 s0, s4, 0x78
	s_addc_u32 s3, s3, s1
	s_ashr_i32 s1, s0, 31
	s_lshl_b64 s[0:1], s[0:1], 1
	s_add_u32 s2, s2, s0
	s_movk_i32 s5, 0x78
	s_addc_u32 s3, s3, s1
	v_cmp_eq_u32_e32 vcc, 0, v22
	v_lshlrev_b32_e32 v1, 1, v0
	s_and_saveexec_b64 s[0:1], vcc
	s_cbranch_execz .LBB77_76
; %bb.75:
	;;#ASMSTART
	v_cvt_f16_f32 v4, v6;

	;;#ASMEND
	global_store_short v1, v4, s[2:3]
	;;#ASMSTART
	v_cvt_f16_f32 v4, v7;

	;;#ASMEND
	global_store_short v1, v4, s[2:3] offset:64
	;;#ASMSTART
	v_cvt_f16_f32 v2, v2;

	;;#ASMEND
	global_store_short v1, v2, s[2:3] offset:128
.LBB77_76:
	s_or_b64 exec, exec, s[0:1]
	v_or_b32_e32 v0, 0x60, v0
	v_cmp_gt_u32_e64 s[0:1], s5, v0
	s_and_b64 s[0:1], vcc, s[0:1]
	s_and_b64 exec, exec, s[0:1]
	s_cbranch_execz .LBB77_78
; %bb.77:
	;;#ASMSTART
	v_cvt_f16_f32 v0, v3;

	;;#ASMEND
	global_store_short v1, v0, s[2:3] offset:192
.LBB77_78:
	s_endpgm
.LBB77_79:
	v_mov_b32_e32 v1, 0x100
	v_lshl_add_u32 v1, v0, 2, v1
	ds_read_b32 v1, v1
	s_waitcnt lgkmcnt(0)
	v_add_f32_e32 v6, v6, v1
	s_or_b64 exec, exec, s[2:3]
	s_and_saveexec_b64 s[2:3], s[0:1]
	s_cbranch_execz .LBB77_68
.LBB77_80:
	v_mov_b32_e32 v1, 0x100
	v_lshl_add_u32 v1, v0, 2, v1
	ds_read_b32 v1, v1 offset:128
	s_waitcnt lgkmcnt(0)
	v_add_f32_e32 v7, v7, v1
	s_or_b64 exec, exec, s[2:3]
	s_and_saveexec_b64 s[2:3], s[0:1]
	s_cbranch_execnz .LBB77_69
	s_branch .LBB77_70
	.section	.rodata,"a",@progbits
	.p2align	6, 0x0
	.amdhsa_kernel _ZN4vllm25paged_attention_v1_kernelIttLi120ELi16ELi128ELNS_18Fp8KVCacheDataTypeE0ELb1EEEvPT_PKS2_PKT0_S8_ifPKiSA_iPKfiiiSC_SC_iiiii
		.amdhsa_group_segment_fixed_size 256
		.amdhsa_private_segment_fixed_size 0
		.amdhsa_kernarg_size 384
		.amdhsa_user_sgpr_count 2
		.amdhsa_user_sgpr_dispatch_ptr 0
		.amdhsa_user_sgpr_queue_ptr 0
		.amdhsa_user_sgpr_kernarg_segment_ptr 1
		.amdhsa_user_sgpr_dispatch_id 0
		.amdhsa_user_sgpr_kernarg_preload_length 0
		.amdhsa_user_sgpr_kernarg_preload_offset 0
		.amdhsa_user_sgpr_private_segment_size 0
		.amdhsa_uses_dynamic_stack 0
		.amdhsa_enable_private_segment 0
		.amdhsa_system_sgpr_workgroup_id_x 1
		.amdhsa_system_sgpr_workgroup_id_y 1
		.amdhsa_system_sgpr_workgroup_id_z 1
		.amdhsa_system_sgpr_workgroup_info 0
		.amdhsa_system_vgpr_workitem_id 0
		.amdhsa_next_free_vgpr 70
		.amdhsa_next_free_sgpr 44
		.amdhsa_accum_offset 72
		.amdhsa_reserve_vcc 1
		.amdhsa_float_round_mode_32 0
		.amdhsa_float_round_mode_16_64 0
		.amdhsa_float_denorm_mode_32 3
		.amdhsa_float_denorm_mode_16_64 3
		.amdhsa_dx10_clamp 1
		.amdhsa_ieee_mode 1
		.amdhsa_fp16_overflow 0
		.amdhsa_tg_split 0
		.amdhsa_exception_fp_ieee_invalid_op 0
		.amdhsa_exception_fp_denorm_src 0
		.amdhsa_exception_fp_ieee_div_zero 0
		.amdhsa_exception_fp_ieee_overflow 0
		.amdhsa_exception_fp_ieee_underflow 0
		.amdhsa_exception_fp_ieee_inexact 0
		.amdhsa_exception_int_div_zero 0
	.end_amdhsa_kernel
	.section	.text._ZN4vllm25paged_attention_v1_kernelIttLi120ELi16ELi128ELNS_18Fp8KVCacheDataTypeE0ELb1EEEvPT_PKS2_PKT0_S8_ifPKiSA_iPKfiiiSC_SC_iiiii,"axG",@progbits,_ZN4vllm25paged_attention_v1_kernelIttLi120ELi16ELi128ELNS_18Fp8KVCacheDataTypeE0ELb1EEEvPT_PKS2_PKT0_S8_ifPKiSA_iPKfiiiSC_SC_iiiii,comdat
.Lfunc_end77:
	.size	_ZN4vllm25paged_attention_v1_kernelIttLi120ELi16ELi128ELNS_18Fp8KVCacheDataTypeE0ELb1EEEvPT_PKS2_PKT0_S8_ifPKiSA_iPKfiiiSC_SC_iiiii, .Lfunc_end77-_ZN4vllm25paged_attention_v1_kernelIttLi120ELi16ELi128ELNS_18Fp8KVCacheDataTypeE0ELb1EEEvPT_PKS2_PKT0_S8_ifPKiSA_iPKfiiiSC_SC_iiiii
                                        ; -- End function
	.section	.AMDGPU.csdata,"",@progbits
; Kernel info:
; codeLenInByte = 7048
; NumSgprs: 50
; NumVgprs: 70
; NumAgprs: 0
; TotalNumVgprs: 70
; ScratchSize: 0
; MemoryBound: 0
; FloatMode: 240
; IeeeMode: 1
; LDSByteSize: 256 bytes/workgroup (compile time only)
; SGPRBlocks: 6
; VGPRBlocks: 8
; NumSGPRsForWavesPerEU: 50
; NumVGPRsForWavesPerEU: 70
; AccumOffset: 72
; Occupancy: 7
; WaveLimiterHint : 1
; COMPUTE_PGM_RSRC2:SCRATCH_EN: 0
; COMPUTE_PGM_RSRC2:USER_SGPR: 2
; COMPUTE_PGM_RSRC2:TRAP_HANDLER: 0
; COMPUTE_PGM_RSRC2:TGID_X_EN: 1
; COMPUTE_PGM_RSRC2:TGID_Y_EN: 1
; COMPUTE_PGM_RSRC2:TGID_Z_EN: 1
; COMPUTE_PGM_RSRC2:TIDIG_COMP_CNT: 0
; COMPUTE_PGM_RSRC3_GFX90A:ACCUM_OFFSET: 17
; COMPUTE_PGM_RSRC3_GFX90A:TG_SPLIT: 0
	.section	.text._ZN4vllm25paged_attention_v1_kernelIttLi128ELi16ELi128ELNS_18Fp8KVCacheDataTypeE0ELb1EEEvPT_PKS2_PKT0_S8_ifPKiSA_iPKfiiiSC_SC_iiiii,"axG",@progbits,_ZN4vllm25paged_attention_v1_kernelIttLi128ELi16ELi128ELNS_18Fp8KVCacheDataTypeE0ELb1EEEvPT_PKS2_PKT0_S8_ifPKiSA_iPKfiiiSC_SC_iiiii,comdat
	.protected	_ZN4vllm25paged_attention_v1_kernelIttLi128ELi16ELi128ELNS_18Fp8KVCacheDataTypeE0ELb1EEEvPT_PKS2_PKT0_S8_ifPKiSA_iPKfiiiSC_SC_iiiii ; -- Begin function _ZN4vllm25paged_attention_v1_kernelIttLi128ELi16ELi128ELNS_18Fp8KVCacheDataTypeE0ELb1EEEvPT_PKS2_PKT0_S8_ifPKiSA_iPKfiiiSC_SC_iiiii
	.globl	_ZN4vllm25paged_attention_v1_kernelIttLi128ELi16ELi128ELNS_18Fp8KVCacheDataTypeE0ELb1EEEvPT_PKS2_PKT0_S8_ifPKiSA_iPKfiiiSC_SC_iiiii
	.p2align	8
	.type	_ZN4vllm25paged_attention_v1_kernelIttLi128ELi16ELi128ELNS_18Fp8KVCacheDataTypeE0ELb1EEEvPT_PKS2_PKT0_S8_ifPKiSA_iPKfiiiSC_SC_iiiii,@function
_ZN4vllm25paged_attention_v1_kernelIttLi128ELi16ELi128ELNS_18Fp8KVCacheDataTypeE0ELb1EEEvPT_PKS2_PKT0_S8_ifPKiSA_iPKfiiiSC_SC_iiiii: ; @_ZN4vllm25paged_attention_v1_kernelIttLi128ELi16ELi128ELNS_18Fp8KVCacheDataTypeE0ELb1EEEvPT_PKS2_PKT0_S8_ifPKiSA_iPKfiiiSC_SC_iiiii
; %bb.0:
	s_load_dword s5, s[0:1], 0x80
	s_load_dwordx2 s[6:7], s[0:1], 0x30
	s_load_dwordx2 s[34:35], s[0:1], 0x20
	s_mov_b32 s20, s3
	s_ashr_i32 s21, s3, 31
	s_lshl_b64 s[8:9], s[20:21], 2
	s_waitcnt lgkmcnt(0)
	s_add_u32 s6, s6, s8
	s_addc_u32 s7, s7, s9
	s_abs_i32 s3, s34
	v_cvt_f32_u32_e32 v1, s3
	s_sub_i32 s10, 0, s3
	s_abs_i32 s9, s5
	s_xor_b32 s8, s5, s34
	v_rcp_iflag_f32_e32 v1, v1
	s_ashr_i32 s8, s8, 31
	s_mov_b32 s44, 0
	v_mul_f32_e32 v1, 0x4f7ffffe, v1
	v_cvt_u32_f32_e32 v1, v1
	s_nop 0
	v_readfirstlane_b32 s11, v1
	s_mul_i32 s10, s10, s11
	s_mul_hi_u32 s10, s11, s10
	s_add_i32 s11, s11, s10
	s_mul_hi_u32 s10, s9, s11
	s_mul_i32 s11, s10, s3
	s_sub_i32 s9, s9, s11
	s_add_i32 s11, s10, 1
	s_sub_i32 s12, s9, s3
	s_cmp_ge_u32 s9, s3
	s_cselect_b32 s10, s11, s10
	s_cselect_b32 s9, s12, s9
	s_add_i32 s11, s10, 1
	s_cmp_ge_u32 s9, s3
	s_cselect_b32 s3, s11, s10
	s_xor_b32 s3, s3, s8
	s_sub_i32 s16, s3, s8
	s_abs_i32 s10, s16
	v_cvt_f32_u32_e32 v1, s10
	s_load_dwordx2 s[8:9], s[0:1], 0x40
	s_sub_i32 s3, 0, s10
	s_abs_i32 s11, s2
	v_rcp_iflag_f32_e32 v1, v1
	s_nop 0
	v_mul_f32_e32 v1, 0x4f7ffffe, v1
	v_cvt_u32_f32_e32 v1, v1
	s_nop 0
	v_readfirstlane_b32 s12, v1
	s_mul_i32 s3, s3, s12
	s_mul_hi_u32 s3, s12, s3
	s_add_i32 s12, s12, s3
	s_waitcnt lgkmcnt(0)
	s_cmp_eq_u64 s[8:9], 0
	s_mul_hi_u32 s24, s11, s12
	s_cbranch_scc1 .LBB78_2
; %bb.1:
	s_ashr_i32 s3, s2, 31
	s_lshl_b64 s[12:13], s[2:3], 2
	s_add_u32 s8, s8, s12
	s_addc_u32 s9, s9, s13
	s_load_dword s44, s[8:9], 0x0
.LBB78_2:
	s_load_dword s21, s[6:7], 0x0
	s_load_dwordx4 s[12:15], s[0:1], 0x48
	s_ashr_i32 s25, s2, 31
	s_waitcnt lgkmcnt(0)
	s_ashr_i32 s15, s16, 31
	v_and_b32_e32 v4, 3, v0
	s_lshl_b32 s22, s2, 7
	v_cmp_gt_u32_e64 s[6:7], 64, v0
	s_and_saveexec_b64 s[8:9], s[6:7]
	s_cbranch_execz .LBB78_4
; %bb.3:
	s_load_dwordx2 s[16:17], s[0:1], 0x8
	s_mul_i32 s18, s20, s12
	s_ashr_i32 s19, s18, 31
	s_lshl_b64 s[18:19], s[18:19], 1
	v_lshlrev_b32_e32 v1, 2, v0
	s_waitcnt lgkmcnt(0)
	s_add_u32 s3, s16, s18
	s_addc_u32 s12, s17, s19
	s_ashr_i32 s23, s22, 31
	s_lshl_b64 s[16:17], s[22:23], 1
	s_add_u32 s16, s3, s16
	s_addc_u32 s17, s12, s17
	global_load_dword v1, v1, s[16:17]
	v_and_b32_e32 v2, 0x3fc, v0
	v_lshl_add_u32 v2, v4, 6, v2
	s_waitcnt vmcnt(0)
	ds_write_b32 v2, v1
.LBB78_4:
	s_or_b64 exec, exec, s[8:9]
	s_mul_i32 s9, s24, s10
	s_sub_i32 s9, s11, s9
	s_xor_b32 s8, s25, s15
	s_add_i32 s11, s24, 1
	s_sub_i32 s12, s9, s10
	s_load_dwordx4 s[16:19], s[0:1], 0x68
	s_load_dword s3, s[0:1], 0x78
	s_cmp_ge_u32 s9, s10
	s_cselect_b32 s11, s11, s24
	s_cselect_b32 s9, s12, s9
	s_add_i32 s12, s11, 1
	s_cmp_ge_u32 s9, s10
	s_cselect_b32 s9, s12, s11
	s_waitcnt lgkmcnt(0)
	s_abs_i32 s23, s19
	v_cvt_f32_u32_e32 v1, s23
	s_xor_b32 s9, s9, s8
	s_sub_i32 s10, s9, s8
	s_sub_i32 s8, 0, s23
	v_rcp_iflag_f32_e32 v1, v1
	s_add_i32 s15, s21, -1
	s_abs_i32 s11, s15
	v_mul_f32_e32 v1, 0x4f7ffffe, v1
	v_cvt_u32_f32_e32 v1, v1
	s_barrier
	v_readfirstlane_b32 s33, v1
	s_mul_i32 s8, s8, s33
	s_mul_hi_u32 s8, s33, s8
	s_add_i32 s33, s33, s8
	s_cmp_lt_i32 s3, 0
	s_mul_hi_u32 s12, s11, s33
	s_cbranch_scc0 .LBB78_6
; %bb.5:
	s_mul_i32 s8, s16, s34
	s_add_i32 s8, s10, s8
	s_mul_i32 s8, s8, s3
	s_sub_i32 s42, 1, s8
	s_mov_b64 s[8:9], 0
	s_branch .LBB78_7
.LBB78_6:
	s_mov_b64 s[8:9], -1
                                        ; implicit-def: $sgpr42
.LBB78_7:
	s_load_dwordx2 s[26:27], s[0:1], 0x28
	s_ashr_i32 s15, s15, 31
	s_andn2_b64 vcc, exec, s[8:9]
	s_ashr_i32 s19, s19, 31
	s_cbranch_vccnz .LBB78_9
; %bb.8:
	s_mul_i32 s8, s5, s16
	s_add_i32 s2, s8, s2
	s_mul_i32 s2, s2, s3
	s_add_i32 s42, s2, 1
.LBB78_9:
	s_load_dword s2, s[0:1], 0x38
	s_load_dwordx2 s[24:25], s[0:1], 0x0
	s_load_dwordx2 s[30:31], s[0:1], 0x18
	s_load_dword s16, s[0:1], 0x88
	s_xor_b32 s3, s15, s19
	s_waitcnt lgkmcnt(0)
	s_mul_i32 s28, s20, s2
	s_mul_i32 s2, s12, s23
	s_sub_i32 s2, s11, s2
	s_ashr_i32 s29, s28, 31
	s_add_i32 s8, s12, 1
	s_sub_i32 s9, s2, s23
	s_cmp_ge_u32 s2, s23
	s_cselect_b32 s8, s8, s12
	s_cselect_b32 s2, s9, s2
	s_add_i32 s9, s8, 1
	s_cmp_ge_u32 s2, s23
	s_cselect_b32 s2, s9, s8
	s_xor_b32 s2, s2, s3
	s_sub_i32 s12, s2, s3
	s_add_i32 s2, s21, 15
	s_ashr_i32 s3, s2, 31
	s_lshr_b32 s3, s3, 28
	s_add_i32 s2, s2, s3
	s_ashr_i32 s43, s2, 4
	v_lshrrev_b32_e32 v1, 6, v0
	v_cmp_gt_i32_e64 s[2:3], s43, v1
	v_mov_b32_e32 v12, 0xff7fffff
	s_mul_i32 s14, s10, s14
	v_lshrrev_b32_e32 v8, 4, v0
	v_lshlrev_b32_e32 v16, 4, v1
	v_mbcnt_lo_u32_b32 v9, -1, 0
	s_and_saveexec_b64 s[36:37], s[2:3]
	s_cbranch_execz .LBB78_19
; %bb.10:
	s_load_dwordx2 s[0:1], s[0:1], 0x10
	s_ashr_i32 s15, s14, 31
	s_sub_i32 s34, s12, s17
	s_lshl_b64 s[8:9], s[14:15], 1
	v_bfe_u32 v10, v0, 2, 4
	s_waitcnt lgkmcnt(0)
	s_add_u32 s0, s0, s8
	s_addc_u32 s1, s1, s9
	s_abs_i32 s15, s18
	v_cvt_f32_u32_e32 v5, s15
	v_lshlrev_b32_e32 v6, 4, v10
	v_mov_b32_e32 v7, 0
	s_sub_i32 s8, 0, s15
	v_rcp_iflag_f32_e32 v5, v5
	v_cmp_eq_u32_e32 vcc, 0, v4
	v_lshl_add_u64 v[2:3], s[0:1], 0, v[6:7]
	v_lshlrev_b32_e32 v6, 2, v0
	v_mul_f32_e32 v5, 0x4f7ffffe, v5
	v_cvt_u32_f32_e32 v5, v5
	v_lshlrev_b32_e32 v11, 6, v4
	v_and_b32_e32 v6, 12, v6
	v_lshl_add_u64 v[2:3], v[2:3], 0, v[6:7]
	v_mul_lo_u32 v4, s8, v5
	s_lshl_b64 s[8:9], s[28:29], 2
	s_add_u32 s8, s26, s8
	v_mul_hi_u32 v4, v5, v4
	v_and_b32_e32 v6, 60, v8
	s_addc_u32 s9, s27, s9
	v_add_u32_e32 v13, v5, v4
	v_lshl_add_u64 v[4:5], s[8:9], 0, v[6:7]
	v_lshlrev_b32_e32 v6, 2, v10
	v_lshl_or_b32 v6, v1, 6, v6
	v_add_u32_e32 v15, 0x110, v6
	v_subrev_u32_e32 v6, s21, v10
	v_mbcnt_hi_u32_b32 v18, -1, v9
	v_add_u32_e32 v17, 1, v6
	v_and_b32_e32 v6, 64, v18
	s_mov_b32 s45, s13
	v_cmp_neq_f32_e64 s[0:1], s44, 0
	v_lshlrev_b32_e32 v14, 4, v1
	s_mov_b64 s[38:39], 0
	v_add_u32_e32 v19, 64, v6
	v_xor_b32_e32 v20, 2, v18
	v_xor_b32_e32 v21, 1, v18
	v_mov_b32_e32 v12, 0xff7fffff
	v_mov_b32_e32 v22, v1
	s_branch .LBB78_13
.LBB78_11:                              ;   in Loop: Header=BB78_13 Depth=1
	s_or_b64 exec, exec, s[40:41]
.LBB78_12:                              ;   in Loop: Header=BB78_13 Depth=1
	s_or_b64 exec, exec, s[10:11]
	v_add_u32_e32 v22, 2, v22
	v_cmp_le_i32_e64 s[8:9], s43, v22
	v_lshl_add_u64 v[4:5], v[4:5], 0, 8
	v_add_u32_e32 v14, 32, v14
	s_or_b64 s[38:39], s[8:9], s[38:39]
	v_add_u32_e32 v15, 0x80, v15
	s_andn2_b64 exec, exec, s[38:39]
	s_cbranch_execz .LBB78_18
.LBB78_13:                              ; =>This Inner Loop Header: Depth=1
	v_mul_hi_u32 v6, v14, s33
	s_waitcnt lgkmcnt(0)
	v_mul_lo_u32 v7, v6, s23
	v_sub_u32_e32 v7, v14, v7
	v_add_u32_e32 v23, 1, v6
	v_cmp_le_u32_e64 s[8:9], s23, v7
	s_nop 1
	v_cndmask_b32_e64 v6, v6, v23, s[8:9]
	v_subrev_u32_e32 v23, s23, v7
	v_cndmask_b32_e64 v7, v7, v23, s[8:9]
	v_add_u32_e32 v23, 1, v6
	v_cmp_le_u32_e64 s[8:9], s23, v7
	s_nop 1
	v_cndmask_b32_e64 v6, v6, v23, s[8:9]
	v_xor_b32_e32 v6, s19, v6
	v_subrev_u32_e32 v6, s19, v6
	v_add_u32_e32 v7, s42, v6
	v_sub_u32_e32 v24, 0, v7
	v_ashrrev_i32_e32 v23, 31, v7
	v_max_i32_e32 v7, v7, v24
	v_mul_hi_u32 v24, v7, v13
	v_mul_lo_u32 v24, v24, s15
	v_sub_u32_e32 v7, v7, v24
	v_subrev_u32_e32 v24, s15, v7
	v_cmp_le_u32_e64 s[8:9], s15, v7
	v_cmp_ge_i32_e64 s[10:11], s34, v6
	s_nop 0
	v_cndmask_b32_e64 v7, v7, v24, s[8:9]
	v_subrev_u32_e32 v24, s15, v7
	v_cmp_le_u32_e64 s[8:9], s15, v7
	s_nop 1
	v_cndmask_b32_e64 v7, v7, v24, s[8:9]
	v_xor_b32_e32 v7, v7, v23
	v_sub_u32_e32 v7, v7, v23
	v_cmp_ne_u32_e64 s[8:9], 0, v7
	s_and_b64 s[8:9], s[8:9], s[10:11]
	s_and_b64 s[40:41], vcc, s[8:9]
	s_and_saveexec_b64 s[10:11], s[40:41]
	s_cbranch_execz .LBB78_15
; %bb.14:                               ;   in Loop: Header=BB78_13 Depth=1
	v_mov_b32_e32 v6, 0xff7fffff
	ds_write_b32 v15, v6
.LBB78_15:                              ;   in Loop: Header=BB78_13 Depth=1
	s_or_b64 exec, exec, s[10:11]
	s_xor_b64 s[8:9], s[8:9], -1
	s_and_saveexec_b64 s[10:11], s[8:9]
	s_cbranch_execz .LBB78_12
; %bb.16:                               ;   in Loop: Header=BB78_13 Depth=1
	global_load_dword v6, v[4:5], off
	s_waitcnt vmcnt(0)
	v_mad_i64_i32 v[6:7], s[8:9], v6, s45, 0
	v_lshl_add_u64 v[6:7], v[6:7], 1, v[2:3]
	global_load_dword v31, v[6:7], off
	global_load_dword v32, v[6:7], off offset:256
	global_load_dword v33, v[6:7], off offset:512
	;; [unrolled: 1-line block ×12, first 2 shown]
	ds_read_b32 v37, v11
	global_load_dword v23, v[6:7], off offset:3328
	global_load_dword v39, v[6:7], off offset:3584
	v_cmp_lt_i32_e64 s[8:9], v20, v19
	global_load_dword v6, v[6:7], off offset:3840
	s_waitcnt lgkmcnt(0)
	v_lshrrev_b32_e32 v40, 16, v37
	v_and_b32_e32 v37, 0xffff, v37
	;;#ASMSTART
	v_cvt_f32_f16 v7, v37;
	;;#ASMEND
	;;#ASMSTART
	v_cvt_f32_f16 v37, v40;
	;;#ASMEND
	v_cndmask_b32_e64 v38, v18, v20, s[8:9]
	v_lshlrev_b32_e32 v38, 2, v38
	v_cmp_lt_i32_e64 s[8:9], v21, v19
	s_waitcnt vmcnt(15)
	v_lshrrev_b32_e32 v40, 16, v31
	v_and_b32_e32 v31, 0xffff, v31
	;;#ASMSTART
	v_cvt_f32_f16 v31, v31;
	;;#ASMEND
	;;#ASMSTART
	v_cvt_f32_f16 v40, v40;
	;;#ASMEND
	ds_read_b32 v41, v11 offset:4
	s_waitcnt vmcnt(14)
	v_lshrrev_b32_e32 v42, 16, v32
	v_and_b32_e32 v32, 0xffff, v32
	s_waitcnt vmcnt(13)
	v_lshrrev_b32_e32 v43, 16, v33
	v_and_b32_e32 v33, 0xffff, v33
	s_waitcnt lgkmcnt(0)
	v_lshrrev_b32_e32 v44, 16, v41
	v_and_b32_e32 v41, 0xffff, v41
	;;#ASMSTART
	v_cvt_f32_f16 v41, v41;
	;;#ASMEND
	;;#ASMSTART
	v_cvt_f32_f16 v44, v44;
	;;#ASMEND
	;;#ASMSTART
	v_cvt_f32_f16 v32, v32;
	;;#ASMEND
	;;#ASMSTART
	v_cvt_f32_f16 v42, v42;
	;;#ASMEND
	ds_read_b32 v45, v11 offset:8
	s_waitcnt vmcnt(12)
	v_lshrrev_b32_e32 v46, 16, v34
	v_and_b32_e32 v34, 0xffff, v34
	s_waitcnt vmcnt(11)
	v_lshrrev_b32_e32 v47, 16, v35
	v_and_b32_e32 v35, 0xffff, v35
	s_waitcnt lgkmcnt(0)
	v_lshrrev_b32_e32 v48, 16, v45
	v_and_b32_e32 v45, 0xffff, v45
	;;#ASMSTART
	v_cvt_f32_f16 v45, v45;
	;;#ASMEND
	;;#ASMSTART
	v_cvt_f32_f16 v48, v48;
	;;#ASMEND
	;; [unrolled: 22-line block ×4, first 2 shown]
	;;#ASMSTART
	v_cvt_f32_f16 v35, v35;
	;;#ASMEND
	;;#ASMSTART
	v_cvt_f32_f16 v47, v47;
	;;#ASMEND
	ds_read_b32 v57, v11 offset:20
	v_mul_f32_e32 v32, v41, v32
	v_mul_f32_e32 v41, v44, v42
	s_waitcnt vmcnt(6)
	v_lshrrev_b32_e32 v58, 16, v27
	v_and_b32_e32 v27, 0xffff, v27
	s_waitcnt lgkmcnt(0)
	v_lshrrev_b32_e32 v60, 16, v57
	v_and_b32_e32 v57, 0xffff, v57
	;;#ASMSTART
	v_cvt_f32_f16 v57, v57;
	;;#ASMEND
	;;#ASMSTART
	v_cvt_f32_f16 v60, v60;
	;;#ASMEND
	;;#ASMSTART
	v_cvt_f32_f16 v36, v36;
	;;#ASMEND
	;;#ASMSTART
	v_cvt_f32_f16 v50, v50;
	;;#ASMEND
	ds_read_b32 v61, v11 offset:24
	v_fmac_f32_e32 v32, v7, v31
	v_fmac_f32_e32 v41, v37, v40
	;; [unrolled: 1-line block ×4, first 2 shown]
	s_waitcnt lgkmcnt(0)
	v_lshrrev_b32_e32 v64, 16, v61
	v_and_b32_e32 v61, 0xffff, v61
	;;#ASMSTART
	v_cvt_f32_f16 v61, v61;
	;;#ASMEND
	;;#ASMSTART
	v_cvt_f32_f16 v64, v64;
	;;#ASMEND
	;; [unrolled: 3-line block ×4, first 2 shown]
	ds_read_b32 v65, v11 offset:28
	s_waitcnt vmcnt(5)
	v_lshrrev_b32_e32 v59, 16, v26
	v_and_b32_e32 v26, 0xffff, v26
	v_fmac_f32_e32 v32, v53, v35
	v_fmac_f32_e32 v32, v57, v36
	s_waitcnt lgkmcnt(0)
	v_lshrrev_b32_e32 v68, 16, v65
	v_and_b32_e32 v65, 0xffff, v65
	;;#ASMSTART
	v_cvt_f32_f16 v65, v65;
	;;#ASMEND
	;;#ASMSTART
	v_cvt_f32_f16 v68, v68;
	;;#ASMEND
	;; [unrolled: 3-line block ×4, first 2 shown]
	ds_read_b32 v69, v11 offset:32
	s_waitcnt vmcnt(4)
	v_lshrrev_b32_e32 v62, 16, v25
	v_and_b32_e32 v25, 0xffff, v25
	v_fmac_f32_e32 v32, v61, v30
	v_fmac_f32_e32 v41, v48, v43
	s_waitcnt lgkmcnt(0)
	v_lshrrev_b32_e32 v42, 16, v69
	v_and_b32_e32 v44, 0xffff, v69
	;;#ASMSTART
	v_cvt_f32_f16 v44, v44;
	;;#ASMEND
	;;#ASMSTART
	v_cvt_f32_f16 v42, v42;
	;;#ASMEND
	;; [unrolled: 3-line block ×4, first 2 shown]
	ds_read_b32 v69, v11 offset:36
	v_fmac_f32_e32 v41, v52, v46
	v_fmac_f32_e32 v41, v56, v47
	;; [unrolled: 1-line block ×4, first 2 shown]
	s_waitcnt lgkmcnt(0)
	v_lshrrev_b32_e32 v7, 16, v69
	v_and_b32_e32 v31, 0xffff, v69
	;;#ASMSTART
	v_cvt_f32_f16 v31, v31;
	;;#ASMEND
	;;#ASMSTART
	v_cvt_f32_f16 v7, v7;
	;;#ASMEND
	;; [unrolled: 3-line block ×4, first 2 shown]
	ds_read_b32 v37, v11 offset:40
	v_fmac_f32_e32 v32, v65, v29
	s_waitcnt vmcnt(3)
	v_lshrrev_b32_e32 v63, 16, v24
	v_and_b32_e32 v24, 0xffff, v24
	v_fmac_f32_e32 v41, v68, v54
	s_waitcnt lgkmcnt(0)
	v_lshrrev_b32_e32 v34, 16, v37
	v_and_b32_e32 v35, 0xffff, v37
	;;#ASMSTART
	v_cvt_f32_f16 v35, v35;
	;;#ASMEND
	;;#ASMSTART
	v_cvt_f32_f16 v34, v34;
	;;#ASMEND
	;; [unrolled: 3-line block ×4, first 2 shown]
	ds_read_b32 v40, v11 offset:44
	v_fmac_f32_e32 v32, v44, v28
	v_fmac_f32_e32 v41, v42, v55
	;; [unrolled: 1-line block ×3, first 2 shown]
	s_waitcnt vmcnt(2)
	v_lshrrev_b32_e32 v66, 16, v23
	s_waitcnt lgkmcnt(0)
	v_lshrrev_b32_e32 v30, 16, v40
	v_and_b32_e32 v36, 0xffff, v40
	;;#ASMSTART
	v_cvt_f32_f16 v36, v36;
	;;#ASMEND
	;;#ASMSTART
	v_cvt_f32_f16 v30, v30;
	;;#ASMEND
	;; [unrolled: 3-line block ×4, first 2 shown]
	ds_read_b32 v43, v11 offset:48
	v_and_b32_e32 v23, 0xffff, v23
	v_fmac_f32_e32 v41, v7, v33
	v_fmac_f32_e32 v32, v35, v26
	;; [unrolled: 1-line block ×3, first 2 shown]
	s_waitcnt lgkmcnt(0)
	v_lshrrev_b32_e32 v28, 16, v43
	v_and_b32_e32 v29, 0xffff, v43
	;;#ASMSTART
	v_cvt_f32_f16 v29, v29;
	;;#ASMEND
	;;#ASMSTART
	v_cvt_f32_f16 v28, v28;
	;;#ASMEND
	;;#ASMSTART
	v_cvt_f32_f16 v24, v24;
	;;#ASMEND
	;;#ASMSTART
	v_cvt_f32_f16 v42, v63;
	;;#ASMEND
	ds_read_b32 v43, v11 offset:52
	v_fmac_f32_e32 v32, v36, v25
	v_fmac_f32_e32 v41, v30, v40
	;; [unrolled: 1-line block ×3, first 2 shown]
	s_waitcnt vmcnt(1)
	v_lshrrev_b32_e32 v67, 16, v39
	s_waitcnt lgkmcnt(0)
	v_lshrrev_b32_e32 v7, 16, v43
	v_and_b32_e32 v26, 0xffff, v43
	;;#ASMSTART
	v_cvt_f32_f16 v26, v26;
	;;#ASMEND
	;;#ASMSTART
	v_cvt_f32_f16 v7, v7;
	;;#ASMEND
	;; [unrolled: 3-line block ×4, first 2 shown]
	ds_read_b32 v31, v11 offset:56
	v_and_b32_e32 v39, 0xffff, v39
	v_fmac_f32_e32 v41, v28, v42
	v_fmac_f32_e32 v32, v26, v23
	;; [unrolled: 1-line block ×3, first 2 shown]
	s_waitcnt lgkmcnt(0)
	v_lshrrev_b32_e32 v24, 16, v31
	v_and_b32_e32 v25, 0xffff, v31
	;;#ASMSTART
	v_cvt_f32_f16 v25, v25;
	;;#ASMEND
	;;#ASMSTART
	v_cvt_f32_f16 v24, v24;
	;;#ASMEND
	;; [unrolled: 3-line block ×4, first 2 shown]
	ds_read_b32 v30, v11 offset:60
	s_waitcnt vmcnt(0)
	v_lshrrev_b32_e32 v70, 16, v6
	v_and_b32_e32 v6, 0xffff, v6
	v_fmac_f32_e32 v32, v25, v28
	v_fmac_f32_e32 v41, v24, v29
	s_waitcnt lgkmcnt(0)
	v_lshrrev_b32_e32 v7, 16, v30
	v_and_b32_e32 v23, 0xffff, v30
	;;#ASMSTART
	v_cvt_f32_f16 v23, v23;
	;;#ASMEND
	;;#ASMSTART
	v_cvt_f32_f16 v7, v7;
	;;#ASMEND
	;; [unrolled: 3-line block ×4, first 2 shown]
	s_nop 0
	v_fmac_f32_e32 v32, v23, v6
	v_fmac_f32_e32 v41, v7, v24
	v_add_f32_e32 v6, v32, v41
	ds_bpermute_b32 v7, v38, v6
	v_cndmask_b32_e64 v23, v18, v21, s[8:9]
	s_waitcnt lgkmcnt(0)
	v_add_f32_e32 v6, v6, v7
	v_lshlrev_b32_e32 v7, 2, v23
	ds_bpermute_b32 v7, v7, v6
	s_and_saveexec_b64 s[40:41], vcc
	s_cbranch_execz .LBB78_11
; %bb.17:                               ;   in Loop: Header=BB78_13 Depth=1
	v_add_u32_e32 v23, v17, v14
	v_cvt_f32_i32_e32 v23, v23
	s_waitcnt lgkmcnt(0)
	v_add_f32_e32 v6, v6, v7
	v_add_u32_e32 v24, v10, v14
	v_cmp_gt_i32_e64 s[8:9], s21, v24
	v_mul_f32_e32 v7, s44, v23
	v_cndmask_b32_e64 v7, 0, v7, s[0:1]
	v_fmac_f32_e32 v7, s35, v6
	v_cndmask_b32_e64 v6, 0, v7, s[8:9]
	ds_write_b32 v15, v6
	v_max_f32_e32 v6, v12, v12
	v_max_f32_e32 v6, v6, v7
	v_cndmask_b32_e64 v12, v12, v6, s[8:9]
	s_branch .LBB78_11
.LBB78_18:
	s_or_b64 exec, exec, s[38:39]
.LBB78_19:
	s_or_b64 exec, exec, s[36:37]
	v_mbcnt_hi_u32_b32 v2, -1, v9
	v_and_b32_e32 v3, 64, v2
	v_add_u32_e32 v3, 64, v3
	v_xor_b32_e32 v4, 32, v2
	v_cmp_lt_i32_e32 vcc, v4, v3
	s_waitcnt lgkmcnt(0)
	v_xor_b32_e32 v7, 16, v2
	v_max_f32_e32 v6, v12, v12
	v_cndmask_b32_e32 v4, v2, v4, vcc
	v_lshlrev_b32_e32 v4, 2, v4
	ds_bpermute_b32 v5, v4, v12
	v_cmp_lt_i32_e32 vcc, v7, v3
	v_xor_b32_e32 v9, 8, v2
	v_xor_b32_e32 v10, 4, v2
	v_and_b32_e32 v17, 63, v0
	s_waitcnt lgkmcnt(0)
	v_max_f32_e32 v5, v5, v5
	v_max_f32_e32 v6, v6, v5
	v_cndmask_b32_e32 v5, v2, v7, vcc
	v_lshlrev_b32_e32 v5, 2, v5
	ds_bpermute_b32 v7, v5, v6
	v_cmp_lt_i32_e32 vcc, v9, v3
	s_waitcnt lgkmcnt(0)
	v_max_f32_e32 v7, v7, v7
	v_max_f32_e32 v6, v6, v7
	v_cndmask_b32_e32 v7, v2, v9, vcc
	v_lshlrev_b32_e32 v9, 2, v7
	ds_bpermute_b32 v7, v9, v6
	v_cmp_lt_i32_e32 vcc, v10, v3
	s_waitcnt lgkmcnt(0)
	v_max_f32_e32 v7, v7, v7
	v_max_f32_e32 v7, v6, v7
	v_cndmask_b32_e32 v6, v2, v10, vcc
	v_lshlrev_b32_e32 v10, 2, v6
	ds_bpermute_b32 v11, v10, v7
	v_cmp_eq_u32_e32 vcc, 0, v17
	v_lshlrev_b32_e32 v6, 2, v1
	s_and_saveexec_b64 s[0:1], vcc
	s_cbranch_execz .LBB78_21
; %bb.20:
	s_waitcnt lgkmcnt(0)
	v_max_f32_e32 v11, v11, v11
	v_max_f32_e32 v7, v7, v7
	;; [unrolled: 1-line block ×3, first 2 shown]
	ds_write_b32 v6, v7 offset:256
.LBB78_21:
	s_or_b64 exec, exec, s[0:1]
	v_cmp_gt_u32_e64 s[0:1], 2, v17
	s_waitcnt lgkmcnt(0)
	v_mov_b32_e32 v11, 0xff7fffff
	v_lshlrev_b32_e32 v7, 2, v17
	s_barrier
	s_and_saveexec_b64 s[8:9], s[0:1]
	s_cbranch_execz .LBB78_23
; %bb.22:
	ds_read_b32 v11, v7 offset:256
.LBB78_23:
	s_or_b64 exec, exec, s[8:9]
	v_xor_b32_e32 v12, 1, v2
	v_cmp_lt_i32_e64 s[8:9], v12, v3
	v_lshlrev_b32_e32 v13, 2, v2
	s_nop 0
	v_cndmask_b32_e64 v12, v2, v12, s[8:9]
	v_lshlrev_b32_e32 v18, 2, v12
	s_waitcnt lgkmcnt(0)
	ds_bpermute_b32 v12, v18, v11
	v_max_f32_e32 v11, v11, v11
	s_lshl_b32 s8, s43, 4
	s_min_i32 s15, s8, s21
	v_cmp_gt_i32_e64 s[8:9], s15, v0
	s_waitcnt lgkmcnt(0)
	v_max_f32_e32 v12, v12, v12
	v_max_f32_e32 v12, v11, v12
	v_and_b32_e32 v11, 0x100, v13
	ds_bpermute_b32 v13, v11, v12
	v_mov_b32_e32 v12, 0
	s_and_saveexec_b64 s[34:35], s[8:9]
	s_cbranch_execz .LBB78_27
; %bb.24:
	v_mov_b32_e32 v12, 0x110
	v_lshl_add_u32 v14, v0, 2, v12
	s_mov_b64 s[36:37], 0
	v_mov_b32_e32 v12, 0
	v_mov_b32_e32 v15, v0
.LBB78_25:                              ; =>This Inner Loop Header: Depth=1
	ds_read_b32 v19, v14
	v_add_u32_e32 v15, 0x80, v15
	v_cmp_le_i32_e64 s[10:11], s15, v15
	s_or_b64 s[36:37], s[10:11], s[36:37]
	s_waitcnt lgkmcnt(0)
	v_sub_f32_e32 v19, v19, v13
	v_mul_f32_e32 v19, 0x3fb8aa3b, v19
	v_exp_f32_e32 v19, v19
	ds_write_b32 v14, v19
	v_add_f32_e32 v12, v12, v19
	v_add_u32_e32 v14, 0x200, v14
	s_andn2_b64 exec, exec, s[36:37]
	s_cbranch_execnz .LBB78_25
; %bb.26:
	s_or_b64 exec, exec, s[36:37]
.LBB78_27:
	s_or_b64 exec, exec, s[34:35]
	ds_bpermute_b32 v4, v4, v12
	s_waitcnt lgkmcnt(0)
	v_add_f32_e32 v4, v12, v4
	ds_bpermute_b32 v5, v5, v4
	s_waitcnt lgkmcnt(0)
	v_add_f32_e32 v4, v4, v5
	ds_bpermute_b32 v5, v9, v4
	v_xor_b32_e32 v9, 2, v2
	v_cmp_lt_i32_e64 s[10:11], v9, v3
	s_waitcnt lgkmcnt(0)
	v_add_f32_e32 v4, v4, v5
	ds_bpermute_b32 v5, v10, v4
	v_cndmask_b32_e64 v2, v2, v9, s[10:11]
	v_lshlrev_b32_e32 v2, 2, v2
	s_waitcnt lgkmcnt(0)
	v_add_f32_e32 v3, v4, v5
	ds_bpermute_b32 v2, v2, v3
	s_waitcnt lgkmcnt(0)
	v_add_f32_e32 v2, v3, v2
	ds_bpermute_b32 v3, v18, v2
	s_waitcnt lgkmcnt(0)
	v_add_f32_e32 v2, v2, v3
	s_and_saveexec_b64 s[10:11], vcc
	s_cbranch_execz .LBB78_29
; %bb.28:
	ds_write_b32 v6, v2 offset:264
.LBB78_29:
	s_or_b64 exec, exec, s[10:11]
	s_waitcnt lgkmcnt(0)
	s_barrier
	s_and_saveexec_b64 s[10:11], s[0:1]
	s_cbranch_execz .LBB78_31
; %bb.30:
	ds_read_b32 v2, v7 offset:264
.LBB78_31:
	s_or_b64 exec, exec, s[10:11]
	s_waitcnt lgkmcnt(0)
	ds_bpermute_b32 v3, v18, v2
	s_waitcnt lgkmcnt(0)
	v_add_f32_e32 v2, v2, v3
	ds_bpermute_b32 v2, v11, v2
	s_and_saveexec_b64 s[0:1], s[8:9]
	s_cbranch_execz .LBB78_44
; %bb.32:
	s_waitcnt lgkmcnt(0)
	v_add_f32_e32 v2, 0x358637bd, v2
	v_div_scale_f32 v3, s[8:9], v2, v2, 1.0
	v_rcp_f32_e32 v4, v3
	v_div_scale_f32 v5, vcc, 1.0, v2, 1.0
	s_movk_i32 s8, 0x7f
	v_fma_f32 v6, -v3, v4, 1.0
	v_fmac_f32_e32 v4, v6, v4
	v_mul_f32_e32 v6, v5, v4
	v_fma_f32 v7, -v3, v6, v5
	v_fmac_f32_e32 v6, v7, v4
	v_fma_f32 v3, -v3, v6, v5
	v_div_fmas_f32 v3, v3, v4, v6
	v_xad_u32 v4, v0, -1, s15
	v_div_fixup_f32 v2, v3, v2, 1.0
	v_cmp_lt_u32_e32 vcc, s8, v4
	s_mov_b64 s[10:11], -1
	v_mov_b32_e32 v3, v0
	s_and_saveexec_b64 s[8:9], vcc
	s_cbranch_execz .LBB78_41
; %bb.33:
	v_lshrrev_b32_e32 v4, 7, v4
	v_add_u32_e32 v6, -1, v4
	v_lshrrev_b32_e32 v5, 1, v6
	v_mov_b32_e32 v3, v2
	v_add_u32_e32 v5, 1, v5
	v_cmp_lt_u32_e32 vcc, 13, v6
	v_mov_b32_e32 v9, 0
	s_and_saveexec_b64 s[10:11], vcc
	s_cbranch_execz .LBB78_37
; %bb.34:
	v_mov_b32_e32 v7, 0x110
	v_and_b32_e32 v6, -8, v5
	v_lshl_add_u32 v7, v0, 2, v7
	s_mov_b32 s36, 0
	s_mov_b64 s[34:35], 0
.LBB78_35:                              ; =>This Inner Loop Header: Depth=1
	ds_read2st64_b32 v[10:11], v7 offset1:2
	ds_read2st64_b32 v[12:13], v7 offset0:4 offset1:6
	ds_read2st64_b32 v[14:15], v7 offset0:8 offset1:10
	;; [unrolled: 1-line block ×3, first 2 shown]
	v_add_u32_e32 v6, -8, v6
	s_waitcnt lgkmcnt(3)
	v_pk_mul_f32 v[10:11], v[2:3], v[10:11]
	s_waitcnt lgkmcnt(2)
	v_pk_mul_f32 v[12:13], v[2:3], v[12:13]
	ds_write2st64_b32 v7, v10, v11 offset1:2
	ds_write2st64_b32 v7, v12, v13 offset0:4 offset1:6
	ds_read2st64_b32 v[12:13], v7 offset0:16 offset1:18
	s_waitcnt lgkmcnt(4)
	v_pk_mul_f32 v[10:11], v[2:3], v[14:15]
	ds_write2st64_b32 v7, v10, v11 offset0:8 offset1:10
	s_waitcnt lgkmcnt(4)
	v_pk_mul_f32 v[10:11], v[2:3], v[20:21]
	ds_write2st64_b32 v7, v10, v11 offset0:12 offset1:14
	ds_read2st64_b32 v[10:11], v7 offset0:20 offset1:22
	s_waitcnt lgkmcnt(3)
	v_pk_mul_f32 v[12:13], v[2:3], v[12:13]
	ds_read2st64_b32 v[14:15], v7 offset0:24 offset1:26
	ds_write2st64_b32 v7, v12, v13 offset0:16 offset1:18
	ds_read2st64_b32 v[12:13], v7 offset0:28 offset1:30
	s_waitcnt lgkmcnt(3)
	v_pk_mul_f32 v[10:11], v[2:3], v[10:11]
	ds_write2st64_b32 v7, v10, v11 offset0:20 offset1:22
	s_waitcnt lgkmcnt(3)
	v_pk_mul_f32 v[10:11], v[2:3], v[14:15]
	ds_write2st64_b32 v7, v10, v11 offset0:24 offset1:26
	s_waitcnt lgkmcnt(2)
	v_pk_mul_f32 v[10:11], v[2:3], v[12:13]
	s_add_i32 s36, s36, 16
	v_cmp_eq_u32_e32 vcc, 0, v6
	ds_write2st64_b32 v7, v10, v11 offset0:28 offset1:30
	v_add_u32_e32 v7, 0x2000, v7
	s_or_b64 s[34:35], vcc, s[34:35]
	v_mov_b32_e32 v9, s36
	s_andn2_b64 exec, exec, s[34:35]
	s_cbranch_execnz .LBB78_35
; %bb.36:
	s_or_b64 exec, exec, s[34:35]
.LBB78_37:
	s_or_b64 exec, exec, s[10:11]
	v_and_b32_e32 v5, 7, v5
	v_cmp_ne_u32_e32 vcc, 0, v5
	s_and_saveexec_b64 s[10:11], vcc
	s_cbranch_execz .LBB78_40
; %bb.38:
	v_lshlrev_b32_e32 v6, 9, v9
	v_lshlrev_b32_e32 v7, 2, v0
	s_movk_i32 s34, 0x110
	v_add3_u32 v6, v6, v7, s34
	s_mov_b64 s[34:35], 0
.LBB78_39:                              ; =>This Inner Loop Header: Depth=1
	ds_read2st64_b32 v[10:11], v6 offset1:2
	v_add_u32_e32 v5, -1, v5
	v_cmp_eq_u32_e32 vcc, 0, v5
	s_or_b64 s[34:35], vcc, s[34:35]
	s_waitcnt lgkmcnt(0)
	v_pk_mul_f32 v[10:11], v[2:3], v[10:11]
	ds_write2st64_b32 v6, v10, v11 offset1:2
	v_add_u32_e32 v6, 0x400, v6
	s_andn2_b64 exec, exec, s[34:35]
	s_cbranch_execnz .LBB78_39
.LBB78_40:
	s_or_b64 exec, exec, s[10:11]
	v_add_u32_e32 v4, 1, v4
	v_and_b32_e32 v5, 0x3fffffe, v4
	v_cmp_ne_u32_e32 vcc, v4, v5
	v_lshl_add_u32 v3, v5, 7, v0
	s_orn2_b64 s[10:11], vcc, exec
.LBB78_41:
	s_or_b64 exec, exec, s[8:9]
	s_and_b64 exec, exec, s[10:11]
	s_cbranch_execz .LBB78_44
; %bb.42:
	v_mov_b32_e32 v4, 0x110
	v_lshl_add_u32 v4, v3, 2, v4
	s_mov_b64 s[8:9], 0
.LBB78_43:                              ; =>This Inner Loop Header: Depth=1
	ds_read_b32 v5, v4
	v_add_u32_e32 v3, 0x80, v3
	v_cmp_le_i32_e32 vcc, s15, v3
	s_or_b64 s[8:9], vcc, s[8:9]
	s_waitcnt lgkmcnt(0)
	v_mul_f32_e32 v5, v2, v5
	ds_write_b32 v4, v5
	v_add_u32_e32 v4, 0x200, v4
	s_andn2_b64 exec, exec, s[8:9]
	s_cbranch_execnz .LBB78_43
.LBB78_44:
	s_or_b64 exec, exec, s[0:1]
	v_mov_b32_e32 v5, 0
	v_and_b32_e32 v19, 1, v0
	v_mov_b32_e32 v4, 0
	v_mov_b32_e32 v3, 0
	s_waitcnt lgkmcnt(0)
	v_mov_b32_e32 v2, 0
	s_barrier
	s_and_saveexec_b64 s[8:9], s[2:3]
	s_cbranch_execz .LBB78_58
; %bb.45:
	s_ashr_i32 s15, s14, 31
	s_sub_i32 s17, s12, s17
	s_lshl_b64 s[0:1], s[14:15], 1
	s_add_u32 s0, s30, s0
	v_lshlrev_b32_e32 v2, 3, v0
	s_addc_u32 s1, s31, s1
	s_abs_i32 s14, s18
	v_and_b32_e32 v20, 8, v2
	v_cvt_f32_u32_e32 v2, s14
	s_sub_i32 s2, 0, s14
	s_add_i32 s15, s43, -1
	s_mov_b32 s44, 0
	v_rcp_iflag_f32_e32 v2, v2
	s_mov_b32 s45, s44
	s_mov_b32 s46, s44
	;; [unrolled: 1-line block ×3, first 2 shown]
	v_mul_f32_e32 v2, 0x4f7ffffe, v2
	v_cvt_u32_f32_e32 v2, v2
	s_mov_b32 s34, s13
	s_mov_b32 s18, s21
	;; [unrolled: 1-line block ×3, first 2 shown]
	v_mul_lo_u32 v3, s2, v2
	v_mul_hi_u32 v3, v2, v3
	v_add_u32_e32 v21, v2, v3
	v_lshlrev_b32_e32 v2, 4, v0
	v_mov_b32_e32 v3, 0
	v_and_b32_e32 v2, 0x3f0, v2
	v_lshl_add_u64 v[10:11], s[0:1], 0, v[2:3]
	s_lshl_b64 s[0:1], s[28:29], 2
	s_add_u32 s0, s26, s0
	v_and_b32_e32 v2, 60, v8
	s_addc_u32 s1, s27, s1
	v_lshl_add_u64 v[12:13], s[0:1], 0, v[2:3]
	v_lshlrev_b32_e32 v2, 5, v19
	v_lshl_or_b32 v2, v1, 6, v2
	v_add_u32_e32 v22, 0x110, v2
	v_mov_b64_e32 v[2:3], s[44:45]
	s_mov_b32 s31, s21
	s_mov_b32 s35, s21
	;; [unrolled: 1-line block ×5, first 2 shown]
	s_mov_b64 s[2:3], 0
	v_mov_b64_e32 v[4:5], s[46:47]
	s_mov_b32 s26, 0x5040100
	s_branch .LBB78_48
.LBB78_46:                              ;   in Loop: Header=BB78_48 Depth=1
	s_or_b64 exec, exec, s[0:1]
	s_waitcnt vmcnt(0)
	;;#ASMSTART
	v_pk_mul_f16 v6, v34, v6;

	;;#ASMEND
	;;#ASMSTART
	v_pk_mul_f16 v7, v33, v7;

	;;#ASMEND
	;; [unrolled: 4-line block ×4, first 2 shown]
	v_add_f32_e32 v14, v35, v36
	;;#ASMSTART
	v_pk_add_f16 v6, v6, v7;

	;;#ASMEND
	v_add_f32_e32 v2, v2, v14
	;;#ASMSTART
	v_pk_add_f16 v6, v6, v8;

	;;#ASMEND
	;; [unrolled: 5-line block ×3, first 2 shown]
	v_add_f32_e32 v3, v3, v14
	v_lshrrev_b32_e32 v7, 16, v6
	v_and_b32_e32 v6, 0xffff, v6
	;;#ASMSTART
	v_cvt_f32_f16 v6, v6;
	;;#ASMEND
	v_add_f32_e32 v14, v39, v40
	;;#ASMSTART
	v_cvt_f32_f16 v7, v7;
	;;#ASMEND
	v_add_f32_e32 v4, v4, v14
	v_add_f32_e32 v6, v6, v7
	;; [unrolled: 1-line block ×3, first 2 shown]
.LBB78_47:                              ;   in Loop: Header=BB78_48 Depth=1
	s_or_b64 exec, exec, s[10:11]
	v_add_u32_e32 v1, 2, v1
	v_cmp_le_i32_e32 vcc, s43, v1
	v_lshl_add_u64 v[12:13], v[12:13], 0, 8
	v_add_u32_e32 v16, 32, v16
	s_or_b64 s[2:3], vcc, s[2:3]
	v_add_u32_e32 v22, 0x80, v22
	s_andn2_b64 exec, exec, s[2:3]
	s_cbranch_execz .LBB78_57
.LBB78_48:                              ; =>This Inner Loop Header: Depth=1
	v_mul_hi_u32 v6, v16, s33
	v_mul_lo_u32 v7, v6, s23
	v_sub_u32_e32 v7, v16, v7
	v_add_u32_e32 v8, 1, v6
	v_cmp_le_u32_e32 vcc, s23, v7
	s_nop 1
	v_cndmask_b32_e32 v6, v6, v8, vcc
	v_subrev_u32_e32 v8, s23, v7
	v_cndmask_b32_e32 v7, v7, v8, vcc
	v_add_u32_e32 v8, 1, v6
	v_cmp_le_u32_e32 vcc, s23, v7
	s_nop 1
	v_cndmask_b32_e32 v6, v6, v8, vcc
	v_xor_b32_e32 v6, s19, v6
	v_subrev_u32_e32 v6, s19, v6
	v_add_u32_e32 v7, s42, v6
	v_sub_u32_e32 v9, 0, v7
	v_ashrrev_i32_e32 v8, 31, v7
	v_max_i32_e32 v7, v7, v9
	v_mul_hi_u32 v9, v7, v21
	v_mul_lo_u32 v9, v9, s14
	v_sub_u32_e32 v7, v7, v9
	v_subrev_u32_e32 v9, s14, v7
	v_cmp_le_u32_e32 vcc, s14, v7
	v_cmp_lt_i32_e64 s[0:1], s17, v6
	s_nop 0
	v_cndmask_b32_e32 v7, v7, v9, vcc
	v_subrev_u32_e32 v9, s14, v7
	v_cmp_le_u32_e32 vcc, s14, v7
	s_nop 1
	v_cndmask_b32_e32 v7, v7, v9, vcc
	v_xor_b32_e32 v7, v7, v8
	v_sub_u32_e32 v7, v7, v8
	v_cmp_eq_u32_e32 vcc, 0, v7
	s_or_b64 s[0:1], vcc, s[0:1]
	s_and_saveexec_b64 s[10:11], s[0:1]
	s_cbranch_execz .LBB78_47
; %bb.49:                               ;   in Loop: Header=BB78_48 Depth=1
	global_load_dword v14, v[12:13], off
	ds_read2_b64 v[6:9], v22 offset1:1
	ds_read2_b64 v[24:27], v22 offset0:2 offset1:3
	v_add_u32_e32 v23, v20, v16
	v_cmp_eq_u32_e32 vcc, s15, v1
	s_waitcnt lgkmcnt(1)
	;;#ASMSTART
	v_cvt_f16_f32 v31, v6;

	;;#ASMEND
	;;#ASMSTART
	v_cvt_f16_f32 v32, v7;

	;;#ASMEND
	;; [unrolled: 4-line block ×4, first 2 shown]
	s_waitcnt lgkmcnt(0)
	;;#ASMSTART
	v_cvt_f16_f32 v36, v24;

	;;#ASMEND
	;;#ASMSTART
	v_cvt_f16_f32 v37, v25;

	;;#ASMEND
	;;#ASMSTART
	v_cvt_f16_f32 v38, v26;

	;;#ASMEND
	;;#ASMSTART
	v_cvt_f16_f32 v39, v27;

	;;#ASMEND
	v_add_u32_e32 v24, 1, v23
	v_or_b32_e32 v26, 3, v23
	v_or_b32_e32 v25, 2, v23
	;; [unrolled: 1-line block ×6, first 2 shown]
	s_waitcnt vmcnt(0)
	v_mad_i64_i32 v[6:7], s[0:1], v14, s34, 0
	v_lshl_add_u64 v[14:15], v[6:7], 1, v[10:11]
	global_load_dwordx4 v[6:9], v[14:15], off
	s_and_saveexec_b64 s[12:13], vcc
	s_cbranch_execz .LBB78_51
; %bb.50:                               ;   in Loop: Header=BB78_48 Depth=1
	s_waitcnt vmcnt(0)
	v_lshrrev_b32_e32 v34, 16, v9
	v_cmp_gt_i32_e64 s[0:1], s38, v30
	s_nop 1
	v_cndmask_b32_e64 v34, 0, v34, s[0:1]
	v_cmp_gt_i32_e64 s[0:1], s37, v29
	s_nop 1
	v_cndmask_b32_e64 v9, 0, v9, s[0:1]
	v_perm_b32 v9, v34, v9, s26
	v_lshrrev_b32_e32 v34, 16, v8
	v_cmp_gt_i32_e64 s[0:1], s36, v28
	s_nop 1
	v_cndmask_b32_e64 v34, 0, v34, s[0:1]
	v_cmp_gt_i32_e64 s[0:1], s35, v27
	s_nop 1
	v_cndmask_b32_e64 v8, 0, v8, s[0:1]
	v_perm_b32 v8, v34, v8, s26
	v_lshrrev_b32_e32 v34, 16, v7
	v_cmp_gt_i32_e64 s[0:1], s31, v26
	s_nop 1
	v_cndmask_b32_e64 v34, 0, v34, s[0:1]
	v_cmp_gt_i32_e64 s[0:1], s30, v25
	s_nop 1
	v_cndmask_b32_e64 v7, 0, v7, s[0:1]
	v_perm_b32 v7, v34, v7, s26
	v_lshrrev_b32_e32 v34, 16, v6
	v_cmp_gt_i32_e64 s[0:1], s18, v24
	s_nop 1
	v_cndmask_b32_e64 v34, 0, v34, s[0:1]
	v_cmp_gt_i32_e64 s[0:1], s21, v23
	s_nop 1
	v_cndmask_b32_e64 v6, 0, v6, s[0:1]
	v_perm_b32 v6, v34, v6, s26
.LBB78_51:                              ;   in Loop: Header=BB78_48 Depth=1
	s_or_b64 exec, exec, s[12:13]
	v_and_b32_e32 v31, 0xffff, v31
	v_lshl_or_b32 v34, v32, 16, v31
	v_and_b32_e32 v31, 0xffff, v33
	v_lshl_or_b32 v33, v35, 16, v31
	;; [unrolled: 2-line block ×3, first 2 shown]
	v_and_b32_e32 v31, 0xffff, v38
	s_waitcnt vmcnt(0)
	;;#ASMSTART
	v_pk_mul_f16 v6, v34, v6;

	;;#ASMEND
	v_lshl_or_b32 v31, v39, 16, v31
	;;#ASMSTART
	v_pk_mul_f16 v7, v33, v7;

	;;#ASMEND
	;;#ASMSTART
	v_pk_mul_f16 v8, v32, v8;

	;;#ASMEND
	;; [unrolled: 4-line block ×3, first 2 shown]
	s_nop 0
	;;#ASMSTART
	v_pk_add_f16 v6, v6, v7;

	;;#ASMEND
	s_nop 0
	;;#ASMSTART
	v_pk_add_f16 v6, v6, v8;

	;;#ASMEND
	;; [unrolled: 5-line block ×3, first 2 shown]
	s_nop 0
	v_lshrrev_b32_e32 v7, 16, v6
	v_and_b32_e32 v6, 0xffff, v6
	;;#ASMSTART
	v_cvt_f32_f16 v35, v6;
	;;#ASMEND
	;;#ASMSTART
	v_cvt_f32_f16 v36, v7;
	;;#ASMEND
	global_load_dwordx4 v[6:9], v[14:15], off offset:1024
	s_and_saveexec_b64 s[12:13], vcc
	s_cbranch_execz .LBB78_53
; %bb.52:                               ;   in Loop: Header=BB78_48 Depth=1
	s_waitcnt vmcnt(0)
	v_lshrrev_b32_e32 v37, 16, v9
	v_cmp_gt_i32_e64 s[0:1], s38, v30
	s_nop 1
	v_cndmask_b32_e64 v37, 0, v37, s[0:1]
	v_cmp_gt_i32_e64 s[0:1], s37, v29
	s_nop 1
	v_cndmask_b32_e64 v9, 0, v9, s[0:1]
	v_perm_b32 v9, v37, v9, s26
	v_lshrrev_b32_e32 v37, 16, v8
	v_cmp_gt_i32_e64 s[0:1], s36, v28
	s_nop 1
	v_cndmask_b32_e64 v37, 0, v37, s[0:1]
	v_cmp_gt_i32_e64 s[0:1], s35, v27
	s_nop 1
	v_cndmask_b32_e64 v8, 0, v8, s[0:1]
	v_perm_b32 v8, v37, v8, s26
	;; [unrolled: 8-line block ×4, first 2 shown]
.LBB78_53:                              ;   in Loop: Header=BB78_48 Depth=1
	s_or_b64 exec, exec, s[12:13]
	s_waitcnt vmcnt(0)
	;;#ASMSTART
	v_pk_mul_f16 v6, v34, v6;

	;;#ASMEND
	;;#ASMSTART
	v_pk_mul_f16 v7, v33, v7;

	;;#ASMEND
	;; [unrolled: 4-line block ×4, first 2 shown]
	s_nop 0
	;;#ASMSTART
	v_pk_add_f16 v6, v6, v7;

	;;#ASMEND
	s_nop 0
	;;#ASMSTART
	v_pk_add_f16 v6, v6, v8;

	;;#ASMEND
	;; [unrolled: 5-line block ×3, first 2 shown]
	s_nop 0
	v_lshrrev_b32_e32 v7, 16, v6
	v_and_b32_e32 v6, 0xffff, v6
	;;#ASMSTART
	v_cvt_f32_f16 v37, v6;
	;;#ASMEND
	;;#ASMSTART
	v_cvt_f32_f16 v38, v7;
	;;#ASMEND
	global_load_dwordx4 v[6:9], v[14:15], off offset:2048
	s_and_saveexec_b64 s[12:13], vcc
	s_cbranch_execz .LBB78_55
; %bb.54:                               ;   in Loop: Header=BB78_48 Depth=1
	s_waitcnt vmcnt(0)
	v_lshrrev_b32_e32 v39, 16, v9
	v_cmp_gt_i32_e64 s[0:1], s38, v30
	s_nop 1
	v_cndmask_b32_e64 v39, 0, v39, s[0:1]
	v_cmp_gt_i32_e64 s[0:1], s37, v29
	s_nop 1
	v_cndmask_b32_e64 v9, 0, v9, s[0:1]
	v_perm_b32 v9, v39, v9, s26
	v_lshrrev_b32_e32 v39, 16, v8
	v_cmp_gt_i32_e64 s[0:1], s36, v28
	s_nop 1
	v_cndmask_b32_e64 v39, 0, v39, s[0:1]
	v_cmp_gt_i32_e64 s[0:1], s35, v27
	s_nop 1
	v_cndmask_b32_e64 v8, 0, v8, s[0:1]
	v_perm_b32 v8, v39, v8, s26
	;; [unrolled: 8-line block ×4, first 2 shown]
.LBB78_55:                              ;   in Loop: Header=BB78_48 Depth=1
	s_or_b64 exec, exec, s[12:13]
	s_waitcnt vmcnt(0)
	;;#ASMSTART
	v_pk_mul_f16 v6, v34, v6;

	;;#ASMEND
	;;#ASMSTART
	v_pk_mul_f16 v7, v33, v7;

	;;#ASMEND
	;; [unrolled: 4-line block ×4, first 2 shown]
	s_nop 0
	;;#ASMSTART
	v_pk_add_f16 v6, v6, v7;

	;;#ASMEND
	s_nop 0
	;;#ASMSTART
	v_pk_add_f16 v6, v6, v8;

	;;#ASMEND
	;; [unrolled: 5-line block ×3, first 2 shown]
	s_nop 0
	v_lshrrev_b32_e32 v7, 16, v6
	v_and_b32_e32 v6, 0xffff, v6
	;;#ASMSTART
	v_cvt_f32_f16 v39, v6;
	;;#ASMEND
	;;#ASMSTART
	v_cvt_f32_f16 v40, v7;
	;;#ASMEND
	global_load_dwordx4 v[6:9], v[14:15], off offset:3072
	s_and_saveexec_b64 s[0:1], vcc
	s_cbranch_execz .LBB78_46
; %bb.56:                               ;   in Loop: Header=BB78_48 Depth=1
	s_waitcnt vmcnt(0)
	v_lshrrev_b32_e32 v14, 16, v9
	v_cmp_gt_i32_e32 vcc, s38, v30
	s_nop 1
	v_cndmask_b32_e32 v14, 0, v14, vcc
	v_cmp_gt_i32_e32 vcc, s37, v29
	s_nop 1
	v_cndmask_b32_e32 v9, 0, v9, vcc
	v_perm_b32 v9, v14, v9, s26
	v_lshrrev_b32_e32 v14, 16, v8
	v_cmp_gt_i32_e32 vcc, s36, v28
	s_nop 1
	v_cndmask_b32_e32 v14, 0, v14, vcc
	v_cmp_gt_i32_e32 vcc, s35, v27
	s_nop 1
	v_cndmask_b32_e32 v8, 0, v8, vcc
	v_perm_b32 v8, v14, v8, s26
	;; [unrolled: 8-line block ×4, first 2 shown]
	s_branch .LBB78_46
.LBB78_57:
	s_or_b64 exec, exec, s[2:3]
.LBB78_58:
	s_or_b64 exec, exec, s[8:9]
	ds_bpermute_b32 v6, v18, v2
	ds_bpermute_b32 v7, v18, v3
	;; [unrolled: 1-line block ×4, first 2 shown]
	v_and_b32_e32 v1, 0x3c1, v0
	v_cmp_eq_u32_e32 vcc, 64, v1
	s_waitcnt lgkmcnt(2)
	v_pk_add_f32 v[6:7], v[2:3], v[6:7]
	s_waitcnt lgkmcnt(0)
	v_pk_add_f32 v[2:3], v[4:5], v[8:9]
	s_barrier
	s_and_saveexec_b64 s[0:1], vcc
	s_cbranch_execz .LBB78_60
; %bb.59:
	v_mov_b32_e32 v4, 0x110
	v_lshl_add_u32 v4, v17, 1, v4
	ds_write2_b32 v4, v6, v7 offset1:32
	ds_write2_b32 v4, v2, v3 offset0:64 offset1:96
.LBB78_60:
	s_or_b64 exec, exec, s[0:1]
	s_waitcnt lgkmcnt(0)
	s_barrier
	s_and_saveexec_b64 s[0:1], s[6:7]
	s_cbranch_execz .LBB78_67
; %bb.61:
	v_cmp_eq_u32_e32 vcc, 0, v19
	v_lshrrev_b32_e32 v4, 1, v0
	s_and_saveexec_b64 s[2:3], vcc
	s_cbranch_execnz .LBB78_70
; %bb.62:
	s_or_b64 exec, exec, s[2:3]
	s_and_saveexec_b64 s[2:3], vcc
	s_cbranch_execnz .LBB78_71
.LBB78_63:
	s_or_b64 exec, exec, s[2:3]
	s_and_saveexec_b64 s[2:3], vcc
	s_cbranch_execnz .LBB78_72
.LBB78_64:
	s_or_b64 exec, exec, s[2:3]
	s_and_saveexec_b64 s[2:3], vcc
	s_cbranch_execz .LBB78_66
.LBB78_65:
	v_mov_b32_e32 v5, 0x110
	v_lshl_add_u32 v4, v4, 2, v5
	ds_read_b32 v4, v4 offset:384
	s_waitcnt lgkmcnt(0)
	v_add_f32_e32 v3, v3, v4
.LBB78_66:
	s_or_b64 exec, exec, s[2:3]
.LBB78_67:
	s_or_b64 exec, exec, s[0:1]
	v_cmp_eq_u32_e32 vcc, 0, v1
	s_barrier
	s_and_saveexec_b64 s[0:1], vcc
	s_cbranch_execz .LBB78_69
; %bb.68:
	s_mul_i32 s0, s20, s16
	s_mul_i32 s0, s0, s5
	s_lshl_b32 s0, s0, 7
	s_ashr_i32 s1, s0, 31
	s_lshl_b64 s[0:1], s[0:1], 1
	s_add_u32 s2, s24, s0
	s_mul_i32 s0, s16, s22
	s_addc_u32 s3, s25, s1
	s_ashr_i32 s1, s0, 31
	s_lshl_b64 s[0:1], s[0:1], 1
	s_add_u32 s2, s2, s0
	s_addc_u32 s3, s3, s1
	s_lshl_b32 s0, s4, 7
	s_ashr_i32 s1, s0, 31
	s_lshl_b64 s[0:1], s[0:1], 1
	s_add_u32 s0, s2, s0
	s_addc_u32 s1, s3, s1
	;;#ASMSTART
	v_cvt_f16_f32 v1, v6;

	;;#ASMEND
	global_store_short v0, v1, s[0:1]
	;;#ASMSTART
	v_cvt_f16_f32 v1, v7;

	;;#ASMEND
	global_store_short v0, v1, s[0:1] offset:64
	;;#ASMSTART
	v_cvt_f16_f32 v1, v2;

	;;#ASMEND
	global_store_short v0, v1, s[0:1] offset:128
	;;#ASMSTART
	v_cvt_f16_f32 v1, v3;

	;;#ASMEND
	global_store_short v0, v1, s[0:1] offset:192
.LBB78_69:
	s_endpgm
.LBB78_70:
	v_mov_b32_e32 v5, 0x110
	v_lshl_add_u32 v5, v4, 2, v5
	ds_read_b32 v5, v5
	s_waitcnt lgkmcnt(0)
	v_add_f32_e32 v6, v6, v5
	s_or_b64 exec, exec, s[2:3]
	s_and_saveexec_b64 s[2:3], vcc
	s_cbranch_execz .LBB78_63
.LBB78_71:
	v_mov_b32_e32 v5, 0x110
	v_lshl_add_u32 v5, v4, 2, v5
	ds_read_b32 v5, v5 offset:128
	s_waitcnt lgkmcnt(0)
	v_add_f32_e32 v7, v7, v5
	s_or_b64 exec, exec, s[2:3]
	s_and_saveexec_b64 s[2:3], vcc
	s_cbranch_execz .LBB78_64
.LBB78_72:
	v_mov_b32_e32 v5, 0x110
	v_lshl_add_u32 v5, v4, 2, v5
	ds_read_b32 v5, v5 offset:256
	s_waitcnt lgkmcnt(0)
	v_add_f32_e32 v2, v2, v5
	s_or_b64 exec, exec, s[2:3]
	s_and_saveexec_b64 s[2:3], vcc
	s_cbranch_execnz .LBB78_65
	s_branch .LBB78_66
	.section	.rodata,"a",@progbits
	.p2align	6, 0x0
	.amdhsa_kernel _ZN4vllm25paged_attention_v1_kernelIttLi128ELi16ELi128ELNS_18Fp8KVCacheDataTypeE0ELb1EEEvPT_PKS2_PKT0_S8_ifPKiSA_iPKfiiiSC_SC_iiiii
		.amdhsa_group_segment_fixed_size 272
		.amdhsa_private_segment_fixed_size 0
		.amdhsa_kernarg_size 384
		.amdhsa_user_sgpr_count 2
		.amdhsa_user_sgpr_dispatch_ptr 0
		.amdhsa_user_sgpr_queue_ptr 0
		.amdhsa_user_sgpr_kernarg_segment_ptr 1
		.amdhsa_user_sgpr_dispatch_id 0
		.amdhsa_user_sgpr_kernarg_preload_length 0
		.amdhsa_user_sgpr_kernarg_preload_offset 0
		.amdhsa_user_sgpr_private_segment_size 0
		.amdhsa_uses_dynamic_stack 0
		.amdhsa_enable_private_segment 0
		.amdhsa_system_sgpr_workgroup_id_x 1
		.amdhsa_system_sgpr_workgroup_id_y 1
		.amdhsa_system_sgpr_workgroup_id_z 1
		.amdhsa_system_sgpr_workgroup_info 0
		.amdhsa_system_vgpr_workitem_id 0
		.amdhsa_next_free_vgpr 71
		.amdhsa_next_free_sgpr 48
		.amdhsa_accum_offset 72
		.amdhsa_reserve_vcc 1
		.amdhsa_float_round_mode_32 0
		.amdhsa_float_round_mode_16_64 0
		.amdhsa_float_denorm_mode_32 3
		.amdhsa_float_denorm_mode_16_64 3
		.amdhsa_dx10_clamp 1
		.amdhsa_ieee_mode 1
		.amdhsa_fp16_overflow 0
		.amdhsa_tg_split 0
		.amdhsa_exception_fp_ieee_invalid_op 0
		.amdhsa_exception_fp_denorm_src 0
		.amdhsa_exception_fp_ieee_div_zero 0
		.amdhsa_exception_fp_ieee_overflow 0
		.amdhsa_exception_fp_ieee_underflow 0
		.amdhsa_exception_fp_ieee_inexact 0
		.amdhsa_exception_int_div_zero 0
	.end_amdhsa_kernel
	.section	.text._ZN4vllm25paged_attention_v1_kernelIttLi128ELi16ELi128ELNS_18Fp8KVCacheDataTypeE0ELb1EEEvPT_PKS2_PKT0_S8_ifPKiSA_iPKfiiiSC_SC_iiiii,"axG",@progbits,_ZN4vllm25paged_attention_v1_kernelIttLi128ELi16ELi128ELNS_18Fp8KVCacheDataTypeE0ELb1EEEvPT_PKS2_PKT0_S8_ifPKiSA_iPKfiiiSC_SC_iiiii,comdat
.Lfunc_end78:
	.size	_ZN4vllm25paged_attention_v1_kernelIttLi128ELi16ELi128ELNS_18Fp8KVCacheDataTypeE0ELb1EEEvPT_PKS2_PKT0_S8_ifPKiSA_iPKfiiiSC_SC_iiiii, .Lfunc_end78-_ZN4vllm25paged_attention_v1_kernelIttLi128ELi16ELi128ELNS_18Fp8KVCacheDataTypeE0ELb1EEEvPT_PKS2_PKT0_S8_ifPKiSA_iPKfiiiSC_SC_iiiii
                                        ; -- End function
	.section	.AMDGPU.csdata,"",@progbits
; Kernel info:
; codeLenInByte = 6772
; NumSgprs: 54
; NumVgprs: 71
; NumAgprs: 0
; TotalNumVgprs: 71
; ScratchSize: 0
; MemoryBound: 0
; FloatMode: 240
; IeeeMode: 1
; LDSByteSize: 272 bytes/workgroup (compile time only)
; SGPRBlocks: 6
; VGPRBlocks: 8
; NumSGPRsForWavesPerEU: 54
; NumVGPRsForWavesPerEU: 71
; AccumOffset: 72
; Occupancy: 7
; WaveLimiterHint : 1
; COMPUTE_PGM_RSRC2:SCRATCH_EN: 0
; COMPUTE_PGM_RSRC2:USER_SGPR: 2
; COMPUTE_PGM_RSRC2:TRAP_HANDLER: 0
; COMPUTE_PGM_RSRC2:TGID_X_EN: 1
; COMPUTE_PGM_RSRC2:TGID_Y_EN: 1
; COMPUTE_PGM_RSRC2:TGID_Z_EN: 1
; COMPUTE_PGM_RSRC2:TIDIG_COMP_CNT: 0
; COMPUTE_PGM_RSRC3_GFX90A:ACCUM_OFFSET: 17
; COMPUTE_PGM_RSRC3_GFX90A:TG_SPLIT: 0
	.section	.text._ZN4vllm25paged_attention_v1_kernelIttLi192ELi16ELi128ELNS_18Fp8KVCacheDataTypeE0ELb1EEEvPT_PKS2_PKT0_S8_ifPKiSA_iPKfiiiSC_SC_iiiii,"axG",@progbits,_ZN4vllm25paged_attention_v1_kernelIttLi192ELi16ELi128ELNS_18Fp8KVCacheDataTypeE0ELb1EEEvPT_PKS2_PKT0_S8_ifPKiSA_iPKfiiiSC_SC_iiiii,comdat
	.protected	_ZN4vllm25paged_attention_v1_kernelIttLi192ELi16ELi128ELNS_18Fp8KVCacheDataTypeE0ELb1EEEvPT_PKS2_PKT0_S8_ifPKiSA_iPKfiiiSC_SC_iiiii ; -- Begin function _ZN4vllm25paged_attention_v1_kernelIttLi192ELi16ELi128ELNS_18Fp8KVCacheDataTypeE0ELb1EEEvPT_PKS2_PKT0_S8_ifPKiSA_iPKfiiiSC_SC_iiiii
	.globl	_ZN4vllm25paged_attention_v1_kernelIttLi192ELi16ELi128ELNS_18Fp8KVCacheDataTypeE0ELb1EEEvPT_PKS2_PKT0_S8_ifPKiSA_iPKfiiiSC_SC_iiiii
	.p2align	8
	.type	_ZN4vllm25paged_attention_v1_kernelIttLi192ELi16ELi128ELNS_18Fp8KVCacheDataTypeE0ELb1EEEvPT_PKS2_PKT0_S8_ifPKiSA_iPKfiiiSC_SC_iiiii,@function
_ZN4vllm25paged_attention_v1_kernelIttLi192ELi16ELi128ELNS_18Fp8KVCacheDataTypeE0ELb1EEEvPT_PKS2_PKT0_S8_ifPKiSA_iPKfiiiSC_SC_iiiii: ; @_ZN4vllm25paged_attention_v1_kernelIttLi192ELi16ELi128ELNS_18Fp8KVCacheDataTypeE0ELb1EEEvPT_PKS2_PKT0_S8_ifPKiSA_iPKfiiiSC_SC_iiiii
; %bb.0:
	s_load_dword s5, s[0:1], 0x80
	s_load_dwordx2 s[6:7], s[0:1], 0x30
	s_load_dwordx2 s[30:31], s[0:1], 0x20
	s_mov_b32 s20, s3
	s_ashr_i32 s21, s3, 31
	s_lshl_b64 s[8:9], s[20:21], 2
	s_waitcnt lgkmcnt(0)
	s_add_u32 s6, s6, s8
	s_addc_u32 s7, s7, s9
	s_abs_i32 s3, s30
	v_cvt_f32_u32_e32 v1, s3
	s_sub_i32 s10, 0, s3
	s_abs_i32 s9, s5
	s_xor_b32 s8, s5, s30
	v_rcp_iflag_f32_e32 v1, v1
	s_ashr_i32 s8, s8, 31
	s_mov_b32 s42, 0
	v_mul_f32_e32 v1, 0x4f7ffffe, v1
	v_cvt_u32_f32_e32 v1, v1
	s_nop 0
	v_readfirstlane_b32 s11, v1
	s_mul_i32 s10, s10, s11
	s_mul_hi_u32 s10, s11, s10
	s_add_i32 s11, s11, s10
	s_mul_hi_u32 s10, s9, s11
	s_mul_i32 s11, s10, s3
	s_sub_i32 s9, s9, s11
	s_add_i32 s11, s10, 1
	s_sub_i32 s12, s9, s3
	s_cmp_ge_u32 s9, s3
	s_cselect_b32 s10, s11, s10
	s_cselect_b32 s9, s12, s9
	s_add_i32 s11, s10, 1
	s_cmp_ge_u32 s9, s3
	s_cselect_b32 s3, s11, s10
	s_xor_b32 s3, s3, s8
	s_sub_i32 s12, s3, s8
	s_abs_i32 s10, s12
	v_cvt_f32_u32_e32 v1, s10
	s_load_dwordx2 s[8:9], s[0:1], 0x40
	s_sub_i32 s3, 0, s10
	s_abs_i32 s11, s2
	v_rcp_iflag_f32_e32 v1, v1
	s_nop 0
	v_mul_f32_e32 v1, 0x4f7ffffe, v1
	v_cvt_u32_f32_e32 v1, v1
	s_nop 0
	v_readfirstlane_b32 s13, v1
	s_mul_i32 s3, s3, s13
	s_mul_hi_u32 s3, s13, s3
	s_add_i32 s13, s13, s3
	s_waitcnt lgkmcnt(0)
	s_cmp_eq_u64 s[8:9], 0
	s_mul_hi_u32 s24, s11, s13
	s_cbranch_scc1 .LBB79_2
; %bb.1:
	s_ashr_i32 s3, s2, 31
	s_lshl_b64 s[14:15], s[2:3], 2
	s_add_u32 s8, s8, s14
	s_addc_u32 s9, s9, s15
	s_load_dword s42, s[8:9], 0x0
.LBB79_2:
	s_load_dword s21, s[6:7], 0x0
	s_ashr_i32 s9, s12, 31
	s_load_dwordx4 s[12:15], s[0:1], 0x48
	s_movk_i32 s8, 0x60
	s_ashr_i32 s3, s2, 31
	v_and_b32_e32 v4, 3, v0
	s_mul_i32 s22, s2, 0xc0
	v_cmp_gt_u32_e32 vcc, s8, v0
	s_and_saveexec_b64 s[6:7], vcc
	s_cbranch_execz .LBB79_4
; %bb.3:
	s_load_dwordx2 s[16:17], s[0:1], 0x8
	s_waitcnt lgkmcnt(0)
	s_mul_i32 s18, s20, s12
	s_ashr_i32 s19, s18, 31
	s_lshl_b64 s[18:19], s[18:19], 1
	v_lshlrev_b32_e32 v1, 2, v0
	s_add_u32 s12, s16, s18
	s_addc_u32 s15, s17, s19
	s_ashr_i32 s23, s22, 31
	s_lshl_b64 s[16:17], s[22:23], 1
	s_add_u32 s16, s12, s16
	s_addc_u32 s17, s15, s17
	global_load_dword v1, v1, s[16:17]
	v_and_b32_e32 v2, 0x3fc, v0
	v_mad_u32_u24 v2, v4, s8, v2
	s_waitcnt vmcnt(0)
	ds_write_b32 v2, v1
.LBB79_4:
	s_or_b64 exec, exec, s[6:7]
	s_mul_i32 s6, s24, s10
	s_sub_i32 s6, s11, s6
	s_xor_b32 s3, s3, s9
	s_add_i32 s7, s24, 1
	s_sub_i32 s9, s6, s10
	s_load_dwordx4 s[16:19], s[0:1], 0x68
	s_load_dword s8, s[0:1], 0x78
	s_cmp_ge_u32 s6, s10
	s_cselect_b32 s7, s7, s24
	s_cselect_b32 s6, s9, s6
	s_add_i32 s9, s7, 1
	s_cmp_ge_u32 s6, s10
	s_cselect_b32 s6, s9, s7
	s_waitcnt lgkmcnt(0)
	s_abs_i32 s23, s19
	v_cvt_f32_u32_e32 v1, s23
	s_xor_b32 s6, s6, s3
	s_sub_i32 s3, s6, s3
	s_sub_i32 s6, 0, s23
	v_rcp_iflag_f32_e32 v1, v1
	s_add_i32 s15, s21, -1
	s_abs_i32 s9, s15
	v_mul_f32_e32 v1, 0x4f7ffffe, v1
	v_cvt_u32_f32_e32 v1, v1
	s_barrier
	v_readfirstlane_b32 s33, v1
	s_mul_i32 s6, s6, s33
	s_mul_hi_u32 s6, s33, s6
	s_add_i32 s33, s33, s6
	s_cmp_lt_i32 s8, 0
	s_mul_hi_u32 s12, s9, s33
	s_cbranch_scc0 .LBB79_6
; %bb.5:
	s_mul_i32 s6, s16, s30
	s_add_i32 s6, s3, s6
	s_mul_i32 s6, s6, s8
	s_sub_i32 s40, 1, s6
	s_mov_b64 s[6:7], 0
	s_branch .LBB79_7
.LBB79_6:
	s_mov_b64 s[6:7], -1
                                        ; implicit-def: $sgpr40
.LBB79_7:
	s_load_dwordx2 s[10:11], s[0:1], 0x28
	s_ashr_i32 s15, s15, 31
	s_andn2_b64 vcc, exec, s[6:7]
	s_ashr_i32 s19, s19, 31
	s_cbranch_vccnz .LBB79_9
; %bb.8:
	s_mul_i32 s6, s5, s16
	s_add_i32 s2, s6, s2
	s_mul_i32 s2, s2, s8
	s_add_i32 s40, s2, 1
.LBB79_9:
	s_load_dword s2, s[0:1], 0x38
	s_load_dwordx2 s[24:25], s[0:1], 0x0
	s_load_dwordx2 s[28:29], s[0:1], 0x18
	s_load_dword s16, s[0:1], 0x88
	s_xor_b32 s6, s15, s19
	s_waitcnt lgkmcnt(0)
	s_mul_i32 s26, s20, s2
	s_mul_i32 s2, s12, s23
	s_sub_i32 s2, s9, s2
	s_ashr_i32 s27, s26, 31
	s_add_i32 s7, s12, 1
	s_sub_i32 s8, s2, s23
	s_cmp_ge_u32 s2, s23
	s_cselect_b32 s7, s7, s12
	s_cselect_b32 s2, s8, s2
	s_add_i32 s8, s7, 1
	s_cmp_ge_u32 s2, s23
	s_cselect_b32 s2, s8, s7
	s_xor_b32 s2, s2, s6
	s_sub_i32 s12, s2, s6
	s_add_i32 s2, s21, 15
	s_ashr_i32 s6, s2, 31
	s_lshr_b32 s6, s6, 28
	s_add_i32 s2, s2, s6
	s_ashr_i32 s41, s2, 4
	v_lshrrev_b32_e32 v1, 6, v0
	v_cmp_gt_i32_e64 s[6:7], s41, v1
	v_mov_b32_e32 v12, 0xff7fffff
	s_mul_i32 s14, s3, s14
	v_lshrrev_b32_e32 v8, 4, v0
	v_lshlrev_b32_e32 v24, 4, v1
	v_mbcnt_lo_u32_b32 v9, -1, 0
	s_and_saveexec_b64 s[34:35], s[6:7]
	s_cbranch_execz .LBB79_19
; %bb.10:
	s_load_dwordx2 s[0:1], s[0:1], 0x10
	s_ashr_i32 s15, s14, 31
	s_sub_i32 s30, s12, s17
	s_lshl_b64 s[2:3], s[14:15], 1
	v_bfe_u32 v10, v0, 2, 4
	s_waitcnt lgkmcnt(0)
	s_add_u32 s0, s0, s2
	s_addc_u32 s1, s1, s3
	s_abs_i32 s15, s18
	v_cvt_f32_u32_e32 v5, s15
	v_lshlrev_b32_e32 v6, 4, v10
	v_mov_b32_e32 v7, 0
	v_lshl_add_u64 v[2:3], s[0:1], 0, v[6:7]
	v_rcp_iflag_f32_e32 v5, v5
	s_sub_i32 s0, 0, s15
	v_cmp_eq_u32_e32 vcc, 0, v4
	v_lshlrev_b32_e32 v6, 2, v0
	v_mul_f32_e32 v5, 0x4f7ffffe, v5
	v_cvt_u32_f32_e32 v5, v5
	v_mul_u32_u24_e32 v11, 0x60, v4
	v_and_b32_e32 v6, 12, v6
	v_lshl_add_u64 v[2:3], v[2:3], 0, v[6:7]
	v_mul_lo_u32 v4, s0, v5
	s_lshl_b64 s[0:1], s[26:27], 2
	s_add_u32 s0, s10, s0
	v_mul_hi_u32 v4, v5, v4
	v_and_b32_e32 v6, 60, v8
	s_addc_u32 s1, s11, s1
	v_add_u32_e32 v13, v5, v4
	v_lshl_add_u64 v[4:5], s[0:1], 0, v[6:7]
	v_lshlrev_b32_e32 v6, 2, v10
	v_lshl_or_b32 v6, v1, 6, v6
	v_add_u32_e32 v15, 0x190, v6
	v_subrev_u32_e32 v6, s21, v10
	v_mbcnt_hi_u32_b32 v18, -1, v9
	v_add_u32_e32 v16, 1, v6
	v_and_b32_e32 v6, 64, v18
	s_mov_b32 s43, s13
	v_cmp_neq_f32_e64 s[2:3], s42, 0
	v_lshlrev_b32_e32 v14, 4, v1
	s_mov_b64 s[36:37], 0
	v_mov_b32_e32 v17, 0xff7fffff
	s_movk_i32 s44, 0x1000
	v_add_u32_e32 v19, 64, v6
	v_xor_b32_e32 v20, 2, v18
	v_xor_b32_e32 v21, 1, v18
	v_mov_b32_e32 v12, 0xff7fffff
	v_mov_b32_e32 v22, v1
	s_branch .LBB79_13
.LBB79_11:                              ;   in Loop: Header=BB79_13 Depth=1
	s_or_b64 exec, exec, s[38:39]
.LBB79_12:                              ;   in Loop: Header=BB79_13 Depth=1
	s_or_b64 exec, exec, s[8:9]
	v_add_u32_e32 v22, 2, v22
	v_cmp_le_i32_e64 s[0:1], s41, v22
	v_lshl_add_u64 v[4:5], v[4:5], 0, 8
	v_add_u32_e32 v14, 32, v14
	s_or_b64 s[36:37], s[0:1], s[36:37]
	v_add_u32_e32 v15, 0x80, v15
	s_andn2_b64 exec, exec, s[36:37]
	s_cbranch_execz .LBB79_18
.LBB79_13:                              ; =>This Inner Loop Header: Depth=1
	v_mul_hi_u32 v6, v14, s33
	s_waitcnt lgkmcnt(0)
	v_mul_lo_u32 v7, v6, s23
	v_sub_u32_e32 v7, v14, v7
	v_add_u32_e32 v23, 1, v6
	v_cmp_le_u32_e64 s[0:1], s23, v7
	s_nop 1
	v_cndmask_b32_e64 v6, v6, v23, s[0:1]
	v_subrev_u32_e32 v23, s23, v7
	v_cndmask_b32_e64 v7, v7, v23, s[0:1]
	v_add_u32_e32 v23, 1, v6
	v_cmp_le_u32_e64 s[0:1], s23, v7
	s_nop 1
	v_cndmask_b32_e64 v6, v6, v23, s[0:1]
	v_xor_b32_e32 v6, s19, v6
	v_subrev_u32_e32 v6, s19, v6
	v_add_u32_e32 v7, s40, v6
	v_sub_u32_e32 v25, 0, v7
	v_ashrrev_i32_e32 v23, 31, v7
	v_max_i32_e32 v7, v7, v25
	v_mul_hi_u32 v25, v7, v13
	v_mul_lo_u32 v25, v25, s15
	v_sub_u32_e32 v7, v7, v25
	v_subrev_u32_e32 v25, s15, v7
	v_cmp_le_u32_e64 s[0:1], s15, v7
	v_cmp_ge_i32_e64 s[8:9], s30, v6
	s_nop 0
	v_cndmask_b32_e64 v7, v7, v25, s[0:1]
	v_subrev_u32_e32 v25, s15, v7
	v_cmp_le_u32_e64 s[0:1], s15, v7
	s_nop 1
	v_cndmask_b32_e64 v7, v7, v25, s[0:1]
	v_xor_b32_e32 v7, v7, v23
	v_sub_u32_e32 v7, v7, v23
	v_cmp_ne_u32_e64 s[0:1], 0, v7
	s_and_b64 s[0:1], s[0:1], s[8:9]
	s_and_b64 s[38:39], vcc, s[0:1]
	s_and_saveexec_b64 s[8:9], s[38:39]
	s_cbranch_execz .LBB79_15
; %bb.14:                               ;   in Loop: Header=BB79_13 Depth=1
	ds_write_b32 v15, v17
.LBB79_15:                              ;   in Loop: Header=BB79_13 Depth=1
	s_or_b64 exec, exec, s[8:9]
	s_xor_b64 s[0:1], s[0:1], -1
	s_and_saveexec_b64 s[8:9], s[0:1]
	s_cbranch_execz .LBB79_12
; %bb.16:                               ;   in Loop: Header=BB79_13 Depth=1
	global_load_dword v6, v[4:5], off
	s_waitcnt vmcnt(0)
	v_mad_i64_i32 v[6:7], s[0:1], v6, s43, 0
	v_lshl_add_u64 v[6:7], v[6:7], 1, v[2:3]
	global_load_dword v35, v[6:7], off
	global_load_dword v34, v[6:7], off offset:256
	global_load_dword v33, v[6:7], off offset:512
	;; [unrolled: 1-line block ×11, first 2 shown]
	ds_read_b32 v36, v11
	global_load_dword v41, v[6:7], off offset:3072
	global_load_dword v42, v[6:7], off offset:3328
	;; [unrolled: 1-line block ×4, first 2 shown]
	v_cmp_lt_i32_e64 s[0:1], v20, v19
	s_waitcnt lgkmcnt(0)
	v_lshrrev_b32_e32 v38, 16, v36
	v_cndmask_b32_e64 v23, v18, v20, s[0:1]
	v_and_b32_e32 v40, 0xffff, v36
	v_add_co_u32_e64 v36, s[0:1], s44, v6
	v_lshlrev_b32_e32 v23, 2, v23
	s_nop 0
	v_addc_co_u32_e64 v37, s[0:1], 0, v7, s[0:1]
	global_load_dword v45, v[36:37], off
	global_load_dword v46, v[36:37], off offset:256
	global_load_dword v47, v[36:37], off offset:512
	;; [unrolled: 1-line block ×7, first 2 shown]
	;;#ASMSTART
	v_cvt_f32_f16 v36, v40;
	;;#ASMEND
	;;#ASMSTART
	v_cvt_f32_f16 v37, v38;
	;;#ASMEND
	v_cmp_lt_i32_e64 s[0:1], v21, v19
	s_waitcnt vmcnt(23)
	v_lshrrev_b32_e32 v38, 16, v35
	v_and_b32_e32 v35, 0xffff, v35
	;;#ASMSTART
	v_cvt_f32_f16 v35, v35;
	;;#ASMEND
	;;#ASMSTART
	v_cvt_f32_f16 v38, v38;
	;;#ASMEND
	ds_read_b32 v40, v11 offset:4
	s_waitcnt vmcnt(22)
	v_lshrrev_b32_e32 v51, 16, v34
	v_and_b32_e32 v34, 0xffff, v34
	s_waitcnt vmcnt(21)
	v_lshrrev_b32_e32 v52, 16, v33
	v_and_b32_e32 v33, 0xffff, v33
	s_waitcnt lgkmcnt(0)
	v_lshrrev_b32_e32 v53, 16, v40
	v_and_b32_e32 v40, 0xffff, v40
	;;#ASMSTART
	v_cvt_f32_f16 v40, v40;
	;;#ASMEND
	;;#ASMSTART
	v_cvt_f32_f16 v53, v53;
	;;#ASMEND
	;;#ASMSTART
	v_cvt_f32_f16 v34, v34;
	;;#ASMEND
	;;#ASMSTART
	v_cvt_f32_f16 v51, v51;
	;;#ASMEND
	ds_read_b32 v54, v11 offset:8
	s_waitcnt vmcnt(20)
	v_lshrrev_b32_e32 v55, 16, v32
	v_and_b32_e32 v32, 0xffff, v32
	s_waitcnt vmcnt(19)
	v_lshrrev_b32_e32 v56, 16, v31
	v_and_b32_e32 v31, 0xffff, v31
	s_waitcnt lgkmcnt(0)
	v_lshrrev_b32_e32 v57, 16, v54
	v_and_b32_e32 v54, 0xffff, v54
	;;#ASMSTART
	v_cvt_f32_f16 v54, v54;
	;;#ASMEND
	;;#ASMSTART
	v_cvt_f32_f16 v57, v57;
	;;#ASMEND
	;; [unrolled: 22-line block ×5, first 2 shown]
	;;#ASMSTART
	v_cvt_f32_f16 v30, v30;
	;;#ASMEND
	;;#ASMSTART
	v_cvt_f32_f16 v59, v59;
	;;#ASMEND
	ds_read_b32 v70, v11 offset:24
	v_mul_f32_e32 v34, v40, v34
	v_mul_f32_e32 v40, v53, v51
	s_waitcnt vmcnt(12)
	v_lshrrev_b32_e32 v71, 16, v39
	v_and_b32_e32 v39, 0xffff, v39
	s_waitcnt lgkmcnt(0)
	v_lshrrev_b32_e32 v73, 16, v70
	v_and_b32_e32 v70, 0xffff, v70
	;;#ASMSTART
	v_cvt_f32_f16 v70, v70;
	;;#ASMEND
	;;#ASMSTART
	v_cvt_f32_f16 v73, v73;
	;;#ASMEND
	;; [unrolled: 3-line block ×4, first 2 shown]
	ds_read_b32 v74, v11 offset:28
	v_fmac_f32_e32 v34, v36, v35
	v_fmac_f32_e32 v40, v37, v38
	s_waitcnt vmcnt(11)
	v_lshrrev_b32_e32 v72, 16, v41
	v_and_b32_e32 v41, 0xffff, v41
	s_waitcnt lgkmcnt(0)
	v_lshrrev_b32_e32 v77, 16, v74
	v_and_b32_e32 v74, 0xffff, v74
	;;#ASMSTART
	v_cvt_f32_f16 v74, v74;
	;;#ASMEND
	;;#ASMSTART
	v_cvt_f32_f16 v77, v77;
	;;#ASMEND
	;; [unrolled: 3-line block ×4, first 2 shown]
	ds_read_b32 v78, v11 offset:32
	v_fmac_f32_e32 v34, v54, v33
	s_waitcnt vmcnt(10)
	v_lshrrev_b32_e32 v75, 16, v42
	v_and_b32_e32 v42, 0xffff, v42
	v_fmac_f32_e32 v40, v57, v52
	s_waitcnt lgkmcnt(0)
	v_lshrrev_b32_e32 v81, 16, v78
	v_and_b32_e32 v78, 0xffff, v78
	;;#ASMSTART
	v_cvt_f32_f16 v78, v78;
	;;#ASMEND
	;;#ASMSTART
	v_cvt_f32_f16 v81, v81;
	;;#ASMEND
	;; [unrolled: 3-line block ×4, first 2 shown]
	ds_read_b32 v82, v11 offset:36
	v_fmac_f32_e32 v34, v58, v32
	s_waitcnt vmcnt(9)
	v_lshrrev_b32_e32 v76, 16, v43
	v_and_b32_e32 v43, 0xffff, v43
	v_fmac_f32_e32 v40, v61, v55
	s_waitcnt lgkmcnt(0)
	v_lshrrev_b32_e32 v85, 16, v82
	v_and_b32_e32 v82, 0xffff, v82
	;;#ASMSTART
	v_cvt_f32_f16 v82, v82;
	;;#ASMEND
	;;#ASMSTART
	v_cvt_f32_f16 v85, v85;
	;;#ASMEND
	;; [unrolled: 3-line block ×4, first 2 shown]
	ds_read_b32 v86, v11 offset:40
	v_fmac_f32_e32 v34, v62, v31
	v_fmac_f32_e32 v40, v65, v56
	;; [unrolled: 1-line block ×3, first 2 shown]
	s_waitcnt vmcnt(8)
	v_lshrrev_b32_e32 v79, 16, v44
	s_waitcnt lgkmcnt(0)
	v_lshrrev_b32_e32 v51, 16, v86
	v_and_b32_e32 v53, 0xffff, v86
	;;#ASMSTART
	v_cvt_f32_f16 v53, v53;
	;;#ASMEND
	;;#ASMSTART
	v_cvt_f32_f16 v51, v51;
	;;#ASMEND
	;; [unrolled: 3-line block ×4, first 2 shown]
	ds_read_b32 v86, v11 offset:44
	v_and_b32_e32 v44, 0xffff, v44
	v_fmac_f32_e32 v40, v69, v59
	v_fmac_f32_e32 v34, v70, v29
	;; [unrolled: 1-line block ×3, first 2 shown]
	s_waitcnt lgkmcnt(0)
	v_lshrrev_b32_e32 v35, 16, v86
	v_and_b32_e32 v36, 0xffff, v86
	;;#ASMSTART
	v_cvt_f32_f16 v36, v36;
	;;#ASMEND
	;;#ASMSTART
	v_cvt_f32_f16 v35, v35;
	;;#ASMEND
	;; [unrolled: 3-line block ×4, first 2 shown]
	ds_read_b32 v39, v11 offset:48
	v_fmac_f32_e32 v34, v74, v28
	s_waitcnt vmcnt(7)
	v_lshrrev_b32_e32 v80, 16, v45
	v_and_b32_e32 v45, 0xffff, v45
	v_fmac_f32_e32 v34, v78, v27
	s_waitcnt lgkmcnt(0)
	v_lshrrev_b32_e32 v33, 16, v39
	v_and_b32_e32 v39, 0xffff, v39
	;;#ASMSTART
	v_cvt_f32_f16 v39, v39;
	;;#ASMEND
	;;#ASMSTART
	v_cvt_f32_f16 v33, v33;
	;;#ASMEND
	;;#ASMSTART
	v_cvt_f32_f16 v41, v41;
	;;#ASMEND
	;;#ASMSTART
	v_cvt_f32_f16 v54, v72;
	;;#ASMEND
	ds_read_b32 v72, v11 offset:52
	v_fmac_f32_e32 v40, v77, v63
	v_fmac_f32_e32 v40, v81, v64
	;; [unrolled: 1-line block ×3, first 2 shown]
	s_waitcnt vmcnt(6)
	v_lshrrev_b32_e32 v83, 16, v46
	s_waitcnt lgkmcnt(0)
	v_lshrrev_b32_e32 v32, 16, v72
	v_and_b32_e32 v57, 0xffff, v72
	;;#ASMSTART
	v_cvt_f32_f16 v57, v57;
	;;#ASMEND
	;;#ASMSTART
	v_cvt_f32_f16 v32, v32;
	;;#ASMEND
	;; [unrolled: 3-line block ×4, first 2 shown]
	ds_read_b32 v72, v11 offset:56
	v_and_b32_e32 v46, 0xffff, v46
	v_fmac_f32_e32 v40, v85, v67
	v_fmac_f32_e32 v34, v53, v25
	;; [unrolled: 1-line block ×3, first 2 shown]
	s_waitcnt lgkmcnt(0)
	v_lshrrev_b32_e32 v31, 16, v72
	v_and_b32_e32 v55, 0xffff, v72
	;;#ASMSTART
	v_cvt_f32_f16 v55, v55;
	;;#ASMEND
	;;#ASMSTART
	v_cvt_f32_f16 v31, v31;
	;;#ASMEND
	;; [unrolled: 3-line block ×4, first 2 shown]
	ds_read_b32 v61, v11 offset:60
	v_fmac_f32_e32 v40, v35, v38
	v_fmac_f32_e32 v40, v33, v54
	s_waitcnt vmcnt(5)
	v_lshrrev_b32_e32 v84, 16, v47
	v_and_b32_e32 v47, 0xffff, v47
	s_waitcnt lgkmcnt(0)
	v_lshrrev_b32_e32 v29, 16, v61
	v_and_b32_e32 v30, 0xffff, v61
	;;#ASMSTART
	v_cvt_f32_f16 v30, v30;
	;;#ASMEND
	;;#ASMSTART
	v_cvt_f32_f16 v29, v29;
	;;#ASMEND
	;; [unrolled: 3-line block ×4, first 2 shown]
	ds_read_b32 v60, v11 offset:64
	v_fmac_f32_e32 v34, v36, v37
	v_fmac_f32_e32 v40, v32, v58
	;; [unrolled: 1-line block ×3, first 2 shown]
	s_waitcnt vmcnt(4)
	v_lshrrev_b32_e32 v87, 16, v48
	s_waitcnt lgkmcnt(0)
	v_lshrrev_b32_e32 v27, 16, v60
	v_and_b32_e32 v28, 0xffff, v60
	;;#ASMSTART
	v_cvt_f32_f16 v28, v28;
	;;#ASMEND
	;;#ASMSTART
	v_cvt_f32_f16 v27, v27;
	;;#ASMEND
	;;#ASMSTART
	v_cvt_f32_f16 v45, v45;
	;;#ASMEND
	;;#ASMSTART
	v_cvt_f32_f16 v60, v80;
	;;#ASMEND
	ds_read_b32 v61, v11 offset:68
	v_and_b32_e32 v48, 0xffff, v48
	v_fmac_f32_e32 v34, v39, v41
	v_fmac_f32_e32 v34, v57, v42
	;; [unrolled: 1-line block ×3, first 2 shown]
	s_waitcnt lgkmcnt(0)
	v_lshrrev_b32_e32 v25, 16, v61
	v_and_b32_e32 v26, 0xffff, v61
	;;#ASMSTART
	v_cvt_f32_f16 v26, v26;
	;;#ASMEND
	;;#ASMSTART
	v_cvt_f32_f16 v25, v25;
	;;#ASMEND
	;; [unrolled: 3-line block ×4, first 2 shown]
	ds_read_b32 v53, v11 offset:72
	v_fmac_f32_e32 v34, v30, v44
	v_fmac_f32_e32 v40, v29, v59
	;; [unrolled: 1-line block ×4, first 2 shown]
	s_waitcnt lgkmcnt(0)
	v_lshrrev_b32_e32 v33, 16, v53
	v_and_b32_e32 v35, 0xffff, v53
	;;#ASMSTART
	v_cvt_f32_f16 v35, v35;
	;;#ASMEND
	;;#ASMSTART
	v_cvt_f32_f16 v33, v33;
	;;#ASMEND
	;; [unrolled: 3-line block ×4, first 2 shown]
	ds_read_b32 v38, v11 offset:76
	s_waitcnt vmcnt(3)
	v_lshrrev_b32_e32 v88, 16, v49
	v_and_b32_e32 v49, 0xffff, v49
	v_fmac_f32_e32 v34, v26, v46
	v_fmac_f32_e32 v40, v25, v51
	s_waitcnt lgkmcnt(0)
	v_lshrrev_b32_e32 v31, 16, v38
	v_and_b32_e32 v32, 0xffff, v38
	;;#ASMSTART
	v_cvt_f32_f16 v32, v32;
	;;#ASMEND
	;;#ASMSTART
	v_cvt_f32_f16 v31, v31;
	;;#ASMEND
	;;#ASMSTART
	v_cvt_f32_f16 v38, v48;
	;;#ASMEND
	;;#ASMSTART
	v_cvt_f32_f16 v39, v87;
	;;#ASMEND
	ds_read_b32 v41, v11 offset:80
	s_waitcnt vmcnt(2)
	v_lshrrev_b32_e32 v71, 16, v50
	v_and_b32_e32 v50, 0xffff, v50
	v_fmac_f32_e32 v34, v35, v36
	v_fmac_f32_e32 v40, v33, v37
	s_waitcnt lgkmcnt(0)
	v_lshrrev_b32_e32 v27, 16, v41
	v_and_b32_e32 v28, 0xffff, v41
	;;#ASMSTART
	v_cvt_f32_f16 v28, v28;
	;;#ASMEND
	;;#ASMSTART
	v_cvt_f32_f16 v27, v27;
	;;#ASMEND
	;; [unrolled: 3-line block ×4, first 2 shown]
	ds_read_b32 v41, v11 offset:84
	v_fmac_f32_e32 v34, v32, v38
	v_fmac_f32_e32 v40, v31, v39
	s_waitcnt vmcnt(1)
	v_lshrrev_b32_e32 v86, 16, v7
	v_and_b32_e32 v7, 0xffff, v7
	s_waitcnt lgkmcnt(0)
	v_lshrrev_b32_e32 v25, 16, v41
	v_and_b32_e32 v26, 0xffff, v41
	;;#ASMSTART
	v_cvt_f32_f16 v26, v26;
	;;#ASMEND
	;;#ASMSTART
	v_cvt_f32_f16 v25, v25;
	;;#ASMEND
	;; [unrolled: 3-line block ×4, first 2 shown]
	ds_read_b32 v36, v11 offset:88
	v_fmac_f32_e32 v34, v28, v29
	v_fmac_f32_e32 v40, v27, v30
	;; [unrolled: 1-line block ×4, first 2 shown]
	s_waitcnt lgkmcnt(0)
	v_lshrrev_b32_e32 v27, 16, v36
	v_and_b32_e32 v28, 0xffff, v36
	;;#ASMSTART
	v_cvt_f32_f16 v28, v28;
	;;#ASMEND
	;;#ASMSTART
	v_cvt_f32_f16 v27, v27;
	;;#ASMEND
	;; [unrolled: 3-line block ×4, first 2 shown]
	ds_read_b32 v30, v11 offset:92
	s_waitcnt vmcnt(0)
	v_lshrrev_b32_e32 v52, 16, v6
	v_and_b32_e32 v6, 0xffff, v6
	v_fmac_f32_e32 v34, v28, v7
	v_fmac_f32_e32 v40, v27, v29
	s_waitcnt lgkmcnt(0)
	v_lshrrev_b32_e32 v7, 16, v30
	v_and_b32_e32 v25, 0xffff, v30
	;;#ASMSTART
	v_cvt_f32_f16 v25, v25;
	;;#ASMEND
	;;#ASMSTART
	v_cvt_f32_f16 v7, v7;
	;;#ASMEND
	;; [unrolled: 3-line block ×4, first 2 shown]
	s_nop 0
	v_fmac_f32_e32 v34, v25, v6
	v_fmac_f32_e32 v40, v7, v26
	v_add_f32_e32 v6, v34, v40
	ds_bpermute_b32 v7, v23, v6
	v_cndmask_b32_e64 v23, v18, v21, s[0:1]
	s_waitcnt lgkmcnt(0)
	v_add_f32_e32 v6, v6, v7
	v_lshlrev_b32_e32 v7, 2, v23
	ds_bpermute_b32 v7, v7, v6
	s_and_saveexec_b64 s[38:39], vcc
	s_cbranch_execz .LBB79_11
; %bb.17:                               ;   in Loop: Header=BB79_13 Depth=1
	v_add_u32_e32 v23, v16, v14
	v_cvt_f32_i32_e32 v23, v23
	s_waitcnt lgkmcnt(0)
	v_add_f32_e32 v6, v6, v7
	v_add_u32_e32 v25, v10, v14
	v_cmp_gt_i32_e64 s[0:1], s21, v25
	v_mul_f32_e32 v7, s42, v23
	v_cndmask_b32_e64 v7, 0, v7, s[2:3]
	v_fmac_f32_e32 v7, s31, v6
	v_cndmask_b32_e64 v6, 0, v7, s[0:1]
	ds_write_b32 v15, v6
	v_max_f32_e32 v6, v12, v12
	v_max_f32_e32 v6, v6, v7
	v_cndmask_b32_e64 v12, v12, v6, s[0:1]
	s_branch .LBB79_11
.LBB79_18:
	s_or_b64 exec, exec, s[36:37]
.LBB79_19:
	s_or_b64 exec, exec, s[34:35]
	v_mbcnt_hi_u32_b32 v2, -1, v9
	v_and_b32_e32 v3, 64, v2
	v_add_u32_e32 v3, 64, v3
	v_xor_b32_e32 v4, 32, v2
	v_cmp_lt_i32_e32 vcc, v4, v3
	s_waitcnt lgkmcnt(0)
	v_xor_b32_e32 v7, 16, v2
	v_max_f32_e32 v6, v12, v12
	v_cndmask_b32_e32 v4, v2, v4, vcc
	v_lshlrev_b32_e32 v4, 2, v4
	ds_bpermute_b32 v5, v4, v12
	v_cmp_lt_i32_e32 vcc, v7, v3
	v_xor_b32_e32 v9, 8, v2
	v_xor_b32_e32 v10, 4, v2
	v_and_b32_e32 v25, 63, v0
	s_waitcnt lgkmcnt(0)
	v_max_f32_e32 v5, v5, v5
	v_max_f32_e32 v6, v6, v5
	v_cndmask_b32_e32 v5, v2, v7, vcc
	v_lshlrev_b32_e32 v5, 2, v5
	ds_bpermute_b32 v7, v5, v6
	v_cmp_lt_i32_e32 vcc, v9, v3
	s_waitcnt lgkmcnt(0)
	v_max_f32_e32 v7, v7, v7
	v_max_f32_e32 v6, v6, v7
	v_cndmask_b32_e32 v7, v2, v9, vcc
	v_lshlrev_b32_e32 v9, 2, v7
	ds_bpermute_b32 v7, v9, v6
	v_cmp_lt_i32_e32 vcc, v10, v3
	s_waitcnt lgkmcnt(0)
	v_max_f32_e32 v7, v7, v7
	v_max_f32_e32 v7, v6, v7
	v_cndmask_b32_e32 v6, v2, v10, vcc
	v_lshlrev_b32_e32 v10, 2, v6
	ds_bpermute_b32 v11, v10, v7
	v_cmp_eq_u32_e32 vcc, 0, v25
	v_lshlrev_b32_e32 v6, 2, v1
	s_and_saveexec_b64 s[0:1], vcc
	s_cbranch_execz .LBB79_21
; %bb.20:
	s_waitcnt lgkmcnt(0)
	v_max_f32_e32 v11, v11, v11
	v_max_f32_e32 v7, v7, v7
	;; [unrolled: 1-line block ×3, first 2 shown]
	ds_write_b32 v6, v7 offset:384
.LBB79_21:
	s_or_b64 exec, exec, s[0:1]
	v_cmp_gt_u32_e64 s[0:1], 2, v25
	s_waitcnt lgkmcnt(0)
	v_mov_b32_e32 v11, 0xff7fffff
	v_lshlrev_b32_e32 v7, 2, v25
	s_barrier
	s_and_saveexec_b64 s[2:3], s[0:1]
	s_cbranch_execz .LBB79_23
; %bb.22:
	ds_read_b32 v11, v7 offset:384
.LBB79_23:
	s_or_b64 exec, exec, s[2:3]
	v_xor_b32_e32 v12, 1, v2
	v_cmp_lt_i32_e64 s[2:3], v12, v3
	v_lshlrev_b32_e32 v13, 2, v2
	s_nop 0
	v_cndmask_b32_e64 v12, v2, v12, s[2:3]
	v_lshlrev_b32_e32 v26, 2, v12
	s_waitcnt lgkmcnt(0)
	ds_bpermute_b32 v12, v26, v11
	v_max_f32_e32 v11, v11, v11
	s_lshl_b32 s2, s41, 4
	s_min_i32 s15, s2, s21
	v_cmp_gt_i32_e64 s[2:3], s15, v0
	s_waitcnt lgkmcnt(0)
	v_max_f32_e32 v12, v12, v12
	v_max_f32_e32 v12, v11, v12
	v_and_b32_e32 v11, 0x100, v13
	ds_bpermute_b32 v13, v11, v12
	v_mov_b32_e32 v12, 0
	s_and_saveexec_b64 s[30:31], s[2:3]
	s_cbranch_execz .LBB79_27
; %bb.24:
	v_mov_b32_e32 v12, 0x190
	v_lshl_add_u32 v14, v0, 2, v12
	s_mov_b64 s[34:35], 0
	v_mov_b32_e32 v12, 0
	v_mov_b32_e32 v15, v0
.LBB79_25:                              ; =>This Inner Loop Header: Depth=1
	ds_read_b32 v16, v14
	v_add_u32_e32 v15, 0x80, v15
	v_cmp_le_i32_e64 s[8:9], s15, v15
	s_or_b64 s[34:35], s[8:9], s[34:35]
	s_waitcnt lgkmcnt(0)
	v_sub_f32_e32 v16, v16, v13
	v_mul_f32_e32 v16, 0x3fb8aa3b, v16
	v_exp_f32_e32 v16, v16
	ds_write_b32 v14, v16
	v_add_f32_e32 v12, v12, v16
	v_add_u32_e32 v14, 0x200, v14
	s_andn2_b64 exec, exec, s[34:35]
	s_cbranch_execnz .LBB79_25
; %bb.26:
	s_or_b64 exec, exec, s[34:35]
.LBB79_27:
	s_or_b64 exec, exec, s[30:31]
	ds_bpermute_b32 v4, v4, v12
	s_waitcnt lgkmcnt(0)
	v_add_f32_e32 v4, v12, v4
	ds_bpermute_b32 v5, v5, v4
	s_waitcnt lgkmcnt(0)
	v_add_f32_e32 v4, v4, v5
	ds_bpermute_b32 v5, v9, v4
	v_xor_b32_e32 v9, 2, v2
	v_cmp_lt_i32_e64 s[8:9], v9, v3
	s_waitcnt lgkmcnt(0)
	v_add_f32_e32 v4, v4, v5
	ds_bpermute_b32 v5, v10, v4
	v_cndmask_b32_e64 v2, v2, v9, s[8:9]
	v_lshlrev_b32_e32 v2, 2, v2
	s_waitcnt lgkmcnt(0)
	v_add_f32_e32 v3, v4, v5
	ds_bpermute_b32 v2, v2, v3
	s_waitcnt lgkmcnt(0)
	v_add_f32_e32 v2, v3, v2
	ds_bpermute_b32 v3, v26, v2
	s_waitcnt lgkmcnt(0)
	v_add_f32_e32 v2, v2, v3
	s_and_saveexec_b64 s[8:9], vcc
	s_cbranch_execz .LBB79_29
; %bb.28:
	ds_write_b32 v6, v2 offset:392
.LBB79_29:
	s_or_b64 exec, exec, s[8:9]
	s_waitcnt lgkmcnt(0)
	s_barrier
	s_and_saveexec_b64 s[8:9], s[0:1]
	s_cbranch_execz .LBB79_31
; %bb.30:
	ds_read_b32 v2, v7 offset:392
.LBB79_31:
	s_or_b64 exec, exec, s[8:9]
	s_waitcnt lgkmcnt(0)
	ds_bpermute_b32 v3, v26, v2
	s_waitcnt lgkmcnt(0)
	v_add_f32_e32 v2, v2, v3
	ds_bpermute_b32 v2, v11, v2
	s_and_saveexec_b64 s[0:1], s[2:3]
	s_cbranch_execz .LBB79_44
; %bb.32:
	s_waitcnt lgkmcnt(0)
	v_add_f32_e32 v2, 0x358637bd, v2
	v_div_scale_f32 v3, s[2:3], v2, v2, 1.0
	v_rcp_f32_e32 v4, v3
	v_div_scale_f32 v5, vcc, 1.0, v2, 1.0
	s_movk_i32 s2, 0x7f
	v_fma_f32 v6, -v3, v4, 1.0
	v_fmac_f32_e32 v4, v6, v4
	v_mul_f32_e32 v6, v5, v4
	v_fma_f32 v7, -v3, v6, v5
	v_fmac_f32_e32 v6, v7, v4
	v_fma_f32 v3, -v3, v6, v5
	v_div_fmas_f32 v3, v3, v4, v6
	v_xad_u32 v4, v0, -1, s15
	v_div_fixup_f32 v2, v3, v2, 1.0
	v_cmp_lt_u32_e32 vcc, s2, v4
	s_mov_b64 s[8:9], -1
	v_mov_b32_e32 v3, v0
	s_and_saveexec_b64 s[2:3], vcc
	s_cbranch_execz .LBB79_41
; %bb.33:
	v_lshrrev_b32_e32 v4, 7, v4
	v_add_u32_e32 v6, -1, v4
	v_lshrrev_b32_e32 v5, 1, v6
	v_mov_b32_e32 v3, v2
	v_add_u32_e32 v5, 1, v5
	v_cmp_lt_u32_e32 vcc, 13, v6
	v_mov_b32_e32 v9, 0
	s_and_saveexec_b64 s[8:9], vcc
	s_cbranch_execz .LBB79_37
; %bb.34:
	v_mov_b32_e32 v7, 0x190
	v_and_b32_e32 v6, -8, v5
	v_lshl_add_u32 v7, v0, 2, v7
	s_mov_b32 s34, 0
	s_mov_b64 s[30:31], 0
.LBB79_35:                              ; =>This Inner Loop Header: Depth=1
	ds_read2st64_b32 v[10:11], v7 offset1:2
	ds_read2st64_b32 v[12:13], v7 offset0:4 offset1:6
	ds_read2st64_b32 v[14:15], v7 offset0:8 offset1:10
	;; [unrolled: 1-line block ×3, first 2 shown]
	v_add_u32_e32 v6, -8, v6
	s_waitcnt lgkmcnt(3)
	v_pk_mul_f32 v[10:11], v[2:3], v[10:11]
	s_waitcnt lgkmcnt(2)
	v_pk_mul_f32 v[12:13], v[2:3], v[12:13]
	ds_write2st64_b32 v7, v10, v11 offset1:2
	ds_write2st64_b32 v7, v12, v13 offset0:4 offset1:6
	ds_read2st64_b32 v[12:13], v7 offset0:16 offset1:18
	s_waitcnt lgkmcnt(4)
	v_pk_mul_f32 v[10:11], v[2:3], v[14:15]
	ds_write2st64_b32 v7, v10, v11 offset0:8 offset1:10
	s_waitcnt lgkmcnt(4)
	v_pk_mul_f32 v[10:11], v[2:3], v[16:17]
	ds_write2st64_b32 v7, v10, v11 offset0:12 offset1:14
	ds_read2st64_b32 v[10:11], v7 offset0:20 offset1:22
	s_waitcnt lgkmcnt(3)
	v_pk_mul_f32 v[12:13], v[2:3], v[12:13]
	ds_read2st64_b32 v[14:15], v7 offset0:24 offset1:26
	ds_write2st64_b32 v7, v12, v13 offset0:16 offset1:18
	ds_read2st64_b32 v[12:13], v7 offset0:28 offset1:30
	s_waitcnt lgkmcnt(3)
	v_pk_mul_f32 v[10:11], v[2:3], v[10:11]
	ds_write2st64_b32 v7, v10, v11 offset0:20 offset1:22
	s_waitcnt lgkmcnt(3)
	v_pk_mul_f32 v[10:11], v[2:3], v[14:15]
	ds_write2st64_b32 v7, v10, v11 offset0:24 offset1:26
	s_waitcnt lgkmcnt(2)
	v_pk_mul_f32 v[10:11], v[2:3], v[12:13]
	s_add_i32 s34, s34, 16
	v_cmp_eq_u32_e32 vcc, 0, v6
	ds_write2st64_b32 v7, v10, v11 offset0:28 offset1:30
	v_add_u32_e32 v7, 0x2000, v7
	s_or_b64 s[30:31], vcc, s[30:31]
	v_mov_b32_e32 v9, s34
	s_andn2_b64 exec, exec, s[30:31]
	s_cbranch_execnz .LBB79_35
; %bb.36:
	s_or_b64 exec, exec, s[30:31]
.LBB79_37:
	s_or_b64 exec, exec, s[8:9]
	v_and_b32_e32 v5, 7, v5
	v_cmp_ne_u32_e32 vcc, 0, v5
	s_and_saveexec_b64 s[8:9], vcc
	s_cbranch_execz .LBB79_40
; %bb.38:
	v_lshlrev_b32_e32 v6, 9, v9
	v_lshlrev_b32_e32 v7, 2, v0
	s_movk_i32 s30, 0x190
	v_add3_u32 v6, v6, v7, s30
	s_mov_b64 s[30:31], 0
.LBB79_39:                              ; =>This Inner Loop Header: Depth=1
	ds_read2st64_b32 v[10:11], v6 offset1:2
	v_add_u32_e32 v5, -1, v5
	v_cmp_eq_u32_e32 vcc, 0, v5
	s_or_b64 s[30:31], vcc, s[30:31]
	s_waitcnt lgkmcnt(0)
	v_pk_mul_f32 v[10:11], v[2:3], v[10:11]
	ds_write2st64_b32 v6, v10, v11 offset1:2
	v_add_u32_e32 v6, 0x400, v6
	s_andn2_b64 exec, exec, s[30:31]
	s_cbranch_execnz .LBB79_39
.LBB79_40:
	s_or_b64 exec, exec, s[8:9]
	v_add_u32_e32 v4, 1, v4
	v_and_b32_e32 v5, 0x3fffffe, v4
	v_cmp_ne_u32_e32 vcc, v4, v5
	v_lshl_add_u32 v3, v5, 7, v0
	s_orn2_b64 s[8:9], vcc, exec
.LBB79_41:
	s_or_b64 exec, exec, s[2:3]
	s_and_b64 exec, exec, s[8:9]
	s_cbranch_execz .LBB79_44
; %bb.42:
	v_mov_b32_e32 v4, 0x190
	v_lshl_add_u32 v4, v3, 2, v4
	s_mov_b64 s[2:3], 0
.LBB79_43:                              ; =>This Inner Loop Header: Depth=1
	ds_read_b32 v5, v4
	v_add_u32_e32 v3, 0x80, v3
	v_cmp_le_i32_e32 vcc, s15, v3
	s_or_b64 s[2:3], vcc, s[2:3]
	s_waitcnt lgkmcnt(0)
	v_mul_f32_e32 v5, v2, v5
	ds_write_b32 v4, v5
	v_add_u32_e32 v4, 0x200, v4
	s_andn2_b64 exec, exec, s[2:3]
	s_cbranch_execnz .LBB79_43
.LBB79_44:
	s_or_b64 exec, exec, s[0:1]
	s_mov_b32 s8, 0
	v_mov_b32_e32 v7, 0
	v_and_b32_e32 v27, 1, v0
	v_mov_b32_e32 v6, 0
	v_mov_b32_e32 v5, 0
	;; [unrolled: 1-line block ×4, first 2 shown]
	s_waitcnt lgkmcnt(0)
	v_mov_b32_e32 v2, 0
	s_barrier
	s_and_saveexec_b64 s[2:3], s[6:7]
	s_cbranch_execz .LBB79_62
; %bb.45:
	s_ashr_i32 s15, s14, 31
	s_sub_i32 s17, s12, s17
	s_lshl_b64 s[0:1], s[14:15], 1
	s_add_u32 s6, s28, s0
	v_lshlrev_b32_e32 v2, 3, v0
	s_addc_u32 s7, s29, s1
	s_abs_i32 s18, s18
	v_and_b32_e32 v28, 8, v2
	v_and_b32_e32 v10, 0x1f8, v2
	v_cvt_f32_u32_e32 v2, s18
	s_sub_i32 s0, 0, s18
	s_add_i32 s28, s41, -1
	s_mov_b32 s9, s8
	v_rcp_iflag_f32_e32 v2, v2
	s_mov_b32 s30, s13
	v_mov_b32_e32 v13, 0
	v_or_b32_e32 v18, 0x800, v10
	v_mul_f32_e32 v2, 0x4f7ffffe, v2
	v_cvt_u32_f32_e32 v2, v2
	v_or_b32_e32 v20, 0xa00, v10
	v_and_b32_e32 v12, 60, v8
	s_mov_b32 s12, s8
	v_mul_lo_u32 v3, s0, v2
	v_mul_hi_u32 v3, v2, v3
	v_add_u32_e32 v29, v2, v3
	s_lshl_b64 s[0:1], s[26:27], 2
	v_lshlrev_b32_e32 v2, 5, v27
	s_add_u32 s0, s10, s0
	v_lshl_or_b32 v2, v1, 6, v2
	s_addc_u32 s1, s11, s1
	v_add_u32_e32 v30, 0x190, v2
	s_mov_b32 s10, s8
	s_mov_b32 s11, s8
	;; [unrolled: 1-line block ×3, first 2 shown]
	v_mov_b64_e32 v[2:3], s[8:9]
	s_mov_b32 s29, s21
	s_mov_b32 s31, s21
	;; [unrolled: 1-line block ×7, first 2 shown]
	v_lshl_add_u64 v[14:15], s[0:1], 0, v[12:13]
	s_mov_b64 s[14:15], 0
	v_mov_b64_e32 v[4:5], s[10:11]
	v_mov_b64_e32 v[6:7], s[12:13]
	v_lshlrev_b32_e32 v16, 1, v10
	s_mov_b32 s12, 0x5040100
	v_lshlrev_b32_e32 v12, 1, v18
	v_lshlrev_b32_e32 v18, 1, v20
	s_branch .LBB79_48
.LBB79_46:                              ;   in Loop: Header=BB79_48 Depth=1
	s_or_b64 exec, exec, s[0:1]
	s_waitcnt vmcnt(0)
	;;#ASMSTART
	v_pk_mul_f16 v8, v41, v8;

	;;#ASMEND
	;;#ASMSTART
	v_pk_mul_f16 v9, v40, v9;

	;;#ASMEND
	;; [unrolled: 4-line block ×4, first 2 shown]
	v_add_f32_e32 v17, v42, v43
	;;#ASMSTART
	v_pk_add_f16 v8, v8, v9;

	;;#ASMEND
	v_add_f32_e32 v2, v2, v17
	;;#ASMSTART
	v_pk_add_f16 v8, v8, v10;

	;;#ASMEND
	v_add_f32_e32 v17, v44, v45
	;;#ASMSTART
	v_pk_add_f16 v8, v8, v11;

	;;#ASMEND
	v_add_f32_e32 v3, v3, v17
	v_add_f32_e32 v17, v46, v47
	v_lshrrev_b32_e32 v9, 16, v8
	v_and_b32_e32 v8, 0xffff, v8
	v_add_f32_e32 v4, v4, v17
	v_add_f32_e32 v17, v22, v23
	;;#ASMSTART
	v_cvt_f32_f16 v8, v8;
	;;#ASMEND
	v_add_f32_e32 v5, v5, v17
	v_add_f32_e32 v17, v48, v49
	;;#ASMSTART
	v_cvt_f32_f16 v9, v9;
	;;#ASMEND
	v_add_f32_e32 v6, v6, v17
	v_add_f32_e32 v8, v8, v9
	;; [unrolled: 1-line block ×3, first 2 shown]
.LBB79_47:                              ;   in Loop: Header=BB79_48 Depth=1
	s_or_b64 exec, exec, s[8:9]
	v_add_u32_e32 v1, 2, v1
	v_cmp_le_i32_e32 vcc, s41, v1
	v_lshl_add_u64 v[14:15], v[14:15], 0, 8
	v_add_u32_e32 v24, 32, v24
	s_or_b64 s[14:15], vcc, s[14:15]
	v_add_u32_e32 v30, 0x80, v30
	s_andn2_b64 exec, exec, s[14:15]
	s_cbranch_execz .LBB79_61
.LBB79_48:                              ; =>This Inner Loop Header: Depth=1
	v_mul_hi_u32 v8, v24, s33
	v_mul_lo_u32 v9, v8, s23
	v_sub_u32_e32 v9, v24, v9
	v_add_u32_e32 v10, 1, v8
	v_cmp_le_u32_e32 vcc, s23, v9
	s_nop 1
	v_cndmask_b32_e32 v8, v8, v10, vcc
	v_subrev_u32_e32 v10, s23, v9
	v_cndmask_b32_e32 v9, v9, v10, vcc
	v_add_u32_e32 v10, 1, v8
	v_cmp_le_u32_e32 vcc, s23, v9
	s_nop 1
	v_cndmask_b32_e32 v8, v8, v10, vcc
	v_xor_b32_e32 v8, s19, v8
	v_subrev_u32_e32 v8, s19, v8
	v_add_u32_e32 v9, s40, v8
	v_sub_u32_e32 v11, 0, v9
	v_ashrrev_i32_e32 v10, 31, v9
	v_max_i32_e32 v9, v9, v11
	v_mul_hi_u32 v11, v9, v29
	v_mul_lo_u32 v11, v11, s18
	v_sub_u32_e32 v9, v9, v11
	v_subrev_u32_e32 v11, s18, v9
	v_cmp_le_u32_e32 vcc, s18, v9
	v_cmp_lt_i32_e64 s[0:1], s17, v8
	s_nop 0
	v_cndmask_b32_e32 v9, v9, v11, vcc
	v_subrev_u32_e32 v11, s18, v9
	v_cmp_le_u32_e32 vcc, s18, v9
	s_nop 1
	v_cndmask_b32_e32 v9, v9, v11, vcc
	v_xor_b32_e32 v9, v9, v10
	v_sub_u32_e32 v9, v9, v10
	v_cmp_eq_u32_e32 vcc, 0, v9
	s_or_b64 s[0:1], vcc, s[0:1]
	s_and_saveexec_b64 s[8:9], s[0:1]
	s_cbranch_execz .LBB79_47
; %bb.49:                               ;   in Loop: Header=BB79_48 Depth=1
	global_load_dword v17, v[14:15], off
	ds_read2_b64 v[8:11], v30 offset1:1
	ds_read2_b64 v[20:23], v30 offset0:2 offset1:3
	v_cmp_eq_u32_e32 vcc, s28, v1
	s_waitcnt lgkmcnt(1)
	;;#ASMSTART
	v_cvt_f16_f32 v19, v8;

	;;#ASMEND
	;;#ASMSTART
	v_cvt_f16_f32 v38, v9;

	;;#ASMEND
	;; [unrolled: 4-line block ×4, first 2 shown]
	s_waitcnt lgkmcnt(0)
	;;#ASMSTART
	v_cvt_f16_f32 v42, v20;

	;;#ASMEND
	;;#ASMSTART
	v_cvt_f16_f32 v43, v21;

	;;#ASMEND
	;; [unrolled: 4-line block ×4, first 2 shown]
	s_waitcnt vmcnt(0)
	v_mad_i64_i32 v[8:9], s[0:1], v17, s30, 0
	v_lshl_add_u64 v[20:21], v[8:9], 1, s[6:7]
	v_mov_b32_e32 v17, v13
	v_lshl_add_u64 v[22:23], v[20:21], 0, v[16:17]
	global_load_dwordx4 v[8:11], v[22:23], off
	v_add_u32_e32 v17, v28, v24
	v_add_u32_e32 v31, 1, v17
	v_or_b32_e32 v33, 3, v17
	v_or_b32_e32 v32, 2, v17
	;; [unrolled: 1-line block ×6, first 2 shown]
	s_and_saveexec_b64 s[10:11], vcc
	s_cbranch_execz .LBB79_51
; %bb.50:                               ;   in Loop: Header=BB79_48 Depth=1
	s_waitcnt vmcnt(0)
	v_lshrrev_b32_e32 v41, 16, v11
	v_cmp_gt_i32_e64 s[0:1], s38, v37
	s_nop 1
	v_cndmask_b32_e64 v41, 0, v41, s[0:1]
	v_cmp_gt_i32_e64 s[0:1], s37, v36
	s_nop 1
	v_cndmask_b32_e64 v11, 0, v11, s[0:1]
	v_perm_b32 v11, v41, v11, s12
	v_lshrrev_b32_e32 v41, 16, v10
	v_cmp_gt_i32_e64 s[0:1], s36, v35
	s_nop 1
	v_cndmask_b32_e64 v41, 0, v41, s[0:1]
	v_cmp_gt_i32_e64 s[0:1], s35, v34
	s_nop 1
	v_cndmask_b32_e64 v10, 0, v10, s[0:1]
	v_perm_b32 v10, v41, v10, s12
	;; [unrolled: 8-line block ×4, first 2 shown]
.LBB79_51:                              ;   in Loop: Header=BB79_48 Depth=1
	s_or_b64 exec, exec, s[10:11]
	v_and_b32_e32 v19, 0xffff, v19
	v_lshl_or_b32 v41, v38, 16, v19
	v_and_b32_e32 v19, 0xffff, v39
	v_lshl_or_b32 v40, v40, 16, v19
	;; [unrolled: 2-line block ×3, first 2 shown]
	v_and_b32_e32 v19, 0xffff, v44
	s_waitcnt vmcnt(0)
	;;#ASMSTART
	v_pk_mul_f16 v8, v41, v8;

	;;#ASMEND
	v_lshl_or_b32 v38, v45, 16, v19
	;;#ASMSTART
	v_pk_mul_f16 v9, v40, v9;

	;;#ASMEND
	;;#ASMSTART
	v_pk_mul_f16 v10, v39, v10;

	;;#ASMEND
	;; [unrolled: 4-line block ×3, first 2 shown]
	s_nop 0
	;;#ASMSTART
	v_pk_add_f16 v8, v8, v9;

	;;#ASMEND
	s_nop 0
	;;#ASMSTART
	v_pk_add_f16 v8, v8, v10;

	;;#ASMEND
	;; [unrolled: 5-line block ×3, first 2 shown]
	s_nop 0
	v_lshrrev_b32_e32 v9, 16, v8
	v_and_b32_e32 v8, 0xffff, v8
	;;#ASMSTART
	v_cvt_f32_f16 v42, v8;
	;;#ASMEND
	;;#ASMSTART
	v_cvt_f32_f16 v43, v9;
	;;#ASMEND
	global_load_dwordx4 v[8:11], v[22:23], off offset:1024
	s_and_saveexec_b64 s[10:11], vcc
	s_cbranch_execz .LBB79_53
; %bb.52:                               ;   in Loop: Header=BB79_48 Depth=1
	s_waitcnt vmcnt(0)
	v_lshrrev_b32_e32 v19, 16, v11
	v_cmp_gt_i32_e64 s[0:1], s38, v37
	s_nop 1
	v_cndmask_b32_e64 v19, 0, v19, s[0:1]
	v_cmp_gt_i32_e64 s[0:1], s37, v36
	s_nop 1
	v_cndmask_b32_e64 v11, 0, v11, s[0:1]
	v_perm_b32 v11, v19, v11, s12
	v_lshrrev_b32_e32 v19, 16, v10
	v_cmp_gt_i32_e64 s[0:1], s36, v35
	s_nop 1
	v_cndmask_b32_e64 v19, 0, v19, s[0:1]
	v_cmp_gt_i32_e64 s[0:1], s35, v34
	s_nop 1
	v_cndmask_b32_e64 v10, 0, v10, s[0:1]
	v_perm_b32 v10, v19, v10, s12
	;; [unrolled: 8-line block ×4, first 2 shown]
.LBB79_53:                              ;   in Loop: Header=BB79_48 Depth=1
	s_or_b64 exec, exec, s[10:11]
	s_waitcnt vmcnt(0)
	;;#ASMSTART
	v_pk_mul_f16 v8, v41, v8;

	;;#ASMEND
	;;#ASMSTART
	v_pk_mul_f16 v9, v40, v9;

	;;#ASMEND
	;; [unrolled: 4-line block ×4, first 2 shown]
	s_nop 0
	;;#ASMSTART
	v_pk_add_f16 v8, v8, v9;

	;;#ASMEND
	s_nop 0
	;;#ASMSTART
	v_pk_add_f16 v8, v8, v10;

	;;#ASMEND
	;; [unrolled: 5-line block ×3, first 2 shown]
	s_nop 0
	v_lshrrev_b32_e32 v9, 16, v8
	v_and_b32_e32 v8, 0xffff, v8
	;;#ASMSTART
	v_cvt_f32_f16 v44, v8;
	;;#ASMEND
	;;#ASMSTART
	v_cvt_f32_f16 v45, v9;
	;;#ASMEND
	global_load_dwordx4 v[8:11], v[22:23], off offset:2048
	s_and_saveexec_b64 s[10:11], vcc
	s_cbranch_execz .LBB79_55
; %bb.54:                               ;   in Loop: Header=BB79_48 Depth=1
	s_waitcnt vmcnt(0)
	v_lshrrev_b32_e32 v19, 16, v11
	v_cmp_gt_i32_e64 s[0:1], s38, v37
	s_nop 1
	v_cndmask_b32_e64 v19, 0, v19, s[0:1]
	v_cmp_gt_i32_e64 s[0:1], s37, v36
	s_nop 1
	v_cndmask_b32_e64 v11, 0, v11, s[0:1]
	v_perm_b32 v11, v19, v11, s12
	v_lshrrev_b32_e32 v19, 16, v10
	v_cmp_gt_i32_e64 s[0:1], s36, v35
	s_nop 1
	v_cndmask_b32_e64 v19, 0, v19, s[0:1]
	v_cmp_gt_i32_e64 s[0:1], s35, v34
	s_nop 1
	v_cndmask_b32_e64 v10, 0, v10, s[0:1]
	v_perm_b32 v10, v19, v10, s12
	v_lshrrev_b32_e32 v19, 16, v9
	v_cmp_gt_i32_e64 s[0:1], s34, v33
	s_nop 1
	v_cndmask_b32_e64 v19, 0, v19, s[0:1]
	v_cmp_gt_i32_e64 s[0:1], s31, v32
	s_nop 1
	v_cndmask_b32_e64 v9, 0, v9, s[0:1]
	v_perm_b32 v9, v19, v9, s12
	v_lshrrev_b32_e32 v19, 16, v8
	v_cmp_gt_i32_e64 s[0:1], s29, v31
	s_nop 1
	v_cndmask_b32_e64 v19, 0, v19, s[0:1]
	v_cmp_gt_i32_e64 s[0:1], s21, v17
	s_nop 1
	v_cndmask_b32_e64 v8, 0, v8, s[0:1]
	v_perm_b32 v8, v19, v8, s12
.LBB79_55:                              ;   in Loop: Header=BB79_48 Depth=1
	s_or_b64 exec, exec, s[10:11]
	s_waitcnt vmcnt(0)
	;;#ASMSTART
	v_pk_mul_f16 v8, v41, v8;

	;;#ASMEND
	;;#ASMSTART
	v_pk_mul_f16 v9, v40, v9;

	;;#ASMEND
	;; [unrolled: 4-line block ×4, first 2 shown]
	s_nop 0
	;;#ASMSTART
	v_pk_add_f16 v8, v8, v9;

	;;#ASMEND
	s_nop 0
	;;#ASMSTART
	v_pk_add_f16 v8, v8, v10;

	;;#ASMEND
	;; [unrolled: 5-line block ×3, first 2 shown]
	s_nop 0
	v_lshrrev_b32_e32 v9, 16, v8
	v_and_b32_e32 v8, 0xffff, v8
	;;#ASMSTART
	v_cvt_f32_f16 v46, v8;
	;;#ASMEND
	;;#ASMSTART
	v_cvt_f32_f16 v47, v9;
	;;#ASMEND
	global_load_dwordx4 v[8:11], v[22:23], off offset:3072
	s_and_saveexec_b64 s[10:11], vcc
	s_cbranch_execz .LBB79_57
; %bb.56:                               ;   in Loop: Header=BB79_48 Depth=1
	s_waitcnt vmcnt(0)
	v_lshrrev_b32_e32 v19, 16, v11
	v_cmp_gt_i32_e64 s[0:1], s38, v37
	s_nop 1
	v_cndmask_b32_e64 v19, 0, v19, s[0:1]
	v_cmp_gt_i32_e64 s[0:1], s37, v36
	s_nop 1
	v_cndmask_b32_e64 v11, 0, v11, s[0:1]
	v_perm_b32 v11, v19, v11, s12
	v_lshrrev_b32_e32 v19, 16, v10
	v_cmp_gt_i32_e64 s[0:1], s36, v35
	s_nop 1
	v_cndmask_b32_e64 v19, 0, v19, s[0:1]
	v_cmp_gt_i32_e64 s[0:1], s35, v34
	s_nop 1
	v_cndmask_b32_e64 v10, 0, v10, s[0:1]
	v_perm_b32 v10, v19, v10, s12
	;; [unrolled: 8-line block ×4, first 2 shown]
.LBB79_57:                              ;   in Loop: Header=BB79_48 Depth=1
	s_or_b64 exec, exec, s[10:11]
	s_waitcnt vmcnt(0)
	;;#ASMSTART
	v_pk_mul_f16 v8, v41, v8;

	;;#ASMEND
	;;#ASMSTART
	v_pk_mul_f16 v9, v40, v9;

	;;#ASMEND
	;; [unrolled: 4-line block ×4, first 2 shown]
	s_nop 0
	;;#ASMSTART
	v_pk_add_f16 v8, v8, v9;

	;;#ASMEND
	s_nop 0
	;;#ASMSTART
	v_pk_add_f16 v8, v8, v10;

	;;#ASMEND
	;; [unrolled: 5-line block ×3, first 2 shown]
	s_nop 0
	v_lshrrev_b32_e32 v9, 16, v8
	v_and_b32_e32 v8, 0xffff, v8
	;;#ASMSTART
	v_cvt_f32_f16 v22, v8;
	;;#ASMEND
	;;#ASMSTART
	v_cvt_f32_f16 v23, v9;
	;;#ASMEND
	v_lshl_add_u64 v[8:9], v[20:21], 0, v[12:13]
	global_load_dwordx4 v[8:11], v[8:9], off
	s_and_saveexec_b64 s[10:11], vcc
	s_cbranch_execz .LBB79_59
; %bb.58:                               ;   in Loop: Header=BB79_48 Depth=1
	s_waitcnt vmcnt(0)
	v_lshrrev_b32_e32 v19, 16, v11
	v_cmp_gt_i32_e64 s[0:1], s38, v37
	s_nop 1
	v_cndmask_b32_e64 v19, 0, v19, s[0:1]
	v_cmp_gt_i32_e64 s[0:1], s37, v36
	s_nop 1
	v_cndmask_b32_e64 v11, 0, v11, s[0:1]
	v_perm_b32 v11, v19, v11, s12
	v_lshrrev_b32_e32 v19, 16, v10
	v_cmp_gt_i32_e64 s[0:1], s36, v35
	s_nop 1
	v_cndmask_b32_e64 v19, 0, v19, s[0:1]
	v_cmp_gt_i32_e64 s[0:1], s35, v34
	s_nop 1
	v_cndmask_b32_e64 v10, 0, v10, s[0:1]
	v_perm_b32 v10, v19, v10, s12
	;; [unrolled: 8-line block ×4, first 2 shown]
.LBB79_59:                              ;   in Loop: Header=BB79_48 Depth=1
	s_or_b64 exec, exec, s[10:11]
	s_waitcnt vmcnt(0)
	;;#ASMSTART
	v_pk_mul_f16 v8, v41, v8;

	;;#ASMEND
	;;#ASMSTART
	v_pk_mul_f16 v9, v40, v9;

	;;#ASMEND
	;; [unrolled: 4-line block ×4, first 2 shown]
	v_mov_b32_e32 v19, v13
	;;#ASMSTART
	v_pk_add_f16 v8, v8, v9;

	;;#ASMEND
	s_nop 0
	;;#ASMSTART
	v_pk_add_f16 v8, v8, v10;

	;;#ASMEND
	s_nop 0
	;; [unrolled: 5-line block ×3, first 2 shown]
	v_lshrrev_b32_e32 v9, 16, v8
	v_and_b32_e32 v8, 0xffff, v8
	;;#ASMSTART
	v_cvt_f32_f16 v48, v8;
	;;#ASMEND
	;;#ASMSTART
	v_cvt_f32_f16 v49, v9;
	;;#ASMEND
	v_lshl_add_u64 v[8:9], v[20:21], 0, v[18:19]
	global_load_dwordx4 v[8:11], v[8:9], off
	s_and_saveexec_b64 s[0:1], vcc
	s_cbranch_execz .LBB79_46
; %bb.60:                               ;   in Loop: Header=BB79_48 Depth=1
	s_waitcnt vmcnt(0)
	v_lshrrev_b32_e32 v19, 16, v11
	v_cmp_gt_i32_e32 vcc, s38, v37
	s_nop 1
	v_cndmask_b32_e32 v19, 0, v19, vcc
	v_cmp_gt_i32_e32 vcc, s37, v36
	s_nop 1
	v_cndmask_b32_e32 v11, 0, v11, vcc
	v_perm_b32 v11, v19, v11, s12
	v_lshrrev_b32_e32 v19, 16, v10
	v_cmp_gt_i32_e32 vcc, s36, v35
	s_nop 1
	v_cndmask_b32_e32 v19, 0, v19, vcc
	v_cmp_gt_i32_e32 vcc, s35, v34
	s_nop 1
	v_cndmask_b32_e32 v10, 0, v10, vcc
	v_perm_b32 v10, v19, v10, s12
	v_lshrrev_b32_e32 v19, 16, v9
	v_cmp_gt_i32_e32 vcc, s34, v33
	s_nop 1
	v_cndmask_b32_e32 v19, 0, v19, vcc
	v_cmp_gt_i32_e32 vcc, s31, v32
	s_nop 1
	v_cndmask_b32_e32 v9, 0, v9, vcc
	v_perm_b32 v9, v19, v9, s12
	v_lshrrev_b32_e32 v19, 16, v8
	v_cmp_gt_i32_e32 vcc, s29, v31
	s_nop 1
	v_cndmask_b32_e32 v19, 0, v19, vcc
	v_cmp_gt_i32_e32 vcc, s21, v17
	s_nop 1
	v_cndmask_b32_e32 v8, 0, v8, vcc
	v_perm_b32 v8, v19, v8, s12
	s_branch .LBB79_46
.LBB79_61:
	s_or_b64 exec, exec, s[14:15]
.LBB79_62:
	s_or_b64 exec, exec, s[2:3]
	ds_bpermute_b32 v8, v26, v2
	ds_bpermute_b32 v9, v26, v3
	;; [unrolled: 1-line block ×6, first 2 shown]
	v_and_b32_e32 v1, 0x3c1, v0
	s_waitcnt lgkmcnt(4)
	v_pk_add_f32 v[8:9], v[2:3], v[8:9]
	s_waitcnt lgkmcnt(2)
	v_pk_add_f32 v[4:5], v[4:5], v[10:11]
	v_cmp_eq_u32_e32 vcc, 64, v1
	s_waitcnt lgkmcnt(0)
	v_pk_add_f32 v[2:3], v[6:7], v[12:13]
	s_barrier
	s_and_saveexec_b64 s[0:1], vcc
	s_cbranch_execz .LBB79_64
; %bb.63:
	v_mov_b32_e32 v6, 0x190
	v_lshl_add_u32 v6, v25, 1, v6
	ds_write2_b32 v6, v8, v9 offset1:32
	ds_write2_b32 v6, v4, v5 offset0:64 offset1:96
	ds_write2_b32 v6, v2, v3 offset0:128 offset1:160
.LBB79_64:
	s_or_b64 exec, exec, s[0:1]
	v_cmp_gt_u32_e32 vcc, 64, v0
	s_waitcnt lgkmcnt(0)
	s_barrier
	s_and_saveexec_b64 s[0:1], vcc
	s_cbranch_execz .LBB79_73
; %bb.65:
	v_cmp_eq_u32_e32 vcc, 0, v27
	v_lshrrev_b32_e32 v6, 1, v0
	s_and_saveexec_b64 s[2:3], vcc
	s_cbranch_execnz .LBB79_76
; %bb.66:
	s_or_b64 exec, exec, s[2:3]
	s_and_saveexec_b64 s[2:3], vcc
	s_cbranch_execnz .LBB79_77
.LBB79_67:
	s_or_b64 exec, exec, s[2:3]
	s_and_saveexec_b64 s[2:3], vcc
	s_cbranch_execnz .LBB79_78
.LBB79_68:
	s_or_b64 exec, exec, s[2:3]
	s_and_saveexec_b64 s[2:3], vcc
	s_cbranch_execnz .LBB79_79
.LBB79_69:
	s_or_b64 exec, exec, s[2:3]
	s_and_saveexec_b64 s[2:3], vcc
	s_cbranch_execnz .LBB79_80
.LBB79_70:
	s_or_b64 exec, exec, s[2:3]
	s_and_saveexec_b64 s[2:3], vcc
	s_cbranch_execz .LBB79_72
.LBB79_71:
	v_mov_b32_e32 v7, 0x190
	v_lshl_add_u32 v6, v6, 2, v7
	ds_read_b32 v6, v6 offset:640
	s_waitcnt lgkmcnt(0)
	v_add_f32_e32 v3, v3, v6
.LBB79_72:
	s_or_b64 exec, exec, s[2:3]
.LBB79_73:
	s_or_b64 exec, exec, s[0:1]
	v_cmp_eq_u32_e32 vcc, 0, v1
	s_barrier
	s_and_saveexec_b64 s[0:1], vcc
	s_cbranch_execz .LBB79_75
; %bb.74:
	s_mul_i32 s0, s20, s16
	s_mul_i32 s0, s0, s5
	s_mulk_i32 s0, 0xc0
	s_ashr_i32 s1, s0, 31
	s_lshl_b64 s[0:1], s[0:1], 1
	s_add_u32 s2, s24, s0
	s_mul_i32 s0, s16, s22
	s_addc_u32 s3, s25, s1
	s_ashr_i32 s1, s0, 31
	s_lshl_b64 s[0:1], s[0:1], 1
	s_add_u32 s2, s2, s0
	s_mul_i32 s0, s4, 0xc0
	s_addc_u32 s3, s3, s1
	s_ashr_i32 s1, s0, 31
	s_lshl_b64 s[0:1], s[0:1], 1
	s_add_u32 s0, s2, s0
	s_addc_u32 s1, s3, s1
	;;#ASMSTART
	v_cvt_f16_f32 v1, v8;

	;;#ASMEND
	global_store_short v0, v1, s[0:1]
	;;#ASMSTART
	v_cvt_f16_f32 v1, v9;

	;;#ASMEND
	global_store_short v0, v1, s[0:1] offset:64
	;;#ASMSTART
	v_cvt_f16_f32 v1, v4;

	;;#ASMEND
	global_store_short v0, v1, s[0:1] offset:128
	;; [unrolled: 5-line block ×5, first 2 shown]
.LBB79_75:
	s_endpgm
.LBB79_76:
	v_mov_b32_e32 v7, 0x190
	v_lshl_add_u32 v7, v6, 2, v7
	ds_read_b32 v7, v7
	s_waitcnt lgkmcnt(0)
	v_add_f32_e32 v8, v8, v7
	s_or_b64 exec, exec, s[2:3]
	s_and_saveexec_b64 s[2:3], vcc
	s_cbranch_execz .LBB79_67
.LBB79_77:
	v_mov_b32_e32 v7, 0x190
	v_lshl_add_u32 v7, v6, 2, v7
	ds_read_b32 v7, v7 offset:128
	s_waitcnt lgkmcnt(0)
	v_add_f32_e32 v9, v9, v7
	s_or_b64 exec, exec, s[2:3]
	s_and_saveexec_b64 s[2:3], vcc
	s_cbranch_execz .LBB79_68
.LBB79_78:
	v_mov_b32_e32 v7, 0x190
	v_lshl_add_u32 v7, v6, 2, v7
	ds_read_b32 v7, v7 offset:256
	s_waitcnt lgkmcnt(0)
	v_add_f32_e32 v4, v4, v7
	s_or_b64 exec, exec, s[2:3]
	s_and_saveexec_b64 s[2:3], vcc
	s_cbranch_execz .LBB79_69
.LBB79_79:
	v_mov_b32_e32 v7, 0x190
	v_lshl_add_u32 v7, v6, 2, v7
	ds_read_b32 v7, v7 offset:384
	s_waitcnt lgkmcnt(0)
	v_add_f32_e32 v5, v5, v7
	s_or_b64 exec, exec, s[2:3]
	s_and_saveexec_b64 s[2:3], vcc
	s_cbranch_execz .LBB79_70
.LBB79_80:
	v_mov_b32_e32 v7, 0x190
	v_lshl_add_u32 v7, v6, 2, v7
	ds_read_b32 v7, v7 offset:512
	s_waitcnt lgkmcnt(0)
	v_add_f32_e32 v2, v2, v7
	s_or_b64 exec, exec, s[2:3]
	s_and_saveexec_b64 s[2:3], vcc
	s_cbranch_execnz .LBB79_71
	s_branch .LBB79_72
	.section	.rodata,"a",@progbits
	.p2align	6, 0x0
	.amdhsa_kernel _ZN4vllm25paged_attention_v1_kernelIttLi192ELi16ELi128ELNS_18Fp8KVCacheDataTypeE0ELb1EEEvPT_PKS2_PKT0_S8_ifPKiSA_iPKfiiiSC_SC_iiiii
		.amdhsa_group_segment_fixed_size 400
		.amdhsa_private_segment_fixed_size 0
		.amdhsa_kernarg_size 384
		.amdhsa_user_sgpr_count 2
		.amdhsa_user_sgpr_dispatch_ptr 0
		.amdhsa_user_sgpr_queue_ptr 0
		.amdhsa_user_sgpr_kernarg_segment_ptr 1
		.amdhsa_user_sgpr_dispatch_id 0
		.amdhsa_user_sgpr_kernarg_preload_length 0
		.amdhsa_user_sgpr_kernarg_preload_offset 0
		.amdhsa_user_sgpr_private_segment_size 0
		.amdhsa_uses_dynamic_stack 0
		.amdhsa_enable_private_segment 0
		.amdhsa_system_sgpr_workgroup_id_x 1
		.amdhsa_system_sgpr_workgroup_id_y 1
		.amdhsa_system_sgpr_workgroup_id_z 1
		.amdhsa_system_sgpr_workgroup_info 0
		.amdhsa_system_vgpr_workitem_id 0
		.amdhsa_next_free_vgpr 89
		.amdhsa_next_free_sgpr 45
		.amdhsa_accum_offset 92
		.amdhsa_reserve_vcc 1
		.amdhsa_float_round_mode_32 0
		.amdhsa_float_round_mode_16_64 0
		.amdhsa_float_denorm_mode_32 3
		.amdhsa_float_denorm_mode_16_64 3
		.amdhsa_dx10_clamp 1
		.amdhsa_ieee_mode 1
		.amdhsa_fp16_overflow 0
		.amdhsa_tg_split 0
		.amdhsa_exception_fp_ieee_invalid_op 0
		.amdhsa_exception_fp_denorm_src 0
		.amdhsa_exception_fp_ieee_div_zero 0
		.amdhsa_exception_fp_ieee_overflow 0
		.amdhsa_exception_fp_ieee_underflow 0
		.amdhsa_exception_fp_ieee_inexact 0
		.amdhsa_exception_int_div_zero 0
	.end_amdhsa_kernel
	.section	.text._ZN4vllm25paged_attention_v1_kernelIttLi192ELi16ELi128ELNS_18Fp8KVCacheDataTypeE0ELb1EEEvPT_PKS2_PKT0_S8_ifPKiSA_iPKfiiiSC_SC_iiiii,"axG",@progbits,_ZN4vllm25paged_attention_v1_kernelIttLi192ELi16ELi128ELNS_18Fp8KVCacheDataTypeE0ELb1EEEvPT_PKS2_PKT0_S8_ifPKiSA_iPKfiiiSC_SC_iiiii,comdat
.Lfunc_end79:
	.size	_ZN4vllm25paged_attention_v1_kernelIttLi192ELi16ELi128ELNS_18Fp8KVCacheDataTypeE0ELb1EEEvPT_PKS2_PKT0_S8_ifPKiSA_iPKfiiiSC_SC_iiiii, .Lfunc_end79-_ZN4vllm25paged_attention_v1_kernelIttLi192ELi16ELi128ELNS_18Fp8KVCacheDataTypeE0ELb1EEEvPT_PKS2_PKT0_S8_ifPKiSA_iPKfiiiSC_SC_iiiii
                                        ; -- End function
	.section	.AMDGPU.csdata,"",@progbits
; Kernel info:
; codeLenInByte = 8444
; NumSgprs: 51
; NumVgprs: 89
; NumAgprs: 0
; TotalNumVgprs: 89
; ScratchSize: 0
; MemoryBound: 0
; FloatMode: 240
; IeeeMode: 1
; LDSByteSize: 400 bytes/workgroup (compile time only)
; SGPRBlocks: 6
; VGPRBlocks: 11
; NumSGPRsForWavesPerEU: 51
; NumVGPRsForWavesPerEU: 89
; AccumOffset: 92
; Occupancy: 5
; WaveLimiterHint : 1
; COMPUTE_PGM_RSRC2:SCRATCH_EN: 0
; COMPUTE_PGM_RSRC2:USER_SGPR: 2
; COMPUTE_PGM_RSRC2:TRAP_HANDLER: 0
; COMPUTE_PGM_RSRC2:TGID_X_EN: 1
; COMPUTE_PGM_RSRC2:TGID_Y_EN: 1
; COMPUTE_PGM_RSRC2:TGID_Z_EN: 1
; COMPUTE_PGM_RSRC2:TIDIG_COMP_CNT: 0
; COMPUTE_PGM_RSRC3_GFX90A:ACCUM_OFFSET: 22
; COMPUTE_PGM_RSRC3_GFX90A:TG_SPLIT: 0
	.section	.text._ZN4vllm25paged_attention_v1_kernelIttLi256ELi16ELi128ELNS_18Fp8KVCacheDataTypeE0ELb1EEEvPT_PKS2_PKT0_S8_ifPKiSA_iPKfiiiSC_SC_iiiii,"axG",@progbits,_ZN4vllm25paged_attention_v1_kernelIttLi256ELi16ELi128ELNS_18Fp8KVCacheDataTypeE0ELb1EEEvPT_PKS2_PKT0_S8_ifPKiSA_iPKfiiiSC_SC_iiiii,comdat
	.protected	_ZN4vllm25paged_attention_v1_kernelIttLi256ELi16ELi128ELNS_18Fp8KVCacheDataTypeE0ELb1EEEvPT_PKS2_PKT0_S8_ifPKiSA_iPKfiiiSC_SC_iiiii ; -- Begin function _ZN4vllm25paged_attention_v1_kernelIttLi256ELi16ELi128ELNS_18Fp8KVCacheDataTypeE0ELb1EEEvPT_PKS2_PKT0_S8_ifPKiSA_iPKfiiiSC_SC_iiiii
	.globl	_ZN4vllm25paged_attention_v1_kernelIttLi256ELi16ELi128ELNS_18Fp8KVCacheDataTypeE0ELb1EEEvPT_PKS2_PKT0_S8_ifPKiSA_iPKfiiiSC_SC_iiiii
	.p2align	8
	.type	_ZN4vllm25paged_attention_v1_kernelIttLi256ELi16ELi128ELNS_18Fp8KVCacheDataTypeE0ELb1EEEvPT_PKS2_PKT0_S8_ifPKiSA_iPKfiiiSC_SC_iiiii,@function
_ZN4vllm25paged_attention_v1_kernelIttLi256ELi16ELi128ELNS_18Fp8KVCacheDataTypeE0ELb1EEEvPT_PKS2_PKT0_S8_ifPKiSA_iPKfiiiSC_SC_iiiii: ; @_ZN4vllm25paged_attention_v1_kernelIttLi256ELi16ELi128ELNS_18Fp8KVCacheDataTypeE0ELb1EEEvPT_PKS2_PKT0_S8_ifPKiSA_iPKfiiiSC_SC_iiiii
; %bb.0:
	s_load_dword s5, s[0:1], 0x80
	s_load_dwordx2 s[6:7], s[0:1], 0x30
	s_load_dwordx2 s[30:31], s[0:1], 0x20
	s_mov_b32 s20, s3
	s_ashr_i32 s21, s3, 31
	s_lshl_b64 s[8:9], s[20:21], 2
	s_waitcnt lgkmcnt(0)
	s_add_u32 s6, s6, s8
	s_addc_u32 s7, s7, s9
	s_abs_i32 s3, s30
	v_cvt_f32_u32_e32 v1, s3
	s_sub_i32 s10, 0, s3
	s_abs_i32 s9, s5
	s_xor_b32 s8, s5, s30
	v_rcp_iflag_f32_e32 v1, v1
	s_ashr_i32 s8, s8, 31
	s_mov_b32 s43, 0
	v_mul_f32_e32 v1, 0x4f7ffffe, v1
	v_cvt_u32_f32_e32 v1, v1
	s_nop 0
	v_readfirstlane_b32 s11, v1
	s_mul_i32 s10, s10, s11
	s_mul_hi_u32 s10, s11, s10
	s_add_i32 s11, s11, s10
	s_mul_hi_u32 s10, s9, s11
	s_mul_i32 s11, s10, s3
	s_sub_i32 s9, s9, s11
	s_add_i32 s11, s10, 1
	s_sub_i32 s12, s9, s3
	s_cmp_ge_u32 s9, s3
	s_cselect_b32 s10, s11, s10
	s_cselect_b32 s9, s12, s9
	s_add_i32 s11, s10, 1
	s_cmp_ge_u32 s9, s3
	s_cselect_b32 s3, s11, s10
	s_xor_b32 s3, s3, s8
	s_sub_i32 s12, s3, s8
	s_abs_i32 s10, s12
	v_cvt_f32_u32_e32 v1, s10
	s_load_dwordx2 s[8:9], s[0:1], 0x40
	s_sub_i32 s3, 0, s10
	s_abs_i32 s11, s2
	v_rcp_iflag_f32_e32 v1, v1
	s_nop 0
	v_mul_f32_e32 v1, 0x4f7ffffe, v1
	v_cvt_u32_f32_e32 v1, v1
	s_nop 0
	v_readfirstlane_b32 s13, v1
	s_mul_i32 s3, s3, s13
	s_mul_hi_u32 s3, s13, s3
	s_add_i32 s13, s13, s3
	s_waitcnt lgkmcnt(0)
	s_cmp_eq_u64 s[8:9], 0
	s_mul_hi_u32 s24, s11, s13
	s_cbranch_scc1 .LBB80_2
; %bb.1:
	s_ashr_i32 s3, s2, 31
	s_lshl_b64 s[14:15], s[2:3], 2
	s_add_u32 s8, s8, s14
	s_addc_u32 s9, s9, s15
	s_load_dword s43, s[8:9], 0x0
.LBB80_2:
	s_load_dword s21, s[6:7], 0x0
	s_ashr_i32 s9, s12, 31
	s_load_dwordx4 s[12:15], s[0:1], 0x48
	s_movk_i32 s6, 0x80
	s_ashr_i32 s3, s2, 31
	v_and_b32_e32 v4, 3, v0
	s_lshl_b32 s22, s2, 8
	v_cmp_gt_u32_e32 vcc, s6, v0
	s_and_saveexec_b64 s[6:7], vcc
	s_cbranch_execz .LBB80_4
; %bb.3:
	s_load_dwordx2 s[16:17], s[0:1], 0x8
	s_waitcnt lgkmcnt(0)
	s_mul_i32 s18, s20, s12
	s_ashr_i32 s19, s18, 31
	s_lshl_b64 s[18:19], s[18:19], 1
	v_lshlrev_b32_e32 v1, 2, v0
	s_add_u32 s8, s16, s18
	s_addc_u32 s12, s17, s19
	s_ashr_i32 s23, s22, 31
	s_lshl_b64 s[16:17], s[22:23], 1
	s_add_u32 s16, s8, s16
	s_addc_u32 s17, s12, s17
	global_load_dword v1, v1, s[16:17]
	v_and_b32_e32 v2, 0x3fc, v0
	v_lshl_add_u32 v2, v4, 7, v2
	s_waitcnt vmcnt(0)
	ds_write_b32 v2, v1
.LBB80_4:
	s_or_b64 exec, exec, s[6:7]
	s_mul_i32 s6, s24, s10
	s_sub_i32 s6, s11, s6
	s_xor_b32 s3, s3, s9
	s_add_i32 s7, s24, 1
	s_sub_i32 s9, s6, s10
	s_load_dwordx4 s[16:19], s[0:1], 0x68
	s_load_dword s8, s[0:1], 0x78
	s_cmp_ge_u32 s6, s10
	s_cselect_b32 s7, s7, s24
	s_cselect_b32 s6, s9, s6
	s_add_i32 s9, s7, 1
	s_cmp_ge_u32 s6, s10
	s_cselect_b32 s6, s9, s7
	s_waitcnt lgkmcnt(0)
	s_abs_i32 s23, s19
	v_cvt_f32_u32_e32 v1, s23
	s_xor_b32 s6, s6, s3
	s_sub_i32 s3, s6, s3
	s_sub_i32 s6, 0, s23
	v_rcp_iflag_f32_e32 v1, v1
	s_add_i32 s15, s21, -1
	s_abs_i32 s9, s15
	v_mul_f32_e32 v1, 0x4f7ffffe, v1
	v_cvt_u32_f32_e32 v1, v1
	s_barrier
	v_readfirstlane_b32 s33, v1
	s_mul_i32 s6, s6, s33
	s_mul_hi_u32 s6, s33, s6
	s_add_i32 s33, s33, s6
	s_cmp_lt_i32 s8, 0
	s_mul_hi_u32 s12, s9, s33
	s_cbranch_scc0 .LBB80_6
; %bb.5:
	s_mul_i32 s6, s16, s30
	s_add_i32 s6, s3, s6
	s_mul_i32 s6, s6, s8
	s_sub_i32 s40, 1, s6
	s_mov_b64 s[6:7], 0
	s_branch .LBB80_7
.LBB80_6:
	s_mov_b64 s[6:7], -1
                                        ; implicit-def: $sgpr40
.LBB80_7:
	s_load_dwordx2 s[10:11], s[0:1], 0x28
	s_ashr_i32 s15, s15, 31
	s_andn2_b64 vcc, exec, s[6:7]
	s_ashr_i32 s41, s19, 31
	s_cbranch_vccnz .LBB80_9
; %bb.8:
	s_mul_i32 s6, s5, s16
	s_add_i32 s2, s6, s2
	s_mul_i32 s2, s2, s8
	s_add_i32 s40, s2, 1
.LBB80_9:
	s_load_dword s2, s[0:1], 0x38
	s_load_dwordx2 s[24:25], s[0:1], 0x0
	s_load_dwordx2 s[28:29], s[0:1], 0x18
	s_load_dword s19, s[0:1], 0x88
	s_xor_b32 s6, s15, s41
	s_waitcnt lgkmcnt(0)
	s_mul_i32 s26, s20, s2
	s_mul_i32 s2, s12, s23
	s_sub_i32 s2, s9, s2
	s_ashr_i32 s27, s26, 31
	s_add_i32 s7, s12, 1
	s_sub_i32 s8, s2, s23
	s_cmp_ge_u32 s2, s23
	s_cselect_b32 s7, s7, s12
	s_cselect_b32 s2, s8, s2
	s_add_i32 s8, s7, 1
	s_cmp_ge_u32 s2, s23
	s_cselect_b32 s2, s8, s7
	s_xor_b32 s2, s2, s6
	s_sub_i32 s12, s2, s6
	s_add_i32 s2, s21, 15
	s_ashr_i32 s6, s2, 31
	s_lshr_b32 s6, s6, 28
	s_add_i32 s2, s2, s6
	s_ashr_i32 s42, s2, 4
	v_lshrrev_b32_e32 v1, 6, v0
	v_cmp_gt_i32_e64 s[6:7], s42, v1
	v_mov_b32_e32 v9, 0xff7fffff
	s_mul_i32 s14, s3, s14
	v_lshrrev_b32_e32 v10, 4, v0
	v_lshlrev_b32_e32 v30, 4, v1
	v_mbcnt_lo_u32_b32 v6, -1, 0
	s_and_saveexec_b64 s[34:35], s[6:7]
	s_cbranch_execz .LBB80_19
; %bb.10:
	s_load_dwordx2 s[0:1], s[0:1], 0x10
	s_ashr_i32 s15, s14, 31
	s_sub_i32 s16, s12, s17
	s_lshl_b64 s[2:3], s[14:15], 1
	v_bfe_u32 v7, v0, 2, 4
	s_waitcnt lgkmcnt(0)
	s_add_u32 s0, s0, s2
	s_addc_u32 s1, s1, s3
	s_abs_i32 s15, s18
	v_cvt_f32_u32_e32 v5, s15
	v_lshlrev_b32_e32 v12, 4, v7
	v_mov_b32_e32 v13, 0
	v_lshl_add_u64 v[2:3], s[0:1], 0, v[12:13]
	v_rcp_iflag_f32_e32 v5, v5
	v_lshlrev_b32_e32 v8, 2, v0
	s_sub_i32 s0, 0, s15
	v_cmp_eq_u32_e32 vcc, 0, v4
	v_mul_f32_e32 v5, 0x4f7ffffe, v5
	v_cvt_u32_f32_e32 v5, v5
	v_and_b32_e32 v12, 12, v8
	v_lshlrev_b32_e32 v8, 7, v4
	v_lshlrev_b32_e32 v9, 2, v7
	v_mul_lo_u32 v4, s0, v5
	s_lshl_b64 s[0:1], s[26:27], 2
	s_add_u32 s0, s10, s0
	v_lshl_add_u64 v[2:3], v[2:3], 0, v[12:13]
	v_mul_hi_u32 v4, v5, v4
	v_and_b32_e32 v12, 60, v10
	s_addc_u32 s1, s11, s1
	v_lshl_or_b32 v9, v1, 6, v9
	v_add_u32_e32 v11, v5, v4
	v_lshl_add_u64 v[4:5], s[0:1], 0, v[12:13]
	v_add_u32_e32 v13, 0x210, v9
	v_subrev_u32_e32 v9, s21, v7
	v_mbcnt_hi_u32_b32 v16, -1, v6
	v_add_u32_e32 v14, 1, v9
	v_and_b32_e32 v9, 64, v16
	s_mov_b32 s30, s13
	v_cmp_neq_f32_e64 s[2:3], s43, 0
	v_lshlrev_b32_e32 v12, 4, v1
	s_mov_b64 s[36:37], 0
	v_mov_b32_e32 v15, 0xff7fffff
	s_movk_i32 s44, 0x1000
	v_add_u32_e32 v17, 64, v9
	v_xor_b32_e32 v18, 2, v16
	v_xor_b32_e32 v19, 1, v16
	v_mov_b32_e32 v9, 0xff7fffff
	v_mov_b32_e32 v20, v1
	s_branch .LBB80_13
.LBB80_11:                              ;   in Loop: Header=BB80_13 Depth=1
	s_or_b64 exec, exec, s[38:39]
.LBB80_12:                              ;   in Loop: Header=BB80_13 Depth=1
	s_or_b64 exec, exec, s[8:9]
	v_add_u32_e32 v20, 2, v20
	v_cmp_le_i32_e64 s[0:1], s42, v20
	v_lshl_add_u64 v[4:5], v[4:5], 0, 8
	v_add_u32_e32 v12, 32, v12
	s_or_b64 s[36:37], s[0:1], s[36:37]
	v_add_u32_e32 v13, 0x80, v13
	s_andn2_b64 exec, exec, s[36:37]
	s_cbranch_execz .LBB80_18
.LBB80_13:                              ; =>This Inner Loop Header: Depth=1
	v_mul_hi_u32 v21, v12, s33
	s_waitcnt lgkmcnt(0)
	v_mul_lo_u32 v22, v21, s23
	v_sub_u32_e32 v22, v12, v22
	v_add_u32_e32 v23, 1, v21
	v_cmp_le_u32_e64 s[0:1], s23, v22
	s_nop 1
	v_cndmask_b32_e64 v21, v21, v23, s[0:1]
	v_subrev_u32_e32 v23, s23, v22
	v_cndmask_b32_e64 v22, v22, v23, s[0:1]
	v_add_u32_e32 v23, 1, v21
	v_cmp_le_u32_e64 s[0:1], s23, v22
	s_nop 1
	v_cndmask_b32_e64 v21, v21, v23, s[0:1]
	v_xor_b32_e32 v21, s41, v21
	v_subrev_u32_e32 v21, s41, v21
	v_add_u32_e32 v22, s40, v21
	v_sub_u32_e32 v24, 0, v22
	v_ashrrev_i32_e32 v23, 31, v22
	v_max_i32_e32 v22, v22, v24
	v_mul_hi_u32 v24, v22, v11
	v_mul_lo_u32 v24, v24, s15
	v_sub_u32_e32 v22, v22, v24
	v_subrev_u32_e32 v24, s15, v22
	v_cmp_le_u32_e64 s[0:1], s15, v22
	v_cmp_ge_i32_e64 s[8:9], s16, v21
	s_nop 0
	v_cndmask_b32_e64 v22, v22, v24, s[0:1]
	v_subrev_u32_e32 v24, s15, v22
	v_cmp_le_u32_e64 s[0:1], s15, v22
	s_nop 1
	v_cndmask_b32_e64 v22, v22, v24, s[0:1]
	v_xor_b32_e32 v22, v22, v23
	v_sub_u32_e32 v22, v22, v23
	v_cmp_ne_u32_e64 s[0:1], 0, v22
	s_and_b64 s[0:1], s[0:1], s[8:9]
	s_and_b64 s[38:39], vcc, s[0:1]
	s_and_saveexec_b64 s[8:9], s[38:39]
	s_cbranch_execz .LBB80_15
; %bb.14:                               ;   in Loop: Header=BB80_13 Depth=1
	ds_write_b32 v13, v15
.LBB80_15:                              ;   in Loop: Header=BB80_13 Depth=1
	s_or_b64 exec, exec, s[8:9]
	s_xor_b64 s[0:1], s[0:1], -1
	s_and_saveexec_b64 s[8:9], s[0:1]
	s_cbranch_execz .LBB80_12
; %bb.16:                               ;   in Loop: Header=BB80_13 Depth=1
	global_load_dword v21, v[4:5], off
	s_waitcnt vmcnt(0)
	v_mad_i64_i32 v[22:23], s[0:1], v21, s30, 0
	v_lshl_add_u64 v[22:23], v[22:23], 1, v[2:3]
	global_load_dword v37, v[22:23], off
	global_load_dword v38, v[22:23], off offset:256
	global_load_dword v42, v[22:23], off offset:512
	;; [unrolled: 1-line block ×4, first 2 shown]
	ds_read_b32 v21, v8
	global_load_dword v47, v[22:23], off offset:1280
	global_load_dword v48, v[22:23], off offset:1536
	;; [unrolled: 1-line block ×11, first 2 shown]
	v_add_co_u32_e64 v40, s[0:1], s44, v22
	s_waitcnt lgkmcnt(0)
	v_lshrrev_b32_e32 v45, 16, v21
	v_addc_co_u32_e64 v41, s[0:1], 0, v23, s[0:1]
	v_and_b32_e32 v46, 0xffff, v21
	global_load_dword v57, v[40:41], off
	global_load_dword v50, v[40:41], off offset:256
	global_load_dword v39, v[40:41], off offset:512
	;; [unrolled: 1-line block ×15, first 2 shown]
	;;#ASMSTART
	v_cvt_f32_f16 v59, v46;
	;;#ASMEND
	;;#ASMSTART
	v_cvt_f32_f16 v67, v45;
	;;#ASMEND
	v_cmp_lt_i32_e64 s[0:1], v18, v17
	s_waitcnt vmcnt(23)
	v_lshrrev_b32_e32 v82, 16, v51
	v_lshrrev_b32_e32 v40, 16, v37
	v_and_b32_e32 v37, 0xffff, v37
	;;#ASMSTART
	v_cvt_f32_f16 v62, v37;
	;;#ASMEND
	;;#ASMSTART
	v_cvt_f32_f16 v68, v40;
	;;#ASMEND
	ds_read_b32 v37, v8 offset:4
	v_lshrrev_b32_e32 v40, 16, v38
	v_and_b32_e32 v38, 0xffff, v38
	s_waitcnt vmcnt(22)
	v_lshrrev_b32_e32 v83, 16, v52
	v_and_b32_e32 v84, 0xffff, v52
	s_waitcnt lgkmcnt(0)
	v_lshrrev_b32_e32 v41, 16, v37
	v_and_b32_e32 v37, 0xffff, v37
	;;#ASMSTART
	v_cvt_f32_f16 v63, v37;
	;;#ASMEND
	;;#ASMSTART
	v_cvt_f32_f16 v70, v41;
	;;#ASMEND
	;; [unrolled: 3-line block ×4, first 2 shown]
	ds_read_b32 v37, v8 offset:8
	v_lshrrev_b32_e32 v38, 16, v42
	v_and_b32_e32 v40, 0xffff, v42
	s_waitcnt vmcnt(21)
	v_lshrrev_b32_e32 v85, 16, v53
	v_and_b32_e32 v86, 0xffff, v53
	s_waitcnt lgkmcnt(0)
	v_lshrrev_b32_e32 v41, 16, v37
	v_and_b32_e32 v37, 0xffff, v37
	;;#ASMSTART
	v_cvt_f32_f16 v77, v37;
	;;#ASMEND
	;;#ASMSTART
	v_cvt_f32_f16 v78, v41;
	;;#ASMEND
	;; [unrolled: 3-line block ×4, first 2 shown]
	ds_read_b32 v37, v8 offset:12
	v_lshrrev_b32_e32 v38, 16, v43
	v_and_b32_e32 v40, 0xffff, v43
	s_waitcnt vmcnt(20)
	v_and_b32_e32 v87, 0xffff, v54
	s_waitcnt vmcnt(19)
	v_lshrrev_b32_e32 v88, 16, v60
	s_waitcnt lgkmcnt(0)
	v_lshrrev_b32_e32 v41, 16, v37
	v_and_b32_e32 v37, 0xffff, v37
	;;#ASMSTART
	v_cvt_f32_f16 v75, v37;
	;;#ASMEND
	;;#ASMSTART
	v_cvt_f32_f16 v73, v41;
	;;#ASMEND
	;;#ASMSTART
	v_cvt_f32_f16 v76, v40;
	;;#ASMEND
	;;#ASMSTART
	v_cvt_f32_f16 v74, v38;
	;;#ASMEND
	ds_read_b32 v37, v8 offset:16
	v_lshrrev_b32_e32 v38, 16, v44
	v_and_b32_e32 v40, 0xffff, v44
	v_and_b32_e32 v89, 0xffff, v60
	s_waitcnt lgkmcnt(0)
	v_lshrrev_b32_e32 v41, 16, v37
	v_and_b32_e32 v37, 0xffff, v37
	;;#ASMSTART
	v_cvt_f32_f16 v69, v37;
	;;#ASMEND
	;;#ASMSTART
	v_cvt_f32_f16 v58, v41;
	;;#ASMEND
	;; [unrolled: 3-line block ×4, first 2 shown]
	ds_read_b32 v37, v8 offset:20
	v_lshrrev_b32_e32 v38, 16, v47
	v_and_b32_e32 v40, 0xffff, v47
	s_waitcnt lgkmcnt(0)
	v_lshrrev_b32_e32 v41, 16, v37
	v_and_b32_e32 v37, 0xffff, v37
	;;#ASMSTART
	v_cvt_f32_f16 v64, v37;
	;;#ASMEND
	;;#ASMSTART
	v_cvt_f32_f16 v55, v41;
	;;#ASMEND
	;; [unrolled: 3-line block ×4, first 2 shown]
	ds_read_b32 v37, v8 offset:24
	v_lshrrev_b32_e32 v38, 16, v48
	v_and_b32_e32 v40, 0xffff, v48
	s_waitcnt lgkmcnt(0)
	v_lshrrev_b32_e32 v41, 16, v37
	v_and_b32_e32 v37, 0xffff, v37
	;;#ASMSTART
	v_cvt_f32_f16 v44, v37;
	;;#ASMEND
	;;#ASMSTART
	v_cvt_f32_f16 v45, v41;
	;;#ASMEND
	;;#ASMSTART
	v_cvt_f32_f16 v47, v40;
	;;#ASMEND
	;;#ASMSTART
	v_cvt_f32_f16 v48, v38;
	;;#ASMEND
	ds_read_b32 v37, v8 offset:28
	v_and_b32_e32 v41, 0xffff, v49
	v_lshrrev_b32_e32 v38, 16, v49
	v_and_b32_e32 v49, 0xffff, v51
	s_waitcnt lgkmcnt(0)
	v_lshrrev_b32_e32 v40, 16, v37
	v_and_b32_e32 v37, 0xffff, v37
	;;#ASMSTART
	v_cvt_f32_f16 v42, v37;
	;;#ASMEND
	;;#ASMSTART
	v_cvt_f32_f16 v40, v40;
	;;#ASMEND
	;; [unrolled: 3-line block ×4, first 2 shown]
	ds_read_b32 v37, v8 offset:32
	s_waitcnt lgkmcnt(0)
	v_lshrrev_b32_e32 v38, 16, v37
	v_and_b32_e32 v37, 0xffff, v37
	;;#ASMSTART
	v_cvt_f32_f16 v46, v37;
	;;#ASMEND
	;;#ASMSTART
	v_cvt_f32_f16 v37, v38;
	;;#ASMEND
	;; [unrolled: 3-line block ×4, first 2 shown]
	ds_read_b32 v51, v8 offset:36
	v_lshrrev_b32_e32 v82, 16, v54
	s_waitcnt lgkmcnt(0)
	v_lshrrev_b32_e32 v52, 16, v51
	v_and_b32_e32 v51, 0xffff, v51
	;;#ASMSTART
	v_cvt_f32_f16 v51, v51;
	;;#ASMEND
	;;#ASMSTART
	v_cvt_f32_f16 v52, v52;
	;;#ASMEND
	;; [unrolled: 3-line block ×4, first 2 shown]
	ds_read_b32 v60, v8 offset:40
	s_waitcnt vmcnt(18)
	v_lshrrev_b32_e32 v83, 16, v32
	v_and_b32_e32 v84, 0xffff, v32
	v_mul_f32_e32 v32, v63, v81
	v_fmac_f32_e32 v32, v59, v62
	s_waitcnt lgkmcnt(0)
	v_lshrrev_b32_e32 v62, 16, v60
	v_and_b32_e32 v59, 0xffff, v60
	;;#ASMSTART
	v_cvt_f32_f16 v59, v59;
	;;#ASMEND
	;;#ASMSTART
	v_cvt_f32_f16 v60, v62;
	;;#ASMEND
	;; [unrolled: 3-line block ×4, first 2 shown]
	ds_read_b32 v81, v8 offset:44
	s_waitcnt vmcnt(17)
	v_lshrrev_b32_e32 v85, 16, v34
	v_and_b32_e32 v86, 0xffff, v34
	v_mul_f32_e32 v34, v70, v71
	v_fmac_f32_e32 v34, v67, v68
	s_waitcnt lgkmcnt(0)
	v_lshrrev_b32_e32 v68, 16, v81
	v_and_b32_e32 v67, 0xffff, v81
	;;#ASMSTART
	v_cvt_f32_f16 v67, v67;
	;;#ASMEND
	;;#ASMSTART
	v_cvt_f32_f16 v68, v68;
	;;#ASMEND
	;; [unrolled: 3-line block ×4, first 2 shown]
	ds_read_b32 v81, v8 offset:48
	s_waitcnt vmcnt(16)
	v_lshrrev_b32_e32 v82, 16, v66
	v_and_b32_e32 v87, 0xffff, v66
	v_fmac_f32_e32 v32, v77, v79
	v_fmac_f32_e32 v34, v78, v80
	s_waitcnt lgkmcnt(0)
	v_lshrrev_b32_e32 v77, 16, v81
	v_and_b32_e32 v66, 0xffff, v81
	;;#ASMSTART
	v_cvt_f32_f16 v66, v66;
	;;#ASMEND
	;;#ASMSTART
	v_cvt_f32_f16 v77, v77;
	;;#ASMEND
	;; [unrolled: 3-line block ×4, first 2 shown]
	ds_read_b32 v80, v8 offset:52
	s_waitcnt vmcnt(15)
	v_lshrrev_b32_e32 v81, 16, v57
	v_and_b32_e32 v88, 0xffff, v57
	v_fmac_f32_e32 v32, v75, v76
	v_fmac_f32_e32 v32, v69, v72
	s_waitcnt lgkmcnt(0)
	v_lshrrev_b32_e32 v75, 16, v80
	v_and_b32_e32 v57, 0xffff, v80
	;;#ASMSTART
	v_cvt_f32_f16 v57, v57;
	;;#ASMEND
	;;#ASMSTART
	v_cvt_f32_f16 v75, v75;
	;;#ASMEND
	;; [unrolled: 3-line block ×4, first 2 shown]
	ds_read_b32 v83, v8 offset:56
	v_fmac_f32_e32 v34, v73, v74
	v_fmac_f32_e32 v34, v58, v61
	;; [unrolled: 1-line block ×4, first 2 shown]
	s_waitcnt lgkmcnt(0)
	v_lshrrev_b32_e32 v69, 16, v83
	v_and_b32_e32 v72, 0xffff, v83
	;;#ASMSTART
	v_cvt_f32_f16 v72, v72;
	;;#ASMEND
	;;#ASMSTART
	v_cvt_f32_f16 v69, v69;
	;;#ASMEND
	;; [unrolled: 3-line block ×4, first 2 shown]
	ds_read_b32 v84, v8 offset:60
	s_waitcnt vmcnt(14)
	v_lshrrev_b32_e32 v89, 16, v50
	v_and_b32_e32 v50, 0xffff, v50
	v_fmac_f32_e32 v32, v44, v47
	v_fmac_f32_e32 v34, v45, v48
	s_waitcnt lgkmcnt(0)
	v_lshrrev_b32_e32 v58, 16, v84
	v_and_b32_e32 v61, 0xffff, v84
	;;#ASMSTART
	v_cvt_f32_f16 v61, v61;
	;;#ASMEND
	;;#ASMSTART
	v_cvt_f32_f16 v58, v58;
	;;#ASMEND
	;;#ASMSTART
	v_cvt_f32_f16 v84, v87;
	;;#ASMEND
	;;#ASMSTART
	v_cvt_f32_f16 v82, v82;
	;;#ASMEND
	ds_read_b32 v86, v8 offset:64
	s_waitcnt vmcnt(13)
	v_lshrrev_b32_e32 v73, 16, v39
	v_and_b32_e32 v39, 0xffff, v39
	v_fmac_f32_e32 v32, v42, v43
	s_waitcnt vmcnt(12)
	v_lshrrev_b32_e32 v85, 16, v36
	s_waitcnt lgkmcnt(0)
	v_lshrrev_b32_e32 v55, 16, v86
	v_and_b32_e32 v56, 0xffff, v86
	;;#ASMSTART
	v_cvt_f32_f16 v56, v56;
	;;#ASMEND
	;;#ASMSTART
	v_cvt_f32_f16 v55, v55;
	;;#ASMEND
	;; [unrolled: 3-line block ×4, first 2 shown]
	ds_read_b32 v86, v8 offset:68
	v_and_b32_e32 v36, 0xffff, v36
	v_fmac_f32_e32 v34, v40, v41
	v_fmac_f32_e32 v32, v46, v49
	s_waitcnt vmcnt(11)
	v_lshrrev_b32_e32 v64, 16, v35
	s_waitcnt lgkmcnt(0)
	v_lshrrev_b32_e32 v44, 16, v86
	v_and_b32_e32 v45, 0xffff, v86
	;;#ASMSTART
	v_cvt_f32_f16 v45, v45;
	;;#ASMEND
	;;#ASMSTART
	v_cvt_f32_f16 v44, v44;
	;;#ASMEND
	;; [unrolled: 3-line block ×4, first 2 shown]
	ds_read_b32 v50, v8 offset:72
	v_and_b32_e32 v35, 0xffff, v35
	v_fmac_f32_e32 v34, v37, v38
	s_waitcnt vmcnt(10)
	v_lshrrev_b32_e32 v87, 16, v33
	v_and_b32_e32 v33, 0xffff, v33
	s_waitcnt lgkmcnt(0)
	v_lshrrev_b32_e32 v42, 16, v50
	v_and_b32_e32 v43, 0xffff, v50
	;;#ASMSTART
	v_cvt_f32_f16 v43, v43;
	;;#ASMEND
	;;#ASMSTART
	v_cvt_f32_f16 v42, v42;
	;;#ASMEND
	;; [unrolled: 3-line block ×4, first 2 shown]
	ds_read_b32 v73, v8 offset:76
	v_fmac_f32_e32 v32, v51, v53
	v_fmac_f32_e32 v34, v52, v54
	s_waitcnt vmcnt(9)
	v_lshrrev_b32_e32 v86, 16, v31
	v_and_b32_e32 v31, 0xffff, v31
	s_waitcnt lgkmcnt(0)
	v_lshrrev_b32_e32 v41, 16, v73
	v_and_b32_e32 v46, 0xffff, v73
	;;#ASMSTART
	v_cvt_f32_f16 v46, v46;
	;;#ASMEND
	;;#ASMSTART
	v_cvt_f32_f16 v41, v41;
	;;#ASMEND
	;; [unrolled: 3-line block ×4, first 2 shown]
	ds_read_b32 v73, v8 offset:80
	v_fmac_f32_e32 v32, v59, v62
	v_fmac_f32_e32 v34, v60, v63
	;; [unrolled: 1-line block ×4, first 2 shown]
	s_waitcnt lgkmcnt(0)
	v_lshrrev_b32_e32 v37, 16, v73
	v_and_b32_e32 v38, 0xffff, v73
	;;#ASMSTART
	v_cvt_f32_f16 v38, v38;
	;;#ASMEND
	;;#ASMSTART
	v_cvt_f32_f16 v37, v37;
	;;#ASMEND
	;;#ASMSTART
	v_cvt_f32_f16 v35, v35;
	;;#ASMEND
	;;#ASMSTART
	v_cvt_f32_f16 v64, v64;
	;;#ASMEND
	ds_read_b32 v73, v8 offset:84
	s_waitcnt vmcnt(8)
	v_lshrrev_b32_e32 v88, 16, v29
	v_and_b32_e32 v29, 0xffff, v29
	v_fmac_f32_e32 v32, v57, v76
	v_fmac_f32_e32 v34, v68, v71
	s_waitcnt lgkmcnt(0)
	v_lshrrev_b32_e32 v51, 16, v73
	v_and_b32_e32 v52, 0xffff, v73
	;;#ASMSTART
	v_cvt_f32_f16 v52, v52;
	;;#ASMEND
	;;#ASMSTART
	v_cvt_f32_f16 v51, v51;
	;;#ASMEND
	;; [unrolled: 3-line block ×4, first 2 shown]
	ds_read_b32 v54, v8 offset:88
	v_fmac_f32_e32 v34, v77, v79
	v_fmac_f32_e32 v34, v75, v80
	;; [unrolled: 1-line block ×4, first 2 shown]
	s_waitcnt lgkmcnt(0)
	v_lshrrev_b32_e32 v59, 16, v54
	v_and_b32_e32 v54, 0xffff, v54
	;;#ASMSTART
	v_cvt_f32_f16 v54, v54;
	;;#ASMEND
	;;#ASMSTART
	v_cvt_f32_f16 v59, v59;
	;;#ASMEND
	;; [unrolled: 3-line block ×4, first 2 shown]
	ds_read_b32 v62, v8 offset:92
	v_fmac_f32_e32 v32, v61, v84
	v_fmac_f32_e32 v34, v58, v82
	s_waitcnt vmcnt(7)
	v_lshrrev_b32_e32 v40, 16, v28
	v_and_b32_e32 v28, 0xffff, v28
	s_waitcnt lgkmcnt(0)
	v_lshrrev_b32_e32 v57, 16, v62
	v_and_b32_e32 v62, 0xffff, v62
	;;#ASMSTART
	v_cvt_f32_f16 v62, v62;
	;;#ASMEND
	;;#ASMSTART
	v_cvt_f32_f16 v57, v57;
	;;#ASMEND
	;; [unrolled: 3-line block ×4, first 2 shown]
	ds_read_b32 v66, v8 offset:96
	v_fmac_f32_e32 v32, v56, v65
	v_fmac_f32_e32 v34, v55, v81
	;; [unrolled: 1-line block ×4, first 2 shown]
	s_waitcnt lgkmcnt(0)
	v_lshrrev_b32_e32 v55, 16, v66
	v_and_b32_e32 v56, 0xffff, v66
	;;#ASMSTART
	v_cvt_f32_f16 v56, v56;
	;;#ASMEND
	;;#ASMSTART
	v_cvt_f32_f16 v55, v55;
	;;#ASMEND
	;; [unrolled: 3-line block ×4, first 2 shown]
	ds_read_b32 v58, v8 offset:100
	s_waitcnt vmcnt(6)
	v_lshrrev_b32_e32 v85, 16, v27
	v_and_b32_e32 v27, 0xffff, v27
	v_fmac_f32_e32 v32, v43, v39
	v_fmac_f32_e32 v34, v42, v50
	s_waitcnt lgkmcnt(0)
	v_lshrrev_b32_e32 v39, 16, v58
	v_and_b32_e32 v42, 0xffff, v58
	;;#ASMSTART
	v_cvt_f32_f16 v42, v42;
	;;#ASMEND
	;;#ASMSTART
	v_cvt_f32_f16 v39, v39;
	;;#ASMEND
	;;#ASMSTART
	v_cvt_f32_f16 v27, v27;
	;;#ASMEND
	;;#ASMSTART
	v_cvt_f32_f16 v43, v85;
	;;#ASMEND
	ds_read_b32 v44, v8 offset:104
	v_fmac_f32_e32 v32, v46, v36
	v_fmac_f32_e32 v34, v41, v49
	v_fmac_f32_e32 v32, v38, v35
	v_fmac_f32_e32 v34, v37, v64
	s_waitcnt lgkmcnt(0)
	v_lshrrev_b32_e32 v35, 16, v44
	v_and_b32_e32 v36, 0xffff, v44
	s_waitcnt vmcnt(5)
	v_lshrrev_b32_e32 v37, 16, v26
	v_and_b32_e32 v26, 0xffff, v26
	;;#ASMSTART
	v_cvt_f32_f16 v36, v36;
	;;#ASMEND
	;;#ASMSTART
	v_cvt_f32_f16 v35, v35;
	;;#ASMEND
	;;#ASMSTART
	v_cvt_f32_f16 v26, v26;
	;;#ASMEND
	;;#ASMSTART
	v_cvt_f32_f16 v37, v37;
	;;#ASMEND
	ds_read_b32 v38, v8 offset:108
	v_fmac_f32_e32 v32, v52, v33
	v_fmac_f32_e32 v32, v54, v31
	v_fmac_f32_e32 v34, v51, v53
	v_fmac_f32_e32 v34, v59, v60
	s_waitcnt lgkmcnt(0)
	v_lshrrev_b32_e32 v31, 16, v38
	v_and_b32_e32 v33, 0xffff, v38
	s_waitcnt vmcnt(4)
	v_lshrrev_b32_e32 v38, 16, v25
	v_and_b32_e32 v25, 0xffff, v25
	;;#ASMSTART
	v_cvt_f32_f16 v33, v33;
	;;#ASMEND
	;;#ASMSTART
	v_cvt_f32_f16 v31, v31;
	;;#ASMEND
	;;#ASMSTART
	v_cvt_f32_f16 v25, v25;
	;;#ASMEND
	;;#ASMSTART
	v_cvt_f32_f16 v38, v38;
	;;#ASMEND
	ds_read_b32 v41, v8 offset:112
	v_fmac_f32_e32 v32, v62, v29
	v_fmac_f32_e32 v34, v57, v63
	v_fmac_f32_e32 v32, v56, v28
	v_fmac_f32_e32 v34, v55, v40
	s_waitcnt lgkmcnt(0)
	v_lshrrev_b32_e32 v28, 16, v41
	v_and_b32_e32 v29, 0xffff, v41
	s_waitcnt vmcnt(3)
	v_lshrrev_b32_e32 v40, 16, v24
	v_and_b32_e32 v24, 0xffff, v24
	;;#ASMSTART
	v_cvt_f32_f16 v29, v29;
	;;#ASMEND
	;;#ASMSTART
	v_cvt_f32_f16 v28, v28;
	;;#ASMEND
	;;#ASMSTART
	v_cvt_f32_f16 v24, v24;
	;;#ASMEND
	;;#ASMSTART
	v_cvt_f32_f16 v40, v40;
	;;#ASMEND
	ds_read_b32 v41, v8 offset:116
	v_fmac_f32_e32 v32, v42, v27
	v_fmac_f32_e32 v34, v39, v43
	v_fmac_f32_e32 v32, v36, v26
	v_fmac_f32_e32 v34, v35, v37
	s_waitcnt lgkmcnt(0)
	v_lshrrev_b32_e32 v26, 16, v41
	v_and_b32_e32 v27, 0xffff, v41
	s_waitcnt vmcnt(2)
	v_lshrrev_b32_e32 v35, 16, v23
	v_and_b32_e32 v23, 0xffff, v23
	;;#ASMSTART
	v_cvt_f32_f16 v27, v27;
	;;#ASMEND
	;;#ASMSTART
	v_cvt_f32_f16 v26, v26;
	;;#ASMEND
	;;#ASMSTART
	v_cvt_f32_f16 v23, v23;
	;;#ASMEND
	;;#ASMSTART
	v_cvt_f32_f16 v35, v35;
	;;#ASMEND
	ds_read_b32 v36, v8 offset:120
	v_fmac_f32_e32 v32, v33, v25
	v_fmac_f32_e32 v34, v31, v38
	v_fmac_f32_e32 v32, v29, v24
	v_fmac_f32_e32 v34, v28, v40
	s_waitcnt lgkmcnt(0)
	v_lshrrev_b32_e32 v24, 16, v36
	v_and_b32_e32 v25, 0xffff, v36
	s_waitcnt vmcnt(1)
	v_lshrrev_b32_e32 v28, 16, v22
	v_and_b32_e32 v22, 0xffff, v22
	;;#ASMSTART
	v_cvt_f32_f16 v25, v25;
	;;#ASMEND
	;;#ASMSTART
	v_cvt_f32_f16 v24, v24;
	;;#ASMEND
	;; [unrolled: 3-line block ×4, first 2 shown]
	ds_read_b32 v29, v8 offset:124
	v_fmac_f32_e32 v32, v27, v23
	v_fmac_f32_e32 v34, v26, v35
	;; [unrolled: 1-line block ×4, first 2 shown]
	s_waitcnt lgkmcnt(0)
	v_lshrrev_b32_e32 v22, 16, v29
	v_and_b32_e32 v23, 0xffff, v29
	;;#ASMSTART
	v_cvt_f32_f16 v23, v23;
	;;#ASMEND
	;;#ASMSTART
	v_cvt_f32_f16 v22, v22;
	;;#ASMEND
	s_waitcnt vmcnt(0)
	v_lshrrev_b32_e32 v24, 16, v21
	v_and_b32_e32 v21, 0xffff, v21
	;;#ASMSTART
	v_cvt_f32_f16 v21, v21;
	;;#ASMEND
	;;#ASMSTART
	v_cvt_f32_f16 v24, v24;
	;;#ASMEND
	s_nop 0
	v_fmac_f32_e32 v32, v23, v21
	v_fmac_f32_e32 v34, v22, v24
	v_cndmask_b32_e64 v22, v16, v18, s[0:1]
	v_add_f32_e32 v21, v32, v34
	v_lshlrev_b32_e32 v22, 2, v22
	ds_bpermute_b32 v22, v22, v21
	v_cmp_lt_i32_e64 s[0:1], v19, v17
	s_waitcnt lgkmcnt(0)
	v_add_f32_e32 v21, v21, v22
	v_cndmask_b32_e64 v22, v16, v19, s[0:1]
	v_lshlrev_b32_e32 v22, 2, v22
	ds_bpermute_b32 v22, v22, v21
	s_and_saveexec_b64 s[38:39], vcc
	s_cbranch_execz .LBB80_11
; %bb.17:                               ;   in Loop: Header=BB80_13 Depth=1
	v_add_u32_e32 v23, v14, v12
	v_cvt_f32_i32_e32 v23, v23
	s_waitcnt lgkmcnt(0)
	v_add_f32_e32 v21, v21, v22
	v_add_u32_e32 v24, v7, v12
	v_cmp_gt_i32_e64 s[0:1], s21, v24
	v_mul_f32_e32 v22, s43, v23
	v_cndmask_b32_e64 v22, 0, v22, s[2:3]
	v_fmac_f32_e32 v22, s31, v21
	v_cndmask_b32_e64 v21, 0, v22, s[0:1]
	ds_write_b32 v13, v21
	v_max_f32_e32 v21, v9, v9
	v_max_f32_e32 v21, v21, v22
	v_cndmask_b32_e64 v9, v9, v21, s[0:1]
	s_branch .LBB80_11
.LBB80_18:
	s_or_b64 exec, exec, s[36:37]
.LBB80_19:
	s_or_b64 exec, exec, s[34:35]
	v_mbcnt_hi_u32_b32 v2, -1, v6
	v_and_b32_e32 v3, 64, v2
	v_add_u32_e32 v3, 64, v3
	v_xor_b32_e32 v4, 32, v2
	v_cmp_lt_i32_e32 vcc, v4, v3
	v_xor_b32_e32 v7, 16, v2
	v_max_f32_e32 v6, v9, v9
	v_cndmask_b32_e32 v4, v2, v4, vcc
	v_lshlrev_b32_e32 v4, 2, v4
	ds_bpermute_b32 v5, v4, v9
	v_cmp_lt_i32_e32 vcc, v7, v3
	v_xor_b32_e32 v8, 8, v2
	v_xor_b32_e32 v9, 4, v2
	v_and_b32_e32 v31, 63, v0
	s_waitcnt lgkmcnt(0)
	v_max_f32_e32 v5, v5, v5
	v_max_f32_e32 v6, v6, v5
	v_cndmask_b32_e32 v5, v2, v7, vcc
	v_lshlrev_b32_e32 v5, 2, v5
	ds_bpermute_b32 v7, v5, v6
	v_cmp_lt_i32_e32 vcc, v8, v3
	s_waitcnt lgkmcnt(0)
	v_max_f32_e32 v7, v7, v7
	v_max_f32_e32 v6, v6, v7
	v_cndmask_b32_e32 v7, v2, v8, vcc
	v_lshlrev_b32_e32 v8, 2, v7
	ds_bpermute_b32 v7, v8, v6
	v_cmp_lt_i32_e32 vcc, v9, v3
	s_waitcnt lgkmcnt(0)
	v_max_f32_e32 v7, v7, v7
	v_max_f32_e32 v7, v6, v7
	v_cndmask_b32_e32 v6, v2, v9, vcc
	v_lshlrev_b32_e32 v9, 2, v6
	ds_bpermute_b32 v11, v9, v7
	v_cmp_eq_u32_e32 vcc, 0, v31
	v_lshlrev_b32_e32 v6, 2, v1
	s_and_saveexec_b64 s[0:1], vcc
	s_cbranch_execz .LBB80_21
; %bb.20:
	s_waitcnt lgkmcnt(0)
	v_max_f32_e32 v11, v11, v11
	v_max_f32_e32 v7, v7, v7
	;; [unrolled: 1-line block ×3, first 2 shown]
	ds_write_b32 v6, v7 offset:512
.LBB80_21:
	s_or_b64 exec, exec, s[0:1]
	v_cmp_gt_u32_e64 s[0:1], 2, v31
	s_waitcnt lgkmcnt(0)
	v_mov_b32_e32 v11, 0xff7fffff
	v_lshlrev_b32_e32 v7, 2, v31
	s_barrier
	s_and_saveexec_b64 s[2:3], s[0:1]
	s_cbranch_execz .LBB80_23
; %bb.22:
	ds_read_b32 v11, v7 offset:512
.LBB80_23:
	s_or_b64 exec, exec, s[2:3]
	v_xor_b32_e32 v12, 1, v2
	v_cmp_lt_i32_e64 s[2:3], v12, v3
	v_lshlrev_b32_e32 v13, 2, v2
	s_nop 0
	v_cndmask_b32_e64 v12, v2, v12, s[2:3]
	v_lshlrev_b32_e32 v32, 2, v12
	s_waitcnt lgkmcnt(0)
	ds_bpermute_b32 v12, v32, v11
	v_max_f32_e32 v11, v11, v11
	s_lshl_b32 s2, s42, 4
	s_min_i32 s15, s2, s21
	v_cmp_gt_i32_e64 s[2:3], s15, v0
	s_waitcnt lgkmcnt(0)
	v_max_f32_e32 v12, v12, v12
	v_max_f32_e32 v12, v11, v12
	v_and_b32_e32 v11, 0x100, v13
	ds_bpermute_b32 v13, v11, v12
	v_mov_b32_e32 v12, 0
	s_and_saveexec_b64 s[30:31], s[2:3]
	s_cbranch_execz .LBB80_27
; %bb.24:
	v_mov_b32_e32 v12, 0x210
	v_lshl_add_u32 v14, v0, 2, v12
	s_mov_b64 s[34:35], 0
	v_mov_b32_e32 v12, 0
	v_mov_b32_e32 v15, v0
.LBB80_25:                              ; =>This Inner Loop Header: Depth=1
	ds_read_b32 v16, v14
	v_add_u32_e32 v15, 0x80, v15
	v_cmp_le_i32_e64 s[8:9], s15, v15
	s_or_b64 s[34:35], s[8:9], s[34:35]
	s_waitcnt lgkmcnt(0)
	v_sub_f32_e32 v16, v16, v13
	v_mul_f32_e32 v16, 0x3fb8aa3b, v16
	v_exp_f32_e32 v16, v16
	ds_write_b32 v14, v16
	v_add_f32_e32 v12, v12, v16
	v_add_u32_e32 v14, 0x200, v14
	s_andn2_b64 exec, exec, s[34:35]
	s_cbranch_execnz .LBB80_25
; %bb.26:
	s_or_b64 exec, exec, s[34:35]
.LBB80_27:
	s_or_b64 exec, exec, s[30:31]
	ds_bpermute_b32 v4, v4, v12
	s_waitcnt lgkmcnt(0)
	v_add_f32_e32 v4, v12, v4
	ds_bpermute_b32 v5, v5, v4
	s_waitcnt lgkmcnt(0)
	v_add_f32_e32 v4, v4, v5
	ds_bpermute_b32 v5, v8, v4
	v_xor_b32_e32 v8, 2, v2
	v_cmp_lt_i32_e64 s[8:9], v8, v3
	s_waitcnt lgkmcnt(0)
	v_add_f32_e32 v4, v4, v5
	ds_bpermute_b32 v5, v9, v4
	v_cndmask_b32_e64 v2, v2, v8, s[8:9]
	v_lshlrev_b32_e32 v2, 2, v2
	s_waitcnt lgkmcnt(0)
	v_add_f32_e32 v3, v4, v5
	ds_bpermute_b32 v2, v2, v3
	s_waitcnt lgkmcnt(0)
	v_add_f32_e32 v2, v3, v2
	ds_bpermute_b32 v3, v32, v2
	s_waitcnt lgkmcnt(0)
	v_add_f32_e32 v2, v2, v3
	s_and_saveexec_b64 s[8:9], vcc
	s_cbranch_execz .LBB80_29
; %bb.28:
	ds_write_b32 v6, v2 offset:520
.LBB80_29:
	s_or_b64 exec, exec, s[8:9]
	s_waitcnt lgkmcnt(0)
	s_barrier
	s_and_saveexec_b64 s[8:9], s[0:1]
	s_cbranch_execz .LBB80_31
; %bb.30:
	ds_read_b32 v2, v7 offset:520
.LBB80_31:
	s_or_b64 exec, exec, s[8:9]
	s_waitcnt lgkmcnt(0)
	ds_bpermute_b32 v3, v32, v2
	s_waitcnt lgkmcnt(0)
	v_add_f32_e32 v2, v2, v3
	ds_bpermute_b32 v2, v11, v2
	s_and_saveexec_b64 s[0:1], s[2:3]
	s_cbranch_execz .LBB80_44
; %bb.32:
	s_waitcnt lgkmcnt(0)
	v_add_f32_e32 v2, 0x358637bd, v2
	v_div_scale_f32 v3, s[2:3], v2, v2, 1.0
	v_rcp_f32_e32 v4, v3
	v_div_scale_f32 v5, vcc, 1.0, v2, 1.0
	s_movk_i32 s2, 0x7f
	v_fma_f32 v6, -v3, v4, 1.0
	v_fmac_f32_e32 v4, v6, v4
	v_mul_f32_e32 v6, v5, v4
	v_fma_f32 v7, -v3, v6, v5
	v_fmac_f32_e32 v6, v7, v4
	v_fma_f32 v3, -v3, v6, v5
	v_div_fmas_f32 v3, v3, v4, v6
	v_xad_u32 v4, v0, -1, s15
	v_div_fixup_f32 v2, v3, v2, 1.0
	v_cmp_lt_u32_e32 vcc, s2, v4
	s_mov_b64 s[8:9], -1
	v_mov_b32_e32 v3, v0
	s_and_saveexec_b64 s[2:3], vcc
	s_cbranch_execz .LBB80_41
; %bb.33:
	v_lshrrev_b32_e32 v4, 7, v4
	v_add_u32_e32 v6, -1, v4
	v_lshrrev_b32_e32 v5, 1, v6
	v_mov_b32_e32 v3, v2
	v_add_u32_e32 v5, 1, v5
	v_cmp_lt_u32_e32 vcc, 13, v6
	v_mov_b32_e32 v8, 0
	s_and_saveexec_b64 s[8:9], vcc
	s_cbranch_execz .LBB80_37
; %bb.34:
	v_mov_b32_e32 v7, 0x210
	v_and_b32_e32 v6, -8, v5
	v_lshl_add_u32 v7, v0, 2, v7
	s_mov_b32 s16, 0
	s_mov_b64 s[30:31], 0
.LBB80_35:                              ; =>This Inner Loop Header: Depth=1
	ds_read2st64_b32 v[8:9], v7 offset1:2
	ds_read2st64_b32 v[12:13], v7 offset0:4 offset1:6
	ds_read2st64_b32 v[14:15], v7 offset0:8 offset1:10
	;; [unrolled: 1-line block ×3, first 2 shown]
	v_add_u32_e32 v6, -8, v6
	s_waitcnt lgkmcnt(3)
	v_pk_mul_f32 v[8:9], v[2:3], v[8:9]
	s_waitcnt lgkmcnt(2)
	v_pk_mul_f32 v[12:13], v[2:3], v[12:13]
	ds_write2st64_b32 v7, v8, v9 offset1:2
	ds_write2st64_b32 v7, v12, v13 offset0:4 offset1:6
	ds_read2st64_b32 v[12:13], v7 offset0:16 offset1:18
	s_waitcnt lgkmcnt(4)
	v_pk_mul_f32 v[8:9], v[2:3], v[14:15]
	ds_write2st64_b32 v7, v8, v9 offset0:8 offset1:10
	s_waitcnt lgkmcnt(4)
	v_pk_mul_f32 v[8:9], v[2:3], v[16:17]
	ds_write2st64_b32 v7, v8, v9 offset0:12 offset1:14
	ds_read2st64_b32 v[8:9], v7 offset0:20 offset1:22
	s_waitcnt lgkmcnt(3)
	v_pk_mul_f32 v[12:13], v[2:3], v[12:13]
	ds_read2st64_b32 v[14:15], v7 offset0:24 offset1:26
	ds_write2st64_b32 v7, v12, v13 offset0:16 offset1:18
	ds_read2st64_b32 v[12:13], v7 offset0:28 offset1:30
	s_waitcnt lgkmcnt(3)
	v_pk_mul_f32 v[8:9], v[2:3], v[8:9]
	ds_write2st64_b32 v7, v8, v9 offset0:20 offset1:22
	s_waitcnt lgkmcnt(3)
	v_pk_mul_f32 v[8:9], v[2:3], v[14:15]
	ds_write2st64_b32 v7, v8, v9 offset0:24 offset1:26
	s_waitcnt lgkmcnt(2)
	v_pk_mul_f32 v[8:9], v[2:3], v[12:13]
	s_add_i32 s16, s16, 16
	v_cmp_eq_u32_e32 vcc, 0, v6
	ds_write2st64_b32 v7, v8, v9 offset0:28 offset1:30
	v_add_u32_e32 v7, 0x2000, v7
	s_or_b64 s[30:31], vcc, s[30:31]
	v_mov_b32_e32 v8, s16
	s_andn2_b64 exec, exec, s[30:31]
	s_cbranch_execnz .LBB80_35
; %bb.36:
	s_or_b64 exec, exec, s[30:31]
.LBB80_37:
	s_or_b64 exec, exec, s[8:9]
	v_and_b32_e32 v5, 7, v5
	v_cmp_ne_u32_e32 vcc, 0, v5
	s_and_saveexec_b64 s[8:9], vcc
	s_cbranch_execz .LBB80_40
; %bb.38:
	v_lshlrev_b32_e32 v6, 9, v8
	v_lshlrev_b32_e32 v7, 2, v0
	s_movk_i32 s16, 0x210
	v_add3_u32 v6, v6, v7, s16
	s_mov_b64 s[30:31], 0
.LBB80_39:                              ; =>This Inner Loop Header: Depth=1
	ds_read2st64_b32 v[8:9], v6 offset1:2
	v_add_u32_e32 v5, -1, v5
	v_cmp_eq_u32_e32 vcc, 0, v5
	s_or_b64 s[30:31], vcc, s[30:31]
	s_waitcnt lgkmcnt(0)
	v_pk_mul_f32 v[8:9], v[2:3], v[8:9]
	ds_write2st64_b32 v6, v8, v9 offset1:2
	v_add_u32_e32 v6, 0x400, v6
	s_andn2_b64 exec, exec, s[30:31]
	s_cbranch_execnz .LBB80_39
.LBB80_40:
	s_or_b64 exec, exec, s[8:9]
	v_add_u32_e32 v4, 1, v4
	v_and_b32_e32 v5, 0x3fffffe, v4
	v_cmp_ne_u32_e32 vcc, v4, v5
	v_lshl_add_u32 v3, v5, 7, v0
	s_orn2_b64 s[8:9], vcc, exec
.LBB80_41:
	s_or_b64 exec, exec, s[2:3]
	s_and_b64 exec, exec, s[8:9]
	s_cbranch_execz .LBB80_44
; %bb.42:
	v_mov_b32_e32 v4, 0x210
	v_lshl_add_u32 v4, v3, 2, v4
	s_mov_b64 s[2:3], 0
.LBB80_43:                              ; =>This Inner Loop Header: Depth=1
	ds_read_b32 v5, v4
	v_add_u32_e32 v3, 0x80, v3
	v_cmp_le_i32_e32 vcc, s15, v3
	s_or_b64 s[2:3], vcc, s[2:3]
	s_waitcnt lgkmcnt(0)
	v_mul_f32_e32 v5, v2, v5
	ds_write_b32 v4, v5
	v_add_u32_e32 v4, 0x200, v4
	s_andn2_b64 exec, exec, s[2:3]
	s_cbranch_execnz .LBB80_43
.LBB80_44:
	s_or_b64 exec, exec, s[0:1]
	s_mov_b32 s8, 0
	v_mov_b32_e32 v9, 0
	v_and_b32_e32 v33, 1, v0
	v_mov_b32_e32 v8, 0
	v_mov_b32_e32 v7, 0
	;; [unrolled: 1-line block ×6, first 2 shown]
	s_waitcnt lgkmcnt(0)
	v_mov_b32_e32 v2, 0
	s_barrier
	s_and_saveexec_b64 s[2:3], s[6:7]
	s_cbranch_execz .LBB80_66
; %bb.45:
	s_ashr_i32 s15, s14, 31
	s_sub_i32 s30, s12, s17
	s_lshl_b64 s[0:1], s[14:15], 1
	s_add_u32 s6, s28, s0
	v_lshlrev_b32_e32 v2, 3, v0
	s_addc_u32 s7, s29, s1
	s_abs_i32 s18, s18
	v_and_b32_e32 v34, 8, v2
	v_and_b32_e32 v12, 0x1f8, v2
	v_cvt_f32_u32_e32 v2, s18
	s_sub_i32 s0, 0, s18
	s_add_i32 s28, s42, -1
	s_mov_b32 s9, s8
	v_rcp_iflag_f32_e32 v2, v2
	s_mov_b32 s31, s13
	v_mov_b32_e32 v15, 0
	v_or_b32_e32 v20, 0x800, v12
	v_mul_f32_e32 v2, 0x4f7ffffe, v2
	v_cvt_u32_f32_e32 v2, v2
	v_or_b32_e32 v22, 0xa00, v12
	v_or_b32_e32 v24, 0xc00, v12
	;; [unrolled: 1-line block ×3, first 2 shown]
	v_mul_lo_u32 v3, s0, v2
	v_mul_hi_u32 v3, v2, v3
	v_add_u32_e32 v35, v2, v3
	s_lshl_b64 s[0:1], s[26:27], 2
	v_lshlrev_b32_e32 v2, 5, v33
	s_add_u32 s0, s10, s0
	v_lshl_or_b32 v2, v1, 6, v2
	v_and_b32_e32 v14, 60, v10
	s_addc_u32 s1, s11, s1
	v_add_u32_e32 v36, 0x210, v2
	s_mov_b32 s10, s8
	s_mov_b32 s11, s8
	;; [unrolled: 1-line block ×6, first 2 shown]
	v_mov_b64_e32 v[2:3], s[8:9]
	s_mov_b32 s29, s21
	s_mov_b32 s34, s21
	;; [unrolled: 1-line block ×7, first 2 shown]
	v_lshl_add_u64 v[16:17], s[0:1], 0, v[14:15]
	s_mov_b64 s[16:17], 0
	v_mov_b64_e32 v[4:5], s[10:11]
	v_mov_b64_e32 v[6:7], s[12:13]
	;; [unrolled: 1-line block ×3, first 2 shown]
	v_lshlrev_b32_e32 v18, 1, v12
	s_mov_b32 s12, 0x5040100
	v_lshlrev_b32_e32 v14, 1, v20
	v_lshlrev_b32_e32 v20, 1, v22
	;; [unrolled: 1-line block ×4, first 2 shown]
	s_branch .LBB80_48
.LBB80_46:                              ;   in Loop: Header=BB80_48 Depth=1
	s_or_b64 exec, exec, s[0:1]
	v_add_f32_e32 v19, v48, v49
	s_waitcnt vmcnt(0)
	;;#ASMSTART
	v_pk_mul_f16 v10, v47, v10;

	;;#ASMEND
	v_add_f32_e32 v2, v2, v19
	v_add_f32_e32 v19, v50, v51
	;;#ASMSTART
	v_pk_mul_f16 v11, v46, v11;

	;;#ASMEND
	;;#ASMSTART
	v_pk_mul_f16 v12, v45, v12;

	;;#ASMEND
	;; [unrolled: 4-line block ×3, first 2 shown]
	v_add_f32_e32 v3, v3, v19
	;;#ASMSTART
	v_pk_add_f16 v10, v10, v11;

	;;#ASMEND
	v_add_f32_e32 v19, v52, v53
	;;#ASMSTART
	v_pk_add_f16 v10, v10, v12;

	;;#ASMEND
	v_add_f32_e32 v4, v4, v19
	v_add_f32_e32 v19, v28, v29
	;;#ASMSTART
	v_pk_add_f16 v10, v10, v13;

	;;#ASMEND
	v_add_f32_e32 v5, v5, v19
	v_add_f32_e32 v19, v54, v55
	v_lshrrev_b32_e32 v11, 16, v10
	v_and_b32_e32 v10, 0xffff, v10
	v_add_f32_e32 v6, v6, v19
	v_add_f32_e32 v19, v21, v56
	;;#ASMSTART
	v_cvt_f32_f16 v10, v10;
	;;#ASMEND
	v_add_f32_e32 v7, v7, v19
	v_add_f32_e32 v19, v23, v57
	;;#ASMSTART
	v_cvt_f32_f16 v11, v11;
	;;#ASMEND
	v_add_f32_e32 v8, v8, v19
	v_add_f32_e32 v10, v10, v11
	;; [unrolled: 1-line block ×3, first 2 shown]
.LBB80_47:                              ;   in Loop: Header=BB80_48 Depth=1
	s_or_b64 exec, exec, s[8:9]
	v_add_u32_e32 v1, 2, v1
	v_cmp_le_i32_e32 vcc, s42, v1
	v_lshl_add_u64 v[16:17], v[16:17], 0, 8
	v_add_u32_e32 v30, 32, v30
	s_or_b64 s[16:17], vcc, s[16:17]
	v_add_u32_e32 v36, 0x80, v36
	s_andn2_b64 exec, exec, s[16:17]
	s_cbranch_execz .LBB80_65
.LBB80_48:                              ; =>This Inner Loop Header: Depth=1
	v_mul_hi_u32 v10, v30, s33
	v_mul_lo_u32 v11, v10, s23
	v_sub_u32_e32 v11, v30, v11
	v_add_u32_e32 v12, 1, v10
	v_cmp_le_u32_e32 vcc, s23, v11
	s_nop 1
	v_cndmask_b32_e32 v10, v10, v12, vcc
	v_subrev_u32_e32 v12, s23, v11
	v_cndmask_b32_e32 v11, v11, v12, vcc
	v_add_u32_e32 v12, 1, v10
	v_cmp_le_u32_e32 vcc, s23, v11
	s_nop 1
	v_cndmask_b32_e32 v10, v10, v12, vcc
	v_xor_b32_e32 v10, s41, v10
	v_subrev_u32_e32 v10, s41, v10
	v_add_u32_e32 v11, s40, v10
	v_sub_u32_e32 v13, 0, v11
	v_ashrrev_i32_e32 v12, 31, v11
	v_max_i32_e32 v11, v11, v13
	v_mul_hi_u32 v13, v11, v35
	v_mul_lo_u32 v13, v13, s18
	v_sub_u32_e32 v11, v11, v13
	v_subrev_u32_e32 v13, s18, v11
	v_cmp_le_u32_e32 vcc, s18, v11
	v_cmp_lt_i32_e64 s[0:1], s30, v10
	s_nop 0
	v_cndmask_b32_e32 v11, v11, v13, vcc
	v_subrev_u32_e32 v13, s18, v11
	v_cmp_le_u32_e32 vcc, s18, v11
	s_nop 1
	v_cndmask_b32_e32 v11, v11, v13, vcc
	v_xor_b32_e32 v11, v11, v12
	v_sub_u32_e32 v11, v11, v12
	v_cmp_eq_u32_e32 vcc, 0, v11
	s_or_b64 s[0:1], vcc, s[0:1]
	s_and_saveexec_b64 s[8:9], s[0:1]
	s_cbranch_execz .LBB80_47
; %bb.49:                               ;   in Loop: Header=BB80_48 Depth=1
	global_load_dword v19, v[16:17], off
	ds_read2_b64 v[10:13], v36 offset1:1
	ds_read2_b64 v[26:29], v36 offset0:2 offset1:3
	v_cmp_eq_u32_e32 vcc, s28, v1
	s_waitcnt lgkmcnt(1)
	;;#ASMSTART
	v_cvt_f16_f32 v21, v10;

	;;#ASMEND
	;;#ASMSTART
	v_cvt_f16_f32 v23, v11;

	;;#ASMEND
	;; [unrolled: 4-line block ×4, first 2 shown]
	s_waitcnt lgkmcnt(0)
	;;#ASMSTART
	v_cvt_f16_f32 v45, v26;

	;;#ASMEND
	;;#ASMSTART
	v_cvt_f16_f32 v48, v27;

	;;#ASMEND
	;; [unrolled: 4-line block ×4, first 2 shown]
	s_waitcnt vmcnt(0)
	v_mad_i64_i32 v[10:11], s[0:1], v19, s31, 0
	v_lshl_add_u64 v[26:27], v[10:11], 1, s[6:7]
	v_mov_b32_e32 v19, v15
	v_lshl_add_u64 v[28:29], v[26:27], 0, v[18:19]
	global_load_dwordx4 v[10:13], v[28:29], off
	v_add_u32_e32 v19, v34, v30
	v_add_u32_e32 v37, 1, v19
	v_or_b32_e32 v39, 3, v19
	v_or_b32_e32 v38, 2, v19
	;; [unrolled: 1-line block ×6, first 2 shown]
	s_and_saveexec_b64 s[10:11], vcc
	s_cbranch_execz .LBB80_51
; %bb.50:                               ;   in Loop: Header=BB80_48 Depth=1
	s_waitcnt vmcnt(0)
	v_lshrrev_b32_e32 v46, 16, v13
	v_cmp_gt_i32_e64 s[0:1], s39, v43
	s_nop 1
	v_cndmask_b32_e64 v46, 0, v46, s[0:1]
	v_cmp_gt_i32_e64 s[0:1], s38, v42
	s_nop 1
	v_cndmask_b32_e64 v13, 0, v13, s[0:1]
	v_perm_b32 v13, v46, v13, s12
	v_lshrrev_b32_e32 v46, 16, v12
	v_cmp_gt_i32_e64 s[0:1], s37, v41
	s_nop 1
	v_cndmask_b32_e64 v46, 0, v46, s[0:1]
	v_cmp_gt_i32_e64 s[0:1], s36, v40
	s_nop 1
	v_cndmask_b32_e64 v12, 0, v12, s[0:1]
	v_perm_b32 v12, v46, v12, s12
	v_lshrrev_b32_e32 v46, 16, v11
	v_cmp_gt_i32_e64 s[0:1], s35, v39
	s_nop 1
	v_cndmask_b32_e64 v46, 0, v46, s[0:1]
	v_cmp_gt_i32_e64 s[0:1], s34, v38
	s_nop 1
	v_cndmask_b32_e64 v11, 0, v11, s[0:1]
	v_perm_b32 v11, v46, v11, s12
	v_lshrrev_b32_e32 v46, 16, v10
	v_cmp_gt_i32_e64 s[0:1], s29, v37
	s_nop 1
	v_cndmask_b32_e64 v46, 0, v46, s[0:1]
	v_cmp_gt_i32_e64 s[0:1], s21, v19
	s_nop 1
	v_cndmask_b32_e64 v10, 0, v10, s[0:1]
	v_perm_b32 v10, v46, v10, s12
.LBB80_51:                              ;   in Loop: Header=BB80_48 Depth=1
	s_or_b64 exec, exec, s[10:11]
	v_and_b32_e32 v21, 0xffff, v21
	v_lshl_or_b32 v47, v23, 16, v21
	v_and_b32_e32 v21, 0xffff, v25
	v_lshl_or_b32 v46, v44, 16, v21
	;; [unrolled: 2-line block ×3, first 2 shown]
	v_and_b32_e32 v21, 0xffff, v49
	s_waitcnt vmcnt(0)
	;;#ASMSTART
	v_pk_mul_f16 v10, v47, v10;

	;;#ASMEND
	v_lshl_or_b32 v44, v50, 16, v21
	;;#ASMSTART
	v_pk_mul_f16 v11, v46, v11;

	;;#ASMEND
	;;#ASMSTART
	v_pk_mul_f16 v12, v45, v12;

	;;#ASMEND
	;;#ASMSTART
	v_pk_mul_f16 v13, v44, v13;

	;;#ASMEND
	s_nop 0
	;;#ASMSTART
	v_pk_add_f16 v10, v10, v11;

	;;#ASMEND
	s_nop 0
	;;#ASMSTART
	v_pk_add_f16 v10, v10, v12;

	;;#ASMEND
	;; [unrolled: 5-line block ×3, first 2 shown]
	s_nop 0
	v_lshrrev_b32_e32 v11, 16, v10
	v_and_b32_e32 v10, 0xffff, v10
	;;#ASMSTART
	v_cvt_f32_f16 v48, v10;
	;;#ASMEND
	;;#ASMSTART
	v_cvt_f32_f16 v49, v11;
	;;#ASMEND
	global_load_dwordx4 v[10:13], v[28:29], off offset:1024
	s_and_saveexec_b64 s[10:11], vcc
	s_cbranch_execz .LBB80_53
; %bb.52:                               ;   in Loop: Header=BB80_48 Depth=1
	s_waitcnt vmcnt(0)
	v_lshrrev_b32_e32 v21, 16, v13
	v_cmp_gt_i32_e64 s[0:1], s39, v43
	s_nop 1
	v_cndmask_b32_e64 v21, 0, v21, s[0:1]
	v_cmp_gt_i32_e64 s[0:1], s38, v42
	s_nop 1
	v_cndmask_b32_e64 v13, 0, v13, s[0:1]
	v_perm_b32 v13, v21, v13, s12
	v_lshrrev_b32_e32 v21, 16, v12
	v_cmp_gt_i32_e64 s[0:1], s37, v41
	s_nop 1
	v_cndmask_b32_e64 v21, 0, v21, s[0:1]
	v_cmp_gt_i32_e64 s[0:1], s36, v40
	s_nop 1
	v_cndmask_b32_e64 v12, 0, v12, s[0:1]
	v_perm_b32 v12, v21, v12, s12
	;; [unrolled: 8-line block ×4, first 2 shown]
.LBB80_53:                              ;   in Loop: Header=BB80_48 Depth=1
	s_or_b64 exec, exec, s[10:11]
	s_waitcnt vmcnt(0)
	;;#ASMSTART
	v_pk_mul_f16 v10, v47, v10;

	;;#ASMEND
	;;#ASMSTART
	v_pk_mul_f16 v11, v46, v11;

	;;#ASMEND
	;; [unrolled: 4-line block ×4, first 2 shown]
	s_nop 0
	;;#ASMSTART
	v_pk_add_f16 v10, v10, v11;

	;;#ASMEND
	s_nop 0
	;;#ASMSTART
	v_pk_add_f16 v10, v10, v12;

	;;#ASMEND
	;; [unrolled: 5-line block ×3, first 2 shown]
	s_nop 0
	v_lshrrev_b32_e32 v11, 16, v10
	v_and_b32_e32 v10, 0xffff, v10
	;;#ASMSTART
	v_cvt_f32_f16 v50, v10;
	;;#ASMEND
	;;#ASMSTART
	v_cvt_f32_f16 v51, v11;
	;;#ASMEND
	global_load_dwordx4 v[10:13], v[28:29], off offset:2048
	s_and_saveexec_b64 s[10:11], vcc
	s_cbranch_execz .LBB80_55
; %bb.54:                               ;   in Loop: Header=BB80_48 Depth=1
	s_waitcnt vmcnt(0)
	v_lshrrev_b32_e32 v21, 16, v13
	v_cmp_gt_i32_e64 s[0:1], s39, v43
	s_nop 1
	v_cndmask_b32_e64 v21, 0, v21, s[0:1]
	v_cmp_gt_i32_e64 s[0:1], s38, v42
	s_nop 1
	v_cndmask_b32_e64 v13, 0, v13, s[0:1]
	v_perm_b32 v13, v21, v13, s12
	v_lshrrev_b32_e32 v21, 16, v12
	v_cmp_gt_i32_e64 s[0:1], s37, v41
	s_nop 1
	v_cndmask_b32_e64 v21, 0, v21, s[0:1]
	v_cmp_gt_i32_e64 s[0:1], s36, v40
	s_nop 1
	v_cndmask_b32_e64 v12, 0, v12, s[0:1]
	v_perm_b32 v12, v21, v12, s12
	;; [unrolled: 8-line block ×4, first 2 shown]
.LBB80_55:                              ;   in Loop: Header=BB80_48 Depth=1
	s_or_b64 exec, exec, s[10:11]
	s_waitcnt vmcnt(0)
	;;#ASMSTART
	v_pk_mul_f16 v10, v47, v10;

	;;#ASMEND
	;;#ASMSTART
	v_pk_mul_f16 v11, v46, v11;

	;;#ASMEND
	;; [unrolled: 4-line block ×4, first 2 shown]
	s_nop 0
	;;#ASMSTART
	v_pk_add_f16 v10, v10, v11;

	;;#ASMEND
	s_nop 0
	;;#ASMSTART
	v_pk_add_f16 v10, v10, v12;

	;;#ASMEND
	;; [unrolled: 5-line block ×3, first 2 shown]
	s_nop 0
	v_lshrrev_b32_e32 v11, 16, v10
	v_and_b32_e32 v10, 0xffff, v10
	;;#ASMSTART
	v_cvt_f32_f16 v52, v10;
	;;#ASMEND
	;;#ASMSTART
	v_cvt_f32_f16 v53, v11;
	;;#ASMEND
	global_load_dwordx4 v[10:13], v[28:29], off offset:3072
	s_and_saveexec_b64 s[10:11], vcc
	s_cbranch_execz .LBB80_57
; %bb.56:                               ;   in Loop: Header=BB80_48 Depth=1
	s_waitcnt vmcnt(0)
	v_lshrrev_b32_e32 v21, 16, v13
	v_cmp_gt_i32_e64 s[0:1], s39, v43
	s_nop 1
	v_cndmask_b32_e64 v21, 0, v21, s[0:1]
	v_cmp_gt_i32_e64 s[0:1], s38, v42
	s_nop 1
	v_cndmask_b32_e64 v13, 0, v13, s[0:1]
	v_perm_b32 v13, v21, v13, s12
	v_lshrrev_b32_e32 v21, 16, v12
	v_cmp_gt_i32_e64 s[0:1], s37, v41
	s_nop 1
	v_cndmask_b32_e64 v21, 0, v21, s[0:1]
	v_cmp_gt_i32_e64 s[0:1], s36, v40
	s_nop 1
	v_cndmask_b32_e64 v12, 0, v12, s[0:1]
	v_perm_b32 v12, v21, v12, s12
	;; [unrolled: 8-line block ×4, first 2 shown]
.LBB80_57:                              ;   in Loop: Header=BB80_48 Depth=1
	s_or_b64 exec, exec, s[10:11]
	s_waitcnt vmcnt(0)
	;;#ASMSTART
	v_pk_mul_f16 v10, v47, v10;

	;;#ASMEND
	;;#ASMSTART
	v_pk_mul_f16 v11, v46, v11;

	;;#ASMEND
	;; [unrolled: 4-line block ×4, first 2 shown]
	s_nop 0
	;;#ASMSTART
	v_pk_add_f16 v10, v10, v11;

	;;#ASMEND
	s_nop 0
	;;#ASMSTART
	v_pk_add_f16 v10, v10, v12;

	;;#ASMEND
	;; [unrolled: 5-line block ×3, first 2 shown]
	s_nop 0
	v_lshrrev_b32_e32 v11, 16, v10
	v_and_b32_e32 v10, 0xffff, v10
	;;#ASMSTART
	v_cvt_f32_f16 v28, v10;
	;;#ASMEND
	;;#ASMSTART
	v_cvt_f32_f16 v29, v11;
	;;#ASMEND
	v_lshl_add_u64 v[10:11], v[26:27], 0, v[14:15]
	global_load_dwordx4 v[10:13], v[10:11], off
	s_and_saveexec_b64 s[10:11], vcc
	s_cbranch_execz .LBB80_59
; %bb.58:                               ;   in Loop: Header=BB80_48 Depth=1
	s_waitcnt vmcnt(0)
	v_lshrrev_b32_e32 v21, 16, v13
	v_cmp_gt_i32_e64 s[0:1], s39, v43
	s_nop 1
	v_cndmask_b32_e64 v21, 0, v21, s[0:1]
	v_cmp_gt_i32_e64 s[0:1], s38, v42
	s_nop 1
	v_cndmask_b32_e64 v13, 0, v13, s[0:1]
	v_perm_b32 v13, v21, v13, s12
	v_lshrrev_b32_e32 v21, 16, v12
	v_cmp_gt_i32_e64 s[0:1], s37, v41
	s_nop 1
	v_cndmask_b32_e64 v21, 0, v21, s[0:1]
	v_cmp_gt_i32_e64 s[0:1], s36, v40
	s_nop 1
	v_cndmask_b32_e64 v12, 0, v12, s[0:1]
	v_perm_b32 v12, v21, v12, s12
	;; [unrolled: 8-line block ×4, first 2 shown]
.LBB80_59:                              ;   in Loop: Header=BB80_48 Depth=1
	s_or_b64 exec, exec, s[10:11]
	s_waitcnt vmcnt(0)
	;;#ASMSTART
	v_pk_mul_f16 v10, v47, v10;

	;;#ASMEND
	;;#ASMSTART
	v_pk_mul_f16 v11, v46, v11;

	;;#ASMEND
	;; [unrolled: 4-line block ×4, first 2 shown]
	v_mov_b32_e32 v21, v15
	;;#ASMSTART
	v_pk_add_f16 v10, v10, v11;

	;;#ASMEND
	s_nop 0
	;;#ASMSTART
	v_pk_add_f16 v10, v10, v12;

	;;#ASMEND
	s_nop 0
	;; [unrolled: 5-line block ×3, first 2 shown]
	v_lshrrev_b32_e32 v11, 16, v10
	v_and_b32_e32 v10, 0xffff, v10
	;;#ASMSTART
	v_cvt_f32_f16 v54, v10;
	;;#ASMEND
	;;#ASMSTART
	v_cvt_f32_f16 v55, v11;
	;;#ASMEND
	v_lshl_add_u64 v[10:11], v[26:27], 0, v[20:21]
	global_load_dwordx4 v[10:13], v[10:11], off
	s_and_saveexec_b64 s[10:11], vcc
	s_cbranch_execz .LBB80_61
; %bb.60:                               ;   in Loop: Header=BB80_48 Depth=1
	s_waitcnt vmcnt(0)
	v_lshrrev_b32_e32 v21, 16, v13
	v_cmp_gt_i32_e64 s[0:1], s39, v43
	s_nop 1
	v_cndmask_b32_e64 v21, 0, v21, s[0:1]
	v_cmp_gt_i32_e64 s[0:1], s38, v42
	s_nop 1
	v_cndmask_b32_e64 v13, 0, v13, s[0:1]
	v_perm_b32 v13, v21, v13, s12
	v_lshrrev_b32_e32 v21, 16, v12
	v_cmp_gt_i32_e64 s[0:1], s37, v41
	s_nop 1
	v_cndmask_b32_e64 v21, 0, v21, s[0:1]
	v_cmp_gt_i32_e64 s[0:1], s36, v40
	s_nop 1
	v_cndmask_b32_e64 v12, 0, v12, s[0:1]
	v_perm_b32 v12, v21, v12, s12
	;; [unrolled: 8-line block ×4, first 2 shown]
.LBB80_61:                              ;   in Loop: Header=BB80_48 Depth=1
	s_or_b64 exec, exec, s[10:11]
	s_waitcnt vmcnt(0)
	;;#ASMSTART
	v_pk_mul_f16 v10, v47, v10;

	;;#ASMEND
	;;#ASMSTART
	v_pk_mul_f16 v11, v46, v11;

	;;#ASMEND
	;; [unrolled: 4-line block ×4, first 2 shown]
	v_mov_b32_e32 v23, v15
	;;#ASMSTART
	v_pk_add_f16 v10, v10, v11;

	;;#ASMEND
	s_nop 0
	;;#ASMSTART
	v_pk_add_f16 v10, v10, v12;

	;;#ASMEND
	s_nop 0
	;; [unrolled: 5-line block ×3, first 2 shown]
	v_lshrrev_b32_e32 v11, 16, v10
	v_and_b32_e32 v10, 0xffff, v10
	;;#ASMSTART
	v_cvt_f32_f16 v21, v10;
	;;#ASMEND
	;;#ASMSTART
	v_cvt_f32_f16 v56, v11;
	;;#ASMEND
	v_lshl_add_u64 v[10:11], v[26:27], 0, v[22:23]
	global_load_dwordx4 v[10:13], v[10:11], off
	s_and_saveexec_b64 s[10:11], vcc
	s_cbranch_execz .LBB80_63
; %bb.62:                               ;   in Loop: Header=BB80_48 Depth=1
	s_waitcnt vmcnt(0)
	v_lshrrev_b32_e32 v23, 16, v13
	v_cmp_gt_i32_e64 s[0:1], s39, v43
	s_nop 1
	v_cndmask_b32_e64 v23, 0, v23, s[0:1]
	v_cmp_gt_i32_e64 s[0:1], s38, v42
	s_nop 1
	v_cndmask_b32_e64 v13, 0, v13, s[0:1]
	v_perm_b32 v13, v23, v13, s12
	v_lshrrev_b32_e32 v23, 16, v12
	v_cmp_gt_i32_e64 s[0:1], s37, v41
	s_nop 1
	v_cndmask_b32_e64 v23, 0, v23, s[0:1]
	v_cmp_gt_i32_e64 s[0:1], s36, v40
	s_nop 1
	v_cndmask_b32_e64 v12, 0, v12, s[0:1]
	v_perm_b32 v12, v23, v12, s12
	;; [unrolled: 8-line block ×4, first 2 shown]
.LBB80_63:                              ;   in Loop: Header=BB80_48 Depth=1
	s_or_b64 exec, exec, s[10:11]
	s_waitcnt vmcnt(0)
	;;#ASMSTART
	v_pk_mul_f16 v10, v47, v10;

	;;#ASMEND
	;;#ASMSTART
	v_pk_mul_f16 v11, v46, v11;

	;;#ASMEND
	;; [unrolled: 4-line block ×4, first 2 shown]
	v_mov_b32_e32 v25, v15
	;;#ASMSTART
	v_pk_add_f16 v10, v10, v11;

	;;#ASMEND
	s_nop 0
	;;#ASMSTART
	v_pk_add_f16 v10, v10, v12;

	;;#ASMEND
	s_nop 0
	;; [unrolled: 5-line block ×3, first 2 shown]
	v_lshrrev_b32_e32 v11, 16, v10
	v_and_b32_e32 v10, 0xffff, v10
	;;#ASMSTART
	v_cvt_f32_f16 v23, v10;
	;;#ASMEND
	;;#ASMSTART
	v_cvt_f32_f16 v57, v11;
	;;#ASMEND
	v_lshl_add_u64 v[10:11], v[26:27], 0, v[24:25]
	global_load_dwordx4 v[10:13], v[10:11], off
	s_and_saveexec_b64 s[0:1], vcc
	s_cbranch_execz .LBB80_46
; %bb.64:                               ;   in Loop: Header=BB80_48 Depth=1
	s_waitcnt vmcnt(0)
	v_lshrrev_b32_e32 v25, 16, v13
	v_cmp_gt_i32_e32 vcc, s39, v43
	s_nop 1
	v_cndmask_b32_e32 v25, 0, v25, vcc
	v_cmp_gt_i32_e32 vcc, s38, v42
	s_nop 1
	v_cndmask_b32_e32 v13, 0, v13, vcc
	v_perm_b32 v13, v25, v13, s12
	v_lshrrev_b32_e32 v25, 16, v12
	v_cmp_gt_i32_e32 vcc, s37, v41
	s_nop 1
	v_cndmask_b32_e32 v25, 0, v25, vcc
	v_cmp_gt_i32_e32 vcc, s36, v40
	s_nop 1
	v_cndmask_b32_e32 v12, 0, v12, vcc
	v_perm_b32 v12, v25, v12, s12
	;; [unrolled: 8-line block ×4, first 2 shown]
	s_branch .LBB80_46
.LBB80_65:
	s_or_b64 exec, exec, s[16:17]
.LBB80_66:
	s_or_b64 exec, exec, s[2:3]
	ds_bpermute_b32 v10, v32, v2
	ds_bpermute_b32 v11, v32, v3
	;; [unrolled: 1-line block ×8, first 2 shown]
	v_and_b32_e32 v1, 0x3c1, v0
	s_waitcnt lgkmcnt(6)
	v_pk_add_f32 v[12:13], v[2:3], v[10:11]
	s_waitcnt lgkmcnt(4)
	v_pk_add_f32 v[10:11], v[4:5], v[14:15]
	;; [unrolled: 2-line block ×4, first 2 shown]
	v_cmp_eq_u32_e32 vcc, 64, v1
	s_barrier
	s_and_saveexec_b64 s[0:1], vcc
	s_cbranch_execz .LBB80_68
; %bb.67:
	v_mov_b32_e32 v6, 0x210
	v_lshl_add_u32 v6, v31, 1, v6
	ds_write2_b32 v6, v12, v13 offset1:32
	ds_write2_b32 v6, v10, v11 offset0:64 offset1:96
	ds_write2_b32 v6, v4, v5 offset0:128 offset1:160
	;; [unrolled: 1-line block ×3, first 2 shown]
.LBB80_68:
	s_or_b64 exec, exec, s[0:1]
	v_cmp_gt_u32_e32 vcc, 64, v0
	s_waitcnt lgkmcnt(0)
	s_barrier
	s_and_saveexec_b64 s[0:1], vcc
	s_cbranch_execz .LBB80_79
; %bb.69:
	v_cmp_eq_u32_e32 vcc, 0, v33
	v_lshrrev_b32_e32 v6, 1, v0
	s_and_saveexec_b64 s[2:3], vcc
	s_cbranch_execnz .LBB80_82
; %bb.70:
	s_or_b64 exec, exec, s[2:3]
	s_and_saveexec_b64 s[2:3], vcc
	s_cbranch_execnz .LBB80_83
.LBB80_71:
	s_or_b64 exec, exec, s[2:3]
	s_and_saveexec_b64 s[2:3], vcc
	s_cbranch_execnz .LBB80_84
.LBB80_72:
	s_or_b64 exec, exec, s[2:3]
	s_and_saveexec_b64 s[2:3], vcc
	s_cbranch_execnz .LBB80_85
.LBB80_73:
	s_or_b64 exec, exec, s[2:3]
	s_and_saveexec_b64 s[2:3], vcc
	s_cbranch_execnz .LBB80_86
.LBB80_74:
	s_or_b64 exec, exec, s[2:3]
	s_and_saveexec_b64 s[2:3], vcc
	s_cbranch_execnz .LBB80_87
.LBB80_75:
	s_or_b64 exec, exec, s[2:3]
	s_and_saveexec_b64 s[2:3], vcc
	s_cbranch_execnz .LBB80_88
.LBB80_76:
	s_or_b64 exec, exec, s[2:3]
	s_and_saveexec_b64 s[2:3], vcc
	s_cbranch_execz .LBB80_78
.LBB80_77:
	v_mov_b32_e32 v7, 0x210
	v_lshl_add_u32 v6, v6, 2, v7
	ds_read_b32 v6, v6 offset:896
	s_waitcnt lgkmcnt(0)
	v_add_f32_e32 v3, v3, v6
.LBB80_78:
	s_or_b64 exec, exec, s[2:3]
.LBB80_79:
	s_or_b64 exec, exec, s[0:1]
	v_cmp_eq_u32_e32 vcc, 0, v1
	s_barrier
	s_and_saveexec_b64 s[0:1], vcc
	s_cbranch_execz .LBB80_81
; %bb.80:
	s_mul_i32 s0, s20, s19
	s_mul_i32 s0, s0, s5
	s_lshl_b32 s0, s0, 8
	s_ashr_i32 s1, s0, 31
	s_lshl_b64 s[0:1], s[0:1], 1
	s_add_u32 s2, s24, s0
	s_mul_i32 s0, s19, s22
	s_addc_u32 s3, s25, s1
	s_ashr_i32 s1, s0, 31
	s_lshl_b64 s[0:1], s[0:1], 1
	s_add_u32 s2, s2, s0
	s_addc_u32 s3, s3, s1
	s_lshl_b32 s0, s4, 8
	s_ashr_i32 s1, s0, 31
	s_lshl_b64 s[0:1], s[0:1], 1
	s_add_u32 s0, s2, s0
	s_addc_u32 s1, s3, s1
	;;#ASMSTART
	v_cvt_f16_f32 v1, v12;

	;;#ASMEND
	global_store_short v0, v1, s[0:1]
	;;#ASMSTART
	v_cvt_f16_f32 v1, v13;

	;;#ASMEND
	global_store_short v0, v1, s[0:1] offset:64
	;;#ASMSTART
	v_cvt_f16_f32 v1, v10;

	;;#ASMEND
	global_store_short v0, v1, s[0:1] offset:128
	;; [unrolled: 5-line block ×7, first 2 shown]
.LBB80_81:
	s_endpgm
.LBB80_82:
	v_mov_b32_e32 v7, 0x210
	v_lshl_add_u32 v7, v6, 2, v7
	ds_read_b32 v7, v7
	s_waitcnt lgkmcnt(0)
	v_add_f32_e32 v12, v12, v7
	s_or_b64 exec, exec, s[2:3]
	s_and_saveexec_b64 s[2:3], vcc
	s_cbranch_execz .LBB80_71
.LBB80_83:
	v_mov_b32_e32 v7, 0x210
	v_lshl_add_u32 v7, v6, 2, v7
	ds_read_b32 v7, v7 offset:128
	s_waitcnt lgkmcnt(0)
	v_add_f32_e32 v13, v13, v7
	s_or_b64 exec, exec, s[2:3]
	s_and_saveexec_b64 s[2:3], vcc
	s_cbranch_execz .LBB80_72
.LBB80_84:
	v_mov_b32_e32 v7, 0x210
	v_lshl_add_u32 v7, v6, 2, v7
	ds_read_b32 v7, v7 offset:256
	s_waitcnt lgkmcnt(0)
	v_add_f32_e32 v10, v10, v7
	s_or_b64 exec, exec, s[2:3]
	s_and_saveexec_b64 s[2:3], vcc
	s_cbranch_execz .LBB80_73
.LBB80_85:
	v_mov_b32_e32 v7, 0x210
	v_lshl_add_u32 v7, v6, 2, v7
	ds_read_b32 v7, v7 offset:384
	s_waitcnt lgkmcnt(0)
	v_add_f32_e32 v11, v11, v7
	s_or_b64 exec, exec, s[2:3]
	s_and_saveexec_b64 s[2:3], vcc
	s_cbranch_execz .LBB80_74
.LBB80_86:
	v_mov_b32_e32 v7, 0x210
	v_lshl_add_u32 v7, v6, 2, v7
	ds_read_b32 v7, v7 offset:512
	s_waitcnt lgkmcnt(0)
	v_add_f32_e32 v4, v4, v7
	s_or_b64 exec, exec, s[2:3]
	s_and_saveexec_b64 s[2:3], vcc
	s_cbranch_execz .LBB80_75
.LBB80_87:
	v_mov_b32_e32 v7, 0x210
	v_lshl_add_u32 v7, v6, 2, v7
	ds_read_b32 v7, v7 offset:640
	s_waitcnt lgkmcnt(0)
	v_add_f32_e32 v5, v5, v7
	s_or_b64 exec, exec, s[2:3]
	s_and_saveexec_b64 s[2:3], vcc
	s_cbranch_execz .LBB80_76
.LBB80_88:
	v_mov_b32_e32 v7, 0x210
	v_lshl_add_u32 v7, v6, 2, v7
	ds_read_b32 v7, v7 offset:768
	s_waitcnt lgkmcnt(0)
	v_add_f32_e32 v2, v2, v7
	s_or_b64 exec, exec, s[2:3]
	s_and_saveexec_b64 s[2:3], vcc
	s_cbranch_execnz .LBB80_77
	s_branch .LBB80_78
	.section	.rodata,"a",@progbits
	.p2align	6, 0x0
	.amdhsa_kernel _ZN4vllm25paged_attention_v1_kernelIttLi256ELi16ELi128ELNS_18Fp8KVCacheDataTypeE0ELb1EEEvPT_PKS2_PKT0_S8_ifPKiSA_iPKfiiiSC_SC_iiiii
		.amdhsa_group_segment_fixed_size 528
		.amdhsa_private_segment_fixed_size 0
		.amdhsa_kernarg_size 384
		.amdhsa_user_sgpr_count 2
		.amdhsa_user_sgpr_dispatch_ptr 0
		.amdhsa_user_sgpr_queue_ptr 0
		.amdhsa_user_sgpr_kernarg_segment_ptr 1
		.amdhsa_user_sgpr_dispatch_id 0
		.amdhsa_user_sgpr_kernarg_preload_length 0
		.amdhsa_user_sgpr_kernarg_preload_offset 0
		.amdhsa_user_sgpr_private_segment_size 0
		.amdhsa_uses_dynamic_stack 0
		.amdhsa_enable_private_segment 0
		.amdhsa_system_sgpr_workgroup_id_x 1
		.amdhsa_system_sgpr_workgroup_id_y 1
		.amdhsa_system_sgpr_workgroup_id_z 1
		.amdhsa_system_sgpr_workgroup_info 0
		.amdhsa_system_vgpr_workitem_id 0
		.amdhsa_next_free_vgpr 90
		.amdhsa_next_free_sgpr 45
		.amdhsa_accum_offset 92
		.amdhsa_reserve_vcc 1
		.amdhsa_float_round_mode_32 0
		.amdhsa_float_round_mode_16_64 0
		.amdhsa_float_denorm_mode_32 3
		.amdhsa_float_denorm_mode_16_64 3
		.amdhsa_dx10_clamp 1
		.amdhsa_ieee_mode 1
		.amdhsa_fp16_overflow 0
		.amdhsa_tg_split 0
		.amdhsa_exception_fp_ieee_invalid_op 0
		.amdhsa_exception_fp_denorm_src 0
		.amdhsa_exception_fp_ieee_div_zero 0
		.amdhsa_exception_fp_ieee_overflow 0
		.amdhsa_exception_fp_ieee_underflow 0
		.amdhsa_exception_fp_ieee_inexact 0
		.amdhsa_exception_int_div_zero 0
	.end_amdhsa_kernel
	.section	.text._ZN4vllm25paged_attention_v1_kernelIttLi256ELi16ELi128ELNS_18Fp8KVCacheDataTypeE0ELb1EEEvPT_PKS2_PKT0_S8_ifPKiSA_iPKfiiiSC_SC_iiiii,"axG",@progbits,_ZN4vllm25paged_attention_v1_kernelIttLi256ELi16ELi128ELNS_18Fp8KVCacheDataTypeE0ELb1EEEvPT_PKS2_PKT0_S8_ifPKiSA_iPKfiiiSC_SC_iiiii,comdat
.Lfunc_end80:
	.size	_ZN4vllm25paged_attention_v1_kernelIttLi256ELi16ELi128ELNS_18Fp8KVCacheDataTypeE0ELb1EEEvPT_PKS2_PKT0_S8_ifPKiSA_iPKfiiiSC_SC_iiiii, .Lfunc_end80-_ZN4vllm25paged_attention_v1_kernelIttLi256ELi16ELi128ELNS_18Fp8KVCacheDataTypeE0ELb1EEEvPT_PKS2_PKT0_S8_ifPKiSA_iPKfiiiSC_SC_iiiii
                                        ; -- End function
	.section	.AMDGPU.csdata,"",@progbits
; Kernel info:
; codeLenInByte = 10024
; NumSgprs: 51
; NumVgprs: 90
; NumAgprs: 0
; TotalNumVgprs: 90
; ScratchSize: 0
; MemoryBound: 0
; FloatMode: 240
; IeeeMode: 1
; LDSByteSize: 528 bytes/workgroup (compile time only)
; SGPRBlocks: 6
; VGPRBlocks: 11
; NumSGPRsForWavesPerEU: 51
; NumVGPRsForWavesPerEU: 90
; AccumOffset: 92
; Occupancy: 5
; WaveLimiterHint : 1
; COMPUTE_PGM_RSRC2:SCRATCH_EN: 0
; COMPUTE_PGM_RSRC2:USER_SGPR: 2
; COMPUTE_PGM_RSRC2:TRAP_HANDLER: 0
; COMPUTE_PGM_RSRC2:TGID_X_EN: 1
; COMPUTE_PGM_RSRC2:TGID_Y_EN: 1
; COMPUTE_PGM_RSRC2:TGID_Z_EN: 1
; COMPUTE_PGM_RSRC2:TIDIG_COMP_CNT: 0
; COMPUTE_PGM_RSRC3_GFX90A:ACCUM_OFFSET: 22
; COMPUTE_PGM_RSRC3_GFX90A:TG_SPLIT: 0
	.section	.text._ZN4vllm25paged_attention_v1_kernelIttLi32ELi16ELi128ELNS_18Fp8KVCacheDataTypeE0ELb0EEEvPT_PKS2_PKT0_S8_ifPKiSA_iPKfiiiSC_SC_iiiii,"axG",@progbits,_ZN4vllm25paged_attention_v1_kernelIttLi32ELi16ELi128ELNS_18Fp8KVCacheDataTypeE0ELb0EEEvPT_PKS2_PKT0_S8_ifPKiSA_iPKfiiiSC_SC_iiiii,comdat
	.protected	_ZN4vllm25paged_attention_v1_kernelIttLi32ELi16ELi128ELNS_18Fp8KVCacheDataTypeE0ELb0EEEvPT_PKS2_PKT0_S8_ifPKiSA_iPKfiiiSC_SC_iiiii ; -- Begin function _ZN4vllm25paged_attention_v1_kernelIttLi32ELi16ELi128ELNS_18Fp8KVCacheDataTypeE0ELb0EEEvPT_PKS2_PKT0_S8_ifPKiSA_iPKfiiiSC_SC_iiiii
	.globl	_ZN4vllm25paged_attention_v1_kernelIttLi32ELi16ELi128ELNS_18Fp8KVCacheDataTypeE0ELb0EEEvPT_PKS2_PKT0_S8_ifPKiSA_iPKfiiiSC_SC_iiiii
	.p2align	8
	.type	_ZN4vllm25paged_attention_v1_kernelIttLi32ELi16ELi128ELNS_18Fp8KVCacheDataTypeE0ELb0EEEvPT_PKS2_PKT0_S8_ifPKiSA_iPKfiiiSC_SC_iiiii,@function
_ZN4vllm25paged_attention_v1_kernelIttLi32ELi16ELi128ELNS_18Fp8KVCacheDataTypeE0ELb0EEEvPT_PKS2_PKT0_S8_ifPKiSA_iPKfiiiSC_SC_iiiii: ; @_ZN4vllm25paged_attention_v1_kernelIttLi32ELi16ELi128ELNS_18Fp8KVCacheDataTypeE0ELb0EEEvPT_PKS2_PKT0_S8_ifPKiSA_iPKfiiiSC_SC_iiiii
; %bb.0:
	s_load_dword s5, s[0:1], 0x80
	s_load_dwordx2 s[6:7], s[0:1], 0x30
	s_load_dwordx2 s[8:9], s[0:1], 0x20
	s_mov_b32 s10, s3
	s_ashr_i32 s11, s3, 31
	s_lshl_b64 s[12:13], s[10:11], 2
	s_waitcnt lgkmcnt(0)
	s_add_u32 s6, s6, s12
	s_addc_u32 s7, s7, s13
	s_abs_i32 s3, s8
	v_cvt_f32_u32_e32 v1, s3
	s_sub_i32 s12, 0, s3
	s_abs_i32 s11, s5
	s_xor_b32 s8, s5, s8
	v_rcp_iflag_f32_e32 v1, v1
	s_ashr_i32 s8, s8, 31
	v_mul_f32_e32 v1, 0x4f7ffffe, v1
	v_cvt_u32_f32_e32 v1, v1
	s_nop 0
	v_readfirstlane_b32 s13, v1
	s_mul_i32 s12, s12, s13
	s_mul_hi_u32 s12, s13, s12
	s_add_i32 s13, s13, s12
	s_mul_hi_u32 s12, s11, s13
	s_mul_i32 s13, s12, s3
	s_sub_i32 s11, s11, s13
	s_add_i32 s13, s12, 1
	s_sub_i32 s14, s11, s3
	s_cmp_ge_u32 s11, s3
	s_cselect_b32 s12, s13, s12
	s_cselect_b32 s11, s14, s11
	s_add_i32 s13, s12, 1
	s_cmp_ge_u32 s11, s3
	s_cselect_b32 s3, s13, s12
	s_xor_b32 s3, s3, s8
	s_sub_i32 s16, s3, s8
	s_abs_i32 s18, s16
	v_cvt_f32_u32_e32 v1, s18
	s_load_dwordx2 s[12:13], s[0:1], 0x40
	s_sub_i32 s3, 0, s18
	s_abs_i32 s19, s2
	v_rcp_iflag_f32_e32 v1, v1
	s_mov_b32 s8, 0
	v_mul_f32_e32 v1, 0x4f7ffffe, v1
	v_cvt_u32_f32_e32 v1, v1
	s_nop 0
	v_readfirstlane_b32 s11, v1
	s_mul_i32 s3, s3, s11
	s_mul_hi_u32 s3, s11, s3
	s_add_i32 s11, s11, s3
	s_waitcnt lgkmcnt(0)
	s_cmp_eq_u64 s[12:13], 0
	s_mul_hi_u32 s22, s19, s11
	s_cbranch_scc1 .LBB81_2
; %bb.1:
	s_ashr_i32 s3, s2, 31
	s_lshl_b64 s[14:15], s[2:3], 2
	s_add_u32 s12, s12, s14
	s_addc_u32 s13, s13, s15
	s_load_dword s8, s[12:13], 0x0
.LBB81_2:
	s_load_dword s11, s[6:7], 0x0
	s_nop 0
	s_load_dwordx4 s[12:15], s[0:1], 0x48
	s_ashr_i32 s6, s2, 31
	s_ashr_i32 s7, s16, 31
	v_and_b32_e32 v4, 3, v0
	s_lshl_b32 s16, s2, 5
	v_cmp_gt_u32_e32 vcc, 16, v0
	s_and_saveexec_b64 s[2:3], vcc
	s_cbranch_execz .LBB81_4
; %bb.3:
	s_load_dwordx2 s[20:21], s[0:1], 0x8
	s_waitcnt lgkmcnt(0)
	s_mul_i32 s24, s10, s12
	s_ashr_i32 s25, s24, 31
	s_lshl_b64 s[24:25], s[24:25], 1
	v_lshlrev_b32_e32 v1, 2, v0
	s_add_u32 s12, s20, s24
	s_addc_u32 s15, s21, s25
	s_ashr_i32 s17, s16, 31
	s_lshl_b64 s[20:21], s[16:17], 1
	s_add_u32 s20, s12, s20
	s_addc_u32 s21, s15, s21
	global_load_dword v1, v1, s[20:21]
	v_and_b32_e32 v2, 0x3fc, v0
	v_lshl_add_u32 v2, v4, 4, v2
	s_waitcnt vmcnt(0)
	ds_write_b32 v2, v1
.LBB81_4:
	s_or_b64 exec, exec, s[2:3]
	s_waitcnt lgkmcnt(0)
	s_add_i32 s3, s11, 15
	s_ashr_i32 s12, s3, 31
	s_lshr_b32 s12, s12, 28
	s_add_i32 s3, s3, s12
	s_ashr_i32 s17, s3, 4
	s_xor_b32 s3, s6, s7
	s_mul_i32 s6, s22, s18
	s_sub_i32 s6, s19, s6
	s_add_i32 s7, s22, 1
	s_sub_i32 s12, s6, s18
	s_load_dwordx2 s[20:21], s[0:1], 0x28
	s_load_dword s2, s[0:1], 0x38
	s_cmp_ge_u32 s6, s18
	s_cselect_b32 s7, s7, s22
	s_cselect_b32 s6, s12, s6
	s_add_i32 s12, s7, 1
	s_cmp_ge_u32 s6, s18
	s_cselect_b32 s6, s12, s7
	v_lshrrev_b32_e32 v1, 6, v0
	s_xor_b32 s6, s6, s3
	s_waitcnt lgkmcnt(0)
	s_mul_i32 s22, s10, s2
	s_sub_i32 s15, s6, s3
	s_ashr_i32 s23, s22, 31
	v_cmp_gt_i32_e64 s[2:3], s17, v1
	v_cmp_le_i32_e32 vcc, s17, v1
	v_mbcnt_lo_u32_b32 v13, -1, 0
	s_barrier
	s_waitcnt lgkmcnt(0)
                                        ; implicit-def: $sgpr28
                                        ; implicit-def: $vgpr6
                                        ; implicit-def: $vgpr7
	s_and_saveexec_b64 s[6:7], vcc
	s_xor_b64 s[6:7], exec, s[6:7]
; %bb.5:
	v_mbcnt_hi_u32_b32 v6, -1, v13
	v_and_b32_e32 v2, 64, v6
	v_add_u32_e32 v7, 64, v2
	s_mov_b32 s28, 0xff7fffff
                                        ; implicit-def: $vgpr4
                                        ; implicit-def: $vgpr13
; %bb.6:
	s_or_saveexec_b64 s[26:27], s[6:7]
	s_load_dwordx2 s[18:19], s[0:1], 0x0
	s_load_dwordx2 s[24:25], s[0:1], 0x18
	s_load_dword s12, s[0:1], 0x88
	v_mov_b32_e32 v8, s28
	s_mul_i32 s14, s15, s14
	v_lshrrev_b32_e32 v10, 4, v0
	s_xor_b64 exec, exec, s[26:27]
	s_cbranch_execz .LBB81_12
; %bb.7:
	s_load_dwordx2 s[0:1], s[0:1], 0x10
	s_ashr_i32 s15, s14, 31
	s_lshl_b64 s[6:7], s[14:15], 1
	v_bfe_u32 v5, v0, 2, 4
	v_lshlrev_b32_e32 v6, 4, v5
	s_waitcnt lgkmcnt(0)
	s_add_u32 s0, s0, s6
	s_addc_u32 s1, s1, s7
	v_mov_b32_e32 v7, 0
	v_lshl_add_u64 v[2:3], s[0:1], 0, v[6:7]
	v_lshlrev_b32_e32 v6, 2, v0
	s_sub_i32 s15, 1, s11
	s_lshl_b64 s[6:7], s[22:23], 2
	v_and_b32_e32 v6, 12, v6
	v_lshlrev_b32_e32 v9, 4, v4
	v_cmp_eq_u32_e32 vcc, 0, v4
	v_lshlrev_b32_e32 v4, 2, v5
	s_add_u32 s6, s20, s6
	v_lshl_add_u64 v[2:3], v[2:3], 0, v[6:7]
	v_lshl_or_b32 v4, v1, 6, v4
	v_and_b32_e32 v6, 60, v10
	s_addc_u32 s7, s21, s7
	v_lshl_or_b32 v11, v1, 4, v5
	v_add_u32_e32 v12, 0x50, v4
	v_lshl_add_u64 v[4:5], s[6:7], 0, v[6:7]
	v_mbcnt_hi_u32_b32 v6, -1, v13
	v_and_b32_e32 v7, 64, v6
	s_mov_b32 s33, s13
	v_cmp_neq_f32_e64 s[0:1], s8, 0
	s_mov_b64 s[28:29], 0
	v_mov_b32_e32 v8, 0xff7fffff
	v_add_u32_e32 v7, 64, v7
	v_xor_b32_e32 v13, 2, v6
	v_xor_b32_e32 v14, 1, v6
	v_mov_b32_e32 v15, v1
	s_branch .LBB81_9
.LBB81_8:                               ;   in Loop: Header=BB81_9 Depth=1
	s_or_b64 exec, exec, s[30:31]
	v_add_u32_e32 v15, 2, v15
	v_cmp_le_i32_e64 s[6:7], s17, v15
	v_add_u32_e32 v11, 32, v11
	v_add_u32_e32 v12, 0x80, v12
	s_or_b64 s[28:29], s[6:7], s[28:29]
	v_lshl_add_u64 v[4:5], v[4:5], 0, 8
	s_andn2_b64 exec, exec, s[28:29]
	s_cbranch_execz .LBB81_11
.LBB81_9:                               ; =>This Inner Loop Header: Depth=1
	global_load_dword v16, v[4:5], off
	s_waitcnt vmcnt(0) lgkmcnt(0)
	v_mad_i64_i32 v[16:17], s[6:7], v16, s33, 0
	v_lshl_add_u64 v[16:17], v[16:17], 1, v[2:3]
	global_load_dword v18, v[16:17], off
	global_load_dword v19, v[16:17], off offset:256
	global_load_dword v20, v[16:17], off offset:512
	;; [unrolled: 1-line block ×3, first 2 shown]
	ds_read_b32 v16, v9
	v_cmp_lt_i32_e64 s[6:7], v13, v7
	s_waitcnt lgkmcnt(0)
	v_lshrrev_b32_e32 v22, 16, v16
	v_and_b32_e32 v16, 0xffff, v16
	;;#ASMSTART
	v_cvt_f32_f16 v16, v16;
	;;#ASMEND
	;;#ASMSTART
	v_cvt_f32_f16 v22, v22;
	;;#ASMEND
	v_cndmask_b32_e64 v17, v6, v13, s[6:7]
	v_lshlrev_b32_e32 v17, 2, v17
	v_cmp_lt_i32_e64 s[6:7], v14, v7
	s_waitcnt vmcnt(3)
	v_lshrrev_b32_e32 v23, 16, v18
	v_and_b32_e32 v18, 0xffff, v18
	;;#ASMSTART
	v_cvt_f32_f16 v18, v18;
	;;#ASMEND
	;;#ASMSTART
	v_cvt_f32_f16 v23, v23;
	;;#ASMEND
	ds_read_b32 v24, v9 offset:4
	s_waitcnt vmcnt(2)
	v_lshrrev_b32_e32 v25, 16, v19
	v_and_b32_e32 v19, 0xffff, v19
	s_waitcnt vmcnt(1)
	v_lshrrev_b32_e32 v26, 16, v20
	v_and_b32_e32 v20, 0xffff, v20
	s_waitcnt lgkmcnt(0)
	v_lshrrev_b32_e32 v27, 16, v24
	v_and_b32_e32 v24, 0xffff, v24
	;;#ASMSTART
	v_cvt_f32_f16 v24, v24;
	;;#ASMEND
	;;#ASMSTART
	v_cvt_f32_f16 v27, v27;
	;;#ASMEND
	;; [unrolled: 3-line block ×4, first 2 shown]
	ds_read_b32 v28, v9 offset:8
	v_mul_f32_e32 v19, v24, v19
	v_mul_f32_e32 v24, v27, v25
	v_fmac_f32_e32 v19, v16, v18
	v_fmac_f32_e32 v24, v22, v23
	s_waitcnt lgkmcnt(0)
	v_lshrrev_b32_e32 v25, 16, v28
	v_and_b32_e32 v27, 0xffff, v28
	;;#ASMSTART
	v_cvt_f32_f16 v27, v27;
	;;#ASMEND
	;;#ASMSTART
	v_cvt_f32_f16 v25, v25;
	;;#ASMEND
	;; [unrolled: 3-line block ×4, first 2 shown]
	ds_read_b32 v28, v9 offset:12
	s_waitcnt vmcnt(0)
	v_lshrrev_b32_e32 v29, 16, v21
	v_and_b32_e32 v21, 0xffff, v21
	v_fmac_f32_e32 v19, v27, v20
	v_fmac_f32_e32 v24, v25, v26
	s_waitcnt lgkmcnt(0)
	v_lshrrev_b32_e32 v16, 16, v28
	v_and_b32_e32 v18, 0xffff, v28
	;;#ASMSTART
	v_cvt_f32_f16 v18, v18;
	;;#ASMEND
	;;#ASMSTART
	v_cvt_f32_f16 v16, v16;
	;;#ASMEND
	;; [unrolled: 3-line block ×4, first 2 shown]
	s_nop 0
	v_fmac_f32_e32 v19, v18, v20
	v_fmac_f32_e32 v24, v16, v21
	v_add_f32_e32 v16, v19, v24
	ds_bpermute_b32 v17, v17, v16
	v_cndmask_b32_e64 v18, v6, v14, s[6:7]
	s_waitcnt lgkmcnt(0)
	v_add_f32_e32 v16, v16, v17
	v_lshlrev_b32_e32 v17, 2, v18
	ds_bpermute_b32 v17, v17, v16
	s_and_saveexec_b64 s[30:31], vcc
	s_cbranch_execz .LBB81_8
; %bb.10:                               ;   in Loop: Header=BB81_9 Depth=1
	v_add_u32_e32 v18, s15, v11
	v_cvt_f32_i32_e32 v18, v18
	s_waitcnt lgkmcnt(0)
	v_add_f32_e32 v16, v16, v17
	v_cmp_gt_i32_e64 s[6:7], s11, v11
	v_max_f32_e32 v17, v8, v8
	v_mul_f32_e32 v18, s8, v18
	v_cndmask_b32_e64 v18, 0, v18, s[0:1]
	v_fmac_f32_e32 v18, s9, v16
	v_cndmask_b32_e64 v16, 0, v18, s[6:7]
	ds_write_b32 v12, v16
	v_max_f32_e32 v16, v17, v18
	v_cndmask_b32_e64 v8, v8, v16, s[6:7]
	s_branch .LBB81_8
.LBB81_11:
	s_or_b64 exec, exec, s[28:29]
.LBB81_12:
	s_or_b64 exec, exec, s[26:27]
	v_xor_b32_e32 v2, 32, v6
	v_cmp_lt_i32_e32 vcc, v2, v7
	v_xor_b32_e32 v5, 16, v6
	v_max_f32_e32 v4, v8, v8
	v_cndmask_b32_e32 v2, v6, v2, vcc
	v_lshlrev_b32_e32 v2, 2, v2
	ds_bpermute_b32 v3, v2, v8
	v_cmp_lt_i32_e32 vcc, v5, v7
	v_xor_b32_e32 v8, 8, v6
	v_xor_b32_e32 v9, 4, v6
	v_and_b32_e32 v12, 63, v0
	s_waitcnt lgkmcnt(0)
	v_max_f32_e32 v3, v3, v3
	v_max_f32_e32 v4, v4, v3
	v_cndmask_b32_e32 v3, v6, v5, vcc
	v_lshlrev_b32_e32 v3, 2, v3
	ds_bpermute_b32 v5, v3, v4
	v_cmp_lt_i32_e32 vcc, v8, v7
	s_waitcnt lgkmcnt(0)
	v_max_f32_e32 v5, v5, v5
	v_max_f32_e32 v4, v4, v5
	v_cndmask_b32_e32 v5, v6, v8, vcc
	v_lshlrev_b32_e32 v8, 2, v5
	ds_bpermute_b32 v5, v8, v4
	v_cmp_lt_i32_e32 vcc, v9, v7
	s_waitcnt lgkmcnt(0)
	v_max_f32_e32 v5, v5, v5
	v_max_f32_e32 v5, v4, v5
	v_cndmask_b32_e32 v4, v6, v9, vcc
	v_lshlrev_b32_e32 v9, 2, v4
	ds_bpermute_b32 v11, v9, v5
	v_cmp_eq_u32_e32 vcc, 0, v12
	v_lshlrev_b32_e32 v4, 2, v1
	s_and_saveexec_b64 s[0:1], vcc
	s_cbranch_execz .LBB81_14
; %bb.13:
	s_waitcnt lgkmcnt(0)
	v_max_f32_e32 v11, v11, v11
	v_max_f32_e32 v5, v5, v5
	;; [unrolled: 1-line block ×3, first 2 shown]
	ds_write_b32 v4, v5 offset:64
.LBB81_14:
	s_or_b64 exec, exec, s[0:1]
	v_cmp_gt_u32_e64 s[0:1], 2, v12
	s_waitcnt lgkmcnt(0)
	v_mov_b32_e32 v11, 0xff7fffff
	v_lshlrev_b32_e32 v5, 2, v12
	s_barrier
	s_and_saveexec_b64 s[6:7], s[0:1]
	s_cbranch_execz .LBB81_16
; %bb.15:
	ds_read_b32 v11, v5 offset:64
.LBB81_16:
	s_or_b64 exec, exec, s[6:7]
	v_xor_b32_e32 v13, 1, v6
	v_cmp_lt_i32_e64 s[6:7], v13, v7
	v_lshlrev_b32_e32 v15, 2, v6
	s_nop 0
	v_cndmask_b32_e64 v13, v6, v13, s[6:7]
	v_lshlrev_b32_e32 v13, 2, v13
	s_waitcnt lgkmcnt(0)
	ds_bpermute_b32 v14, v13, v11
	v_max_f32_e32 v11, v11, v11
	s_lshl_b32 s6, s17, 4
	s_min_i32 s15, s6, s11
	v_cmp_gt_i32_e64 s[6:7], s15, v0
	s_waitcnt lgkmcnt(0)
	v_max_f32_e32 v14, v14, v14
	v_max_f32_e32 v14, v11, v14
	v_and_b32_e32 v11, 0xffffff00, v15
	ds_bpermute_b32 v15, v11, v14
	v_mov_b32_e32 v14, 0
	s_and_saveexec_b64 s[26:27], s[6:7]
	s_cbranch_execz .LBB81_20
; %bb.17:
	v_mov_b32_e32 v14, 0x50
	v_lshl_add_u32 v16, v0, 2, v14
	s_mov_b64 s[28:29], 0
	v_mov_b32_e32 v14, 0
	v_mov_b32_e32 v17, v0
.LBB81_18:                              ; =>This Inner Loop Header: Depth=1
	ds_read_b32 v18, v16
	v_add_u32_e32 v17, 0x80, v17
	v_cmp_le_i32_e64 s[8:9], s15, v17
	s_or_b64 s[28:29], s[8:9], s[28:29]
	s_waitcnt lgkmcnt(0)
	v_sub_f32_e32 v18, v18, v15
	v_mul_f32_e32 v18, 0x3fb8aa3b, v18
	v_exp_f32_e32 v18, v18
	ds_write_b32 v16, v18
	v_add_f32_e32 v14, v14, v18
	v_add_u32_e32 v16, 0x200, v16
	s_andn2_b64 exec, exec, s[28:29]
	s_cbranch_execnz .LBB81_18
; %bb.19:
	s_or_b64 exec, exec, s[28:29]
.LBB81_20:
	s_or_b64 exec, exec, s[26:27]
	ds_bpermute_b32 v2, v2, v14
	s_waitcnt lgkmcnt(0)
	v_add_f32_e32 v2, v14, v2
	ds_bpermute_b32 v3, v3, v2
	s_waitcnt lgkmcnt(0)
	v_add_f32_e32 v2, v2, v3
	ds_bpermute_b32 v3, v8, v2
	v_xor_b32_e32 v8, 2, v6
	v_cmp_lt_i32_e64 s[8:9], v8, v7
	s_waitcnt lgkmcnt(0)
	v_add_f32_e32 v2, v2, v3
	ds_bpermute_b32 v3, v9, v2
	v_cndmask_b32_e64 v6, v6, v8, s[8:9]
	s_waitcnt lgkmcnt(0)
	v_add_f32_e32 v2, v2, v3
	v_lshlrev_b32_e32 v3, 2, v6
	ds_bpermute_b32 v3, v3, v2
	s_waitcnt lgkmcnt(0)
	v_add_f32_e32 v2, v2, v3
	ds_bpermute_b32 v3, v13, v2
	s_waitcnt lgkmcnt(0)
	v_add_f32_e32 v2, v2, v3
	s_and_saveexec_b64 s[8:9], vcc
	s_cbranch_execz .LBB81_22
; %bb.21:
	ds_write_b32 v4, v2 offset:72
.LBB81_22:
	s_or_b64 exec, exec, s[8:9]
	s_waitcnt lgkmcnt(0)
	s_barrier
	s_and_saveexec_b64 s[8:9], s[0:1]
	s_cbranch_execz .LBB81_24
; %bb.23:
	ds_read_b32 v2, v5 offset:72
.LBB81_24:
	s_or_b64 exec, exec, s[8:9]
	s_waitcnt lgkmcnt(0)
	ds_bpermute_b32 v3, v13, v2
	s_waitcnt lgkmcnt(0)
	v_add_f32_e32 v2, v2, v3
	ds_bpermute_b32 v2, v11, v2
	s_and_saveexec_b64 s[0:1], s[6:7]
	s_cbranch_execz .LBB81_37
; %bb.25:
	s_waitcnt lgkmcnt(0)
	v_add_f32_e32 v2, 0x358637bd, v2
	v_div_scale_f32 v3, s[6:7], v2, v2, 1.0
	v_rcp_f32_e32 v4, v3
	v_div_scale_f32 v5, vcc, 1.0, v2, 1.0
	s_movk_i32 s6, 0x7f
	v_fma_f32 v6, -v3, v4, 1.0
	v_fmac_f32_e32 v4, v6, v4
	v_mul_f32_e32 v6, v5, v4
	v_fma_f32 v7, -v3, v6, v5
	v_fmac_f32_e32 v6, v7, v4
	v_fma_f32 v3, -v3, v6, v5
	v_div_fmas_f32 v3, v3, v4, v6
	v_xad_u32 v4, v0, -1, s15
	v_div_fixup_f32 v2, v3, v2, 1.0
	v_cmp_lt_u32_e32 vcc, s6, v4
	s_mov_b64 s[8:9], -1
	v_mov_b32_e32 v3, v0
	s_and_saveexec_b64 s[6:7], vcc
	s_cbranch_execz .LBB81_34
; %bb.26:
	v_lshrrev_b32_e32 v4, 7, v4
	v_add_u32_e32 v6, -1, v4
	v_lshrrev_b32_e32 v5, 1, v6
	v_mov_b32_e32 v3, v2
	v_add_u32_e32 v5, 1, v5
	v_cmp_lt_u32_e32 vcc, 13, v6
	v_mov_b32_e32 v8, 0
	s_and_saveexec_b64 s[8:9], vcc
	s_cbranch_execz .LBB81_30
; %bb.27:
	v_mov_b32_e32 v7, 0x50
	v_and_b32_e32 v6, -8, v5
	v_lshl_add_u32 v7, v0, 2, v7
	s_mov_b32 s28, 0
	s_mov_b64 s[26:27], 0
.LBB81_28:                              ; =>This Inner Loop Header: Depth=1
	ds_read2st64_b32 v[8:9], v7 offset1:2
	ds_read2st64_b32 v[14:15], v7 offset0:4 offset1:6
	ds_read2st64_b32 v[16:17], v7 offset0:8 offset1:10
	;; [unrolled: 1-line block ×3, first 2 shown]
	v_add_u32_e32 v6, -8, v6
	s_waitcnt lgkmcnt(3)
	v_pk_mul_f32 v[8:9], v[2:3], v[8:9]
	s_waitcnt lgkmcnt(2)
	v_pk_mul_f32 v[14:15], v[2:3], v[14:15]
	ds_write2st64_b32 v7, v8, v9 offset1:2
	ds_write2st64_b32 v7, v14, v15 offset0:4 offset1:6
	ds_read2st64_b32 v[14:15], v7 offset0:16 offset1:18
	s_waitcnt lgkmcnt(4)
	v_pk_mul_f32 v[8:9], v[2:3], v[16:17]
	ds_write2st64_b32 v7, v8, v9 offset0:8 offset1:10
	s_waitcnt lgkmcnt(4)
	v_pk_mul_f32 v[8:9], v[2:3], v[18:19]
	ds_write2st64_b32 v7, v8, v9 offset0:12 offset1:14
	ds_read2st64_b32 v[8:9], v7 offset0:20 offset1:22
	s_waitcnt lgkmcnt(3)
	v_pk_mul_f32 v[14:15], v[2:3], v[14:15]
	ds_read2st64_b32 v[16:17], v7 offset0:24 offset1:26
	ds_write2st64_b32 v7, v14, v15 offset0:16 offset1:18
	ds_read2st64_b32 v[14:15], v7 offset0:28 offset1:30
	s_waitcnt lgkmcnt(3)
	v_pk_mul_f32 v[8:9], v[2:3], v[8:9]
	ds_write2st64_b32 v7, v8, v9 offset0:20 offset1:22
	s_waitcnt lgkmcnt(3)
	v_pk_mul_f32 v[8:9], v[2:3], v[16:17]
	ds_write2st64_b32 v7, v8, v9 offset0:24 offset1:26
	s_waitcnt lgkmcnt(2)
	v_pk_mul_f32 v[8:9], v[2:3], v[14:15]
	s_add_i32 s28, s28, 16
	v_cmp_eq_u32_e32 vcc, 0, v6
	ds_write2st64_b32 v7, v8, v9 offset0:28 offset1:30
	v_add_u32_e32 v7, 0x2000, v7
	s_or_b64 s[26:27], vcc, s[26:27]
	v_mov_b32_e32 v8, s28
	s_andn2_b64 exec, exec, s[26:27]
	s_cbranch_execnz .LBB81_28
; %bb.29:
	s_or_b64 exec, exec, s[26:27]
.LBB81_30:
	s_or_b64 exec, exec, s[8:9]
	v_and_b32_e32 v5, 7, v5
	v_cmp_ne_u32_e32 vcc, 0, v5
	s_and_saveexec_b64 s[8:9], vcc
	s_cbranch_execz .LBB81_33
; %bb.31:
	v_lshlrev_b32_e32 v6, 9, v8
	v_lshlrev_b32_e32 v7, 2, v0
	s_movk_i32 s26, 0x50
	v_add3_u32 v6, v6, v7, s26
	s_mov_b64 s[26:27], 0
.LBB81_32:                              ; =>This Inner Loop Header: Depth=1
	ds_read2st64_b32 v[8:9], v6 offset1:2
	v_add_u32_e32 v5, -1, v5
	v_cmp_eq_u32_e32 vcc, 0, v5
	s_or_b64 s[26:27], vcc, s[26:27]
	s_waitcnt lgkmcnt(0)
	v_pk_mul_f32 v[8:9], v[2:3], v[8:9]
	ds_write2st64_b32 v6, v8, v9 offset1:2
	v_add_u32_e32 v6, 0x400, v6
	s_andn2_b64 exec, exec, s[26:27]
	s_cbranch_execnz .LBB81_32
.LBB81_33:
	s_or_b64 exec, exec, s[8:9]
	v_add_u32_e32 v4, 1, v4
	v_and_b32_e32 v5, 0x3fffffe, v4
	v_cmp_ne_u32_e32 vcc, v4, v5
	v_lshl_add_u32 v3, v5, 7, v0
	s_orn2_b64 s[8:9], vcc, exec
.LBB81_34:
	s_or_b64 exec, exec, s[6:7]
	s_and_b64 exec, exec, s[8:9]
	s_cbranch_execz .LBB81_37
; %bb.35:
	v_mov_b32_e32 v4, 0x50
	v_lshl_add_u32 v4, v3, 2, v4
	s_mov_b64 s[6:7], 0
.LBB81_36:                              ; =>This Inner Loop Header: Depth=1
	ds_read_b32 v5, v4
	v_add_u32_e32 v3, 0x80, v3
	v_cmp_le_i32_e32 vcc, s15, v3
	s_or_b64 s[6:7], vcc, s[6:7]
	s_waitcnt lgkmcnt(0)
	v_mul_f32_e32 v5, v2, v5
	ds_write_b32 v4, v5
	v_add_u32_e32 v4, 0x200, v4
	s_andn2_b64 exec, exec, s[6:7]
	s_cbranch_execnz .LBB81_36
.LBB81_37:
	s_or_b64 exec, exec, s[0:1]
	v_mov_b32_e32 v7, 0
	s_waitcnt lgkmcnt(0)
	s_barrier
	s_and_saveexec_b64 s[0:1], s[2:3]
	s_cbranch_execz .LBB81_43
; %bb.38:
	s_ashr_i32 s15, s14, 31
	s_lshl_b64 s[2:3], s[14:15], 1
	v_lshlrev_b32_e32 v2, 3, v0
	s_add_u32 s2, s24, s2
	v_lshlrev_b32_e32 v3, 4, v0
	v_and_b32_e32 v2, 8, v2
	s_addc_u32 s3, s25, s3
	v_and_b32_e32 v6, 0x3f0, v3
	v_mov_b32_e32 v7, 0
	v_lshl_add_u64 v[8:9], s[2:3], 0, v[6:7]
	s_add_i32 s9, s17, -1
	v_lshl_or_b32 v14, v1, 4, v2
	v_and_b32_e32 v2, 1, v0
	s_lshl_b64 s[2:3], s[22:23], 2
	v_lshlrev_b32_e32 v2, 5, v2
	s_add_u32 s2, s20, s2
	v_lshl_or_b32 v2, v1, 6, v2
	v_and_b32_e32 v6, 60, v10
	s_addc_u32 s3, s21, s3
	s_mov_b32 s8, s13
	s_mov_b32 s13, s11
	;; [unrolled: 1-line block ×8, first 2 shown]
	v_add_u32_e32 v15, 0x50, v2
	v_lshl_add_u64 v[10:11], s[2:3], 0, v[6:7]
	s_mov_b64 s[2:3], 0
	s_mov_b32 s20, 0x5040100
	s_branch .LBB81_40
.LBB81_39:                              ;   in Loop: Header=BB81_40 Depth=1
	s_or_b64 exec, exec, s[6:7]
	v_and_b32_e32 v6, 0xffff, v6
	v_lshl_or_b32 v6, v16, 16, v6
	v_and_b32_e32 v16, 0xffff, v17
	v_lshl_or_b32 v16, v18, 16, v16
	v_and_b32_e32 v17, 0xffff, v19
	v_and_b32_e32 v18, 0xffff, v21
	s_waitcnt vmcnt(0)
	;;#ASMSTART
	v_pk_mul_f16 v2, v6, v2;

	;;#ASMEND
	v_lshl_or_b32 v17, v20, 16, v17
	v_lshl_or_b32 v18, v22, 16, v18
	;;#ASMSTART
	v_pk_mul_f16 v3, v16, v3;

	;;#ASMEND
	;;#ASMSTART
	v_pk_mul_f16 v4, v17, v4;

	;;#ASMEND
	;; [unrolled: 4-line block ×3, first 2 shown]
	v_add_u32_e32 v1, 2, v1
	;;#ASMSTART
	v_pk_add_f16 v2, v2, v3;

	;;#ASMEND
	v_cmp_le_i32_e32 vcc, s17, v1
	;;#ASMSTART
	v_pk_add_f16 v2, v2, v4;

	;;#ASMEND
	v_add_u32_e32 v14, 32, v14
	;;#ASMSTART
	v_pk_add_f16 v2, v2, v5;

	;;#ASMEND
	v_add_u32_e32 v15, 0x80, v15
	v_lshrrev_b32_e32 v3, 16, v2
	v_and_b32_e32 v2, 0xffff, v2
	;;#ASMSTART
	v_cvt_f32_f16 v2, v2;
	;;#ASMEND
	;;#ASMSTART
	v_cvt_f32_f16 v3, v3;
	;;#ASMEND
	s_or_b64 s[2:3], vcc, s[2:3]
	v_add_f32_e32 v2, v2, v3
	v_add_f32_e32 v7, v7, v2
	v_lshl_add_u64 v[10:11], v[10:11], 0, 8
	s_andn2_b64 exec, exec, s[2:3]
	s_cbranch_execz .LBB81_42
.LBB81_40:                              ; =>This Inner Loop Header: Depth=1
	global_load_dword v24, v[10:11], off
	ds_read2_b64 v[2:5], v15 offset1:1
	ds_read2_b64 v[20:23], v15 offset0:2 offset1:3
	v_cmp_eq_u32_e32 vcc, s9, v1
	s_waitcnt lgkmcnt(1)
	;;#ASMSTART
	v_cvt_f16_f32 v6, v2;

	;;#ASMEND
	;;#ASMSTART
	v_cvt_f16_f32 v16, v3;

	;;#ASMEND
	;; [unrolled: 4-line block ×4, first 2 shown]
	s_waitcnt lgkmcnt(0)
	;;#ASMSTART
	v_cvt_f16_f32 v19, v20;

	;;#ASMEND
	;;#ASMSTART
	v_cvt_f16_f32 v20, v21;

	;;#ASMEND
	;; [unrolled: 4-line block ×4, first 2 shown]
	s_waitcnt vmcnt(0)
	v_mad_i64_i32 v[2:3], s[6:7], v24, s8, 0
	v_lshl_add_u64 v[2:3], v[2:3], 1, v[8:9]
	global_load_dwordx4 v[2:5], v[2:3], off
	s_and_saveexec_b64 s[6:7], vcc
	s_cbranch_execz .LBB81_39
; %bb.41:                               ;   in Loop: Header=BB81_40 Depth=1
	v_or_b32_e32 v28, 7, v14
	v_or_b32_e32 v29, 6, v14
	s_waitcnt vmcnt(0)
	v_lshrrev_b32_e32 v30, 16, v5
	v_cmp_gt_i32_e32 vcc, s27, v28
	v_or_b32_e32 v26, 5, v14
	v_or_b32_e32 v27, 4, v14
	v_cndmask_b32_e32 v28, 0, v30, vcc
	v_cmp_gt_i32_e32 vcc, s26, v29
	v_or_b32_e32 v24, 3, v14
	v_or_b32_e32 v25, 2, v14
	v_cndmask_b32_e32 v5, 0, v5, vcc
	v_perm_b32 v5, v28, v5, s20
	v_lshrrev_b32_e32 v28, 16, v4
	v_cmp_gt_i32_e32 vcc, s25, v26
	v_add_u32_e32 v23, 1, v14
	s_nop 0
	v_cndmask_b32_e32 v26, 0, v28, vcc
	v_cmp_gt_i32_e32 vcc, s24, v27
	s_nop 1
	v_cndmask_b32_e32 v4, 0, v4, vcc
	v_perm_b32 v4, v26, v4, s20
	v_lshrrev_b32_e32 v26, 16, v3
	v_cmp_gt_i32_e32 vcc, s15, v24
	s_nop 1
	v_cndmask_b32_e32 v24, 0, v26, vcc
	v_cmp_gt_i32_e32 vcc, s14, v25
	s_nop 1
	v_cndmask_b32_e32 v3, 0, v3, vcc
	v_perm_b32 v3, v24, v3, s20
	v_lshrrev_b32_e32 v24, 16, v2
	v_cmp_gt_i32_e32 vcc, s13, v23
	s_nop 1
	v_cndmask_b32_e32 v23, 0, v24, vcc
	v_cmp_gt_i32_e32 vcc, s11, v14
	s_nop 1
	v_cndmask_b32_e32 v2, 0, v2, vcc
	v_perm_b32 v2, v23, v2, s20
	s_branch .LBB81_39
.LBB81_42:
	s_or_b64 exec, exec, s[2:3]
.LBB81_43:
	s_or_b64 exec, exec, s[0:1]
	ds_bpermute_b32 v1, v13, v7
	v_and_b32_e32 v2, 0x3c1, v0
	v_cmp_eq_u32_e32 vcc, 64, v2
	s_waitcnt lgkmcnt(0)
	s_barrier
	v_add_f32_e32 v1, v7, v1
	s_and_saveexec_b64 s[0:1], vcc
	s_cbranch_execz .LBB81_45
; %bb.44:
	v_mov_b32_e32 v3, 0x50
	v_lshl_add_u32 v3, v12, 1, v3
	ds_write_b32 v3, v1
.LBB81_45:
	s_or_b64 exec, exec, s[0:1]
	v_cmp_eq_u32_e32 vcc, 0, v2
	s_waitcnt lgkmcnt(0)
	s_barrier
	s_and_saveexec_b64 s[0:1], vcc
	s_cbranch_execz .LBB81_47
; %bb.46:
	v_mov_b32_e32 v2, 0x50
	v_lshl_add_u32 v2, v0, 1, v2
	ds_read_b32 v2, v2
	s_waitcnt lgkmcnt(0)
	v_add_f32_e32 v1, v1, v2
.LBB81_47:
	s_or_b64 exec, exec, s[0:1]
	s_barrier
	s_and_saveexec_b64 s[0:1], vcc
	s_cbranch_execz .LBB81_49
; %bb.48:
	s_mul_i32 s0, s10, s12
	s_mul_i32 s0, s0, s5
	s_lshl_b32 s0, s0, 5
	s_ashr_i32 s1, s0, 31
	s_lshl_b64 s[0:1], s[0:1], 1
	s_add_u32 s2, s18, s0
	s_mul_i32 s0, s12, s16
	s_addc_u32 s3, s19, s1
	s_ashr_i32 s1, s0, 31
	s_lshl_b64 s[0:1], s[0:1], 1
	s_add_u32 s2, s2, s0
	s_addc_u32 s3, s3, s1
	s_lshl_b32 s0, s4, 5
	s_ashr_i32 s1, s0, 31
	s_lshl_b64 s[0:1], s[0:1], 1
	s_add_u32 s0, s2, s0
	s_addc_u32 s1, s3, s1
	;;#ASMSTART
	v_cvt_f16_f32 v1, v1;

	;;#ASMEND
	global_store_short v0, v1, s[0:1]
.LBB81_49:
	s_endpgm
	.section	.rodata,"a",@progbits
	.p2align	6, 0x0
	.amdhsa_kernel _ZN4vllm25paged_attention_v1_kernelIttLi32ELi16ELi128ELNS_18Fp8KVCacheDataTypeE0ELb0EEEvPT_PKS2_PKT0_S8_ifPKiSA_iPKfiiiSC_SC_iiiii
		.amdhsa_group_segment_fixed_size 80
		.amdhsa_private_segment_fixed_size 0
		.amdhsa_kernarg_size 384
		.amdhsa_user_sgpr_count 2
		.amdhsa_user_sgpr_dispatch_ptr 0
		.amdhsa_user_sgpr_queue_ptr 0
		.amdhsa_user_sgpr_kernarg_segment_ptr 1
		.amdhsa_user_sgpr_dispatch_id 0
		.amdhsa_user_sgpr_kernarg_preload_length 0
		.amdhsa_user_sgpr_kernarg_preload_offset 0
		.amdhsa_user_sgpr_private_segment_size 0
		.amdhsa_uses_dynamic_stack 0
		.amdhsa_enable_private_segment 0
		.amdhsa_system_sgpr_workgroup_id_x 1
		.amdhsa_system_sgpr_workgroup_id_y 1
		.amdhsa_system_sgpr_workgroup_id_z 1
		.amdhsa_system_sgpr_workgroup_info 0
		.amdhsa_system_vgpr_workitem_id 0
		.amdhsa_next_free_vgpr 31
		.amdhsa_next_free_sgpr 34
		.amdhsa_accum_offset 32
		.amdhsa_reserve_vcc 1
		.amdhsa_float_round_mode_32 0
		.amdhsa_float_round_mode_16_64 0
		.amdhsa_float_denorm_mode_32 3
		.amdhsa_float_denorm_mode_16_64 3
		.amdhsa_dx10_clamp 1
		.amdhsa_ieee_mode 1
		.amdhsa_fp16_overflow 0
		.amdhsa_tg_split 0
		.amdhsa_exception_fp_ieee_invalid_op 0
		.amdhsa_exception_fp_denorm_src 0
		.amdhsa_exception_fp_ieee_div_zero 0
		.amdhsa_exception_fp_ieee_overflow 0
		.amdhsa_exception_fp_ieee_underflow 0
		.amdhsa_exception_fp_ieee_inexact 0
		.amdhsa_exception_int_div_zero 0
	.end_amdhsa_kernel
	.section	.text._ZN4vllm25paged_attention_v1_kernelIttLi32ELi16ELi128ELNS_18Fp8KVCacheDataTypeE0ELb0EEEvPT_PKS2_PKT0_S8_ifPKiSA_iPKfiiiSC_SC_iiiii,"axG",@progbits,_ZN4vllm25paged_attention_v1_kernelIttLi32ELi16ELi128ELNS_18Fp8KVCacheDataTypeE0ELb0EEEvPT_PKS2_PKT0_S8_ifPKiSA_iPKfiiiSC_SC_iiiii,comdat
.Lfunc_end81:
	.size	_ZN4vllm25paged_attention_v1_kernelIttLi32ELi16ELi128ELNS_18Fp8KVCacheDataTypeE0ELb0EEEvPT_PKS2_PKT0_S8_ifPKiSA_iPKfiiiSC_SC_iiiii, .Lfunc_end81-_ZN4vllm25paged_attention_v1_kernelIttLi32ELi16ELi128ELNS_18Fp8KVCacheDataTypeE0ELb0EEEvPT_PKS2_PKT0_S8_ifPKiSA_iPKfiiiSC_SC_iiiii
                                        ; -- End function
	.section	.AMDGPU.csdata,"",@progbits
; Kernel info:
; codeLenInByte = 3640
; NumSgprs: 40
; NumVgprs: 31
; NumAgprs: 0
; TotalNumVgprs: 31
; ScratchSize: 0
; MemoryBound: 0
; FloatMode: 240
; IeeeMode: 1
; LDSByteSize: 80 bytes/workgroup (compile time only)
; SGPRBlocks: 4
; VGPRBlocks: 3
; NumSGPRsForWavesPerEU: 40
; NumVGPRsForWavesPerEU: 31
; AccumOffset: 32
; Occupancy: 8
; WaveLimiterHint : 1
; COMPUTE_PGM_RSRC2:SCRATCH_EN: 0
; COMPUTE_PGM_RSRC2:USER_SGPR: 2
; COMPUTE_PGM_RSRC2:TRAP_HANDLER: 0
; COMPUTE_PGM_RSRC2:TGID_X_EN: 1
; COMPUTE_PGM_RSRC2:TGID_Y_EN: 1
; COMPUTE_PGM_RSRC2:TGID_Z_EN: 1
; COMPUTE_PGM_RSRC2:TIDIG_COMP_CNT: 0
; COMPUTE_PGM_RSRC3_GFX90A:ACCUM_OFFSET: 7
; COMPUTE_PGM_RSRC3_GFX90A:TG_SPLIT: 0
	.section	.text._ZN4vllm25paged_attention_v1_kernelIttLi64ELi16ELi128ELNS_18Fp8KVCacheDataTypeE0ELb0EEEvPT_PKS2_PKT0_S8_ifPKiSA_iPKfiiiSC_SC_iiiii,"axG",@progbits,_ZN4vllm25paged_attention_v1_kernelIttLi64ELi16ELi128ELNS_18Fp8KVCacheDataTypeE0ELb0EEEvPT_PKS2_PKT0_S8_ifPKiSA_iPKfiiiSC_SC_iiiii,comdat
	.protected	_ZN4vllm25paged_attention_v1_kernelIttLi64ELi16ELi128ELNS_18Fp8KVCacheDataTypeE0ELb0EEEvPT_PKS2_PKT0_S8_ifPKiSA_iPKfiiiSC_SC_iiiii ; -- Begin function _ZN4vllm25paged_attention_v1_kernelIttLi64ELi16ELi128ELNS_18Fp8KVCacheDataTypeE0ELb0EEEvPT_PKS2_PKT0_S8_ifPKiSA_iPKfiiiSC_SC_iiiii
	.globl	_ZN4vllm25paged_attention_v1_kernelIttLi64ELi16ELi128ELNS_18Fp8KVCacheDataTypeE0ELb0EEEvPT_PKS2_PKT0_S8_ifPKiSA_iPKfiiiSC_SC_iiiii
	.p2align	8
	.type	_ZN4vllm25paged_attention_v1_kernelIttLi64ELi16ELi128ELNS_18Fp8KVCacheDataTypeE0ELb0EEEvPT_PKS2_PKT0_S8_ifPKiSA_iPKfiiiSC_SC_iiiii,@function
_ZN4vllm25paged_attention_v1_kernelIttLi64ELi16ELi128ELNS_18Fp8KVCacheDataTypeE0ELb0EEEvPT_PKS2_PKT0_S8_ifPKiSA_iPKfiiiSC_SC_iiiii: ; @_ZN4vllm25paged_attention_v1_kernelIttLi64ELi16ELi128ELNS_18Fp8KVCacheDataTypeE0ELb0EEEvPT_PKS2_PKT0_S8_ifPKiSA_iPKfiiiSC_SC_iiiii
; %bb.0:
	s_load_dword s5, s[0:1], 0x80
	s_load_dwordx2 s[6:7], s[0:1], 0x30
	s_load_dwordx2 s[8:9], s[0:1], 0x20
	s_mov_b32 s10, s3
	s_ashr_i32 s11, s3, 31
	s_lshl_b64 s[12:13], s[10:11], 2
	s_waitcnt lgkmcnt(0)
	s_add_u32 s6, s6, s12
	s_addc_u32 s7, s7, s13
	s_abs_i32 s3, s8
	v_cvt_f32_u32_e32 v1, s3
	s_sub_i32 s12, 0, s3
	s_abs_i32 s11, s5
	s_xor_b32 s8, s5, s8
	v_rcp_iflag_f32_e32 v1, v1
	s_ashr_i32 s8, s8, 31
	v_mul_f32_e32 v1, 0x4f7ffffe, v1
	v_cvt_u32_f32_e32 v1, v1
	s_nop 0
	v_readfirstlane_b32 s13, v1
	s_mul_i32 s12, s12, s13
	s_mul_hi_u32 s12, s13, s12
	s_add_i32 s13, s13, s12
	s_mul_hi_u32 s12, s11, s13
	s_mul_i32 s13, s12, s3
	s_sub_i32 s11, s11, s13
	s_add_i32 s13, s12, 1
	s_sub_i32 s14, s11, s3
	s_cmp_ge_u32 s11, s3
	s_cselect_b32 s12, s13, s12
	s_cselect_b32 s11, s14, s11
	s_add_i32 s13, s12, 1
	s_cmp_ge_u32 s11, s3
	s_cselect_b32 s3, s13, s12
	s_xor_b32 s3, s3, s8
	s_sub_i32 s16, s3, s8
	s_abs_i32 s11, s16
	v_cvt_f32_u32_e32 v1, s11
	s_load_dwordx2 s[12:13], s[0:1], 0x40
	s_sub_i32 s3, 0, s11
	s_abs_i32 s18, s2
	v_rcp_iflag_f32_e32 v1, v1
	s_mov_b32 s8, 0
	v_mul_f32_e32 v1, 0x4f7ffffe, v1
	v_cvt_u32_f32_e32 v1, v1
	s_nop 0
	v_readfirstlane_b32 s14, v1
	s_mul_i32 s3, s3, s14
	s_mul_hi_u32 s3, s14, s3
	s_add_i32 s14, s14, s3
	s_waitcnt lgkmcnt(0)
	s_cmp_eq_u64 s[12:13], 0
	s_mul_hi_u32 s19, s18, s14
	s_cbranch_scc1 .LBB82_2
; %bb.1:
	s_ashr_i32 s3, s2, 31
	s_lshl_b64 s[14:15], s[2:3], 2
	s_add_u32 s12, s12, s14
	s_addc_u32 s13, s13, s15
	s_load_dword s8, s[12:13], 0x0
.LBB82_2:
	s_load_dword s33, s[6:7], 0x0
	s_nop 0
	s_load_dwordx4 s[12:15], s[0:1], 0x48
	s_ashr_i32 s6, s2, 31
	s_ashr_i32 s7, s16, 31
	v_and_b32_e32 v4, 3, v0
	s_lshl_b32 s16, s2, 6
	v_cmp_gt_u32_e32 vcc, 32, v0
	s_and_saveexec_b64 s[2:3], vcc
	s_cbranch_execz .LBB82_4
; %bb.3:
	s_load_dwordx2 s[20:21], s[0:1], 0x8
	s_waitcnt lgkmcnt(0)
	s_mul_i32 s22, s10, s12
	s_ashr_i32 s23, s22, 31
	s_lshl_b64 s[22:23], s[22:23], 1
	v_lshlrev_b32_e32 v1, 2, v0
	s_add_u32 s12, s20, s22
	s_addc_u32 s15, s21, s23
	s_ashr_i32 s17, s16, 31
	s_lshl_b64 s[20:21], s[16:17], 1
	s_add_u32 s20, s12, s20
	s_addc_u32 s21, s15, s21
	global_load_dword v1, v1, s[20:21]
	v_and_b32_e32 v2, 0x3fc, v0
	v_lshl_add_u32 v2, v4, 5, v2
	s_waitcnt vmcnt(0)
	ds_write_b32 v2, v1
.LBB82_4:
	s_or_b64 exec, exec, s[2:3]
	s_waitcnt lgkmcnt(0)
	s_add_i32 s3, s33, 15
	s_ashr_i32 s12, s3, 31
	s_lshr_b32 s12, s12, 28
	s_add_i32 s3, s3, s12
	s_ashr_i32 s12, s3, 4
	s_xor_b32 s3, s6, s7
	s_mul_i32 s6, s19, s11
	s_sub_i32 s6, s18, s6
	s_add_i32 s7, s19, 1
	s_sub_i32 s15, s6, s11
	s_load_dwordx2 s[20:21], s[0:1], 0x28
	s_load_dword s2, s[0:1], 0x38
	s_cmp_ge_u32 s6, s11
	s_cselect_b32 s7, s7, s19
	s_cselect_b32 s6, s15, s6
	s_add_i32 s15, s7, 1
	s_cmp_ge_u32 s6, s11
	s_cselect_b32 s6, s15, s7
	v_lshrrev_b32_e32 v1, 6, v0
	s_xor_b32 s6, s6, s3
	s_waitcnt lgkmcnt(0)
	s_mul_i32 s22, s10, s2
	s_sub_i32 s15, s6, s3
	s_ashr_i32 s23, s22, 31
	v_cmp_gt_i32_e64 s[6:7], s12, v1
	v_cmp_le_i32_e32 vcc, s12, v1
	v_mbcnt_lo_u32_b32 v13, -1, 0
	s_barrier
	s_waitcnt lgkmcnt(0)
                                        ; implicit-def: $sgpr17
                                        ; implicit-def: $vgpr6
                                        ; implicit-def: $vgpr7
	s_and_saveexec_b64 s[2:3], vcc
	s_xor_b64 s[2:3], exec, s[2:3]
; %bb.5:
	v_mbcnt_hi_u32_b32 v6, -1, v13
	v_and_b32_e32 v2, 64, v6
	v_add_u32_e32 v7, 64, v2
	s_mov_b32 s17, 0xff7fffff
                                        ; implicit-def: $vgpr4
                                        ; implicit-def: $vgpr13
; %bb.6:
	s_or_saveexec_b64 s[26:27], s[2:3]
	s_load_dwordx2 s[18:19], s[0:1], 0x0
	s_load_dwordx2 s[24:25], s[0:1], 0x18
	s_load_dword s11, s[0:1], 0x88
	v_mov_b32_e32 v8, s17
	s_mul_i32 s14, s15, s14
	v_lshrrev_b32_e32 v10, 4, v0
	s_xor_b64 exec, exec, s[26:27]
	s_cbranch_execz .LBB82_12
; %bb.7:
	s_load_dwordx2 s[0:1], s[0:1], 0x10
	s_ashr_i32 s15, s14, 31
	s_lshl_b64 s[2:3], s[14:15], 1
	v_bfe_u32 v5, v0, 2, 4
	v_lshlrev_b32_e32 v6, 4, v5
	s_waitcnt lgkmcnt(0)
	s_add_u32 s0, s0, s2
	s_addc_u32 s1, s1, s3
	v_mov_b32_e32 v7, 0
	v_lshl_add_u64 v[2:3], s[0:1], 0, v[6:7]
	v_lshlrev_b32_e32 v6, 2, v0
	s_sub_i32 s15, 1, s33
	s_lshl_b64 s[0:1], s[22:23], 2
	v_and_b32_e32 v6, 12, v6
	v_lshlrev_b32_e32 v9, 5, v4
	v_cmp_eq_u32_e32 vcc, 0, v4
	v_lshlrev_b32_e32 v4, 2, v5
	s_add_u32 s0, s20, s0
	v_lshl_add_u64 v[2:3], v[2:3], 0, v[6:7]
	v_lshl_or_b32 v4, v1, 6, v4
	v_and_b32_e32 v6, 60, v10
	s_addc_u32 s1, s21, s1
	v_lshl_or_b32 v11, v1, 4, v5
	v_add_u32_e32 v12, 0x90, v4
	v_lshl_add_u64 v[4:5], s[0:1], 0, v[6:7]
	v_mbcnt_hi_u32_b32 v6, -1, v13
	v_and_b32_e32 v7, 64, v6
	s_mov_b32 s17, s13
	v_cmp_neq_f32_e64 s[2:3], s8, 0
	s_mov_b64 s[28:29], 0
	v_mov_b32_e32 v8, 0xff7fffff
	v_add_u32_e32 v7, 64, v7
	v_xor_b32_e32 v13, 2, v6
	v_xor_b32_e32 v14, 1, v6
	v_mov_b32_e32 v15, v1
	s_branch .LBB82_9
.LBB82_8:                               ;   in Loop: Header=BB82_9 Depth=1
	s_or_b64 exec, exec, s[30:31]
	v_add_u32_e32 v15, 2, v15
	v_cmp_le_i32_e64 s[0:1], s12, v15
	v_add_u32_e32 v11, 32, v11
	v_add_u32_e32 v12, 0x80, v12
	s_or_b64 s[28:29], s[0:1], s[28:29]
	v_lshl_add_u64 v[4:5], v[4:5], 0, 8
	s_andn2_b64 exec, exec, s[28:29]
	s_cbranch_execz .LBB82_11
.LBB82_9:                               ; =>This Inner Loop Header: Depth=1
	global_load_dword v16, v[4:5], off
	s_waitcnt vmcnt(0) lgkmcnt(0)
	v_mad_i64_i32 v[16:17], s[0:1], v16, s17, 0
	v_lshl_add_u64 v[16:17], v[16:17], 1, v[2:3]
	global_load_dword v18, v[16:17], off
	global_load_dword v19, v[16:17], off offset:256
	global_load_dword v20, v[16:17], off offset:512
	;; [unrolled: 1-line block ×7, first 2 shown]
	ds_read_b32 v16, v9
	v_cmp_lt_i32_e64 s[0:1], v13, v7
	s_waitcnt lgkmcnt(0)
	v_lshrrev_b32_e32 v26, 16, v16
	v_and_b32_e32 v16, 0xffff, v16
	;;#ASMSTART
	v_cvt_f32_f16 v16, v16;
	;;#ASMEND
	;;#ASMSTART
	v_cvt_f32_f16 v26, v26;
	;;#ASMEND
	v_cndmask_b32_e64 v17, v6, v13, s[0:1]
	v_lshlrev_b32_e32 v17, 2, v17
	v_cmp_lt_i32_e64 s[0:1], v14, v7
	s_waitcnt vmcnt(7)
	v_lshrrev_b32_e32 v27, 16, v18
	v_and_b32_e32 v18, 0xffff, v18
	;;#ASMSTART
	v_cvt_f32_f16 v18, v18;
	;;#ASMEND
	;;#ASMSTART
	v_cvt_f32_f16 v27, v27;
	;;#ASMEND
	ds_read_b32 v28, v9 offset:4
	s_waitcnt vmcnt(6)
	v_lshrrev_b32_e32 v29, 16, v19
	v_and_b32_e32 v19, 0xffff, v19
	s_waitcnt vmcnt(5)
	v_lshrrev_b32_e32 v30, 16, v20
	v_and_b32_e32 v20, 0xffff, v20
	s_waitcnt lgkmcnt(0)
	v_lshrrev_b32_e32 v31, 16, v28
	v_and_b32_e32 v28, 0xffff, v28
	;;#ASMSTART
	v_cvt_f32_f16 v28, v28;
	;;#ASMEND
	;;#ASMSTART
	v_cvt_f32_f16 v31, v31;
	;;#ASMEND
	;; [unrolled: 3-line block ×4, first 2 shown]
	ds_read_b32 v32, v9 offset:8
	s_waitcnt vmcnt(4)
	v_lshrrev_b32_e32 v33, 16, v21
	v_and_b32_e32 v21, 0xffff, v21
	s_waitcnt vmcnt(3)
	v_lshrrev_b32_e32 v34, 16, v22
	v_and_b32_e32 v22, 0xffff, v22
	s_waitcnt lgkmcnt(0)
	v_lshrrev_b32_e32 v35, 16, v32
	v_and_b32_e32 v32, 0xffff, v32
	;;#ASMSTART
	v_cvt_f32_f16 v32, v32;
	;;#ASMEND
	;;#ASMSTART
	v_cvt_f32_f16 v35, v35;
	;;#ASMEND
	;;#ASMSTART
	v_cvt_f32_f16 v20, v20;
	;;#ASMEND
	;;#ASMSTART
	v_cvt_f32_f16 v30, v30;
	;;#ASMEND
	ds_read_b32 v36, v9 offset:12
	v_mul_f32_e32 v19, v28, v19
	v_mul_f32_e32 v28, v31, v29
	s_waitcnt vmcnt(2)
	v_lshrrev_b32_e32 v37, 16, v23
	v_and_b32_e32 v23, 0xffff, v23
	s_waitcnt lgkmcnt(0)
	v_lshrrev_b32_e32 v39, 16, v36
	v_and_b32_e32 v36, 0xffff, v36
	;;#ASMSTART
	v_cvt_f32_f16 v36, v36;
	;;#ASMEND
	;;#ASMSTART
	v_cvt_f32_f16 v39, v39;
	;;#ASMEND
	;; [unrolled: 3-line block ×4, first 2 shown]
	ds_read_b32 v40, v9 offset:16
	v_fmac_f32_e32 v19, v16, v18
	v_fmac_f32_e32 v28, v26, v27
	;; [unrolled: 1-line block ×4, first 2 shown]
	s_waitcnt lgkmcnt(0)
	v_lshrrev_b32_e32 v29, 16, v40
	v_and_b32_e32 v31, 0xffff, v40
	;;#ASMSTART
	v_cvt_f32_f16 v31, v31;
	;;#ASMEND
	;;#ASMSTART
	v_cvt_f32_f16 v29, v29;
	;;#ASMEND
	;; [unrolled: 3-line block ×4, first 2 shown]
	ds_read_b32 v40, v9 offset:20
	s_waitcnt vmcnt(1)
	v_lshrrev_b32_e32 v38, 16, v24
	v_and_b32_e32 v24, 0xffff, v24
	v_fmac_f32_e32 v19, v31, v22
	v_fmac_f32_e32 v28, v35, v30
	s_waitcnt lgkmcnt(0)
	v_lshrrev_b32_e32 v16, 16, v40
	v_and_b32_e32 v18, 0xffff, v40
	;;#ASMSTART
	v_cvt_f32_f16 v18, v18;
	;;#ASMEND
	;;#ASMSTART
	v_cvt_f32_f16 v16, v16;
	;;#ASMEND
	;; [unrolled: 3-line block ×4, first 2 shown]
	ds_read_b32 v26, v9 offset:24
	v_fmac_f32_e32 v28, v39, v33
	v_fmac_f32_e32 v28, v29, v34
	;; [unrolled: 1-line block ×4, first 2 shown]
	s_waitcnt lgkmcnt(0)
	v_lshrrev_b32_e32 v21, 16, v26
	v_and_b32_e32 v22, 0xffff, v26
	;;#ASMSTART
	v_cvt_f32_f16 v22, v22;
	;;#ASMEND
	;;#ASMSTART
	v_cvt_f32_f16 v21, v21;
	;;#ASMEND
	;; [unrolled: 3-line block ×4, first 2 shown]
	ds_read_b32 v27, v9 offset:28
	v_fmac_f32_e32 v19, v22, v24
	v_fmac_f32_e32 v28, v21, v26
	s_waitcnt vmcnt(0)
	v_lshrrev_b32_e32 v41, 16, v25
	v_and_b32_e32 v25, 0xffff, v25
	s_waitcnt lgkmcnt(0)
	v_lshrrev_b32_e32 v16, 16, v27
	v_and_b32_e32 v18, 0xffff, v27
	;;#ASMSTART
	v_cvt_f32_f16 v18, v18;
	;;#ASMEND
	;;#ASMSTART
	v_cvt_f32_f16 v16, v16;
	;;#ASMEND
	;; [unrolled: 3-line block ×4, first 2 shown]
	s_nop 0
	v_fmac_f32_e32 v19, v18, v20
	v_fmac_f32_e32 v28, v16, v21
	v_add_f32_e32 v16, v19, v28
	ds_bpermute_b32 v17, v17, v16
	v_cndmask_b32_e64 v18, v6, v14, s[0:1]
	s_waitcnt lgkmcnt(0)
	v_add_f32_e32 v16, v16, v17
	v_lshlrev_b32_e32 v17, 2, v18
	ds_bpermute_b32 v17, v17, v16
	s_and_saveexec_b64 s[30:31], vcc
	s_cbranch_execz .LBB82_8
; %bb.10:                               ;   in Loop: Header=BB82_9 Depth=1
	v_add_u32_e32 v18, s15, v11
	v_cvt_f32_i32_e32 v18, v18
	s_waitcnt lgkmcnt(0)
	v_add_f32_e32 v16, v16, v17
	v_cmp_gt_i32_e64 s[0:1], s33, v11
	v_max_f32_e32 v17, v8, v8
	v_mul_f32_e32 v18, s8, v18
	v_cndmask_b32_e64 v18, 0, v18, s[2:3]
	v_fmac_f32_e32 v18, s9, v16
	v_cndmask_b32_e64 v16, 0, v18, s[0:1]
	ds_write_b32 v12, v16
	v_max_f32_e32 v16, v17, v18
	v_cndmask_b32_e64 v8, v8, v16, s[0:1]
	s_branch .LBB82_8
.LBB82_11:
	s_or_b64 exec, exec, s[28:29]
.LBB82_12:
	s_or_b64 exec, exec, s[26:27]
	v_xor_b32_e32 v2, 32, v6
	v_cmp_lt_i32_e32 vcc, v2, v7
	v_xor_b32_e32 v5, 16, v6
	v_max_f32_e32 v4, v8, v8
	v_cndmask_b32_e32 v2, v6, v2, vcc
	v_lshlrev_b32_e32 v2, 2, v2
	ds_bpermute_b32 v3, v2, v8
	v_cmp_lt_i32_e32 vcc, v5, v7
	v_xor_b32_e32 v8, 8, v6
	v_xor_b32_e32 v9, 4, v6
	v_and_b32_e32 v14, 63, v0
	s_waitcnt lgkmcnt(0)
	v_max_f32_e32 v3, v3, v3
	v_max_f32_e32 v4, v4, v3
	v_cndmask_b32_e32 v3, v6, v5, vcc
	v_lshlrev_b32_e32 v3, 2, v3
	ds_bpermute_b32 v5, v3, v4
	v_cmp_lt_i32_e32 vcc, v8, v7
	s_waitcnt lgkmcnt(0)
	v_max_f32_e32 v5, v5, v5
	v_max_f32_e32 v4, v4, v5
	v_cndmask_b32_e32 v5, v6, v8, vcc
	v_lshlrev_b32_e32 v8, 2, v5
	ds_bpermute_b32 v5, v8, v4
	v_cmp_lt_i32_e32 vcc, v9, v7
	s_waitcnt lgkmcnt(0)
	v_max_f32_e32 v5, v5, v5
	v_max_f32_e32 v5, v4, v5
	v_cndmask_b32_e32 v4, v6, v9, vcc
	v_lshlrev_b32_e32 v9, 2, v4
	ds_bpermute_b32 v11, v9, v5
	v_cmp_eq_u32_e32 vcc, 0, v14
	v_lshlrev_b32_e32 v4, 2, v1
	s_and_saveexec_b64 s[0:1], vcc
	s_cbranch_execz .LBB82_14
; %bb.13:
	s_waitcnt lgkmcnt(0)
	v_max_f32_e32 v11, v11, v11
	v_max_f32_e32 v5, v5, v5
	;; [unrolled: 1-line block ×3, first 2 shown]
	ds_write_b32 v4, v5 offset:128
.LBB82_14:
	s_or_b64 exec, exec, s[0:1]
	v_cmp_gt_u32_e64 s[0:1], 2, v14
	s_waitcnt lgkmcnt(0)
	v_mov_b32_e32 v11, 0xff7fffff
	v_lshlrev_b32_e32 v5, 2, v14
	s_barrier
	s_and_saveexec_b64 s[2:3], s[0:1]
	s_cbranch_execz .LBB82_16
; %bb.15:
	ds_read_b32 v11, v5 offset:128
.LBB82_16:
	s_or_b64 exec, exec, s[2:3]
	v_xor_b32_e32 v12, 1, v6
	v_cmp_lt_i32_e64 s[2:3], v12, v7
	v_lshlrev_b32_e32 v13, 2, v6
	s_nop 0
	v_cndmask_b32_e64 v12, v6, v12, s[2:3]
	v_lshlrev_b32_e32 v15, 2, v12
	s_waitcnt lgkmcnt(0)
	ds_bpermute_b32 v12, v15, v11
	v_max_f32_e32 v11, v11, v11
	s_lshl_b32 s2, s12, 4
	s_min_i32 s15, s2, s33
	v_cmp_gt_i32_e64 s[2:3], s15, v0
	s_waitcnt lgkmcnt(0)
	v_max_f32_e32 v12, v12, v12
	v_max_f32_e32 v12, v11, v12
	v_and_b32_e32 v11, 0xffffff00, v13
	ds_bpermute_b32 v13, v11, v12
	v_mov_b32_e32 v12, 0
	s_and_saveexec_b64 s[26:27], s[2:3]
	s_cbranch_execz .LBB82_20
; %bb.17:
	v_mov_b32_e32 v12, 0x90
	v_lshl_add_u32 v16, v0, 2, v12
	s_mov_b64 s[28:29], 0
	v_mov_b32_e32 v12, 0
	v_mov_b32_e32 v17, v0
.LBB82_18:                              ; =>This Inner Loop Header: Depth=1
	ds_read_b32 v18, v16
	v_add_u32_e32 v17, 0x80, v17
	v_cmp_le_i32_e64 s[8:9], s15, v17
	s_or_b64 s[28:29], s[8:9], s[28:29]
	s_waitcnt lgkmcnt(0)
	v_sub_f32_e32 v18, v18, v13
	v_mul_f32_e32 v18, 0x3fb8aa3b, v18
	v_exp_f32_e32 v18, v18
	ds_write_b32 v16, v18
	v_add_f32_e32 v12, v12, v18
	v_add_u32_e32 v16, 0x200, v16
	s_andn2_b64 exec, exec, s[28:29]
	s_cbranch_execnz .LBB82_18
; %bb.19:
	s_or_b64 exec, exec, s[28:29]
.LBB82_20:
	s_or_b64 exec, exec, s[26:27]
	ds_bpermute_b32 v2, v2, v12
	s_waitcnt lgkmcnt(0)
	v_add_f32_e32 v2, v12, v2
	ds_bpermute_b32 v3, v3, v2
	s_waitcnt lgkmcnt(0)
	v_add_f32_e32 v2, v2, v3
	ds_bpermute_b32 v3, v8, v2
	v_xor_b32_e32 v8, 2, v6
	v_cmp_lt_i32_e64 s[8:9], v8, v7
	s_waitcnt lgkmcnt(0)
	v_add_f32_e32 v2, v2, v3
	ds_bpermute_b32 v3, v9, v2
	v_cndmask_b32_e64 v6, v6, v8, s[8:9]
	s_waitcnt lgkmcnt(0)
	v_add_f32_e32 v2, v2, v3
	v_lshlrev_b32_e32 v3, 2, v6
	ds_bpermute_b32 v3, v3, v2
	s_waitcnt lgkmcnt(0)
	v_add_f32_e32 v2, v2, v3
	ds_bpermute_b32 v3, v15, v2
	s_waitcnt lgkmcnt(0)
	v_add_f32_e32 v2, v2, v3
	s_and_saveexec_b64 s[8:9], vcc
	s_cbranch_execz .LBB82_22
; %bb.21:
	ds_write_b32 v4, v2 offset:136
.LBB82_22:
	s_or_b64 exec, exec, s[8:9]
	s_waitcnt lgkmcnt(0)
	s_barrier
	s_and_saveexec_b64 s[8:9], s[0:1]
	s_cbranch_execz .LBB82_24
; %bb.23:
	ds_read_b32 v2, v5 offset:136
.LBB82_24:
	s_or_b64 exec, exec, s[8:9]
	s_waitcnt lgkmcnt(0)
	ds_bpermute_b32 v3, v15, v2
	s_waitcnt lgkmcnt(0)
	v_add_f32_e32 v2, v2, v3
	ds_bpermute_b32 v2, v11, v2
	s_and_saveexec_b64 s[0:1], s[2:3]
	s_cbranch_execz .LBB82_37
; %bb.25:
	s_waitcnt lgkmcnt(0)
	v_add_f32_e32 v2, 0x358637bd, v2
	v_div_scale_f32 v3, s[2:3], v2, v2, 1.0
	v_rcp_f32_e32 v4, v3
	v_div_scale_f32 v5, vcc, 1.0, v2, 1.0
	s_movk_i32 s2, 0x7f
	v_fma_f32 v6, -v3, v4, 1.0
	v_fmac_f32_e32 v4, v6, v4
	v_mul_f32_e32 v6, v5, v4
	v_fma_f32 v7, -v3, v6, v5
	v_fmac_f32_e32 v6, v7, v4
	v_fma_f32 v3, -v3, v6, v5
	v_div_fmas_f32 v3, v3, v4, v6
	v_xad_u32 v4, v0, -1, s15
	v_div_fixup_f32 v2, v3, v2, 1.0
	v_cmp_lt_u32_e32 vcc, s2, v4
	s_mov_b64 s[8:9], -1
	v_mov_b32_e32 v3, v0
	s_and_saveexec_b64 s[2:3], vcc
	s_cbranch_execz .LBB82_34
; %bb.26:
	v_lshrrev_b32_e32 v4, 7, v4
	v_add_u32_e32 v6, -1, v4
	v_lshrrev_b32_e32 v5, 1, v6
	v_mov_b32_e32 v3, v2
	v_add_u32_e32 v5, 1, v5
	v_cmp_lt_u32_e32 vcc, 13, v6
	v_mov_b32_e32 v8, 0
	s_and_saveexec_b64 s[8:9], vcc
	s_cbranch_execz .LBB82_30
; %bb.27:
	v_mov_b32_e32 v7, 0x90
	v_and_b32_e32 v6, -8, v5
	v_lshl_add_u32 v7, v0, 2, v7
	s_mov_b32 s17, 0
	s_mov_b64 s[26:27], 0
.LBB82_28:                              ; =>This Inner Loop Header: Depth=1
	ds_read2st64_b32 v[8:9], v7 offset1:2
	ds_read2st64_b32 v[12:13], v7 offset0:4 offset1:6
	ds_read2st64_b32 v[16:17], v7 offset0:8 offset1:10
	;; [unrolled: 1-line block ×3, first 2 shown]
	v_add_u32_e32 v6, -8, v6
	s_waitcnt lgkmcnt(3)
	v_pk_mul_f32 v[8:9], v[2:3], v[8:9]
	s_waitcnt lgkmcnt(2)
	v_pk_mul_f32 v[12:13], v[2:3], v[12:13]
	ds_write2st64_b32 v7, v8, v9 offset1:2
	ds_write2st64_b32 v7, v12, v13 offset0:4 offset1:6
	ds_read2st64_b32 v[12:13], v7 offset0:16 offset1:18
	s_waitcnt lgkmcnt(4)
	v_pk_mul_f32 v[8:9], v[2:3], v[16:17]
	ds_write2st64_b32 v7, v8, v9 offset0:8 offset1:10
	s_waitcnt lgkmcnt(4)
	v_pk_mul_f32 v[8:9], v[2:3], v[18:19]
	ds_write2st64_b32 v7, v8, v9 offset0:12 offset1:14
	ds_read2st64_b32 v[8:9], v7 offset0:20 offset1:22
	s_waitcnt lgkmcnt(3)
	v_pk_mul_f32 v[12:13], v[2:3], v[12:13]
	ds_read2st64_b32 v[16:17], v7 offset0:24 offset1:26
	ds_write2st64_b32 v7, v12, v13 offset0:16 offset1:18
	ds_read2st64_b32 v[12:13], v7 offset0:28 offset1:30
	s_waitcnt lgkmcnt(3)
	v_pk_mul_f32 v[8:9], v[2:3], v[8:9]
	ds_write2st64_b32 v7, v8, v9 offset0:20 offset1:22
	s_waitcnt lgkmcnt(3)
	v_pk_mul_f32 v[8:9], v[2:3], v[16:17]
	ds_write2st64_b32 v7, v8, v9 offset0:24 offset1:26
	s_waitcnt lgkmcnt(2)
	v_pk_mul_f32 v[8:9], v[2:3], v[12:13]
	s_add_i32 s17, s17, 16
	v_cmp_eq_u32_e32 vcc, 0, v6
	ds_write2st64_b32 v7, v8, v9 offset0:28 offset1:30
	v_add_u32_e32 v7, 0x2000, v7
	s_or_b64 s[26:27], vcc, s[26:27]
	v_mov_b32_e32 v8, s17
	s_andn2_b64 exec, exec, s[26:27]
	s_cbranch_execnz .LBB82_28
; %bb.29:
	s_or_b64 exec, exec, s[26:27]
.LBB82_30:
	s_or_b64 exec, exec, s[8:9]
	v_and_b32_e32 v5, 7, v5
	v_cmp_ne_u32_e32 vcc, 0, v5
	s_and_saveexec_b64 s[8:9], vcc
	s_cbranch_execz .LBB82_33
; %bb.31:
	v_lshlrev_b32_e32 v6, 9, v8
	v_lshlrev_b32_e32 v7, 2, v0
	s_movk_i32 s17, 0x90
	v_add3_u32 v6, v6, v7, s17
	s_mov_b64 s[26:27], 0
.LBB82_32:                              ; =>This Inner Loop Header: Depth=1
	ds_read2st64_b32 v[8:9], v6 offset1:2
	v_add_u32_e32 v5, -1, v5
	v_cmp_eq_u32_e32 vcc, 0, v5
	s_or_b64 s[26:27], vcc, s[26:27]
	s_waitcnt lgkmcnt(0)
	v_pk_mul_f32 v[8:9], v[2:3], v[8:9]
	ds_write2st64_b32 v6, v8, v9 offset1:2
	v_add_u32_e32 v6, 0x400, v6
	s_andn2_b64 exec, exec, s[26:27]
	s_cbranch_execnz .LBB82_32
.LBB82_33:
	s_or_b64 exec, exec, s[8:9]
	v_add_u32_e32 v4, 1, v4
	v_and_b32_e32 v5, 0x3fffffe, v4
	v_cmp_ne_u32_e32 vcc, v4, v5
	v_lshl_add_u32 v3, v5, 7, v0
	s_orn2_b64 s[8:9], vcc, exec
.LBB82_34:
	s_or_b64 exec, exec, s[2:3]
	s_and_b64 exec, exec, s[8:9]
	s_cbranch_execz .LBB82_37
; %bb.35:
	v_mov_b32_e32 v4, 0x90
	v_lshl_add_u32 v4, v3, 2, v4
	s_mov_b64 s[2:3], 0
.LBB82_36:                              ; =>This Inner Loop Header: Depth=1
	ds_read_b32 v5, v4
	v_add_u32_e32 v3, 0x80, v3
	v_cmp_le_i32_e32 vcc, s15, v3
	s_or_b64 s[2:3], vcc, s[2:3]
	s_waitcnt lgkmcnt(0)
	v_mul_f32_e32 v5, v2, v5
	ds_write_b32 v4, v5
	v_add_u32_e32 v4, 0x200, v4
	s_andn2_b64 exec, exec, s[2:3]
	s_cbranch_execnz .LBB82_36
.LBB82_37:
	s_or_b64 exec, exec, s[0:1]
	v_mov_b32_e32 v7, 0
	v_and_b32_e32 v16, 1, v0
	v_mov_b32_e32 v6, 0
	s_waitcnt lgkmcnt(0)
	s_barrier
	s_and_saveexec_b64 s[2:3], s[6:7]
	s_cbranch_execz .LBB82_45
; %bb.38:
	s_ashr_i32 s15, s14, 31
	s_lshl_b64 s[0:1], s[14:15], 1
	s_add_u32 s0, s24, s0
	v_lshlrev_b32_e32 v3, 4, v0
	v_lshlrev_b32_e32 v2, 3, v0
	s_addc_u32 s1, s25, s1
	v_and_b32_e32 v6, 0x3f0, v3
	v_mov_b32_e32 v7, 0
	v_and_b32_e32 v2, 8, v2
	s_add_i32 s14, s12, -1
	v_lshl_add_u64 v[8:9], s[0:1], 0, v[6:7]
	s_lshl_b64 s[0:1], s[22:23], 2
	v_lshl_or_b32 v17, v1, 4, v2
	v_lshlrev_b32_e32 v2, 5, v16
	s_add_u32 s0, s20, s0
	v_lshl_or_b32 v2, v1, 6, v2
	v_and_b32_e32 v6, 60, v10
	s_addc_u32 s1, s21, s1
	s_mov_b32 s15, s33
	s_mov_b32 s17, s33
	;; [unrolled: 1-line block ×7, first 2 shown]
	v_add_u32_e32 v18, 0x90, v2
	v_lshl_add_u64 v[10:11], s[0:1], 0, v[6:7]
	s_mov_b64 s[6:7], 0
	s_mov_b32 s20, 0x5040100
	v_mov_b32_e32 v6, v7
	s_branch .LBB82_40
.LBB82_39:                              ;   in Loop: Header=BB82_40 Depth=1
	s_or_b64 exec, exec, s[0:1]
	s_waitcnt vmcnt(0)
	;;#ASMSTART
	v_pk_mul_f16 v2, v29, v2;

	;;#ASMEND
	;;#ASMSTART
	v_pk_mul_f16 v3, v28, v3;

	;;#ASMEND
	;; [unrolled: 4-line block ×4, first 2 shown]
	v_add_u32_e32 v1, 2, v1
	;;#ASMSTART
	v_pk_add_f16 v2, v2, v3;

	;;#ASMEND
	v_add_f32_e32 v12, v30, v31
	;;#ASMSTART
	v_pk_add_f16 v2, v2, v4;

	;;#ASMEND
	v_cmp_le_i32_e32 vcc, s12, v1
	;;#ASMSTART
	v_pk_add_f16 v2, v2, v5;

	;;#ASMEND
	v_add_f32_e32 v6, v6, v12
	v_lshrrev_b32_e32 v3, 16, v2
	v_and_b32_e32 v2, 0xffff, v2
	;;#ASMSTART
	v_cvt_f32_f16 v2, v2;
	;;#ASMEND
	;;#ASMSTART
	v_cvt_f32_f16 v3, v3;
	;;#ASMEND
	v_add_u32_e32 v17, 32, v17
	v_add_f32_e32 v2, v2, v3
	v_add_f32_e32 v7, v7, v2
	v_add_u32_e32 v18, 0x80, v18
	s_or_b64 s[6:7], vcc, s[6:7]
	v_lshl_add_u64 v[10:11], v[10:11], 0, 8
	s_andn2_b64 exec, exec, s[6:7]
	s_cbranch_execz .LBB82_44
.LBB82_40:                              ; =>This Inner Loop Header: Depth=1
	global_load_dword v12, v[10:11], off
	ds_read2_b64 v[2:5], v18 offset1:1
	ds_read2_b64 v[20:23], v18 offset0:2 offset1:3
	v_cmp_eq_u32_e32 vcc, s14, v1
	v_add_u32_e32 v19, 1, v17
	s_waitcnt lgkmcnt(1)
	;;#ASMSTART
	v_cvt_f16_f32 v26, v2;

	;;#ASMEND
	;;#ASMSTART
	v_cvt_f16_f32 v27, v3;

	;;#ASMEND
	;; [unrolled: 4-line block ×4, first 2 shown]
	s_waitcnt lgkmcnt(0)
	;;#ASMSTART
	v_cvt_f16_f32 v31, v20;

	;;#ASMEND
	;;#ASMSTART
	v_cvt_f16_f32 v32, v21;

	;;#ASMEND
	;; [unrolled: 4-line block ×4, first 2 shown]
	v_or_b32_e32 v21, 3, v17
	v_or_b32_e32 v20, 2, v17
	;; [unrolled: 1-line block ×6, first 2 shown]
	s_waitcnt vmcnt(0)
	v_mad_i64_i32 v[2:3], s[0:1], v12, s13, 0
	v_lshl_add_u64 v[12:13], v[2:3], 1, v[8:9]
	global_load_dwordx4 v[2:5], v[12:13], off
	s_and_saveexec_b64 s[8:9], vcc
	s_cbranch_execz .LBB82_42
; %bb.41:                               ;   in Loop: Header=BB82_40 Depth=1
	s_waitcnt vmcnt(0)
	v_lshrrev_b32_e32 v29, 16, v5
	v_cmp_gt_i32_e64 s[0:1], s28, v25
	s_nop 1
	v_cndmask_b32_e64 v29, 0, v29, s[0:1]
	v_cmp_gt_i32_e64 s[0:1], s27, v24
	s_nop 1
	v_cndmask_b32_e64 v5, 0, v5, s[0:1]
	v_perm_b32 v5, v29, v5, s20
	v_lshrrev_b32_e32 v29, 16, v4
	v_cmp_gt_i32_e64 s[0:1], s26, v23
	s_nop 1
	v_cndmask_b32_e64 v29, 0, v29, s[0:1]
	v_cmp_gt_i32_e64 s[0:1], s25, v22
	s_nop 1
	v_cndmask_b32_e64 v4, 0, v4, s[0:1]
	v_perm_b32 v4, v29, v4, s20
	v_lshrrev_b32_e32 v29, 16, v3
	v_cmp_gt_i32_e64 s[0:1], s24, v21
	s_nop 1
	v_cndmask_b32_e64 v29, 0, v29, s[0:1]
	v_cmp_gt_i32_e64 s[0:1], s17, v20
	s_nop 1
	v_cndmask_b32_e64 v3, 0, v3, s[0:1]
	v_perm_b32 v3, v29, v3, s20
	v_lshrrev_b32_e32 v29, 16, v2
	v_cmp_gt_i32_e64 s[0:1], s15, v19
	s_nop 1
	v_cndmask_b32_e64 v29, 0, v29, s[0:1]
	v_cmp_gt_i32_e64 s[0:1], s33, v17
	s_nop 1
	v_cndmask_b32_e64 v2, 0, v2, s[0:1]
	v_perm_b32 v2, v29, v2, s20
.LBB82_42:                              ;   in Loop: Header=BB82_40 Depth=1
	s_or_b64 exec, exec, s[8:9]
	v_and_b32_e32 v26, 0xffff, v26
	v_lshl_or_b32 v29, v27, 16, v26
	v_and_b32_e32 v26, 0xffff, v28
	v_lshl_or_b32 v28, v30, 16, v26
	;; [unrolled: 2-line block ×3, first 2 shown]
	v_and_b32_e32 v26, 0xffff, v33
	s_waitcnt vmcnt(0)
	;;#ASMSTART
	v_pk_mul_f16 v2, v29, v2;

	;;#ASMEND
	v_lshl_or_b32 v26, v34, 16, v26
	;;#ASMSTART
	v_pk_mul_f16 v3, v28, v3;

	;;#ASMEND
	;;#ASMSTART
	v_pk_mul_f16 v4, v27, v4;

	;;#ASMEND
	;; [unrolled: 4-line block ×3, first 2 shown]
	s_nop 0
	;;#ASMSTART
	v_pk_add_f16 v2, v2, v3;

	;;#ASMEND
	s_nop 0
	;;#ASMSTART
	v_pk_add_f16 v2, v2, v4;

	;;#ASMEND
	;; [unrolled: 5-line block ×3, first 2 shown]
	s_nop 0
	v_lshrrev_b32_e32 v3, 16, v2
	v_and_b32_e32 v2, 0xffff, v2
	;;#ASMSTART
	v_cvt_f32_f16 v30, v2;
	;;#ASMEND
	;;#ASMSTART
	v_cvt_f32_f16 v31, v3;
	;;#ASMEND
	global_load_dwordx4 v[2:5], v[12:13], off offset:1024
	s_and_saveexec_b64 s[0:1], vcc
	s_cbranch_execz .LBB82_39
; %bb.43:                               ;   in Loop: Header=BB82_40 Depth=1
	s_waitcnt vmcnt(0)
	v_lshrrev_b32_e32 v12, 16, v5
	v_cmp_gt_i32_e32 vcc, s28, v25
	s_nop 1
	v_cndmask_b32_e32 v12, 0, v12, vcc
	v_cmp_gt_i32_e32 vcc, s27, v24
	s_nop 1
	v_cndmask_b32_e32 v5, 0, v5, vcc
	v_perm_b32 v5, v12, v5, s20
	v_lshrrev_b32_e32 v12, 16, v4
	v_cmp_gt_i32_e32 vcc, s26, v23
	s_nop 1
	v_cndmask_b32_e32 v12, 0, v12, vcc
	v_cmp_gt_i32_e32 vcc, s25, v22
	s_nop 1
	v_cndmask_b32_e32 v4, 0, v4, vcc
	v_perm_b32 v4, v12, v4, s20
	;; [unrolled: 8-line block ×4, first 2 shown]
	s_branch .LBB82_39
.LBB82_44:
	s_or_b64 exec, exec, s[6:7]
.LBB82_45:
	s_or_b64 exec, exec, s[2:3]
	ds_bpermute_b32 v2, v15, v6
	ds_bpermute_b32 v3, v15, v7
	v_and_b32_e32 v1, 0x3c1, v0
	v_cmp_eq_u32_e32 vcc, 64, v1
	s_waitcnt lgkmcnt(0)
	s_barrier
	v_pk_add_f32 v[2:3], v[6:7], v[2:3]
	s_and_saveexec_b64 s[0:1], vcc
	s_cbranch_execz .LBB82_47
; %bb.46:
	v_mov_b32_e32 v4, 0x90
	v_lshl_add_u32 v4, v14, 1, v4
	ds_write2_b32 v4, v2, v3 offset1:32
.LBB82_47:
	s_or_b64 exec, exec, s[0:1]
	v_cmp_gt_u32_e32 vcc, 64, v0
	s_waitcnt lgkmcnt(0)
	s_barrier
	s_and_saveexec_b64 s[0:1], vcc
	s_cbranch_execz .LBB82_53
; %bb.48:
	v_cmp_eq_u32_e32 vcc, 0, v16
	v_lshrrev_b32_e32 v4, 1, v0
	s_and_saveexec_b64 s[2:3], vcc
	s_cbranch_execz .LBB82_50
; %bb.49:
	v_mov_b32_e32 v5, 0x90
	v_lshl_add_u32 v5, v4, 2, v5
	ds_read_b32 v5, v5
	s_waitcnt lgkmcnt(0)
	v_add_f32_e32 v2, v2, v5
.LBB82_50:
	s_or_b64 exec, exec, s[2:3]
	s_and_saveexec_b64 s[2:3], vcc
	s_cbranch_execz .LBB82_52
; %bb.51:
	v_mov_b32_e32 v5, 0x90
	v_lshl_add_u32 v4, v4, 2, v5
	ds_read_b32 v4, v4 offset:128
	s_waitcnt lgkmcnt(0)
	v_add_f32_e32 v3, v3, v4
.LBB82_52:
	s_or_b64 exec, exec, s[2:3]
.LBB82_53:
	s_or_b64 exec, exec, s[0:1]
	v_cmp_eq_u32_e32 vcc, 0, v1
	s_barrier
	s_and_saveexec_b64 s[0:1], vcc
	s_cbranch_execz .LBB82_55
; %bb.54:
	s_mul_i32 s0, s10, s11
	s_mul_i32 s0, s0, s5
	s_lshl_b32 s0, s0, 6
	s_ashr_i32 s1, s0, 31
	s_lshl_b64 s[0:1], s[0:1], 1
	s_add_u32 s2, s18, s0
	s_mul_i32 s0, s11, s16
	s_addc_u32 s3, s19, s1
	s_ashr_i32 s1, s0, 31
	s_lshl_b64 s[0:1], s[0:1], 1
	s_add_u32 s2, s2, s0
	s_addc_u32 s3, s3, s1
	s_lshl_b32 s0, s4, 6
	s_ashr_i32 s1, s0, 31
	s_lshl_b64 s[0:1], s[0:1], 1
	s_add_u32 s0, s2, s0
	s_addc_u32 s1, s3, s1
	;;#ASMSTART
	v_cvt_f16_f32 v1, v2;

	;;#ASMEND
	global_store_short v0, v1, s[0:1]
	;;#ASMSTART
	v_cvt_f16_f32 v1, v3;

	;;#ASMEND
	global_store_short v0, v1, s[0:1] offset:64
.LBB82_55:
	s_endpgm
	.section	.rodata,"a",@progbits
	.p2align	6, 0x0
	.amdhsa_kernel _ZN4vllm25paged_attention_v1_kernelIttLi64ELi16ELi128ELNS_18Fp8KVCacheDataTypeE0ELb0EEEvPT_PKS2_PKT0_S8_ifPKiSA_iPKfiiiSC_SC_iiiii
		.amdhsa_group_segment_fixed_size 144
		.amdhsa_private_segment_fixed_size 0
		.amdhsa_kernarg_size 384
		.amdhsa_user_sgpr_count 2
		.amdhsa_user_sgpr_dispatch_ptr 0
		.amdhsa_user_sgpr_queue_ptr 0
		.amdhsa_user_sgpr_kernarg_segment_ptr 1
		.amdhsa_user_sgpr_dispatch_id 0
		.amdhsa_user_sgpr_kernarg_preload_length 0
		.amdhsa_user_sgpr_kernarg_preload_offset 0
		.amdhsa_user_sgpr_private_segment_size 0
		.amdhsa_uses_dynamic_stack 0
		.amdhsa_enable_private_segment 0
		.amdhsa_system_sgpr_workgroup_id_x 1
		.amdhsa_system_sgpr_workgroup_id_y 1
		.amdhsa_system_sgpr_workgroup_id_z 1
		.amdhsa_system_sgpr_workgroup_info 0
		.amdhsa_system_vgpr_workitem_id 0
		.amdhsa_next_free_vgpr 42
		.amdhsa_next_free_sgpr 34
		.amdhsa_accum_offset 44
		.amdhsa_reserve_vcc 1
		.amdhsa_float_round_mode_32 0
		.amdhsa_float_round_mode_16_64 0
		.amdhsa_float_denorm_mode_32 3
		.amdhsa_float_denorm_mode_16_64 3
		.amdhsa_dx10_clamp 1
		.amdhsa_ieee_mode 1
		.amdhsa_fp16_overflow 0
		.amdhsa_tg_split 0
		.amdhsa_exception_fp_ieee_invalid_op 0
		.amdhsa_exception_fp_denorm_src 0
		.amdhsa_exception_fp_ieee_div_zero 0
		.amdhsa_exception_fp_ieee_overflow 0
		.amdhsa_exception_fp_ieee_underflow 0
		.amdhsa_exception_fp_ieee_inexact 0
		.amdhsa_exception_int_div_zero 0
	.end_amdhsa_kernel
	.section	.text._ZN4vllm25paged_attention_v1_kernelIttLi64ELi16ELi128ELNS_18Fp8KVCacheDataTypeE0ELb0EEEvPT_PKS2_PKT0_S8_ifPKiSA_iPKfiiiSC_SC_iiiii,"axG",@progbits,_ZN4vllm25paged_attention_v1_kernelIttLi64ELi16ELi128ELNS_18Fp8KVCacheDataTypeE0ELb0EEEvPT_PKS2_PKT0_S8_ifPKiSA_iPKfiiiSC_SC_iiiii,comdat
.Lfunc_end82:
	.size	_ZN4vllm25paged_attention_v1_kernelIttLi64ELi16ELi128ELNS_18Fp8KVCacheDataTypeE0ELb0EEEvPT_PKS2_PKT0_S8_ifPKiSA_iPKfiiiSC_SC_iiiii, .Lfunc_end82-_ZN4vllm25paged_attention_v1_kernelIttLi64ELi16ELi128ELNS_18Fp8KVCacheDataTypeE0ELb0EEEvPT_PKS2_PKT0_S8_ifPKiSA_iPKfiiiSC_SC_iiiii
                                        ; -- End function
	.section	.AMDGPU.csdata,"",@progbits
; Kernel info:
; codeLenInByte = 4444
; NumSgprs: 40
; NumVgprs: 42
; NumAgprs: 0
; TotalNumVgprs: 42
; ScratchSize: 0
; MemoryBound: 0
; FloatMode: 240
; IeeeMode: 1
; LDSByteSize: 144 bytes/workgroup (compile time only)
; SGPRBlocks: 4
; VGPRBlocks: 5
; NumSGPRsForWavesPerEU: 40
; NumVGPRsForWavesPerEU: 42
; AccumOffset: 44
; Occupancy: 8
; WaveLimiterHint : 1
; COMPUTE_PGM_RSRC2:SCRATCH_EN: 0
; COMPUTE_PGM_RSRC2:USER_SGPR: 2
; COMPUTE_PGM_RSRC2:TRAP_HANDLER: 0
; COMPUTE_PGM_RSRC2:TGID_X_EN: 1
; COMPUTE_PGM_RSRC2:TGID_Y_EN: 1
; COMPUTE_PGM_RSRC2:TGID_Z_EN: 1
; COMPUTE_PGM_RSRC2:TIDIG_COMP_CNT: 0
; COMPUTE_PGM_RSRC3_GFX90A:ACCUM_OFFSET: 10
; COMPUTE_PGM_RSRC3_GFX90A:TG_SPLIT: 0
	.section	.text._ZN4vllm25paged_attention_v1_kernelIttLi80ELi16ELi128ELNS_18Fp8KVCacheDataTypeE0ELb0EEEvPT_PKS2_PKT0_S8_ifPKiSA_iPKfiiiSC_SC_iiiii,"axG",@progbits,_ZN4vllm25paged_attention_v1_kernelIttLi80ELi16ELi128ELNS_18Fp8KVCacheDataTypeE0ELb0EEEvPT_PKS2_PKT0_S8_ifPKiSA_iPKfiiiSC_SC_iiiii,comdat
	.protected	_ZN4vllm25paged_attention_v1_kernelIttLi80ELi16ELi128ELNS_18Fp8KVCacheDataTypeE0ELb0EEEvPT_PKS2_PKT0_S8_ifPKiSA_iPKfiiiSC_SC_iiiii ; -- Begin function _ZN4vllm25paged_attention_v1_kernelIttLi80ELi16ELi128ELNS_18Fp8KVCacheDataTypeE0ELb0EEEvPT_PKS2_PKT0_S8_ifPKiSA_iPKfiiiSC_SC_iiiii
	.globl	_ZN4vllm25paged_attention_v1_kernelIttLi80ELi16ELi128ELNS_18Fp8KVCacheDataTypeE0ELb0EEEvPT_PKS2_PKT0_S8_ifPKiSA_iPKfiiiSC_SC_iiiii
	.p2align	8
	.type	_ZN4vllm25paged_attention_v1_kernelIttLi80ELi16ELi128ELNS_18Fp8KVCacheDataTypeE0ELb0EEEvPT_PKS2_PKT0_S8_ifPKiSA_iPKfiiiSC_SC_iiiii,@function
_ZN4vllm25paged_attention_v1_kernelIttLi80ELi16ELi128ELNS_18Fp8KVCacheDataTypeE0ELb0EEEvPT_PKS2_PKT0_S8_ifPKiSA_iPKfiiiSC_SC_iiiii: ; @_ZN4vllm25paged_attention_v1_kernelIttLi80ELi16ELi128ELNS_18Fp8KVCacheDataTypeE0ELb0EEEvPT_PKS2_PKT0_S8_ifPKiSA_iPKfiiiSC_SC_iiiii
; %bb.0:
	s_load_dword s5, s[0:1], 0x80
	s_load_dwordx2 s[6:7], s[0:1], 0x30
	s_load_dwordx2 s[8:9], s[0:1], 0x20
	s_mov_b32 s10, s3
	s_ashr_i32 s11, s3, 31
	s_lshl_b64 s[12:13], s[10:11], 2
	s_waitcnt lgkmcnt(0)
	s_add_u32 s6, s6, s12
	s_addc_u32 s7, s7, s13
	s_abs_i32 s3, s8
	v_cvt_f32_u32_e32 v1, s3
	s_sub_i32 s12, 0, s3
	s_abs_i32 s11, s5
	s_xor_b32 s8, s5, s8
	v_rcp_iflag_f32_e32 v1, v1
	s_ashr_i32 s8, s8, 31
	v_mul_f32_e32 v1, 0x4f7ffffe, v1
	v_cvt_u32_f32_e32 v1, v1
	s_nop 0
	v_readfirstlane_b32 s13, v1
	s_mul_i32 s12, s12, s13
	s_mul_hi_u32 s12, s13, s12
	s_add_i32 s13, s13, s12
	s_mul_hi_u32 s12, s11, s13
	s_mul_i32 s13, s12, s3
	s_sub_i32 s11, s11, s13
	s_add_i32 s13, s12, 1
	s_sub_i32 s14, s11, s3
	s_cmp_ge_u32 s11, s3
	s_cselect_b32 s12, s13, s12
	s_cselect_b32 s11, s14, s11
	s_add_i32 s13, s12, 1
	s_cmp_ge_u32 s11, s3
	s_cselect_b32 s3, s13, s12
	s_xor_b32 s3, s3, s8
	s_sub_i32 s16, s3, s8
	s_abs_i32 s11, s16
	v_cvt_f32_u32_e32 v1, s11
	s_load_dwordx2 s[12:13], s[0:1], 0x40
	s_sub_i32 s3, 0, s11
	s_abs_i32 s18, s2
	v_rcp_iflag_f32_e32 v1, v1
	s_mov_b32 s8, 0
	v_mul_f32_e32 v1, 0x4f7ffffe, v1
	v_cvt_u32_f32_e32 v1, v1
	s_nop 0
	v_readfirstlane_b32 s14, v1
	s_mul_i32 s3, s3, s14
	s_mul_hi_u32 s3, s14, s3
	s_add_i32 s14, s14, s3
	s_waitcnt lgkmcnt(0)
	s_cmp_eq_u64 s[12:13], 0
	s_mul_hi_u32 s19, s18, s14
	s_cbranch_scc1 .LBB83_2
; %bb.1:
	s_ashr_i32 s3, s2, 31
	s_lshl_b64 s[14:15], s[2:3], 2
	s_add_u32 s12, s12, s14
	s_addc_u32 s13, s13, s15
	s_load_dword s8, s[12:13], 0x0
.LBB83_2:
	s_load_dword s33, s[6:7], 0x0
	s_nop 0
	s_load_dwordx4 s[12:15], s[0:1], 0x48
	s_ashr_i32 s6, s2, 31
	s_ashr_i32 s7, s16, 31
	v_and_b32_e32 v4, 3, v0
	s_mul_i32 s16, s2, 0x50
	v_cmp_gt_u32_e32 vcc, 40, v0
	s_and_saveexec_b64 s[2:3], vcc
	s_cbranch_execz .LBB83_4
; %bb.3:
	s_load_dwordx2 s[20:21], s[0:1], 0x8
	s_waitcnt lgkmcnt(0)
	s_mul_i32 s22, s10, s12
	s_ashr_i32 s23, s22, 31
	s_lshl_b64 s[22:23], s[22:23], 1
	v_lshlrev_b32_e32 v1, 2, v0
	s_add_u32 s12, s20, s22
	s_addc_u32 s15, s21, s23
	s_ashr_i32 s17, s16, 31
	s_lshl_b64 s[20:21], s[16:17], 1
	s_add_u32 s20, s12, s20
	s_addc_u32 s21, s15, s21
	global_load_dword v1, v1, s[20:21]
	v_and_b32_e32 v2, 0x3fc, v0
	v_mad_u32_u24 v2, v4, 40, v2
	s_waitcnt vmcnt(0)
	ds_write_b32 v2, v1
.LBB83_4:
	s_or_b64 exec, exec, s[2:3]
	s_waitcnt lgkmcnt(0)
	s_add_i32 s3, s33, 15
	s_ashr_i32 s12, s3, 31
	s_lshr_b32 s12, s12, 28
	s_add_i32 s3, s3, s12
	s_ashr_i32 s17, s3, 4
	s_xor_b32 s3, s6, s7
	s_mul_i32 s6, s19, s11
	s_sub_i32 s6, s18, s6
	s_add_i32 s7, s19, 1
	s_sub_i32 s12, s6, s11
	s_load_dwordx2 s[20:21], s[0:1], 0x28
	s_load_dword s2, s[0:1], 0x38
	s_cmp_ge_u32 s6, s11
	s_cselect_b32 s7, s7, s19
	s_cselect_b32 s6, s12, s6
	s_add_i32 s12, s7, 1
	s_cmp_ge_u32 s6, s11
	s_cselect_b32 s6, s12, s7
	v_lshrrev_b32_e32 v1, 6, v0
	s_xor_b32 s6, s6, s3
	s_waitcnt lgkmcnt(0)
	s_mul_i32 s22, s10, s2
	s_sub_i32 s12, s6, s3
	s_ashr_i32 s23, s22, 31
	v_cmp_gt_i32_e64 s[6:7], s17, v1
	v_cmp_le_i32_e32 vcc, s17, v1
	v_mbcnt_lo_u32_b32 v13, -1, 0
	s_barrier
	s_waitcnt lgkmcnt(0)
                                        ; implicit-def: $sgpr15
                                        ; implicit-def: $vgpr6
                                        ; implicit-def: $vgpr8
	s_and_saveexec_b64 s[2:3], vcc
	s_xor_b64 s[2:3], exec, s[2:3]
; %bb.5:
	v_mbcnt_hi_u32_b32 v6, -1, v13
	v_and_b32_e32 v2, 64, v6
	v_add_u32_e32 v8, 64, v2
	s_mov_b32 s15, 0xff7fffff
                                        ; implicit-def: $vgpr4
                                        ; implicit-def: $vgpr13
; %bb.6:
	s_or_saveexec_b64 s[26:27], s[2:3]
	s_load_dwordx2 s[18:19], s[0:1], 0x0
	s_load_dwordx2 s[24:25], s[0:1], 0x18
	s_load_dword s11, s[0:1], 0x88
	v_mov_b32_e32 v9, s15
	s_mul_i32 s14, s12, s14
	v_lshrrev_b32_e32 v7, 4, v0
	s_xor_b64 exec, exec, s[26:27]
	s_cbranch_execz .LBB83_12
; %bb.7:
	s_load_dwordx2 s[0:1], s[0:1], 0x10
	s_ashr_i32 s15, s14, 31
	s_lshl_b64 s[2:3], s[14:15], 1
	v_bfe_u32 v5, v0, 2, 4
	v_lshlrev_b32_e32 v8, 4, v5
	s_waitcnt lgkmcnt(0)
	s_add_u32 s0, s0, s2
	s_addc_u32 s1, s1, s3
	v_mov_b32_e32 v9, 0
	v_lshl_add_u64 v[2:3], s[0:1], 0, v[8:9]
	v_lshlrev_b32_e32 v6, 2, v0
	s_sub_i32 s15, 1, s33
	s_lshl_b64 s[0:1], s[22:23], 2
	v_and_b32_e32 v8, 12, v6
	v_mul_u32_u24_e32 v10, 40, v4
	v_cmp_eq_u32_e32 vcc, 0, v4
	v_lshlrev_b32_e32 v4, 2, v5
	s_add_u32 s0, s20, s0
	v_lshl_add_u64 v[2:3], v[2:3], 0, v[8:9]
	v_lshl_or_b32 v4, v1, 6, v4
	v_and_b32_e32 v8, 60, v7
	s_addc_u32 s1, s21, s1
	v_mbcnt_hi_u32_b32 v6, -1, v13
	v_lshl_or_b32 v11, v1, 4, v5
	v_add_u32_e32 v12, 0xb0, v4
	v_lshl_add_u64 v[4:5], s[0:1], 0, v[8:9]
	v_and_b32_e32 v8, 64, v6
	s_mov_b32 s12, s13
	v_cmp_neq_f32_e64 s[2:3], s8, 0
	s_mov_b64 s[28:29], 0
	v_mov_b32_e32 v9, 0xff7fffff
	v_add_u32_e32 v8, 64, v8
	v_xor_b32_e32 v13, 2, v6
	v_xor_b32_e32 v14, 1, v6
	v_mov_b32_e32 v15, v1
	s_branch .LBB83_9
.LBB83_8:                               ;   in Loop: Header=BB83_9 Depth=1
	s_or_b64 exec, exec, s[30:31]
	v_add_u32_e32 v15, 2, v15
	v_cmp_le_i32_e64 s[0:1], s17, v15
	v_add_u32_e32 v11, 32, v11
	v_add_u32_e32 v12, 0x80, v12
	s_or_b64 s[28:29], s[0:1], s[28:29]
	v_lshl_add_u64 v[4:5], v[4:5], 0, 8
	s_andn2_b64 exec, exec, s[28:29]
	s_cbranch_execz .LBB83_11
.LBB83_9:                               ; =>This Inner Loop Header: Depth=1
	global_load_dword v16, v[4:5], off
	s_waitcnt vmcnt(0) lgkmcnt(0)
	v_mad_i64_i32 v[16:17], s[0:1], v16, s12, 0
	v_lshl_add_u64 v[16:17], v[16:17], 1, v[2:3]
	global_load_dword v18, v[16:17], off
	global_load_dword v19, v[16:17], off offset:256
	global_load_dword v20, v[16:17], off offset:512
	global_load_dword v21, v[16:17], off offset:768
	global_load_dword v22, v[16:17], off offset:1024
	global_load_dword v23, v[16:17], off offset:1280
	global_load_dword v24, v[16:17], off offset:1536
	global_load_dword v25, v[16:17], off offset:1792
	global_load_dword v26, v[16:17], off offset:2048
	global_load_dword v27, v[16:17], off offset:2304
	ds_read_b32 v16, v10
	v_cmp_lt_i32_e64 s[0:1], v13, v8
	s_waitcnt lgkmcnt(0)
	v_lshrrev_b32_e32 v28, 16, v16
	v_and_b32_e32 v16, 0xffff, v16
	;;#ASMSTART
	v_cvt_f32_f16 v16, v16;
	;;#ASMEND
	;;#ASMSTART
	v_cvt_f32_f16 v28, v28;
	;;#ASMEND
	v_cndmask_b32_e64 v17, v6, v13, s[0:1]
	v_lshlrev_b32_e32 v17, 2, v17
	v_cmp_lt_i32_e64 s[0:1], v14, v8
	s_waitcnt vmcnt(9)
	v_lshrrev_b32_e32 v29, 16, v18
	v_and_b32_e32 v18, 0xffff, v18
	;;#ASMSTART
	v_cvt_f32_f16 v18, v18;
	;;#ASMEND
	;;#ASMSTART
	v_cvt_f32_f16 v29, v29;
	;;#ASMEND
	ds_read_b32 v30, v10 offset:4
	s_waitcnt vmcnt(8)
	v_lshrrev_b32_e32 v31, 16, v19
	v_and_b32_e32 v19, 0xffff, v19
	s_waitcnt vmcnt(7)
	v_lshrrev_b32_e32 v32, 16, v20
	v_and_b32_e32 v20, 0xffff, v20
	s_waitcnt lgkmcnt(0)
	v_lshrrev_b32_e32 v33, 16, v30
	v_and_b32_e32 v30, 0xffff, v30
	;;#ASMSTART
	v_cvt_f32_f16 v30, v30;
	;;#ASMEND
	;;#ASMSTART
	v_cvt_f32_f16 v33, v33;
	;;#ASMEND
	;; [unrolled: 3-line block ×4, first 2 shown]
	ds_read_b32 v34, v10 offset:8
	s_waitcnt vmcnt(6)
	v_lshrrev_b32_e32 v35, 16, v21
	v_and_b32_e32 v21, 0xffff, v21
	s_waitcnt vmcnt(5)
	v_lshrrev_b32_e32 v36, 16, v22
	v_and_b32_e32 v22, 0xffff, v22
	s_waitcnt lgkmcnt(0)
	v_lshrrev_b32_e32 v37, 16, v34
	v_and_b32_e32 v34, 0xffff, v34
	;;#ASMSTART
	v_cvt_f32_f16 v34, v34;
	;;#ASMEND
	;;#ASMSTART
	v_cvt_f32_f16 v37, v37;
	;;#ASMEND
	;;#ASMSTART
	v_cvt_f32_f16 v20, v20;
	;;#ASMEND
	;;#ASMSTART
	v_cvt_f32_f16 v32, v32;
	;;#ASMEND
	ds_read_b32 v38, v10 offset:12
	s_waitcnt vmcnt(4)
	v_lshrrev_b32_e32 v39, 16, v23
	v_and_b32_e32 v23, 0xffff, v23
	v_mul_f32_e32 v19, v30, v19
	v_mul_f32_e32 v30, v33, v31
	s_waitcnt lgkmcnt(0)
	v_lshrrev_b32_e32 v41, 16, v38
	v_and_b32_e32 v38, 0xffff, v38
	;;#ASMSTART
	v_cvt_f32_f16 v38, v38;
	;;#ASMEND
	;;#ASMSTART
	v_cvt_f32_f16 v41, v41;
	;;#ASMEND
	;;#ASMSTART
	v_cvt_f32_f16 v21, v21;
	;;#ASMEND
	;;#ASMSTART
	v_cvt_f32_f16 v35, v35;
	;;#ASMEND
	ds_read_b32 v42, v10 offset:16
	s_waitcnt vmcnt(3)
	v_lshrrev_b32_e32 v40, 16, v24
	v_and_b32_e32 v24, 0xffff, v24
	v_fmac_f32_e32 v19, v16, v18
	v_fmac_f32_e32 v30, v28, v29
	s_waitcnt lgkmcnt(0)
	v_lshrrev_b32_e32 v45, 16, v42
	v_and_b32_e32 v42, 0xffff, v42
	;;#ASMSTART
	v_cvt_f32_f16 v42, v42;
	;;#ASMEND
	;;#ASMSTART
	v_cvt_f32_f16 v45, v45;
	;;#ASMEND
	;; [unrolled: 3-line block ×4, first 2 shown]
	ds_read_b32 v46, v10 offset:20
	v_fmac_f32_e32 v19, v34, v20
	v_fmac_f32_e32 v19, v38, v21
	s_waitcnt vmcnt(2)
	v_lshrrev_b32_e32 v43, 16, v25
	v_and_b32_e32 v25, 0xffff, v25
	s_waitcnt lgkmcnt(0)
	v_lshrrev_b32_e32 v31, 16, v46
	v_and_b32_e32 v33, 0xffff, v46
	;;#ASMSTART
	v_cvt_f32_f16 v33, v33;
	;;#ASMEND
	;;#ASMSTART
	v_cvt_f32_f16 v31, v31;
	;;#ASMEND
	;; [unrolled: 3-line block ×4, first 2 shown]
	ds_read_b32 v46, v10 offset:24
	v_fmac_f32_e32 v19, v42, v22
	v_fmac_f32_e32 v30, v37, v32
	;; [unrolled: 1-line block ×4, first 2 shown]
	s_waitcnt lgkmcnt(0)
	v_lshrrev_b32_e32 v16, 16, v46
	v_and_b32_e32 v18, 0xffff, v46
	;;#ASMSTART
	v_cvt_f32_f16 v18, v18;
	;;#ASMEND
	;;#ASMSTART
	v_cvt_f32_f16 v16, v16;
	;;#ASMEND
	;; [unrolled: 3-line block ×4, first 2 shown]
	ds_read_b32 v28, v10 offset:28
	v_fmac_f32_e32 v19, v33, v23
	v_fmac_f32_e32 v30, v31, v39
	;; [unrolled: 1-line block ×4, first 2 shown]
	s_waitcnt lgkmcnt(0)
	v_lshrrev_b32_e32 v21, 16, v28
	v_and_b32_e32 v22, 0xffff, v28
	;;#ASMSTART
	v_cvt_f32_f16 v22, v22;
	;;#ASMEND
	;;#ASMSTART
	v_cvt_f32_f16 v21, v21;
	;;#ASMEND
	;; [unrolled: 3-line block ×4, first 2 shown]
	ds_read_b32 v29, v10 offset:32
	s_waitcnt vmcnt(1)
	v_lshrrev_b32_e32 v44, 16, v26
	v_and_b32_e32 v26, 0xffff, v26
	v_fmac_f32_e32 v19, v22, v25
	v_fmac_f32_e32 v30, v21, v28
	s_waitcnt lgkmcnt(0)
	v_lshrrev_b32_e32 v16, 16, v29
	v_and_b32_e32 v18, 0xffff, v29
	;;#ASMSTART
	v_cvt_f32_f16 v18, v18;
	;;#ASMEND
	;;#ASMSTART
	v_cvt_f32_f16 v16, v16;
	;;#ASMEND
	;;#ASMSTART
	v_cvt_f32_f16 v20, v26;
	;;#ASMEND
	;;#ASMSTART
	v_cvt_f32_f16 v23, v44;
	;;#ASMEND
	ds_read_b32 v24, v10 offset:36
	v_fmac_f32_e32 v19, v18, v20
	v_fmac_f32_e32 v30, v16, v23
	s_waitcnt vmcnt(0)
	v_lshrrev_b32_e32 v47, 16, v27
	v_and_b32_e32 v27, 0xffff, v27
	s_waitcnt lgkmcnt(0)
	v_lshrrev_b32_e32 v16, 16, v24
	v_and_b32_e32 v18, 0xffff, v24
	;;#ASMSTART
	v_cvt_f32_f16 v18, v18;
	;;#ASMEND
	;;#ASMSTART
	v_cvt_f32_f16 v16, v16;
	;;#ASMEND
	;; [unrolled: 3-line block ×4, first 2 shown]
	s_nop 0
	v_fmac_f32_e32 v19, v18, v20
	v_fmac_f32_e32 v30, v16, v21
	v_add_f32_e32 v16, v19, v30
	ds_bpermute_b32 v17, v17, v16
	v_cndmask_b32_e64 v18, v6, v14, s[0:1]
	s_waitcnt lgkmcnt(0)
	v_add_f32_e32 v16, v16, v17
	v_lshlrev_b32_e32 v17, 2, v18
	ds_bpermute_b32 v17, v17, v16
	s_and_saveexec_b64 s[30:31], vcc
	s_cbranch_execz .LBB83_8
; %bb.10:                               ;   in Loop: Header=BB83_9 Depth=1
	v_add_u32_e32 v18, s15, v11
	v_cvt_f32_i32_e32 v18, v18
	s_waitcnt lgkmcnt(0)
	v_add_f32_e32 v16, v16, v17
	v_cmp_gt_i32_e64 s[0:1], s33, v11
	v_max_f32_e32 v17, v9, v9
	v_mul_f32_e32 v18, s8, v18
	v_cndmask_b32_e64 v18, 0, v18, s[2:3]
	v_fmac_f32_e32 v18, s9, v16
	v_cndmask_b32_e64 v16, 0, v18, s[0:1]
	ds_write_b32 v12, v16
	v_max_f32_e32 v16, v17, v18
	v_cndmask_b32_e64 v9, v9, v16, s[0:1]
	s_branch .LBB83_8
.LBB83_11:
	s_or_b64 exec, exec, s[28:29]
.LBB83_12:
	s_or_b64 exec, exec, s[26:27]
	v_xor_b32_e32 v2, 32, v6
	v_cmp_lt_i32_e32 vcc, v2, v8
	v_xor_b32_e32 v5, 16, v6
	v_max_f32_e32 v4, v9, v9
	v_cndmask_b32_e32 v2, v6, v2, vcc
	v_lshlrev_b32_e32 v2, 2, v2
	ds_bpermute_b32 v3, v2, v9
	v_cmp_lt_i32_e32 vcc, v5, v8
	v_xor_b32_e32 v9, 8, v6
	v_xor_b32_e32 v11, 4, v6
	s_waitcnt lgkmcnt(0)
	v_max_f32_e32 v3, v3, v3
	v_max_f32_e32 v4, v4, v3
	v_cndmask_b32_e32 v3, v6, v5, vcc
	v_lshlrev_b32_e32 v3, 2, v3
	ds_bpermute_b32 v5, v3, v4
	v_cmp_lt_i32_e32 vcc, v9, v8
	s_waitcnt lgkmcnt(0)
	v_max_f32_e32 v5, v5, v5
	v_max_f32_e32 v4, v4, v5
	v_cndmask_b32_e32 v5, v6, v9, vcc
	v_lshlrev_b32_e32 v10, 2, v5
	ds_bpermute_b32 v5, v10, v4
	v_cmp_lt_i32_e32 vcc, v11, v8
	s_waitcnt lgkmcnt(0)
	v_max_f32_e32 v5, v5, v5
	v_max_f32_e32 v9, v4, v5
	v_cndmask_b32_e32 v4, v6, v11, vcc
	v_lshlrev_b32_e32 v11, 2, v4
	ds_bpermute_b32 v12, v11, v9
	v_and_b32_e32 v4, 63, v0
	v_cmp_eq_u32_e32 vcc, 0, v4
	v_lshlrev_b32_e32 v5, 2, v1
	s_and_saveexec_b64 s[0:1], vcc
	s_cbranch_execz .LBB83_14
; %bb.13:
	s_waitcnt lgkmcnt(0)
	v_max_f32_e32 v12, v12, v12
	v_max_f32_e32 v9, v9, v9
	;; [unrolled: 1-line block ×3, first 2 shown]
	ds_write_b32 v5, v9 offset:160
.LBB83_14:
	s_or_b64 exec, exec, s[0:1]
	v_cmp_gt_u32_e64 s[0:1], 2, v4
	s_waitcnt lgkmcnt(0)
	v_mov_b32_e32 v12, 0xff7fffff
	v_lshlrev_b32_e32 v9, 2, v4
	s_barrier
	s_and_saveexec_b64 s[2:3], s[0:1]
	s_cbranch_execz .LBB83_16
; %bb.15:
	ds_read_b32 v12, v9 offset:160
.LBB83_16:
	s_or_b64 exec, exec, s[2:3]
	v_xor_b32_e32 v13, 1, v6
	v_cmp_lt_i32_e64 s[2:3], v13, v8
	v_lshlrev_b32_e32 v14, 2, v6
	s_nop 0
	v_cndmask_b32_e64 v13, v6, v13, s[2:3]
	v_lshlrev_b32_e32 v20, 2, v13
	s_waitcnt lgkmcnt(0)
	ds_bpermute_b32 v13, v20, v12
	v_max_f32_e32 v12, v12, v12
	s_lshl_b32 s2, s17, 4
	s_min_i32 s12, s2, s33
	v_cmp_gt_i32_e64 s[2:3], s12, v0
	s_waitcnt lgkmcnt(0)
	v_max_f32_e32 v13, v13, v13
	v_max_f32_e32 v13, v12, v13
	v_and_b32_e32 v12, 0xffffff00, v14
	ds_bpermute_b32 v14, v12, v13
	v_mov_b32_e32 v13, 0
	s_and_saveexec_b64 s[26:27], s[2:3]
	s_cbranch_execz .LBB83_20
; %bb.17:
	v_mov_b32_e32 v13, 0xb0
	v_lshl_add_u32 v15, v0, 2, v13
	s_mov_b64 s[28:29], 0
	v_mov_b32_e32 v13, 0
	v_mov_b32_e32 v16, v0
.LBB83_18:                              ; =>This Inner Loop Header: Depth=1
	ds_read_b32 v17, v15
	v_add_u32_e32 v16, 0x80, v16
	v_cmp_le_i32_e64 s[8:9], s12, v16
	s_or_b64 s[28:29], s[8:9], s[28:29]
	s_waitcnt lgkmcnt(0)
	v_sub_f32_e32 v17, v17, v14
	v_mul_f32_e32 v17, 0x3fb8aa3b, v17
	v_exp_f32_e32 v17, v17
	ds_write_b32 v15, v17
	v_add_f32_e32 v13, v13, v17
	v_add_u32_e32 v15, 0x200, v15
	s_andn2_b64 exec, exec, s[28:29]
	s_cbranch_execnz .LBB83_18
; %bb.19:
	s_or_b64 exec, exec, s[28:29]
.LBB83_20:
	s_or_b64 exec, exec, s[26:27]
	ds_bpermute_b32 v2, v2, v13
	s_waitcnt lgkmcnt(0)
	v_add_f32_e32 v2, v13, v2
	ds_bpermute_b32 v3, v3, v2
	s_waitcnt lgkmcnt(0)
	v_add_f32_e32 v2, v2, v3
	ds_bpermute_b32 v3, v10, v2
	v_xor_b32_e32 v10, 2, v6
	v_cmp_lt_i32_e64 s[8:9], v10, v8
	s_waitcnt lgkmcnt(0)
	v_add_f32_e32 v2, v2, v3
	ds_bpermute_b32 v3, v11, v2
	v_cndmask_b32_e64 v6, v6, v10, s[8:9]
	s_waitcnt lgkmcnt(0)
	v_add_f32_e32 v2, v2, v3
	v_lshlrev_b32_e32 v3, 2, v6
	ds_bpermute_b32 v3, v3, v2
	s_waitcnt lgkmcnt(0)
	v_add_f32_e32 v2, v2, v3
	ds_bpermute_b32 v3, v20, v2
	s_waitcnt lgkmcnt(0)
	v_add_f32_e32 v2, v2, v3
	s_and_saveexec_b64 s[8:9], vcc
	s_cbranch_execz .LBB83_22
; %bb.21:
	ds_write_b32 v5, v2 offset:168
.LBB83_22:
	s_or_b64 exec, exec, s[8:9]
	s_waitcnt lgkmcnt(0)
	s_barrier
	s_and_saveexec_b64 s[8:9], s[0:1]
	s_cbranch_execz .LBB83_24
; %bb.23:
	ds_read_b32 v2, v9 offset:168
.LBB83_24:
	s_or_b64 exec, exec, s[8:9]
	s_waitcnt lgkmcnt(0)
	ds_bpermute_b32 v3, v20, v2
	s_waitcnt lgkmcnt(0)
	v_add_f32_e32 v2, v2, v3
	ds_bpermute_b32 v2, v12, v2
	s_and_saveexec_b64 s[0:1], s[2:3]
	s_cbranch_execz .LBB83_37
; %bb.25:
	s_waitcnt lgkmcnt(0)
	v_add_f32_e32 v2, 0x358637bd, v2
	v_div_scale_f32 v3, s[2:3], v2, v2, 1.0
	v_rcp_f32_e32 v5, v3
	v_div_scale_f32 v6, vcc, 1.0, v2, 1.0
	s_movk_i32 s2, 0x7f
	v_fma_f32 v8, -v3, v5, 1.0
	v_fmac_f32_e32 v5, v8, v5
	v_mul_f32_e32 v8, v6, v5
	v_fma_f32 v9, -v3, v8, v6
	v_fmac_f32_e32 v8, v9, v5
	v_fma_f32 v3, -v3, v8, v6
	v_div_fmas_f32 v3, v3, v5, v8
	v_xad_u32 v5, v0, -1, s12
	v_div_fixup_f32 v2, v3, v2, 1.0
	v_cmp_lt_u32_e32 vcc, s2, v5
	s_mov_b64 s[8:9], -1
	v_mov_b32_e32 v3, v0
	s_and_saveexec_b64 s[2:3], vcc
	s_cbranch_execz .LBB83_34
; %bb.26:
	v_lshrrev_b32_e32 v5, 7, v5
	v_add_u32_e32 v8, -1, v5
	v_lshrrev_b32_e32 v6, 1, v8
	v_mov_b32_e32 v3, v2
	v_add_u32_e32 v6, 1, v6
	v_cmp_lt_u32_e32 vcc, 13, v8
	v_mov_b32_e32 v10, 0
	s_and_saveexec_b64 s[8:9], vcc
	s_cbranch_execz .LBB83_30
; %bb.27:
	v_mov_b32_e32 v9, 0xb0
	v_and_b32_e32 v8, -8, v6
	v_lshl_add_u32 v9, v0, 2, v9
	s_mov_b32 s15, 0
	s_mov_b64 s[26:27], 0
.LBB83_28:                              ; =>This Inner Loop Header: Depth=1
	ds_read2st64_b32 v[10:11], v9 offset1:2
	ds_read2st64_b32 v[12:13], v9 offset0:4 offset1:6
	ds_read2st64_b32 v[14:15], v9 offset0:8 offset1:10
	;; [unrolled: 1-line block ×3, first 2 shown]
	v_add_u32_e32 v8, -8, v8
	s_waitcnt lgkmcnt(3)
	v_pk_mul_f32 v[10:11], v[2:3], v[10:11]
	s_waitcnt lgkmcnt(2)
	v_pk_mul_f32 v[12:13], v[2:3], v[12:13]
	ds_write2st64_b32 v9, v10, v11 offset1:2
	ds_write2st64_b32 v9, v12, v13 offset0:4 offset1:6
	ds_read2st64_b32 v[12:13], v9 offset0:16 offset1:18
	s_waitcnt lgkmcnt(4)
	v_pk_mul_f32 v[10:11], v[2:3], v[14:15]
	ds_write2st64_b32 v9, v10, v11 offset0:8 offset1:10
	s_waitcnt lgkmcnt(4)
	v_pk_mul_f32 v[10:11], v[2:3], v[16:17]
	ds_write2st64_b32 v9, v10, v11 offset0:12 offset1:14
	ds_read2st64_b32 v[10:11], v9 offset0:20 offset1:22
	s_waitcnt lgkmcnt(3)
	v_pk_mul_f32 v[12:13], v[2:3], v[12:13]
	ds_read2st64_b32 v[14:15], v9 offset0:24 offset1:26
	ds_write2st64_b32 v9, v12, v13 offset0:16 offset1:18
	ds_read2st64_b32 v[12:13], v9 offset0:28 offset1:30
	s_waitcnt lgkmcnt(3)
	v_pk_mul_f32 v[10:11], v[2:3], v[10:11]
	ds_write2st64_b32 v9, v10, v11 offset0:20 offset1:22
	s_waitcnt lgkmcnt(3)
	v_pk_mul_f32 v[10:11], v[2:3], v[14:15]
	ds_write2st64_b32 v9, v10, v11 offset0:24 offset1:26
	s_waitcnt lgkmcnt(2)
	v_pk_mul_f32 v[10:11], v[2:3], v[12:13]
	s_add_i32 s15, s15, 16
	v_cmp_eq_u32_e32 vcc, 0, v8
	ds_write2st64_b32 v9, v10, v11 offset0:28 offset1:30
	v_add_u32_e32 v9, 0x2000, v9
	s_or_b64 s[26:27], vcc, s[26:27]
	v_mov_b32_e32 v10, s15
	s_andn2_b64 exec, exec, s[26:27]
	s_cbranch_execnz .LBB83_28
; %bb.29:
	s_or_b64 exec, exec, s[26:27]
.LBB83_30:
	s_or_b64 exec, exec, s[8:9]
	v_and_b32_e32 v6, 7, v6
	v_cmp_ne_u32_e32 vcc, 0, v6
	s_and_saveexec_b64 s[8:9], vcc
	s_cbranch_execz .LBB83_33
; %bb.31:
	v_lshlrev_b32_e32 v8, 9, v10
	v_lshlrev_b32_e32 v9, 2, v0
	s_movk_i32 s15, 0xb0
	v_add3_u32 v8, v8, v9, s15
	s_mov_b64 s[26:27], 0
.LBB83_32:                              ; =>This Inner Loop Header: Depth=1
	ds_read2st64_b32 v[10:11], v8 offset1:2
	v_add_u32_e32 v6, -1, v6
	v_cmp_eq_u32_e32 vcc, 0, v6
	s_or_b64 s[26:27], vcc, s[26:27]
	s_waitcnt lgkmcnt(0)
	v_pk_mul_f32 v[10:11], v[2:3], v[10:11]
	ds_write2st64_b32 v8, v10, v11 offset1:2
	v_add_u32_e32 v8, 0x400, v8
	s_andn2_b64 exec, exec, s[26:27]
	s_cbranch_execnz .LBB83_32
.LBB83_33:
	s_or_b64 exec, exec, s[8:9]
	v_add_u32_e32 v5, 1, v5
	v_and_b32_e32 v6, 0x3fffffe, v5
	v_cmp_ne_u32_e32 vcc, v5, v6
	v_lshl_add_u32 v3, v6, 7, v0
	s_orn2_b64 s[8:9], vcc, exec
.LBB83_34:
	s_or_b64 exec, exec, s[2:3]
	s_and_b64 exec, exec, s[8:9]
	s_cbranch_execz .LBB83_37
; %bb.35:
	v_mov_b32_e32 v5, 0xb0
	v_lshl_add_u32 v5, v3, 2, v5
	s_mov_b64 s[2:3], 0
.LBB83_36:                              ; =>This Inner Loop Header: Depth=1
	ds_read_b32 v6, v5
	v_add_u32_e32 v3, 0x80, v3
	v_cmp_le_i32_e32 vcc, s12, v3
	s_or_b64 s[2:3], vcc, s[2:3]
	s_waitcnt lgkmcnt(0)
	v_mul_f32_e32 v6, v2, v6
	ds_write_b32 v5, v6
	v_add_u32_e32 v5, 0x200, v5
	s_andn2_b64 exec, exec, s[2:3]
	s_cbranch_execnz .LBB83_36
.LBB83_37:
	s_or_b64 exec, exec, s[0:1]
	v_mov_b32_e32 v6, 0
	v_lshrrev_b32_e32 v22, 1, v4
	v_and_b32_e32 v21, 1, v0
	v_mov_b32_e32 v11, v6
	v_mov_b32_e32 v10, v6
	s_waitcnt lgkmcnt(0)
	s_barrier
	s_and_saveexec_b64 s[8:9], s[6:7]
	s_cbranch_execz .LBB83_49
; %bb.38:
	s_ashr_i32 s15, s14, 31
	s_lshl_b64 s[0:1], s[14:15], 1
	v_lshlrev_b32_e32 v2, 3, v0
	s_add_u32 s6, s24, s0
	v_or_b32_e32 v4, 64, v22
	s_movk_i32 s0, 0x50
	v_and_b32_e32 v3, 8, v2
	s_addc_u32 s7, s25, s1
	s_add_i32 s24, s17, -1
	v_cmp_gt_u32_e32 vcc, s0, v4
	s_lshl_b64 s[0:1], s[22:23], 2
	v_lshl_or_b32 v2, v22, 4, v3
	v_lshl_or_b32 v4, v4, 4, v3
	;; [unrolled: 1-line block ×3, first 2 shown]
	v_lshlrev_b32_e32 v3, 5, v21
	s_add_u32 s0, s20, s0
	v_mov_b32_e32 v9, 0
	v_lshl_or_b32 v3, v1, 6, v3
	v_and_b32_e32 v8, 60, v7
	s_addc_u32 s1, s21, s1
	s_mov_b32 s26, s13
	s_mov_b32 s25, s33
	;; [unrolled: 1-line block ×8, first 2 shown]
	v_add_u32_e32 v24, 0xb0, v3
	v_lshl_add_u64 v[12:13], s[0:1], 0, v[8:9]
	s_mov_b64 s[12:13], 0
	v_lshlrev_b32_e32 v14, 1, v2
	v_mov_b32_e32 v15, v9
	s_mov_b32 s20, 0x5040100
	v_lshlrev_b32_e32 v8, 1, v4
	v_mov_b32_e32 v10, v9
	v_mov_b32_e32 v11, v9
	;; [unrolled: 1-line block ×3, first 2 shown]
	s_branch .LBB83_41
.LBB83_39:                              ;   in Loop: Header=BB83_41 Depth=1
	s_or_b64 exec, exec, s[14:15]
	s_waitcnt vmcnt(0)
	;;#ASMSTART
	v_pk_mul_f16 v2, v27, v2;

	;;#ASMEND
	;;#ASMSTART
	v_pk_mul_f16 v3, v26, v3;

	;;#ASMEND
	;; [unrolled: 4-line block ×4, first 2 shown]
	s_nop 0
	;;#ASMSTART
	v_pk_add_f16 v2, v2, v3;

	;;#ASMEND
	s_nop 0
	;;#ASMSTART
	v_pk_add_f16 v2, v2, v4;

	;;#ASMEND
	s_nop 0
	;;#ASMSTART
	v_pk_add_f16 v2, v2, v5;

	;;#ASMEND
	s_nop 0
	v_lshrrev_b32_e32 v3, 16, v2
	v_and_b32_e32 v2, 0xffff, v2
	;;#ASMSTART
	v_cvt_f32_f16 v2, v2;
	;;#ASMEND
	;;#ASMSTART
	v_cvt_f32_f16 v3, v3;
	;;#ASMEND
	s_nop 0
	v_add_f32_e32 v2, v2, v3
	v_add_f32_e32 v6, v6, v2
.LBB83_40:                              ;   in Loop: Header=BB83_41 Depth=1
	s_or_b64 exec, exec, s[2:3]
	v_add_u32_e32 v1, 2, v1
	v_cmp_le_i32_e64 s[0:1], s17, v1
	v_add_u32_e32 v23, 32, v23
	v_add_u32_e32 v24, 0x80, v24
	s_or_b64 s[12:13], s[0:1], s[12:13]
	v_lshl_add_u64 v[12:13], v[12:13], 0, 8
	s_andn2_b64 exec, exec, s[12:13]
	s_cbranch_execz .LBB83_48
.LBB83_41:                              ; =>This Inner Loop Header: Depth=1
	global_load_dword v27, v[12:13], off
	ds_read2_b64 v[2:5], v24 offset1:1
	ds_read2_b64 v[16:19], v24 offset0:2 offset1:3
	s_waitcnt lgkmcnt(1)
	;;#ASMSTART
	v_cvt_f16_f32 v7, v2;

	;;#ASMEND
	;;#ASMSTART
	v_cvt_f16_f32 v25, v3;

	;;#ASMEND
	;; [unrolled: 4-line block ×4, first 2 shown]
	s_waitcnt lgkmcnt(0)
	;;#ASMSTART
	v_cvt_f16_f32 v29, v16;

	;;#ASMEND
	;;#ASMSTART
	v_cvt_f16_f32 v30, v17;

	;;#ASMEND
	;; [unrolled: 4-line block ×4, first 2 shown]
	s_waitcnt vmcnt(0)
	v_mad_i64_i32 v[2:3], s[0:1], v27, s26, 0
	v_lshl_add_u64 v[16:17], v[2:3], 1, s[6:7]
	v_lshl_add_u64 v[18:19], v[16:17], 0, v[14:15]
	global_load_dwordx4 v[2:5], v[18:19], off
	v_cmp_eq_u32_e64 s[0:1], s24, v1
	s_and_saveexec_b64 s[14:15], s[0:1]
	s_cbranch_execz .LBB83_43
; %bb.42:                               ;   in Loop: Header=BB83_41 Depth=1
	v_or_b32_e32 v37, 7, v23
	v_or_b32_e32 v38, 6, v23
	s_waitcnt vmcnt(0)
	v_lshrrev_b32_e32 v39, 16, v5
	v_cmp_gt_i32_e64 s[2:3], s34, v37
	v_or_b32_e32 v35, 5, v23
	v_or_b32_e32 v36, 4, v23
	v_cndmask_b32_e64 v37, 0, v39, s[2:3]
	v_cmp_gt_i32_e64 s[2:3], s31, v38
	v_or_b32_e32 v33, 3, v23
	v_or_b32_e32 v34, 2, v23
	v_cndmask_b32_e64 v5, 0, v5, s[2:3]
	v_perm_b32 v5, v37, v5, s20
	v_lshrrev_b32_e32 v37, 16, v4
	v_cmp_gt_i32_e64 s[2:3], s30, v35
	v_add_u32_e32 v27, 1, v23
	s_nop 0
	v_cndmask_b32_e64 v35, 0, v37, s[2:3]
	v_cmp_gt_i32_e64 s[2:3], s29, v36
	s_nop 1
	v_cndmask_b32_e64 v4, 0, v4, s[2:3]
	v_perm_b32 v4, v35, v4, s20
	v_lshrrev_b32_e32 v35, 16, v3
	v_cmp_gt_i32_e64 s[2:3], s28, v33
	s_nop 1
	v_cndmask_b32_e64 v33, 0, v35, s[2:3]
	v_cmp_gt_i32_e64 s[2:3], s27, v34
	s_nop 1
	v_cndmask_b32_e64 v3, 0, v3, s[2:3]
	v_perm_b32 v3, v33, v3, s20
	v_lshrrev_b32_e32 v33, 16, v2
	v_cmp_gt_i32_e64 s[2:3], s25, v27
	s_nop 1
	v_cndmask_b32_e64 v27, 0, v33, s[2:3]
	v_cmp_gt_i32_e64 s[2:3], s33, v23
	s_nop 1
	v_cndmask_b32_e64 v2, 0, v2, s[2:3]
	v_perm_b32 v2, v27, v2, s20
.LBB83_43:                              ;   in Loop: Header=BB83_41 Depth=1
	s_or_b64 exec, exec, s[14:15]
	v_and_b32_e32 v7, 0xffff, v7
	v_lshl_or_b32 v27, v25, 16, v7
	v_and_b32_e32 v7, 0xffff, v26
	v_lshl_or_b32 v26, v28, 16, v7
	;; [unrolled: 2-line block ×3, first 2 shown]
	v_and_b32_e32 v7, 0xffff, v31
	s_waitcnt vmcnt(0)
	;;#ASMSTART
	v_pk_mul_f16 v2, v27, v2;

	;;#ASMEND
	v_lshl_or_b32 v7, v32, 16, v7
	;;#ASMSTART
	v_pk_mul_f16 v3, v26, v3;

	;;#ASMEND
	;;#ASMSTART
	v_pk_mul_f16 v4, v25, v4;

	;;#ASMEND
	;; [unrolled: 4-line block ×3, first 2 shown]
	s_nop 0
	;;#ASMSTART
	v_pk_add_f16 v2, v2, v3;

	;;#ASMEND
	s_nop 0
	;;#ASMSTART
	v_pk_add_f16 v2, v2, v4;

	;;#ASMEND
	;; [unrolled: 5-line block ×3, first 2 shown]
	s_nop 0
	v_lshrrev_b32_e32 v3, 16, v2
	v_and_b32_e32 v2, 0xffff, v2
	;;#ASMSTART
	v_cvt_f32_f16 v28, v2;
	;;#ASMEND
	;;#ASMSTART
	v_cvt_f32_f16 v29, v3;
	;;#ASMEND
	global_load_dwordx4 v[2:5], v[18:19], off offset:1024
	s_and_saveexec_b64 s[14:15], s[0:1]
	s_cbranch_execz .LBB83_45
; %bb.44:                               ;   in Loop: Header=BB83_41 Depth=1
	v_or_b32_e32 v33, 7, v23
	v_or_b32_e32 v34, 6, v23
	s_waitcnt vmcnt(0)
	v_lshrrev_b32_e32 v35, 16, v5
	v_cmp_gt_i32_e64 s[2:3], s34, v33
	v_or_b32_e32 v31, 5, v23
	v_or_b32_e32 v32, 4, v23
	v_cndmask_b32_e64 v33, 0, v35, s[2:3]
	v_cmp_gt_i32_e64 s[2:3], s31, v34
	v_or_b32_e32 v19, 3, v23
	v_or_b32_e32 v30, 2, v23
	v_cndmask_b32_e64 v5, 0, v5, s[2:3]
	v_perm_b32 v5, v33, v5, s20
	v_lshrrev_b32_e32 v33, 16, v4
	v_cmp_gt_i32_e64 s[2:3], s30, v31
	v_add_u32_e32 v18, 1, v23
	s_nop 0
	v_cndmask_b32_e64 v31, 0, v33, s[2:3]
	v_cmp_gt_i32_e64 s[2:3], s29, v32
	s_nop 1
	v_cndmask_b32_e64 v4, 0, v4, s[2:3]
	v_perm_b32 v4, v31, v4, s20
	v_lshrrev_b32_e32 v31, 16, v3
	v_cmp_gt_i32_e64 s[2:3], s28, v19
	s_nop 1
	v_cndmask_b32_e64 v19, 0, v31, s[2:3]
	v_cmp_gt_i32_e64 s[2:3], s27, v30
	s_nop 1
	v_cndmask_b32_e64 v3, 0, v3, s[2:3]
	v_perm_b32 v3, v19, v3, s20
	v_lshrrev_b32_e32 v19, 16, v2
	v_cmp_gt_i32_e64 s[2:3], s25, v18
	s_nop 1
	v_cndmask_b32_e64 v18, 0, v19, s[2:3]
	v_cmp_gt_i32_e64 s[2:3], s33, v23
	s_nop 1
	v_cndmask_b32_e64 v2, 0, v2, s[2:3]
	v_perm_b32 v2, v18, v2, s20
.LBB83_45:                              ;   in Loop: Header=BB83_41 Depth=1
	s_or_b64 exec, exec, s[14:15]
	s_waitcnt vmcnt(0)
	;;#ASMSTART
	v_pk_mul_f16 v2, v27, v2;

	;;#ASMEND
	;;#ASMSTART
	v_pk_mul_f16 v3, v26, v3;

	;;#ASMEND
	;;#ASMSTART
	v_pk_mul_f16 v4, v25, v4;

	;;#ASMEND
	;;#ASMSTART
	v_pk_mul_f16 v5, v7, v5;

	;;#ASMEND
	v_add_f32_e32 v18, v28, v29
	;;#ASMSTART
	v_pk_add_f16 v2, v2, v3;

	;;#ASMEND
	v_add_f32_e32 v10, v10, v18
	;;#ASMSTART
	v_pk_add_f16 v2, v2, v4;

	;;#ASMEND
	s_nop 0
	;;#ASMSTART
	v_pk_add_f16 v2, v2, v5;

	;;#ASMEND
	s_nop 0
	v_lshrrev_b32_e32 v3, 16, v2
	v_and_b32_e32 v2, 0xffff, v2
	;;#ASMSTART
	v_cvt_f32_f16 v2, v2;
	;;#ASMEND
	;;#ASMSTART
	v_cvt_f32_f16 v3, v3;
	;;#ASMEND
	s_nop 0
	v_add_f32_e32 v2, v2, v3
	v_add_f32_e32 v11, v11, v2
	s_and_saveexec_b64 s[2:3], vcc
	s_cbranch_execz .LBB83_40
; %bb.46:                               ;   in Loop: Header=BB83_41 Depth=1
	v_lshl_add_u64 v[2:3], v[16:17], 0, v[8:9]
	global_load_dwordx4 v[2:5], v[2:3], off
	s_and_saveexec_b64 s[14:15], s[0:1]
	s_cbranch_execz .LBB83_39
; %bb.47:                               ;   in Loop: Header=BB83_41 Depth=1
	v_or_b32_e32 v29, 7, v23
	v_or_b32_e32 v30, 6, v23
	s_waitcnt vmcnt(0)
	v_lshrrev_b32_e32 v31, 16, v5
	v_cmp_gt_i32_e64 s[0:1], s34, v29
	v_or_b32_e32 v19, 5, v23
	v_or_b32_e32 v28, 4, v23
	v_cndmask_b32_e64 v29, 0, v31, s[0:1]
	v_cmp_gt_i32_e64 s[0:1], s31, v30
	v_or_b32_e32 v17, 3, v23
	v_or_b32_e32 v18, 2, v23
	v_cndmask_b32_e64 v5, 0, v5, s[0:1]
	v_perm_b32 v5, v29, v5, s20
	v_lshrrev_b32_e32 v29, 16, v4
	v_cmp_gt_i32_e64 s[0:1], s30, v19
	v_add_u32_e32 v16, 1, v23
	s_nop 0
	v_cndmask_b32_e64 v19, 0, v29, s[0:1]
	v_cmp_gt_i32_e64 s[0:1], s29, v28
	s_nop 1
	v_cndmask_b32_e64 v4, 0, v4, s[0:1]
	v_perm_b32 v4, v19, v4, s20
	v_lshrrev_b32_e32 v19, 16, v3
	v_cmp_gt_i32_e64 s[0:1], s28, v17
	s_nop 1
	v_cndmask_b32_e64 v17, 0, v19, s[0:1]
	v_cmp_gt_i32_e64 s[0:1], s27, v18
	s_nop 1
	v_cndmask_b32_e64 v3, 0, v3, s[0:1]
	v_perm_b32 v3, v17, v3, s20
	v_lshrrev_b32_e32 v17, 16, v2
	v_cmp_gt_i32_e64 s[0:1], s25, v16
	s_nop 1
	v_cndmask_b32_e64 v16, 0, v17, s[0:1]
	v_cmp_gt_i32_e64 s[0:1], s33, v23
	s_nop 1
	v_cndmask_b32_e64 v2, 0, v2, s[0:1]
	v_perm_b32 v2, v16, v2, s20
	s_branch .LBB83_39
.LBB83_48:
	s_or_b64 exec, exec, s[12:13]
.LBB83_49:
	s_or_b64 exec, exec, s[8:9]
	ds_bpermute_b32 v2, v20, v10
	ds_bpermute_b32 v3, v20, v11
	;; [unrolled: 1-line block ×3, first 2 shown]
	v_and_b32_e32 v4, 0x3c0, v0
	v_cmp_eq_u32_e32 vcc, 64, v4
	s_waitcnt lgkmcnt(0)
	v_pk_add_f32 v[2:3], v[10:11], v[2:3]
	v_add_f32_e32 v1, v6, v1
	s_barrier
	s_and_saveexec_b64 s[2:3], vcc
	s_cbranch_execz .LBB83_54
; %bb.50:
	v_cmp_eq_u32_e32 vcc, 0, v21
	s_and_saveexec_b64 s[0:1], vcc
	s_cbranch_execz .LBB83_52
; %bb.51:
	v_mov_b32_e32 v4, 0xb0
	v_lshl_add_u32 v4, v22, 2, v4
	ds_write2_b32 v4, v2, v3 offset1:32
.LBB83_52:
	s_or_b64 exec, exec, s[0:1]
	v_or_b32_e32 v4, 64, v22
	s_movk_i32 s0, 0x50
	v_cmp_gt_u32_e64 s[0:1], s0, v4
	s_and_b64 s[0:1], vcc, s[0:1]
	s_and_b64 exec, exec, s[0:1]
	s_cbranch_execz .LBB83_54
; %bb.53:
	v_mov_b32_e32 v4, 0xb0
	v_lshl_add_u32 v4, v22, 2, v4
	ds_write_b32 v4, v1 offset:256
.LBB83_54:
	s_or_b64 exec, exec, s[2:3]
	v_cmp_gt_u32_e32 vcc, 64, v0
	v_lshrrev_b32_e32 v0, 1, v0
	s_waitcnt lgkmcnt(0)
	s_barrier
	s_and_saveexec_b64 s[6:7], vcc
	s_cbranch_execz .LBB83_62
; %bb.55:
	v_cmp_eq_u32_e64 s[0:1], 0, v21
	s_and_saveexec_b64 s[2:3], s[0:1]
	s_cbranch_execz .LBB83_57
; %bb.56:
	v_mov_b32_e32 v4, 0xb0
	v_lshl_add_u32 v4, v0, 2, v4
	ds_read_b32 v4, v4
	s_waitcnt lgkmcnt(0)
	v_add_f32_e32 v2, v2, v4
.LBB83_57:
	s_or_b64 exec, exec, s[2:3]
	s_and_saveexec_b64 s[2:3], s[0:1]
	s_cbranch_execz .LBB83_59
; %bb.58:
	v_mov_b32_e32 v4, 0xb0
	v_lshl_add_u32 v4, v0, 2, v4
	ds_read_b32 v4, v4 offset:128
	s_waitcnt lgkmcnt(0)
	v_add_f32_e32 v3, v3, v4
.LBB83_59:
	s_or_b64 exec, exec, s[2:3]
	v_or_b32_e32 v4, 64, v0
	s_movk_i32 s2, 0x50
	v_cmp_gt_u32_e64 s[2:3], s2, v4
	s_and_b64 s[2:3], s[0:1], s[2:3]
	s_and_saveexec_b64 s[0:1], s[2:3]
	s_cbranch_execz .LBB83_61
; %bb.60:
	v_mov_b32_e32 v4, 0xb0
	v_lshl_add_u32 v4, v0, 2, v4
	ds_read_b32 v4, v4 offset:256
	s_waitcnt lgkmcnt(0)
	v_add_f32_e32 v1, v1, v4
.LBB83_61:
	s_or_b64 exec, exec, s[0:1]
.LBB83_62:
	s_or_b64 exec, exec, s[6:7]
	s_barrier
	s_and_saveexec_b64 s[0:1], vcc
	s_cbranch_execz .LBB83_67
; %bb.63:
	s_mul_i32 s0, s10, s11
	s_mul_i32 s0, s0, s5
	s_mulk_i32 s0, 0x50
	s_ashr_i32 s1, s0, 31
	s_lshl_b64 s[0:1], s[0:1], 1
	s_add_u32 s2, s18, s0
	s_mul_i32 s0, s11, s16
	s_addc_u32 s3, s19, s1
	s_ashr_i32 s1, s0, 31
	s_lshl_b64 s[0:1], s[0:1], 1
	s_add_u32 s2, s2, s0
	s_mul_i32 s0, s4, 0x50
	s_addc_u32 s3, s3, s1
	s_ashr_i32 s1, s0, 31
	s_lshl_b64 s[0:1], s[0:1], 1
	s_add_u32 s2, s2, s0
	s_movk_i32 s5, 0x50
	s_addc_u32 s3, s3, s1
	v_cmp_eq_u32_e32 vcc, 0, v21
	v_lshlrev_b32_e32 v4, 1, v0
	s_and_saveexec_b64 s[0:1], vcc
	s_cbranch_execz .LBB83_65
; %bb.64:
	;;#ASMSTART
	v_cvt_f16_f32 v2, v2;

	;;#ASMEND
	global_store_short v4, v2, s[2:3]
	;;#ASMSTART
	v_cvt_f16_f32 v2, v3;

	;;#ASMEND
	global_store_short v4, v2, s[2:3] offset:64
.LBB83_65:
	s_or_b64 exec, exec, s[0:1]
	v_or_b32_e32 v0, 64, v0
	v_cmp_gt_u32_e64 s[0:1], s5, v0
	s_and_b64 s[0:1], vcc, s[0:1]
	s_and_b64 exec, exec, s[0:1]
	s_cbranch_execz .LBB83_67
; %bb.66:
	;;#ASMSTART
	v_cvt_f16_f32 v0, v1;

	;;#ASMEND
	global_store_short v4, v0, s[2:3] offset:128
.LBB83_67:
	s_endpgm
	.section	.rodata,"a",@progbits
	.p2align	6, 0x0
	.amdhsa_kernel _ZN4vllm25paged_attention_v1_kernelIttLi80ELi16ELi128ELNS_18Fp8KVCacheDataTypeE0ELb0EEEvPT_PKS2_PKT0_S8_ifPKiSA_iPKfiiiSC_SC_iiiii
		.amdhsa_group_segment_fixed_size 176
		.amdhsa_private_segment_fixed_size 0
		.amdhsa_kernarg_size 384
		.amdhsa_user_sgpr_count 2
		.amdhsa_user_sgpr_dispatch_ptr 0
		.amdhsa_user_sgpr_queue_ptr 0
		.amdhsa_user_sgpr_kernarg_segment_ptr 1
		.amdhsa_user_sgpr_dispatch_id 0
		.amdhsa_user_sgpr_kernarg_preload_length 0
		.amdhsa_user_sgpr_kernarg_preload_offset 0
		.amdhsa_user_sgpr_private_segment_size 0
		.amdhsa_uses_dynamic_stack 0
		.amdhsa_enable_private_segment 0
		.amdhsa_system_sgpr_workgroup_id_x 1
		.amdhsa_system_sgpr_workgroup_id_y 1
		.amdhsa_system_sgpr_workgroup_id_z 1
		.amdhsa_system_sgpr_workgroup_info 0
		.amdhsa_system_vgpr_workitem_id 0
		.amdhsa_next_free_vgpr 48
		.amdhsa_next_free_sgpr 35
		.amdhsa_accum_offset 48
		.amdhsa_reserve_vcc 1
		.amdhsa_float_round_mode_32 0
		.amdhsa_float_round_mode_16_64 0
		.amdhsa_float_denorm_mode_32 3
		.amdhsa_float_denorm_mode_16_64 3
		.amdhsa_dx10_clamp 1
		.amdhsa_ieee_mode 1
		.amdhsa_fp16_overflow 0
		.amdhsa_tg_split 0
		.amdhsa_exception_fp_ieee_invalid_op 0
		.amdhsa_exception_fp_denorm_src 0
		.amdhsa_exception_fp_ieee_div_zero 0
		.amdhsa_exception_fp_ieee_overflow 0
		.amdhsa_exception_fp_ieee_underflow 0
		.amdhsa_exception_fp_ieee_inexact 0
		.amdhsa_exception_int_div_zero 0
	.end_amdhsa_kernel
	.section	.text._ZN4vllm25paged_attention_v1_kernelIttLi80ELi16ELi128ELNS_18Fp8KVCacheDataTypeE0ELb0EEEvPT_PKS2_PKT0_S8_ifPKiSA_iPKfiiiSC_SC_iiiii,"axG",@progbits,_ZN4vllm25paged_attention_v1_kernelIttLi80ELi16ELi128ELNS_18Fp8KVCacheDataTypeE0ELb0EEEvPT_PKS2_PKT0_S8_ifPKiSA_iPKfiiiSC_SC_iiiii,comdat
.Lfunc_end83:
	.size	_ZN4vllm25paged_attention_v1_kernelIttLi80ELi16ELi128ELNS_18Fp8KVCacheDataTypeE0ELb0EEEvPT_PKS2_PKT0_S8_ifPKiSA_iPKfiiiSC_SC_iiiii, .Lfunc_end83-_ZN4vllm25paged_attention_v1_kernelIttLi80ELi16ELi128ELNS_18Fp8KVCacheDataTypeE0ELb0EEEvPT_PKS2_PKT0_S8_ifPKiSA_iPKfiiiSC_SC_iiiii
                                        ; -- End function
	.section	.AMDGPU.csdata,"",@progbits
; Kernel info:
; codeLenInByte = 5368
; NumSgprs: 41
; NumVgprs: 48
; NumAgprs: 0
; TotalNumVgprs: 48
; ScratchSize: 0
; MemoryBound: 0
; FloatMode: 240
; IeeeMode: 1
; LDSByteSize: 176 bytes/workgroup (compile time only)
; SGPRBlocks: 5
; VGPRBlocks: 5
; NumSGPRsForWavesPerEU: 41
; NumVGPRsForWavesPerEU: 48
; AccumOffset: 48
; Occupancy: 8
; WaveLimiterHint : 1
; COMPUTE_PGM_RSRC2:SCRATCH_EN: 0
; COMPUTE_PGM_RSRC2:USER_SGPR: 2
; COMPUTE_PGM_RSRC2:TRAP_HANDLER: 0
; COMPUTE_PGM_RSRC2:TGID_X_EN: 1
; COMPUTE_PGM_RSRC2:TGID_Y_EN: 1
; COMPUTE_PGM_RSRC2:TGID_Z_EN: 1
; COMPUTE_PGM_RSRC2:TIDIG_COMP_CNT: 0
; COMPUTE_PGM_RSRC3_GFX90A:ACCUM_OFFSET: 11
; COMPUTE_PGM_RSRC3_GFX90A:TG_SPLIT: 0
	.section	.text._ZN4vllm25paged_attention_v1_kernelIttLi96ELi16ELi128ELNS_18Fp8KVCacheDataTypeE0ELb0EEEvPT_PKS2_PKT0_S8_ifPKiSA_iPKfiiiSC_SC_iiiii,"axG",@progbits,_ZN4vllm25paged_attention_v1_kernelIttLi96ELi16ELi128ELNS_18Fp8KVCacheDataTypeE0ELb0EEEvPT_PKS2_PKT0_S8_ifPKiSA_iPKfiiiSC_SC_iiiii,comdat
	.protected	_ZN4vllm25paged_attention_v1_kernelIttLi96ELi16ELi128ELNS_18Fp8KVCacheDataTypeE0ELb0EEEvPT_PKS2_PKT0_S8_ifPKiSA_iPKfiiiSC_SC_iiiii ; -- Begin function _ZN4vllm25paged_attention_v1_kernelIttLi96ELi16ELi128ELNS_18Fp8KVCacheDataTypeE0ELb0EEEvPT_PKS2_PKT0_S8_ifPKiSA_iPKfiiiSC_SC_iiiii
	.globl	_ZN4vllm25paged_attention_v1_kernelIttLi96ELi16ELi128ELNS_18Fp8KVCacheDataTypeE0ELb0EEEvPT_PKS2_PKT0_S8_ifPKiSA_iPKfiiiSC_SC_iiiii
	.p2align	8
	.type	_ZN4vllm25paged_attention_v1_kernelIttLi96ELi16ELi128ELNS_18Fp8KVCacheDataTypeE0ELb0EEEvPT_PKS2_PKT0_S8_ifPKiSA_iPKfiiiSC_SC_iiiii,@function
_ZN4vllm25paged_attention_v1_kernelIttLi96ELi16ELi128ELNS_18Fp8KVCacheDataTypeE0ELb0EEEvPT_PKS2_PKT0_S8_ifPKiSA_iPKfiiiSC_SC_iiiii: ; @_ZN4vllm25paged_attention_v1_kernelIttLi96ELi16ELi128ELNS_18Fp8KVCacheDataTypeE0ELb0EEEvPT_PKS2_PKT0_S8_ifPKiSA_iPKfiiiSC_SC_iiiii
; %bb.0:
	s_load_dword s5, s[0:1], 0x80
	s_load_dwordx2 s[6:7], s[0:1], 0x30
	s_load_dwordx2 s[8:9], s[0:1], 0x20
	s_mov_b32 s10, s3
	s_ashr_i32 s11, s3, 31
	s_lshl_b64 s[12:13], s[10:11], 2
	s_waitcnt lgkmcnt(0)
	s_add_u32 s6, s6, s12
	s_addc_u32 s7, s7, s13
	s_abs_i32 s3, s8
	v_cvt_f32_u32_e32 v1, s3
	s_sub_i32 s12, 0, s3
	s_abs_i32 s11, s5
	s_xor_b32 s8, s5, s8
	v_rcp_iflag_f32_e32 v1, v1
	s_ashr_i32 s8, s8, 31
	v_mul_f32_e32 v1, 0x4f7ffffe, v1
	v_cvt_u32_f32_e32 v1, v1
	s_nop 0
	v_readfirstlane_b32 s13, v1
	s_mul_i32 s12, s12, s13
	s_mul_hi_u32 s12, s13, s12
	s_add_i32 s13, s13, s12
	s_mul_hi_u32 s12, s11, s13
	s_mul_i32 s13, s12, s3
	s_sub_i32 s11, s11, s13
	s_add_i32 s13, s12, 1
	s_sub_i32 s14, s11, s3
	s_cmp_ge_u32 s11, s3
	s_cselect_b32 s12, s13, s12
	s_cselect_b32 s11, s14, s11
	s_add_i32 s13, s12, 1
	s_cmp_ge_u32 s11, s3
	s_cselect_b32 s3, s13, s12
	s_xor_b32 s3, s3, s8
	s_sub_i32 s16, s3, s8
	s_abs_i32 s11, s16
	v_cvt_f32_u32_e32 v1, s11
	s_load_dwordx2 s[12:13], s[0:1], 0x40
	s_sub_i32 s3, 0, s11
	s_abs_i32 s18, s2
	v_rcp_iflag_f32_e32 v1, v1
	s_mov_b32 s8, 0
	v_mul_f32_e32 v1, 0x4f7ffffe, v1
	v_cvt_u32_f32_e32 v1, v1
	s_nop 0
	v_readfirstlane_b32 s14, v1
	s_mul_i32 s3, s3, s14
	s_mul_hi_u32 s3, s14, s3
	s_add_i32 s14, s14, s3
	s_waitcnt lgkmcnt(0)
	s_cmp_eq_u64 s[12:13], 0
	s_mul_hi_u32 s19, s18, s14
	s_cbranch_scc1 .LBB84_2
; %bb.1:
	s_ashr_i32 s3, s2, 31
	s_lshl_b64 s[14:15], s[2:3], 2
	s_add_u32 s12, s12, s14
	s_addc_u32 s13, s13, s15
	s_load_dword s8, s[12:13], 0x0
.LBB84_2:
	s_load_dword s33, s[6:7], 0x0
	s_nop 0
	s_load_dwordx4 s[12:15], s[0:1], 0x48
	s_ashr_i32 s6, s2, 31
	s_ashr_i32 s7, s16, 31
	v_and_b32_e32 v4, 3, v0
	s_mul_i32 s16, s2, 0x60
	v_cmp_gt_u32_e32 vcc, 48, v0
	s_and_saveexec_b64 s[2:3], vcc
	s_cbranch_execz .LBB84_4
; %bb.3:
	s_load_dwordx2 s[20:21], s[0:1], 0x8
	s_waitcnt lgkmcnt(0)
	s_mul_i32 s22, s10, s12
	s_ashr_i32 s23, s22, 31
	s_lshl_b64 s[22:23], s[22:23], 1
	v_lshlrev_b32_e32 v1, 2, v0
	s_add_u32 s12, s20, s22
	s_addc_u32 s15, s21, s23
	s_ashr_i32 s17, s16, 31
	s_lshl_b64 s[20:21], s[16:17], 1
	s_add_u32 s20, s12, s20
	s_addc_u32 s21, s15, s21
	global_load_dword v1, v1, s[20:21]
	v_and_b32_e32 v2, 0x3fc, v0
	v_mad_u32_u24 v2, v4, 48, v2
	s_waitcnt vmcnt(0)
	ds_write_b32 v2, v1
.LBB84_4:
	s_or_b64 exec, exec, s[2:3]
	s_waitcnt lgkmcnt(0)
	s_add_i32 s3, s33, 15
	s_ashr_i32 s12, s3, 31
	s_lshr_b32 s12, s12, 28
	s_add_i32 s3, s3, s12
	s_ashr_i32 s12, s3, 4
	s_xor_b32 s3, s6, s7
	s_mul_i32 s6, s19, s11
	s_sub_i32 s6, s18, s6
	s_add_i32 s7, s19, 1
	s_sub_i32 s15, s6, s11
	s_load_dwordx2 s[20:21], s[0:1], 0x28
	s_load_dword s2, s[0:1], 0x38
	s_cmp_ge_u32 s6, s11
	s_cselect_b32 s7, s7, s19
	s_cselect_b32 s6, s15, s6
	s_add_i32 s15, s7, 1
	s_cmp_ge_u32 s6, s11
	s_cselect_b32 s6, s15, s7
	v_lshrrev_b32_e32 v1, 6, v0
	s_xor_b32 s6, s6, s3
	s_waitcnt lgkmcnt(0)
	s_mul_i32 s22, s10, s2
	s_sub_i32 s15, s6, s3
	s_ashr_i32 s23, s22, 31
	v_cmp_gt_i32_e64 s[6:7], s12, v1
	v_cmp_le_i32_e32 vcc, s12, v1
	v_mbcnt_lo_u32_b32 v13, -1, 0
	s_barrier
	s_waitcnt lgkmcnt(0)
                                        ; implicit-def: $sgpr17
                                        ; implicit-def: $vgpr6
                                        ; implicit-def: $vgpr7
	s_and_saveexec_b64 s[2:3], vcc
	s_xor_b64 s[2:3], exec, s[2:3]
; %bb.5:
	v_mbcnt_hi_u32_b32 v6, -1, v13
	v_and_b32_e32 v2, 64, v6
	v_add_u32_e32 v7, 64, v2
	s_mov_b32 s17, 0xff7fffff
                                        ; implicit-def: $vgpr4
                                        ; implicit-def: $vgpr13
; %bb.6:
	s_or_saveexec_b64 s[26:27], s[2:3]
	s_load_dwordx2 s[18:19], s[0:1], 0x0
	s_load_dwordx2 s[24:25], s[0:1], 0x18
	s_load_dword s11, s[0:1], 0x88
	v_mov_b32_e32 v8, s17
	s_mul_i32 s14, s15, s14
	v_lshrrev_b32_e32 v10, 4, v0
	s_xor_b64 exec, exec, s[26:27]
	s_cbranch_execz .LBB84_12
; %bb.7:
	s_load_dwordx2 s[0:1], s[0:1], 0x10
	s_ashr_i32 s15, s14, 31
	s_lshl_b64 s[2:3], s[14:15], 1
	v_bfe_u32 v5, v0, 2, 4
	v_lshlrev_b32_e32 v6, 4, v5
	s_waitcnt lgkmcnt(0)
	s_add_u32 s0, s0, s2
	s_addc_u32 s1, s1, s3
	v_mov_b32_e32 v7, 0
	v_lshl_add_u64 v[2:3], s[0:1], 0, v[6:7]
	v_lshlrev_b32_e32 v6, 2, v0
	s_sub_i32 s15, 1, s33
	s_lshl_b64 s[0:1], s[22:23], 2
	v_and_b32_e32 v6, 12, v6
	v_mul_u32_u24_e32 v9, 48, v4
	v_cmp_eq_u32_e32 vcc, 0, v4
	v_lshlrev_b32_e32 v4, 2, v5
	s_add_u32 s0, s20, s0
	v_lshl_add_u64 v[2:3], v[2:3], 0, v[6:7]
	v_lshl_or_b32 v4, v1, 6, v4
	v_and_b32_e32 v6, 60, v10
	s_addc_u32 s1, s21, s1
	v_lshl_or_b32 v11, v1, 4, v5
	v_add_u32_e32 v12, 0xd0, v4
	v_lshl_add_u64 v[4:5], s[0:1], 0, v[6:7]
	v_mbcnt_hi_u32_b32 v6, -1, v13
	v_and_b32_e32 v7, 64, v6
	s_mov_b32 s17, s13
	v_cmp_neq_f32_e64 s[2:3], s8, 0
	s_mov_b64 s[28:29], 0
	v_mov_b32_e32 v8, 0xff7fffff
	v_add_u32_e32 v7, 64, v7
	v_xor_b32_e32 v13, 2, v6
	v_xor_b32_e32 v14, 1, v6
	v_mov_b32_e32 v15, v1
	s_branch .LBB84_9
.LBB84_8:                               ;   in Loop: Header=BB84_9 Depth=1
	s_or_b64 exec, exec, s[30:31]
	v_add_u32_e32 v15, 2, v15
	v_cmp_le_i32_e64 s[0:1], s12, v15
	v_add_u32_e32 v11, 32, v11
	v_add_u32_e32 v12, 0x80, v12
	s_or_b64 s[28:29], s[0:1], s[28:29]
	v_lshl_add_u64 v[4:5], v[4:5], 0, 8
	s_andn2_b64 exec, exec, s[28:29]
	s_cbranch_execz .LBB84_11
.LBB84_9:                               ; =>This Inner Loop Header: Depth=1
	global_load_dword v16, v[4:5], off
	s_waitcnt vmcnt(0) lgkmcnt(0)
	v_mad_i64_i32 v[16:17], s[0:1], v16, s17, 0
	v_lshl_add_u64 v[16:17], v[16:17], 1, v[2:3]
	global_load_dword v18, v[16:17], off
	global_load_dword v19, v[16:17], off offset:256
	global_load_dword v20, v[16:17], off offset:512
	;; [unrolled: 1-line block ×11, first 2 shown]
	ds_read_b32 v16, v9
	v_cmp_lt_i32_e64 s[0:1], v13, v7
	s_waitcnt lgkmcnt(0)
	v_lshrrev_b32_e32 v30, 16, v16
	v_and_b32_e32 v16, 0xffff, v16
	;;#ASMSTART
	v_cvt_f32_f16 v16, v16;
	;;#ASMEND
	;;#ASMSTART
	v_cvt_f32_f16 v30, v30;
	;;#ASMEND
	v_cndmask_b32_e64 v17, v6, v13, s[0:1]
	v_lshlrev_b32_e32 v17, 2, v17
	v_cmp_lt_i32_e64 s[0:1], v14, v7
	s_waitcnt vmcnt(11)
	v_lshrrev_b32_e32 v31, 16, v18
	v_and_b32_e32 v18, 0xffff, v18
	;;#ASMSTART
	v_cvt_f32_f16 v18, v18;
	;;#ASMEND
	;;#ASMSTART
	v_cvt_f32_f16 v31, v31;
	;;#ASMEND
	ds_read_b32 v32, v9 offset:4
	s_waitcnt vmcnt(10)
	v_lshrrev_b32_e32 v33, 16, v19
	v_and_b32_e32 v19, 0xffff, v19
	s_waitcnt vmcnt(9)
	v_lshrrev_b32_e32 v34, 16, v20
	v_and_b32_e32 v20, 0xffff, v20
	s_waitcnt lgkmcnt(0)
	v_lshrrev_b32_e32 v35, 16, v32
	v_and_b32_e32 v32, 0xffff, v32
	;;#ASMSTART
	v_cvt_f32_f16 v32, v32;
	;;#ASMEND
	;;#ASMSTART
	v_cvt_f32_f16 v35, v35;
	;;#ASMEND
	;;#ASMSTART
	v_cvt_f32_f16 v19, v19;
	;;#ASMEND
	;;#ASMSTART
	v_cvt_f32_f16 v33, v33;
	;;#ASMEND
	ds_read_b32 v36, v9 offset:8
	s_waitcnt vmcnt(8)
	v_lshrrev_b32_e32 v37, 16, v21
	v_and_b32_e32 v21, 0xffff, v21
	s_waitcnt vmcnt(7)
	v_lshrrev_b32_e32 v38, 16, v22
	v_and_b32_e32 v22, 0xffff, v22
	s_waitcnt lgkmcnt(0)
	v_lshrrev_b32_e32 v39, 16, v36
	v_and_b32_e32 v36, 0xffff, v36
	;;#ASMSTART
	v_cvt_f32_f16 v36, v36;
	;;#ASMEND
	;;#ASMSTART
	v_cvt_f32_f16 v39, v39;
	;;#ASMEND
	;; [unrolled: 22-line block ×3, first 2 shown]
	;;#ASMSTART
	v_cvt_f32_f16 v21, v21;
	;;#ASMEND
	;;#ASMSTART
	v_cvt_f32_f16 v37, v37;
	;;#ASMEND
	ds_read_b32 v44, v9 offset:16
	v_mul_f32_e32 v19, v32, v19
	v_mul_f32_e32 v32, v35, v33
	s_waitcnt vmcnt(4)
	v_lshrrev_b32_e32 v45, 16, v25
	v_and_b32_e32 v25, 0xffff, v25
	s_waitcnt lgkmcnt(0)
	v_lshrrev_b32_e32 v47, 16, v44
	v_and_b32_e32 v44, 0xffff, v44
	;;#ASMSTART
	v_cvt_f32_f16 v44, v44;
	;;#ASMEND
	;;#ASMSTART
	v_cvt_f32_f16 v47, v47;
	;;#ASMEND
	;; [unrolled: 3-line block ×4, first 2 shown]
	ds_read_b32 v48, v9 offset:20
	v_fmac_f32_e32 v19, v16, v18
	v_fmac_f32_e32 v32, v30, v31
	;; [unrolled: 1-line block ×4, first 2 shown]
	s_waitcnt lgkmcnt(0)
	v_lshrrev_b32_e32 v51, 16, v48
	v_and_b32_e32 v48, 0xffff, v48
	;;#ASMSTART
	v_cvt_f32_f16 v48, v48;
	;;#ASMEND
	;;#ASMSTART
	v_cvt_f32_f16 v51, v51;
	;;#ASMEND
	;; [unrolled: 3-line block ×4, first 2 shown]
	ds_read_b32 v52, v9 offset:24
	s_waitcnt vmcnt(3)
	v_lshrrev_b32_e32 v46, 16, v26
	v_and_b32_e32 v26, 0xffff, v26
	v_fmac_f32_e32 v19, v44, v22
	v_fmac_f32_e32 v32, v39, v34
	s_waitcnt lgkmcnt(0)
	v_lshrrev_b32_e32 v33, 16, v52
	v_and_b32_e32 v35, 0xffff, v52
	;;#ASMSTART
	v_cvt_f32_f16 v35, v35;
	;;#ASMEND
	;;#ASMSTART
	v_cvt_f32_f16 v33, v33;
	;;#ASMEND
	;; [unrolled: 3-line block ×4, first 2 shown]
	ds_read_b32 v52, v9 offset:28
	v_fmac_f32_e32 v32, v43, v37
	v_fmac_f32_e32 v32, v47, v38
	;; [unrolled: 1-line block ×3, first 2 shown]
	s_waitcnt vmcnt(2)
	v_lshrrev_b32_e32 v49, 16, v27
	s_waitcnt lgkmcnt(0)
	v_lshrrev_b32_e32 v16, 16, v52
	v_and_b32_e32 v18, 0xffff, v52
	;;#ASMSTART
	v_cvt_f32_f16 v18, v18;
	;;#ASMEND
	;;#ASMSTART
	v_cvt_f32_f16 v16, v16;
	;;#ASMEND
	;; [unrolled: 3-line block ×4, first 2 shown]
	ds_read_b32 v30, v9 offset:32
	v_and_b32_e32 v27, 0xffff, v27
	v_fmac_f32_e32 v32, v51, v41
	v_fmac_f32_e32 v19, v35, v24
	;; [unrolled: 1-line block ×3, first 2 shown]
	s_waitcnt lgkmcnt(0)
	v_lshrrev_b32_e32 v21, 16, v30
	v_and_b32_e32 v22, 0xffff, v30
	;;#ASMSTART
	v_cvt_f32_f16 v22, v22;
	;;#ASMEND
	;;#ASMSTART
	v_cvt_f32_f16 v21, v21;
	;;#ASMEND
	;; [unrolled: 3-line block ×4, first 2 shown]
	ds_read_b32 v31, v9 offset:36
	v_fmac_f32_e32 v19, v18, v20
	v_fmac_f32_e32 v32, v16, v25
	s_waitcnt vmcnt(1)
	v_lshrrev_b32_e32 v50, 16, v28
	v_and_b32_e32 v28, 0xffff, v28
	s_waitcnt lgkmcnt(0)
	v_lshrrev_b32_e32 v23, 16, v31
	v_and_b32_e32 v24, 0xffff, v31
	;;#ASMSTART
	v_cvt_f32_f16 v24, v24;
	;;#ASMEND
	;;#ASMSTART
	v_cvt_f32_f16 v23, v23;
	;;#ASMEND
	;; [unrolled: 3-line block ×4, first 2 shown]
	ds_read_b32 v33, v9 offset:40
	v_fmac_f32_e32 v19, v22, v26
	v_fmac_f32_e32 v32, v21, v30
	;; [unrolled: 1-line block ×4, first 2 shown]
	s_waitcnt lgkmcnt(0)
	v_lshrrev_b32_e32 v16, 16, v33
	v_and_b32_e32 v18, 0xffff, v33
	;;#ASMSTART
	v_cvt_f32_f16 v18, v18;
	;;#ASMEND
	;;#ASMSTART
	v_cvt_f32_f16 v16, v16;
	;;#ASMEND
	;; [unrolled: 3-line block ×4, first 2 shown]
	ds_read_b32 v22, v9 offset:44
	v_fmac_f32_e32 v19, v18, v20
	v_fmac_f32_e32 v32, v16, v21
	s_waitcnt vmcnt(0)
	v_lshrrev_b32_e32 v53, 16, v29
	v_and_b32_e32 v29, 0xffff, v29
	s_waitcnt lgkmcnt(0)
	v_lshrrev_b32_e32 v16, 16, v22
	v_and_b32_e32 v18, 0xffff, v22
	;;#ASMSTART
	v_cvt_f32_f16 v18, v18;
	;;#ASMEND
	;;#ASMSTART
	v_cvt_f32_f16 v16, v16;
	;;#ASMEND
	;; [unrolled: 3-line block ×4, first 2 shown]
	s_nop 0
	v_fmac_f32_e32 v19, v18, v20
	v_fmac_f32_e32 v32, v16, v21
	v_add_f32_e32 v16, v19, v32
	ds_bpermute_b32 v17, v17, v16
	v_cndmask_b32_e64 v18, v6, v14, s[0:1]
	s_waitcnt lgkmcnt(0)
	v_add_f32_e32 v16, v16, v17
	v_lshlrev_b32_e32 v17, 2, v18
	ds_bpermute_b32 v17, v17, v16
	s_and_saveexec_b64 s[30:31], vcc
	s_cbranch_execz .LBB84_8
; %bb.10:                               ;   in Loop: Header=BB84_9 Depth=1
	v_add_u32_e32 v18, s15, v11
	v_cvt_f32_i32_e32 v18, v18
	s_waitcnt lgkmcnt(0)
	v_add_f32_e32 v16, v16, v17
	v_cmp_gt_i32_e64 s[0:1], s33, v11
	v_max_f32_e32 v17, v8, v8
	v_mul_f32_e32 v18, s8, v18
	v_cndmask_b32_e64 v18, 0, v18, s[2:3]
	v_fmac_f32_e32 v18, s9, v16
	v_cndmask_b32_e64 v16, 0, v18, s[0:1]
	ds_write_b32 v12, v16
	v_max_f32_e32 v16, v17, v18
	v_cndmask_b32_e64 v8, v8, v16, s[0:1]
	s_branch .LBB84_8
.LBB84_11:
	s_or_b64 exec, exec, s[28:29]
.LBB84_12:
	s_or_b64 exec, exec, s[26:27]
	v_xor_b32_e32 v2, 32, v6
	v_cmp_lt_i32_e32 vcc, v2, v7
	v_xor_b32_e32 v5, 16, v6
	v_max_f32_e32 v4, v8, v8
	v_cndmask_b32_e32 v2, v6, v2, vcc
	v_lshlrev_b32_e32 v2, 2, v2
	ds_bpermute_b32 v3, v2, v8
	v_cmp_lt_i32_e32 vcc, v5, v7
	v_xor_b32_e32 v8, 8, v6
	v_xor_b32_e32 v9, 4, v6
	v_and_b32_e32 v14, 63, v0
	s_waitcnt lgkmcnt(0)
	v_max_f32_e32 v3, v3, v3
	v_max_f32_e32 v4, v4, v3
	v_cndmask_b32_e32 v3, v6, v5, vcc
	v_lshlrev_b32_e32 v3, 2, v3
	ds_bpermute_b32 v5, v3, v4
	v_cmp_lt_i32_e32 vcc, v8, v7
	s_waitcnt lgkmcnt(0)
	v_max_f32_e32 v5, v5, v5
	v_max_f32_e32 v4, v4, v5
	v_cndmask_b32_e32 v5, v6, v8, vcc
	v_lshlrev_b32_e32 v8, 2, v5
	ds_bpermute_b32 v5, v8, v4
	v_cmp_lt_i32_e32 vcc, v9, v7
	s_waitcnt lgkmcnt(0)
	v_max_f32_e32 v5, v5, v5
	v_max_f32_e32 v5, v4, v5
	v_cndmask_b32_e32 v4, v6, v9, vcc
	v_lshlrev_b32_e32 v9, 2, v4
	ds_bpermute_b32 v11, v9, v5
	v_cmp_eq_u32_e32 vcc, 0, v14
	v_lshlrev_b32_e32 v4, 2, v1
	s_and_saveexec_b64 s[0:1], vcc
	s_cbranch_execz .LBB84_14
; %bb.13:
	s_waitcnt lgkmcnt(0)
	v_max_f32_e32 v11, v11, v11
	v_max_f32_e32 v5, v5, v5
	;; [unrolled: 1-line block ×3, first 2 shown]
	ds_write_b32 v4, v5 offset:192
.LBB84_14:
	s_or_b64 exec, exec, s[0:1]
	v_cmp_gt_u32_e64 s[0:1], 2, v14
	s_waitcnt lgkmcnt(0)
	v_mov_b32_e32 v11, 0xff7fffff
	v_lshlrev_b32_e32 v5, 2, v14
	s_barrier
	s_and_saveexec_b64 s[2:3], s[0:1]
	s_cbranch_execz .LBB84_16
; %bb.15:
	ds_read_b32 v11, v5 offset:192
.LBB84_16:
	s_or_b64 exec, exec, s[2:3]
	v_xor_b32_e32 v12, 1, v6
	v_cmp_lt_i32_e64 s[2:3], v12, v7
	v_lshlrev_b32_e32 v13, 2, v6
	s_nop 0
	v_cndmask_b32_e64 v12, v6, v12, s[2:3]
	v_lshlrev_b32_e32 v15, 2, v12
	s_waitcnt lgkmcnt(0)
	ds_bpermute_b32 v12, v15, v11
	v_max_f32_e32 v11, v11, v11
	s_lshl_b32 s2, s12, 4
	s_min_i32 s15, s2, s33
	v_cmp_gt_i32_e64 s[2:3], s15, v0
	s_waitcnt lgkmcnt(0)
	v_max_f32_e32 v12, v12, v12
	v_max_f32_e32 v12, v11, v12
	v_and_b32_e32 v11, 0xffffff00, v13
	ds_bpermute_b32 v13, v11, v12
	v_mov_b32_e32 v12, 0
	s_and_saveexec_b64 s[26:27], s[2:3]
	s_cbranch_execz .LBB84_20
; %bb.17:
	v_mov_b32_e32 v12, 0xd0
	v_lshl_add_u32 v16, v0, 2, v12
	s_mov_b64 s[28:29], 0
	v_mov_b32_e32 v12, 0
	v_mov_b32_e32 v17, v0
.LBB84_18:                              ; =>This Inner Loop Header: Depth=1
	ds_read_b32 v18, v16
	v_add_u32_e32 v17, 0x80, v17
	v_cmp_le_i32_e64 s[8:9], s15, v17
	s_or_b64 s[28:29], s[8:9], s[28:29]
	s_waitcnt lgkmcnt(0)
	v_sub_f32_e32 v18, v18, v13
	v_mul_f32_e32 v18, 0x3fb8aa3b, v18
	v_exp_f32_e32 v18, v18
	ds_write_b32 v16, v18
	v_add_f32_e32 v12, v12, v18
	v_add_u32_e32 v16, 0x200, v16
	s_andn2_b64 exec, exec, s[28:29]
	s_cbranch_execnz .LBB84_18
; %bb.19:
	s_or_b64 exec, exec, s[28:29]
.LBB84_20:
	s_or_b64 exec, exec, s[26:27]
	ds_bpermute_b32 v2, v2, v12
	s_waitcnt lgkmcnt(0)
	v_add_f32_e32 v2, v12, v2
	ds_bpermute_b32 v3, v3, v2
	s_waitcnt lgkmcnt(0)
	v_add_f32_e32 v2, v2, v3
	ds_bpermute_b32 v3, v8, v2
	v_xor_b32_e32 v8, 2, v6
	v_cmp_lt_i32_e64 s[8:9], v8, v7
	s_waitcnt lgkmcnt(0)
	v_add_f32_e32 v2, v2, v3
	ds_bpermute_b32 v3, v9, v2
	v_cndmask_b32_e64 v6, v6, v8, s[8:9]
	s_waitcnt lgkmcnt(0)
	v_add_f32_e32 v2, v2, v3
	v_lshlrev_b32_e32 v3, 2, v6
	ds_bpermute_b32 v3, v3, v2
	s_waitcnt lgkmcnt(0)
	v_add_f32_e32 v2, v2, v3
	ds_bpermute_b32 v3, v15, v2
	s_waitcnt lgkmcnt(0)
	v_add_f32_e32 v2, v2, v3
	s_and_saveexec_b64 s[8:9], vcc
	s_cbranch_execz .LBB84_22
; %bb.21:
	ds_write_b32 v4, v2 offset:200
.LBB84_22:
	s_or_b64 exec, exec, s[8:9]
	s_waitcnt lgkmcnt(0)
	s_barrier
	s_and_saveexec_b64 s[8:9], s[0:1]
	s_cbranch_execz .LBB84_24
; %bb.23:
	ds_read_b32 v2, v5 offset:200
.LBB84_24:
	s_or_b64 exec, exec, s[8:9]
	s_waitcnt lgkmcnt(0)
	ds_bpermute_b32 v3, v15, v2
	s_waitcnt lgkmcnt(0)
	v_add_f32_e32 v2, v2, v3
	ds_bpermute_b32 v2, v11, v2
	s_and_saveexec_b64 s[0:1], s[2:3]
	s_cbranch_execz .LBB84_37
; %bb.25:
	s_waitcnt lgkmcnt(0)
	v_add_f32_e32 v2, 0x358637bd, v2
	v_div_scale_f32 v3, s[2:3], v2, v2, 1.0
	v_rcp_f32_e32 v4, v3
	v_div_scale_f32 v5, vcc, 1.0, v2, 1.0
	s_movk_i32 s2, 0x7f
	v_fma_f32 v6, -v3, v4, 1.0
	v_fmac_f32_e32 v4, v6, v4
	v_mul_f32_e32 v6, v5, v4
	v_fma_f32 v7, -v3, v6, v5
	v_fmac_f32_e32 v6, v7, v4
	v_fma_f32 v3, -v3, v6, v5
	v_div_fmas_f32 v3, v3, v4, v6
	v_xad_u32 v4, v0, -1, s15
	v_div_fixup_f32 v2, v3, v2, 1.0
	v_cmp_lt_u32_e32 vcc, s2, v4
	s_mov_b64 s[8:9], -1
	v_mov_b32_e32 v3, v0
	s_and_saveexec_b64 s[2:3], vcc
	s_cbranch_execz .LBB84_34
; %bb.26:
	v_lshrrev_b32_e32 v4, 7, v4
	v_add_u32_e32 v6, -1, v4
	v_lshrrev_b32_e32 v5, 1, v6
	v_mov_b32_e32 v3, v2
	v_add_u32_e32 v5, 1, v5
	v_cmp_lt_u32_e32 vcc, 13, v6
	v_mov_b32_e32 v8, 0
	s_and_saveexec_b64 s[8:9], vcc
	s_cbranch_execz .LBB84_30
; %bb.27:
	v_mov_b32_e32 v7, 0xd0
	v_and_b32_e32 v6, -8, v5
	v_lshl_add_u32 v7, v0, 2, v7
	s_mov_b32 s17, 0
	s_mov_b64 s[26:27], 0
.LBB84_28:                              ; =>This Inner Loop Header: Depth=1
	ds_read2st64_b32 v[8:9], v7 offset1:2
	ds_read2st64_b32 v[12:13], v7 offset0:4 offset1:6
	ds_read2st64_b32 v[16:17], v7 offset0:8 offset1:10
	;; [unrolled: 1-line block ×3, first 2 shown]
	v_add_u32_e32 v6, -8, v6
	s_waitcnt lgkmcnt(3)
	v_pk_mul_f32 v[8:9], v[2:3], v[8:9]
	s_waitcnt lgkmcnt(2)
	v_pk_mul_f32 v[12:13], v[2:3], v[12:13]
	ds_write2st64_b32 v7, v8, v9 offset1:2
	ds_write2st64_b32 v7, v12, v13 offset0:4 offset1:6
	ds_read2st64_b32 v[12:13], v7 offset0:16 offset1:18
	s_waitcnt lgkmcnt(4)
	v_pk_mul_f32 v[8:9], v[2:3], v[16:17]
	ds_write2st64_b32 v7, v8, v9 offset0:8 offset1:10
	s_waitcnt lgkmcnt(4)
	v_pk_mul_f32 v[8:9], v[2:3], v[18:19]
	ds_write2st64_b32 v7, v8, v9 offset0:12 offset1:14
	ds_read2st64_b32 v[8:9], v7 offset0:20 offset1:22
	s_waitcnt lgkmcnt(3)
	v_pk_mul_f32 v[12:13], v[2:3], v[12:13]
	ds_read2st64_b32 v[16:17], v7 offset0:24 offset1:26
	ds_write2st64_b32 v7, v12, v13 offset0:16 offset1:18
	ds_read2st64_b32 v[12:13], v7 offset0:28 offset1:30
	s_waitcnt lgkmcnt(3)
	v_pk_mul_f32 v[8:9], v[2:3], v[8:9]
	ds_write2st64_b32 v7, v8, v9 offset0:20 offset1:22
	s_waitcnt lgkmcnt(3)
	v_pk_mul_f32 v[8:9], v[2:3], v[16:17]
	ds_write2st64_b32 v7, v8, v9 offset0:24 offset1:26
	s_waitcnt lgkmcnt(2)
	v_pk_mul_f32 v[8:9], v[2:3], v[12:13]
	s_add_i32 s17, s17, 16
	v_cmp_eq_u32_e32 vcc, 0, v6
	ds_write2st64_b32 v7, v8, v9 offset0:28 offset1:30
	v_add_u32_e32 v7, 0x2000, v7
	s_or_b64 s[26:27], vcc, s[26:27]
	v_mov_b32_e32 v8, s17
	s_andn2_b64 exec, exec, s[26:27]
	s_cbranch_execnz .LBB84_28
; %bb.29:
	s_or_b64 exec, exec, s[26:27]
.LBB84_30:
	s_or_b64 exec, exec, s[8:9]
	v_and_b32_e32 v5, 7, v5
	v_cmp_ne_u32_e32 vcc, 0, v5
	s_and_saveexec_b64 s[8:9], vcc
	s_cbranch_execz .LBB84_33
; %bb.31:
	v_lshlrev_b32_e32 v6, 9, v8
	v_lshlrev_b32_e32 v7, 2, v0
	s_movk_i32 s17, 0xd0
	v_add3_u32 v6, v6, v7, s17
	s_mov_b64 s[26:27], 0
.LBB84_32:                              ; =>This Inner Loop Header: Depth=1
	ds_read2st64_b32 v[8:9], v6 offset1:2
	v_add_u32_e32 v5, -1, v5
	v_cmp_eq_u32_e32 vcc, 0, v5
	s_or_b64 s[26:27], vcc, s[26:27]
	s_waitcnt lgkmcnt(0)
	v_pk_mul_f32 v[8:9], v[2:3], v[8:9]
	ds_write2st64_b32 v6, v8, v9 offset1:2
	v_add_u32_e32 v6, 0x400, v6
	s_andn2_b64 exec, exec, s[26:27]
	s_cbranch_execnz .LBB84_32
.LBB84_33:
	s_or_b64 exec, exec, s[8:9]
	v_add_u32_e32 v4, 1, v4
	v_and_b32_e32 v5, 0x3fffffe, v4
	v_cmp_ne_u32_e32 vcc, v4, v5
	v_lshl_add_u32 v3, v5, 7, v0
	s_orn2_b64 s[8:9], vcc, exec
.LBB84_34:
	s_or_b64 exec, exec, s[2:3]
	s_and_b64 exec, exec, s[8:9]
	s_cbranch_execz .LBB84_37
; %bb.35:
	v_mov_b32_e32 v4, 0xd0
	v_lshl_add_u32 v4, v3, 2, v4
	s_mov_b64 s[2:3], 0
.LBB84_36:                              ; =>This Inner Loop Header: Depth=1
	ds_read_b32 v5, v4
	v_add_u32_e32 v3, 0x80, v3
	v_cmp_le_i32_e32 vcc, s15, v3
	s_or_b64 s[2:3], vcc, s[2:3]
	s_waitcnt lgkmcnt(0)
	v_mul_f32_e32 v5, v2, v5
	ds_write_b32 v4, v5
	v_add_u32_e32 v4, 0x200, v4
	s_andn2_b64 exec, exec, s[2:3]
	s_cbranch_execnz .LBB84_36
.LBB84_37:
	s_or_b64 exec, exec, s[0:1]
	v_mov_b32_e32 v17, 0
	v_and_b32_e32 v16, 1, v0
	v_mov_b32_e32 v7, 0
	v_mov_b32_e32 v6, 0
	s_waitcnt lgkmcnt(0)
	s_barrier
	s_and_saveexec_b64 s[2:3], s[6:7]
	s_cbranch_execz .LBB84_47
; %bb.38:
	s_ashr_i32 s15, s14, 31
	s_lshl_b64 s[0:1], s[14:15], 1
	s_add_u32 s0, s24, s0
	v_lshlrev_b32_e32 v3, 4, v0
	v_lshlrev_b32_e32 v2, 3, v0
	s_addc_u32 s1, s25, s1
	v_and_b32_e32 v6, 0x3f0, v3
	v_mov_b32_e32 v7, 0
	v_and_b32_e32 v2, 8, v2
	s_add_i32 s14, s12, -1
	v_lshl_add_u64 v[8:9], s[0:1], 0, v[6:7]
	s_lshl_b64 s[0:1], s[22:23], 2
	v_lshl_or_b32 v18, v1, 4, v2
	v_lshlrev_b32_e32 v2, 5, v16
	s_add_u32 s0, s20, s0
	v_lshl_or_b32 v2, v1, 6, v2
	v_and_b32_e32 v6, 60, v10
	s_addc_u32 s1, s21, s1
	s_mov_b32 s15, s33
	s_mov_b32 s17, s33
	s_mov_b32 s24, s33
	s_mov_b32 s25, s33
	s_mov_b32 s26, s33
	s_mov_b32 s27, s33
	s_mov_b32 s28, s33
	v_add_u32_e32 v19, 0xd0, v2
	v_lshl_add_u64 v[10:11], s[0:1], 0, v[6:7]
	s_mov_b64 s[6:7], 0
	s_mov_b32 s20, 0x5040100
	v_mov_b32_e32 v6, v7
	v_mov_b32_e32 v17, v7
	s_branch .LBB84_40
.LBB84_39:                              ;   in Loop: Header=BB84_40 Depth=1
	s_or_b64 exec, exec, s[0:1]
	s_waitcnt vmcnt(0)
	;;#ASMSTART
	v_pk_mul_f16 v2, v30, v2;

	;;#ASMEND
	;;#ASMSTART
	v_pk_mul_f16 v3, v29, v3;

	;;#ASMEND
	;; [unrolled: 4-line block ×4, first 2 shown]
	v_add_f32_e32 v12, v31, v32
	;;#ASMSTART
	v_pk_add_f16 v2, v2, v3;

	;;#ASMEND
	v_add_u32_e32 v1, 2, v1
	;;#ASMSTART
	v_pk_add_f16 v2, v2, v4;

	;;#ASMEND
	v_add_f32_e32 v6, v6, v12
	;;#ASMSTART
	v_pk_add_f16 v2, v2, v5;

	;;#ASMEND
	v_add_f32_e32 v12, v33, v34
	v_lshrrev_b32_e32 v3, 16, v2
	v_and_b32_e32 v2, 0xffff, v2
	;;#ASMSTART
	v_cvt_f32_f16 v2, v2;
	;;#ASMEND
	;;#ASMSTART
	v_cvt_f32_f16 v3, v3;
	;;#ASMEND
	v_cmp_le_i32_e32 vcc, s12, v1
	v_add_f32_e32 v2, v2, v3
	v_add_f32_e32 v7, v7, v12
	;; [unrolled: 1-line block ×3, first 2 shown]
	v_add_u32_e32 v18, 32, v18
	v_add_u32_e32 v19, 0x80, v19
	s_or_b64 s[6:7], vcc, s[6:7]
	v_lshl_add_u64 v[10:11], v[10:11], 0, 8
	s_andn2_b64 exec, exec, s[6:7]
	s_cbranch_execz .LBB84_46
.LBB84_40:                              ; =>This Inner Loop Header: Depth=1
	global_load_dword v12, v[10:11], off
	ds_read2_b64 v[2:5], v19 offset1:1
	ds_read2_b64 v[20:23], v19 offset0:2 offset1:3
	v_cmp_eq_u32_e32 vcc, s14, v1
	v_or_b32_e32 v24, 5, v18
	s_waitcnt lgkmcnt(1)
	;;#ASMSTART
	v_cvt_f16_f32 v27, v2;

	;;#ASMEND
	;;#ASMSTART
	v_cvt_f16_f32 v28, v3;

	;;#ASMEND
	;; [unrolled: 4-line block ×4, first 2 shown]
	s_waitcnt lgkmcnt(0)
	;;#ASMSTART
	v_cvt_f16_f32 v32, v20;

	;;#ASMEND
	;;#ASMSTART
	v_cvt_f16_f32 v33, v21;

	;;#ASMEND
	;;#ASMSTART
	v_cvt_f16_f32 v34, v22;

	;;#ASMEND
	;;#ASMSTART
	v_cvt_f16_f32 v35, v23;

	;;#ASMEND
	v_add_u32_e32 v20, 1, v18
	v_or_b32_e32 v22, 3, v18
	v_or_b32_e32 v21, 2, v18
	;; [unrolled: 1-line block ×5, first 2 shown]
	s_waitcnt vmcnt(0)
	v_mad_i64_i32 v[2:3], s[0:1], v12, s13, 0
	v_lshl_add_u64 v[12:13], v[2:3], 1, v[8:9]
	global_load_dwordx4 v[2:5], v[12:13], off
	s_and_saveexec_b64 s[8:9], vcc
	s_cbranch_execz .LBB84_42
; %bb.41:                               ;   in Loop: Header=BB84_40 Depth=1
	s_waitcnt vmcnt(0)
	v_lshrrev_b32_e32 v30, 16, v5
	v_cmp_gt_i32_e64 s[0:1], s28, v26
	s_nop 1
	v_cndmask_b32_e64 v30, 0, v30, s[0:1]
	v_cmp_gt_i32_e64 s[0:1], s27, v25
	s_nop 1
	v_cndmask_b32_e64 v5, 0, v5, s[0:1]
	v_perm_b32 v5, v30, v5, s20
	v_lshrrev_b32_e32 v30, 16, v4
	v_cmp_gt_i32_e64 s[0:1], s26, v24
	s_nop 1
	v_cndmask_b32_e64 v30, 0, v30, s[0:1]
	v_cmp_gt_i32_e64 s[0:1], s25, v23
	s_nop 1
	v_cndmask_b32_e64 v4, 0, v4, s[0:1]
	v_perm_b32 v4, v30, v4, s20
	;; [unrolled: 8-line block ×4, first 2 shown]
.LBB84_42:                              ;   in Loop: Header=BB84_40 Depth=1
	s_or_b64 exec, exec, s[8:9]
	v_and_b32_e32 v27, 0xffff, v27
	v_lshl_or_b32 v30, v28, 16, v27
	v_and_b32_e32 v27, 0xffff, v29
	v_lshl_or_b32 v29, v31, 16, v27
	;; [unrolled: 2-line block ×3, first 2 shown]
	v_and_b32_e32 v27, 0xffff, v34
	s_waitcnt vmcnt(0)
	;;#ASMSTART
	v_pk_mul_f16 v2, v30, v2;

	;;#ASMEND
	v_lshl_or_b32 v27, v35, 16, v27
	;;#ASMSTART
	v_pk_mul_f16 v3, v29, v3;

	;;#ASMEND
	;;#ASMSTART
	v_pk_mul_f16 v4, v28, v4;

	;;#ASMEND
	;; [unrolled: 4-line block ×3, first 2 shown]
	s_nop 0
	;;#ASMSTART
	v_pk_add_f16 v2, v2, v3;

	;;#ASMEND
	s_nop 0
	;;#ASMSTART
	v_pk_add_f16 v2, v2, v4;

	;;#ASMEND
	;; [unrolled: 5-line block ×3, first 2 shown]
	s_nop 0
	v_lshrrev_b32_e32 v3, 16, v2
	v_and_b32_e32 v2, 0xffff, v2
	;;#ASMSTART
	v_cvt_f32_f16 v31, v2;
	;;#ASMEND
	;;#ASMSTART
	v_cvt_f32_f16 v32, v3;
	;;#ASMEND
	global_load_dwordx4 v[2:5], v[12:13], off offset:1024
	s_and_saveexec_b64 s[8:9], vcc
	s_cbranch_execz .LBB84_44
; %bb.43:                               ;   in Loop: Header=BB84_40 Depth=1
	s_waitcnt vmcnt(0)
	v_lshrrev_b32_e32 v33, 16, v5
	v_cmp_gt_i32_e64 s[0:1], s28, v26
	s_nop 1
	v_cndmask_b32_e64 v33, 0, v33, s[0:1]
	v_cmp_gt_i32_e64 s[0:1], s27, v25
	s_nop 1
	v_cndmask_b32_e64 v5, 0, v5, s[0:1]
	v_perm_b32 v5, v33, v5, s20
	v_lshrrev_b32_e32 v33, 16, v4
	v_cmp_gt_i32_e64 s[0:1], s26, v24
	s_nop 1
	v_cndmask_b32_e64 v33, 0, v33, s[0:1]
	v_cmp_gt_i32_e64 s[0:1], s25, v23
	s_nop 1
	v_cndmask_b32_e64 v4, 0, v4, s[0:1]
	v_perm_b32 v4, v33, v4, s20
	v_lshrrev_b32_e32 v33, 16, v3
	v_cmp_gt_i32_e64 s[0:1], s24, v22
	s_nop 1
	v_cndmask_b32_e64 v33, 0, v33, s[0:1]
	v_cmp_gt_i32_e64 s[0:1], s17, v21
	s_nop 1
	v_cndmask_b32_e64 v3, 0, v3, s[0:1]
	v_perm_b32 v3, v33, v3, s20
	v_lshrrev_b32_e32 v33, 16, v2
	v_cmp_gt_i32_e64 s[0:1], s15, v20
	s_nop 1
	v_cndmask_b32_e64 v33, 0, v33, s[0:1]
	v_cmp_gt_i32_e64 s[0:1], s33, v18
	s_nop 1
	v_cndmask_b32_e64 v2, 0, v2, s[0:1]
	v_perm_b32 v2, v33, v2, s20
.LBB84_44:                              ;   in Loop: Header=BB84_40 Depth=1
	s_or_b64 exec, exec, s[8:9]
	s_waitcnt vmcnt(0)
	;;#ASMSTART
	v_pk_mul_f16 v2, v30, v2;

	;;#ASMEND
	;;#ASMSTART
	v_pk_mul_f16 v3, v29, v3;

	;;#ASMEND
	;; [unrolled: 4-line block ×4, first 2 shown]
	s_nop 0
	;;#ASMSTART
	v_pk_add_f16 v2, v2, v3;

	;;#ASMEND
	s_nop 0
	;;#ASMSTART
	v_pk_add_f16 v2, v2, v4;

	;;#ASMEND
	;; [unrolled: 5-line block ×3, first 2 shown]
	s_nop 0
	v_lshrrev_b32_e32 v3, 16, v2
	v_and_b32_e32 v2, 0xffff, v2
	;;#ASMSTART
	v_cvt_f32_f16 v33, v2;
	;;#ASMEND
	;;#ASMSTART
	v_cvt_f32_f16 v34, v3;
	;;#ASMEND
	global_load_dwordx4 v[2:5], v[12:13], off offset:2048
	s_and_saveexec_b64 s[0:1], vcc
	s_cbranch_execz .LBB84_39
; %bb.45:                               ;   in Loop: Header=BB84_40 Depth=1
	s_waitcnt vmcnt(0)
	v_lshrrev_b32_e32 v12, 16, v5
	v_cmp_gt_i32_e32 vcc, s28, v26
	s_nop 1
	v_cndmask_b32_e32 v12, 0, v12, vcc
	v_cmp_gt_i32_e32 vcc, s27, v25
	s_nop 1
	v_cndmask_b32_e32 v5, 0, v5, vcc
	v_perm_b32 v5, v12, v5, s20
	v_lshrrev_b32_e32 v12, 16, v4
	v_cmp_gt_i32_e32 vcc, s26, v24
	s_nop 1
	v_cndmask_b32_e32 v12, 0, v12, vcc
	v_cmp_gt_i32_e32 vcc, s25, v23
	s_nop 1
	v_cndmask_b32_e32 v4, 0, v4, vcc
	v_perm_b32 v4, v12, v4, s20
	;; [unrolled: 8-line block ×4, first 2 shown]
	s_branch .LBB84_39
.LBB84_46:
	s_or_b64 exec, exec, s[6:7]
.LBB84_47:
	s_or_b64 exec, exec, s[2:3]
	ds_bpermute_b32 v2, v15, v6
	ds_bpermute_b32 v3, v15, v7
	;; [unrolled: 1-line block ×3, first 2 shown]
	v_and_b32_e32 v4, 0x3c1, v0
	v_cmp_eq_u32_e32 vcc, 64, v4
	s_waitcnt lgkmcnt(0)
	v_pk_add_f32 v[2:3], v[6:7], v[2:3]
	v_add_f32_e32 v1, v17, v1
	s_barrier
	s_and_saveexec_b64 s[0:1], vcc
	s_cbranch_execz .LBB84_49
; %bb.48:
	v_mov_b32_e32 v5, 0xd0
	v_lshl_add_u32 v5, v14, 1, v5
	ds_write2_b32 v5, v2, v3 offset1:32
	ds_write_b32 v5, v1 offset:256
.LBB84_49:
	s_or_b64 exec, exec, s[0:1]
	v_cmp_gt_u32_e32 vcc, 64, v0
	s_waitcnt lgkmcnt(0)
	s_barrier
	s_and_saveexec_b64 s[0:1], vcc
	s_cbranch_execz .LBB84_55
; %bb.50:
	v_cmp_eq_u32_e32 vcc, 0, v16
	v_lshrrev_b32_e32 v5, 1, v0
	s_and_saveexec_b64 s[2:3], vcc
	s_cbranch_execnz .LBB84_58
; %bb.51:
	s_or_b64 exec, exec, s[2:3]
	s_and_saveexec_b64 s[2:3], vcc
	s_cbranch_execnz .LBB84_59
.LBB84_52:
	s_or_b64 exec, exec, s[2:3]
	s_and_saveexec_b64 s[2:3], vcc
	s_cbranch_execz .LBB84_54
.LBB84_53:
	v_mov_b32_e32 v6, 0xd0
	v_lshl_add_u32 v5, v5, 2, v6
	ds_read_b32 v5, v5 offset:256
	s_waitcnt lgkmcnt(0)
	v_add_f32_e32 v1, v1, v5
.LBB84_54:
	s_or_b64 exec, exec, s[2:3]
.LBB84_55:
	s_or_b64 exec, exec, s[0:1]
	v_cmp_eq_u32_e32 vcc, 0, v4
	s_barrier
	s_and_saveexec_b64 s[0:1], vcc
	s_cbranch_execz .LBB84_57
; %bb.56:
	s_mul_i32 s0, s10, s11
	s_mul_i32 s0, s0, s5
	s_mulk_i32 s0, 0x60
	s_ashr_i32 s1, s0, 31
	s_lshl_b64 s[0:1], s[0:1], 1
	s_add_u32 s2, s18, s0
	s_mul_i32 s0, s11, s16
	s_addc_u32 s3, s19, s1
	s_ashr_i32 s1, s0, 31
	s_lshl_b64 s[0:1], s[0:1], 1
	s_add_u32 s2, s2, s0
	s_mul_i32 s0, s4, 0x60
	s_addc_u32 s3, s3, s1
	s_ashr_i32 s1, s0, 31
	s_lshl_b64 s[0:1], s[0:1], 1
	s_add_u32 s0, s2, s0
	s_addc_u32 s1, s3, s1
	;;#ASMSTART
	v_cvt_f16_f32 v2, v2;

	;;#ASMEND
	global_store_short v0, v2, s[0:1]
	;;#ASMSTART
	v_cvt_f16_f32 v2, v3;

	;;#ASMEND
	global_store_short v0, v2, s[0:1] offset:64
	;;#ASMSTART
	v_cvt_f16_f32 v1, v1;

	;;#ASMEND
	global_store_short v0, v1, s[0:1] offset:128
.LBB84_57:
	s_endpgm
.LBB84_58:
	v_mov_b32_e32 v6, 0xd0
	v_lshl_add_u32 v6, v5, 2, v6
	ds_read_b32 v6, v6
	s_waitcnt lgkmcnt(0)
	v_add_f32_e32 v2, v2, v6
	s_or_b64 exec, exec, s[2:3]
	s_and_saveexec_b64 s[2:3], vcc
	s_cbranch_execz .LBB84_52
.LBB84_59:
	v_mov_b32_e32 v6, 0xd0
	v_lshl_add_u32 v6, v5, 2, v6
	ds_read_b32 v6, v6 offset:128
	s_waitcnt lgkmcnt(0)
	v_add_f32_e32 v3, v3, v6
	s_or_b64 exec, exec, s[2:3]
	s_and_saveexec_b64 s[2:3], vcc
	s_cbranch_execnz .LBB84_53
	s_branch .LBB84_54
	.section	.rodata,"a",@progbits
	.p2align	6, 0x0
	.amdhsa_kernel _ZN4vllm25paged_attention_v1_kernelIttLi96ELi16ELi128ELNS_18Fp8KVCacheDataTypeE0ELb0EEEvPT_PKS2_PKT0_S8_ifPKiSA_iPKfiiiSC_SC_iiiii
		.amdhsa_group_segment_fixed_size 208
		.amdhsa_private_segment_fixed_size 0
		.amdhsa_kernarg_size 384
		.amdhsa_user_sgpr_count 2
		.amdhsa_user_sgpr_dispatch_ptr 0
		.amdhsa_user_sgpr_queue_ptr 0
		.amdhsa_user_sgpr_kernarg_segment_ptr 1
		.amdhsa_user_sgpr_dispatch_id 0
		.amdhsa_user_sgpr_kernarg_preload_length 0
		.amdhsa_user_sgpr_kernarg_preload_offset 0
		.amdhsa_user_sgpr_private_segment_size 0
		.amdhsa_uses_dynamic_stack 0
		.amdhsa_enable_private_segment 0
		.amdhsa_system_sgpr_workgroup_id_x 1
		.amdhsa_system_sgpr_workgroup_id_y 1
		.amdhsa_system_sgpr_workgroup_id_z 1
		.amdhsa_system_sgpr_workgroup_info 0
		.amdhsa_system_vgpr_workitem_id 0
		.amdhsa_next_free_vgpr 54
		.amdhsa_next_free_sgpr 34
		.amdhsa_accum_offset 56
		.amdhsa_reserve_vcc 1
		.amdhsa_float_round_mode_32 0
		.amdhsa_float_round_mode_16_64 0
		.amdhsa_float_denorm_mode_32 3
		.amdhsa_float_denorm_mode_16_64 3
		.amdhsa_dx10_clamp 1
		.amdhsa_ieee_mode 1
		.amdhsa_fp16_overflow 0
		.amdhsa_tg_split 0
		.amdhsa_exception_fp_ieee_invalid_op 0
		.amdhsa_exception_fp_denorm_src 0
		.amdhsa_exception_fp_ieee_div_zero 0
		.amdhsa_exception_fp_ieee_overflow 0
		.amdhsa_exception_fp_ieee_underflow 0
		.amdhsa_exception_fp_ieee_inexact 0
		.amdhsa_exception_int_div_zero 0
	.end_amdhsa_kernel
	.section	.text._ZN4vllm25paged_attention_v1_kernelIttLi96ELi16ELi128ELNS_18Fp8KVCacheDataTypeE0ELb0EEEvPT_PKS2_PKT0_S8_ifPKiSA_iPKfiiiSC_SC_iiiii,"axG",@progbits,_ZN4vllm25paged_attention_v1_kernelIttLi96ELi16ELi128ELNS_18Fp8KVCacheDataTypeE0ELb0EEEvPT_PKS2_PKT0_S8_ifPKiSA_iPKfiiiSC_SC_iiiii,comdat
.Lfunc_end84:
	.size	_ZN4vllm25paged_attention_v1_kernelIttLi96ELi16ELi128ELNS_18Fp8KVCacheDataTypeE0ELb0EEEvPT_PKS2_PKT0_S8_ifPKiSA_iPKfiiiSC_SC_iiiii, .Lfunc_end84-_ZN4vllm25paged_attention_v1_kernelIttLi96ELi16ELi128ELNS_18Fp8KVCacheDataTypeE0ELb0EEEvPT_PKS2_PKT0_S8_ifPKiSA_iPKfiiiSC_SC_iiiii
                                        ; -- End function
	.section	.AMDGPU.csdata,"",@progbits
; Kernel info:
; codeLenInByte = 5264
; NumSgprs: 40
; NumVgprs: 54
; NumAgprs: 0
; TotalNumVgprs: 54
; ScratchSize: 0
; MemoryBound: 0
; FloatMode: 240
; IeeeMode: 1
; LDSByteSize: 208 bytes/workgroup (compile time only)
; SGPRBlocks: 4
; VGPRBlocks: 6
; NumSGPRsForWavesPerEU: 40
; NumVGPRsForWavesPerEU: 54
; AccumOffset: 56
; Occupancy: 8
; WaveLimiterHint : 1
; COMPUTE_PGM_RSRC2:SCRATCH_EN: 0
; COMPUTE_PGM_RSRC2:USER_SGPR: 2
; COMPUTE_PGM_RSRC2:TRAP_HANDLER: 0
; COMPUTE_PGM_RSRC2:TGID_X_EN: 1
; COMPUTE_PGM_RSRC2:TGID_Y_EN: 1
; COMPUTE_PGM_RSRC2:TGID_Z_EN: 1
; COMPUTE_PGM_RSRC2:TIDIG_COMP_CNT: 0
; COMPUTE_PGM_RSRC3_GFX90A:ACCUM_OFFSET: 13
; COMPUTE_PGM_RSRC3_GFX90A:TG_SPLIT: 0
	.section	.text._ZN4vllm25paged_attention_v1_kernelIttLi112ELi16ELi128ELNS_18Fp8KVCacheDataTypeE0ELb0EEEvPT_PKS2_PKT0_S8_ifPKiSA_iPKfiiiSC_SC_iiiii,"axG",@progbits,_ZN4vllm25paged_attention_v1_kernelIttLi112ELi16ELi128ELNS_18Fp8KVCacheDataTypeE0ELb0EEEvPT_PKS2_PKT0_S8_ifPKiSA_iPKfiiiSC_SC_iiiii,comdat
	.protected	_ZN4vllm25paged_attention_v1_kernelIttLi112ELi16ELi128ELNS_18Fp8KVCacheDataTypeE0ELb0EEEvPT_PKS2_PKT0_S8_ifPKiSA_iPKfiiiSC_SC_iiiii ; -- Begin function _ZN4vllm25paged_attention_v1_kernelIttLi112ELi16ELi128ELNS_18Fp8KVCacheDataTypeE0ELb0EEEvPT_PKS2_PKT0_S8_ifPKiSA_iPKfiiiSC_SC_iiiii
	.globl	_ZN4vllm25paged_attention_v1_kernelIttLi112ELi16ELi128ELNS_18Fp8KVCacheDataTypeE0ELb0EEEvPT_PKS2_PKT0_S8_ifPKiSA_iPKfiiiSC_SC_iiiii
	.p2align	8
	.type	_ZN4vllm25paged_attention_v1_kernelIttLi112ELi16ELi128ELNS_18Fp8KVCacheDataTypeE0ELb0EEEvPT_PKS2_PKT0_S8_ifPKiSA_iPKfiiiSC_SC_iiiii,@function
_ZN4vllm25paged_attention_v1_kernelIttLi112ELi16ELi128ELNS_18Fp8KVCacheDataTypeE0ELb0EEEvPT_PKS2_PKT0_S8_ifPKiSA_iPKfiiiSC_SC_iiiii: ; @_ZN4vllm25paged_attention_v1_kernelIttLi112ELi16ELi128ELNS_18Fp8KVCacheDataTypeE0ELb0EEEvPT_PKS2_PKT0_S8_ifPKiSA_iPKfiiiSC_SC_iiiii
; %bb.0:
	s_load_dword s5, s[0:1], 0x80
	s_load_dwordx2 s[6:7], s[0:1], 0x30
	s_load_dwordx2 s[8:9], s[0:1], 0x20
	s_mov_b32 s10, s3
	s_ashr_i32 s11, s3, 31
	s_lshl_b64 s[12:13], s[10:11], 2
	s_waitcnt lgkmcnt(0)
	s_add_u32 s6, s6, s12
	s_addc_u32 s7, s7, s13
	s_abs_i32 s3, s8
	v_cvt_f32_u32_e32 v1, s3
	s_sub_i32 s12, 0, s3
	s_abs_i32 s11, s5
	s_xor_b32 s8, s5, s8
	v_rcp_iflag_f32_e32 v1, v1
	s_ashr_i32 s8, s8, 31
	v_mul_f32_e32 v1, 0x4f7ffffe, v1
	v_cvt_u32_f32_e32 v1, v1
	s_nop 0
	v_readfirstlane_b32 s13, v1
	s_mul_i32 s12, s12, s13
	s_mul_hi_u32 s12, s13, s12
	s_add_i32 s13, s13, s12
	s_mul_hi_u32 s12, s11, s13
	s_mul_i32 s13, s12, s3
	s_sub_i32 s11, s11, s13
	s_add_i32 s13, s12, 1
	s_sub_i32 s14, s11, s3
	s_cmp_ge_u32 s11, s3
	s_cselect_b32 s12, s13, s12
	s_cselect_b32 s11, s14, s11
	s_add_i32 s13, s12, 1
	s_cmp_ge_u32 s11, s3
	s_cselect_b32 s3, s13, s12
	s_xor_b32 s3, s3, s8
	s_sub_i32 s16, s3, s8
	s_abs_i32 s11, s16
	v_cvt_f32_u32_e32 v1, s11
	s_load_dwordx2 s[12:13], s[0:1], 0x40
	s_sub_i32 s3, 0, s11
	s_abs_i32 s18, s2
	v_rcp_iflag_f32_e32 v1, v1
	s_mov_b32 s8, 0
	v_mul_f32_e32 v1, 0x4f7ffffe, v1
	v_cvt_u32_f32_e32 v1, v1
	s_nop 0
	v_readfirstlane_b32 s14, v1
	s_mul_i32 s3, s3, s14
	s_mul_hi_u32 s3, s14, s3
	s_add_i32 s14, s14, s3
	s_waitcnt lgkmcnt(0)
	s_cmp_eq_u64 s[12:13], 0
	s_mul_hi_u32 s19, s18, s14
	s_cbranch_scc1 .LBB85_2
; %bb.1:
	s_ashr_i32 s3, s2, 31
	s_lshl_b64 s[14:15], s[2:3], 2
	s_add_u32 s12, s12, s14
	s_addc_u32 s13, s13, s15
	s_load_dword s8, s[12:13], 0x0
.LBB85_2:
	s_load_dword s33, s[6:7], 0x0
	s_nop 0
	s_load_dwordx4 s[12:15], s[0:1], 0x48
	s_ashr_i32 s6, s2, 31
	s_ashr_i32 s7, s16, 31
	v_and_b32_e32 v4, 3, v0
	s_mul_i32 s16, s2, 0x70
	v_cmp_gt_u32_e32 vcc, 56, v0
	s_and_saveexec_b64 s[2:3], vcc
	s_cbranch_execz .LBB85_4
; %bb.3:
	s_load_dwordx2 s[20:21], s[0:1], 0x8
	s_waitcnt lgkmcnt(0)
	s_mul_i32 s22, s10, s12
	s_ashr_i32 s23, s22, 31
	s_lshl_b64 s[22:23], s[22:23], 1
	v_lshlrev_b32_e32 v1, 2, v0
	s_add_u32 s12, s20, s22
	s_addc_u32 s15, s21, s23
	s_ashr_i32 s17, s16, 31
	s_lshl_b64 s[20:21], s[16:17], 1
	s_add_u32 s20, s12, s20
	s_addc_u32 s21, s15, s21
	global_load_dword v1, v1, s[20:21]
	v_and_b32_e32 v2, 0x3fc, v0
	v_mad_u32_u24 v2, v4, 56, v2
	s_waitcnt vmcnt(0)
	ds_write_b32 v2, v1
.LBB85_4:
	s_or_b64 exec, exec, s[2:3]
	s_waitcnt lgkmcnt(0)
	s_add_i32 s3, s33, 15
	s_ashr_i32 s12, s3, 31
	s_lshr_b32 s12, s12, 28
	s_add_i32 s3, s3, s12
	s_ashr_i32 s17, s3, 4
	s_xor_b32 s3, s6, s7
	s_mul_i32 s6, s19, s11
	s_sub_i32 s6, s18, s6
	s_add_i32 s7, s19, 1
	s_sub_i32 s12, s6, s11
	s_load_dwordx2 s[20:21], s[0:1], 0x28
	s_load_dword s2, s[0:1], 0x38
	s_cmp_ge_u32 s6, s11
	s_cselect_b32 s7, s7, s19
	s_cselect_b32 s6, s12, s6
	s_add_i32 s12, s7, 1
	s_cmp_ge_u32 s6, s11
	s_cselect_b32 s6, s12, s7
	v_lshrrev_b32_e32 v1, 6, v0
	s_xor_b32 s6, s6, s3
	s_waitcnt lgkmcnt(0)
	s_mul_i32 s22, s10, s2
	s_sub_i32 s12, s6, s3
	s_ashr_i32 s23, s22, 31
	v_cmp_gt_i32_e64 s[6:7], s17, v1
	v_cmp_le_i32_e32 vcc, s17, v1
	v_mbcnt_lo_u32_b32 v13, -1, 0
	s_barrier
	s_waitcnt lgkmcnt(0)
                                        ; implicit-def: $sgpr15
                                        ; implicit-def: $vgpr7
                                        ; implicit-def: $vgpr8
	s_and_saveexec_b64 s[2:3], vcc
	s_xor_b64 s[2:3], exec, s[2:3]
; %bb.5:
	v_mbcnt_hi_u32_b32 v7, -1, v13
	v_and_b32_e32 v2, 64, v7
	v_add_u32_e32 v8, 64, v2
	s_mov_b32 s15, 0xff7fffff
                                        ; implicit-def: $vgpr4
                                        ; implicit-def: $vgpr13
; %bb.6:
	s_or_saveexec_b64 s[26:27], s[2:3]
	s_load_dwordx2 s[18:19], s[0:1], 0x0
	s_load_dwordx2 s[24:25], s[0:1], 0x18
	s_load_dword s11, s[0:1], 0x88
	v_mov_b32_e32 v9, s15
	s_mul_i32 s14, s12, s14
	v_lshrrev_b32_e32 v6, 4, v0
	s_xor_b64 exec, exec, s[26:27]
	s_cbranch_execz .LBB85_12
; %bb.7:
	s_load_dwordx2 s[0:1], s[0:1], 0x10
	s_ashr_i32 s15, s14, 31
	s_lshl_b64 s[2:3], s[14:15], 1
	v_bfe_u32 v5, v0, 2, 4
	v_lshlrev_b32_e32 v8, 4, v5
	s_waitcnt lgkmcnt(0)
	s_add_u32 s0, s0, s2
	s_addc_u32 s1, s1, s3
	v_mov_b32_e32 v9, 0
	v_lshl_add_u64 v[2:3], s[0:1], 0, v[8:9]
	v_lshlrev_b32_e32 v7, 2, v0
	s_sub_i32 s15, 1, s33
	s_lshl_b64 s[0:1], s[22:23], 2
	v_and_b32_e32 v8, 12, v7
	v_mul_u32_u24_e32 v10, 56, v4
	v_cmp_eq_u32_e32 vcc, 0, v4
	v_lshlrev_b32_e32 v4, 2, v5
	s_add_u32 s0, s20, s0
	v_lshl_add_u64 v[2:3], v[2:3], 0, v[8:9]
	v_lshl_or_b32 v4, v1, 6, v4
	v_and_b32_e32 v8, 60, v6
	s_addc_u32 s1, s21, s1
	v_mbcnt_hi_u32_b32 v7, -1, v13
	v_lshl_or_b32 v11, v1, 4, v5
	v_add_u32_e32 v12, 0xf0, v4
	v_lshl_add_u64 v[4:5], s[0:1], 0, v[8:9]
	v_and_b32_e32 v8, 64, v7
	s_mov_b32 s12, s13
	v_cmp_neq_f32_e64 s[2:3], s8, 0
	s_mov_b64 s[28:29], 0
	v_mov_b32_e32 v9, 0xff7fffff
	v_add_u32_e32 v8, 64, v8
	v_xor_b32_e32 v13, 2, v7
	v_xor_b32_e32 v14, 1, v7
	v_mov_b32_e32 v15, v1
	s_branch .LBB85_9
.LBB85_8:                               ;   in Loop: Header=BB85_9 Depth=1
	s_or_b64 exec, exec, s[30:31]
	v_add_u32_e32 v15, 2, v15
	v_cmp_le_i32_e64 s[0:1], s17, v15
	v_add_u32_e32 v11, 32, v11
	v_add_u32_e32 v12, 0x80, v12
	s_or_b64 s[28:29], s[0:1], s[28:29]
	v_lshl_add_u64 v[4:5], v[4:5], 0, 8
	s_andn2_b64 exec, exec, s[28:29]
	s_cbranch_execz .LBB85_11
.LBB85_9:                               ; =>This Inner Loop Header: Depth=1
	global_load_dword v16, v[4:5], off
	s_waitcnt vmcnt(0) lgkmcnt(0)
	v_mad_i64_i32 v[16:17], s[0:1], v16, s12, 0
	v_lshl_add_u64 v[16:17], v[16:17], 1, v[2:3]
	global_load_dword v18, v[16:17], off
	global_load_dword v19, v[16:17], off offset:256
	global_load_dword v20, v[16:17], off offset:512
	;; [unrolled: 1-line block ×12, first 2 shown]
	ds_read_b32 v31, v10
	global_load_dword v16, v[16:17], off offset:3328
	v_cmp_lt_i32_e64 s[0:1], v13, v8
	s_waitcnt lgkmcnt(0)
	v_lshrrev_b32_e32 v32, 16, v31
	v_and_b32_e32 v31, 0xffff, v31
	;;#ASMSTART
	v_cvt_f32_f16 v31, v31;
	;;#ASMEND
	;;#ASMSTART
	v_cvt_f32_f16 v32, v32;
	;;#ASMEND
	v_cndmask_b32_e64 v17, v7, v13, s[0:1]
	v_lshlrev_b32_e32 v17, 2, v17
	v_cmp_lt_i32_e64 s[0:1], v14, v8
	s_waitcnt vmcnt(13)
	v_lshrrev_b32_e32 v33, 16, v18
	v_and_b32_e32 v18, 0xffff, v18
	;;#ASMSTART
	v_cvt_f32_f16 v18, v18;
	;;#ASMEND
	;;#ASMSTART
	v_cvt_f32_f16 v33, v33;
	;;#ASMEND
	ds_read_b32 v34, v10 offset:4
	s_waitcnt vmcnt(12)
	v_lshrrev_b32_e32 v35, 16, v19
	v_and_b32_e32 v19, 0xffff, v19
	s_waitcnt vmcnt(11)
	v_lshrrev_b32_e32 v36, 16, v20
	v_and_b32_e32 v20, 0xffff, v20
	s_waitcnt lgkmcnt(0)
	v_lshrrev_b32_e32 v37, 16, v34
	v_and_b32_e32 v34, 0xffff, v34
	;;#ASMSTART
	v_cvt_f32_f16 v34, v34;
	;;#ASMEND
	;;#ASMSTART
	v_cvt_f32_f16 v37, v37;
	;;#ASMEND
	;;#ASMSTART
	v_cvt_f32_f16 v19, v19;
	;;#ASMEND
	;;#ASMSTART
	v_cvt_f32_f16 v35, v35;
	;;#ASMEND
	ds_read_b32 v38, v10 offset:8
	s_waitcnt vmcnt(10)
	v_lshrrev_b32_e32 v39, 16, v21
	v_and_b32_e32 v21, 0xffff, v21
	s_waitcnt vmcnt(9)
	v_lshrrev_b32_e32 v40, 16, v22
	v_and_b32_e32 v22, 0xffff, v22
	s_waitcnt lgkmcnt(0)
	v_lshrrev_b32_e32 v41, 16, v38
	v_and_b32_e32 v38, 0xffff, v38
	;;#ASMSTART
	v_cvt_f32_f16 v38, v38;
	;;#ASMEND
	;;#ASMSTART
	v_cvt_f32_f16 v41, v41;
	;;#ASMEND
	;; [unrolled: 22-line block ×3, first 2 shown]
	;;#ASMSTART
	v_cvt_f32_f16 v21, v21;
	;;#ASMEND
	;;#ASMSTART
	v_cvt_f32_f16 v39, v39;
	;;#ASMEND
	ds_read_b32 v46, v10 offset:16
	s_waitcnt vmcnt(6)
	v_lshrrev_b32_e32 v47, 16, v25
	v_and_b32_e32 v25, 0xffff, v25
	v_mul_f32_e32 v19, v34, v19
	v_mul_f32_e32 v34, v37, v35
	s_waitcnt lgkmcnt(0)
	v_lshrrev_b32_e32 v49, 16, v46
	v_and_b32_e32 v46, 0xffff, v46
	;;#ASMSTART
	v_cvt_f32_f16 v46, v46;
	;;#ASMEND
	;;#ASMSTART
	v_cvt_f32_f16 v49, v49;
	;;#ASMEND
	;; [unrolled: 3-line block ×4, first 2 shown]
	ds_read_b32 v50, v10 offset:20
	v_fmac_f32_e32 v19, v31, v18
	s_waitcnt vmcnt(5)
	v_lshrrev_b32_e32 v48, 16, v26
	v_and_b32_e32 v26, 0xffff, v26
	v_fmac_f32_e32 v19, v38, v20
	s_waitcnt lgkmcnt(0)
	v_lshrrev_b32_e32 v53, 16, v50
	v_and_b32_e32 v50, 0xffff, v50
	;;#ASMSTART
	v_cvt_f32_f16 v50, v50;
	;;#ASMEND
	;;#ASMSTART
	v_cvt_f32_f16 v53, v53;
	;;#ASMEND
	;; [unrolled: 3-line block ×4, first 2 shown]
	ds_read_b32 v54, v10 offset:24
	v_fmac_f32_e32 v34, v32, v33
	v_fmac_f32_e32 v19, v42, v21
	s_waitcnt vmcnt(4)
	v_lshrrev_b32_e32 v51, 16, v27
	v_and_b32_e32 v27, 0xffff, v27
	s_waitcnt lgkmcnt(0)
	v_lshrrev_b32_e32 v57, 16, v54
	v_and_b32_e32 v54, 0xffff, v54
	;;#ASMSTART
	v_cvt_f32_f16 v54, v54;
	;;#ASMEND
	;;#ASMSTART
	v_cvt_f32_f16 v57, v57;
	;;#ASMEND
	;; [unrolled: 3-line block ×4, first 2 shown]
	ds_read_b32 v58, v10 offset:28
	v_fmac_f32_e32 v19, v46, v22
	v_fmac_f32_e32 v19, v50, v23
	s_waitcnt vmcnt(3)
	v_lshrrev_b32_e32 v52, 16, v28
	v_and_b32_e32 v28, 0xffff, v28
	s_waitcnt lgkmcnt(0)
	v_lshrrev_b32_e32 v35, 16, v58
	v_and_b32_e32 v37, 0xffff, v58
	;;#ASMSTART
	v_cvt_f32_f16 v37, v37;
	;;#ASMEND
	;;#ASMSTART
	v_cvt_f32_f16 v35, v35;
	;;#ASMEND
	;; [unrolled: 3-line block ×4, first 2 shown]
	ds_read_b32 v58, v10 offset:32
	v_fmac_f32_e32 v34, v41, v36
	v_fmac_f32_e32 v19, v54, v24
	;; [unrolled: 1-line block ×4, first 2 shown]
	s_waitcnt lgkmcnt(0)
	v_lshrrev_b32_e32 v18, 16, v58
	v_and_b32_e32 v20, 0xffff, v58
	;;#ASMSTART
	v_cvt_f32_f16 v20, v20;
	;;#ASMEND
	;;#ASMSTART
	v_cvt_f32_f16 v18, v18;
	;;#ASMEND
	;; [unrolled: 3-line block ×4, first 2 shown]
	ds_read_b32 v32, v10 offset:36
	v_fmac_f32_e32 v34, v53, v43
	v_fmac_f32_e32 v34, v57, v44
	;; [unrolled: 1-line block ×4, first 2 shown]
	s_waitcnt lgkmcnt(0)
	v_lshrrev_b32_e32 v21, 16, v32
	v_and_b32_e32 v22, 0xffff, v32
	;;#ASMSTART
	v_cvt_f32_f16 v22, v22;
	;;#ASMEND
	;;#ASMSTART
	v_cvt_f32_f16 v21, v21;
	;;#ASMEND
	;; [unrolled: 3-line block ×4, first 2 shown]
	ds_read_b32 v33, v10 offset:40
	s_waitcnt vmcnt(2)
	v_lshrrev_b32_e32 v55, 16, v29
	v_and_b32_e32 v29, 0xffff, v29
	v_fmac_f32_e32 v19, v20, v26
	v_fmac_f32_e32 v34, v18, v31
	s_waitcnt lgkmcnt(0)
	v_lshrrev_b32_e32 v23, 16, v33
	v_and_b32_e32 v24, 0xffff, v33
	;;#ASMSTART
	v_cvt_f32_f16 v24, v24;
	;;#ASMEND
	;;#ASMSTART
	v_cvt_f32_f16 v23, v23;
	;;#ASMEND
	;; [unrolled: 3-line block ×4, first 2 shown]
	ds_read_b32 v36, v10 offset:44
	v_fmac_f32_e32 v19, v22, v27
	v_fmac_f32_e32 v34, v21, v32
	s_waitcnt vmcnt(1)
	v_lshrrev_b32_e32 v56, 16, v30
	v_and_b32_e32 v30, 0xffff, v30
	s_waitcnt lgkmcnt(0)
	v_lshrrev_b32_e32 v18, 16, v36
	v_and_b32_e32 v20, 0xffff, v36
	;;#ASMSTART
	v_cvt_f32_f16 v20, v20;
	;;#ASMEND
	;;#ASMSTART
	v_cvt_f32_f16 v18, v18;
	;;#ASMEND
	;;#ASMSTART
	v_cvt_f32_f16 v25, v29;
	;;#ASMEND
	;;#ASMSTART
	v_cvt_f32_f16 v26, v55;
	;;#ASMEND
	ds_read_b32 v29, v10 offset:48
	v_fmac_f32_e32 v19, v24, v28
	v_fmac_f32_e32 v34, v23, v33
	;; [unrolled: 1-line block ×4, first 2 shown]
	s_waitcnt lgkmcnt(0)
	v_lshrrev_b32_e32 v21, 16, v29
	v_and_b32_e32 v22, 0xffff, v29
	;;#ASMSTART
	v_cvt_f32_f16 v22, v22;
	;;#ASMEND
	;;#ASMSTART
	v_cvt_f32_f16 v21, v21;
	;;#ASMEND
	;;#ASMSTART
	v_cvt_f32_f16 v23, v30;
	;;#ASMEND
	;;#ASMSTART
	v_cvt_f32_f16 v24, v56;
	;;#ASMEND
	ds_read_b32 v27, v10 offset:52
	s_waitcnt vmcnt(0)
	v_lshrrev_b32_e32 v59, 16, v16
	v_and_b32_e32 v16, 0xffff, v16
	v_fmac_f32_e32 v19, v22, v23
	v_fmac_f32_e32 v34, v21, v24
	s_waitcnt lgkmcnt(0)
	v_lshrrev_b32_e32 v18, 16, v27
	v_and_b32_e32 v20, 0xffff, v27
	;;#ASMSTART
	v_cvt_f32_f16 v20, v20;
	;;#ASMEND
	;;#ASMSTART
	v_cvt_f32_f16 v18, v18;
	;;#ASMEND
	;; [unrolled: 3-line block ×4, first 2 shown]
	s_nop 0
	v_fmac_f32_e32 v19, v20, v16
	v_fmac_f32_e32 v34, v18, v21
	v_add_f32_e32 v16, v19, v34
	ds_bpermute_b32 v17, v17, v16
	v_cndmask_b32_e64 v18, v7, v14, s[0:1]
	s_waitcnt lgkmcnt(0)
	v_add_f32_e32 v16, v16, v17
	v_lshlrev_b32_e32 v17, 2, v18
	ds_bpermute_b32 v17, v17, v16
	s_and_saveexec_b64 s[30:31], vcc
	s_cbranch_execz .LBB85_8
; %bb.10:                               ;   in Loop: Header=BB85_9 Depth=1
	v_add_u32_e32 v18, s15, v11
	v_cvt_f32_i32_e32 v18, v18
	s_waitcnt lgkmcnt(0)
	v_add_f32_e32 v16, v16, v17
	v_cmp_gt_i32_e64 s[0:1], s33, v11
	v_max_f32_e32 v17, v9, v9
	v_mul_f32_e32 v18, s8, v18
	v_cndmask_b32_e64 v18, 0, v18, s[2:3]
	v_fmac_f32_e32 v18, s9, v16
	v_cndmask_b32_e64 v16, 0, v18, s[0:1]
	ds_write_b32 v12, v16
	v_max_f32_e32 v16, v17, v18
	v_cndmask_b32_e64 v9, v9, v16, s[0:1]
	s_branch .LBB85_8
.LBB85_11:
	s_or_b64 exec, exec, s[28:29]
.LBB85_12:
	s_or_b64 exec, exec, s[26:27]
	v_xor_b32_e32 v2, 32, v7
	v_cmp_lt_i32_e32 vcc, v2, v8
	v_xor_b32_e32 v5, 16, v7
	v_max_f32_e32 v4, v9, v9
	v_cndmask_b32_e32 v2, v7, v2, vcc
	v_lshlrev_b32_e32 v2, 2, v2
	ds_bpermute_b32 v3, v2, v9
	v_cmp_lt_i32_e32 vcc, v5, v8
	v_xor_b32_e32 v9, 8, v7
	v_xor_b32_e32 v11, 4, v7
	s_waitcnt lgkmcnt(0)
	v_max_f32_e32 v3, v3, v3
	v_max_f32_e32 v4, v4, v3
	v_cndmask_b32_e32 v3, v7, v5, vcc
	v_lshlrev_b32_e32 v3, 2, v3
	ds_bpermute_b32 v5, v3, v4
	v_cmp_lt_i32_e32 vcc, v9, v8
	s_waitcnt lgkmcnt(0)
	v_max_f32_e32 v5, v5, v5
	v_max_f32_e32 v4, v4, v5
	v_cndmask_b32_e32 v5, v7, v9, vcc
	v_lshlrev_b32_e32 v10, 2, v5
	ds_bpermute_b32 v5, v10, v4
	v_cmp_lt_i32_e32 vcc, v11, v8
	s_waitcnt lgkmcnt(0)
	v_max_f32_e32 v5, v5, v5
	v_max_f32_e32 v9, v4, v5
	v_cndmask_b32_e32 v4, v7, v11, vcc
	v_lshlrev_b32_e32 v11, 2, v4
	ds_bpermute_b32 v12, v11, v9
	v_and_b32_e32 v4, 63, v0
	v_cmp_eq_u32_e32 vcc, 0, v4
	v_lshlrev_b32_e32 v5, 2, v1
	s_and_saveexec_b64 s[0:1], vcc
	s_cbranch_execz .LBB85_14
; %bb.13:
	s_waitcnt lgkmcnt(0)
	v_max_f32_e32 v12, v12, v12
	v_max_f32_e32 v9, v9, v9
	;; [unrolled: 1-line block ×3, first 2 shown]
	ds_write_b32 v5, v9 offset:224
.LBB85_14:
	s_or_b64 exec, exec, s[0:1]
	v_cmp_gt_u32_e64 s[0:1], 2, v4
	s_waitcnt lgkmcnt(0)
	v_mov_b32_e32 v12, 0xff7fffff
	v_lshlrev_b32_e32 v9, 2, v4
	s_barrier
	s_and_saveexec_b64 s[2:3], s[0:1]
	s_cbranch_execz .LBB85_16
; %bb.15:
	ds_read_b32 v12, v9 offset:224
.LBB85_16:
	s_or_b64 exec, exec, s[2:3]
	v_xor_b32_e32 v13, 1, v7
	v_cmp_lt_i32_e64 s[2:3], v13, v8
	v_lshlrev_b32_e32 v14, 2, v7
	s_nop 0
	v_cndmask_b32_e64 v13, v7, v13, s[2:3]
	v_lshlrev_b32_e32 v20, 2, v13
	s_waitcnt lgkmcnt(0)
	ds_bpermute_b32 v13, v20, v12
	v_max_f32_e32 v12, v12, v12
	s_lshl_b32 s2, s17, 4
	s_min_i32 s12, s2, s33
	v_cmp_gt_i32_e64 s[2:3], s12, v0
	s_waitcnt lgkmcnt(0)
	v_max_f32_e32 v13, v13, v13
	v_max_f32_e32 v13, v12, v13
	v_and_b32_e32 v12, 0xffffff00, v14
	ds_bpermute_b32 v14, v12, v13
	v_mov_b32_e32 v13, 0
	s_and_saveexec_b64 s[26:27], s[2:3]
	s_cbranch_execz .LBB85_20
; %bb.17:
	v_mov_b32_e32 v13, 0xf0
	v_lshl_add_u32 v15, v0, 2, v13
	s_mov_b64 s[28:29], 0
	v_mov_b32_e32 v13, 0
	v_mov_b32_e32 v16, v0
.LBB85_18:                              ; =>This Inner Loop Header: Depth=1
	ds_read_b32 v17, v15
	v_add_u32_e32 v16, 0x80, v16
	v_cmp_le_i32_e64 s[8:9], s12, v16
	s_or_b64 s[28:29], s[8:9], s[28:29]
	s_waitcnt lgkmcnt(0)
	v_sub_f32_e32 v17, v17, v14
	v_mul_f32_e32 v17, 0x3fb8aa3b, v17
	v_exp_f32_e32 v17, v17
	ds_write_b32 v15, v17
	v_add_f32_e32 v13, v13, v17
	v_add_u32_e32 v15, 0x200, v15
	s_andn2_b64 exec, exec, s[28:29]
	s_cbranch_execnz .LBB85_18
; %bb.19:
	s_or_b64 exec, exec, s[28:29]
.LBB85_20:
	s_or_b64 exec, exec, s[26:27]
	ds_bpermute_b32 v2, v2, v13
	s_waitcnt lgkmcnt(0)
	v_add_f32_e32 v2, v13, v2
	ds_bpermute_b32 v3, v3, v2
	s_waitcnt lgkmcnt(0)
	v_add_f32_e32 v2, v2, v3
	ds_bpermute_b32 v3, v10, v2
	v_xor_b32_e32 v10, 2, v7
	v_cmp_lt_i32_e64 s[8:9], v10, v8
	s_waitcnt lgkmcnt(0)
	v_add_f32_e32 v2, v2, v3
	ds_bpermute_b32 v3, v11, v2
	v_cndmask_b32_e64 v7, v7, v10, s[8:9]
	s_waitcnt lgkmcnt(0)
	v_add_f32_e32 v2, v2, v3
	v_lshlrev_b32_e32 v3, 2, v7
	ds_bpermute_b32 v3, v3, v2
	s_waitcnt lgkmcnt(0)
	v_add_f32_e32 v2, v2, v3
	ds_bpermute_b32 v3, v20, v2
	s_waitcnt lgkmcnt(0)
	v_add_f32_e32 v2, v2, v3
	s_and_saveexec_b64 s[8:9], vcc
	s_cbranch_execz .LBB85_22
; %bb.21:
	ds_write_b32 v5, v2 offset:232
.LBB85_22:
	s_or_b64 exec, exec, s[8:9]
	s_waitcnt lgkmcnt(0)
	s_barrier
	s_and_saveexec_b64 s[8:9], s[0:1]
	s_cbranch_execz .LBB85_24
; %bb.23:
	ds_read_b32 v2, v9 offset:232
.LBB85_24:
	s_or_b64 exec, exec, s[8:9]
	s_waitcnt lgkmcnt(0)
	ds_bpermute_b32 v3, v20, v2
	s_waitcnt lgkmcnt(0)
	v_add_f32_e32 v2, v2, v3
	ds_bpermute_b32 v2, v12, v2
	s_and_saveexec_b64 s[0:1], s[2:3]
	s_cbranch_execz .LBB85_37
; %bb.25:
	s_waitcnt lgkmcnt(0)
	v_add_f32_e32 v2, 0x358637bd, v2
	v_div_scale_f32 v3, s[2:3], v2, v2, 1.0
	v_rcp_f32_e32 v5, v3
	v_div_scale_f32 v7, vcc, 1.0, v2, 1.0
	s_movk_i32 s2, 0x7f
	v_fma_f32 v8, -v3, v5, 1.0
	v_fmac_f32_e32 v5, v8, v5
	v_mul_f32_e32 v8, v7, v5
	v_fma_f32 v9, -v3, v8, v7
	v_fmac_f32_e32 v8, v9, v5
	v_fma_f32 v3, -v3, v8, v7
	v_div_fmas_f32 v3, v3, v5, v8
	v_xad_u32 v5, v0, -1, s12
	v_div_fixup_f32 v2, v3, v2, 1.0
	v_cmp_lt_u32_e32 vcc, s2, v5
	s_mov_b64 s[8:9], -1
	v_mov_b32_e32 v3, v0
	s_and_saveexec_b64 s[2:3], vcc
	s_cbranch_execz .LBB85_34
; %bb.26:
	v_lshrrev_b32_e32 v5, 7, v5
	v_add_u32_e32 v8, -1, v5
	v_lshrrev_b32_e32 v7, 1, v8
	v_mov_b32_e32 v3, v2
	v_add_u32_e32 v7, 1, v7
	v_cmp_lt_u32_e32 vcc, 13, v8
	v_mov_b32_e32 v10, 0
	s_and_saveexec_b64 s[8:9], vcc
	s_cbranch_execz .LBB85_30
; %bb.27:
	v_mov_b32_e32 v9, 0xf0
	v_and_b32_e32 v8, -8, v7
	v_lshl_add_u32 v9, v0, 2, v9
	s_mov_b32 s15, 0
	s_mov_b64 s[26:27], 0
.LBB85_28:                              ; =>This Inner Loop Header: Depth=1
	ds_read2st64_b32 v[10:11], v9 offset1:2
	ds_read2st64_b32 v[12:13], v9 offset0:4 offset1:6
	ds_read2st64_b32 v[14:15], v9 offset0:8 offset1:10
	;; [unrolled: 1-line block ×3, first 2 shown]
	v_add_u32_e32 v8, -8, v8
	s_waitcnt lgkmcnt(3)
	v_pk_mul_f32 v[10:11], v[2:3], v[10:11]
	s_waitcnt lgkmcnt(2)
	v_pk_mul_f32 v[12:13], v[2:3], v[12:13]
	ds_write2st64_b32 v9, v10, v11 offset1:2
	ds_write2st64_b32 v9, v12, v13 offset0:4 offset1:6
	ds_read2st64_b32 v[12:13], v9 offset0:16 offset1:18
	s_waitcnt lgkmcnt(4)
	v_pk_mul_f32 v[10:11], v[2:3], v[14:15]
	ds_write2st64_b32 v9, v10, v11 offset0:8 offset1:10
	s_waitcnt lgkmcnt(4)
	v_pk_mul_f32 v[10:11], v[2:3], v[16:17]
	ds_write2st64_b32 v9, v10, v11 offset0:12 offset1:14
	ds_read2st64_b32 v[10:11], v9 offset0:20 offset1:22
	s_waitcnt lgkmcnt(3)
	v_pk_mul_f32 v[12:13], v[2:3], v[12:13]
	ds_read2st64_b32 v[14:15], v9 offset0:24 offset1:26
	ds_write2st64_b32 v9, v12, v13 offset0:16 offset1:18
	ds_read2st64_b32 v[12:13], v9 offset0:28 offset1:30
	s_waitcnt lgkmcnt(3)
	v_pk_mul_f32 v[10:11], v[2:3], v[10:11]
	ds_write2st64_b32 v9, v10, v11 offset0:20 offset1:22
	s_waitcnt lgkmcnt(3)
	v_pk_mul_f32 v[10:11], v[2:3], v[14:15]
	ds_write2st64_b32 v9, v10, v11 offset0:24 offset1:26
	s_waitcnt lgkmcnt(2)
	v_pk_mul_f32 v[10:11], v[2:3], v[12:13]
	s_add_i32 s15, s15, 16
	v_cmp_eq_u32_e32 vcc, 0, v8
	ds_write2st64_b32 v9, v10, v11 offset0:28 offset1:30
	v_add_u32_e32 v9, 0x2000, v9
	s_or_b64 s[26:27], vcc, s[26:27]
	v_mov_b32_e32 v10, s15
	s_andn2_b64 exec, exec, s[26:27]
	s_cbranch_execnz .LBB85_28
; %bb.29:
	s_or_b64 exec, exec, s[26:27]
.LBB85_30:
	s_or_b64 exec, exec, s[8:9]
	v_and_b32_e32 v7, 7, v7
	v_cmp_ne_u32_e32 vcc, 0, v7
	s_and_saveexec_b64 s[8:9], vcc
	s_cbranch_execz .LBB85_33
; %bb.31:
	v_lshlrev_b32_e32 v8, 9, v10
	v_lshlrev_b32_e32 v9, 2, v0
	s_movk_i32 s15, 0xf0
	v_add3_u32 v8, v8, v9, s15
	s_mov_b64 s[26:27], 0
.LBB85_32:                              ; =>This Inner Loop Header: Depth=1
	ds_read2st64_b32 v[10:11], v8 offset1:2
	v_add_u32_e32 v7, -1, v7
	v_cmp_eq_u32_e32 vcc, 0, v7
	s_or_b64 s[26:27], vcc, s[26:27]
	s_waitcnt lgkmcnt(0)
	v_pk_mul_f32 v[10:11], v[2:3], v[10:11]
	ds_write2st64_b32 v8, v10, v11 offset1:2
	v_add_u32_e32 v8, 0x400, v8
	s_andn2_b64 exec, exec, s[26:27]
	s_cbranch_execnz .LBB85_32
.LBB85_33:
	s_or_b64 exec, exec, s[8:9]
	v_add_u32_e32 v5, 1, v5
	v_and_b32_e32 v7, 0x3fffffe, v5
	v_cmp_ne_u32_e32 vcc, v5, v7
	v_lshl_add_u32 v3, v7, 7, v0
	s_orn2_b64 s[8:9], vcc, exec
.LBB85_34:
	s_or_b64 exec, exec, s[2:3]
	s_and_b64 exec, exec, s[8:9]
	s_cbranch_execz .LBB85_37
; %bb.35:
	v_mov_b32_e32 v5, 0xf0
	v_lshl_add_u32 v5, v3, 2, v5
	s_mov_b64 s[2:3], 0
.LBB85_36:                              ; =>This Inner Loop Header: Depth=1
	ds_read_b32 v7, v5
	v_add_u32_e32 v3, 0x80, v3
	v_cmp_le_i32_e32 vcc, s12, v3
	s_or_b64 s[2:3], vcc, s[2:3]
	s_waitcnt lgkmcnt(0)
	v_mul_f32_e32 v7, v2, v7
	ds_write_b32 v5, v7
	v_add_u32_e32 v5, 0x200, v5
	s_andn2_b64 exec, exec, s[2:3]
	s_cbranch_execnz .LBB85_36
.LBB85_37:
	s_or_b64 exec, exec, s[0:1]
	v_mov_b32_e32 v9, 0
	v_lshrrev_b32_e32 v22, 1, v4
	v_and_b32_e32 v21, 1, v0
	v_mov_b32_e32 v8, v9
	v_mov_b32_e32 v11, v9
	;; [unrolled: 1-line block ×3, first 2 shown]
	s_waitcnt lgkmcnt(0)
	s_barrier
	s_and_saveexec_b64 s[8:9], s[6:7]
	s_cbranch_execz .LBB85_51
; %bb.38:
	s_ashr_i32 s15, s14, 31
	s_lshl_b64 s[0:1], s[14:15], 1
	v_lshlrev_b32_e32 v2, 3, v0
	s_add_u32 s6, s24, s0
	v_or_b32_e32 v4, 0x60, v22
	s_movk_i32 s0, 0x70
	v_and_b32_e32 v3, 8, v2
	s_addc_u32 s7, s25, s1
	s_add_i32 s24, s17, -1
	v_cmp_gt_u32_e32 vcc, s0, v4
	s_lshl_b64 s[0:1], s[22:23], 2
	v_lshl_or_b32 v2, v22, 4, v3
	v_lshl_or_b32 v4, v4, 4, v3
	;; [unrolled: 1-line block ×3, first 2 shown]
	v_lshlrev_b32_e32 v3, 5, v21
	s_add_u32 s0, s20, s0
	v_mov_b32_e32 v7, 0
	v_lshl_or_b32 v3, v1, 6, v3
	v_and_b32_e32 v6, 60, v6
	s_addc_u32 s1, s21, s1
	s_mov_b32 s26, s13
	s_mov_b32 s25, s33
	;; [unrolled: 1-line block ×8, first 2 shown]
	v_add_u32_e32 v24, 0xf0, v3
	v_lshl_add_u64 v[12:13], s[0:1], 0, v[6:7]
	s_mov_b64 s[12:13], 0
	v_lshlrev_b32_e32 v14, 1, v2
	v_mov_b32_e32 v15, v7
	s_mov_b32 s20, 0x5040100
	v_lshlrev_b32_e32 v6, 1, v4
	v_mov_b32_e32 v10, v7
	v_mov_b32_e32 v11, v7
	;; [unrolled: 1-line block ×4, first 2 shown]
	s_branch .LBB85_41
.LBB85_39:                              ;   in Loop: Header=BB85_41 Depth=1
	s_or_b64 exec, exec, s[14:15]
	s_waitcnt vmcnt(0)
	;;#ASMSTART
	v_pk_mul_f16 v2, v28, v2;

	;;#ASMEND
	;;#ASMSTART
	v_pk_mul_f16 v3, v27, v3;

	;;#ASMEND
	;; [unrolled: 4-line block ×4, first 2 shown]
	s_nop 0
	;;#ASMSTART
	v_pk_add_f16 v2, v2, v3;

	;;#ASMEND
	s_nop 0
	;;#ASMSTART
	v_pk_add_f16 v2, v2, v4;

	;;#ASMEND
	;; [unrolled: 5-line block ×3, first 2 shown]
	s_nop 0
	v_lshrrev_b32_e32 v3, 16, v2
	v_and_b32_e32 v2, 0xffff, v2
	;;#ASMSTART
	v_cvt_f32_f16 v2, v2;
	;;#ASMEND
	;;#ASMSTART
	v_cvt_f32_f16 v3, v3;
	;;#ASMEND
	s_nop 0
	v_add_f32_e32 v2, v2, v3
	v_add_f32_e32 v9, v9, v2
.LBB85_40:                              ;   in Loop: Header=BB85_41 Depth=1
	s_or_b64 exec, exec, s[2:3]
	v_add_u32_e32 v1, 2, v1
	v_cmp_le_i32_e64 s[0:1], s17, v1
	v_add_u32_e32 v23, 32, v23
	v_add_u32_e32 v24, 0x80, v24
	s_or_b64 s[12:13], s[0:1], s[12:13]
	v_lshl_add_u64 v[12:13], v[12:13], 0, 8
	s_andn2_b64 exec, exec, s[12:13]
	s_cbranch_execz .LBB85_50
.LBB85_41:                              ; =>This Inner Loop Header: Depth=1
	global_load_dword v28, v[12:13], off
	ds_read2_b64 v[2:5], v24 offset1:1
	ds_read2_b64 v[16:19], v24 offset0:2 offset1:3
	s_waitcnt lgkmcnt(1)
	;;#ASMSTART
	v_cvt_f16_f32 v25, v2;

	;;#ASMEND
	;;#ASMSTART
	v_cvt_f16_f32 v26, v3;

	;;#ASMEND
	;; [unrolled: 4-line block ×4, first 2 shown]
	s_waitcnt lgkmcnt(0)
	;;#ASMSTART
	v_cvt_f16_f32 v30, v16;

	;;#ASMEND
	;;#ASMSTART
	v_cvt_f16_f32 v31, v17;

	;;#ASMEND
	;; [unrolled: 4-line block ×4, first 2 shown]
	s_waitcnt vmcnt(0)
	v_mad_i64_i32 v[2:3], s[0:1], v28, s26, 0
	v_lshl_add_u64 v[16:17], v[2:3], 1, s[6:7]
	v_lshl_add_u64 v[18:19], v[16:17], 0, v[14:15]
	global_load_dwordx4 v[2:5], v[18:19], off
	v_cmp_eq_u32_e64 s[0:1], s24, v1
	s_and_saveexec_b64 s[14:15], s[0:1]
	s_cbranch_execz .LBB85_43
; %bb.42:                               ;   in Loop: Header=BB85_41 Depth=1
	v_or_b32_e32 v38, 7, v23
	v_or_b32_e32 v39, 6, v23
	s_waitcnt vmcnt(0)
	v_lshrrev_b32_e32 v40, 16, v5
	v_cmp_gt_i32_e64 s[2:3], s34, v38
	v_or_b32_e32 v36, 5, v23
	v_or_b32_e32 v37, 4, v23
	v_cndmask_b32_e64 v38, 0, v40, s[2:3]
	v_cmp_gt_i32_e64 s[2:3], s31, v39
	v_or_b32_e32 v34, 3, v23
	v_or_b32_e32 v35, 2, v23
	v_cndmask_b32_e64 v5, 0, v5, s[2:3]
	v_perm_b32 v5, v38, v5, s20
	v_lshrrev_b32_e32 v38, 16, v4
	v_cmp_gt_i32_e64 s[2:3], s30, v36
	v_add_u32_e32 v28, 1, v23
	s_nop 0
	v_cndmask_b32_e64 v36, 0, v38, s[2:3]
	v_cmp_gt_i32_e64 s[2:3], s29, v37
	s_nop 1
	v_cndmask_b32_e64 v4, 0, v4, s[2:3]
	v_perm_b32 v4, v36, v4, s20
	v_lshrrev_b32_e32 v36, 16, v3
	v_cmp_gt_i32_e64 s[2:3], s28, v34
	s_nop 1
	v_cndmask_b32_e64 v34, 0, v36, s[2:3]
	v_cmp_gt_i32_e64 s[2:3], s27, v35
	s_nop 1
	v_cndmask_b32_e64 v3, 0, v3, s[2:3]
	v_perm_b32 v3, v34, v3, s20
	v_lshrrev_b32_e32 v34, 16, v2
	v_cmp_gt_i32_e64 s[2:3], s25, v28
	s_nop 1
	v_cndmask_b32_e64 v28, 0, v34, s[2:3]
	v_cmp_gt_i32_e64 s[2:3], s33, v23
	s_nop 1
	v_cndmask_b32_e64 v2, 0, v2, s[2:3]
	v_perm_b32 v2, v28, v2, s20
.LBB85_43:                              ;   in Loop: Header=BB85_41 Depth=1
	s_or_b64 exec, exec, s[14:15]
	v_and_b32_e32 v25, 0xffff, v25
	v_lshl_or_b32 v28, v26, 16, v25
	v_and_b32_e32 v25, 0xffff, v27
	v_lshl_or_b32 v27, v29, 16, v25
	v_and_b32_e32 v25, 0xffff, v30
	v_lshl_or_b32 v26, v31, 16, v25
	v_and_b32_e32 v25, 0xffff, v32
	s_waitcnt vmcnt(0)
	;;#ASMSTART
	v_pk_mul_f16 v2, v28, v2;

	;;#ASMEND
	v_lshl_or_b32 v25, v33, 16, v25
	;;#ASMSTART
	v_pk_mul_f16 v3, v27, v3;

	;;#ASMEND
	;;#ASMSTART
	v_pk_mul_f16 v4, v26, v4;

	;;#ASMEND
	;; [unrolled: 4-line block ×3, first 2 shown]
	s_nop 0
	;;#ASMSTART
	v_pk_add_f16 v2, v2, v3;

	;;#ASMEND
	s_nop 0
	;;#ASMSTART
	v_pk_add_f16 v2, v2, v4;

	;;#ASMEND
	;; [unrolled: 5-line block ×3, first 2 shown]
	s_nop 0
	v_lshrrev_b32_e32 v3, 16, v2
	v_and_b32_e32 v2, 0xffff, v2
	;;#ASMSTART
	v_cvt_f32_f16 v29, v2;
	;;#ASMEND
	;;#ASMSTART
	v_cvt_f32_f16 v30, v3;
	;;#ASMEND
	global_load_dwordx4 v[2:5], v[18:19], off offset:1024
	s_and_saveexec_b64 s[14:15], s[0:1]
	s_cbranch_execz .LBB85_45
; %bb.44:                               ;   in Loop: Header=BB85_41 Depth=1
	v_or_b32_e32 v36, 7, v23
	v_or_b32_e32 v37, 6, v23
	s_waitcnt vmcnt(0)
	v_lshrrev_b32_e32 v38, 16, v5
	v_cmp_gt_i32_e64 s[2:3], s34, v36
	v_or_b32_e32 v34, 5, v23
	v_or_b32_e32 v35, 4, v23
	v_cndmask_b32_e64 v36, 0, v38, s[2:3]
	v_cmp_gt_i32_e64 s[2:3], s31, v37
	v_or_b32_e32 v32, 3, v23
	v_or_b32_e32 v33, 2, v23
	v_cndmask_b32_e64 v5, 0, v5, s[2:3]
	v_perm_b32 v5, v36, v5, s20
	v_lshrrev_b32_e32 v36, 16, v4
	v_cmp_gt_i32_e64 s[2:3], s30, v34
	v_add_u32_e32 v31, 1, v23
	s_nop 0
	v_cndmask_b32_e64 v34, 0, v36, s[2:3]
	v_cmp_gt_i32_e64 s[2:3], s29, v35
	s_nop 1
	v_cndmask_b32_e64 v4, 0, v4, s[2:3]
	v_perm_b32 v4, v34, v4, s20
	v_lshrrev_b32_e32 v34, 16, v3
	v_cmp_gt_i32_e64 s[2:3], s28, v32
	s_nop 1
	v_cndmask_b32_e64 v32, 0, v34, s[2:3]
	v_cmp_gt_i32_e64 s[2:3], s27, v33
	s_nop 1
	v_cndmask_b32_e64 v3, 0, v3, s[2:3]
	v_perm_b32 v3, v32, v3, s20
	v_lshrrev_b32_e32 v32, 16, v2
	v_cmp_gt_i32_e64 s[2:3], s25, v31
	s_nop 1
	v_cndmask_b32_e64 v31, 0, v32, s[2:3]
	v_cmp_gt_i32_e64 s[2:3], s33, v23
	s_nop 1
	v_cndmask_b32_e64 v2, 0, v2, s[2:3]
	v_perm_b32 v2, v31, v2, s20
.LBB85_45:                              ;   in Loop: Header=BB85_41 Depth=1
	s_or_b64 exec, exec, s[14:15]
	s_waitcnt vmcnt(0)
	;;#ASMSTART
	v_pk_mul_f16 v2, v28, v2;

	;;#ASMEND
	;;#ASMSTART
	v_pk_mul_f16 v3, v27, v3;

	;;#ASMEND
	;; [unrolled: 4-line block ×4, first 2 shown]
	s_nop 0
	;;#ASMSTART
	v_pk_add_f16 v2, v2, v3;

	;;#ASMEND
	s_nop 0
	;;#ASMSTART
	v_pk_add_f16 v2, v2, v4;

	;;#ASMEND
	;; [unrolled: 5-line block ×3, first 2 shown]
	s_nop 0
	v_lshrrev_b32_e32 v3, 16, v2
	v_and_b32_e32 v2, 0xffff, v2
	;;#ASMSTART
	v_cvt_f32_f16 v31, v2;
	;;#ASMEND
	;;#ASMSTART
	v_cvt_f32_f16 v32, v3;
	;;#ASMEND
	global_load_dwordx4 v[2:5], v[18:19], off offset:2048
	s_and_saveexec_b64 s[14:15], s[0:1]
	s_cbranch_execz .LBB85_47
; %bb.46:                               ;   in Loop: Header=BB85_41 Depth=1
	v_or_b32_e32 v36, 7, v23
	v_or_b32_e32 v37, 6, v23
	s_waitcnt vmcnt(0)
	v_lshrrev_b32_e32 v38, 16, v5
	v_cmp_gt_i32_e64 s[2:3], s34, v36
	v_or_b32_e32 v34, 5, v23
	v_or_b32_e32 v35, 4, v23
	v_cndmask_b32_e64 v36, 0, v38, s[2:3]
	v_cmp_gt_i32_e64 s[2:3], s31, v37
	v_or_b32_e32 v19, 3, v23
	v_or_b32_e32 v33, 2, v23
	v_cndmask_b32_e64 v5, 0, v5, s[2:3]
	v_perm_b32 v5, v36, v5, s20
	v_lshrrev_b32_e32 v36, 16, v4
	v_cmp_gt_i32_e64 s[2:3], s30, v34
	v_add_u32_e32 v18, 1, v23
	s_nop 0
	v_cndmask_b32_e64 v34, 0, v36, s[2:3]
	v_cmp_gt_i32_e64 s[2:3], s29, v35
	s_nop 1
	v_cndmask_b32_e64 v4, 0, v4, s[2:3]
	v_perm_b32 v4, v34, v4, s20
	v_lshrrev_b32_e32 v34, 16, v3
	v_cmp_gt_i32_e64 s[2:3], s28, v19
	s_nop 1
	v_cndmask_b32_e64 v19, 0, v34, s[2:3]
	v_cmp_gt_i32_e64 s[2:3], s27, v33
	s_nop 1
	v_cndmask_b32_e64 v3, 0, v3, s[2:3]
	v_perm_b32 v3, v19, v3, s20
	v_lshrrev_b32_e32 v19, 16, v2
	v_cmp_gt_i32_e64 s[2:3], s25, v18
	s_nop 1
	v_cndmask_b32_e64 v18, 0, v19, s[2:3]
	v_cmp_gt_i32_e64 s[2:3], s33, v23
	s_nop 1
	v_cndmask_b32_e64 v2, 0, v2, s[2:3]
	v_perm_b32 v2, v18, v2, s20
.LBB85_47:                              ;   in Loop: Header=BB85_41 Depth=1
	s_or_b64 exec, exec, s[14:15]
	s_waitcnt vmcnt(0)
	;;#ASMSTART
	v_pk_mul_f16 v2, v28, v2;

	;;#ASMEND
	;;#ASMSTART
	v_pk_mul_f16 v3, v27, v3;

	;;#ASMEND
	;; [unrolled: 4-line block ×4, first 2 shown]
	v_add_f32_e32 v18, v29, v30
	;;#ASMSTART
	v_pk_add_f16 v2, v2, v3;

	;;#ASMEND
	v_add_f32_e32 v10, v10, v18
	;;#ASMSTART
	v_pk_add_f16 v2, v2, v4;

	;;#ASMEND
	;; [unrolled: 5-line block ×3, first 2 shown]
	v_add_f32_e32 v11, v11, v18
	v_lshrrev_b32_e32 v3, 16, v2
	v_and_b32_e32 v2, 0xffff, v2
	;;#ASMSTART
	v_cvt_f32_f16 v2, v2;
	;;#ASMEND
	;;#ASMSTART
	v_cvt_f32_f16 v3, v3;
	;;#ASMEND
	s_nop 0
	v_add_f32_e32 v2, v2, v3
	v_add_f32_e32 v8, v8, v2
	s_and_saveexec_b64 s[2:3], vcc
	s_cbranch_execz .LBB85_40
; %bb.48:                               ;   in Loop: Header=BB85_41 Depth=1
	v_lshl_add_u64 v[2:3], v[16:17], 0, v[6:7]
	global_load_dwordx4 v[2:5], v[2:3], off
	s_and_saveexec_b64 s[14:15], s[0:1]
	s_cbranch_execz .LBB85_39
; %bb.49:                               ;   in Loop: Header=BB85_41 Depth=1
	v_or_b32_e32 v30, 7, v23
	v_or_b32_e32 v31, 6, v23
	s_waitcnt vmcnt(0)
	v_lshrrev_b32_e32 v32, 16, v5
	v_cmp_gt_i32_e64 s[0:1], s34, v30
	v_or_b32_e32 v19, 5, v23
	v_or_b32_e32 v29, 4, v23
	v_cndmask_b32_e64 v30, 0, v32, s[0:1]
	v_cmp_gt_i32_e64 s[0:1], s31, v31
	v_or_b32_e32 v17, 3, v23
	v_or_b32_e32 v18, 2, v23
	v_cndmask_b32_e64 v5, 0, v5, s[0:1]
	v_perm_b32 v5, v30, v5, s20
	v_lshrrev_b32_e32 v30, 16, v4
	v_cmp_gt_i32_e64 s[0:1], s30, v19
	v_add_u32_e32 v16, 1, v23
	s_nop 0
	v_cndmask_b32_e64 v19, 0, v30, s[0:1]
	v_cmp_gt_i32_e64 s[0:1], s29, v29
	s_nop 1
	v_cndmask_b32_e64 v4, 0, v4, s[0:1]
	v_perm_b32 v4, v19, v4, s20
	v_lshrrev_b32_e32 v19, 16, v3
	v_cmp_gt_i32_e64 s[0:1], s28, v17
	s_nop 1
	v_cndmask_b32_e64 v17, 0, v19, s[0:1]
	v_cmp_gt_i32_e64 s[0:1], s27, v18
	s_nop 1
	v_cndmask_b32_e64 v3, 0, v3, s[0:1]
	v_perm_b32 v3, v17, v3, s20
	v_lshrrev_b32_e32 v17, 16, v2
	v_cmp_gt_i32_e64 s[0:1], s25, v16
	s_nop 1
	v_cndmask_b32_e64 v16, 0, v17, s[0:1]
	v_cmp_gt_i32_e64 s[0:1], s33, v23
	s_nop 1
	v_cndmask_b32_e64 v2, 0, v2, s[0:1]
	v_perm_b32 v2, v16, v2, s20
	s_branch .LBB85_39
.LBB85_50:
	s_or_b64 exec, exec, s[12:13]
.LBB85_51:
	s_or_b64 exec, exec, s[8:9]
	ds_bpermute_b32 v2, v20, v10
	ds_bpermute_b32 v3, v20, v11
	;; [unrolled: 1-line block ×4, first 2 shown]
	v_and_b32_e32 v1, 0x3c0, v0
	v_cmp_eq_u32_e32 vcc, 64, v1
	s_waitcnt lgkmcnt(2)
	v_pk_add_f32 v[4:5], v[10:11], v[2:3]
	s_waitcnt lgkmcnt(0)
	v_pk_add_f32 v[2:3], v[8:9], v[6:7]
	s_barrier
	s_and_saveexec_b64 s[2:3], vcc
	s_cbranch_execz .LBB85_56
; %bb.52:
	v_cmp_eq_u32_e32 vcc, 0, v21
	s_and_saveexec_b64 s[0:1], vcc
	s_cbranch_execz .LBB85_54
; %bb.53:
	v_mov_b32_e32 v1, 0xf0
	v_lshl_add_u32 v1, v22, 2, v1
	ds_write2_b32 v1, v4, v5 offset1:32
	ds_write_b32 v1, v2 offset:256
.LBB85_54:
	s_or_b64 exec, exec, s[0:1]
	v_or_b32_e32 v1, 0x60, v22
	s_movk_i32 s0, 0x70
	v_cmp_gt_u32_e64 s[0:1], s0, v1
	s_and_b64 s[0:1], vcc, s[0:1]
	s_and_b64 exec, exec, s[0:1]
	s_cbranch_execz .LBB85_56
; %bb.55:
	v_mov_b32_e32 v1, 0xf0
	v_lshl_add_u32 v1, v22, 2, v1
	ds_write_b32 v1, v3 offset:384
.LBB85_56:
	s_or_b64 exec, exec, s[2:3]
	v_cmp_gt_u32_e32 vcc, 64, v0
	v_lshrrev_b32_e32 v0, 1, v0
	s_waitcnt lgkmcnt(0)
	s_barrier
	s_and_saveexec_b64 s[6:7], vcc
	s_cbranch_execz .LBB85_64
; %bb.57:
	v_cmp_eq_u32_e64 s[0:1], 0, v21
	s_and_saveexec_b64 s[2:3], s[0:1]
	s_cbranch_execnz .LBB85_70
; %bb.58:
	s_or_b64 exec, exec, s[2:3]
	s_and_saveexec_b64 s[2:3], s[0:1]
	s_cbranch_execnz .LBB85_71
.LBB85_59:
	s_or_b64 exec, exec, s[2:3]
	s_and_saveexec_b64 s[2:3], s[0:1]
	s_cbranch_execz .LBB85_61
.LBB85_60:
	v_mov_b32_e32 v1, 0xf0
	v_lshl_add_u32 v1, v0, 2, v1
	ds_read_b32 v1, v1 offset:256
	s_waitcnt lgkmcnt(0)
	v_add_f32_e32 v2, v2, v1
.LBB85_61:
	s_or_b64 exec, exec, s[2:3]
	v_or_b32_e32 v1, 0x60, v0
	s_movk_i32 s2, 0x70
	v_cmp_gt_u32_e64 s[2:3], s2, v1
	s_and_b64 s[2:3], s[0:1], s[2:3]
	s_and_saveexec_b64 s[0:1], s[2:3]
	s_cbranch_execz .LBB85_63
; %bb.62:
	v_mov_b32_e32 v1, 0xf0
	v_lshl_add_u32 v1, v0, 2, v1
	ds_read_b32 v1, v1 offset:384
	s_waitcnt lgkmcnt(0)
	v_add_f32_e32 v3, v3, v1
.LBB85_63:
	s_or_b64 exec, exec, s[0:1]
.LBB85_64:
	s_or_b64 exec, exec, s[6:7]
	s_barrier
	s_and_saveexec_b64 s[0:1], vcc
	s_cbranch_execz .LBB85_69
; %bb.65:
	s_mul_i32 s0, s10, s11
	s_mul_i32 s0, s0, s5
	s_mulk_i32 s0, 0x70
	s_ashr_i32 s1, s0, 31
	s_lshl_b64 s[0:1], s[0:1], 1
	s_add_u32 s2, s18, s0
	s_mul_i32 s0, s11, s16
	s_addc_u32 s3, s19, s1
	s_ashr_i32 s1, s0, 31
	s_lshl_b64 s[0:1], s[0:1], 1
	s_add_u32 s2, s2, s0
	s_mul_i32 s0, s4, 0x70
	s_addc_u32 s3, s3, s1
	s_ashr_i32 s1, s0, 31
	s_lshl_b64 s[0:1], s[0:1], 1
	s_add_u32 s2, s2, s0
	s_movk_i32 s5, 0x70
	s_addc_u32 s3, s3, s1
	v_cmp_eq_u32_e32 vcc, 0, v21
	v_lshlrev_b32_e32 v1, 1, v0
	s_and_saveexec_b64 s[0:1], vcc
	s_cbranch_execz .LBB85_67
; %bb.66:
	;;#ASMSTART
	v_cvt_f16_f32 v4, v4;

	;;#ASMEND
	global_store_short v1, v4, s[2:3]
	;;#ASMSTART
	v_cvt_f16_f32 v4, v5;

	;;#ASMEND
	global_store_short v1, v4, s[2:3] offset:64
	;;#ASMSTART
	v_cvt_f16_f32 v2, v2;

	;;#ASMEND
	global_store_short v1, v2, s[2:3] offset:128
.LBB85_67:
	s_or_b64 exec, exec, s[0:1]
	v_or_b32_e32 v0, 0x60, v0
	v_cmp_gt_u32_e64 s[0:1], s5, v0
	s_and_b64 s[0:1], vcc, s[0:1]
	s_and_b64 exec, exec, s[0:1]
	s_cbranch_execz .LBB85_69
; %bb.68:
	;;#ASMSTART
	v_cvt_f16_f32 v0, v3;

	;;#ASMEND
	global_store_short v1, v0, s[2:3] offset:192
.LBB85_69:
	s_endpgm
.LBB85_70:
	v_mov_b32_e32 v1, 0xf0
	v_lshl_add_u32 v1, v0, 2, v1
	ds_read_b32 v1, v1
	s_waitcnt lgkmcnt(0)
	v_add_f32_e32 v4, v4, v1
	s_or_b64 exec, exec, s[2:3]
	s_and_saveexec_b64 s[2:3], s[0:1]
	s_cbranch_execz .LBB85_59
.LBB85_71:
	v_mov_b32_e32 v1, 0xf0
	v_lshl_add_u32 v1, v0, 2, v1
	ds_read_b32 v1, v1 offset:128
	s_waitcnt lgkmcnt(0)
	v_add_f32_e32 v5, v5, v1
	s_or_b64 exec, exec, s[2:3]
	s_and_saveexec_b64 s[2:3], s[0:1]
	s_cbranch_execnz .LBB85_60
	s_branch .LBB85_61
	.section	.rodata,"a",@progbits
	.p2align	6, 0x0
	.amdhsa_kernel _ZN4vllm25paged_attention_v1_kernelIttLi112ELi16ELi128ELNS_18Fp8KVCacheDataTypeE0ELb0EEEvPT_PKS2_PKT0_S8_ifPKiSA_iPKfiiiSC_SC_iiiii
		.amdhsa_group_segment_fixed_size 240
		.amdhsa_private_segment_fixed_size 0
		.amdhsa_kernarg_size 384
		.amdhsa_user_sgpr_count 2
		.amdhsa_user_sgpr_dispatch_ptr 0
		.amdhsa_user_sgpr_queue_ptr 0
		.amdhsa_user_sgpr_kernarg_segment_ptr 1
		.amdhsa_user_sgpr_dispatch_id 0
		.amdhsa_user_sgpr_kernarg_preload_length 0
		.amdhsa_user_sgpr_kernarg_preload_offset 0
		.amdhsa_user_sgpr_private_segment_size 0
		.amdhsa_uses_dynamic_stack 0
		.amdhsa_enable_private_segment 0
		.amdhsa_system_sgpr_workgroup_id_x 1
		.amdhsa_system_sgpr_workgroup_id_y 1
		.amdhsa_system_sgpr_workgroup_id_z 1
		.amdhsa_system_sgpr_workgroup_info 0
		.amdhsa_system_vgpr_workitem_id 0
		.amdhsa_next_free_vgpr 60
		.amdhsa_next_free_sgpr 35
		.amdhsa_accum_offset 60
		.amdhsa_reserve_vcc 1
		.amdhsa_float_round_mode_32 0
		.amdhsa_float_round_mode_16_64 0
		.amdhsa_float_denorm_mode_32 3
		.amdhsa_float_denorm_mode_16_64 3
		.amdhsa_dx10_clamp 1
		.amdhsa_ieee_mode 1
		.amdhsa_fp16_overflow 0
		.amdhsa_tg_split 0
		.amdhsa_exception_fp_ieee_invalid_op 0
		.amdhsa_exception_fp_denorm_src 0
		.amdhsa_exception_fp_ieee_div_zero 0
		.amdhsa_exception_fp_ieee_overflow 0
		.amdhsa_exception_fp_ieee_underflow 0
		.amdhsa_exception_fp_ieee_inexact 0
		.amdhsa_exception_int_div_zero 0
	.end_amdhsa_kernel
	.section	.text._ZN4vllm25paged_attention_v1_kernelIttLi112ELi16ELi128ELNS_18Fp8KVCacheDataTypeE0ELb0EEEvPT_PKS2_PKT0_S8_ifPKiSA_iPKfiiiSC_SC_iiiii,"axG",@progbits,_ZN4vllm25paged_attention_v1_kernelIttLi112ELi16ELi128ELNS_18Fp8KVCacheDataTypeE0ELb0EEEvPT_PKS2_PKT0_S8_ifPKiSA_iPKfiiiSC_SC_iiiii,comdat
.Lfunc_end85:
	.size	_ZN4vllm25paged_attention_v1_kernelIttLi112ELi16ELi128ELNS_18Fp8KVCacheDataTypeE0ELb0EEEvPT_PKS2_PKT0_S8_ifPKiSA_iPKfiiiSC_SC_iiiii, .Lfunc_end85-_ZN4vllm25paged_attention_v1_kernelIttLi112ELi16ELi128ELNS_18Fp8KVCacheDataTypeE0ELb0EEEvPT_PKS2_PKT0_S8_ifPKiSA_iPKfiiiSC_SC_iiiii
                                        ; -- End function
	.section	.AMDGPU.csdata,"",@progbits
; Kernel info:
; codeLenInByte = 6212
; NumSgprs: 41
; NumVgprs: 60
; NumAgprs: 0
; TotalNumVgprs: 60
; ScratchSize: 0
; MemoryBound: 0
; FloatMode: 240
; IeeeMode: 1
; LDSByteSize: 240 bytes/workgroup (compile time only)
; SGPRBlocks: 5
; VGPRBlocks: 7
; NumSGPRsForWavesPerEU: 41
; NumVGPRsForWavesPerEU: 60
; AccumOffset: 60
; Occupancy: 8
; WaveLimiterHint : 1
; COMPUTE_PGM_RSRC2:SCRATCH_EN: 0
; COMPUTE_PGM_RSRC2:USER_SGPR: 2
; COMPUTE_PGM_RSRC2:TRAP_HANDLER: 0
; COMPUTE_PGM_RSRC2:TGID_X_EN: 1
; COMPUTE_PGM_RSRC2:TGID_Y_EN: 1
; COMPUTE_PGM_RSRC2:TGID_Z_EN: 1
; COMPUTE_PGM_RSRC2:TIDIG_COMP_CNT: 0
; COMPUTE_PGM_RSRC3_GFX90A:ACCUM_OFFSET: 14
; COMPUTE_PGM_RSRC3_GFX90A:TG_SPLIT: 0
	.section	.text._ZN4vllm25paged_attention_v1_kernelIttLi120ELi16ELi128ELNS_18Fp8KVCacheDataTypeE0ELb0EEEvPT_PKS2_PKT0_S8_ifPKiSA_iPKfiiiSC_SC_iiiii,"axG",@progbits,_ZN4vllm25paged_attention_v1_kernelIttLi120ELi16ELi128ELNS_18Fp8KVCacheDataTypeE0ELb0EEEvPT_PKS2_PKT0_S8_ifPKiSA_iPKfiiiSC_SC_iiiii,comdat
	.protected	_ZN4vllm25paged_attention_v1_kernelIttLi120ELi16ELi128ELNS_18Fp8KVCacheDataTypeE0ELb0EEEvPT_PKS2_PKT0_S8_ifPKiSA_iPKfiiiSC_SC_iiiii ; -- Begin function _ZN4vllm25paged_attention_v1_kernelIttLi120ELi16ELi128ELNS_18Fp8KVCacheDataTypeE0ELb0EEEvPT_PKS2_PKT0_S8_ifPKiSA_iPKfiiiSC_SC_iiiii
	.globl	_ZN4vllm25paged_attention_v1_kernelIttLi120ELi16ELi128ELNS_18Fp8KVCacheDataTypeE0ELb0EEEvPT_PKS2_PKT0_S8_ifPKiSA_iPKfiiiSC_SC_iiiii
	.p2align	8
	.type	_ZN4vllm25paged_attention_v1_kernelIttLi120ELi16ELi128ELNS_18Fp8KVCacheDataTypeE0ELb0EEEvPT_PKS2_PKT0_S8_ifPKiSA_iPKfiiiSC_SC_iiiii,@function
_ZN4vllm25paged_attention_v1_kernelIttLi120ELi16ELi128ELNS_18Fp8KVCacheDataTypeE0ELb0EEEvPT_PKS2_PKT0_S8_ifPKiSA_iPKfiiiSC_SC_iiiii: ; @_ZN4vllm25paged_attention_v1_kernelIttLi120ELi16ELi128ELNS_18Fp8KVCacheDataTypeE0ELb0EEEvPT_PKS2_PKT0_S8_ifPKiSA_iPKfiiiSC_SC_iiiii
; %bb.0:
	s_load_dword s5, s[0:1], 0x80
	s_load_dwordx2 s[6:7], s[0:1], 0x30
	s_load_dwordx2 s[8:9], s[0:1], 0x20
	s_mov_b32 s10, s3
	s_ashr_i32 s11, s3, 31
	s_lshl_b64 s[12:13], s[10:11], 2
	s_waitcnt lgkmcnt(0)
	s_add_u32 s6, s6, s12
	s_addc_u32 s7, s7, s13
	s_abs_i32 s3, s8
	v_cvt_f32_u32_e32 v1, s3
	s_sub_i32 s12, 0, s3
	s_abs_i32 s11, s5
	s_xor_b32 s8, s5, s8
	v_rcp_iflag_f32_e32 v1, v1
	s_ashr_i32 s8, s8, 31
	v_mul_f32_e32 v1, 0x4f7ffffe, v1
	v_cvt_u32_f32_e32 v1, v1
	s_nop 0
	v_readfirstlane_b32 s13, v1
	s_mul_i32 s12, s12, s13
	s_mul_hi_u32 s12, s13, s12
	s_add_i32 s13, s13, s12
	s_mul_hi_u32 s12, s11, s13
	s_mul_i32 s13, s12, s3
	s_sub_i32 s11, s11, s13
	s_add_i32 s13, s12, 1
	s_sub_i32 s14, s11, s3
	s_cmp_ge_u32 s11, s3
	s_cselect_b32 s12, s13, s12
	s_cselect_b32 s11, s14, s11
	s_add_i32 s13, s12, 1
	s_cmp_ge_u32 s11, s3
	s_cselect_b32 s3, s13, s12
	s_xor_b32 s3, s3, s8
	s_sub_i32 s16, s3, s8
	s_abs_i32 s11, s16
	v_cvt_f32_u32_e32 v1, s11
	s_load_dwordx2 s[12:13], s[0:1], 0x40
	s_sub_i32 s3, 0, s11
	s_abs_i32 s18, s2
	v_rcp_iflag_f32_e32 v1, v1
	s_mov_b32 s8, 0
	v_mul_f32_e32 v1, 0x4f7ffffe, v1
	v_cvt_u32_f32_e32 v1, v1
	s_nop 0
	v_readfirstlane_b32 s14, v1
	s_mul_i32 s3, s3, s14
	s_mul_hi_u32 s3, s14, s3
	s_add_i32 s14, s14, s3
	s_waitcnt lgkmcnt(0)
	s_cmp_eq_u64 s[12:13], 0
	s_mul_hi_u32 s19, s18, s14
	s_cbranch_scc1 .LBB86_2
; %bb.1:
	s_ashr_i32 s3, s2, 31
	s_lshl_b64 s[14:15], s[2:3], 2
	s_add_u32 s12, s12, s14
	s_addc_u32 s13, s13, s15
	s_load_dword s8, s[12:13], 0x0
.LBB86_2:
	s_load_dword s33, s[6:7], 0x0
	s_nop 0
	s_load_dwordx4 s[12:15], s[0:1], 0x48
	s_ashr_i32 s6, s2, 31
	s_ashr_i32 s7, s16, 31
	v_and_b32_e32 v4, 3, v0
	s_mul_i32 s16, s2, 0x78
	v_cmp_gt_u32_e32 vcc, 60, v0
	s_and_saveexec_b64 s[2:3], vcc
	s_cbranch_execz .LBB86_4
; %bb.3:
	s_load_dwordx2 s[20:21], s[0:1], 0x8
	s_waitcnt lgkmcnt(0)
	s_mul_i32 s22, s10, s12
	s_ashr_i32 s23, s22, 31
	s_lshl_b64 s[22:23], s[22:23], 1
	v_lshlrev_b32_e32 v1, 2, v0
	s_add_u32 s12, s20, s22
	s_addc_u32 s15, s21, s23
	s_ashr_i32 s17, s16, 31
	s_lshl_b64 s[20:21], s[16:17], 1
	s_add_u32 s20, s12, s20
	s_addc_u32 s21, s15, s21
	global_load_dword v1, v1, s[20:21]
	v_and_b32_e32 v2, 0x3fc, v0
	v_mad_u32_u24 v2, v4, 60, v2
	s_waitcnt vmcnt(0)
	ds_write_b32 v2, v1
.LBB86_4:
	s_or_b64 exec, exec, s[2:3]
	s_waitcnt lgkmcnt(0)
	s_add_i32 s3, s33, 15
	s_ashr_i32 s12, s3, 31
	s_lshr_b32 s12, s12, 28
	s_add_i32 s3, s3, s12
	s_ashr_i32 s17, s3, 4
	s_xor_b32 s3, s6, s7
	s_mul_i32 s6, s19, s11
	s_sub_i32 s6, s18, s6
	s_add_i32 s7, s19, 1
	s_sub_i32 s12, s6, s11
	s_load_dwordx2 s[20:21], s[0:1], 0x28
	s_load_dword s2, s[0:1], 0x38
	s_cmp_ge_u32 s6, s11
	s_cselect_b32 s7, s7, s19
	s_cselect_b32 s6, s12, s6
	s_add_i32 s12, s7, 1
	s_cmp_ge_u32 s6, s11
	s_cselect_b32 s6, s12, s7
	v_lshrrev_b32_e32 v1, 6, v0
	s_xor_b32 s6, s6, s3
	s_waitcnt lgkmcnt(0)
	s_mul_i32 s22, s10, s2
	s_sub_i32 s12, s6, s3
	s_ashr_i32 s23, s22, 31
	v_cmp_gt_i32_e64 s[6:7], s17, v1
	v_cmp_le_i32_e32 vcc, s17, v1
	v_mbcnt_lo_u32_b32 v13, -1, 0
	s_barrier
	s_waitcnt lgkmcnt(0)
                                        ; implicit-def: $sgpr15
                                        ; implicit-def: $vgpr7
                                        ; implicit-def: $vgpr8
	s_and_saveexec_b64 s[2:3], vcc
	s_xor_b64 s[2:3], exec, s[2:3]
; %bb.5:
	v_mbcnt_hi_u32_b32 v7, -1, v13
	v_and_b32_e32 v2, 64, v7
	v_add_u32_e32 v8, 64, v2
	s_mov_b32 s15, 0xff7fffff
                                        ; implicit-def: $vgpr4
                                        ; implicit-def: $vgpr13
; %bb.6:
	s_or_saveexec_b64 s[26:27], s[2:3]
	s_load_dwordx2 s[18:19], s[0:1], 0x0
	s_load_dwordx2 s[24:25], s[0:1], 0x18
	s_load_dword s11, s[0:1], 0x88
	v_mov_b32_e32 v9, s15
	s_mul_i32 s14, s12, s14
	v_lshrrev_b32_e32 v6, 4, v0
	s_xor_b64 exec, exec, s[26:27]
	s_cbranch_execz .LBB86_12
; %bb.7:
	s_load_dwordx2 s[0:1], s[0:1], 0x10
	s_ashr_i32 s15, s14, 31
	s_lshl_b64 s[2:3], s[14:15], 1
	v_bfe_u32 v5, v0, 2, 4
	v_lshlrev_b32_e32 v8, 4, v5
	s_waitcnt lgkmcnt(0)
	s_add_u32 s0, s0, s2
	s_addc_u32 s1, s1, s3
	v_mov_b32_e32 v9, 0
	v_lshl_add_u64 v[2:3], s[0:1], 0, v[8:9]
	v_lshlrev_b32_e32 v7, 2, v0
	s_sub_i32 s15, 1, s33
	s_lshl_b64 s[0:1], s[22:23], 2
	v_and_b32_e32 v8, 12, v7
	v_mul_u32_u24_e32 v10, 60, v4
	v_cmp_eq_u32_e32 vcc, 0, v4
	v_lshlrev_b32_e32 v4, 2, v5
	s_add_u32 s0, s20, s0
	v_lshl_add_u64 v[2:3], v[2:3], 0, v[8:9]
	v_lshl_or_b32 v4, v1, 6, v4
	v_and_b32_e32 v8, 60, v6
	s_addc_u32 s1, s21, s1
	v_mbcnt_hi_u32_b32 v7, -1, v13
	v_lshl_or_b32 v11, v1, 4, v5
	v_add_u32_e32 v12, 0x100, v4
	v_lshl_add_u64 v[4:5], s[0:1], 0, v[8:9]
	v_and_b32_e32 v8, 64, v7
	s_mov_b32 s12, s13
	v_cmp_neq_f32_e64 s[2:3], s8, 0
	s_mov_b64 s[28:29], 0
	v_mov_b32_e32 v9, 0xff7fffff
	v_add_u32_e32 v8, 64, v8
	v_xor_b32_e32 v13, 2, v7
	v_xor_b32_e32 v14, 1, v7
	v_mov_b32_e32 v15, v1
	s_branch .LBB86_9
.LBB86_8:                               ;   in Loop: Header=BB86_9 Depth=1
	s_or_b64 exec, exec, s[30:31]
	v_add_u32_e32 v15, 2, v15
	v_cmp_le_i32_e64 s[0:1], s17, v15
	v_add_u32_e32 v11, 32, v11
	v_add_u32_e32 v12, 0x80, v12
	s_or_b64 s[28:29], s[0:1], s[28:29]
	v_lshl_add_u64 v[4:5], v[4:5], 0, 8
	s_andn2_b64 exec, exec, s[28:29]
	s_cbranch_execz .LBB86_11
.LBB86_9:                               ; =>This Inner Loop Header: Depth=1
	global_load_dword v16, v[4:5], off
	s_waitcnt vmcnt(0) lgkmcnt(0)
	v_mad_i64_i32 v[16:17], s[0:1], v16, s12, 0
	v_lshl_add_u64 v[22:23], v[16:17], 1, v[2:3]
	global_load_dword v24, v[22:23], off
	global_load_dword v25, v[22:23], off offset:256
	global_load_dword v26, v[22:23], off offset:512
	;; [unrolled: 1-line block ×12, first 2 shown]
	ds_read_b32 v33, v10
	global_load_dword v17, v[22:23], off offset:3328
	global_load_dword v16, v[22:23], off offset:3584
	v_cmp_lt_i32_e64 s[0:1], v13, v8
	s_waitcnt lgkmcnt(0)
	v_lshrrev_b32_e32 v23, 16, v33
	v_and_b32_e32 v33, 0xffff, v33
	;;#ASMSTART
	v_cvt_f32_f16 v33, v33;
	;;#ASMEND
	;;#ASMSTART
	v_cvt_f32_f16 v23, v23;
	;;#ASMEND
	v_cndmask_b32_e64 v22, v7, v13, s[0:1]
	v_lshlrev_b32_e32 v22, 2, v22
	v_cmp_lt_i32_e64 s[0:1], v14, v8
	s_waitcnt vmcnt(14)
	v_lshrrev_b32_e32 v34, 16, v24
	v_and_b32_e32 v24, 0xffff, v24
	;;#ASMSTART
	v_cvt_f32_f16 v24, v24;
	;;#ASMEND
	;;#ASMSTART
	v_cvt_f32_f16 v34, v34;
	;;#ASMEND
	ds_read_b32 v35, v10 offset:4
	s_waitcnt vmcnt(13)
	v_lshrrev_b32_e32 v36, 16, v25
	v_and_b32_e32 v25, 0xffff, v25
	s_waitcnt vmcnt(12)
	v_lshrrev_b32_e32 v37, 16, v26
	v_and_b32_e32 v26, 0xffff, v26
	s_waitcnt lgkmcnt(0)
	v_lshrrev_b32_e32 v38, 16, v35
	v_and_b32_e32 v35, 0xffff, v35
	;;#ASMSTART
	v_cvt_f32_f16 v35, v35;
	;;#ASMEND
	;;#ASMSTART
	v_cvt_f32_f16 v38, v38;
	;;#ASMEND
	;;#ASMSTART
	v_cvt_f32_f16 v25, v25;
	;;#ASMEND
	;;#ASMSTART
	v_cvt_f32_f16 v36, v36;
	;;#ASMEND
	ds_read_b32 v39, v10 offset:8
	s_waitcnt vmcnt(11)
	v_lshrrev_b32_e32 v40, 16, v27
	v_and_b32_e32 v27, 0xffff, v27
	s_waitcnt vmcnt(10)
	v_lshrrev_b32_e32 v41, 16, v28
	v_and_b32_e32 v28, 0xffff, v28
	s_waitcnt lgkmcnt(0)
	v_lshrrev_b32_e32 v42, 16, v39
	v_and_b32_e32 v39, 0xffff, v39
	;;#ASMSTART
	v_cvt_f32_f16 v39, v39;
	;;#ASMEND
	;;#ASMSTART
	v_cvt_f32_f16 v42, v42;
	;;#ASMEND
	;; [unrolled: 22-line block ×3, first 2 shown]
	;;#ASMSTART
	v_cvt_f32_f16 v27, v27;
	;;#ASMEND
	;;#ASMSTART
	v_cvt_f32_f16 v40, v40;
	;;#ASMEND
	ds_read_b32 v47, v10 offset:16
	s_waitcnt vmcnt(7)
	v_lshrrev_b32_e32 v48, 16, v31
	v_and_b32_e32 v31, 0xffff, v31
	v_mul_f32_e32 v25, v35, v25
	v_mul_f32_e32 v35, v38, v36
	s_waitcnt lgkmcnt(0)
	v_lshrrev_b32_e32 v50, 16, v47
	v_and_b32_e32 v47, 0xffff, v47
	;;#ASMSTART
	v_cvt_f32_f16 v47, v47;
	;;#ASMEND
	;;#ASMSTART
	v_cvt_f32_f16 v50, v50;
	;;#ASMEND
	;; [unrolled: 3-line block ×4, first 2 shown]
	ds_read_b32 v51, v10 offset:20
	s_waitcnt vmcnt(6)
	v_lshrrev_b32_e32 v49, 16, v32
	v_and_b32_e32 v32, 0xffff, v32
	v_fmac_f32_e32 v25, v33, v24
	v_fmac_f32_e32 v35, v23, v34
	s_waitcnt lgkmcnt(0)
	v_lshrrev_b32_e32 v54, 16, v51
	v_and_b32_e32 v51, 0xffff, v51
	;;#ASMSTART
	v_cvt_f32_f16 v51, v51;
	;;#ASMEND
	;;#ASMSTART
	v_cvt_f32_f16 v54, v54;
	;;#ASMEND
	;; [unrolled: 3-line block ×4, first 2 shown]
	ds_read_b32 v55, v10 offset:24
	v_fmac_f32_e32 v25, v39, v26
	s_waitcnt vmcnt(5)
	v_lshrrev_b32_e32 v52, 16, v21
	v_and_b32_e32 v21, 0xffff, v21
	v_fmac_f32_e32 v25, v43, v27
	s_waitcnt lgkmcnt(0)
	v_lshrrev_b32_e32 v58, 16, v55
	v_and_b32_e32 v55, 0xffff, v55
	;;#ASMSTART
	v_cvt_f32_f16 v55, v55;
	;;#ASMEND
	;;#ASMSTART
	v_cvt_f32_f16 v58, v58;
	;;#ASMEND
	;; [unrolled: 3-line block ×4, first 2 shown]
	ds_read_b32 v59, v10 offset:28
	v_fmac_f32_e32 v25, v47, v28
	s_waitcnt vmcnt(4)
	v_lshrrev_b32_e32 v53, 16, v20
	v_and_b32_e32 v20, 0xffff, v20
	v_fmac_f32_e32 v25, v51, v29
	s_waitcnt lgkmcnt(0)
	v_lshrrev_b32_e32 v62, 16, v59
	v_and_b32_e32 v59, 0xffff, v59
	;;#ASMSTART
	v_cvt_f32_f16 v59, v59;
	;;#ASMEND
	;;#ASMSTART
	v_cvt_f32_f16 v62, v62;
	;;#ASMEND
	;; [unrolled: 3-line block ×4, first 2 shown]
	ds_read_b32 v63, v10 offset:32
	v_fmac_f32_e32 v35, v42, v37
	v_fmac_f32_e32 v25, v55, v30
	s_waitcnt vmcnt(3)
	v_lshrrev_b32_e32 v56, 16, v19
	v_and_b32_e32 v19, 0xffff, v19
	s_waitcnt lgkmcnt(0)
	v_lshrrev_b32_e32 v23, 16, v63
	v_and_b32_e32 v24, 0xffff, v63
	;;#ASMSTART
	v_cvt_f32_f16 v24, v24;
	;;#ASMEND
	;;#ASMSTART
	v_cvt_f32_f16 v23, v23;
	;;#ASMEND
	;; [unrolled: 3-line block ×4, first 2 shown]
	ds_read_b32 v34, v10 offset:36
	v_fmac_f32_e32 v25, v59, v31
	v_fmac_f32_e32 v35, v46, v40
	;; [unrolled: 1-line block ×4, first 2 shown]
	s_waitcnt lgkmcnt(0)
	v_lshrrev_b32_e32 v26, 16, v34
	v_and_b32_e32 v27, 0xffff, v34
	;;#ASMSTART
	v_cvt_f32_f16 v27, v27;
	;;#ASMEND
	;;#ASMSTART
	v_cvt_f32_f16 v26, v26;
	;;#ASMEND
	;; [unrolled: 3-line block ×4, first 2 shown]
	ds_read_b32 v36, v10 offset:40
	v_fmac_f32_e32 v35, v58, v45
	v_fmac_f32_e32 v35, v62, v48
	;; [unrolled: 1-line block ×3, first 2 shown]
	s_waitcnt vmcnt(2)
	v_lshrrev_b32_e32 v57, 16, v18
	s_waitcnt lgkmcnt(0)
	v_lshrrev_b32_e32 v28, 16, v36
	v_and_b32_e32 v29, 0xffff, v36
	;;#ASMSTART
	v_cvt_f32_f16 v29, v29;
	;;#ASMEND
	;;#ASMSTART
	v_cvt_f32_f16 v28, v28;
	;;#ASMEND
	;; [unrolled: 3-line block ×4, first 2 shown]
	ds_read_b32 v37, v10 offset:44
	v_and_b32_e32 v18, 0xffff, v18
	v_fmac_f32_e32 v35, v23, v33
	v_fmac_f32_e32 v25, v27, v21
	;; [unrolled: 1-line block ×3, first 2 shown]
	s_waitcnt lgkmcnt(0)
	v_lshrrev_b32_e32 v30, 16, v37
	v_and_b32_e32 v31, 0xffff, v37
	;;#ASMSTART
	v_cvt_f32_f16 v31, v31;
	;;#ASMEND
	;;#ASMSTART
	v_cvt_f32_f16 v30, v30;
	;;#ASMEND
	;; [unrolled: 3-line block ×4, first 2 shown]
	ds_read_b32 v38, v10 offset:48
	v_fmac_f32_e32 v25, v29, v20
	s_waitcnt vmcnt(1)
	v_lshrrev_b32_e32 v60, 16, v17
	v_and_b32_e32 v17, 0xffff, v17
	v_fmac_f32_e32 v25, v31, v19
	s_waitcnt lgkmcnt(0)
	v_lshrrev_b32_e32 v21, 16, v38
	v_and_b32_e32 v23, 0xffff, v38
	;;#ASMSTART
	v_cvt_f32_f16 v23, v23;
	;;#ASMEND
	;;#ASMSTART
	v_cvt_f32_f16 v21, v21;
	;;#ASMEND
	;; [unrolled: 3-line block ×4, first 2 shown]
	ds_read_b32 v26, v10 offset:52
	v_fmac_f32_e32 v35, v28, v36
	v_fmac_f32_e32 v35, v30, v37
	;; [unrolled: 1-line block ×4, first 2 shown]
	s_waitcnt lgkmcnt(0)
	v_lshrrev_b32_e32 v19, 16, v26
	v_and_b32_e32 v20, 0xffff, v26
	;;#ASMSTART
	v_cvt_f32_f16 v20, v20;
	;;#ASMEND
	;;#ASMSTART
	v_cvt_f32_f16 v19, v19;
	;;#ASMEND
	;; [unrolled: 3-line block ×4, first 2 shown]
	ds_read_b32 v27, v10 offset:56
	s_waitcnt vmcnt(0)
	v_lshrrev_b32_e32 v61, 16, v16
	v_and_b32_e32 v16, 0xffff, v16
	v_fmac_f32_e32 v25, v20, v17
	v_fmac_f32_e32 v35, v19, v26
	s_waitcnt lgkmcnt(0)
	v_lshrrev_b32_e32 v17, 16, v27
	v_and_b32_e32 v18, 0xffff, v27
	;;#ASMSTART
	v_cvt_f32_f16 v18, v18;
	;;#ASMEND
	;;#ASMSTART
	v_cvt_f32_f16 v17, v17;
	;;#ASMEND
	;;#ASMSTART
	v_cvt_f32_f16 v16, v16;
	;;#ASMEND
	;;#ASMSTART
	v_cvt_f32_f16 v19, v61;
	;;#ASMEND
	s_nop 0
	v_fmac_f32_e32 v25, v18, v16
	v_fmac_f32_e32 v35, v17, v19
	v_add_f32_e32 v16, v25, v35
	ds_bpermute_b32 v17, v22, v16
	v_cndmask_b32_e64 v18, v7, v14, s[0:1]
	s_waitcnt lgkmcnt(0)
	v_add_f32_e32 v16, v16, v17
	v_lshlrev_b32_e32 v17, 2, v18
	ds_bpermute_b32 v17, v17, v16
	s_and_saveexec_b64 s[30:31], vcc
	s_cbranch_execz .LBB86_8
; %bb.10:                               ;   in Loop: Header=BB86_9 Depth=1
	v_add_u32_e32 v18, s15, v11
	v_cvt_f32_i32_e32 v18, v18
	s_waitcnt lgkmcnt(0)
	v_add_f32_e32 v16, v16, v17
	v_cmp_gt_i32_e64 s[0:1], s33, v11
	v_max_f32_e32 v17, v9, v9
	v_mul_f32_e32 v18, s8, v18
	v_cndmask_b32_e64 v18, 0, v18, s[2:3]
	v_fmac_f32_e32 v18, s9, v16
	v_cndmask_b32_e64 v16, 0, v18, s[0:1]
	ds_write_b32 v12, v16
	v_max_f32_e32 v16, v17, v18
	v_cndmask_b32_e64 v9, v9, v16, s[0:1]
	s_branch .LBB86_8
.LBB86_11:
	s_or_b64 exec, exec, s[28:29]
.LBB86_12:
	s_or_b64 exec, exec, s[26:27]
	v_xor_b32_e32 v2, 32, v7
	v_cmp_lt_i32_e32 vcc, v2, v8
	v_xor_b32_e32 v5, 16, v7
	v_max_f32_e32 v4, v9, v9
	v_cndmask_b32_e32 v2, v7, v2, vcc
	v_lshlrev_b32_e32 v2, 2, v2
	ds_bpermute_b32 v3, v2, v9
	v_cmp_lt_i32_e32 vcc, v5, v8
	v_xor_b32_e32 v9, 8, v7
	v_xor_b32_e32 v11, 4, v7
	s_waitcnt lgkmcnt(0)
	v_max_f32_e32 v3, v3, v3
	v_max_f32_e32 v4, v4, v3
	v_cndmask_b32_e32 v3, v7, v5, vcc
	v_lshlrev_b32_e32 v3, 2, v3
	ds_bpermute_b32 v5, v3, v4
	v_cmp_lt_i32_e32 vcc, v9, v8
	s_waitcnt lgkmcnt(0)
	v_max_f32_e32 v5, v5, v5
	v_max_f32_e32 v4, v4, v5
	v_cndmask_b32_e32 v5, v7, v9, vcc
	v_lshlrev_b32_e32 v10, 2, v5
	ds_bpermute_b32 v5, v10, v4
	v_cmp_lt_i32_e32 vcc, v11, v8
	s_waitcnt lgkmcnt(0)
	v_max_f32_e32 v5, v5, v5
	v_max_f32_e32 v9, v4, v5
	v_cndmask_b32_e32 v4, v7, v11, vcc
	v_lshlrev_b32_e32 v11, 2, v4
	ds_bpermute_b32 v12, v11, v9
	v_and_b32_e32 v4, 63, v0
	v_cmp_eq_u32_e32 vcc, 0, v4
	v_lshlrev_b32_e32 v5, 2, v1
	s_and_saveexec_b64 s[0:1], vcc
	s_cbranch_execz .LBB86_14
; %bb.13:
	s_waitcnt lgkmcnt(0)
	v_max_f32_e32 v12, v12, v12
	v_max_f32_e32 v9, v9, v9
	;; [unrolled: 1-line block ×3, first 2 shown]
	ds_write_b32 v5, v9 offset:240
.LBB86_14:
	s_or_b64 exec, exec, s[0:1]
	v_cmp_gt_u32_e64 s[0:1], 2, v4
	s_waitcnt lgkmcnt(0)
	v_mov_b32_e32 v12, 0xff7fffff
	v_lshlrev_b32_e32 v9, 2, v4
	s_barrier
	s_and_saveexec_b64 s[2:3], s[0:1]
	s_cbranch_execz .LBB86_16
; %bb.15:
	ds_read_b32 v12, v9 offset:240
.LBB86_16:
	s_or_b64 exec, exec, s[2:3]
	v_xor_b32_e32 v13, 1, v7
	v_cmp_lt_i32_e64 s[2:3], v13, v8
	v_lshlrev_b32_e32 v14, 2, v7
	s_nop 0
	v_cndmask_b32_e64 v13, v7, v13, s[2:3]
	v_lshlrev_b32_e32 v20, 2, v13
	s_waitcnt lgkmcnt(0)
	ds_bpermute_b32 v13, v20, v12
	v_max_f32_e32 v12, v12, v12
	s_lshl_b32 s2, s17, 4
	s_min_i32 s12, s2, s33
	v_cmp_gt_i32_e64 s[2:3], s12, v0
	s_waitcnt lgkmcnt(0)
	v_max_f32_e32 v13, v13, v13
	v_max_f32_e32 v13, v12, v13
	v_and_b32_e32 v12, 0xffffff00, v14
	ds_bpermute_b32 v14, v12, v13
	v_mov_b32_e32 v13, 0
	s_and_saveexec_b64 s[26:27], s[2:3]
	s_cbranch_execz .LBB86_20
; %bb.17:
	v_mov_b32_e32 v13, 0x100
	v_lshl_add_u32 v15, v0, 2, v13
	s_mov_b64 s[28:29], 0
	v_mov_b32_e32 v13, 0
	v_mov_b32_e32 v16, v0
.LBB86_18:                              ; =>This Inner Loop Header: Depth=1
	ds_read_b32 v17, v15
	v_add_u32_e32 v16, 0x80, v16
	v_cmp_le_i32_e64 s[8:9], s12, v16
	s_or_b64 s[28:29], s[8:9], s[28:29]
	s_waitcnt lgkmcnt(0)
	v_sub_f32_e32 v17, v17, v14
	v_mul_f32_e32 v17, 0x3fb8aa3b, v17
	v_exp_f32_e32 v17, v17
	ds_write_b32 v15, v17
	v_add_f32_e32 v13, v13, v17
	v_add_u32_e32 v15, 0x200, v15
	s_andn2_b64 exec, exec, s[28:29]
	s_cbranch_execnz .LBB86_18
; %bb.19:
	s_or_b64 exec, exec, s[28:29]
.LBB86_20:
	s_or_b64 exec, exec, s[26:27]
	ds_bpermute_b32 v2, v2, v13
	s_waitcnt lgkmcnt(0)
	v_add_f32_e32 v2, v13, v2
	ds_bpermute_b32 v3, v3, v2
	s_waitcnt lgkmcnt(0)
	v_add_f32_e32 v2, v2, v3
	ds_bpermute_b32 v3, v10, v2
	v_xor_b32_e32 v10, 2, v7
	v_cmp_lt_i32_e64 s[8:9], v10, v8
	s_waitcnt lgkmcnt(0)
	v_add_f32_e32 v2, v2, v3
	ds_bpermute_b32 v3, v11, v2
	v_cndmask_b32_e64 v7, v7, v10, s[8:9]
	s_waitcnt lgkmcnt(0)
	v_add_f32_e32 v2, v2, v3
	v_lshlrev_b32_e32 v3, 2, v7
	ds_bpermute_b32 v3, v3, v2
	s_waitcnt lgkmcnt(0)
	v_add_f32_e32 v2, v2, v3
	ds_bpermute_b32 v3, v20, v2
	s_waitcnt lgkmcnt(0)
	v_add_f32_e32 v2, v2, v3
	s_and_saveexec_b64 s[8:9], vcc
	s_cbranch_execz .LBB86_22
; %bb.21:
	ds_write_b32 v5, v2 offset:248
.LBB86_22:
	s_or_b64 exec, exec, s[8:9]
	s_waitcnt lgkmcnt(0)
	s_barrier
	s_and_saveexec_b64 s[8:9], s[0:1]
	s_cbranch_execz .LBB86_24
; %bb.23:
	ds_read_b32 v2, v9 offset:248
.LBB86_24:
	s_or_b64 exec, exec, s[8:9]
	s_waitcnt lgkmcnt(0)
	ds_bpermute_b32 v3, v20, v2
	s_waitcnt lgkmcnt(0)
	v_add_f32_e32 v2, v2, v3
	ds_bpermute_b32 v2, v12, v2
	s_and_saveexec_b64 s[0:1], s[2:3]
	s_cbranch_execz .LBB86_37
; %bb.25:
	s_waitcnt lgkmcnt(0)
	v_add_f32_e32 v2, 0x358637bd, v2
	v_div_scale_f32 v3, s[2:3], v2, v2, 1.0
	v_rcp_f32_e32 v5, v3
	v_div_scale_f32 v7, vcc, 1.0, v2, 1.0
	s_movk_i32 s2, 0x7f
	v_fma_f32 v8, -v3, v5, 1.0
	v_fmac_f32_e32 v5, v8, v5
	v_mul_f32_e32 v8, v7, v5
	v_fma_f32 v9, -v3, v8, v7
	v_fmac_f32_e32 v8, v9, v5
	v_fma_f32 v3, -v3, v8, v7
	v_div_fmas_f32 v3, v3, v5, v8
	v_xad_u32 v5, v0, -1, s12
	v_div_fixup_f32 v2, v3, v2, 1.0
	v_cmp_lt_u32_e32 vcc, s2, v5
	s_mov_b64 s[8:9], -1
	v_mov_b32_e32 v3, v0
	s_and_saveexec_b64 s[2:3], vcc
	s_cbranch_execz .LBB86_34
; %bb.26:
	v_lshrrev_b32_e32 v5, 7, v5
	v_add_u32_e32 v8, -1, v5
	v_lshrrev_b32_e32 v7, 1, v8
	v_mov_b32_e32 v3, v2
	v_add_u32_e32 v7, 1, v7
	v_cmp_lt_u32_e32 vcc, 13, v8
	v_mov_b32_e32 v10, 0
	s_and_saveexec_b64 s[8:9], vcc
	s_cbranch_execz .LBB86_30
; %bb.27:
	v_mov_b32_e32 v9, 0x100
	v_and_b32_e32 v8, -8, v7
	v_lshl_add_u32 v9, v0, 2, v9
	s_mov_b32 s15, 0
	s_mov_b64 s[26:27], 0
.LBB86_28:                              ; =>This Inner Loop Header: Depth=1
	ds_read2st64_b32 v[10:11], v9 offset1:2
	ds_read2st64_b32 v[12:13], v9 offset0:4 offset1:6
	ds_read2st64_b32 v[14:15], v9 offset0:8 offset1:10
	;; [unrolled: 1-line block ×3, first 2 shown]
	v_add_u32_e32 v8, -8, v8
	s_waitcnt lgkmcnt(3)
	v_pk_mul_f32 v[10:11], v[2:3], v[10:11]
	s_waitcnt lgkmcnt(2)
	v_pk_mul_f32 v[12:13], v[2:3], v[12:13]
	ds_write2st64_b32 v9, v10, v11 offset1:2
	ds_write2st64_b32 v9, v12, v13 offset0:4 offset1:6
	ds_read2st64_b32 v[12:13], v9 offset0:16 offset1:18
	s_waitcnt lgkmcnt(4)
	v_pk_mul_f32 v[10:11], v[2:3], v[14:15]
	ds_write2st64_b32 v9, v10, v11 offset0:8 offset1:10
	s_waitcnt lgkmcnt(4)
	v_pk_mul_f32 v[10:11], v[2:3], v[16:17]
	ds_write2st64_b32 v9, v10, v11 offset0:12 offset1:14
	ds_read2st64_b32 v[10:11], v9 offset0:20 offset1:22
	s_waitcnt lgkmcnt(3)
	v_pk_mul_f32 v[12:13], v[2:3], v[12:13]
	ds_read2st64_b32 v[14:15], v9 offset0:24 offset1:26
	ds_write2st64_b32 v9, v12, v13 offset0:16 offset1:18
	ds_read2st64_b32 v[12:13], v9 offset0:28 offset1:30
	s_waitcnt lgkmcnt(3)
	v_pk_mul_f32 v[10:11], v[2:3], v[10:11]
	ds_write2st64_b32 v9, v10, v11 offset0:20 offset1:22
	s_waitcnt lgkmcnt(3)
	v_pk_mul_f32 v[10:11], v[2:3], v[14:15]
	ds_write2st64_b32 v9, v10, v11 offset0:24 offset1:26
	s_waitcnt lgkmcnt(2)
	v_pk_mul_f32 v[10:11], v[2:3], v[12:13]
	s_add_i32 s15, s15, 16
	v_cmp_eq_u32_e32 vcc, 0, v8
	ds_write2st64_b32 v9, v10, v11 offset0:28 offset1:30
	v_add_u32_e32 v9, 0x2000, v9
	s_or_b64 s[26:27], vcc, s[26:27]
	v_mov_b32_e32 v10, s15
	s_andn2_b64 exec, exec, s[26:27]
	s_cbranch_execnz .LBB86_28
; %bb.29:
	s_or_b64 exec, exec, s[26:27]
.LBB86_30:
	s_or_b64 exec, exec, s[8:9]
	v_and_b32_e32 v7, 7, v7
	v_cmp_ne_u32_e32 vcc, 0, v7
	s_and_saveexec_b64 s[8:9], vcc
	s_cbranch_execz .LBB86_33
; %bb.31:
	v_lshlrev_b32_e32 v8, 9, v10
	v_lshlrev_b32_e32 v9, 2, v0
	s_movk_i32 s15, 0x100
	v_add3_u32 v8, v8, v9, s15
	s_mov_b64 s[26:27], 0
.LBB86_32:                              ; =>This Inner Loop Header: Depth=1
	ds_read2st64_b32 v[10:11], v8 offset1:2
	v_add_u32_e32 v7, -1, v7
	v_cmp_eq_u32_e32 vcc, 0, v7
	s_or_b64 s[26:27], vcc, s[26:27]
	s_waitcnt lgkmcnt(0)
	v_pk_mul_f32 v[10:11], v[2:3], v[10:11]
	ds_write2st64_b32 v8, v10, v11 offset1:2
	v_add_u32_e32 v8, 0x400, v8
	s_andn2_b64 exec, exec, s[26:27]
	s_cbranch_execnz .LBB86_32
.LBB86_33:
	s_or_b64 exec, exec, s[8:9]
	v_add_u32_e32 v5, 1, v5
	v_and_b32_e32 v7, 0x3fffffe, v5
	v_cmp_ne_u32_e32 vcc, v5, v7
	v_lshl_add_u32 v3, v7, 7, v0
	s_orn2_b64 s[8:9], vcc, exec
.LBB86_34:
	s_or_b64 exec, exec, s[2:3]
	s_and_b64 exec, exec, s[8:9]
	s_cbranch_execz .LBB86_37
; %bb.35:
	v_mov_b32_e32 v5, 0x100
	v_lshl_add_u32 v5, v3, 2, v5
	s_mov_b64 s[2:3], 0
.LBB86_36:                              ; =>This Inner Loop Header: Depth=1
	ds_read_b32 v7, v5
	v_add_u32_e32 v3, 0x80, v3
	v_cmp_le_i32_e32 vcc, s12, v3
	s_or_b64 s[2:3], vcc, s[2:3]
	s_waitcnt lgkmcnt(0)
	v_mul_f32_e32 v7, v2, v7
	ds_write_b32 v5, v7
	v_add_u32_e32 v5, 0x200, v5
	s_andn2_b64 exec, exec, s[2:3]
	s_cbranch_execnz .LBB86_36
.LBB86_37:
	s_or_b64 exec, exec, s[0:1]
	v_mov_b32_e32 v9, 0
	v_lshrrev_b32_e32 v22, 1, v4
	v_and_b32_e32 v21, 1, v0
	v_mov_b32_e32 v8, v9
	v_mov_b32_e32 v11, v9
	;; [unrolled: 1-line block ×3, first 2 shown]
	s_waitcnt lgkmcnt(0)
	s_barrier
	s_and_saveexec_b64 s[8:9], s[6:7]
	s_cbranch_execz .LBB86_51
; %bb.38:
	s_ashr_i32 s15, s14, 31
	s_lshl_b64 s[0:1], s[14:15], 1
	v_lshlrev_b32_e32 v2, 3, v0
	s_add_u32 s6, s24, s0
	v_or_b32_e32 v4, 0x60, v22
	s_movk_i32 s0, 0x78
	v_and_b32_e32 v3, 8, v2
	s_addc_u32 s7, s25, s1
	s_add_i32 s24, s17, -1
	v_cmp_gt_u32_e32 vcc, s0, v4
	s_lshl_b64 s[0:1], s[22:23], 2
	v_lshl_or_b32 v2, v22, 4, v3
	v_lshl_or_b32 v4, v4, 4, v3
	v_lshl_or_b32 v23, v1, 4, v3
	v_lshlrev_b32_e32 v3, 5, v21
	s_add_u32 s0, s20, s0
	v_mov_b32_e32 v7, 0
	v_lshl_or_b32 v3, v1, 6, v3
	v_and_b32_e32 v6, 60, v6
	s_addc_u32 s1, s21, s1
	s_mov_b32 s26, s13
	s_mov_b32 s25, s33
	;; [unrolled: 1-line block ×8, first 2 shown]
	v_add_u32_e32 v24, 0x100, v3
	v_lshl_add_u64 v[12:13], s[0:1], 0, v[6:7]
	s_mov_b64 s[12:13], 0
	v_lshlrev_b32_e32 v14, 1, v2
	v_mov_b32_e32 v15, v7
	s_mov_b32 s20, 0x5040100
	v_lshlrev_b32_e32 v6, 1, v4
	v_mov_b32_e32 v10, v7
	v_mov_b32_e32 v11, v7
	;; [unrolled: 1-line block ×4, first 2 shown]
	s_branch .LBB86_41
.LBB86_39:                              ;   in Loop: Header=BB86_41 Depth=1
	s_or_b64 exec, exec, s[14:15]
	s_waitcnt vmcnt(0)
	;;#ASMSTART
	v_pk_mul_f16 v2, v28, v2;

	;;#ASMEND
	;;#ASMSTART
	v_pk_mul_f16 v3, v27, v3;

	;;#ASMEND
	;; [unrolled: 4-line block ×4, first 2 shown]
	s_nop 0
	;;#ASMSTART
	v_pk_add_f16 v2, v2, v3;

	;;#ASMEND
	s_nop 0
	;;#ASMSTART
	v_pk_add_f16 v2, v2, v4;

	;;#ASMEND
	;; [unrolled: 5-line block ×3, first 2 shown]
	s_nop 0
	v_lshrrev_b32_e32 v3, 16, v2
	v_and_b32_e32 v2, 0xffff, v2
	;;#ASMSTART
	v_cvt_f32_f16 v2, v2;
	;;#ASMEND
	;;#ASMSTART
	v_cvt_f32_f16 v3, v3;
	;;#ASMEND
	s_nop 0
	v_add_f32_e32 v2, v2, v3
	v_add_f32_e32 v9, v9, v2
.LBB86_40:                              ;   in Loop: Header=BB86_41 Depth=1
	s_or_b64 exec, exec, s[2:3]
	v_add_u32_e32 v1, 2, v1
	v_cmp_le_i32_e64 s[0:1], s17, v1
	v_add_u32_e32 v23, 32, v23
	v_add_u32_e32 v24, 0x80, v24
	s_or_b64 s[12:13], s[0:1], s[12:13]
	v_lshl_add_u64 v[12:13], v[12:13], 0, 8
	s_andn2_b64 exec, exec, s[12:13]
	s_cbranch_execz .LBB86_50
.LBB86_41:                              ; =>This Inner Loop Header: Depth=1
	global_load_dword v28, v[12:13], off
	ds_read2_b64 v[2:5], v24 offset1:1
	ds_read2_b64 v[16:19], v24 offset0:2 offset1:3
	s_waitcnt lgkmcnt(1)
	;;#ASMSTART
	v_cvt_f16_f32 v25, v2;

	;;#ASMEND
	;;#ASMSTART
	v_cvt_f16_f32 v26, v3;

	;;#ASMEND
	;; [unrolled: 4-line block ×4, first 2 shown]
	s_waitcnt lgkmcnt(0)
	;;#ASMSTART
	v_cvt_f16_f32 v30, v16;

	;;#ASMEND
	;;#ASMSTART
	v_cvt_f16_f32 v31, v17;

	;;#ASMEND
	;; [unrolled: 4-line block ×4, first 2 shown]
	s_waitcnt vmcnt(0)
	v_mad_i64_i32 v[2:3], s[0:1], v28, s26, 0
	v_lshl_add_u64 v[16:17], v[2:3], 1, s[6:7]
	v_lshl_add_u64 v[18:19], v[16:17], 0, v[14:15]
	global_load_dwordx4 v[2:5], v[18:19], off
	v_cmp_eq_u32_e64 s[0:1], s24, v1
	s_and_saveexec_b64 s[14:15], s[0:1]
	s_cbranch_execz .LBB86_43
; %bb.42:                               ;   in Loop: Header=BB86_41 Depth=1
	v_or_b32_e32 v38, 7, v23
	v_or_b32_e32 v39, 6, v23
	s_waitcnt vmcnt(0)
	v_lshrrev_b32_e32 v40, 16, v5
	v_cmp_gt_i32_e64 s[2:3], s34, v38
	v_or_b32_e32 v36, 5, v23
	v_or_b32_e32 v37, 4, v23
	v_cndmask_b32_e64 v38, 0, v40, s[2:3]
	v_cmp_gt_i32_e64 s[2:3], s31, v39
	v_or_b32_e32 v34, 3, v23
	v_or_b32_e32 v35, 2, v23
	v_cndmask_b32_e64 v5, 0, v5, s[2:3]
	v_perm_b32 v5, v38, v5, s20
	v_lshrrev_b32_e32 v38, 16, v4
	v_cmp_gt_i32_e64 s[2:3], s30, v36
	v_add_u32_e32 v28, 1, v23
	s_nop 0
	v_cndmask_b32_e64 v36, 0, v38, s[2:3]
	v_cmp_gt_i32_e64 s[2:3], s29, v37
	s_nop 1
	v_cndmask_b32_e64 v4, 0, v4, s[2:3]
	v_perm_b32 v4, v36, v4, s20
	v_lshrrev_b32_e32 v36, 16, v3
	v_cmp_gt_i32_e64 s[2:3], s28, v34
	s_nop 1
	v_cndmask_b32_e64 v34, 0, v36, s[2:3]
	v_cmp_gt_i32_e64 s[2:3], s27, v35
	s_nop 1
	v_cndmask_b32_e64 v3, 0, v3, s[2:3]
	v_perm_b32 v3, v34, v3, s20
	v_lshrrev_b32_e32 v34, 16, v2
	v_cmp_gt_i32_e64 s[2:3], s25, v28
	s_nop 1
	v_cndmask_b32_e64 v28, 0, v34, s[2:3]
	v_cmp_gt_i32_e64 s[2:3], s33, v23
	s_nop 1
	v_cndmask_b32_e64 v2, 0, v2, s[2:3]
	v_perm_b32 v2, v28, v2, s20
.LBB86_43:                              ;   in Loop: Header=BB86_41 Depth=1
	s_or_b64 exec, exec, s[14:15]
	v_and_b32_e32 v25, 0xffff, v25
	v_lshl_or_b32 v28, v26, 16, v25
	v_and_b32_e32 v25, 0xffff, v27
	v_lshl_or_b32 v27, v29, 16, v25
	;; [unrolled: 2-line block ×3, first 2 shown]
	v_and_b32_e32 v25, 0xffff, v32
	s_waitcnt vmcnt(0)
	;;#ASMSTART
	v_pk_mul_f16 v2, v28, v2;

	;;#ASMEND
	v_lshl_or_b32 v25, v33, 16, v25
	;;#ASMSTART
	v_pk_mul_f16 v3, v27, v3;

	;;#ASMEND
	;;#ASMSTART
	v_pk_mul_f16 v4, v26, v4;

	;;#ASMEND
	;; [unrolled: 4-line block ×3, first 2 shown]
	s_nop 0
	;;#ASMSTART
	v_pk_add_f16 v2, v2, v3;

	;;#ASMEND
	s_nop 0
	;;#ASMSTART
	v_pk_add_f16 v2, v2, v4;

	;;#ASMEND
	;; [unrolled: 5-line block ×3, first 2 shown]
	s_nop 0
	v_lshrrev_b32_e32 v3, 16, v2
	v_and_b32_e32 v2, 0xffff, v2
	;;#ASMSTART
	v_cvt_f32_f16 v29, v2;
	;;#ASMEND
	;;#ASMSTART
	v_cvt_f32_f16 v30, v3;
	;;#ASMEND
	global_load_dwordx4 v[2:5], v[18:19], off offset:1024
	s_and_saveexec_b64 s[14:15], s[0:1]
	s_cbranch_execz .LBB86_45
; %bb.44:                               ;   in Loop: Header=BB86_41 Depth=1
	v_or_b32_e32 v36, 7, v23
	v_or_b32_e32 v37, 6, v23
	s_waitcnt vmcnt(0)
	v_lshrrev_b32_e32 v38, 16, v5
	v_cmp_gt_i32_e64 s[2:3], s34, v36
	v_or_b32_e32 v34, 5, v23
	v_or_b32_e32 v35, 4, v23
	v_cndmask_b32_e64 v36, 0, v38, s[2:3]
	v_cmp_gt_i32_e64 s[2:3], s31, v37
	v_or_b32_e32 v32, 3, v23
	v_or_b32_e32 v33, 2, v23
	v_cndmask_b32_e64 v5, 0, v5, s[2:3]
	v_perm_b32 v5, v36, v5, s20
	v_lshrrev_b32_e32 v36, 16, v4
	v_cmp_gt_i32_e64 s[2:3], s30, v34
	v_add_u32_e32 v31, 1, v23
	s_nop 0
	v_cndmask_b32_e64 v34, 0, v36, s[2:3]
	v_cmp_gt_i32_e64 s[2:3], s29, v35
	s_nop 1
	v_cndmask_b32_e64 v4, 0, v4, s[2:3]
	v_perm_b32 v4, v34, v4, s20
	v_lshrrev_b32_e32 v34, 16, v3
	v_cmp_gt_i32_e64 s[2:3], s28, v32
	s_nop 1
	v_cndmask_b32_e64 v32, 0, v34, s[2:3]
	v_cmp_gt_i32_e64 s[2:3], s27, v33
	s_nop 1
	v_cndmask_b32_e64 v3, 0, v3, s[2:3]
	v_perm_b32 v3, v32, v3, s20
	v_lshrrev_b32_e32 v32, 16, v2
	v_cmp_gt_i32_e64 s[2:3], s25, v31
	s_nop 1
	v_cndmask_b32_e64 v31, 0, v32, s[2:3]
	v_cmp_gt_i32_e64 s[2:3], s33, v23
	s_nop 1
	v_cndmask_b32_e64 v2, 0, v2, s[2:3]
	v_perm_b32 v2, v31, v2, s20
.LBB86_45:                              ;   in Loop: Header=BB86_41 Depth=1
	s_or_b64 exec, exec, s[14:15]
	s_waitcnt vmcnt(0)
	;;#ASMSTART
	v_pk_mul_f16 v2, v28, v2;

	;;#ASMEND
	;;#ASMSTART
	v_pk_mul_f16 v3, v27, v3;

	;;#ASMEND
	;; [unrolled: 4-line block ×4, first 2 shown]
	s_nop 0
	;;#ASMSTART
	v_pk_add_f16 v2, v2, v3;

	;;#ASMEND
	s_nop 0
	;;#ASMSTART
	v_pk_add_f16 v2, v2, v4;

	;;#ASMEND
	;; [unrolled: 5-line block ×3, first 2 shown]
	s_nop 0
	v_lshrrev_b32_e32 v3, 16, v2
	v_and_b32_e32 v2, 0xffff, v2
	;;#ASMSTART
	v_cvt_f32_f16 v31, v2;
	;;#ASMEND
	;;#ASMSTART
	v_cvt_f32_f16 v32, v3;
	;;#ASMEND
	global_load_dwordx4 v[2:5], v[18:19], off offset:2048
	s_and_saveexec_b64 s[14:15], s[0:1]
	s_cbranch_execz .LBB86_47
; %bb.46:                               ;   in Loop: Header=BB86_41 Depth=1
	v_or_b32_e32 v36, 7, v23
	v_or_b32_e32 v37, 6, v23
	s_waitcnt vmcnt(0)
	v_lshrrev_b32_e32 v38, 16, v5
	v_cmp_gt_i32_e64 s[2:3], s34, v36
	v_or_b32_e32 v34, 5, v23
	v_or_b32_e32 v35, 4, v23
	v_cndmask_b32_e64 v36, 0, v38, s[2:3]
	v_cmp_gt_i32_e64 s[2:3], s31, v37
	v_or_b32_e32 v19, 3, v23
	v_or_b32_e32 v33, 2, v23
	v_cndmask_b32_e64 v5, 0, v5, s[2:3]
	v_perm_b32 v5, v36, v5, s20
	v_lshrrev_b32_e32 v36, 16, v4
	v_cmp_gt_i32_e64 s[2:3], s30, v34
	v_add_u32_e32 v18, 1, v23
	s_nop 0
	v_cndmask_b32_e64 v34, 0, v36, s[2:3]
	v_cmp_gt_i32_e64 s[2:3], s29, v35
	s_nop 1
	v_cndmask_b32_e64 v4, 0, v4, s[2:3]
	v_perm_b32 v4, v34, v4, s20
	v_lshrrev_b32_e32 v34, 16, v3
	v_cmp_gt_i32_e64 s[2:3], s28, v19
	s_nop 1
	v_cndmask_b32_e64 v19, 0, v34, s[2:3]
	v_cmp_gt_i32_e64 s[2:3], s27, v33
	s_nop 1
	v_cndmask_b32_e64 v3, 0, v3, s[2:3]
	v_perm_b32 v3, v19, v3, s20
	v_lshrrev_b32_e32 v19, 16, v2
	v_cmp_gt_i32_e64 s[2:3], s25, v18
	s_nop 1
	v_cndmask_b32_e64 v18, 0, v19, s[2:3]
	v_cmp_gt_i32_e64 s[2:3], s33, v23
	s_nop 1
	v_cndmask_b32_e64 v2, 0, v2, s[2:3]
	v_perm_b32 v2, v18, v2, s20
.LBB86_47:                              ;   in Loop: Header=BB86_41 Depth=1
	s_or_b64 exec, exec, s[14:15]
	s_waitcnt vmcnt(0)
	;;#ASMSTART
	v_pk_mul_f16 v2, v28, v2;

	;;#ASMEND
	;;#ASMSTART
	v_pk_mul_f16 v3, v27, v3;

	;;#ASMEND
	;;#ASMSTART
	v_pk_mul_f16 v4, v26, v4;

	;;#ASMEND
	;;#ASMSTART
	v_pk_mul_f16 v5, v25, v5;

	;;#ASMEND
	v_add_f32_e32 v18, v29, v30
	;;#ASMSTART
	v_pk_add_f16 v2, v2, v3;

	;;#ASMEND
	v_add_f32_e32 v10, v10, v18
	;;#ASMSTART
	v_pk_add_f16 v2, v2, v4;

	;;#ASMEND
	;; [unrolled: 5-line block ×3, first 2 shown]
	v_add_f32_e32 v11, v11, v18
	v_lshrrev_b32_e32 v3, 16, v2
	v_and_b32_e32 v2, 0xffff, v2
	;;#ASMSTART
	v_cvt_f32_f16 v2, v2;
	;;#ASMEND
	;;#ASMSTART
	v_cvt_f32_f16 v3, v3;
	;;#ASMEND
	s_nop 0
	v_add_f32_e32 v2, v2, v3
	v_add_f32_e32 v8, v8, v2
	s_and_saveexec_b64 s[2:3], vcc
	s_cbranch_execz .LBB86_40
; %bb.48:                               ;   in Loop: Header=BB86_41 Depth=1
	v_lshl_add_u64 v[2:3], v[16:17], 0, v[6:7]
	global_load_dwordx4 v[2:5], v[2:3], off
	s_and_saveexec_b64 s[14:15], s[0:1]
	s_cbranch_execz .LBB86_39
; %bb.49:                               ;   in Loop: Header=BB86_41 Depth=1
	v_or_b32_e32 v30, 7, v23
	v_or_b32_e32 v31, 6, v23
	s_waitcnt vmcnt(0)
	v_lshrrev_b32_e32 v32, 16, v5
	v_cmp_gt_i32_e64 s[0:1], s34, v30
	v_or_b32_e32 v19, 5, v23
	v_or_b32_e32 v29, 4, v23
	v_cndmask_b32_e64 v30, 0, v32, s[0:1]
	v_cmp_gt_i32_e64 s[0:1], s31, v31
	v_or_b32_e32 v17, 3, v23
	v_or_b32_e32 v18, 2, v23
	v_cndmask_b32_e64 v5, 0, v5, s[0:1]
	v_perm_b32 v5, v30, v5, s20
	v_lshrrev_b32_e32 v30, 16, v4
	v_cmp_gt_i32_e64 s[0:1], s30, v19
	v_add_u32_e32 v16, 1, v23
	s_nop 0
	v_cndmask_b32_e64 v19, 0, v30, s[0:1]
	v_cmp_gt_i32_e64 s[0:1], s29, v29
	s_nop 1
	v_cndmask_b32_e64 v4, 0, v4, s[0:1]
	v_perm_b32 v4, v19, v4, s20
	v_lshrrev_b32_e32 v19, 16, v3
	v_cmp_gt_i32_e64 s[0:1], s28, v17
	s_nop 1
	v_cndmask_b32_e64 v17, 0, v19, s[0:1]
	v_cmp_gt_i32_e64 s[0:1], s27, v18
	s_nop 1
	v_cndmask_b32_e64 v3, 0, v3, s[0:1]
	v_perm_b32 v3, v17, v3, s20
	v_lshrrev_b32_e32 v17, 16, v2
	v_cmp_gt_i32_e64 s[0:1], s25, v16
	s_nop 1
	v_cndmask_b32_e64 v16, 0, v17, s[0:1]
	v_cmp_gt_i32_e64 s[0:1], s33, v23
	s_nop 1
	v_cndmask_b32_e64 v2, 0, v2, s[0:1]
	v_perm_b32 v2, v16, v2, s20
	s_branch .LBB86_39
.LBB86_50:
	s_or_b64 exec, exec, s[12:13]
.LBB86_51:
	s_or_b64 exec, exec, s[8:9]
	ds_bpermute_b32 v2, v20, v10
	ds_bpermute_b32 v3, v20, v11
	;; [unrolled: 1-line block ×4, first 2 shown]
	v_and_b32_e32 v1, 0x3c0, v0
	v_cmp_eq_u32_e32 vcc, 64, v1
	s_waitcnt lgkmcnt(2)
	v_pk_add_f32 v[4:5], v[10:11], v[2:3]
	s_waitcnt lgkmcnt(0)
	v_pk_add_f32 v[2:3], v[8:9], v[6:7]
	s_barrier
	s_and_saveexec_b64 s[2:3], vcc
	s_cbranch_execz .LBB86_56
; %bb.52:
	v_cmp_eq_u32_e32 vcc, 0, v21
	s_and_saveexec_b64 s[0:1], vcc
	s_cbranch_execz .LBB86_54
; %bb.53:
	v_mov_b32_e32 v1, 0x100
	v_lshl_add_u32 v1, v22, 2, v1
	ds_write2_b32 v1, v4, v5 offset1:32
	ds_write_b32 v1, v2 offset:256
.LBB86_54:
	s_or_b64 exec, exec, s[0:1]
	v_or_b32_e32 v1, 0x60, v22
	s_movk_i32 s0, 0x78
	v_cmp_gt_u32_e64 s[0:1], s0, v1
	s_and_b64 s[0:1], vcc, s[0:1]
	s_and_b64 exec, exec, s[0:1]
	s_cbranch_execz .LBB86_56
; %bb.55:
	v_mov_b32_e32 v1, 0x100
	v_lshl_add_u32 v1, v22, 2, v1
	ds_write_b32 v1, v3 offset:384
.LBB86_56:
	s_or_b64 exec, exec, s[2:3]
	v_cmp_gt_u32_e32 vcc, 64, v0
	v_lshrrev_b32_e32 v0, 1, v0
	s_waitcnt lgkmcnt(0)
	s_barrier
	s_and_saveexec_b64 s[6:7], vcc
	s_cbranch_execz .LBB86_64
; %bb.57:
	v_cmp_eq_u32_e64 s[0:1], 0, v21
	s_and_saveexec_b64 s[2:3], s[0:1]
	s_cbranch_execnz .LBB86_70
; %bb.58:
	s_or_b64 exec, exec, s[2:3]
	s_and_saveexec_b64 s[2:3], s[0:1]
	s_cbranch_execnz .LBB86_71
.LBB86_59:
	s_or_b64 exec, exec, s[2:3]
	s_and_saveexec_b64 s[2:3], s[0:1]
	s_cbranch_execz .LBB86_61
.LBB86_60:
	v_mov_b32_e32 v1, 0x100
	v_lshl_add_u32 v1, v0, 2, v1
	ds_read_b32 v1, v1 offset:256
	s_waitcnt lgkmcnt(0)
	v_add_f32_e32 v2, v2, v1
.LBB86_61:
	s_or_b64 exec, exec, s[2:3]
	v_or_b32_e32 v1, 0x60, v0
	s_movk_i32 s2, 0x78
	v_cmp_gt_u32_e64 s[2:3], s2, v1
	s_and_b64 s[2:3], s[0:1], s[2:3]
	s_and_saveexec_b64 s[0:1], s[2:3]
	s_cbranch_execz .LBB86_63
; %bb.62:
	v_mov_b32_e32 v1, 0x100
	v_lshl_add_u32 v1, v0, 2, v1
	ds_read_b32 v1, v1 offset:384
	s_waitcnt lgkmcnt(0)
	v_add_f32_e32 v3, v3, v1
.LBB86_63:
	s_or_b64 exec, exec, s[0:1]
.LBB86_64:
	s_or_b64 exec, exec, s[6:7]
	s_barrier
	s_and_saveexec_b64 s[0:1], vcc
	s_cbranch_execz .LBB86_69
; %bb.65:
	s_mul_i32 s0, s10, s11
	s_mul_i32 s0, s0, s5
	s_mulk_i32 s0, 0x78
	s_ashr_i32 s1, s0, 31
	s_lshl_b64 s[0:1], s[0:1], 1
	s_add_u32 s2, s18, s0
	s_mul_i32 s0, s11, s16
	s_addc_u32 s3, s19, s1
	s_ashr_i32 s1, s0, 31
	s_lshl_b64 s[0:1], s[0:1], 1
	s_add_u32 s2, s2, s0
	s_mul_i32 s0, s4, 0x78
	s_addc_u32 s3, s3, s1
	s_ashr_i32 s1, s0, 31
	s_lshl_b64 s[0:1], s[0:1], 1
	s_add_u32 s2, s2, s0
	s_movk_i32 s5, 0x78
	s_addc_u32 s3, s3, s1
	v_cmp_eq_u32_e32 vcc, 0, v21
	v_lshlrev_b32_e32 v1, 1, v0
	s_and_saveexec_b64 s[0:1], vcc
	s_cbranch_execz .LBB86_67
; %bb.66:
	;;#ASMSTART
	v_cvt_f16_f32 v4, v4;

	;;#ASMEND
	global_store_short v1, v4, s[2:3]
	;;#ASMSTART
	v_cvt_f16_f32 v4, v5;

	;;#ASMEND
	global_store_short v1, v4, s[2:3] offset:64
	;;#ASMSTART
	v_cvt_f16_f32 v2, v2;

	;;#ASMEND
	global_store_short v1, v2, s[2:3] offset:128
.LBB86_67:
	s_or_b64 exec, exec, s[0:1]
	v_or_b32_e32 v0, 0x60, v0
	v_cmp_gt_u32_e64 s[0:1], s5, v0
	s_and_b64 s[0:1], vcc, s[0:1]
	s_and_b64 exec, exec, s[0:1]
	s_cbranch_execz .LBB86_69
; %bb.68:
	;;#ASMSTART
	v_cvt_f16_f32 v0, v3;

	;;#ASMEND
	global_store_short v1, v0, s[2:3] offset:192
.LBB86_69:
	s_endpgm
.LBB86_70:
	v_mov_b32_e32 v1, 0x100
	v_lshl_add_u32 v1, v0, 2, v1
	ds_read_b32 v1, v1
	s_waitcnt lgkmcnt(0)
	v_add_f32_e32 v4, v4, v1
	s_or_b64 exec, exec, s[2:3]
	s_and_saveexec_b64 s[2:3], s[0:1]
	s_cbranch_execz .LBB86_59
.LBB86_71:
	v_mov_b32_e32 v1, 0x100
	v_lshl_add_u32 v1, v0, 2, v1
	ds_read_b32 v1, v1 offset:128
	s_waitcnt lgkmcnt(0)
	v_add_f32_e32 v5, v5, v1
	s_or_b64 exec, exec, s[2:3]
	s_and_saveexec_b64 s[2:3], s[0:1]
	s_cbranch_execnz .LBB86_60
	s_branch .LBB86_61
	.section	.rodata,"a",@progbits
	.p2align	6, 0x0
	.amdhsa_kernel _ZN4vllm25paged_attention_v1_kernelIttLi120ELi16ELi128ELNS_18Fp8KVCacheDataTypeE0ELb0EEEvPT_PKS2_PKT0_S8_ifPKiSA_iPKfiiiSC_SC_iiiii
		.amdhsa_group_segment_fixed_size 256
		.amdhsa_private_segment_fixed_size 0
		.amdhsa_kernarg_size 384
		.amdhsa_user_sgpr_count 2
		.amdhsa_user_sgpr_dispatch_ptr 0
		.amdhsa_user_sgpr_queue_ptr 0
		.amdhsa_user_sgpr_kernarg_segment_ptr 1
		.amdhsa_user_sgpr_dispatch_id 0
		.amdhsa_user_sgpr_kernarg_preload_length 0
		.amdhsa_user_sgpr_kernarg_preload_offset 0
		.amdhsa_user_sgpr_private_segment_size 0
		.amdhsa_uses_dynamic_stack 0
		.amdhsa_enable_private_segment 0
		.amdhsa_system_sgpr_workgroup_id_x 1
		.amdhsa_system_sgpr_workgroup_id_y 1
		.amdhsa_system_sgpr_workgroup_id_z 1
		.amdhsa_system_sgpr_workgroup_info 0
		.amdhsa_system_vgpr_workitem_id 0
		.amdhsa_next_free_vgpr 64
		.amdhsa_next_free_sgpr 35
		.amdhsa_accum_offset 64
		.amdhsa_reserve_vcc 1
		.amdhsa_float_round_mode_32 0
		.amdhsa_float_round_mode_16_64 0
		.amdhsa_float_denorm_mode_32 3
		.amdhsa_float_denorm_mode_16_64 3
		.amdhsa_dx10_clamp 1
		.amdhsa_ieee_mode 1
		.amdhsa_fp16_overflow 0
		.amdhsa_tg_split 0
		.amdhsa_exception_fp_ieee_invalid_op 0
		.amdhsa_exception_fp_denorm_src 0
		.amdhsa_exception_fp_ieee_div_zero 0
		.amdhsa_exception_fp_ieee_overflow 0
		.amdhsa_exception_fp_ieee_underflow 0
		.amdhsa_exception_fp_ieee_inexact 0
		.amdhsa_exception_int_div_zero 0
	.end_amdhsa_kernel
	.section	.text._ZN4vllm25paged_attention_v1_kernelIttLi120ELi16ELi128ELNS_18Fp8KVCacheDataTypeE0ELb0EEEvPT_PKS2_PKT0_S8_ifPKiSA_iPKfiiiSC_SC_iiiii,"axG",@progbits,_ZN4vllm25paged_attention_v1_kernelIttLi120ELi16ELi128ELNS_18Fp8KVCacheDataTypeE0ELb0EEEvPT_PKS2_PKT0_S8_ifPKiSA_iPKfiiiSC_SC_iiiii,comdat
.Lfunc_end86:
	.size	_ZN4vllm25paged_attention_v1_kernelIttLi120ELi16ELi128ELNS_18Fp8KVCacheDataTypeE0ELb0EEEvPT_PKS2_PKT0_S8_ifPKiSA_iPKfiiiSC_SC_iiiii, .Lfunc_end86-_ZN4vllm25paged_attention_v1_kernelIttLi120ELi16ELi128ELNS_18Fp8KVCacheDataTypeE0ELb0EEEvPT_PKS2_PKT0_S8_ifPKiSA_iPKfiiiSC_SC_iiiii
                                        ; -- End function
	.section	.AMDGPU.csdata,"",@progbits
; Kernel info:
; codeLenInByte = 6300
; NumSgprs: 41
; NumVgprs: 64
; NumAgprs: 0
; TotalNumVgprs: 64
; ScratchSize: 0
; MemoryBound: 0
; FloatMode: 240
; IeeeMode: 1
; LDSByteSize: 256 bytes/workgroup (compile time only)
; SGPRBlocks: 5
; VGPRBlocks: 7
; NumSGPRsForWavesPerEU: 41
; NumVGPRsForWavesPerEU: 64
; AccumOffset: 64
; Occupancy: 8
; WaveLimiterHint : 1
; COMPUTE_PGM_RSRC2:SCRATCH_EN: 0
; COMPUTE_PGM_RSRC2:USER_SGPR: 2
; COMPUTE_PGM_RSRC2:TRAP_HANDLER: 0
; COMPUTE_PGM_RSRC2:TGID_X_EN: 1
; COMPUTE_PGM_RSRC2:TGID_Y_EN: 1
; COMPUTE_PGM_RSRC2:TGID_Z_EN: 1
; COMPUTE_PGM_RSRC2:TIDIG_COMP_CNT: 0
; COMPUTE_PGM_RSRC3_GFX90A:ACCUM_OFFSET: 15
; COMPUTE_PGM_RSRC3_GFX90A:TG_SPLIT: 0
	.section	.text._ZN4vllm25paged_attention_v1_kernelIttLi128ELi16ELi128ELNS_18Fp8KVCacheDataTypeE0ELb0EEEvPT_PKS2_PKT0_S8_ifPKiSA_iPKfiiiSC_SC_iiiii,"axG",@progbits,_ZN4vllm25paged_attention_v1_kernelIttLi128ELi16ELi128ELNS_18Fp8KVCacheDataTypeE0ELb0EEEvPT_PKS2_PKT0_S8_ifPKiSA_iPKfiiiSC_SC_iiiii,comdat
	.protected	_ZN4vllm25paged_attention_v1_kernelIttLi128ELi16ELi128ELNS_18Fp8KVCacheDataTypeE0ELb0EEEvPT_PKS2_PKT0_S8_ifPKiSA_iPKfiiiSC_SC_iiiii ; -- Begin function _ZN4vllm25paged_attention_v1_kernelIttLi128ELi16ELi128ELNS_18Fp8KVCacheDataTypeE0ELb0EEEvPT_PKS2_PKT0_S8_ifPKiSA_iPKfiiiSC_SC_iiiii
	.globl	_ZN4vllm25paged_attention_v1_kernelIttLi128ELi16ELi128ELNS_18Fp8KVCacheDataTypeE0ELb0EEEvPT_PKS2_PKT0_S8_ifPKiSA_iPKfiiiSC_SC_iiiii
	.p2align	8
	.type	_ZN4vllm25paged_attention_v1_kernelIttLi128ELi16ELi128ELNS_18Fp8KVCacheDataTypeE0ELb0EEEvPT_PKS2_PKT0_S8_ifPKiSA_iPKfiiiSC_SC_iiiii,@function
_ZN4vllm25paged_attention_v1_kernelIttLi128ELi16ELi128ELNS_18Fp8KVCacheDataTypeE0ELb0EEEvPT_PKS2_PKT0_S8_ifPKiSA_iPKfiiiSC_SC_iiiii: ; @_ZN4vllm25paged_attention_v1_kernelIttLi128ELi16ELi128ELNS_18Fp8KVCacheDataTypeE0ELb0EEEvPT_PKS2_PKT0_S8_ifPKiSA_iPKfiiiSC_SC_iiiii
; %bb.0:
	s_load_dword s5, s[0:1], 0x80
	s_load_dwordx2 s[6:7], s[0:1], 0x30
	s_load_dwordx2 s[10:11], s[0:1], 0x20
	s_mov_b32 s16, s3
	s_ashr_i32 s17, s3, 31
	s_lshl_b64 s[8:9], s[16:17], 2
	s_waitcnt lgkmcnt(0)
	s_add_u32 s6, s6, s8
	s_addc_u32 s7, s7, s9
	s_abs_i32 s3, s10
	v_cvt_f32_u32_e32 v1, s3
	s_xor_b32 s8, s5, s10
	s_sub_i32 s10, 0, s3
	s_abs_i32 s9, s5
	v_rcp_iflag_f32_e32 v1, v1
	s_ashr_i32 s8, s8, 31
	v_mul_f32_e32 v1, 0x4f7ffffe, v1
	v_cvt_u32_f32_e32 v1, v1
	s_nop 0
	v_readfirstlane_b32 s12, v1
	s_mul_i32 s10, s10, s12
	s_mul_hi_u32 s10, s12, s10
	s_add_i32 s12, s12, s10
	s_mul_hi_u32 s10, s9, s12
	s_mul_i32 s12, s10, s3
	s_sub_i32 s9, s9, s12
	s_add_i32 s12, s10, 1
	s_sub_i32 s13, s9, s3
	s_cmp_ge_u32 s9, s3
	s_cselect_b32 s10, s12, s10
	s_cselect_b32 s9, s13, s9
	s_add_i32 s12, s10, 1
	s_cmp_ge_u32 s9, s3
	s_cselect_b32 s3, s12, s10
	s_xor_b32 s3, s3, s8
	s_sub_i32 s18, s3, s8
	s_abs_i32 s20, s18
	v_cvt_f32_u32_e32 v1, s20
	s_load_dwordx2 s[8:9], s[0:1], 0x40
	s_sub_i32 s3, 0, s20
	s_abs_i32 s21, s2
	v_rcp_iflag_f32_e32 v1, v1
	s_mov_b32 s10, 0
	v_mul_f32_e32 v1, 0x4f7ffffe, v1
	v_cvt_u32_f32_e32 v1, v1
	s_nop 0
	v_readfirstlane_b32 s12, v1
	s_mul_i32 s3, s3, s12
	s_mul_hi_u32 s3, s12, s3
	s_add_i32 s12, s12, s3
	s_waitcnt lgkmcnt(0)
	s_cmp_eq_u64 s[8:9], 0
	s_mul_hi_u32 s24, s21, s12
	s_cbranch_scc1 .LBB87_2
; %bb.1:
	s_ashr_i32 s3, s2, 31
	s_lshl_b64 s[12:13], s[2:3], 2
	s_add_u32 s8, s8, s12
	s_addc_u32 s9, s9, s13
	s_load_dword s10, s[8:9], 0x0
.LBB87_2:
	s_load_dword s17, s[6:7], 0x0
	s_load_dwordx4 s[12:15], s[0:1], 0x48
	s_ashr_i32 s8, s2, 31
	s_ashr_i32 s9, s18, 31
	v_and_b32_e32 v4, 3, v0
	s_lshl_b32 s18, s2, 7
	v_cmp_gt_u32_e64 s[6:7], 64, v0
	s_and_saveexec_b64 s[2:3], s[6:7]
	s_cbranch_execz .LBB87_4
; %bb.3:
	s_load_dwordx2 s[22:23], s[0:1], 0x8
	s_waitcnt lgkmcnt(0)
	s_mul_i32 s26, s16, s12
	s_ashr_i32 s27, s26, 31
	s_lshl_b64 s[26:27], s[26:27], 1
	v_lshlrev_b32_e32 v1, 2, v0
	s_add_u32 s12, s22, s26
	s_addc_u32 s15, s23, s27
	s_ashr_i32 s19, s18, 31
	s_lshl_b64 s[22:23], s[18:19], 1
	s_add_u32 s22, s12, s22
	s_addc_u32 s23, s15, s23
	global_load_dword v1, v1, s[22:23]
	v_and_b32_e32 v2, 0x3fc, v0
	v_lshl_add_u32 v2, v4, 6, v2
	s_waitcnt vmcnt(0)
	ds_write_b32 v2, v1
.LBB87_4:
	s_or_b64 exec, exec, s[2:3]
	s_waitcnt lgkmcnt(0)
	s_add_i32 s3, s17, 15
	s_ashr_i32 s12, s3, 31
	s_lshr_b32 s12, s12, 28
	s_add_i32 s3, s3, s12
	s_ashr_i32 s19, s3, 4
	s_xor_b32 s3, s8, s9
	s_mul_i32 s8, s24, s20
	s_sub_i32 s8, s21, s8
	s_add_i32 s9, s24, 1
	s_sub_i32 s12, s8, s20
	s_load_dwordx2 s[22:23], s[0:1], 0x28
	s_load_dword s2, s[0:1], 0x38
	s_cmp_ge_u32 s8, s20
	s_cselect_b32 s9, s9, s24
	s_cselect_b32 s8, s12, s8
	s_add_i32 s12, s9, 1
	s_cmp_ge_u32 s8, s20
	s_cselect_b32 s8, s12, s9
	v_lshrrev_b32_e32 v1, 6, v0
	s_xor_b32 s8, s8, s3
	s_waitcnt lgkmcnt(0)
	s_mul_i32 s24, s16, s2
	s_sub_i32 s15, s8, s3
	s_ashr_i32 s25, s24, 31
	v_cmp_gt_i32_e64 s[2:3], s19, v1
	v_cmp_le_i32_e32 vcc, s19, v1
	v_mbcnt_lo_u32_b32 v6, -1, 0
	s_barrier
	s_waitcnt lgkmcnt(0)
                                        ; implicit-def: $sgpr30
                                        ; implicit-def: $vgpr8
                                        ; implicit-def: $vgpr9
	s_and_saveexec_b64 s[8:9], vcc
	s_xor_b64 s[8:9], exec, s[8:9]
; %bb.5:
	v_mbcnt_hi_u32_b32 v8, -1, v6
	v_and_b32_e32 v2, 64, v8
	v_add_u32_e32 v9, 64, v2
	s_mov_b32 s30, 0xff7fffff
                                        ; implicit-def: $vgpr4
                                        ; implicit-def: $vgpr6
; %bb.6:
	s_or_saveexec_b64 s[28:29], s[8:9]
	s_load_dwordx2 s[20:21], s[0:1], 0x0
	s_load_dwordx2 s[26:27], s[0:1], 0x18
	s_load_dword s12, s[0:1], 0x88
	v_mov_b32_e32 v10, s30
	s_mul_i32 s14, s15, s14
	v_lshrrev_b32_e32 v12, 4, v0
	s_xor_b64 exec, exec, s[28:29]
	s_cbranch_execz .LBB87_12
; %bb.7:
	s_load_dwordx2 s[0:1], s[0:1], 0x10
	s_ashr_i32 s15, s14, 31
	s_lshl_b64 s[8:9], s[14:15], 1
	v_bfe_u32 v5, v0, 2, 4
	v_lshlrev_b32_e32 v8, 4, v5
	s_waitcnt lgkmcnt(0)
	s_add_u32 s0, s0, s8
	s_addc_u32 s1, s1, s9
	v_mov_b32_e32 v9, 0
	v_lshlrev_b32_e32 v7, 2, v0
	s_sub_i32 s15, 1, s17
	s_lshl_b64 s[8:9], s[24:25], 2
	v_lshl_add_u64 v[2:3], s[0:1], 0, v[8:9]
	v_and_b32_e32 v8, 12, v7
	v_lshlrev_b32_e32 v11, 6, v4
	v_cmp_eq_u32_e32 vcc, 0, v4
	v_lshlrev_b32_e32 v4, 2, v5
	s_add_u32 s8, s22, s8
	v_lshl_add_u64 v[2:3], v[2:3], 0, v[8:9]
	v_lshl_or_b32 v4, v1, 6, v4
	v_and_b32_e32 v8, 60, v12
	s_addc_u32 s9, s23, s9
	v_lshl_or_b32 v13, v1, 4, v5
	v_add_u32_e32 v14, 0x110, v4
	v_lshl_add_u64 v[4:5], s[8:9], 0, v[8:9]
	v_mbcnt_hi_u32_b32 v8, -1, v6
	v_and_b32_e32 v6, 64, v8
	s_mov_b32 s33, s13
	v_cmp_neq_f32_e64 s[0:1], s10, 0
	s_mov_b64 s[30:31], 0
	v_mov_b32_e32 v10, 0xff7fffff
	v_add_u32_e32 v9, 64, v6
	v_xor_b32_e32 v15, 2, v8
	v_xor_b32_e32 v16, 1, v8
	v_mov_b32_e32 v17, v1
	s_branch .LBB87_9
.LBB87_8:                               ;   in Loop: Header=BB87_9 Depth=1
	s_or_b64 exec, exec, s[34:35]
	v_add_u32_e32 v17, 2, v17
	v_cmp_le_i32_e64 s[8:9], s19, v17
	v_add_u32_e32 v13, 32, v13
	v_add_u32_e32 v14, 0x80, v14
	s_or_b64 s[30:31], s[8:9], s[30:31]
	v_lshl_add_u64 v[4:5], v[4:5], 0, 8
	s_andn2_b64 exec, exec, s[30:31]
	s_cbranch_execz .LBB87_11
.LBB87_9:                               ; =>This Inner Loop Header: Depth=1
	global_load_dword v6, v[4:5], off
	s_waitcnt vmcnt(0) lgkmcnt(0)
	v_mad_i64_i32 v[6:7], s[8:9], v6, s33, 0
	v_lshl_add_u64 v[6:7], v[6:7], 1, v[2:3]
	global_load_dword v26, v[6:7], off
	global_load_dword v27, v[6:7], off offset:256
	global_load_dword v28, v[6:7], off offset:512
	;; [unrolled: 1-line block ×12, first 2 shown]
	ds_read_b32 v32, v11
	global_load_dword v18, v[6:7], off offset:3328
	global_load_dword v34, v[6:7], off offset:3584
	v_cmp_lt_i32_e64 s[8:9], v15, v9
	global_load_dword v6, v[6:7], off offset:3840
	s_waitcnt lgkmcnt(0)
	v_lshrrev_b32_e32 v35, 16, v32
	v_and_b32_e32 v32, 0xffff, v32
	;;#ASMSTART
	v_cvt_f32_f16 v7, v32;
	;;#ASMEND
	;;#ASMSTART
	v_cvt_f32_f16 v32, v35;
	;;#ASMEND
	v_cndmask_b32_e64 v33, v8, v15, s[8:9]
	v_lshlrev_b32_e32 v33, 2, v33
	v_cmp_lt_i32_e64 s[8:9], v16, v9
	s_waitcnt vmcnt(15)
	v_lshrrev_b32_e32 v35, 16, v26
	v_and_b32_e32 v26, 0xffff, v26
	;;#ASMSTART
	v_cvt_f32_f16 v26, v26;
	;;#ASMEND
	;;#ASMSTART
	v_cvt_f32_f16 v35, v35;
	;;#ASMEND
	ds_read_b32 v36, v11 offset:4
	s_waitcnt vmcnt(14)
	v_lshrrev_b32_e32 v37, 16, v27
	v_and_b32_e32 v27, 0xffff, v27
	s_waitcnt vmcnt(13)
	v_lshrrev_b32_e32 v38, 16, v28
	v_and_b32_e32 v28, 0xffff, v28
	s_waitcnt lgkmcnt(0)
	v_lshrrev_b32_e32 v39, 16, v36
	v_and_b32_e32 v36, 0xffff, v36
	;;#ASMSTART
	v_cvt_f32_f16 v36, v36;
	;;#ASMEND
	;;#ASMSTART
	v_cvt_f32_f16 v39, v39;
	;;#ASMEND
	;;#ASMSTART
	v_cvt_f32_f16 v27, v27;
	;;#ASMEND
	;;#ASMSTART
	v_cvt_f32_f16 v37, v37;
	;;#ASMEND
	ds_read_b32 v40, v11 offset:8
	s_waitcnt vmcnt(12)
	v_lshrrev_b32_e32 v41, 16, v29
	v_and_b32_e32 v29, 0xffff, v29
	s_waitcnt vmcnt(11)
	v_lshrrev_b32_e32 v42, 16, v30
	v_and_b32_e32 v30, 0xffff, v30
	s_waitcnt lgkmcnt(0)
	v_lshrrev_b32_e32 v43, 16, v40
	v_and_b32_e32 v40, 0xffff, v40
	;;#ASMSTART
	v_cvt_f32_f16 v40, v40;
	;;#ASMEND
	;;#ASMSTART
	v_cvt_f32_f16 v43, v43;
	;;#ASMEND
	;;#ASMSTART
	v_cvt_f32_f16 v28, v28;
	;;#ASMEND
	;;#ASMSTART
	v_cvt_f32_f16 v38, v38;
	;;#ASMEND
	ds_read_b32 v44, v11 offset:12
	s_waitcnt vmcnt(10)
	v_lshrrev_b32_e32 v45, 16, v31
	v_and_b32_e32 v31, 0xffff, v31
	s_waitcnt vmcnt(9)
	v_lshrrev_b32_e32 v46, 16, v25
	v_and_b32_e32 v25, 0xffff, v25
	s_waitcnt lgkmcnt(0)
	v_lshrrev_b32_e32 v47, 16, v44
	v_and_b32_e32 v44, 0xffff, v44
	;;#ASMSTART
	v_cvt_f32_f16 v44, v44;
	;;#ASMEND
	;;#ASMSTART
	v_cvt_f32_f16 v47, v47;
	;;#ASMEND
	;;#ASMSTART
	v_cvt_f32_f16 v29, v29;
	;;#ASMEND
	;;#ASMSTART
	v_cvt_f32_f16 v41, v41;
	;;#ASMEND
	ds_read_b32 v48, v11 offset:16
	s_waitcnt vmcnt(8)
	v_lshrrev_b32_e32 v49, 16, v24
	v_and_b32_e32 v24, 0xffff, v24
	s_waitcnt vmcnt(7)
	v_lshrrev_b32_e32 v50, 16, v23
	v_and_b32_e32 v23, 0xffff, v23
	s_waitcnt lgkmcnt(0)
	v_lshrrev_b32_e32 v51, 16, v48
	v_and_b32_e32 v48, 0xffff, v48
	;;#ASMSTART
	v_cvt_f32_f16 v48, v48;
	;;#ASMEND
	;;#ASMSTART
	v_cvt_f32_f16 v51, v51;
	;;#ASMEND
	;;#ASMSTART
	v_cvt_f32_f16 v30, v30;
	;;#ASMEND
	;;#ASMSTART
	v_cvt_f32_f16 v42, v42;
	;;#ASMEND
	ds_read_b32 v52, v11 offset:20
	v_mul_f32_e32 v27, v36, v27
	v_mul_f32_e32 v36, v39, v37
	s_waitcnt vmcnt(6)
	v_lshrrev_b32_e32 v53, 16, v22
	v_and_b32_e32 v22, 0xffff, v22
	s_waitcnt lgkmcnt(0)
	v_lshrrev_b32_e32 v55, 16, v52
	v_and_b32_e32 v52, 0xffff, v52
	;;#ASMSTART
	v_cvt_f32_f16 v52, v52;
	;;#ASMEND
	;;#ASMSTART
	v_cvt_f32_f16 v55, v55;
	;;#ASMEND
	;;#ASMSTART
	v_cvt_f32_f16 v31, v31;
	;;#ASMEND
	;;#ASMSTART
	v_cvt_f32_f16 v45, v45;
	;;#ASMEND
	ds_read_b32 v56, v11 offset:24
	v_fmac_f32_e32 v27, v7, v26
	v_fmac_f32_e32 v36, v32, v35
	;; [unrolled: 1-line block ×4, first 2 shown]
	s_waitcnt lgkmcnt(0)
	v_lshrrev_b32_e32 v59, 16, v56
	v_and_b32_e32 v56, 0xffff, v56
	;;#ASMSTART
	v_cvt_f32_f16 v56, v56;
	;;#ASMEND
	;;#ASMSTART
	v_cvt_f32_f16 v59, v59;
	;;#ASMEND
	;; [unrolled: 3-line block ×4, first 2 shown]
	ds_read_b32 v60, v11 offset:28
	s_waitcnt vmcnt(5)
	v_lshrrev_b32_e32 v54, 16, v21
	v_and_b32_e32 v21, 0xffff, v21
	v_fmac_f32_e32 v27, v48, v30
	v_fmac_f32_e32 v27, v52, v31
	s_waitcnt lgkmcnt(0)
	v_lshrrev_b32_e32 v63, 16, v60
	v_and_b32_e32 v60, 0xffff, v60
	;;#ASMSTART
	v_cvt_f32_f16 v60, v60;
	;;#ASMEND
	;;#ASMSTART
	v_cvt_f32_f16 v63, v63;
	;;#ASMEND
	;; [unrolled: 3-line block ×4, first 2 shown]
	ds_read_b32 v64, v11 offset:32
	s_waitcnt vmcnt(4)
	v_lshrrev_b32_e32 v57, 16, v20
	v_and_b32_e32 v20, 0xffff, v20
	v_fmac_f32_e32 v27, v56, v25
	v_fmac_f32_e32 v36, v43, v38
	s_waitcnt lgkmcnt(0)
	v_lshrrev_b32_e32 v37, 16, v64
	v_and_b32_e32 v39, 0xffff, v64
	;;#ASMSTART
	v_cvt_f32_f16 v39, v39;
	;;#ASMEND
	;;#ASMSTART
	v_cvt_f32_f16 v37, v37;
	;;#ASMEND
	;; [unrolled: 3-line block ×4, first 2 shown]
	ds_read_b32 v64, v11 offset:36
	v_fmac_f32_e32 v36, v47, v41
	v_fmac_f32_e32 v36, v51, v42
	;; [unrolled: 1-line block ×4, first 2 shown]
	s_waitcnt lgkmcnt(0)
	v_lshrrev_b32_e32 v7, 16, v64
	v_and_b32_e32 v26, 0xffff, v64
	;;#ASMSTART
	v_cvt_f32_f16 v26, v26;
	;;#ASMEND
	;;#ASMSTART
	v_cvt_f32_f16 v7, v7;
	;;#ASMEND
	;; [unrolled: 3-line block ×4, first 2 shown]
	ds_read_b32 v32, v11 offset:40
	v_fmac_f32_e32 v27, v60, v24
	s_waitcnt vmcnt(3)
	v_lshrrev_b32_e32 v58, 16, v19
	v_and_b32_e32 v19, 0xffff, v19
	v_fmac_f32_e32 v36, v63, v49
	s_waitcnt lgkmcnt(0)
	v_lshrrev_b32_e32 v29, 16, v32
	v_and_b32_e32 v30, 0xffff, v32
	;;#ASMSTART
	v_cvt_f32_f16 v30, v30;
	;;#ASMEND
	;;#ASMSTART
	v_cvt_f32_f16 v29, v29;
	;;#ASMEND
	;; [unrolled: 3-line block ×4, first 2 shown]
	ds_read_b32 v35, v11 offset:44
	v_fmac_f32_e32 v27, v39, v23
	v_fmac_f32_e32 v36, v37, v50
	v_fmac_f32_e32 v27, v26, v22
	s_waitcnt vmcnt(2)
	v_lshrrev_b32_e32 v61, 16, v18
	s_waitcnt lgkmcnt(0)
	v_lshrrev_b32_e32 v25, 16, v35
	v_and_b32_e32 v31, 0xffff, v35
	;;#ASMSTART
	v_cvt_f32_f16 v31, v31;
	;;#ASMEND
	;;#ASMSTART
	v_cvt_f32_f16 v25, v25;
	;;#ASMEND
	;; [unrolled: 3-line block ×4, first 2 shown]
	ds_read_b32 v38, v11 offset:48
	v_and_b32_e32 v18, 0xffff, v18
	v_fmac_f32_e32 v36, v7, v28
	v_fmac_f32_e32 v27, v30, v21
	;; [unrolled: 1-line block ×3, first 2 shown]
	s_waitcnt lgkmcnt(0)
	v_lshrrev_b32_e32 v23, 16, v38
	v_and_b32_e32 v24, 0xffff, v38
	;;#ASMSTART
	v_cvt_f32_f16 v24, v24;
	;;#ASMEND
	;;#ASMSTART
	v_cvt_f32_f16 v23, v23;
	;;#ASMEND
	;;#ASMSTART
	v_cvt_f32_f16 v19, v19;
	;;#ASMEND
	;;#ASMSTART
	v_cvt_f32_f16 v37, v58;
	;;#ASMEND
	ds_read_b32 v38, v11 offset:52
	v_fmac_f32_e32 v27, v31, v20
	v_fmac_f32_e32 v36, v25, v35
	;; [unrolled: 1-line block ×3, first 2 shown]
	s_waitcnt vmcnt(1)
	v_lshrrev_b32_e32 v62, 16, v34
	s_waitcnt lgkmcnt(0)
	v_lshrrev_b32_e32 v7, 16, v38
	v_and_b32_e32 v21, 0xffff, v38
	;;#ASMSTART
	v_cvt_f32_f16 v21, v21;
	;;#ASMEND
	;;#ASMSTART
	v_cvt_f32_f16 v7, v7;
	;;#ASMEND
	;; [unrolled: 3-line block ×4, first 2 shown]
	ds_read_b32 v26, v11 offset:56
	v_and_b32_e32 v34, 0xffff, v34
	v_fmac_f32_e32 v36, v23, v37
	v_fmac_f32_e32 v27, v21, v18
	;; [unrolled: 1-line block ×3, first 2 shown]
	s_waitcnt lgkmcnt(0)
	v_lshrrev_b32_e32 v19, 16, v26
	v_and_b32_e32 v20, 0xffff, v26
	;;#ASMSTART
	v_cvt_f32_f16 v20, v20;
	;;#ASMEND
	;;#ASMSTART
	v_cvt_f32_f16 v19, v19;
	;;#ASMEND
	;; [unrolled: 3-line block ×4, first 2 shown]
	ds_read_b32 v25, v11 offset:60
	s_waitcnt vmcnt(0)
	v_lshrrev_b32_e32 v65, 16, v6
	v_and_b32_e32 v6, 0xffff, v6
	v_fmac_f32_e32 v27, v20, v23
	v_fmac_f32_e32 v36, v19, v24
	s_waitcnt lgkmcnt(0)
	v_lshrrev_b32_e32 v7, 16, v25
	v_and_b32_e32 v18, 0xffff, v25
	;;#ASMSTART
	v_cvt_f32_f16 v18, v18;
	;;#ASMEND
	;;#ASMSTART
	v_cvt_f32_f16 v7, v7;
	;;#ASMEND
	;;#ASMSTART
	v_cvt_f32_f16 v6, v6;
	;;#ASMEND
	;;#ASMSTART
	v_cvt_f32_f16 v19, v65;
	;;#ASMEND
	s_nop 0
	v_fmac_f32_e32 v27, v18, v6
	v_fmac_f32_e32 v36, v7, v19
	v_add_f32_e32 v6, v27, v36
	ds_bpermute_b32 v7, v33, v6
	v_cndmask_b32_e64 v18, v8, v16, s[8:9]
	s_waitcnt lgkmcnt(0)
	v_add_f32_e32 v6, v6, v7
	v_lshlrev_b32_e32 v7, 2, v18
	ds_bpermute_b32 v7, v7, v6
	s_and_saveexec_b64 s[34:35], vcc
	s_cbranch_execz .LBB87_8
; %bb.10:                               ;   in Loop: Header=BB87_9 Depth=1
	v_add_u32_e32 v18, s15, v13
	v_cvt_f32_i32_e32 v18, v18
	s_waitcnt lgkmcnt(0)
	v_add_f32_e32 v6, v6, v7
	v_cmp_gt_i32_e64 s[8:9], s17, v13
	v_max_f32_e32 v7, v10, v10
	v_mul_f32_e32 v18, s10, v18
	v_cndmask_b32_e64 v18, 0, v18, s[0:1]
	v_fmac_f32_e32 v18, s11, v6
	v_cndmask_b32_e64 v6, 0, v18, s[8:9]
	ds_write_b32 v14, v6
	v_max_f32_e32 v6, v7, v18
	v_cndmask_b32_e64 v10, v10, v6, s[8:9]
	s_branch .LBB87_8
.LBB87_11:
	s_or_b64 exec, exec, s[30:31]
.LBB87_12:
	s_or_b64 exec, exec, s[28:29]
	v_xor_b32_e32 v2, 32, v8
	v_cmp_lt_i32_e32 vcc, v2, v9
	v_xor_b32_e32 v5, 16, v8
	v_max_f32_e32 v4, v10, v10
	v_cndmask_b32_e32 v2, v8, v2, vcc
	v_lshlrev_b32_e32 v2, 2, v2
	ds_bpermute_b32 v3, v2, v10
	v_cmp_lt_i32_e32 vcc, v5, v9
	v_xor_b32_e32 v6, 8, v8
	s_waitcnt lgkmcnt(0)
	v_xor_b32_e32 v7, 4, v8
	v_and_b32_e32 v16, 63, v0
	v_max_f32_e32 v3, v3, v3
	v_max_f32_e32 v4, v4, v3
	v_cndmask_b32_e32 v3, v8, v5, vcc
	v_lshlrev_b32_e32 v3, 2, v3
	ds_bpermute_b32 v5, v3, v4
	v_cmp_lt_i32_e32 vcc, v6, v9
	s_waitcnt lgkmcnt(0)
	v_max_f32_e32 v5, v5, v5
	v_max_f32_e32 v4, v4, v5
	v_cndmask_b32_e32 v5, v8, v6, vcc
	v_lshlrev_b32_e32 v6, 2, v5
	ds_bpermute_b32 v5, v6, v4
	v_cmp_lt_i32_e32 vcc, v7, v9
	s_waitcnt lgkmcnt(0)
	v_max_f32_e32 v5, v5, v5
	v_max_f32_e32 v5, v4, v5
	v_cndmask_b32_e32 v4, v8, v7, vcc
	v_lshlrev_b32_e32 v7, 2, v4
	ds_bpermute_b32 v10, v7, v5
	v_cmp_eq_u32_e32 vcc, 0, v16
	v_lshlrev_b32_e32 v4, 2, v1
	s_and_saveexec_b64 s[0:1], vcc
	s_cbranch_execz .LBB87_14
; %bb.13:
	s_waitcnt lgkmcnt(0)
	v_max_f32_e32 v10, v10, v10
	v_max_f32_e32 v5, v5, v5
	;; [unrolled: 1-line block ×3, first 2 shown]
	ds_write_b32 v4, v5 offset:256
.LBB87_14:
	s_or_b64 exec, exec, s[0:1]
	v_cmp_gt_u32_e64 s[0:1], 2, v16
	s_waitcnt lgkmcnt(0)
	v_mov_b32_e32 v10, 0xff7fffff
	v_lshlrev_b32_e32 v5, 2, v16
	s_barrier
	s_and_saveexec_b64 s[8:9], s[0:1]
	s_cbranch_execz .LBB87_16
; %bb.15:
	ds_read_b32 v10, v5 offset:256
.LBB87_16:
	s_or_b64 exec, exec, s[8:9]
	v_xor_b32_e32 v11, 1, v8
	v_cmp_lt_i32_e64 s[8:9], v11, v9
	v_lshlrev_b32_e32 v13, 2, v8
	s_nop 0
	v_cndmask_b32_e64 v11, v8, v11, s[8:9]
	v_lshlrev_b32_e32 v17, 2, v11
	s_waitcnt lgkmcnt(0)
	ds_bpermute_b32 v11, v17, v10
	v_max_f32_e32 v10, v10, v10
	s_lshl_b32 s8, s19, 4
	s_min_i32 s15, s8, s17
	v_cmp_gt_i32_e64 s[8:9], s15, v0
	s_waitcnt lgkmcnt(0)
	v_max_f32_e32 v11, v11, v11
	v_max_f32_e32 v11, v10, v11
	v_and_b32_e32 v10, 0xffffff00, v13
	ds_bpermute_b32 v13, v10, v11
	v_mov_b32_e32 v11, 0
	s_and_saveexec_b64 s[28:29], s[8:9]
	s_cbranch_execz .LBB87_20
; %bb.17:
	v_mov_b32_e32 v11, 0x110
	v_lshl_add_u32 v14, v0, 2, v11
	s_mov_b64 s[30:31], 0
	v_mov_b32_e32 v11, 0
	v_mov_b32_e32 v15, v0
.LBB87_18:                              ; =>This Inner Loop Header: Depth=1
	ds_read_b32 v18, v14
	v_add_u32_e32 v15, 0x80, v15
	v_cmp_le_i32_e64 s[10:11], s15, v15
	s_or_b64 s[30:31], s[10:11], s[30:31]
	s_waitcnt lgkmcnt(0)
	v_sub_f32_e32 v18, v18, v13
	v_mul_f32_e32 v18, 0x3fb8aa3b, v18
	v_exp_f32_e32 v18, v18
	ds_write_b32 v14, v18
	v_add_f32_e32 v11, v11, v18
	v_add_u32_e32 v14, 0x200, v14
	s_andn2_b64 exec, exec, s[30:31]
	s_cbranch_execnz .LBB87_18
; %bb.19:
	s_or_b64 exec, exec, s[30:31]
.LBB87_20:
	s_or_b64 exec, exec, s[28:29]
	ds_bpermute_b32 v2, v2, v11
	s_waitcnt lgkmcnt(0)
	v_add_f32_e32 v2, v11, v2
	ds_bpermute_b32 v3, v3, v2
	s_waitcnt lgkmcnt(0)
	v_add_f32_e32 v2, v2, v3
	ds_bpermute_b32 v3, v6, v2
	v_xor_b32_e32 v6, 2, v8
	v_cmp_lt_i32_e64 s[10:11], v6, v9
	s_waitcnt lgkmcnt(0)
	v_add_f32_e32 v2, v2, v3
	ds_bpermute_b32 v3, v7, v2
	v_cndmask_b32_e64 v6, v8, v6, s[10:11]
	s_waitcnt lgkmcnt(0)
	v_add_f32_e32 v2, v2, v3
	v_lshlrev_b32_e32 v3, 2, v6
	ds_bpermute_b32 v3, v3, v2
	s_waitcnt lgkmcnt(0)
	v_add_f32_e32 v2, v2, v3
	ds_bpermute_b32 v3, v17, v2
	s_waitcnt lgkmcnt(0)
	v_add_f32_e32 v2, v2, v3
	s_and_saveexec_b64 s[10:11], vcc
	s_cbranch_execz .LBB87_22
; %bb.21:
	ds_write_b32 v4, v2 offset:264
.LBB87_22:
	s_or_b64 exec, exec, s[10:11]
	s_waitcnt lgkmcnt(0)
	s_barrier
	s_and_saveexec_b64 s[10:11], s[0:1]
	s_cbranch_execz .LBB87_24
; %bb.23:
	ds_read_b32 v2, v5 offset:264
.LBB87_24:
	s_or_b64 exec, exec, s[10:11]
	s_waitcnt lgkmcnt(0)
	ds_bpermute_b32 v3, v17, v2
	s_waitcnt lgkmcnt(0)
	v_add_f32_e32 v2, v2, v3
	ds_bpermute_b32 v2, v10, v2
	s_and_saveexec_b64 s[0:1], s[8:9]
	s_cbranch_execz .LBB87_37
; %bb.25:
	s_waitcnt lgkmcnt(0)
	v_add_f32_e32 v2, 0x358637bd, v2
	v_div_scale_f32 v3, s[8:9], v2, v2, 1.0
	v_rcp_f32_e32 v4, v3
	v_div_scale_f32 v5, vcc, 1.0, v2, 1.0
	s_movk_i32 s8, 0x7f
	v_fma_f32 v6, -v3, v4, 1.0
	v_fmac_f32_e32 v4, v6, v4
	v_mul_f32_e32 v6, v5, v4
	v_fma_f32 v7, -v3, v6, v5
	v_fmac_f32_e32 v6, v7, v4
	v_fma_f32 v3, -v3, v6, v5
	v_div_fmas_f32 v3, v3, v4, v6
	v_xad_u32 v4, v0, -1, s15
	v_div_fixup_f32 v2, v3, v2, 1.0
	v_cmp_lt_u32_e32 vcc, s8, v4
	s_mov_b64 s[10:11], -1
	v_mov_b32_e32 v3, v0
	s_and_saveexec_b64 s[8:9], vcc
	s_cbranch_execz .LBB87_34
; %bb.26:
	v_lshrrev_b32_e32 v4, 7, v4
	v_add_u32_e32 v6, -1, v4
	v_lshrrev_b32_e32 v5, 1, v6
	v_mov_b32_e32 v3, v2
	v_add_u32_e32 v5, 1, v5
	v_cmp_lt_u32_e32 vcc, 13, v6
	v_mov_b32_e32 v8, 0
	s_and_saveexec_b64 s[10:11], vcc
	s_cbranch_execz .LBB87_30
; %bb.27:
	v_mov_b32_e32 v7, 0x110
	v_and_b32_e32 v6, -8, v5
	v_lshl_add_u32 v7, v0, 2, v7
	s_mov_b32 s30, 0
	s_mov_b64 s[28:29], 0
.LBB87_28:                              ; =>This Inner Loop Header: Depth=1
	ds_read2st64_b32 v[8:9], v7 offset1:2
	ds_read2st64_b32 v[10:11], v7 offset0:4 offset1:6
	ds_read2st64_b32 v[14:15], v7 offset0:8 offset1:10
	;; [unrolled: 1-line block ×3, first 2 shown]
	v_add_u32_e32 v6, -8, v6
	s_waitcnt lgkmcnt(3)
	v_pk_mul_f32 v[8:9], v[2:3], v[8:9]
	s_waitcnt lgkmcnt(2)
	v_pk_mul_f32 v[10:11], v[2:3], v[10:11]
	ds_write2st64_b32 v7, v8, v9 offset1:2
	ds_write2st64_b32 v7, v10, v11 offset0:4 offset1:6
	ds_read2st64_b32 v[10:11], v7 offset0:16 offset1:18
	s_waitcnt lgkmcnt(4)
	v_pk_mul_f32 v[8:9], v[2:3], v[14:15]
	ds_write2st64_b32 v7, v8, v9 offset0:8 offset1:10
	s_waitcnt lgkmcnt(4)
	v_pk_mul_f32 v[8:9], v[2:3], v[18:19]
	ds_write2st64_b32 v7, v8, v9 offset0:12 offset1:14
	ds_read2st64_b32 v[8:9], v7 offset0:20 offset1:22
	s_waitcnt lgkmcnt(3)
	v_pk_mul_f32 v[10:11], v[2:3], v[10:11]
	ds_read2st64_b32 v[14:15], v7 offset0:24 offset1:26
	ds_write2st64_b32 v7, v10, v11 offset0:16 offset1:18
	ds_read2st64_b32 v[10:11], v7 offset0:28 offset1:30
	s_waitcnt lgkmcnt(3)
	v_pk_mul_f32 v[8:9], v[2:3], v[8:9]
	ds_write2st64_b32 v7, v8, v9 offset0:20 offset1:22
	s_waitcnt lgkmcnt(3)
	v_pk_mul_f32 v[8:9], v[2:3], v[14:15]
	ds_write2st64_b32 v7, v8, v9 offset0:24 offset1:26
	s_waitcnt lgkmcnt(2)
	v_pk_mul_f32 v[8:9], v[2:3], v[10:11]
	s_add_i32 s30, s30, 16
	v_cmp_eq_u32_e32 vcc, 0, v6
	ds_write2st64_b32 v7, v8, v9 offset0:28 offset1:30
	v_add_u32_e32 v7, 0x2000, v7
	s_or_b64 s[28:29], vcc, s[28:29]
	v_mov_b32_e32 v8, s30
	s_andn2_b64 exec, exec, s[28:29]
	s_cbranch_execnz .LBB87_28
; %bb.29:
	s_or_b64 exec, exec, s[28:29]
.LBB87_30:
	s_or_b64 exec, exec, s[10:11]
	v_and_b32_e32 v5, 7, v5
	v_cmp_ne_u32_e32 vcc, 0, v5
	s_and_saveexec_b64 s[10:11], vcc
	s_cbranch_execz .LBB87_33
; %bb.31:
	v_lshlrev_b32_e32 v6, 9, v8
	v_lshlrev_b32_e32 v7, 2, v0
	s_movk_i32 s28, 0x110
	v_add3_u32 v6, v6, v7, s28
	s_mov_b64 s[28:29], 0
.LBB87_32:                              ; =>This Inner Loop Header: Depth=1
	ds_read2st64_b32 v[8:9], v6 offset1:2
	v_add_u32_e32 v5, -1, v5
	v_cmp_eq_u32_e32 vcc, 0, v5
	s_or_b64 s[28:29], vcc, s[28:29]
	s_waitcnt lgkmcnt(0)
	v_pk_mul_f32 v[8:9], v[2:3], v[8:9]
	ds_write2st64_b32 v6, v8, v9 offset1:2
	v_add_u32_e32 v6, 0x400, v6
	s_andn2_b64 exec, exec, s[28:29]
	s_cbranch_execnz .LBB87_32
.LBB87_33:
	s_or_b64 exec, exec, s[10:11]
	v_add_u32_e32 v4, 1, v4
	v_and_b32_e32 v5, 0x3fffffe, v4
	v_cmp_ne_u32_e32 vcc, v4, v5
	v_lshl_add_u32 v3, v5, 7, v0
	s_orn2_b64 s[10:11], vcc, exec
.LBB87_34:
	s_or_b64 exec, exec, s[8:9]
	s_and_b64 exec, exec, s[10:11]
	s_cbranch_execz .LBB87_37
; %bb.35:
	v_mov_b32_e32 v4, 0x110
	v_lshl_add_u32 v4, v3, 2, v4
	s_mov_b64 s[8:9], 0
.LBB87_36:                              ; =>This Inner Loop Header: Depth=1
	ds_read_b32 v5, v4
	v_add_u32_e32 v3, 0x80, v3
	v_cmp_le_i32_e32 vcc, s15, v3
	s_or_b64 s[8:9], vcc, s[8:9]
	s_waitcnt lgkmcnt(0)
	v_mul_f32_e32 v5, v2, v5
	ds_write_b32 v4, v5
	v_add_u32_e32 v4, 0x200, v4
	s_andn2_b64 exec, exec, s[8:9]
	s_cbranch_execnz .LBB87_36
.LBB87_37:
	s_or_b64 exec, exec, s[0:1]
	v_mov_b32_e32 v9, 0
	v_and_b32_e32 v18, 1, v0
	v_mov_b32_e32 v8, 0
	v_mov_b32_e32 v7, 0
	;; [unrolled: 1-line block ×3, first 2 shown]
	s_waitcnt lgkmcnt(0)
	s_barrier
	s_and_saveexec_b64 s[8:9], s[2:3]
	s_cbranch_execz .LBB87_49
; %bb.38:
	s_ashr_i32 s15, s14, 31
	s_lshl_b64 s[0:1], s[14:15], 1
	s_add_u32 s0, s26, s0
	v_lshlrev_b32_e32 v3, 4, v0
	v_lshlrev_b32_e32 v2, 3, v0
	s_addc_u32 s1, s27, s1
	v_and_b32_e32 v6, 0x3f0, v3
	v_mov_b32_e32 v7, 0
	v_and_b32_e32 v2, 8, v2
	s_add_i32 s14, s19, -1
	v_lshl_add_u64 v[10:11], s[0:1], 0, v[6:7]
	s_lshl_b64 s[0:1], s[24:25], 2
	v_lshl_or_b32 v19, v1, 4, v2
	v_lshlrev_b32_e32 v2, 5, v18
	s_add_u32 s0, s22, s0
	v_lshl_or_b32 v2, v1, 6, v2
	v_and_b32_e32 v6, 60, v12
	s_addc_u32 s1, s23, s1
	s_mov_b32 s15, s17
	s_mov_b32 s26, s17
	s_mov_b32 s27, s17
	s_mov_b32 s28, s17
	s_mov_b32 s29, s17
	s_mov_b32 s30, s17
	s_mov_b32 s31, s17
	v_add_u32_e32 v20, 0x110, v2
	v_lshl_add_u64 v[12:13], s[0:1], 0, v[6:7]
	s_mov_b64 s[2:3], 0
	s_mov_b32 s22, 0x5040100
	v_mov_b32_e32 v6, v7
	v_mov_b32_e32 v8, v7
	v_mov_b32_e32 v9, v7
	s_branch .LBB87_40
.LBB87_39:                              ;   in Loop: Header=BB87_40 Depth=1
	s_or_b64 exec, exec, s[0:1]
	s_waitcnt vmcnt(0)
	;;#ASMSTART
	v_pk_mul_f16 v2, v31, v2;

	;;#ASMEND
	;;#ASMSTART
	v_pk_mul_f16 v3, v30, v3;

	;;#ASMEND
	;; [unrolled: 4-line block ×4, first 2 shown]
	v_add_f32_e32 v14, v32, v33
	;;#ASMSTART
	v_pk_add_f16 v2, v2, v3;

	;;#ASMEND
	v_add_f32_e32 v6, v6, v14
	;;#ASMSTART
	v_pk_add_f16 v2, v2, v4;

	;;#ASMEND
	v_add_f32_e32 v14, v34, v35
	;;#ASMSTART
	v_pk_add_f16 v2, v2, v5;

	;;#ASMEND
	v_add_u32_e32 v1, 2, v1
	v_lshrrev_b32_e32 v3, 16, v2
	v_and_b32_e32 v2, 0xffff, v2
	;;#ASMSTART
	v_cvt_f32_f16 v2, v2;
	;;#ASMEND
	v_add_f32_e32 v7, v7, v14
	v_add_f32_e32 v14, v36, v37
	;;#ASMSTART
	v_cvt_f32_f16 v3, v3;
	;;#ASMEND
	v_cmp_le_i32_e32 vcc, s19, v1
	v_add_f32_e32 v2, v2, v3
	v_add_f32_e32 v8, v8, v14
	;; [unrolled: 1-line block ×3, first 2 shown]
	v_add_u32_e32 v19, 32, v19
	v_add_u32_e32 v20, 0x80, v20
	s_or_b64 s[2:3], vcc, s[2:3]
	v_lshl_add_u64 v[12:13], v[12:13], 0, 8
	s_andn2_b64 exec, exec, s[2:3]
	s_cbranch_execz .LBB87_48
.LBB87_40:                              ; =>This Inner Loop Header: Depth=1
	global_load_dword v14, v[12:13], off
	ds_read2_b64 v[2:5], v20 offset1:1
	ds_read2_b64 v[22:25], v20 offset0:2 offset1:3
	v_cmp_eq_u32_e32 vcc, s14, v1
	v_add_u32_e32 v21, 1, v19
	s_waitcnt lgkmcnt(1)
	;;#ASMSTART
	v_cvt_f16_f32 v28, v2;

	;;#ASMEND
	;;#ASMSTART
	v_cvt_f16_f32 v29, v3;

	;;#ASMEND
	;; [unrolled: 4-line block ×4, first 2 shown]
	s_waitcnt lgkmcnt(0)
	;;#ASMSTART
	v_cvt_f16_f32 v33, v22;

	;;#ASMEND
	;;#ASMSTART
	v_cvt_f16_f32 v34, v23;

	;;#ASMEND
	;; [unrolled: 4-line block ×4, first 2 shown]
	v_or_b32_e32 v23, 3, v19
	v_or_b32_e32 v22, 2, v19
	;; [unrolled: 1-line block ×6, first 2 shown]
	s_waitcnt vmcnt(0)
	v_mad_i64_i32 v[2:3], s[0:1], v14, s13, 0
	v_lshl_add_u64 v[14:15], v[2:3], 1, v[10:11]
	global_load_dwordx4 v[2:5], v[14:15], off
	s_and_saveexec_b64 s[10:11], vcc
	s_cbranch_execz .LBB87_42
; %bb.41:                               ;   in Loop: Header=BB87_40 Depth=1
	s_waitcnt vmcnt(0)
	v_lshrrev_b32_e32 v31, 16, v5
	v_cmp_gt_i32_e64 s[0:1], s31, v27
	s_nop 1
	v_cndmask_b32_e64 v31, 0, v31, s[0:1]
	v_cmp_gt_i32_e64 s[0:1], s30, v26
	s_nop 1
	v_cndmask_b32_e64 v5, 0, v5, s[0:1]
	v_perm_b32 v5, v31, v5, s22
	v_lshrrev_b32_e32 v31, 16, v4
	v_cmp_gt_i32_e64 s[0:1], s29, v25
	s_nop 1
	v_cndmask_b32_e64 v31, 0, v31, s[0:1]
	v_cmp_gt_i32_e64 s[0:1], s28, v24
	s_nop 1
	v_cndmask_b32_e64 v4, 0, v4, s[0:1]
	v_perm_b32 v4, v31, v4, s22
	;; [unrolled: 8-line block ×4, first 2 shown]
.LBB87_42:                              ;   in Loop: Header=BB87_40 Depth=1
	s_or_b64 exec, exec, s[10:11]
	v_and_b32_e32 v28, 0xffff, v28
	v_lshl_or_b32 v31, v29, 16, v28
	v_and_b32_e32 v28, 0xffff, v30
	v_lshl_or_b32 v30, v32, 16, v28
	;; [unrolled: 2-line block ×3, first 2 shown]
	v_and_b32_e32 v28, 0xffff, v35
	s_waitcnt vmcnt(0)
	;;#ASMSTART
	v_pk_mul_f16 v2, v31, v2;

	;;#ASMEND
	v_lshl_or_b32 v28, v36, 16, v28
	;;#ASMSTART
	v_pk_mul_f16 v3, v30, v3;

	;;#ASMEND
	;;#ASMSTART
	v_pk_mul_f16 v4, v29, v4;

	;;#ASMEND
	;; [unrolled: 4-line block ×3, first 2 shown]
	s_nop 0
	;;#ASMSTART
	v_pk_add_f16 v2, v2, v3;

	;;#ASMEND
	s_nop 0
	;;#ASMSTART
	v_pk_add_f16 v2, v2, v4;

	;;#ASMEND
	;; [unrolled: 5-line block ×3, first 2 shown]
	s_nop 0
	v_lshrrev_b32_e32 v3, 16, v2
	v_and_b32_e32 v2, 0xffff, v2
	;;#ASMSTART
	v_cvt_f32_f16 v32, v2;
	;;#ASMEND
	;;#ASMSTART
	v_cvt_f32_f16 v33, v3;
	;;#ASMEND
	global_load_dwordx4 v[2:5], v[14:15], off offset:1024
	s_and_saveexec_b64 s[10:11], vcc
	s_cbranch_execz .LBB87_44
; %bb.43:                               ;   in Loop: Header=BB87_40 Depth=1
	s_waitcnt vmcnt(0)
	v_lshrrev_b32_e32 v34, 16, v5
	v_cmp_gt_i32_e64 s[0:1], s31, v27
	s_nop 1
	v_cndmask_b32_e64 v34, 0, v34, s[0:1]
	v_cmp_gt_i32_e64 s[0:1], s30, v26
	s_nop 1
	v_cndmask_b32_e64 v5, 0, v5, s[0:1]
	v_perm_b32 v5, v34, v5, s22
	v_lshrrev_b32_e32 v34, 16, v4
	v_cmp_gt_i32_e64 s[0:1], s29, v25
	s_nop 1
	v_cndmask_b32_e64 v34, 0, v34, s[0:1]
	v_cmp_gt_i32_e64 s[0:1], s28, v24
	s_nop 1
	v_cndmask_b32_e64 v4, 0, v4, s[0:1]
	v_perm_b32 v4, v34, v4, s22
	;; [unrolled: 8-line block ×4, first 2 shown]
.LBB87_44:                              ;   in Loop: Header=BB87_40 Depth=1
	s_or_b64 exec, exec, s[10:11]
	s_waitcnt vmcnt(0)
	;;#ASMSTART
	v_pk_mul_f16 v2, v31, v2;

	;;#ASMEND
	;;#ASMSTART
	v_pk_mul_f16 v3, v30, v3;

	;;#ASMEND
	;; [unrolled: 4-line block ×4, first 2 shown]
	s_nop 0
	;;#ASMSTART
	v_pk_add_f16 v2, v2, v3;

	;;#ASMEND
	s_nop 0
	;;#ASMSTART
	v_pk_add_f16 v2, v2, v4;

	;;#ASMEND
	;; [unrolled: 5-line block ×3, first 2 shown]
	s_nop 0
	v_lshrrev_b32_e32 v3, 16, v2
	v_and_b32_e32 v2, 0xffff, v2
	;;#ASMSTART
	v_cvt_f32_f16 v34, v2;
	;;#ASMEND
	;;#ASMSTART
	v_cvt_f32_f16 v35, v3;
	;;#ASMEND
	global_load_dwordx4 v[2:5], v[14:15], off offset:2048
	s_and_saveexec_b64 s[10:11], vcc
	s_cbranch_execz .LBB87_46
; %bb.45:                               ;   in Loop: Header=BB87_40 Depth=1
	s_waitcnt vmcnt(0)
	v_lshrrev_b32_e32 v36, 16, v5
	v_cmp_gt_i32_e64 s[0:1], s31, v27
	s_nop 1
	v_cndmask_b32_e64 v36, 0, v36, s[0:1]
	v_cmp_gt_i32_e64 s[0:1], s30, v26
	s_nop 1
	v_cndmask_b32_e64 v5, 0, v5, s[0:1]
	v_perm_b32 v5, v36, v5, s22
	v_lshrrev_b32_e32 v36, 16, v4
	v_cmp_gt_i32_e64 s[0:1], s29, v25
	s_nop 1
	v_cndmask_b32_e64 v36, 0, v36, s[0:1]
	v_cmp_gt_i32_e64 s[0:1], s28, v24
	s_nop 1
	v_cndmask_b32_e64 v4, 0, v4, s[0:1]
	v_perm_b32 v4, v36, v4, s22
	;; [unrolled: 8-line block ×4, first 2 shown]
.LBB87_46:                              ;   in Loop: Header=BB87_40 Depth=1
	s_or_b64 exec, exec, s[10:11]
	s_waitcnt vmcnt(0)
	;;#ASMSTART
	v_pk_mul_f16 v2, v31, v2;

	;;#ASMEND
	;;#ASMSTART
	v_pk_mul_f16 v3, v30, v3;

	;;#ASMEND
	;; [unrolled: 4-line block ×4, first 2 shown]
	s_nop 0
	;;#ASMSTART
	v_pk_add_f16 v2, v2, v3;

	;;#ASMEND
	s_nop 0
	;;#ASMSTART
	v_pk_add_f16 v2, v2, v4;

	;;#ASMEND
	;; [unrolled: 5-line block ×3, first 2 shown]
	s_nop 0
	v_lshrrev_b32_e32 v3, 16, v2
	v_and_b32_e32 v2, 0xffff, v2
	;;#ASMSTART
	v_cvt_f32_f16 v36, v2;
	;;#ASMEND
	;;#ASMSTART
	v_cvt_f32_f16 v37, v3;
	;;#ASMEND
	global_load_dwordx4 v[2:5], v[14:15], off offset:3072
	s_and_saveexec_b64 s[0:1], vcc
	s_cbranch_execz .LBB87_39
; %bb.47:                               ;   in Loop: Header=BB87_40 Depth=1
	s_waitcnt vmcnt(0)
	v_lshrrev_b32_e32 v14, 16, v5
	v_cmp_gt_i32_e32 vcc, s31, v27
	s_nop 1
	v_cndmask_b32_e32 v14, 0, v14, vcc
	v_cmp_gt_i32_e32 vcc, s30, v26
	s_nop 1
	v_cndmask_b32_e32 v5, 0, v5, vcc
	v_perm_b32 v5, v14, v5, s22
	v_lshrrev_b32_e32 v14, 16, v4
	v_cmp_gt_i32_e32 vcc, s29, v25
	s_nop 1
	v_cndmask_b32_e32 v14, 0, v14, vcc
	v_cmp_gt_i32_e32 vcc, s28, v24
	s_nop 1
	v_cndmask_b32_e32 v4, 0, v4, vcc
	v_perm_b32 v4, v14, v4, s22
	;; [unrolled: 8-line block ×4, first 2 shown]
	s_branch .LBB87_39
.LBB87_48:
	s_or_b64 exec, exec, s[2:3]
.LBB87_49:
	s_or_b64 exec, exec, s[8:9]
	ds_bpermute_b32 v2, v17, v6
	ds_bpermute_b32 v3, v17, v7
	;; [unrolled: 1-line block ×4, first 2 shown]
	v_and_b32_e32 v1, 0x3c1, v0
	v_cmp_eq_u32_e32 vcc, 64, v1
	s_waitcnt lgkmcnt(2)
	v_pk_add_f32 v[4:5], v[6:7], v[2:3]
	s_waitcnt lgkmcnt(0)
	v_pk_add_f32 v[2:3], v[8:9], v[10:11]
	s_barrier
	s_and_saveexec_b64 s[0:1], vcc
	s_cbranch_execz .LBB87_51
; %bb.50:
	v_mov_b32_e32 v6, 0x110
	v_lshl_add_u32 v6, v16, 1, v6
	ds_write2_b32 v6, v4, v5 offset1:32
	ds_write2_b32 v6, v2, v3 offset0:64 offset1:96
.LBB87_51:
	s_or_b64 exec, exec, s[0:1]
	s_waitcnt lgkmcnt(0)
	s_barrier
	s_and_saveexec_b64 s[0:1], s[6:7]
	s_cbranch_execz .LBB87_58
; %bb.52:
	v_cmp_eq_u32_e32 vcc, 0, v18
	v_lshrrev_b32_e32 v6, 1, v0
	s_and_saveexec_b64 s[2:3], vcc
	s_cbranch_execnz .LBB87_61
; %bb.53:
	s_or_b64 exec, exec, s[2:3]
	s_and_saveexec_b64 s[2:3], vcc
	s_cbranch_execnz .LBB87_62
.LBB87_54:
	s_or_b64 exec, exec, s[2:3]
	s_and_saveexec_b64 s[2:3], vcc
	s_cbranch_execnz .LBB87_63
.LBB87_55:
	s_or_b64 exec, exec, s[2:3]
	s_and_saveexec_b64 s[2:3], vcc
	s_cbranch_execz .LBB87_57
.LBB87_56:
	v_mov_b32_e32 v7, 0x110
	v_lshl_add_u32 v6, v6, 2, v7
	ds_read_b32 v6, v6 offset:384
	s_waitcnt lgkmcnt(0)
	v_add_f32_e32 v3, v3, v6
.LBB87_57:
	s_or_b64 exec, exec, s[2:3]
.LBB87_58:
	s_or_b64 exec, exec, s[0:1]
	v_cmp_eq_u32_e32 vcc, 0, v1
	s_barrier
	s_and_saveexec_b64 s[0:1], vcc
	s_cbranch_execz .LBB87_60
; %bb.59:
	s_mul_i32 s0, s16, s12
	s_mul_i32 s0, s0, s5
	s_lshl_b32 s0, s0, 7
	s_ashr_i32 s1, s0, 31
	s_lshl_b64 s[0:1], s[0:1], 1
	s_add_u32 s2, s20, s0
	s_mul_i32 s0, s12, s18
	s_addc_u32 s3, s21, s1
	s_ashr_i32 s1, s0, 31
	s_lshl_b64 s[0:1], s[0:1], 1
	s_add_u32 s2, s2, s0
	s_addc_u32 s3, s3, s1
	s_lshl_b32 s0, s4, 7
	s_ashr_i32 s1, s0, 31
	s_lshl_b64 s[0:1], s[0:1], 1
	s_add_u32 s0, s2, s0
	s_addc_u32 s1, s3, s1
	;;#ASMSTART
	v_cvt_f16_f32 v1, v4;

	;;#ASMEND
	global_store_short v0, v1, s[0:1]
	;;#ASMSTART
	v_cvt_f16_f32 v1, v5;

	;;#ASMEND
	global_store_short v0, v1, s[0:1] offset:64
	;;#ASMSTART
	v_cvt_f16_f32 v1, v2;

	;;#ASMEND
	global_store_short v0, v1, s[0:1] offset:128
	;; [unrolled: 5-line block ×3, first 2 shown]
.LBB87_60:
	s_endpgm
.LBB87_61:
	v_mov_b32_e32 v7, 0x110
	v_lshl_add_u32 v7, v6, 2, v7
	ds_read_b32 v7, v7
	s_waitcnt lgkmcnt(0)
	v_add_f32_e32 v4, v4, v7
	s_or_b64 exec, exec, s[2:3]
	s_and_saveexec_b64 s[2:3], vcc
	s_cbranch_execz .LBB87_54
.LBB87_62:
	v_mov_b32_e32 v7, 0x110
	v_lshl_add_u32 v7, v6, 2, v7
	ds_read_b32 v7, v7 offset:128
	s_waitcnt lgkmcnt(0)
	v_add_f32_e32 v5, v5, v7
	s_or_b64 exec, exec, s[2:3]
	s_and_saveexec_b64 s[2:3], vcc
	s_cbranch_execz .LBB87_55
.LBB87_63:
	v_mov_b32_e32 v7, 0x110
	v_lshl_add_u32 v7, v6, 2, v7
	ds_read_b32 v7, v7 offset:256
	s_waitcnt lgkmcnt(0)
	v_add_f32_e32 v2, v2, v7
	s_or_b64 exec, exec, s[2:3]
	s_and_saveexec_b64 s[2:3], vcc
	s_cbranch_execnz .LBB87_56
	s_branch .LBB87_57
	.section	.rodata,"a",@progbits
	.p2align	6, 0x0
	.amdhsa_kernel _ZN4vllm25paged_attention_v1_kernelIttLi128ELi16ELi128ELNS_18Fp8KVCacheDataTypeE0ELb0EEEvPT_PKS2_PKT0_S8_ifPKiSA_iPKfiiiSC_SC_iiiii
		.amdhsa_group_segment_fixed_size 272
		.amdhsa_private_segment_fixed_size 0
		.amdhsa_kernarg_size 384
		.amdhsa_user_sgpr_count 2
		.amdhsa_user_sgpr_dispatch_ptr 0
		.amdhsa_user_sgpr_queue_ptr 0
		.amdhsa_user_sgpr_kernarg_segment_ptr 1
		.amdhsa_user_sgpr_dispatch_id 0
		.amdhsa_user_sgpr_kernarg_preload_length 0
		.amdhsa_user_sgpr_kernarg_preload_offset 0
		.amdhsa_user_sgpr_private_segment_size 0
		.amdhsa_uses_dynamic_stack 0
		.amdhsa_enable_private_segment 0
		.amdhsa_system_sgpr_workgroup_id_x 1
		.amdhsa_system_sgpr_workgroup_id_y 1
		.amdhsa_system_sgpr_workgroup_id_z 1
		.amdhsa_system_sgpr_workgroup_info 0
		.amdhsa_system_vgpr_workitem_id 0
		.amdhsa_next_free_vgpr 66
		.amdhsa_next_free_sgpr 36
		.amdhsa_accum_offset 68
		.amdhsa_reserve_vcc 1
		.amdhsa_float_round_mode_32 0
		.amdhsa_float_round_mode_16_64 0
		.amdhsa_float_denorm_mode_32 3
		.amdhsa_float_denorm_mode_16_64 3
		.amdhsa_dx10_clamp 1
		.amdhsa_ieee_mode 1
		.amdhsa_fp16_overflow 0
		.amdhsa_tg_split 0
		.amdhsa_exception_fp_ieee_invalid_op 0
		.amdhsa_exception_fp_denorm_src 0
		.amdhsa_exception_fp_ieee_div_zero 0
		.amdhsa_exception_fp_ieee_overflow 0
		.amdhsa_exception_fp_ieee_underflow 0
		.amdhsa_exception_fp_ieee_inexact 0
		.amdhsa_exception_int_div_zero 0
	.end_amdhsa_kernel
	.section	.text._ZN4vllm25paged_attention_v1_kernelIttLi128ELi16ELi128ELNS_18Fp8KVCacheDataTypeE0ELb0EEEvPT_PKS2_PKT0_S8_ifPKiSA_iPKfiiiSC_SC_iiiii,"axG",@progbits,_ZN4vllm25paged_attention_v1_kernelIttLi128ELi16ELi128ELNS_18Fp8KVCacheDataTypeE0ELb0EEEvPT_PKS2_PKT0_S8_ifPKiSA_iPKfiiiSC_SC_iiiii,comdat
.Lfunc_end87:
	.size	_ZN4vllm25paged_attention_v1_kernelIttLi128ELi16ELi128ELNS_18Fp8KVCacheDataTypeE0ELb0EEEvPT_PKS2_PKT0_S8_ifPKiSA_iPKfiiiSC_SC_iiiii, .Lfunc_end87-_ZN4vllm25paged_attention_v1_kernelIttLi128ELi16ELi128ELNS_18Fp8KVCacheDataTypeE0ELb0EEEvPT_PKS2_PKT0_S8_ifPKiSA_iPKfiiiSC_SC_iiiii
                                        ; -- End function
	.section	.AMDGPU.csdata,"",@progbits
; Kernel info:
; codeLenInByte = 6044
; NumSgprs: 42
; NumVgprs: 66
; NumAgprs: 0
; TotalNumVgprs: 66
; ScratchSize: 0
; MemoryBound: 0
; FloatMode: 240
; IeeeMode: 1
; LDSByteSize: 272 bytes/workgroup (compile time only)
; SGPRBlocks: 5
; VGPRBlocks: 8
; NumSGPRsForWavesPerEU: 42
; NumVGPRsForWavesPerEU: 66
; AccumOffset: 68
; Occupancy: 7
; WaveLimiterHint : 1
; COMPUTE_PGM_RSRC2:SCRATCH_EN: 0
; COMPUTE_PGM_RSRC2:USER_SGPR: 2
; COMPUTE_PGM_RSRC2:TRAP_HANDLER: 0
; COMPUTE_PGM_RSRC2:TGID_X_EN: 1
; COMPUTE_PGM_RSRC2:TGID_Y_EN: 1
; COMPUTE_PGM_RSRC2:TGID_Z_EN: 1
; COMPUTE_PGM_RSRC2:TIDIG_COMP_CNT: 0
; COMPUTE_PGM_RSRC3_GFX90A:ACCUM_OFFSET: 16
; COMPUTE_PGM_RSRC3_GFX90A:TG_SPLIT: 0
	.section	.text._ZN4vllm25paged_attention_v1_kernelIttLi192ELi16ELi128ELNS_18Fp8KVCacheDataTypeE0ELb0EEEvPT_PKS2_PKT0_S8_ifPKiSA_iPKfiiiSC_SC_iiiii,"axG",@progbits,_ZN4vllm25paged_attention_v1_kernelIttLi192ELi16ELi128ELNS_18Fp8KVCacheDataTypeE0ELb0EEEvPT_PKS2_PKT0_S8_ifPKiSA_iPKfiiiSC_SC_iiiii,comdat
	.protected	_ZN4vllm25paged_attention_v1_kernelIttLi192ELi16ELi128ELNS_18Fp8KVCacheDataTypeE0ELb0EEEvPT_PKS2_PKT0_S8_ifPKiSA_iPKfiiiSC_SC_iiiii ; -- Begin function _ZN4vllm25paged_attention_v1_kernelIttLi192ELi16ELi128ELNS_18Fp8KVCacheDataTypeE0ELb0EEEvPT_PKS2_PKT0_S8_ifPKiSA_iPKfiiiSC_SC_iiiii
	.globl	_ZN4vllm25paged_attention_v1_kernelIttLi192ELi16ELi128ELNS_18Fp8KVCacheDataTypeE0ELb0EEEvPT_PKS2_PKT0_S8_ifPKiSA_iPKfiiiSC_SC_iiiii
	.p2align	8
	.type	_ZN4vllm25paged_attention_v1_kernelIttLi192ELi16ELi128ELNS_18Fp8KVCacheDataTypeE0ELb0EEEvPT_PKS2_PKT0_S8_ifPKiSA_iPKfiiiSC_SC_iiiii,@function
_ZN4vllm25paged_attention_v1_kernelIttLi192ELi16ELi128ELNS_18Fp8KVCacheDataTypeE0ELb0EEEvPT_PKS2_PKT0_S8_ifPKiSA_iPKfiiiSC_SC_iiiii: ; @_ZN4vllm25paged_attention_v1_kernelIttLi192ELi16ELi128ELNS_18Fp8KVCacheDataTypeE0ELb0EEEvPT_PKS2_PKT0_S8_ifPKiSA_iPKfiiiSC_SC_iiiii
; %bb.0:
	s_load_dword s5, s[0:1], 0x80
	s_load_dwordx2 s[6:7], s[0:1], 0x30
	s_load_dwordx2 s[8:9], s[0:1], 0x20
	s_mov_b32 s10, s3
	s_ashr_i32 s11, s3, 31
	s_lshl_b64 s[12:13], s[10:11], 2
	s_waitcnt lgkmcnt(0)
	s_add_u32 s6, s6, s12
	s_addc_u32 s7, s7, s13
	s_abs_i32 s3, s8
	v_cvt_f32_u32_e32 v1, s3
	s_sub_i32 s12, 0, s3
	s_abs_i32 s11, s5
	s_xor_b32 s8, s5, s8
	v_rcp_iflag_f32_e32 v1, v1
	s_ashr_i32 s8, s8, 31
	v_mul_f32_e32 v1, 0x4f7ffffe, v1
	v_cvt_u32_f32_e32 v1, v1
	s_nop 0
	v_readfirstlane_b32 s13, v1
	s_mul_i32 s12, s12, s13
	s_mul_hi_u32 s12, s13, s12
	s_add_i32 s13, s13, s12
	s_mul_hi_u32 s12, s11, s13
	s_mul_i32 s13, s12, s3
	s_sub_i32 s11, s11, s13
	s_add_i32 s13, s12, 1
	s_sub_i32 s14, s11, s3
	s_cmp_ge_u32 s11, s3
	s_cselect_b32 s12, s13, s12
	s_cselect_b32 s11, s14, s11
	s_add_i32 s13, s12, 1
	s_cmp_ge_u32 s11, s3
	s_cselect_b32 s3, s13, s12
	s_xor_b32 s3, s3, s8
	s_sub_i32 s14, s3, s8
	s_abs_i32 s11, s14
	v_cvt_f32_u32_e32 v1, s11
	s_load_dwordx2 s[12:13], s[0:1], 0x40
	s_sub_i32 s3, 0, s11
	s_abs_i32 s18, s2
	v_rcp_iflag_f32_e32 v1, v1
	s_mov_b32 s8, 0
	v_mul_f32_e32 v1, 0x4f7ffffe, v1
	v_cvt_u32_f32_e32 v1, v1
	s_nop 0
	v_readfirstlane_b32 s15, v1
	s_mul_i32 s3, s3, s15
	s_mul_hi_u32 s3, s15, s3
	s_add_i32 s15, s15, s3
	s_waitcnt lgkmcnt(0)
	s_cmp_eq_u64 s[12:13], 0
	s_mul_hi_u32 s19, s18, s15
	s_cbranch_scc1 .LBB88_2
; %bb.1:
	s_ashr_i32 s3, s2, 31
	s_lshl_b64 s[16:17], s[2:3], 2
	s_add_u32 s12, s12, s16
	s_addc_u32 s13, s13, s17
	s_load_dword s8, s[12:13], 0x0
.LBB88_2:
	s_load_dword s33, s[6:7], 0x0
	s_ashr_i32 s7, s14, 31
	s_load_dwordx4 s[12:15], s[0:1], 0x48
	s_waitcnt lgkmcnt(0)
	s_movk_i32 s15, 0x60
	s_ashr_i32 s6, s2, 31
	v_and_b32_e32 v4, 3, v0
	s_mul_i32 s16, s2, 0xc0
	v_cmp_gt_u32_e32 vcc, s15, v0
	s_and_saveexec_b64 s[2:3], vcc
	s_cbranch_execz .LBB88_4
; %bb.3:
	s_load_dwordx2 s[20:21], s[0:1], 0x8
	s_mul_i32 s22, s10, s12
	s_ashr_i32 s23, s22, 31
	s_lshl_b64 s[22:23], s[22:23], 1
	v_lshlrev_b32_e32 v1, 2, v0
	s_waitcnt lgkmcnt(0)
	s_add_u32 s12, s20, s22
	s_addc_u32 s22, s21, s23
	s_ashr_i32 s17, s16, 31
	s_lshl_b64 s[20:21], s[16:17], 1
	s_add_u32 s20, s12, s20
	s_addc_u32 s21, s22, s21
	global_load_dword v1, v1, s[20:21]
	v_and_b32_e32 v2, 0x3fc, v0
	v_mad_u32_u24 v2, v4, s15, v2
	s_waitcnt vmcnt(0)
	ds_write_b32 v2, v1
.LBB88_4:
	s_or_b64 exec, exec, s[2:3]
	s_add_i32 s3, s33, 15
	s_ashr_i32 s12, s3, 31
	s_lshr_b32 s12, s12, 28
	s_add_i32 s3, s3, s12
	s_ashr_i32 s17, s3, 4
	s_xor_b32 s3, s6, s7
	s_mul_i32 s6, s19, s11
	s_sub_i32 s6, s18, s6
	s_add_i32 s7, s19, 1
	s_sub_i32 s12, s6, s11
	s_load_dwordx2 s[20:21], s[0:1], 0x28
	s_load_dword s2, s[0:1], 0x38
	s_cmp_ge_u32 s6, s11
	s_cselect_b32 s7, s7, s19
	s_cselect_b32 s6, s12, s6
	s_add_i32 s12, s7, 1
	s_cmp_ge_u32 s6, s11
	s_cselect_b32 s6, s12, s7
	v_lshrrev_b32_e32 v1, 6, v0
	s_xor_b32 s6, s6, s3
	s_waitcnt lgkmcnt(0)
	s_mul_i32 s22, s10, s2
	s_sub_i32 s12, s6, s3
	s_ashr_i32 s23, s22, 31
	v_cmp_gt_i32_e64 s[6:7], s17, v1
	v_cmp_le_i32_e32 vcc, s17, v1
	v_mbcnt_lo_u32_b32 v6, -1, 0
	s_barrier
	s_waitcnt lgkmcnt(0)
                                        ; implicit-def: $sgpr15
                                        ; implicit-def: $vgpr8
                                        ; implicit-def: $vgpr9
	s_and_saveexec_b64 s[2:3], vcc
	s_xor_b64 s[2:3], exec, s[2:3]
; %bb.5:
	v_mbcnt_hi_u32_b32 v8, -1, v6
	v_and_b32_e32 v2, 64, v8
	v_add_u32_e32 v9, 64, v2
	s_mov_b32 s15, 0xff7fffff
                                        ; implicit-def: $vgpr4
                                        ; implicit-def: $vgpr6
; %bb.6:
	s_or_saveexec_b64 s[26:27], s[2:3]
	s_load_dwordx2 s[18:19], s[0:1], 0x0
	s_load_dwordx2 s[24:25], s[0:1], 0x18
	s_load_dword s11, s[0:1], 0x88
	v_mov_b32_e32 v10, s15
	s_mul_i32 s14, s12, s14
	v_lshrrev_b32_e32 v12, 4, v0
	s_xor_b64 exec, exec, s[26:27]
	s_cbranch_execz .LBB88_12
; %bb.7:
	s_load_dwordx2 s[0:1], s[0:1], 0x10
	s_ashr_i32 s15, s14, 31
	s_lshl_b64 s[2:3], s[14:15], 1
	v_bfe_u32 v5, v0, 2, 4
	v_lshlrev_b32_e32 v8, 4, v5
	s_waitcnt lgkmcnt(0)
	s_add_u32 s0, s0, s2
	s_addc_u32 s1, s1, s3
	v_mov_b32_e32 v9, 0
	v_lshl_add_u64 v[2:3], s[0:1], 0, v[8:9]
	v_lshlrev_b32_e32 v7, 2, v0
	s_sub_i32 s15, 1, s33
	s_lshl_b64 s[0:1], s[22:23], 2
	v_and_b32_e32 v8, 12, v7
	v_mul_u32_u24_e32 v11, 0x60, v4
	v_cmp_eq_u32_e32 vcc, 0, v4
	v_lshlrev_b32_e32 v4, 2, v5
	s_add_u32 s0, s20, s0
	v_lshl_add_u64 v[2:3], v[2:3], 0, v[8:9]
	v_lshl_or_b32 v4, v1, 6, v4
	v_and_b32_e32 v8, 60, v12
	s_addc_u32 s1, s21, s1
	v_lshl_or_b32 v13, v1, 4, v5
	v_add_u32_e32 v14, 0x190, v4
	v_lshl_add_u64 v[4:5], s[0:1], 0, v[8:9]
	v_mbcnt_hi_u32_b32 v8, -1, v6
	v_and_b32_e32 v6, 64, v8
	s_mov_b32 s12, s13
	v_cmp_neq_f32_e64 s[2:3], s8, 0
	s_mov_b64 s[28:29], 0
	v_mov_b32_e32 v10, 0xff7fffff
	s_movk_i32 s34, 0x1000
	v_add_u32_e32 v9, 64, v6
	v_xor_b32_e32 v15, 2, v8
	v_xor_b32_e32 v16, 1, v8
	v_mov_b32_e32 v17, v1
	s_branch .LBB88_9
.LBB88_8:                               ;   in Loop: Header=BB88_9 Depth=1
	s_or_b64 exec, exec, s[30:31]
	v_add_u32_e32 v17, 2, v17
	v_cmp_le_i32_e64 s[0:1], s17, v17
	v_add_u32_e32 v13, 32, v13
	v_add_u32_e32 v14, 0x80, v14
	s_or_b64 s[28:29], s[0:1], s[28:29]
	v_lshl_add_u64 v[4:5], v[4:5], 0, 8
	s_andn2_b64 exec, exec, s[28:29]
	s_cbranch_execz .LBB88_11
.LBB88_9:                               ; =>This Inner Loop Header: Depth=1
	global_load_dword v6, v[4:5], off
	s_waitcnt vmcnt(0) lgkmcnt(0)
	v_mad_i64_i32 v[6:7], s[0:1], v6, s12, 0
	v_lshl_add_u64 v[6:7], v[6:7], 1, v[2:3]
	global_load_dword v28, v[6:7], off
	global_load_dword v27, v[6:7], off offset:256
	global_load_dword v26, v[6:7], off offset:512
	;; [unrolled: 1-line block ×9, first 2 shown]
	ds_read_b32 v29, v11
	global_load_dword v36, v[6:7], off offset:2560
	global_load_dword v37, v[6:7], off offset:2816
	;; [unrolled: 1-line block ×6, first 2 shown]
	v_cmp_lt_i32_e64 s[0:1], v15, v9
	s_waitcnt lgkmcnt(0)
	v_lshrrev_b32_e32 v34, 16, v29
	v_cndmask_b32_e64 v20, v8, v15, s[0:1]
	v_add_co_u32_e64 v6, s[0:1], s34, v6
	v_and_b32_e32 v35, 0xffff, v29
	s_nop 0
	v_addc_co_u32_e64 v7, s[0:1], 0, v7, s[0:1]
	global_load_dword v42, v[6:7], off
	global_load_dword v43, v[6:7], off offset:256
	global_load_dword v44, v[6:7], off offset:512
	;; [unrolled: 1-line block ×7, first 2 shown]
	;;#ASMSTART
	v_cvt_f32_f16 v35, v35;
	;;#ASMEND
	;;#ASMSTART
	v_cvt_f32_f16 v34, v34;
	;;#ASMEND
	v_lshlrev_b32_e32 v20, 2, v20
	v_cmp_lt_i32_e64 s[0:1], v16, v9
	s_waitcnt vmcnt(23)
	v_lshrrev_b32_e32 v6, 16, v28
	v_and_b32_e32 v7, 0xffff, v28
	;;#ASMSTART
	v_cvt_f32_f16 v28, v7;
	;;#ASMEND
	;;#ASMSTART
	v_cvt_f32_f16 v45, v6;
	;;#ASMEND
	ds_read_b32 v6, v11 offset:4
	s_waitcnt vmcnt(22)
	v_lshrrev_b32_e32 v7, 16, v27
	v_and_b32_e32 v27, 0xffff, v27
	s_waitcnt vmcnt(21)
	v_lshrrev_b32_e32 v46, 16, v26
	v_and_b32_e32 v26, 0xffff, v26
	s_waitcnt lgkmcnt(0)
	v_lshrrev_b32_e32 v47, 16, v6
	v_and_b32_e32 v6, 0xffff, v6
	;;#ASMSTART
	v_cvt_f32_f16 v6, v6;
	;;#ASMEND
	;;#ASMSTART
	v_cvt_f32_f16 v47, v47;
	;;#ASMEND
	;; [unrolled: 3-line block ×4, first 2 shown]
	ds_read_b32 v48, v11 offset:8
	s_waitcnt vmcnt(20)
	v_lshrrev_b32_e32 v49, 16, v25
	v_and_b32_e32 v25, 0xffff, v25
	s_waitcnt vmcnt(19)
	v_lshrrev_b32_e32 v50, 16, v24
	v_and_b32_e32 v24, 0xffff, v24
	s_waitcnt lgkmcnt(0)
	v_lshrrev_b32_e32 v51, 16, v48
	v_and_b32_e32 v48, 0xffff, v48
	;;#ASMSTART
	v_cvt_f32_f16 v48, v48;
	;;#ASMEND
	;;#ASMSTART
	v_cvt_f32_f16 v51, v51;
	;;#ASMEND
	;; [unrolled: 3-line block ×4, first 2 shown]
	ds_read_b32 v52, v11 offset:12
	v_mul_f32_e32 v6, v6, v27
	s_waitcnt vmcnt(18)
	v_lshrrev_b32_e32 v53, 16, v23
	v_and_b32_e32 v23, 0xffff, v23
	v_fmac_f32_e32 v6, v35, v28
	s_waitcnt lgkmcnt(0)
	v_lshrrev_b32_e32 v55, 16, v52
	v_and_b32_e32 v52, 0xffff, v52
	;;#ASMSTART
	v_cvt_f32_f16 v52, v52;
	;;#ASMEND
	;;#ASMSTART
	v_cvt_f32_f16 v55, v55;
	;;#ASMEND
	;; [unrolled: 3-line block ×4, first 2 shown]
	ds_read_b32 v56, v11 offset:16
	v_mul_f32_e32 v7, v47, v7
	s_waitcnt vmcnt(17)
	v_lshrrev_b32_e32 v54, 16, v22
	v_and_b32_e32 v22, 0xffff, v22
	v_fmac_f32_e32 v7, v34, v45
	s_waitcnt lgkmcnt(0)
	v_lshrrev_b32_e32 v27, 16, v56
	v_and_b32_e32 v56, 0xffff, v56
	;;#ASMSTART
	v_cvt_f32_f16 v56, v56;
	;;#ASMEND
	;;#ASMSTART
	v_cvt_f32_f16 v27, v27;
	;;#ASMEND
	;; [unrolled: 3-line block ×4, first 2 shown]
	ds_read_b32 v59, v11 offset:20
	v_fmac_f32_e32 v6, v48, v26
	s_waitcnt vmcnt(16)
	v_lshrrev_b32_e32 v57, 16, v21
	v_and_b32_e32 v21, 0xffff, v21
	v_fmac_f32_e32 v7, v51, v46
	s_waitcnt lgkmcnt(0)
	v_lshrrev_b32_e32 v28, 16, v59
	v_and_b32_e32 v35, 0xffff, v59
	;;#ASMSTART
	v_cvt_f32_f16 v35, v35;
	;;#ASMEND
	;;#ASMSTART
	v_cvt_f32_f16 v28, v28;
	;;#ASMEND
	;;#ASMSTART
	v_cvt_f32_f16 v23, v23;
	;;#ASMEND
	;;#ASMSTART
	v_cvt_f32_f16 v53, v53;
	;;#ASMEND
	ds_read_b32 v59, v11 offset:24
	s_waitcnt vmcnt(15)
	v_lshrrev_b32_e32 v58, 16, v19
	v_and_b32_e32 v19, 0xffff, v19
	v_fmac_f32_e32 v6, v52, v25
	v_fmac_f32_e32 v7, v55, v49
	s_waitcnt lgkmcnt(0)
	v_lshrrev_b32_e32 v26, 16, v59
	v_and_b32_e32 v45, 0xffff, v59
	;;#ASMSTART
	v_cvt_f32_f16 v45, v45;
	;;#ASMEND
	;;#ASMSTART
	v_cvt_f32_f16 v26, v26;
	;;#ASMEND
	;;#ASMSTART
	v_cvt_f32_f16 v22, v22;
	;;#ASMEND
	;;#ASMSTART
	v_cvt_f32_f16 v48, v54;
	;;#ASMEND
	ds_read_b32 v54, v11 offset:28
	s_waitcnt vmcnt(14)
	v_lshrrev_b32_e32 v47, 16, v18
	v_and_b32_e32 v18, 0xffff, v18
	v_fmac_f32_e32 v6, v56, v24
	;; [unrolled: 21-line block ×3, first 2 shown]
	s_waitcnt vmcnt(12)
	v_lshrrev_b32_e32 v59, 16, v37
	s_waitcnt lgkmcnt(0)
	v_lshrrev_b32_e32 v49, 16, v57
	v_and_b32_e32 v52, 0xffff, v57
	;;#ASMSTART
	v_cvt_f32_f16 v52, v52;
	;;#ASMEND
	;;#ASMSTART
	v_cvt_f32_f16 v49, v49;
	;;#ASMEND
	;; [unrolled: 3-line block ×4, first 2 shown]
	ds_read_b32 v57, v11 offset:36
	v_and_b32_e32 v37, 0xffff, v37
	v_fmac_f32_e32 v6, v45, v22
	v_fmac_f32_e32 v7, v28, v53
	s_waitcnt vmcnt(11)
	v_lshrrev_b32_e32 v25, 16, v38
	s_waitcnt lgkmcnt(0)
	v_lshrrev_b32_e32 v24, 16, v57
	v_and_b32_e32 v27, 0xffff, v57
	;;#ASMSTART
	v_cvt_f32_f16 v27, v27;
	;;#ASMEND
	;;#ASMSTART
	v_cvt_f32_f16 v24, v24;
	;;#ASMEND
	;; [unrolled: 3-line block ×4, first 2 shown]
	ds_read_b32 v50, v11 offset:40
	v_and_b32_e32 v38, 0xffff, v38
	v_fmac_f32_e32 v7, v26, v48
	s_waitcnt vmcnt(10)
	v_lshrrev_b32_e32 v58, 16, v39
	v_and_b32_e32 v39, 0xffff, v39
	s_waitcnt lgkmcnt(0)
	v_lshrrev_b32_e32 v23, 16, v50
	v_and_b32_e32 v35, 0xffff, v50
	;;#ASMSTART
	v_cvt_f32_f16 v35, v35;
	;;#ASMEND
	;;#ASMSTART
	v_cvt_f32_f16 v23, v23;
	;;#ASMEND
	;;#ASMSTART
	v_cvt_f32_f16 v36, v36;
	;;#ASMEND
	;;#ASMSTART
	v_cvt_f32_f16 v34, v34;
	;;#ASMEND
	ds_read_b32 v50, v11 offset:44
	v_fmac_f32_e32 v6, v51, v21
	v_fmac_f32_e32 v7, v46, v54
	s_waitcnt vmcnt(9)
	v_lshrrev_b32_e32 v56, 16, v40
	v_and_b32_e32 v40, 0xffff, v40
	s_waitcnt lgkmcnt(0)
	v_lshrrev_b32_e32 v22, 16, v50
	v_and_b32_e32 v45, 0xffff, v50
	;;#ASMSTART
	v_cvt_f32_f16 v45, v45;
	;;#ASMEND
	;;#ASMSTART
	v_cvt_f32_f16 v22, v22;
	;;#ASMEND
	;;#ASMSTART
	v_cvt_f32_f16 v37, v37;
	;;#ASMEND
	;;#ASMSTART
	v_cvt_f32_f16 v50, v59;
	;;#ASMEND
	ds_read_b32 v53, v11 offset:48
	v_fmac_f32_e32 v6, v52, v19
	;; [unrolled: 21-line block ×3, first 2 shown]
	s_waitcnt vmcnt(7)
	v_lshrrev_b32_e32 v28, 16, v42
	v_and_b32_e32 v42, 0xffff, v42
	v_fmac_f32_e32 v6, v35, v36
	s_waitcnt lgkmcnt(0)
	v_lshrrev_b32_e32 v46, 16, v53
	v_and_b32_e32 v51, 0xffff, v53
	;;#ASMSTART
	v_cvt_f32_f16 v51, v51;
	;;#ASMEND
	;;#ASMSTART
	v_cvt_f32_f16 v46, v46;
	;;#ASMEND
	;;#ASMSTART
	v_cvt_f32_f16 v39, v39;
	;;#ASMEND
	;;#ASMSTART
	v_cvt_f32_f16 v53, v58;
	;;#ASMEND
	ds_read_b32 v54, v11 offset:56
	v_fmac_f32_e32 v7, v24, v47
	s_waitcnt vmcnt(6)
	v_lshrrev_b32_e32 v59, 16, v43
	v_and_b32_e32 v43, 0xffff, v43
	v_fmac_f32_e32 v7, v23, v34
	s_waitcnt lgkmcnt(0)
	v_lshrrev_b32_e32 v19, 16, v54
	v_and_b32_e32 v49, 0xffff, v54
	;;#ASMSTART
	v_cvt_f32_f16 v49, v49;
	;;#ASMEND
	;;#ASMSTART
	v_cvt_f32_f16 v19, v19;
	;;#ASMEND
	;;#ASMSTART
	v_cvt_f32_f16 v40, v40;
	;;#ASMEND
	;;#ASMSTART
	v_cvt_f32_f16 v52, v56;
	;;#ASMEND
	ds_read_b32 v54, v11 offset:60
	v_fmac_f32_e32 v7, v22, v50
	s_waitcnt vmcnt(5)
	v_lshrrev_b32_e32 v21, 16, v44
	v_fmac_f32_e32 v7, v26, v25
	v_and_b32_e32 v44, 0xffff, v44
	s_waitcnt lgkmcnt(0)
	v_lshrrev_b32_e32 v18, 16, v54
	v_and_b32_e32 v27, 0xffff, v54
	;;#ASMSTART
	v_cvt_f32_f16 v27, v27;
	;;#ASMEND
	;;#ASMSTART
	v_cvt_f32_f16 v18, v18;
	;;#ASMEND
	;; [unrolled: 3-line block ×4, first 2 shown]
	ds_read_b32 v57, v11 offset:64
	v_fmac_f32_e32 v6, v45, v37
	v_fmac_f32_e32 v7, v46, v53
	s_waitcnt vmcnt(4)
	v_lshrrev_b32_e32 v58, 16, v33
	v_and_b32_e32 v33, 0xffff, v33
	s_waitcnt lgkmcnt(0)
	v_lshrrev_b32_e32 v35, 16, v57
	v_and_b32_e32 v36, 0xffff, v57
	;;#ASMSTART
	v_cvt_f32_f16 v36, v36;
	;;#ASMEND
	;;#ASMSTART
	v_cvt_f32_f16 v35, v35;
	;;#ASMEND
	;; [unrolled: 3-line block ×4, first 2 shown]
	ds_read_b32 v47, v11 offset:68
	v_fmac_f32_e32 v6, v48, v38
	v_fmac_f32_e32 v7, v19, v52
	;; [unrolled: 1-line block ×4, first 2 shown]
	s_waitcnt lgkmcnt(0)
	v_lshrrev_b32_e32 v23, 16, v47
	v_and_b32_e32 v34, 0xffff, v47
	;;#ASMSTART
	v_cvt_f32_f16 v34, v34;
	;;#ASMEND
	;;#ASMSTART
	v_cvt_f32_f16 v23, v23;
	;;#ASMEND
	;; [unrolled: 3-line block ×4, first 2 shown]
	ds_read_b32 v59, v11 offset:72
	s_waitcnt vmcnt(3)
	v_lshrrev_b32_e32 v55, 16, v32
	v_and_b32_e32 v32, 0xffff, v32
	v_fmac_f32_e32 v6, v27, v41
	v_fmac_f32_e32 v7, v18, v54
	s_waitcnt lgkmcnt(0)
	v_lshrrev_b32_e32 v22, 16, v59
	v_and_b32_e32 v25, 0xffff, v59
	;;#ASMSTART
	v_cvt_f32_f16 v25, v25;
	;;#ASMEND
	;;#ASMSTART
	v_cvt_f32_f16 v22, v22;
	;;#ASMEND
	;; [unrolled: 3-line block ×4, first 2 shown]
	ds_read_b32 v37, v11 offset:76
	v_fmac_f32_e32 v7, v35, v28
	v_fmac_f32_e32 v6, v36, v42
	;; [unrolled: 1-line block ×4, first 2 shown]
	s_waitcnt lgkmcnt(0)
	v_lshrrev_b32_e32 v19, 16, v37
	v_and_b32_e32 v37, 0xffff, v37
	;;#ASMSTART
	v_cvt_f32_f16 v37, v37;
	;;#ASMEND
	;;#ASMSTART
	v_cvt_f32_f16 v19, v19;
	;;#ASMEND
	;; [unrolled: 3-line block ×4, first 2 shown]
	ds_read_b32 v39, v11 offset:80
	v_fmac_f32_e32 v7, v22, v21
	s_waitcnt vmcnt(2)
	v_lshrrev_b32_e32 v56, 16, v31
	v_and_b32_e32 v31, 0xffff, v31
	v_fmac_f32_e32 v6, v25, v26
	s_waitcnt lgkmcnt(0)
	v_lshrrev_b32_e32 v18, 16, v39
	v_and_b32_e32 v27, 0xffff, v39
	;;#ASMSTART
	v_cvt_f32_f16 v27, v27;
	;;#ASMEND
	;;#ASMSTART
	v_cvt_f32_f16 v18, v18;
	;;#ASMEND
	;; [unrolled: 3-line block ×4, first 2 shown]
	ds_read_b32 v35, v11 offset:84
	v_fmac_f32_e32 v7, v19, v38
	s_waitcnt vmcnt(1)
	v_lshrrev_b32_e32 v24, 16, v30
	v_fmac_f32_e32 v6, v37, v33
	v_fmac_f32_e32 v7, v18, v32
	s_waitcnt lgkmcnt(0)
	v_lshrrev_b32_e32 v21, 16, v35
	v_and_b32_e32 v22, 0xffff, v35
	;;#ASMSTART
	v_cvt_f32_f16 v22, v22;
	;;#ASMEND
	;;#ASMSTART
	v_cvt_f32_f16 v21, v21;
	;;#ASMEND
	;; [unrolled: 3-line block ×4, first 2 shown]
	ds_read_b32 v26, v11 offset:88
	v_and_b32_e32 v30, 0xffff, v30
	v_fmac_f32_e32 v6, v27, v28
	v_fmac_f32_e32 v6, v22, v23
	;; [unrolled: 1-line block ×3, first 2 shown]
	s_waitcnt lgkmcnt(0)
	v_lshrrev_b32_e32 v18, 16, v26
	v_and_b32_e32 v19, 0xffff, v26
	;;#ASMSTART
	v_cvt_f32_f16 v19, v19;
	;;#ASMEND
	;;#ASMSTART
	v_cvt_f32_f16 v18, v18;
	;;#ASMEND
	;; [unrolled: 3-line block ×4, first 2 shown]
	ds_read_b32 v27, v11 offset:92
	v_fmac_f32_e32 v6, v19, v26
	v_fmac_f32_e32 v7, v18, v24
	s_waitcnt vmcnt(0)
	v_lshrrev_b32_e32 v57, 16, v29
	v_and_b32_e32 v29, 0xffff, v29
	s_waitcnt lgkmcnt(0)
	v_lshrrev_b32_e32 v18, 16, v27
	v_and_b32_e32 v19, 0xffff, v27
	;;#ASMSTART
	v_cvt_f32_f16 v19, v19;
	;;#ASMEND
	;;#ASMSTART
	v_cvt_f32_f16 v18, v18;
	;;#ASMEND
	;; [unrolled: 3-line block ×4, first 2 shown]
	s_nop 0
	v_fmac_f32_e32 v6, v19, v21
	v_fmac_f32_e32 v7, v18, v22
	v_add_f32_e32 v6, v6, v7
	ds_bpermute_b32 v7, v20, v6
	v_cndmask_b32_e64 v18, v8, v16, s[0:1]
	s_waitcnt lgkmcnt(0)
	v_add_f32_e32 v6, v6, v7
	v_lshlrev_b32_e32 v7, 2, v18
	ds_bpermute_b32 v7, v7, v6
	s_and_saveexec_b64 s[30:31], vcc
	s_cbranch_execz .LBB88_8
; %bb.10:                               ;   in Loop: Header=BB88_9 Depth=1
	v_add_u32_e32 v18, s15, v13
	v_cvt_f32_i32_e32 v18, v18
	s_waitcnt lgkmcnt(0)
	v_add_f32_e32 v6, v6, v7
	v_cmp_gt_i32_e64 s[0:1], s33, v13
	v_max_f32_e32 v7, v10, v10
	v_mul_f32_e32 v18, s8, v18
	v_cndmask_b32_e64 v18, 0, v18, s[2:3]
	v_fmac_f32_e32 v18, s9, v6
	v_cndmask_b32_e64 v6, 0, v18, s[0:1]
	ds_write_b32 v14, v6
	v_max_f32_e32 v6, v7, v18
	v_cndmask_b32_e64 v10, v10, v6, s[0:1]
	s_branch .LBB88_8
.LBB88_11:
	s_or_b64 exec, exec, s[28:29]
.LBB88_12:
	s_or_b64 exec, exec, s[26:27]
	v_xor_b32_e32 v2, 32, v8
	v_cmp_lt_i32_e32 vcc, v2, v9
	v_xor_b32_e32 v5, 16, v8
	v_max_f32_e32 v4, v10, v10
	v_cndmask_b32_e32 v2, v8, v2, vcc
	v_lshlrev_b32_e32 v2, 2, v2
	ds_bpermute_b32 v3, v2, v10
	v_cmp_lt_i32_e32 vcc, v5, v9
	v_xor_b32_e32 v6, 8, v8
	s_waitcnt lgkmcnt(0)
	v_xor_b32_e32 v7, 4, v8
	v_and_b32_e32 v24, 63, v0
	v_max_f32_e32 v3, v3, v3
	v_max_f32_e32 v4, v4, v3
	v_cndmask_b32_e32 v3, v8, v5, vcc
	v_lshlrev_b32_e32 v3, 2, v3
	ds_bpermute_b32 v5, v3, v4
	v_cmp_lt_i32_e32 vcc, v6, v9
	s_waitcnt lgkmcnt(0)
	v_max_f32_e32 v5, v5, v5
	v_max_f32_e32 v4, v4, v5
	v_cndmask_b32_e32 v5, v8, v6, vcc
	v_lshlrev_b32_e32 v6, 2, v5
	ds_bpermute_b32 v5, v6, v4
	v_cmp_lt_i32_e32 vcc, v7, v9
	s_waitcnt lgkmcnt(0)
	v_max_f32_e32 v5, v5, v5
	v_max_f32_e32 v5, v4, v5
	v_cndmask_b32_e32 v4, v8, v7, vcc
	v_lshlrev_b32_e32 v7, 2, v4
	ds_bpermute_b32 v10, v7, v5
	v_cmp_eq_u32_e32 vcc, 0, v24
	v_lshlrev_b32_e32 v4, 2, v1
	s_and_saveexec_b64 s[0:1], vcc
	s_cbranch_execz .LBB88_14
; %bb.13:
	s_waitcnt lgkmcnt(0)
	v_max_f32_e32 v10, v10, v10
	v_max_f32_e32 v5, v5, v5
	;; [unrolled: 1-line block ×3, first 2 shown]
	ds_write_b32 v4, v5 offset:384
.LBB88_14:
	s_or_b64 exec, exec, s[0:1]
	v_cmp_gt_u32_e64 s[0:1], 2, v24
	s_waitcnt lgkmcnt(0)
	v_mov_b32_e32 v10, 0xff7fffff
	v_lshlrev_b32_e32 v5, 2, v24
	s_barrier
	s_and_saveexec_b64 s[2:3], s[0:1]
	s_cbranch_execz .LBB88_16
; %bb.15:
	ds_read_b32 v10, v5 offset:384
.LBB88_16:
	s_or_b64 exec, exec, s[2:3]
	v_xor_b32_e32 v11, 1, v8
	v_cmp_lt_i32_e64 s[2:3], v11, v9
	v_lshlrev_b32_e32 v13, 2, v8
	s_nop 0
	v_cndmask_b32_e64 v11, v8, v11, s[2:3]
	v_lshlrev_b32_e32 v25, 2, v11
	s_waitcnt lgkmcnt(0)
	ds_bpermute_b32 v11, v25, v10
	v_max_f32_e32 v10, v10, v10
	s_lshl_b32 s2, s17, 4
	s_min_i32 s12, s2, s33
	v_cmp_gt_i32_e64 s[2:3], s12, v0
	s_waitcnt lgkmcnt(0)
	v_max_f32_e32 v11, v11, v11
	v_max_f32_e32 v11, v10, v11
	v_and_b32_e32 v10, 0xffffff00, v13
	ds_bpermute_b32 v13, v10, v11
	v_mov_b32_e32 v11, 0
	s_and_saveexec_b64 s[26:27], s[2:3]
	s_cbranch_execz .LBB88_20
; %bb.17:
	v_mov_b32_e32 v11, 0x190
	v_lshl_add_u32 v14, v0, 2, v11
	s_mov_b64 s[28:29], 0
	v_mov_b32_e32 v11, 0
	v_mov_b32_e32 v15, v0
.LBB88_18:                              ; =>This Inner Loop Header: Depth=1
	ds_read_b32 v16, v14
	v_add_u32_e32 v15, 0x80, v15
	v_cmp_le_i32_e64 s[8:9], s12, v15
	s_or_b64 s[28:29], s[8:9], s[28:29]
	s_waitcnt lgkmcnt(0)
	v_sub_f32_e32 v16, v16, v13
	v_mul_f32_e32 v16, 0x3fb8aa3b, v16
	v_exp_f32_e32 v16, v16
	ds_write_b32 v14, v16
	v_add_f32_e32 v11, v11, v16
	v_add_u32_e32 v14, 0x200, v14
	s_andn2_b64 exec, exec, s[28:29]
	s_cbranch_execnz .LBB88_18
; %bb.19:
	s_or_b64 exec, exec, s[28:29]
.LBB88_20:
	s_or_b64 exec, exec, s[26:27]
	ds_bpermute_b32 v2, v2, v11
	s_waitcnt lgkmcnt(0)
	v_add_f32_e32 v2, v11, v2
	ds_bpermute_b32 v3, v3, v2
	s_waitcnt lgkmcnt(0)
	v_add_f32_e32 v2, v2, v3
	ds_bpermute_b32 v3, v6, v2
	v_xor_b32_e32 v6, 2, v8
	v_cmp_lt_i32_e64 s[8:9], v6, v9
	s_waitcnt lgkmcnt(0)
	v_add_f32_e32 v2, v2, v3
	ds_bpermute_b32 v3, v7, v2
	v_cndmask_b32_e64 v6, v8, v6, s[8:9]
	s_waitcnt lgkmcnt(0)
	v_add_f32_e32 v2, v2, v3
	v_lshlrev_b32_e32 v3, 2, v6
	ds_bpermute_b32 v3, v3, v2
	s_waitcnt lgkmcnt(0)
	v_add_f32_e32 v2, v2, v3
	ds_bpermute_b32 v3, v25, v2
	s_waitcnt lgkmcnt(0)
	v_add_f32_e32 v2, v2, v3
	s_and_saveexec_b64 s[8:9], vcc
	s_cbranch_execz .LBB88_22
; %bb.21:
	ds_write_b32 v4, v2 offset:392
.LBB88_22:
	s_or_b64 exec, exec, s[8:9]
	s_waitcnt lgkmcnt(0)
	s_barrier
	s_and_saveexec_b64 s[8:9], s[0:1]
	s_cbranch_execz .LBB88_24
; %bb.23:
	ds_read_b32 v2, v5 offset:392
.LBB88_24:
	s_or_b64 exec, exec, s[8:9]
	s_waitcnt lgkmcnt(0)
	ds_bpermute_b32 v3, v25, v2
	s_waitcnt lgkmcnt(0)
	v_add_f32_e32 v2, v2, v3
	ds_bpermute_b32 v2, v10, v2
	s_and_saveexec_b64 s[0:1], s[2:3]
	s_cbranch_execz .LBB88_37
; %bb.25:
	s_waitcnt lgkmcnt(0)
	v_add_f32_e32 v2, 0x358637bd, v2
	v_div_scale_f32 v3, s[2:3], v2, v2, 1.0
	v_rcp_f32_e32 v4, v3
	v_div_scale_f32 v5, vcc, 1.0, v2, 1.0
	s_movk_i32 s2, 0x7f
	v_fma_f32 v6, -v3, v4, 1.0
	v_fmac_f32_e32 v4, v6, v4
	v_mul_f32_e32 v6, v5, v4
	v_fma_f32 v7, -v3, v6, v5
	v_fmac_f32_e32 v6, v7, v4
	v_fma_f32 v3, -v3, v6, v5
	v_div_fmas_f32 v3, v3, v4, v6
	v_xad_u32 v4, v0, -1, s12
	v_div_fixup_f32 v2, v3, v2, 1.0
	v_cmp_lt_u32_e32 vcc, s2, v4
	s_mov_b64 s[8:9], -1
	v_mov_b32_e32 v3, v0
	s_and_saveexec_b64 s[2:3], vcc
	s_cbranch_execz .LBB88_34
; %bb.26:
	v_lshrrev_b32_e32 v4, 7, v4
	v_add_u32_e32 v6, -1, v4
	v_lshrrev_b32_e32 v5, 1, v6
	v_mov_b32_e32 v3, v2
	v_add_u32_e32 v5, 1, v5
	v_cmp_lt_u32_e32 vcc, 13, v6
	v_mov_b32_e32 v8, 0
	s_and_saveexec_b64 s[8:9], vcc
	s_cbranch_execz .LBB88_30
; %bb.27:
	v_mov_b32_e32 v7, 0x190
	v_and_b32_e32 v6, -8, v5
	v_lshl_add_u32 v7, v0, 2, v7
	s_mov_b32 s15, 0
	s_mov_b64 s[26:27], 0
.LBB88_28:                              ; =>This Inner Loop Header: Depth=1
	ds_read2st64_b32 v[8:9], v7 offset1:2
	ds_read2st64_b32 v[10:11], v7 offset0:4 offset1:6
	ds_read2st64_b32 v[14:15], v7 offset0:8 offset1:10
	;; [unrolled: 1-line block ×3, first 2 shown]
	v_add_u32_e32 v6, -8, v6
	s_waitcnt lgkmcnt(3)
	v_pk_mul_f32 v[8:9], v[2:3], v[8:9]
	s_waitcnt lgkmcnt(2)
	v_pk_mul_f32 v[10:11], v[2:3], v[10:11]
	ds_write2st64_b32 v7, v8, v9 offset1:2
	ds_write2st64_b32 v7, v10, v11 offset0:4 offset1:6
	ds_read2st64_b32 v[10:11], v7 offset0:16 offset1:18
	s_waitcnt lgkmcnt(4)
	v_pk_mul_f32 v[8:9], v[2:3], v[14:15]
	ds_write2st64_b32 v7, v8, v9 offset0:8 offset1:10
	s_waitcnt lgkmcnt(4)
	v_pk_mul_f32 v[8:9], v[2:3], v[16:17]
	ds_write2st64_b32 v7, v8, v9 offset0:12 offset1:14
	ds_read2st64_b32 v[8:9], v7 offset0:20 offset1:22
	s_waitcnt lgkmcnt(3)
	v_pk_mul_f32 v[10:11], v[2:3], v[10:11]
	ds_read2st64_b32 v[14:15], v7 offset0:24 offset1:26
	ds_write2st64_b32 v7, v10, v11 offset0:16 offset1:18
	ds_read2st64_b32 v[10:11], v7 offset0:28 offset1:30
	s_waitcnt lgkmcnt(3)
	v_pk_mul_f32 v[8:9], v[2:3], v[8:9]
	ds_write2st64_b32 v7, v8, v9 offset0:20 offset1:22
	s_waitcnt lgkmcnt(3)
	v_pk_mul_f32 v[8:9], v[2:3], v[14:15]
	ds_write2st64_b32 v7, v8, v9 offset0:24 offset1:26
	s_waitcnt lgkmcnt(2)
	v_pk_mul_f32 v[8:9], v[2:3], v[10:11]
	s_add_i32 s15, s15, 16
	v_cmp_eq_u32_e32 vcc, 0, v6
	ds_write2st64_b32 v7, v8, v9 offset0:28 offset1:30
	v_add_u32_e32 v7, 0x2000, v7
	s_or_b64 s[26:27], vcc, s[26:27]
	v_mov_b32_e32 v8, s15
	s_andn2_b64 exec, exec, s[26:27]
	s_cbranch_execnz .LBB88_28
; %bb.29:
	s_or_b64 exec, exec, s[26:27]
.LBB88_30:
	s_or_b64 exec, exec, s[8:9]
	v_and_b32_e32 v5, 7, v5
	v_cmp_ne_u32_e32 vcc, 0, v5
	s_and_saveexec_b64 s[8:9], vcc
	s_cbranch_execz .LBB88_33
; %bb.31:
	v_lshlrev_b32_e32 v6, 9, v8
	v_lshlrev_b32_e32 v7, 2, v0
	s_movk_i32 s15, 0x190
	v_add3_u32 v6, v6, v7, s15
	s_mov_b64 s[26:27], 0
.LBB88_32:                              ; =>This Inner Loop Header: Depth=1
	ds_read2st64_b32 v[8:9], v6 offset1:2
	v_add_u32_e32 v5, -1, v5
	v_cmp_eq_u32_e32 vcc, 0, v5
	s_or_b64 s[26:27], vcc, s[26:27]
	s_waitcnt lgkmcnt(0)
	v_pk_mul_f32 v[8:9], v[2:3], v[8:9]
	ds_write2st64_b32 v6, v8, v9 offset1:2
	v_add_u32_e32 v6, 0x400, v6
	s_andn2_b64 exec, exec, s[26:27]
	s_cbranch_execnz .LBB88_32
.LBB88_33:
	s_or_b64 exec, exec, s[8:9]
	v_add_u32_e32 v4, 1, v4
	v_and_b32_e32 v5, 0x3fffffe, v4
	v_cmp_ne_u32_e32 vcc, v4, v5
	v_lshl_add_u32 v3, v5, 7, v0
	s_orn2_b64 s[8:9], vcc, exec
.LBB88_34:
	s_or_b64 exec, exec, s[2:3]
	s_and_b64 exec, exec, s[8:9]
	s_cbranch_execz .LBB88_37
; %bb.35:
	v_mov_b32_e32 v4, 0x190
	v_lshl_add_u32 v4, v3, 2, v4
	s_mov_b64 s[2:3], 0
.LBB88_36:                              ; =>This Inner Loop Header: Depth=1
	ds_read_b32 v5, v4
	v_add_u32_e32 v3, 0x80, v3
	v_cmp_le_i32_e32 vcc, s12, v3
	s_or_b64 s[2:3], vcc, s[2:3]
	s_waitcnt lgkmcnt(0)
	v_mul_f32_e32 v5, v2, v5
	ds_write_b32 v4, v5
	v_add_u32_e32 v4, 0x200, v4
	s_andn2_b64 exec, exec, s[2:3]
	s_cbranch_execnz .LBB88_36
.LBB88_37:
	s_or_b64 exec, exec, s[0:1]
	v_mov_b32_e32 v7, 0
	v_and_b32_e32 v26, 1, v0
	v_mov_b32_e32 v6, 0
	v_mov_b32_e32 v9, 0
	v_mov_b32_e32 v8, 0
	v_mov_b32_e32 v11, 0
	v_mov_b32_e32 v10, 0
	s_waitcnt lgkmcnt(0)
	s_barrier
	s_and_saveexec_b64 s[2:3], s[6:7]
	s_cbranch_execz .LBB88_53
; %bb.38:
	s_ashr_i32 s15, s14, 31
	s_lshl_b64 s[0:1], s[14:15], 1
	v_lshlrev_b32_e32 v2, 3, v0
	s_add_u32 s6, s24, s0
	v_and_b32_e32 v3, 8, v2
	s_addc_u32 s7, s25, s1
	s_add_i32 s14, s17, -1
	s_lshl_b64 s[0:1], s[22:23], 2
	v_and_b32_e32 v2, 0x1f8, v2
	v_lshl_or_b32 v27, v1, 4, v3
	v_lshlrev_b32_e32 v3, 5, v26
	s_add_u32 s0, s20, s0
	v_mov_b32_e32 v13, 0
	v_or_b32_e32 v4, 0x800, v2
	v_or_b32_e32 v6, 0xa00, v2
	v_lshl_or_b32 v3, v1, 6, v3
	v_and_b32_e32 v12, 60, v12
	s_addc_u32 s1, s21, s1
	s_mov_b32 s26, s13
	s_mov_b32 s15, s33
	;; [unrolled: 1-line block ×8, first 2 shown]
	v_add_u32_e32 v28, 0x190, v3
	v_lshl_add_u64 v[14:15], s[0:1], 0, v[12:13]
	s_mov_b64 s[8:9], 0
	v_lshlrev_b32_e32 v16, 1, v2
	v_mov_b32_e32 v17, v13
	s_mov_b32 s20, 0x5040100
	v_lshlrev_b32_e32 v12, 1, v4
	v_lshlrev_b32_e32 v18, 1, v6
	v_mov_b32_e32 v10, v13
	v_mov_b32_e32 v11, v13
	;; [unrolled: 1-line block ×6, first 2 shown]
	s_branch .LBB88_40
.LBB88_39:                              ;   in Loop: Header=BB88_40 Depth=1
	s_or_b64 exec, exec, s[0:1]
	s_waitcnt vmcnt(0)
	;;#ASMSTART
	v_pk_mul_f16 v2, v39, v2;

	;;#ASMEND
	;;#ASMSTART
	v_pk_mul_f16 v3, v38, v3;

	;;#ASMEND
	;;#ASMSTART
	v_pk_mul_f16 v4, v36, v4;

	;;#ASMEND
	;;#ASMSTART
	v_pk_mul_f16 v5, v34, v5;

	;;#ASMEND
	v_add_f32_e32 v19, v40, v41
	;;#ASMSTART
	v_pk_add_f16 v2, v2, v3;

	;;#ASMEND
	v_add_f32_e32 v10, v10, v19
	;;#ASMSTART
	v_pk_add_f16 v2, v2, v4;

	;;#ASMEND
	v_add_f32_e32 v19, v42, v43
	;;#ASMSTART
	v_pk_add_f16 v2, v2, v5;

	;;#ASMEND
	v_add_f32_e32 v11, v11, v19
	v_add_f32_e32 v19, v44, v45
	v_lshrrev_b32_e32 v3, 16, v2
	v_and_b32_e32 v2, 0xffff, v2
	v_add_f32_e32 v8, v8, v19
	v_add_f32_e32 v19, v22, v23
	;;#ASMSTART
	v_cvt_f32_f16 v2, v2;
	;;#ASMEND
	v_add_u32_e32 v1, 2, v1
	v_add_f32_e32 v9, v9, v19
	v_add_f32_e32 v19, v46, v47
	;;#ASMSTART
	v_cvt_f32_f16 v3, v3;
	;;#ASMEND
	v_cmp_le_i32_e32 vcc, s17, v1
	v_add_f32_e32 v2, v2, v3
	v_add_f32_e32 v6, v6, v19
	;; [unrolled: 1-line block ×3, first 2 shown]
	v_add_u32_e32 v27, 32, v27
	v_add_u32_e32 v28, 0x80, v28
	s_or_b64 s[8:9], vcc, s[8:9]
	v_lshl_add_u64 v[14:15], v[14:15], 0, 8
	s_andn2_b64 exec, exec, s[8:9]
	s_cbranch_execz .LBB88_52
.LBB88_40:                              ; =>This Inner Loop Header: Depth=1
	global_load_dword v29, v[14:15], off
	ds_read2_b64 v[2:5], v28 offset1:1
	ds_read2_b64 v[20:23], v28 offset0:2 offset1:3
	v_cmp_eq_u32_e32 vcc, s14, v1
	v_or_b32_e32 v31, 3, v27
	s_waitcnt lgkmcnt(1)
	;;#ASMSTART
	v_cvt_f16_f32 v19, v2;

	;;#ASMEND
	;;#ASMSTART
	v_cvt_f16_f32 v34, v3;

	;;#ASMEND
	;; [unrolled: 4-line block ×4, first 2 shown]
	s_waitcnt lgkmcnt(0)
	;;#ASMSTART
	v_cvt_f16_f32 v40, v20;

	;;#ASMEND
	;;#ASMSTART
	v_cvt_f16_f32 v41, v21;

	;;#ASMEND
	;; [unrolled: 4-line block ×4, first 2 shown]
	v_or_b32_e32 v30, 2, v27
	v_or_b32_e32 v33, 5, v27
	;; [unrolled: 1-line block ×5, first 2 shown]
	s_waitcnt vmcnt(0)
	v_mad_i64_i32 v[2:3], s[0:1], v29, s26, 0
	v_lshl_add_u64 v[20:21], v[2:3], 1, s[6:7]
	v_lshl_add_u64 v[22:23], v[20:21], 0, v[16:17]
	global_load_dwordx4 v[2:5], v[22:23], off
	v_add_u32_e32 v29, 1, v27
	s_and_saveexec_b64 s[12:13], vcc
	s_cbranch_execz .LBB88_42
; %bb.41:                               ;   in Loop: Header=BB88_40 Depth=1
	s_waitcnt vmcnt(0)
	v_lshrrev_b32_e32 v39, 16, v5
	v_cmp_gt_i32_e64 s[0:1], s30, v37
	s_nop 1
	v_cndmask_b32_e64 v39, 0, v39, s[0:1]
	v_cmp_gt_i32_e64 s[0:1], s29, v35
	s_nop 1
	v_cndmask_b32_e64 v5, 0, v5, s[0:1]
	v_perm_b32 v5, v39, v5, s20
	v_lshrrev_b32_e32 v39, 16, v4
	v_cmp_gt_i32_e64 s[0:1], s28, v33
	s_nop 1
	v_cndmask_b32_e64 v39, 0, v39, s[0:1]
	v_cmp_gt_i32_e64 s[0:1], s27, v32
	s_nop 1
	v_cndmask_b32_e64 v4, 0, v4, s[0:1]
	v_perm_b32 v4, v39, v4, s20
	;; [unrolled: 8-line block ×4, first 2 shown]
.LBB88_42:                              ;   in Loop: Header=BB88_40 Depth=1
	s_or_b64 exec, exec, s[12:13]
	v_and_b32_e32 v19, 0xffff, v19
	v_lshl_or_b32 v39, v34, 16, v19
	v_and_b32_e32 v19, 0xffff, v36
	v_lshl_or_b32 v38, v38, 16, v19
	;; [unrolled: 2-line block ×3, first 2 shown]
	v_and_b32_e32 v19, 0xffff, v42
	s_waitcnt vmcnt(0)
	;;#ASMSTART
	v_pk_mul_f16 v2, v39, v2;

	;;#ASMEND
	v_lshl_or_b32 v34, v43, 16, v19
	;;#ASMSTART
	v_pk_mul_f16 v3, v38, v3;

	;;#ASMEND
	;;#ASMSTART
	v_pk_mul_f16 v4, v36, v4;

	;;#ASMEND
	;; [unrolled: 4-line block ×3, first 2 shown]
	s_nop 0
	;;#ASMSTART
	v_pk_add_f16 v2, v2, v3;

	;;#ASMEND
	s_nop 0
	;;#ASMSTART
	v_pk_add_f16 v2, v2, v4;

	;;#ASMEND
	;; [unrolled: 5-line block ×3, first 2 shown]
	s_nop 0
	v_lshrrev_b32_e32 v3, 16, v2
	v_and_b32_e32 v2, 0xffff, v2
	;;#ASMSTART
	v_cvt_f32_f16 v40, v2;
	;;#ASMEND
	;;#ASMSTART
	v_cvt_f32_f16 v41, v3;
	;;#ASMEND
	global_load_dwordx4 v[2:5], v[22:23], off offset:1024
	s_and_saveexec_b64 s[12:13], vcc
	s_cbranch_execz .LBB88_44
; %bb.43:                               ;   in Loop: Header=BB88_40 Depth=1
	s_waitcnt vmcnt(0)
	v_lshrrev_b32_e32 v19, 16, v5
	v_cmp_gt_i32_e64 s[0:1], s30, v37
	s_nop 1
	v_cndmask_b32_e64 v19, 0, v19, s[0:1]
	v_cmp_gt_i32_e64 s[0:1], s29, v35
	s_nop 1
	v_cndmask_b32_e64 v5, 0, v5, s[0:1]
	v_perm_b32 v5, v19, v5, s20
	v_lshrrev_b32_e32 v19, 16, v4
	v_cmp_gt_i32_e64 s[0:1], s28, v33
	s_nop 1
	v_cndmask_b32_e64 v19, 0, v19, s[0:1]
	v_cmp_gt_i32_e64 s[0:1], s27, v32
	s_nop 1
	v_cndmask_b32_e64 v4, 0, v4, s[0:1]
	v_perm_b32 v4, v19, v4, s20
	;; [unrolled: 8-line block ×4, first 2 shown]
.LBB88_44:                              ;   in Loop: Header=BB88_40 Depth=1
	s_or_b64 exec, exec, s[12:13]
	s_waitcnt vmcnt(0)
	;;#ASMSTART
	v_pk_mul_f16 v2, v39, v2;

	;;#ASMEND
	;;#ASMSTART
	v_pk_mul_f16 v3, v38, v3;

	;;#ASMEND
	;; [unrolled: 4-line block ×4, first 2 shown]
	s_nop 0
	;;#ASMSTART
	v_pk_add_f16 v2, v2, v3;

	;;#ASMEND
	s_nop 0
	;;#ASMSTART
	v_pk_add_f16 v2, v2, v4;

	;;#ASMEND
	;; [unrolled: 5-line block ×3, first 2 shown]
	s_nop 0
	v_lshrrev_b32_e32 v3, 16, v2
	v_and_b32_e32 v2, 0xffff, v2
	;;#ASMSTART
	v_cvt_f32_f16 v42, v2;
	;;#ASMEND
	;;#ASMSTART
	v_cvt_f32_f16 v43, v3;
	;;#ASMEND
	global_load_dwordx4 v[2:5], v[22:23], off offset:2048
	s_and_saveexec_b64 s[12:13], vcc
	s_cbranch_execz .LBB88_46
; %bb.45:                               ;   in Loop: Header=BB88_40 Depth=1
	s_waitcnt vmcnt(0)
	v_lshrrev_b32_e32 v19, 16, v5
	v_cmp_gt_i32_e64 s[0:1], s30, v37
	s_nop 1
	v_cndmask_b32_e64 v19, 0, v19, s[0:1]
	v_cmp_gt_i32_e64 s[0:1], s29, v35
	s_nop 1
	v_cndmask_b32_e64 v5, 0, v5, s[0:1]
	v_perm_b32 v5, v19, v5, s20
	v_lshrrev_b32_e32 v19, 16, v4
	v_cmp_gt_i32_e64 s[0:1], s28, v33
	s_nop 1
	v_cndmask_b32_e64 v19, 0, v19, s[0:1]
	v_cmp_gt_i32_e64 s[0:1], s27, v32
	s_nop 1
	v_cndmask_b32_e64 v4, 0, v4, s[0:1]
	v_perm_b32 v4, v19, v4, s20
	v_lshrrev_b32_e32 v19, 16, v3
	v_cmp_gt_i32_e64 s[0:1], s25, v31
	s_nop 1
	v_cndmask_b32_e64 v19, 0, v19, s[0:1]
	v_cmp_gt_i32_e64 s[0:1], s24, v30
	s_nop 1
	v_cndmask_b32_e64 v3, 0, v3, s[0:1]
	v_perm_b32 v3, v19, v3, s20
	v_lshrrev_b32_e32 v19, 16, v2
	v_cmp_gt_i32_e64 s[0:1], s15, v29
	s_nop 1
	v_cndmask_b32_e64 v19, 0, v19, s[0:1]
	v_cmp_gt_i32_e64 s[0:1], s33, v27
	s_nop 1
	v_cndmask_b32_e64 v2, 0, v2, s[0:1]
	v_perm_b32 v2, v19, v2, s20
.LBB88_46:                              ;   in Loop: Header=BB88_40 Depth=1
	s_or_b64 exec, exec, s[12:13]
	s_waitcnt vmcnt(0)
	;;#ASMSTART
	v_pk_mul_f16 v2, v39, v2;

	;;#ASMEND
	;;#ASMSTART
	v_pk_mul_f16 v3, v38, v3;

	;;#ASMEND
	;;#ASMSTART
	v_pk_mul_f16 v4, v36, v4;

	;;#ASMEND
	;;#ASMSTART
	v_pk_mul_f16 v5, v34, v5;

	;;#ASMEND
	s_nop 0
	;;#ASMSTART
	v_pk_add_f16 v2, v2, v3;

	;;#ASMEND
	s_nop 0
	;;#ASMSTART
	v_pk_add_f16 v2, v2, v4;

	;;#ASMEND
	;; [unrolled: 5-line block ×3, first 2 shown]
	s_nop 0
	v_lshrrev_b32_e32 v3, 16, v2
	v_and_b32_e32 v2, 0xffff, v2
	;;#ASMSTART
	v_cvt_f32_f16 v44, v2;
	;;#ASMEND
	;;#ASMSTART
	v_cvt_f32_f16 v45, v3;
	;;#ASMEND
	global_load_dwordx4 v[2:5], v[22:23], off offset:3072
	s_and_saveexec_b64 s[12:13], vcc
	s_cbranch_execz .LBB88_48
; %bb.47:                               ;   in Loop: Header=BB88_40 Depth=1
	s_waitcnt vmcnt(0)
	v_lshrrev_b32_e32 v19, 16, v5
	v_cmp_gt_i32_e64 s[0:1], s30, v37
	s_nop 1
	v_cndmask_b32_e64 v19, 0, v19, s[0:1]
	v_cmp_gt_i32_e64 s[0:1], s29, v35
	s_nop 1
	v_cndmask_b32_e64 v5, 0, v5, s[0:1]
	v_perm_b32 v5, v19, v5, s20
	v_lshrrev_b32_e32 v19, 16, v4
	v_cmp_gt_i32_e64 s[0:1], s28, v33
	s_nop 1
	v_cndmask_b32_e64 v19, 0, v19, s[0:1]
	v_cmp_gt_i32_e64 s[0:1], s27, v32
	s_nop 1
	v_cndmask_b32_e64 v4, 0, v4, s[0:1]
	v_perm_b32 v4, v19, v4, s20
	v_lshrrev_b32_e32 v19, 16, v3
	v_cmp_gt_i32_e64 s[0:1], s25, v31
	s_nop 1
	v_cndmask_b32_e64 v19, 0, v19, s[0:1]
	v_cmp_gt_i32_e64 s[0:1], s24, v30
	s_nop 1
	v_cndmask_b32_e64 v3, 0, v3, s[0:1]
	v_perm_b32 v3, v19, v3, s20
	v_lshrrev_b32_e32 v19, 16, v2
	v_cmp_gt_i32_e64 s[0:1], s15, v29
	s_nop 1
	v_cndmask_b32_e64 v19, 0, v19, s[0:1]
	v_cmp_gt_i32_e64 s[0:1], s33, v27
	s_nop 1
	v_cndmask_b32_e64 v2, 0, v2, s[0:1]
	v_perm_b32 v2, v19, v2, s20
.LBB88_48:                              ;   in Loop: Header=BB88_40 Depth=1
	s_or_b64 exec, exec, s[12:13]
	s_waitcnt vmcnt(0)
	;;#ASMSTART
	v_pk_mul_f16 v2, v39, v2;

	;;#ASMEND
	;;#ASMSTART
	v_pk_mul_f16 v3, v38, v3;

	;;#ASMEND
	;; [unrolled: 4-line block ×4, first 2 shown]
	s_nop 0
	;;#ASMSTART
	v_pk_add_f16 v2, v2, v3;

	;;#ASMEND
	s_nop 0
	;;#ASMSTART
	v_pk_add_f16 v2, v2, v4;

	;;#ASMEND
	;; [unrolled: 5-line block ×3, first 2 shown]
	s_nop 0
	v_lshrrev_b32_e32 v3, 16, v2
	v_and_b32_e32 v2, 0xffff, v2
	;;#ASMSTART
	v_cvt_f32_f16 v22, v2;
	;;#ASMEND
	;;#ASMSTART
	v_cvt_f32_f16 v23, v3;
	;;#ASMEND
	v_lshl_add_u64 v[2:3], v[20:21], 0, v[12:13]
	global_load_dwordx4 v[2:5], v[2:3], off
	s_and_saveexec_b64 s[12:13], vcc
	s_cbranch_execz .LBB88_50
; %bb.49:                               ;   in Loop: Header=BB88_40 Depth=1
	s_waitcnt vmcnt(0)
	v_lshrrev_b32_e32 v19, 16, v5
	v_cmp_gt_i32_e64 s[0:1], s30, v37
	s_nop 1
	v_cndmask_b32_e64 v19, 0, v19, s[0:1]
	v_cmp_gt_i32_e64 s[0:1], s29, v35
	s_nop 1
	v_cndmask_b32_e64 v5, 0, v5, s[0:1]
	v_perm_b32 v5, v19, v5, s20
	v_lshrrev_b32_e32 v19, 16, v4
	v_cmp_gt_i32_e64 s[0:1], s28, v33
	s_nop 1
	v_cndmask_b32_e64 v19, 0, v19, s[0:1]
	v_cmp_gt_i32_e64 s[0:1], s27, v32
	s_nop 1
	v_cndmask_b32_e64 v4, 0, v4, s[0:1]
	v_perm_b32 v4, v19, v4, s20
	;; [unrolled: 8-line block ×4, first 2 shown]
.LBB88_50:                              ;   in Loop: Header=BB88_40 Depth=1
	s_or_b64 exec, exec, s[12:13]
	s_waitcnt vmcnt(0)
	;;#ASMSTART
	v_pk_mul_f16 v2, v39, v2;

	;;#ASMEND
	;;#ASMSTART
	v_pk_mul_f16 v3, v38, v3;

	;;#ASMEND
	;; [unrolled: 4-line block ×4, first 2 shown]
	v_mov_b32_e32 v19, v13
	;;#ASMSTART
	v_pk_add_f16 v2, v2, v3;

	;;#ASMEND
	s_nop 0
	;;#ASMSTART
	v_pk_add_f16 v2, v2, v4;

	;;#ASMEND
	s_nop 0
	;; [unrolled: 5-line block ×3, first 2 shown]
	v_lshrrev_b32_e32 v3, 16, v2
	v_and_b32_e32 v2, 0xffff, v2
	;;#ASMSTART
	v_cvt_f32_f16 v46, v2;
	;;#ASMEND
	;;#ASMSTART
	v_cvt_f32_f16 v47, v3;
	;;#ASMEND
	v_lshl_add_u64 v[2:3], v[20:21], 0, v[18:19]
	global_load_dwordx4 v[2:5], v[2:3], off
	s_and_saveexec_b64 s[0:1], vcc
	s_cbranch_execz .LBB88_39
; %bb.51:                               ;   in Loop: Header=BB88_40 Depth=1
	s_waitcnt vmcnt(0)
	v_lshrrev_b32_e32 v19, 16, v5
	v_cmp_gt_i32_e32 vcc, s30, v37
	s_nop 1
	v_cndmask_b32_e32 v19, 0, v19, vcc
	v_cmp_gt_i32_e32 vcc, s29, v35
	s_nop 1
	v_cndmask_b32_e32 v5, 0, v5, vcc
	v_perm_b32 v5, v19, v5, s20
	v_lshrrev_b32_e32 v19, 16, v4
	v_cmp_gt_i32_e32 vcc, s28, v33
	s_nop 1
	v_cndmask_b32_e32 v19, 0, v19, vcc
	v_cmp_gt_i32_e32 vcc, s27, v32
	s_nop 1
	v_cndmask_b32_e32 v4, 0, v4, vcc
	v_perm_b32 v4, v19, v4, s20
	;; [unrolled: 8-line block ×4, first 2 shown]
	s_branch .LBB88_39
.LBB88_52:
	s_or_b64 exec, exec, s[8:9]
.LBB88_53:
	s_or_b64 exec, exec, s[2:3]
	ds_bpermute_b32 v2, v25, v10
	ds_bpermute_b32 v3, v25, v11
	;; [unrolled: 1-line block ×6, first 2 shown]
	v_and_b32_e32 v1, 0x3c1, v0
	s_waitcnt lgkmcnt(4)
	v_pk_add_f32 v[10:11], v[10:11], v[2:3]
	s_waitcnt lgkmcnt(2)
	v_pk_add_f32 v[4:5], v[8:9], v[4:5]
	v_cmp_eq_u32_e32 vcc, 64, v1
	s_waitcnt lgkmcnt(0)
	v_pk_add_f32 v[2:3], v[6:7], v[12:13]
	s_barrier
	s_and_saveexec_b64 s[0:1], vcc
	s_cbranch_execz .LBB88_55
; %bb.54:
	v_mov_b32_e32 v6, 0x190
	v_lshl_add_u32 v6, v24, 1, v6
	ds_write2_b32 v6, v10, v11 offset1:32
	ds_write2_b32 v6, v4, v5 offset0:64 offset1:96
	ds_write2_b32 v6, v2, v3 offset0:128 offset1:160
.LBB88_55:
	s_or_b64 exec, exec, s[0:1]
	v_cmp_gt_u32_e32 vcc, 64, v0
	s_waitcnt lgkmcnt(0)
	s_barrier
	s_and_saveexec_b64 s[0:1], vcc
	s_cbranch_execz .LBB88_64
; %bb.56:
	v_cmp_eq_u32_e32 vcc, 0, v26
	v_lshrrev_b32_e32 v6, 1, v0
	s_and_saveexec_b64 s[2:3], vcc
	s_cbranch_execnz .LBB88_67
; %bb.57:
	s_or_b64 exec, exec, s[2:3]
	s_and_saveexec_b64 s[2:3], vcc
	s_cbranch_execnz .LBB88_68
.LBB88_58:
	s_or_b64 exec, exec, s[2:3]
	s_and_saveexec_b64 s[2:3], vcc
	s_cbranch_execnz .LBB88_69
.LBB88_59:
	s_or_b64 exec, exec, s[2:3]
	s_and_saveexec_b64 s[2:3], vcc
	s_cbranch_execnz .LBB88_70
.LBB88_60:
	s_or_b64 exec, exec, s[2:3]
	s_and_saveexec_b64 s[2:3], vcc
	s_cbranch_execnz .LBB88_71
.LBB88_61:
	s_or_b64 exec, exec, s[2:3]
	s_and_saveexec_b64 s[2:3], vcc
	s_cbranch_execz .LBB88_63
.LBB88_62:
	v_mov_b32_e32 v7, 0x190
	v_lshl_add_u32 v6, v6, 2, v7
	ds_read_b32 v6, v6 offset:640
	s_waitcnt lgkmcnt(0)
	v_add_f32_e32 v3, v3, v6
.LBB88_63:
	s_or_b64 exec, exec, s[2:3]
.LBB88_64:
	s_or_b64 exec, exec, s[0:1]
	v_cmp_eq_u32_e32 vcc, 0, v1
	s_barrier
	s_and_saveexec_b64 s[0:1], vcc
	s_cbranch_execz .LBB88_66
; %bb.65:
	s_mul_i32 s0, s10, s11
	s_mul_i32 s0, s0, s5
	s_mulk_i32 s0, 0xc0
	s_ashr_i32 s1, s0, 31
	s_lshl_b64 s[0:1], s[0:1], 1
	s_add_u32 s2, s18, s0
	s_mul_i32 s0, s11, s16
	s_addc_u32 s3, s19, s1
	s_ashr_i32 s1, s0, 31
	s_lshl_b64 s[0:1], s[0:1], 1
	s_add_u32 s2, s2, s0
	s_mul_i32 s0, s4, 0xc0
	s_addc_u32 s3, s3, s1
	s_ashr_i32 s1, s0, 31
	s_lshl_b64 s[0:1], s[0:1], 1
	s_add_u32 s0, s2, s0
	s_addc_u32 s1, s3, s1
	;;#ASMSTART
	v_cvt_f16_f32 v1, v10;

	;;#ASMEND
	global_store_short v0, v1, s[0:1]
	;;#ASMSTART
	v_cvt_f16_f32 v1, v11;

	;;#ASMEND
	global_store_short v0, v1, s[0:1] offset:64
	;;#ASMSTART
	v_cvt_f16_f32 v1, v4;

	;;#ASMEND
	global_store_short v0, v1, s[0:1] offset:128
	;; [unrolled: 5-line block ×5, first 2 shown]
.LBB88_66:
	s_endpgm
.LBB88_67:
	v_mov_b32_e32 v7, 0x190
	v_lshl_add_u32 v7, v6, 2, v7
	ds_read_b32 v7, v7
	s_waitcnt lgkmcnt(0)
	v_add_f32_e32 v10, v10, v7
	s_or_b64 exec, exec, s[2:3]
	s_and_saveexec_b64 s[2:3], vcc
	s_cbranch_execz .LBB88_58
.LBB88_68:
	v_mov_b32_e32 v7, 0x190
	v_lshl_add_u32 v7, v6, 2, v7
	ds_read_b32 v7, v7 offset:128
	s_waitcnt lgkmcnt(0)
	v_add_f32_e32 v11, v11, v7
	s_or_b64 exec, exec, s[2:3]
	s_and_saveexec_b64 s[2:3], vcc
	s_cbranch_execz .LBB88_59
.LBB88_69:
	v_mov_b32_e32 v7, 0x190
	v_lshl_add_u32 v7, v6, 2, v7
	ds_read_b32 v7, v7 offset:256
	s_waitcnt lgkmcnt(0)
	v_add_f32_e32 v4, v4, v7
	s_or_b64 exec, exec, s[2:3]
	s_and_saveexec_b64 s[2:3], vcc
	s_cbranch_execz .LBB88_60
.LBB88_70:
	v_mov_b32_e32 v7, 0x190
	v_lshl_add_u32 v7, v6, 2, v7
	ds_read_b32 v7, v7 offset:384
	s_waitcnt lgkmcnt(0)
	v_add_f32_e32 v5, v5, v7
	s_or_b64 exec, exec, s[2:3]
	s_and_saveexec_b64 s[2:3], vcc
	s_cbranch_execz .LBB88_61
.LBB88_71:
	v_mov_b32_e32 v7, 0x190
	v_lshl_add_u32 v7, v6, 2, v7
	ds_read_b32 v7, v7 offset:512
	s_waitcnt lgkmcnt(0)
	v_add_f32_e32 v2, v2, v7
	s_or_b64 exec, exec, s[2:3]
	s_and_saveexec_b64 s[2:3], vcc
	s_cbranch_execnz .LBB88_62
	s_branch .LBB88_63
	.section	.rodata,"a",@progbits
	.p2align	6, 0x0
	.amdhsa_kernel _ZN4vllm25paged_attention_v1_kernelIttLi192ELi16ELi128ELNS_18Fp8KVCacheDataTypeE0ELb0EEEvPT_PKS2_PKT0_S8_ifPKiSA_iPKfiiiSC_SC_iiiii
		.amdhsa_group_segment_fixed_size 400
		.amdhsa_private_segment_fixed_size 0
		.amdhsa_kernarg_size 384
		.amdhsa_user_sgpr_count 2
		.amdhsa_user_sgpr_dispatch_ptr 0
		.amdhsa_user_sgpr_queue_ptr 0
		.amdhsa_user_sgpr_kernarg_segment_ptr 1
		.amdhsa_user_sgpr_dispatch_id 0
		.amdhsa_user_sgpr_kernarg_preload_length 0
		.amdhsa_user_sgpr_kernarg_preload_offset 0
		.amdhsa_user_sgpr_private_segment_size 0
		.amdhsa_uses_dynamic_stack 0
		.amdhsa_enable_private_segment 0
		.amdhsa_system_sgpr_workgroup_id_x 1
		.amdhsa_system_sgpr_workgroup_id_y 1
		.amdhsa_system_sgpr_workgroup_id_z 1
		.amdhsa_system_sgpr_workgroup_info 0
		.amdhsa_system_vgpr_workitem_id 0
		.amdhsa_next_free_vgpr 60
		.amdhsa_next_free_sgpr 35
		.amdhsa_accum_offset 60
		.amdhsa_reserve_vcc 1
		.amdhsa_float_round_mode_32 0
		.amdhsa_float_round_mode_16_64 0
		.amdhsa_float_denorm_mode_32 3
		.amdhsa_float_denorm_mode_16_64 3
		.amdhsa_dx10_clamp 1
		.amdhsa_ieee_mode 1
		.amdhsa_fp16_overflow 0
		.amdhsa_tg_split 0
		.amdhsa_exception_fp_ieee_invalid_op 0
		.amdhsa_exception_fp_denorm_src 0
		.amdhsa_exception_fp_ieee_div_zero 0
		.amdhsa_exception_fp_ieee_overflow 0
		.amdhsa_exception_fp_ieee_underflow 0
		.amdhsa_exception_fp_ieee_inexact 0
		.amdhsa_exception_int_div_zero 0
	.end_amdhsa_kernel
	.section	.text._ZN4vllm25paged_attention_v1_kernelIttLi192ELi16ELi128ELNS_18Fp8KVCacheDataTypeE0ELb0EEEvPT_PKS2_PKT0_S8_ifPKiSA_iPKfiiiSC_SC_iiiii,"axG",@progbits,_ZN4vllm25paged_attention_v1_kernelIttLi192ELi16ELi128ELNS_18Fp8KVCacheDataTypeE0ELb0EEEvPT_PKS2_PKT0_S8_ifPKiSA_iPKfiiiSC_SC_iiiii,comdat
.Lfunc_end88:
	.size	_ZN4vllm25paged_attention_v1_kernelIttLi192ELi16ELi128ELNS_18Fp8KVCacheDataTypeE0ELb0EEEvPT_PKS2_PKT0_S8_ifPKiSA_iPKfiiiSC_SC_iiiii, .Lfunc_end88-_ZN4vllm25paged_attention_v1_kernelIttLi192ELi16ELi128ELNS_18Fp8KVCacheDataTypeE0ELb0EEEvPT_PKS2_PKT0_S8_ifPKiSA_iPKfiiiSC_SC_iiiii
                                        ; -- End function
	.section	.AMDGPU.csdata,"",@progbits
; Kernel info:
; codeLenInByte = 7724
; NumSgprs: 41
; NumVgprs: 60
; NumAgprs: 0
; TotalNumVgprs: 60
; ScratchSize: 0
; MemoryBound: 0
; FloatMode: 240
; IeeeMode: 1
; LDSByteSize: 400 bytes/workgroup (compile time only)
; SGPRBlocks: 5
; VGPRBlocks: 7
; NumSGPRsForWavesPerEU: 41
; NumVGPRsForWavesPerEU: 60
; AccumOffset: 60
; Occupancy: 8
; WaveLimiterHint : 1
; COMPUTE_PGM_RSRC2:SCRATCH_EN: 0
; COMPUTE_PGM_RSRC2:USER_SGPR: 2
; COMPUTE_PGM_RSRC2:TRAP_HANDLER: 0
; COMPUTE_PGM_RSRC2:TGID_X_EN: 1
; COMPUTE_PGM_RSRC2:TGID_Y_EN: 1
; COMPUTE_PGM_RSRC2:TGID_Z_EN: 1
; COMPUTE_PGM_RSRC2:TIDIG_COMP_CNT: 0
; COMPUTE_PGM_RSRC3_GFX90A:ACCUM_OFFSET: 14
; COMPUTE_PGM_RSRC3_GFX90A:TG_SPLIT: 0
	.section	.text._ZN4vllm25paged_attention_v1_kernelIttLi256ELi16ELi128ELNS_18Fp8KVCacheDataTypeE0ELb0EEEvPT_PKS2_PKT0_S8_ifPKiSA_iPKfiiiSC_SC_iiiii,"axG",@progbits,_ZN4vllm25paged_attention_v1_kernelIttLi256ELi16ELi128ELNS_18Fp8KVCacheDataTypeE0ELb0EEEvPT_PKS2_PKT0_S8_ifPKiSA_iPKfiiiSC_SC_iiiii,comdat
	.protected	_ZN4vllm25paged_attention_v1_kernelIttLi256ELi16ELi128ELNS_18Fp8KVCacheDataTypeE0ELb0EEEvPT_PKS2_PKT0_S8_ifPKiSA_iPKfiiiSC_SC_iiiii ; -- Begin function _ZN4vllm25paged_attention_v1_kernelIttLi256ELi16ELi128ELNS_18Fp8KVCacheDataTypeE0ELb0EEEvPT_PKS2_PKT0_S8_ifPKiSA_iPKfiiiSC_SC_iiiii
	.globl	_ZN4vllm25paged_attention_v1_kernelIttLi256ELi16ELi128ELNS_18Fp8KVCacheDataTypeE0ELb0EEEvPT_PKS2_PKT0_S8_ifPKiSA_iPKfiiiSC_SC_iiiii
	.p2align	8
	.type	_ZN4vllm25paged_attention_v1_kernelIttLi256ELi16ELi128ELNS_18Fp8KVCacheDataTypeE0ELb0EEEvPT_PKS2_PKT0_S8_ifPKiSA_iPKfiiiSC_SC_iiiii,@function
_ZN4vllm25paged_attention_v1_kernelIttLi256ELi16ELi128ELNS_18Fp8KVCacheDataTypeE0ELb0EEEvPT_PKS2_PKT0_S8_ifPKiSA_iPKfiiiSC_SC_iiiii: ; @_ZN4vllm25paged_attention_v1_kernelIttLi256ELi16ELi128ELNS_18Fp8KVCacheDataTypeE0ELb0EEEvPT_PKS2_PKT0_S8_ifPKiSA_iPKfiiiSC_SC_iiiii
; %bb.0:
	s_load_dword s5, s[0:1], 0x80
	s_load_dwordx2 s[6:7], s[0:1], 0x30
	s_load_dwordx2 s[8:9], s[0:1], 0x20
	s_mov_b32 s10, s3
	s_ashr_i32 s11, s3, 31
	s_lshl_b64 s[12:13], s[10:11], 2
	s_waitcnt lgkmcnt(0)
	s_add_u32 s6, s6, s12
	s_addc_u32 s7, s7, s13
	s_abs_i32 s3, s8
	v_cvt_f32_u32_e32 v1, s3
	s_sub_i32 s12, 0, s3
	s_abs_i32 s11, s5
	s_xor_b32 s8, s5, s8
	v_rcp_iflag_f32_e32 v1, v1
	s_ashr_i32 s8, s8, 31
	v_mul_f32_e32 v1, 0x4f7ffffe, v1
	v_cvt_u32_f32_e32 v1, v1
	s_nop 0
	v_readfirstlane_b32 s13, v1
	s_mul_i32 s12, s12, s13
	s_mul_hi_u32 s12, s13, s12
	s_add_i32 s13, s13, s12
	s_mul_hi_u32 s12, s11, s13
	s_mul_i32 s13, s12, s3
	s_sub_i32 s11, s11, s13
	s_add_i32 s13, s12, 1
	s_sub_i32 s14, s11, s3
	s_cmp_ge_u32 s11, s3
	s_cselect_b32 s12, s13, s12
	s_cselect_b32 s11, s14, s11
	s_add_i32 s13, s12, 1
	s_cmp_ge_u32 s11, s3
	s_cselect_b32 s3, s13, s12
	s_xor_b32 s3, s3, s8
	s_sub_i32 s14, s3, s8
	s_abs_i32 s11, s14
	v_cvt_f32_u32_e32 v1, s11
	s_load_dwordx2 s[12:13], s[0:1], 0x40
	s_sub_i32 s3, 0, s11
	s_abs_i32 s18, s2
	v_rcp_iflag_f32_e32 v1, v1
	s_mov_b32 s8, 0
	v_mul_f32_e32 v1, 0x4f7ffffe, v1
	v_cvt_u32_f32_e32 v1, v1
	s_nop 0
	v_readfirstlane_b32 s15, v1
	s_mul_i32 s3, s3, s15
	s_mul_hi_u32 s3, s15, s3
	s_add_i32 s15, s15, s3
	s_waitcnt lgkmcnt(0)
	s_cmp_eq_u64 s[12:13], 0
	s_mul_hi_u32 s19, s18, s15
	s_cbranch_scc1 .LBB89_2
; %bb.1:
	s_ashr_i32 s3, s2, 31
	s_lshl_b64 s[16:17], s[2:3], 2
	s_add_u32 s12, s12, s16
	s_addc_u32 s13, s13, s17
	s_load_dword s8, s[12:13], 0x0
.LBB89_2:
	s_load_dword s33, s[6:7], 0x0
	s_ashr_i32 s7, s14, 31
	s_load_dwordx4 s[12:15], s[0:1], 0x48
	s_ashr_i32 s6, s2, 31
	s_lshl_b32 s16, s2, 8
	s_movk_i32 s2, 0x80
	v_and_b32_e32 v4, 3, v0
	v_cmp_gt_u32_e32 vcc, s2, v0
	s_and_saveexec_b64 s[2:3], vcc
	s_cbranch_execz .LBB89_4
; %bb.3:
	s_load_dwordx2 s[20:21], s[0:1], 0x8
	s_waitcnt lgkmcnt(0)
	s_mul_i32 s22, s10, s12
	s_ashr_i32 s23, s22, 31
	s_lshl_b64 s[22:23], s[22:23], 1
	v_lshlrev_b32_e32 v1, 2, v0
	s_add_u32 s12, s20, s22
	s_addc_u32 s15, s21, s23
	s_ashr_i32 s17, s16, 31
	s_lshl_b64 s[20:21], s[16:17], 1
	s_add_u32 s20, s12, s20
	s_addc_u32 s21, s15, s21
	global_load_dword v1, v1, s[20:21]
	v_and_b32_e32 v2, 0x3fc, v0
	v_lshl_add_u32 v2, v4, 7, v2
	s_waitcnt vmcnt(0)
	ds_write_b32 v2, v1
.LBB89_4:
	s_or_b64 exec, exec, s[2:3]
	s_waitcnt lgkmcnt(0)
	s_add_i32 s3, s33, 15
	s_ashr_i32 s12, s3, 31
	s_lshr_b32 s12, s12, 28
	s_add_i32 s3, s3, s12
	s_ashr_i32 s17, s3, 4
	s_xor_b32 s3, s6, s7
	s_mul_i32 s6, s19, s11
	s_sub_i32 s6, s18, s6
	s_add_i32 s7, s19, 1
	s_sub_i32 s12, s6, s11
	s_load_dwordx2 s[20:21], s[0:1], 0x28
	s_load_dword s2, s[0:1], 0x38
	s_cmp_ge_u32 s6, s11
	s_cselect_b32 s7, s7, s19
	s_cselect_b32 s6, s12, s6
	s_add_i32 s12, s7, 1
	s_cmp_ge_u32 s6, s11
	s_cselect_b32 s6, s12, s7
	v_lshrrev_b32_e32 v1, 6, v0
	s_xor_b32 s6, s6, s3
	s_waitcnt lgkmcnt(0)
	s_mul_i32 s22, s10, s2
	s_sub_i32 s12, s6, s3
	s_ashr_i32 s23, s22, 31
	v_cmp_gt_i32_e64 s[6:7], s17, v1
	v_cmp_le_i32_e32 vcc, s17, v1
	v_mbcnt_lo_u32_b32 v12, -1, 0
	s_barrier
	s_waitcnt lgkmcnt(0)
                                        ; implicit-def: $sgpr15
                                        ; implicit-def: $vgpr6
                                        ; implicit-def: $vgpr7
	s_and_saveexec_b64 s[2:3], vcc
	s_xor_b64 s[2:3], exec, s[2:3]
; %bb.5:
	v_mbcnt_hi_u32_b32 v6, -1, v12
	v_and_b32_e32 v2, 64, v6
	v_add_u32_e32 v7, 64, v2
	s_mov_b32 s15, 0xff7fffff
                                        ; implicit-def: $vgpr4
                                        ; implicit-def: $vgpr12
; %bb.6:
	s_or_saveexec_b64 s[26:27], s[2:3]
	s_load_dwordx2 s[18:19], s[0:1], 0x0
	s_load_dwordx2 s[24:25], s[0:1], 0x18
	s_load_dword s11, s[0:1], 0x88
	v_mov_b32_e32 v8, s15
	s_mul_i32 s14, s12, s14
	v_lshrrev_b32_e32 v14, 4, v0
	s_xor_b64 exec, exec, s[26:27]
	s_cbranch_execz .LBB89_12
; %bb.7:
	s_load_dwordx2 s[0:1], s[0:1], 0x10
	s_ashr_i32 s15, s14, 31
	s_lshl_b64 s[2:3], s[14:15], 1
	v_bfe_u32 v5, v0, 2, 4
	v_lshlrev_b32_e32 v6, 4, v5
	s_waitcnt lgkmcnt(0)
	s_add_u32 s0, s0, s2
	s_addc_u32 s1, s1, s3
	v_mov_b32_e32 v7, 0
	v_lshl_add_u64 v[2:3], s[0:1], 0, v[6:7]
	v_lshlrev_b32_e32 v6, 2, v0
	s_sub_i32 s15, 1, s33
	s_lshl_b64 s[0:1], s[22:23], 2
	v_and_b32_e32 v6, 12, v6
	v_lshlrev_b32_e32 v9, 7, v4
	v_cmp_eq_u32_e32 vcc, 0, v4
	v_lshlrev_b32_e32 v4, 2, v5
	s_add_u32 s0, s20, s0
	v_lshl_add_u64 v[2:3], v[2:3], 0, v[6:7]
	v_lshl_or_b32 v4, v1, 6, v4
	v_and_b32_e32 v6, 60, v14
	s_addc_u32 s1, s21, s1
	v_lshl_or_b32 v10, v1, 4, v5
	v_add_u32_e32 v11, 0x210, v4
	v_lshl_add_u64 v[4:5], s[0:1], 0, v[6:7]
	v_mbcnt_hi_u32_b32 v6, -1, v12
	v_and_b32_e32 v7, 64, v6
	s_mov_b32 s12, s13
	v_cmp_neq_f32_e64 s[2:3], s8, 0
	s_mov_b64 s[28:29], 0
	v_mov_b32_e32 v8, 0xff7fffff
	s_movk_i32 s34, 0x1000
	v_add_u32_e32 v7, 64, v7
	v_xor_b32_e32 v12, 2, v6
	v_xor_b32_e32 v13, 1, v6
	v_mov_b32_e32 v15, v1
	s_branch .LBB89_9
.LBB89_8:                               ;   in Loop: Header=BB89_9 Depth=1
	s_or_b64 exec, exec, s[30:31]
	v_add_u32_e32 v15, 2, v15
	v_cmp_le_i32_e64 s[0:1], s17, v15
	v_add_u32_e32 v10, 32, v10
	v_add_u32_e32 v11, 0x80, v11
	s_or_b64 s[28:29], s[0:1], s[28:29]
	v_lshl_add_u64 v[4:5], v[4:5], 0, 8
	s_andn2_b64 exec, exec, s[28:29]
	s_cbranch_execz .LBB89_11
.LBB89_9:                               ; =>This Inner Loop Header: Depth=1
	global_load_dword v16, v[4:5], off
	s_waitcnt vmcnt(0) lgkmcnt(0)
	v_mad_i64_i32 v[16:17], s[0:1], v16, s12, 0
	v_lshl_add_u64 v[16:17], v[16:17], 1, v[2:3]
	global_load_dword v22, v[16:17], off
	global_load_dword v24, v[16:17], off offset:256
	global_load_dword v41, v[16:17], off offset:512
	;; [unrolled: 1-line block ×4, first 2 shown]
	ds_read_b32 v18, v9
	global_load_dword v48, v[16:17], off offset:1280
	global_load_dword v49, v[16:17], off offset:1536
	;; [unrolled: 1-line block ×11, first 2 shown]
	v_add_co_u32_e64 v42, s[0:1], s34, v16
	s_waitcnt lgkmcnt(0)
	v_lshrrev_b32_e32 v46, 16, v18
	v_addc_co_u32_e64 v43, s[0:1], 0, v17, s[0:1]
	v_and_b32_e32 v47, 0xffff, v18
	global_load_dword v33, v[42:43], off
	global_load_dword v32, v[42:43], off offset:256
	global_load_dword v31, v[42:43], off offset:512
	;; [unrolled: 1-line block ×15, first 2 shown]
	;;#ASMSTART
	v_cvt_f32_f16 v42, v47;
	;;#ASMEND
	;;#ASMSTART
	v_cvt_f32_f16 v43, v46;
	;;#ASMEND
	v_cmp_lt_i32_e64 s[0:1], v12, v7
	s_waitcnt vmcnt(31)
	v_lshrrev_b32_e32 v46, 16, v22
	v_and_b32_e32 v22, 0xffff, v22
	;;#ASMSTART
	v_cvt_f32_f16 v47, v22;
	;;#ASMEND
	;;#ASMSTART
	v_cvt_f32_f16 v46, v46;
	;;#ASMEND
	ds_read_b32 v22, v9 offset:4
	s_waitcnt vmcnt(30)
	v_lshrrev_b32_e32 v52, 16, v24
	v_and_b32_e32 v24, 0xffff, v24
	s_waitcnt vmcnt(29)
	v_lshrrev_b32_e32 v55, 16, v41
	v_and_b32_e32 v41, 0xffff, v41
	s_waitcnt lgkmcnt(0)
	v_lshrrev_b32_e32 v53, 16, v22
	v_and_b32_e32 v22, 0xffff, v22
	;;#ASMSTART
	v_cvt_f32_f16 v22, v22;
	;;#ASMEND
	;;#ASMSTART
	v_cvt_f32_f16 v53, v53;
	;;#ASMEND
	;; [unrolled: 3-line block ×4, first 2 shown]
	ds_read_b32 v54, v9 offset:8
	s_waitcnt vmcnt(28)
	v_lshrrev_b32_e32 v58, 16, v44
	v_and_b32_e32 v44, 0xffff, v44
	v_mul_f32_e32 v22, v22, v24
	v_fmac_f32_e32 v22, v42, v47
	s_waitcnt lgkmcnt(0)
	v_lshrrev_b32_e32 v56, 16, v54
	v_and_b32_e32 v54, 0xffff, v54
	;;#ASMSTART
	v_cvt_f32_f16 v54, v54;
	;;#ASMEND
	;;#ASMSTART
	v_cvt_f32_f16 v56, v56;
	;;#ASMEND
	;; [unrolled: 3-line block ×4, first 2 shown]
	ds_read_b32 v57, v9 offset:12
	v_fmac_f32_e32 v22, v54, v41
	s_waitcnt vmcnt(25)
	v_lshrrev_b32_e32 v54, 16, v49
	v_and_b32_e32 v49, 0xffff, v49
	s_waitcnt lgkmcnt(0)
	v_lshrrev_b32_e32 v24, 16, v57
	v_and_b32_e32 v57, 0xffff, v57
	;;#ASMSTART
	v_cvt_f32_f16 v57, v57;
	;;#ASMEND
	;;#ASMSTART
	v_cvt_f32_f16 v59, v24;
	;;#ASMEND
	;; [unrolled: 3-line block ×4, first 2 shown]
	ds_read_b32 v60, v9 offset:16
	v_mul_f32_e32 v24, v53, v52
	v_lshrrev_b32_e32 v52, 16, v45
	v_and_b32_e32 v45, 0xffff, v45
	v_fmac_f32_e32 v24, v43, v46
	s_waitcnt lgkmcnt(0)
	v_lshrrev_b32_e32 v42, 16, v60
	v_and_b32_e32 v47, 0xffff, v60
	;;#ASMSTART
	v_cvt_f32_f16 v47, v47;
	;;#ASMEND
	;;#ASMSTART
	v_cvt_f32_f16 v42, v42;
	;;#ASMEND
	;; [unrolled: 3-line block ×4, first 2 shown]
	ds_read_b32 v53, v9 offset:20
	v_lshrrev_b32_e32 v43, 16, v48
	v_and_b32_e32 v46, 0xffff, v48
	v_fmac_f32_e32 v24, v56, v55
	v_fmac_f32_e32 v22, v57, v44
	s_waitcnt lgkmcnt(0)
	v_lshrrev_b32_e32 v41, 16, v53
	v_and_b32_e32 v48, 0xffff, v53
	;;#ASMSTART
	v_cvt_f32_f16 v48, v48;
	;;#ASMEND
	;;#ASMSTART
	v_cvt_f32_f16 v41, v41;
	;;#ASMEND
	;; [unrolled: 3-line block ×4, first 2 shown]
	ds_read_b32 v53, v9 offset:24
	s_waitcnt vmcnt(24)
	v_lshrrev_b32_e32 v44, 16, v50
	v_and_b32_e32 v50, 0xffff, v50
	v_fmac_f32_e32 v24, v59, v58
	s_waitcnt vmcnt(23)
	v_lshrrev_b32_e32 v59, 16, v51
	s_waitcnt lgkmcnt(0)
	v_lshrrev_b32_e32 v55, 16, v53
	v_and_b32_e32 v53, 0xffff, v53
	;;#ASMSTART
	v_cvt_f32_f16 v53, v53;
	;;#ASMEND
	;;#ASMSTART
	v_cvt_f32_f16 v55, v55;
	;;#ASMEND
	;; [unrolled: 3-line block ×4, first 2 shown]
	ds_read_b32 v56, v9 offset:28
	v_and_b32_e32 v51, 0xffff, v51
	v_fmac_f32_e32 v22, v47, v45
	v_fmac_f32_e32 v24, v42, v52
	s_waitcnt vmcnt(22)
	v_lshrrev_b32_e32 v42, 16, v40
	s_waitcnt lgkmcnt(0)
	v_lshrrev_b32_e32 v57, 16, v56
	v_and_b32_e32 v56, 0xffff, v56
	;;#ASMSTART
	v_cvt_f32_f16 v56, v56;
	;;#ASMEND
	;;#ASMSTART
	v_cvt_f32_f16 v57, v57;
	;;#ASMEND
	;;#ASMSTART
	v_cvt_f32_f16 v50, v50;
	;;#ASMEND
	;;#ASMSTART
	v_cvt_f32_f16 v44, v44;
	;;#ASMEND
	ds_read_b32 v58, v9 offset:32
	v_and_b32_e32 v40, 0xffff, v40
	v_fmac_f32_e32 v22, v48, v46
	v_fmac_f32_e32 v24, v41, v43
	;; [unrolled: 1-line block ×3, first 2 shown]
	s_waitcnt lgkmcnt(0)
	v_lshrrev_b32_e32 v45, 16, v58
	v_and_b32_e32 v47, 0xffff, v58
	;;#ASMSTART
	v_cvt_f32_f16 v47, v47;
	;;#ASMEND
	;;#ASMSTART
	v_cvt_f32_f16 v45, v45;
	;;#ASMEND
	;; [unrolled: 3-line block ×4, first 2 shown]
	ds_read_b32 v59, v9 offset:36
	s_waitcnt vmcnt(20)
	v_lshrrev_b32_e32 v49, 16, v38
	v_and_b32_e32 v38, 0xffff, v38
	v_fmac_f32_e32 v24, v55, v54
	v_fmac_f32_e32 v22, v56, v50
	s_waitcnt lgkmcnt(0)
	v_lshrrev_b32_e32 v46, 16, v59
	v_and_b32_e32 v48, 0xffff, v59
	;;#ASMSTART
	v_cvt_f32_f16 v48, v48;
	;;#ASMEND
	;;#ASMSTART
	v_cvt_f32_f16 v46, v46;
	;;#ASMEND
	;; [unrolled: 3-line block ×4, first 2 shown]
	ds_read_b32 v52, v9 offset:40
	v_lshrrev_b32_e32 v59, 16, v39
	v_and_b32_e32 v39, 0xffff, v39
	v_fmac_f32_e32 v24, v57, v44
	s_waitcnt vmcnt(18)
	v_lshrrev_b32_e32 v44, 16, v36
	s_waitcnt lgkmcnt(0)
	v_lshrrev_b32_e32 v41, 16, v52
	v_and_b32_e32 v43, 0xffff, v52
	;;#ASMSTART
	v_cvt_f32_f16 v43, v43;
	;;#ASMEND
	;;#ASMSTART
	v_cvt_f32_f16 v41, v41;
	;;#ASMEND
	;; [unrolled: 3-line block ×4, first 2 shown]
	ds_read_b32 v59, v9 offset:44
	v_and_b32_e32 v36, 0xffff, v36
	v_fmac_f32_e32 v22, v47, v51
	v_fmac_f32_e32 v24, v45, v58
	;; [unrolled: 1-line block ×3, first 2 shown]
	s_waitcnt lgkmcnt(0)
	v_lshrrev_b32_e32 v53, 16, v59
	v_and_b32_e32 v54, 0xffff, v59
	;;#ASMSTART
	v_cvt_f32_f16 v54, v54;
	;;#ASMEND
	;;#ASMSTART
	v_cvt_f32_f16 v53, v53;
	;;#ASMEND
	;; [unrolled: 3-line block ×4, first 2 shown]
	ds_read_b32 v55, v9 offset:48
	v_lshrrev_b32_e32 v59, 16, v37
	v_and_b32_e32 v37, 0xffff, v37
	s_waitcnt vmcnt(16)
	v_lshrrev_b32_e32 v40, 16, v34
	v_and_b32_e32 v34, 0xffff, v34
	s_waitcnt lgkmcnt(0)
	v_lshrrev_b32_e32 v50, 16, v55
	v_and_b32_e32 v55, 0xffff, v55
	;;#ASMSTART
	v_cvt_f32_f16 v55, v55;
	;;#ASMEND
	;;#ASMSTART
	v_cvt_f32_f16 v50, v50;
	;;#ASMEND
	;; [unrolled: 3-line block ×4, first 2 shown]
	ds_read_b32 v59, v9 offset:52
	v_fmac_f32_e32 v24, v46, v42
	v_fmac_f32_e32 v22, v43, v39
	;; [unrolled: 1-line block ×3, first 2 shown]
	s_waitcnt vmcnt(14)
	v_lshrrev_b32_e32 v41, 16, v32
	s_waitcnt lgkmcnt(0)
	v_lshrrev_b32_e32 v47, 16, v59
	v_and_b32_e32 v51, 0xffff, v59
	;;#ASMSTART
	v_cvt_f32_f16 v51, v51;
	;;#ASMEND
	;;#ASMSTART
	v_cvt_f32_f16 v47, v47;
	;;#ASMEND
	;; [unrolled: 3-line block ×4, first 2 shown]
	ds_read_b32 v57, v9 offset:56
	v_lshrrev_b32_e32 v59, 16, v35
	v_and_b32_e32 v35, 0xffff, v35
	v_and_b32_e32 v32, 0xffff, v32
	v_fmac_f32_e32 v22, v54, v38
	s_waitcnt lgkmcnt(0)
	v_lshrrev_b32_e32 v45, 16, v57
	v_and_b32_e32 v57, 0xffff, v57
	;;#ASMSTART
	v_cvt_f32_f16 v57, v57;
	;;#ASMEND
	;;#ASMSTART
	v_cvt_f32_f16 v45, v45;
	;;#ASMEND
	;; [unrolled: 3-line block ×4, first 2 shown]
	ds_read_b32 v59, v9 offset:60
	v_fmac_f32_e32 v24, v53, v49
	v_fmac_f32_e32 v22, v55, v37
	s_waitcnt vmcnt(12)
	v_lshrrev_b32_e32 v37, 16, v30
	v_and_b32_e32 v30, 0xffff, v30
	s_waitcnt lgkmcnt(0)
	v_lshrrev_b32_e32 v42, 16, v59
	v_and_b32_e32 v46, 0xffff, v59
	;;#ASMSTART
	v_cvt_f32_f16 v46, v46;
	;;#ASMEND
	;;#ASMSTART
	v_cvt_f32_f16 v42, v42;
	;;#ASMEND
	;; [unrolled: 3-line block ×4, first 2 shown]
	ds_read_b32 v48, v9 offset:64
	v_lshrrev_b32_e32 v59, 16, v33
	v_and_b32_e32 v33, 0xffff, v33
	v_fmac_f32_e32 v24, v50, v56
	v_fmac_f32_e32 v22, v51, v36
	s_waitcnt lgkmcnt(0)
	v_lshrrev_b32_e32 v39, 16, v48
	v_and_b32_e32 v43, 0xffff, v48
	;;#ASMSTART
	v_cvt_f32_f16 v43, v43;
	;;#ASMEND
	;;#ASMSTART
	v_cvt_f32_f16 v39, v39;
	;;#ASMEND
	;; [unrolled: 3-line block ×4, first 2 shown]
	ds_read_b32 v59, v9 offset:68
	v_fmac_f32_e32 v24, v47, v44
	v_fmac_f32_e32 v22, v57, v35
	;; [unrolled: 1-line block ×4, first 2 shown]
	s_waitcnt lgkmcnt(0)
	v_lshrrev_b32_e32 v38, 16, v59
	v_and_b32_e32 v52, 0xffff, v59
	;;#ASMSTART
	v_cvt_f32_f16 v52, v52;
	;;#ASMEND
	;;#ASMSTART
	v_cvt_f32_f16 v38, v38;
	;;#ASMEND
	;; [unrolled: 3-line block ×4, first 2 shown]
	ds_read_b32 v54, v9 offset:72
	v_lshrrev_b32_e32 v59, 16, v31
	v_and_b32_e32 v31, 0xffff, v31
	s_waitcnt vmcnt(8)
	v_lshrrev_b32_e32 v45, 16, v26
	v_and_b32_e32 v26, 0xffff, v26
	s_waitcnt lgkmcnt(0)
	v_lshrrev_b32_e32 v49, 16, v54
	v_and_b32_e32 v53, 0xffff, v54
	;;#ASMSTART
	v_cvt_f32_f16 v53, v53;
	;;#ASMEND
	;;#ASMSTART
	v_cvt_f32_f16 v49, v49;
	;;#ASMEND
	;; [unrolled: 3-line block ×4, first 2 shown]
	ds_read_b32 v59, v9 offset:76
	v_fmac_f32_e32 v24, v42, v40
	v_fmac_f32_e32 v22, v43, v33
	;; [unrolled: 1-line block ×4, first 2 shown]
	s_waitcnt lgkmcnt(0)
	v_lshrrev_b32_e32 v50, 16, v59
	v_and_b32_e32 v55, 0xffff, v59
	;;#ASMSTART
	v_cvt_f32_f16 v55, v55;
	;;#ASMEND
	;;#ASMSTART
	v_cvt_f32_f16 v50, v50;
	;;#ASMEND
	;; [unrolled: 3-line block ×4, first 2 shown]
	ds_read_b32 v56, v9 offset:80
	v_lshrrev_b32_e32 v59, 16, v29
	v_and_b32_e32 v29, 0xffff, v29
	s_waitcnt vmcnt(6)
	v_lshrrev_b32_e32 v33, 16, v23
	v_and_b32_e32 v23, 0xffff, v23
	s_waitcnt lgkmcnt(0)
	v_lshrrev_b32_e32 v36, 16, v56
	v_and_b32_e32 v44, 0xffff, v56
	;;#ASMSTART
	v_cvt_f32_f16 v44, v44;
	;;#ASMEND
	;;#ASMSTART
	v_cvt_f32_f16 v36, v36;
	;;#ASMEND
	;; [unrolled: 3-line block ×4, first 2 shown]
	ds_read_b32 v51, v9 offset:84
	v_lshrrev_b32_e32 v56, 16, v28
	v_and_b32_e32 v28, 0xffff, v28
	v_lshrrev_b32_e32 v59, 16, v27
	v_and_b32_e32 v27, 0xffff, v27
	s_waitcnt lgkmcnt(0)
	v_lshrrev_b32_e32 v35, 16, v51
	v_and_b32_e32 v51, 0xffff, v51
	;;#ASMSTART
	v_cvt_f32_f16 v51, v51;
	;;#ASMEND
	;;#ASMSTART
	v_cvt_f32_f16 v35, v35;
	;;#ASMEND
	;; [unrolled: 3-line block ×4, first 2 shown]
	ds_read_b32 v57, v9 offset:88
	v_fmac_f32_e32 v22, v53, v31
	v_fmac_f32_e32 v24, v38, v41
	;; [unrolled: 1-line block ×4, first 2 shown]
	s_waitcnt lgkmcnt(0)
	v_lshrrev_b32_e32 v34, 16, v57
	v_and_b32_e32 v46, 0xffff, v57
	;;#ASMSTART
	v_cvt_f32_f16 v46, v46;
	;;#ASMEND
	;;#ASMSTART
	v_cvt_f32_f16 v34, v34;
	;;#ASMEND
	;; [unrolled: 3-line block ×4, first 2 shown]
	ds_read_b32 v58, v9 offset:92
	v_lshrrev_b32_e32 v59, 16, v25
	v_and_b32_e32 v25, 0xffff, v25
	v_fmac_f32_e32 v24, v50, v37
	v_fmac_f32_e32 v22, v44, v29
	s_waitcnt lgkmcnt(0)
	v_lshrrev_b32_e32 v40, 16, v58
	v_and_b32_e32 v42, 0xffff, v58
	;;#ASMSTART
	v_cvt_f32_f16 v42, v42;
	;;#ASMEND
	;;#ASMSTART
	v_cvt_f32_f16 v40, v40;
	;;#ASMEND
	;; [unrolled: 3-line block ×4, first 2 shown]
	ds_read_b32 v58, v9 offset:96
	v_fmac_f32_e32 v24, v36, v47
	s_waitcnt vmcnt(5)
	v_lshrrev_b32_e32 v36, 16, v21
	v_and_b32_e32 v21, 0xffff, v21
	v_fmac_f32_e32 v22, v51, v28
	s_waitcnt lgkmcnt(0)
	v_lshrrev_b32_e32 v39, 16, v58
	v_and_b32_e32 v43, 0xffff, v58
	;;#ASMSTART
	v_cvt_f32_f16 v43, v43;
	;;#ASMEND
	;;#ASMSTART
	v_cvt_f32_f16 v39, v39;
	;;#ASMEND
	;; [unrolled: 3-line block ×4, first 2 shown]
	ds_read_b32 v58, v9 offset:100
	v_fmac_f32_e32 v24, v35, v56
	v_fmac_f32_e32 v22, v46, v27
	;; [unrolled: 1-line block ×3, first 2 shown]
	s_waitcnt vmcnt(4)
	v_lshrrev_b32_e32 v34, 16, v20
	s_waitcnt lgkmcnt(0)
	v_lshrrev_b32_e32 v31, 16, v58
	v_and_b32_e32 v32, 0xffff, v58
	;;#ASMSTART
	v_cvt_f32_f16 v32, v32;
	;;#ASMEND
	;;#ASMSTART
	v_cvt_f32_f16 v31, v31;
	;;#ASMEND
	;; [unrolled: 3-line block ×4, first 2 shown]
	ds_read_b32 v38, v9 offset:104
	v_and_b32_e32 v20, 0xffff, v20
	v_fmac_f32_e32 v22, v42, v26
	v_fmac_f32_e32 v22, v43, v25
	;; [unrolled: 1-line block ×3, first 2 shown]
	s_waitcnt lgkmcnt(0)
	v_lshrrev_b32_e32 v29, 16, v38
	v_and_b32_e32 v30, 0xffff, v38
	;;#ASMSTART
	v_cvt_f32_f16 v30, v30;
	;;#ASMEND
	;;#ASMSTART
	v_cvt_f32_f16 v29, v29;
	;;#ASMEND
	;; [unrolled: 3-line block ×4, first 2 shown]
	ds_read_b32 v37, v9 offset:108
	v_fmac_f32_e32 v24, v39, v48
	v_fmac_f32_e32 v22, v32, v23
	;; [unrolled: 1-line block ×4, first 2 shown]
	s_waitcnt lgkmcnt(0)
	v_lshrrev_b32_e32 v27, 16, v37
	v_and_b32_e32 v28, 0xffff, v37
	;;#ASMSTART
	v_cvt_f32_f16 v28, v28;
	;;#ASMEND
	;;#ASMSTART
	v_cvt_f32_f16 v27, v27;
	;;#ASMEND
	;; [unrolled: 3-line block ×4, first 2 shown]
	ds_read_b32 v35, v9 offset:112
	v_fmac_f32_e32 v24, v29, v36
	s_waitcnt vmcnt(2)
	v_lshrrev_b32_e32 v29, 16, v18
	v_and_b32_e32 v18, 0xffff, v18
	v_fmac_f32_e32 v22, v28, v20
	s_waitcnt lgkmcnt(0)
	v_lshrrev_b32_e32 v25, 16, v35
	v_and_b32_e32 v26, 0xffff, v35
	v_lshrrev_b32_e32 v35, 16, v19
	v_and_b32_e32 v19, 0xffff, v19
	;;#ASMSTART
	v_cvt_f32_f16 v26, v26;
	;;#ASMEND
	;;#ASMSTART
	v_cvt_f32_f16 v25, v25;
	;;#ASMEND
	;; [unrolled: 3-line block ×4, first 2 shown]
	ds_read_b32 v37, v9 offset:116
	v_fmac_f32_e32 v24, v27, v34
	v_fmac_f32_e32 v22, v26, v19
	;; [unrolled: 1-line block ×3, first 2 shown]
	s_waitcnt vmcnt(1)
	v_lshrrev_b32_e32 v25, 16, v17
	s_waitcnt lgkmcnt(0)
	v_lshrrev_b32_e32 v21, 16, v37
	v_and_b32_e32 v23, 0xffff, v37
	;;#ASMSTART
	v_cvt_f32_f16 v23, v23;
	;;#ASMEND
	;;#ASMSTART
	v_cvt_f32_f16 v21, v21;
	;;#ASMEND
	;;#ASMSTART
	v_cvt_f32_f16 v18, v18;
	;;#ASMEND
	;;#ASMSTART
	v_cvt_f32_f16 v29, v29;
	;;#ASMEND
	ds_read_b32 v30, v9 offset:120
	v_and_b32_e32 v17, 0xffff, v17
	v_fmac_f32_e32 v22, v23, v18
	v_fmac_f32_e32 v24, v21, v29
	s_waitcnt lgkmcnt(0)
	v_lshrrev_b32_e32 v19, 16, v30
	v_and_b32_e32 v20, 0xffff, v30
	;;#ASMSTART
	v_cvt_f32_f16 v20, v20;
	;;#ASMEND
	;;#ASMSTART
	v_cvt_f32_f16 v19, v19;
	;;#ASMEND
	;; [unrolled: 3-line block ×4, first 2 shown]
	ds_read_b32 v26, v9 offset:124
	v_fmac_f32_e32 v22, v20, v17
	v_fmac_f32_e32 v24, v19, v25
	s_waitcnt vmcnt(0)
	v_lshrrev_b32_e32 v19, 16, v16
	v_and_b32_e32 v16, 0xffff, v16
	s_waitcnt lgkmcnt(0)
	v_lshrrev_b32_e32 v17, 16, v26
	v_and_b32_e32 v18, 0xffff, v26
	;;#ASMSTART
	v_cvt_f32_f16 v18, v18;
	;;#ASMEND
	;;#ASMSTART
	v_cvt_f32_f16 v17, v17;
	;;#ASMEND
	;; [unrolled: 3-line block ×4, first 2 shown]
	s_nop 0
	v_fmac_f32_e32 v22, v18, v16
	v_fmac_f32_e32 v24, v17, v19
	v_cndmask_b32_e64 v17, v6, v12, s[0:1]
	v_add_f32_e32 v16, v22, v24
	v_lshlrev_b32_e32 v17, 2, v17
	ds_bpermute_b32 v17, v17, v16
	v_cmp_lt_i32_e64 s[0:1], v13, v7
	s_waitcnt lgkmcnt(0)
	v_add_f32_e32 v16, v16, v17
	v_cndmask_b32_e64 v17, v6, v13, s[0:1]
	v_lshlrev_b32_e32 v17, 2, v17
	ds_bpermute_b32 v17, v17, v16
	s_and_saveexec_b64 s[30:31], vcc
	s_cbranch_execz .LBB89_8
; %bb.10:                               ;   in Loop: Header=BB89_9 Depth=1
	v_add_u32_e32 v18, s15, v10
	v_cvt_f32_i32_e32 v18, v18
	s_waitcnt lgkmcnt(0)
	v_add_f32_e32 v16, v16, v17
	v_cmp_gt_i32_e64 s[0:1], s33, v10
	v_max_f32_e32 v17, v8, v8
	v_mul_f32_e32 v18, s8, v18
	v_cndmask_b32_e64 v18, 0, v18, s[2:3]
	v_fmac_f32_e32 v18, s9, v16
	v_cndmask_b32_e64 v16, 0, v18, s[0:1]
	ds_write_b32 v11, v16
	v_max_f32_e32 v16, v17, v18
	v_cndmask_b32_e64 v8, v8, v16, s[0:1]
	s_branch .LBB89_8
.LBB89_11:
	s_or_b64 exec, exec, s[28:29]
.LBB89_12:
	s_or_b64 exec, exec, s[26:27]
	v_xor_b32_e32 v2, 32, v6
	v_cmp_lt_i32_e32 vcc, v2, v7
	v_xor_b32_e32 v5, 16, v6
	v_max_f32_e32 v4, v8, v8
	v_cndmask_b32_e32 v2, v6, v2, vcc
	v_lshlrev_b32_e32 v2, 2, v2
	ds_bpermute_b32 v3, v2, v8
	v_cmp_lt_i32_e32 vcc, v5, v7
	v_xor_b32_e32 v8, 8, v6
	v_xor_b32_e32 v9, 4, v6
	v_and_b32_e32 v30, 63, v0
	s_waitcnt lgkmcnt(0)
	v_max_f32_e32 v3, v3, v3
	v_max_f32_e32 v4, v4, v3
	v_cndmask_b32_e32 v3, v6, v5, vcc
	v_lshlrev_b32_e32 v3, 2, v3
	ds_bpermute_b32 v5, v3, v4
	v_cmp_lt_i32_e32 vcc, v8, v7
	s_waitcnt lgkmcnt(0)
	v_max_f32_e32 v5, v5, v5
	v_max_f32_e32 v4, v4, v5
	v_cndmask_b32_e32 v5, v6, v8, vcc
	v_lshlrev_b32_e32 v8, 2, v5
	ds_bpermute_b32 v5, v8, v4
	v_cmp_lt_i32_e32 vcc, v9, v7
	s_waitcnt lgkmcnt(0)
	v_max_f32_e32 v5, v5, v5
	v_max_f32_e32 v5, v4, v5
	v_cndmask_b32_e32 v4, v6, v9, vcc
	v_lshlrev_b32_e32 v9, 2, v4
	ds_bpermute_b32 v10, v9, v5
	v_cmp_eq_u32_e32 vcc, 0, v30
	v_lshlrev_b32_e32 v4, 2, v1
	s_and_saveexec_b64 s[0:1], vcc
	s_cbranch_execz .LBB89_14
; %bb.13:
	s_waitcnt lgkmcnt(0)
	v_max_f32_e32 v10, v10, v10
	v_max_f32_e32 v5, v5, v5
	;; [unrolled: 1-line block ×3, first 2 shown]
	ds_write_b32 v4, v5 offset:512
.LBB89_14:
	s_or_b64 exec, exec, s[0:1]
	v_cmp_gt_u32_e64 s[0:1], 2, v30
	s_waitcnt lgkmcnt(0)
	v_mov_b32_e32 v10, 0xff7fffff
	v_lshlrev_b32_e32 v5, 2, v30
	s_barrier
	s_and_saveexec_b64 s[2:3], s[0:1]
	s_cbranch_execz .LBB89_16
; %bb.15:
	ds_read_b32 v10, v5 offset:512
.LBB89_16:
	s_or_b64 exec, exec, s[2:3]
	v_xor_b32_e32 v11, 1, v6
	v_cmp_lt_i32_e64 s[2:3], v11, v7
	v_lshlrev_b32_e32 v12, 2, v6
	s_nop 0
	v_cndmask_b32_e64 v11, v6, v11, s[2:3]
	v_lshlrev_b32_e32 v31, 2, v11
	s_waitcnt lgkmcnt(0)
	ds_bpermute_b32 v11, v31, v10
	v_max_f32_e32 v10, v10, v10
	s_lshl_b32 s2, s17, 4
	s_min_i32 s12, s2, s33
	v_cmp_gt_i32_e64 s[2:3], s12, v0
	s_waitcnt lgkmcnt(0)
	v_max_f32_e32 v11, v11, v11
	v_max_f32_e32 v11, v10, v11
	v_and_b32_e32 v10, 0xffffff00, v12
	ds_bpermute_b32 v12, v10, v11
	v_mov_b32_e32 v11, 0
	s_and_saveexec_b64 s[26:27], s[2:3]
	s_cbranch_execz .LBB89_20
; %bb.17:
	v_mov_b32_e32 v11, 0x210
	v_lshl_add_u32 v13, v0, 2, v11
	s_mov_b64 s[28:29], 0
	v_mov_b32_e32 v11, 0
	v_mov_b32_e32 v15, v0
.LBB89_18:                              ; =>This Inner Loop Header: Depth=1
	ds_read_b32 v16, v13
	v_add_u32_e32 v15, 0x80, v15
	v_cmp_le_i32_e64 s[8:9], s12, v15
	s_or_b64 s[28:29], s[8:9], s[28:29]
	s_waitcnt lgkmcnt(0)
	v_sub_f32_e32 v16, v16, v12
	v_mul_f32_e32 v16, 0x3fb8aa3b, v16
	v_exp_f32_e32 v16, v16
	ds_write_b32 v13, v16
	v_add_f32_e32 v11, v11, v16
	v_add_u32_e32 v13, 0x200, v13
	s_andn2_b64 exec, exec, s[28:29]
	s_cbranch_execnz .LBB89_18
; %bb.19:
	s_or_b64 exec, exec, s[28:29]
.LBB89_20:
	s_or_b64 exec, exec, s[26:27]
	ds_bpermute_b32 v2, v2, v11
	s_waitcnt lgkmcnt(0)
	v_add_f32_e32 v2, v11, v2
	ds_bpermute_b32 v3, v3, v2
	s_waitcnt lgkmcnt(0)
	v_add_f32_e32 v2, v2, v3
	ds_bpermute_b32 v3, v8, v2
	v_xor_b32_e32 v8, 2, v6
	v_cmp_lt_i32_e64 s[8:9], v8, v7
	s_waitcnt lgkmcnt(0)
	v_add_f32_e32 v2, v2, v3
	ds_bpermute_b32 v3, v9, v2
	v_cndmask_b32_e64 v6, v6, v8, s[8:9]
	s_waitcnt lgkmcnt(0)
	v_add_f32_e32 v2, v2, v3
	v_lshlrev_b32_e32 v3, 2, v6
	ds_bpermute_b32 v3, v3, v2
	s_waitcnt lgkmcnt(0)
	v_add_f32_e32 v2, v2, v3
	ds_bpermute_b32 v3, v31, v2
	s_waitcnt lgkmcnt(0)
	v_add_f32_e32 v2, v2, v3
	s_and_saveexec_b64 s[8:9], vcc
	s_cbranch_execz .LBB89_22
; %bb.21:
	ds_write_b32 v4, v2 offset:520
.LBB89_22:
	s_or_b64 exec, exec, s[8:9]
	s_waitcnt lgkmcnt(0)
	s_barrier
	s_and_saveexec_b64 s[8:9], s[0:1]
	s_cbranch_execz .LBB89_24
; %bb.23:
	ds_read_b32 v2, v5 offset:520
.LBB89_24:
	s_or_b64 exec, exec, s[8:9]
	s_waitcnt lgkmcnt(0)
	ds_bpermute_b32 v3, v31, v2
	s_waitcnt lgkmcnt(0)
	v_add_f32_e32 v2, v2, v3
	ds_bpermute_b32 v2, v10, v2
	s_and_saveexec_b64 s[0:1], s[2:3]
	s_cbranch_execz .LBB89_37
; %bb.25:
	s_waitcnt lgkmcnt(0)
	v_add_f32_e32 v2, 0x358637bd, v2
	v_div_scale_f32 v3, s[2:3], v2, v2, 1.0
	v_rcp_f32_e32 v4, v3
	v_div_scale_f32 v5, vcc, 1.0, v2, 1.0
	s_movk_i32 s2, 0x7f
	v_fma_f32 v6, -v3, v4, 1.0
	v_fmac_f32_e32 v4, v6, v4
	v_mul_f32_e32 v6, v5, v4
	v_fma_f32 v7, -v3, v6, v5
	v_fmac_f32_e32 v6, v7, v4
	v_fma_f32 v3, -v3, v6, v5
	v_div_fmas_f32 v3, v3, v4, v6
	v_xad_u32 v4, v0, -1, s12
	v_div_fixup_f32 v2, v3, v2, 1.0
	v_cmp_lt_u32_e32 vcc, s2, v4
	s_mov_b64 s[8:9], -1
	v_mov_b32_e32 v3, v0
	s_and_saveexec_b64 s[2:3], vcc
	s_cbranch_execz .LBB89_34
; %bb.26:
	v_lshrrev_b32_e32 v4, 7, v4
	v_add_u32_e32 v6, -1, v4
	v_lshrrev_b32_e32 v5, 1, v6
	v_mov_b32_e32 v3, v2
	v_add_u32_e32 v5, 1, v5
	v_cmp_lt_u32_e32 vcc, 13, v6
	v_mov_b32_e32 v8, 0
	s_and_saveexec_b64 s[8:9], vcc
	s_cbranch_execz .LBB89_30
; %bb.27:
	v_mov_b32_e32 v7, 0x210
	v_and_b32_e32 v6, -8, v5
	v_lshl_add_u32 v7, v0, 2, v7
	s_mov_b32 s15, 0
	s_mov_b64 s[26:27], 0
.LBB89_28:                              ; =>This Inner Loop Header: Depth=1
	ds_read2st64_b32 v[8:9], v7 offset1:2
	ds_read2st64_b32 v[10:11], v7 offset0:4 offset1:6
	ds_read2st64_b32 v[12:13], v7 offset0:8 offset1:10
	;; [unrolled: 1-line block ×3, first 2 shown]
	v_add_u32_e32 v6, -8, v6
	s_waitcnt lgkmcnt(3)
	v_pk_mul_f32 v[8:9], v[2:3], v[8:9]
	s_waitcnt lgkmcnt(2)
	v_pk_mul_f32 v[10:11], v[2:3], v[10:11]
	ds_write2st64_b32 v7, v8, v9 offset1:2
	ds_write2st64_b32 v7, v10, v11 offset0:4 offset1:6
	ds_read2st64_b32 v[10:11], v7 offset0:16 offset1:18
	s_waitcnt lgkmcnt(4)
	v_pk_mul_f32 v[8:9], v[2:3], v[12:13]
	ds_write2st64_b32 v7, v8, v9 offset0:8 offset1:10
	s_waitcnt lgkmcnt(4)
	v_pk_mul_f32 v[8:9], v[2:3], v[16:17]
	ds_write2st64_b32 v7, v8, v9 offset0:12 offset1:14
	ds_read2st64_b32 v[8:9], v7 offset0:20 offset1:22
	s_waitcnt lgkmcnt(3)
	v_pk_mul_f32 v[10:11], v[2:3], v[10:11]
	ds_read2st64_b32 v[12:13], v7 offset0:24 offset1:26
	ds_write2st64_b32 v7, v10, v11 offset0:16 offset1:18
	ds_read2st64_b32 v[10:11], v7 offset0:28 offset1:30
	s_waitcnt lgkmcnt(3)
	v_pk_mul_f32 v[8:9], v[2:3], v[8:9]
	ds_write2st64_b32 v7, v8, v9 offset0:20 offset1:22
	s_waitcnt lgkmcnt(3)
	v_pk_mul_f32 v[8:9], v[2:3], v[12:13]
	ds_write2st64_b32 v7, v8, v9 offset0:24 offset1:26
	s_waitcnt lgkmcnt(2)
	v_pk_mul_f32 v[8:9], v[2:3], v[10:11]
	s_add_i32 s15, s15, 16
	v_cmp_eq_u32_e32 vcc, 0, v6
	ds_write2st64_b32 v7, v8, v9 offset0:28 offset1:30
	v_add_u32_e32 v7, 0x2000, v7
	s_or_b64 s[26:27], vcc, s[26:27]
	v_mov_b32_e32 v8, s15
	s_andn2_b64 exec, exec, s[26:27]
	s_cbranch_execnz .LBB89_28
; %bb.29:
	s_or_b64 exec, exec, s[26:27]
.LBB89_30:
	s_or_b64 exec, exec, s[8:9]
	v_and_b32_e32 v5, 7, v5
	v_cmp_ne_u32_e32 vcc, 0, v5
	s_and_saveexec_b64 s[8:9], vcc
	s_cbranch_execz .LBB89_33
; %bb.31:
	v_lshlrev_b32_e32 v6, 9, v8
	v_lshlrev_b32_e32 v7, 2, v0
	s_movk_i32 s15, 0x210
	v_add3_u32 v6, v6, v7, s15
	s_mov_b64 s[26:27], 0
.LBB89_32:                              ; =>This Inner Loop Header: Depth=1
	ds_read2st64_b32 v[8:9], v6 offset1:2
	v_add_u32_e32 v5, -1, v5
	v_cmp_eq_u32_e32 vcc, 0, v5
	s_or_b64 s[26:27], vcc, s[26:27]
	s_waitcnt lgkmcnt(0)
	v_pk_mul_f32 v[8:9], v[2:3], v[8:9]
	ds_write2st64_b32 v6, v8, v9 offset1:2
	v_add_u32_e32 v6, 0x400, v6
	s_andn2_b64 exec, exec, s[26:27]
	s_cbranch_execnz .LBB89_32
.LBB89_33:
	s_or_b64 exec, exec, s[8:9]
	v_add_u32_e32 v4, 1, v4
	v_and_b32_e32 v5, 0x3fffffe, v4
	v_cmp_ne_u32_e32 vcc, v4, v5
	v_lshl_add_u32 v3, v5, 7, v0
	s_orn2_b64 s[8:9], vcc, exec
.LBB89_34:
	s_or_b64 exec, exec, s[2:3]
	s_and_b64 exec, exec, s[8:9]
	s_cbranch_execz .LBB89_37
; %bb.35:
	v_mov_b32_e32 v4, 0x210
	v_lshl_add_u32 v4, v3, 2, v4
	s_mov_b64 s[2:3], 0
.LBB89_36:                              ; =>This Inner Loop Header: Depth=1
	ds_read_b32 v5, v4
	v_add_u32_e32 v3, 0x80, v3
	v_cmp_le_i32_e32 vcc, s12, v3
	s_or_b64 s[2:3], vcc, s[2:3]
	s_waitcnt lgkmcnt(0)
	v_mul_f32_e32 v5, v2, v5
	ds_write_b32 v4, v5
	v_add_u32_e32 v4, 0x200, v4
	s_andn2_b64 exec, exec, s[2:3]
	s_cbranch_execnz .LBB89_36
.LBB89_37:
	s_or_b64 exec, exec, s[0:1]
	v_mov_b32_e32 v7, 0
	v_and_b32_e32 v32, 1, v0
	v_mov_b32_e32 v6, 0
	v_mov_b32_e32 v9, 0
	;; [unrolled: 1-line block ×7, first 2 shown]
	s_waitcnt lgkmcnt(0)
	s_barrier
	s_and_saveexec_b64 s[2:3], s[6:7]
	s_cbranch_execz .LBB89_57
; %bb.38:
	s_ashr_i32 s15, s14, 31
	s_lshl_b64 s[0:1], s[14:15], 1
	v_lshlrev_b32_e32 v2, 3, v0
	s_add_u32 s6, s24, s0
	v_and_b32_e32 v3, 8, v2
	s_addc_u32 s7, s25, s1
	s_add_i32 s14, s17, -1
	s_lshl_b64 s[0:1], s[22:23], 2
	v_and_b32_e32 v2, 0x1f8, v2
	v_lshl_or_b32 v33, v1, 4, v3
	v_lshlrev_b32_e32 v3, 5, v32
	s_add_u32 s0, s20, s0
	v_mov_b32_e32 v15, 0
	v_or_b32_e32 v4, 0x800, v2
	v_or_b32_e32 v6, 0xa00, v2
	;; [unrolled: 1-line block ×4, first 2 shown]
	v_lshl_or_b32 v3, v1, 6, v3
	v_and_b32_e32 v14, 60, v14
	s_addc_u32 s1, s21, s1
	s_mov_b32 s26, s13
	s_mov_b32 s15, s33
	;; [unrolled: 1-line block ×8, first 2 shown]
	v_add_u32_e32 v34, 0x210, v3
	v_lshl_add_u64 v[16:17], s[0:1], 0, v[14:15]
	s_mov_b64 s[8:9], 0
	v_lshlrev_b32_e32 v18, 1, v2
	v_mov_b32_e32 v19, v15
	s_mov_b32 s20, 0x5040100
	v_lshlrev_b32_e32 v14, 1, v4
	v_lshlrev_b32_e32 v20, 1, v6
	;; [unrolled: 1-line block ×4, first 2 shown]
	v_mov_b32_e32 v12, v15
	v_mov_b32_e32 v13, v15
	;; [unrolled: 1-line block ×8, first 2 shown]
	s_branch .LBB89_40
.LBB89_39:                              ;   in Loop: Header=BB89_40 Depth=1
	s_or_b64 exec, exec, s[0:1]
	s_waitcnt vmcnt(0)
	;;#ASMSTART
	v_pk_mul_f16 v2, v43, v2;

	;;#ASMEND
	;;#ASMSTART
	v_pk_mul_f16 v3, v42, v3;

	;;#ASMEND
	;; [unrolled: 4-line block ×4, first 2 shown]
	v_add_f32_e32 v25, v46, v47
	;;#ASMSTART
	v_pk_add_f16 v2, v2, v3;

	;;#ASMEND
	v_add_f32_e32 v12, v12, v25
	;;#ASMSTART
	v_pk_add_f16 v2, v2, v4;

	;;#ASMEND
	;; [unrolled: 5-line block ×3, first 2 shown]
	v_add_f32_e32 v13, v13, v25
	v_add_f32_e32 v25, v50, v51
	v_lshrrev_b32_e32 v3, 16, v2
	v_and_b32_e32 v2, 0xffff, v2
	v_add_f32_e32 v10, v10, v25
	v_add_f32_e32 v25, v28, v29
	;; [unrolled: 1-line block ×3, first 2 shown]
	;;#ASMSTART
	v_cvt_f32_f16 v2, v2;
	;;#ASMEND
	v_add_u32_e32 v1, 2, v1
	v_add_f32_e32 v11, v11, v25
	v_add_f32_e32 v25, v52, v53
	;; [unrolled: 1-line block ×4, first 2 shown]
	;;#ASMSTART
	v_cvt_f32_f16 v3, v3;
	;;#ASMEND
	v_cmp_le_i32_e32 vcc, s17, v1
	v_add_f32_e32 v2, v2, v3
	v_add_f32_e32 v8, v8, v25
	;; [unrolled: 1-line block ×4, first 2 shown]
	v_add_u32_e32 v33, 32, v33
	v_add_u32_e32 v34, 0x80, v34
	s_or_b64 s[8:9], vcc, s[8:9]
	v_lshl_add_u64 v[16:17], v[16:17], 0, 8
	s_andn2_b64 exec, exec, s[8:9]
	s_cbranch_execz .LBB89_56
.LBB89_40:                              ; =>This Inner Loop Header: Depth=1
	global_load_dword v35, v[16:17], off
	ds_read2_b64 v[2:5], v34 offset1:1
	ds_read2_b64 v[26:29], v34 offset0:2 offset1:3
	v_cmp_eq_u32_e32 vcc, s14, v1
	v_or_b32_e32 v37, 3, v33
	s_waitcnt lgkmcnt(1)
	;;#ASMSTART
	v_cvt_f16_f32 v21, v2;

	;;#ASMEND
	;;#ASMSTART
	v_cvt_f16_f32 v23, v3;

	;;#ASMEND
	;; [unrolled: 4-line block ×4, first 2 shown]
	s_waitcnt lgkmcnt(0)
	;;#ASMSTART
	v_cvt_f16_f32 v41, v26;

	;;#ASMEND
	;;#ASMSTART
	v_cvt_f16_f32 v46, v27;

	;;#ASMEND
	;; [unrolled: 4-line block ×4, first 2 shown]
	v_or_b32_e32 v36, 2, v33
	v_or_b32_e32 v39, 5, v33
	;; [unrolled: 1-line block ×5, first 2 shown]
	s_waitcnt vmcnt(0)
	v_mad_i64_i32 v[2:3], s[0:1], v35, s26, 0
	v_lshl_add_u64 v[26:27], v[2:3], 1, s[6:7]
	v_lshl_add_u64 v[28:29], v[26:27], 0, v[18:19]
	global_load_dwordx4 v[2:5], v[28:29], off
	v_add_u32_e32 v35, 1, v33
	s_and_saveexec_b64 s[12:13], vcc
	s_cbranch_execz .LBB89_42
; %bb.41:                               ;   in Loop: Header=BB89_40 Depth=1
	s_waitcnt vmcnt(0)
	v_lshrrev_b32_e32 v42, 16, v5
	v_cmp_gt_i32_e64 s[0:1], s30, v45
	s_nop 1
	v_cndmask_b32_e64 v42, 0, v42, s[0:1]
	v_cmp_gt_i32_e64 s[0:1], s29, v44
	s_nop 1
	v_cndmask_b32_e64 v5, 0, v5, s[0:1]
	v_perm_b32 v5, v42, v5, s20
	v_lshrrev_b32_e32 v42, 16, v4
	v_cmp_gt_i32_e64 s[0:1], s28, v39
	s_nop 1
	v_cndmask_b32_e64 v42, 0, v42, s[0:1]
	v_cmp_gt_i32_e64 s[0:1], s27, v38
	s_nop 1
	v_cndmask_b32_e64 v4, 0, v4, s[0:1]
	v_perm_b32 v4, v42, v4, s20
	;; [unrolled: 8-line block ×4, first 2 shown]
.LBB89_42:                              ;   in Loop: Header=BB89_40 Depth=1
	s_or_b64 exec, exec, s[12:13]
	v_and_b32_e32 v21, 0xffff, v21
	v_lshl_or_b32 v43, v23, 16, v21
	v_and_b32_e32 v21, 0xffff, v25
	v_lshl_or_b32 v42, v40, 16, v21
	;; [unrolled: 2-line block ×3, first 2 shown]
	v_and_b32_e32 v21, 0xffff, v47
	s_waitcnt vmcnt(0)
	;;#ASMSTART
	v_pk_mul_f16 v2, v43, v2;

	;;#ASMEND
	v_lshl_or_b32 v40, v48, 16, v21
	;;#ASMSTART
	v_pk_mul_f16 v3, v42, v3;

	;;#ASMEND
	;;#ASMSTART
	v_pk_mul_f16 v4, v41, v4;

	;;#ASMEND
	;; [unrolled: 4-line block ×3, first 2 shown]
	s_nop 0
	;;#ASMSTART
	v_pk_add_f16 v2, v2, v3;

	;;#ASMEND
	s_nop 0
	;;#ASMSTART
	v_pk_add_f16 v2, v2, v4;

	;;#ASMEND
	;; [unrolled: 5-line block ×3, first 2 shown]
	s_nop 0
	v_lshrrev_b32_e32 v3, 16, v2
	v_and_b32_e32 v2, 0xffff, v2
	;;#ASMSTART
	v_cvt_f32_f16 v46, v2;
	;;#ASMEND
	;;#ASMSTART
	v_cvt_f32_f16 v47, v3;
	;;#ASMEND
	global_load_dwordx4 v[2:5], v[28:29], off offset:1024
	s_and_saveexec_b64 s[12:13], vcc
	s_cbranch_execz .LBB89_44
; %bb.43:                               ;   in Loop: Header=BB89_40 Depth=1
	s_waitcnt vmcnt(0)
	v_lshrrev_b32_e32 v21, 16, v5
	v_cmp_gt_i32_e64 s[0:1], s30, v45
	s_nop 1
	v_cndmask_b32_e64 v21, 0, v21, s[0:1]
	v_cmp_gt_i32_e64 s[0:1], s29, v44
	s_nop 1
	v_cndmask_b32_e64 v5, 0, v5, s[0:1]
	v_perm_b32 v5, v21, v5, s20
	v_lshrrev_b32_e32 v21, 16, v4
	v_cmp_gt_i32_e64 s[0:1], s28, v39
	s_nop 1
	v_cndmask_b32_e64 v21, 0, v21, s[0:1]
	v_cmp_gt_i32_e64 s[0:1], s27, v38
	s_nop 1
	v_cndmask_b32_e64 v4, 0, v4, s[0:1]
	v_perm_b32 v4, v21, v4, s20
	;; [unrolled: 8-line block ×4, first 2 shown]
.LBB89_44:                              ;   in Loop: Header=BB89_40 Depth=1
	s_or_b64 exec, exec, s[12:13]
	s_waitcnt vmcnt(0)
	;;#ASMSTART
	v_pk_mul_f16 v2, v43, v2;

	;;#ASMEND
	;;#ASMSTART
	v_pk_mul_f16 v3, v42, v3;

	;;#ASMEND
	;; [unrolled: 4-line block ×4, first 2 shown]
	s_nop 0
	;;#ASMSTART
	v_pk_add_f16 v2, v2, v3;

	;;#ASMEND
	s_nop 0
	;;#ASMSTART
	v_pk_add_f16 v2, v2, v4;

	;;#ASMEND
	;; [unrolled: 5-line block ×3, first 2 shown]
	s_nop 0
	v_lshrrev_b32_e32 v3, 16, v2
	v_and_b32_e32 v2, 0xffff, v2
	;;#ASMSTART
	v_cvt_f32_f16 v48, v2;
	;;#ASMEND
	;;#ASMSTART
	v_cvt_f32_f16 v49, v3;
	;;#ASMEND
	global_load_dwordx4 v[2:5], v[28:29], off offset:2048
	s_and_saveexec_b64 s[12:13], vcc
	s_cbranch_execz .LBB89_46
; %bb.45:                               ;   in Loop: Header=BB89_40 Depth=1
	s_waitcnt vmcnt(0)
	v_lshrrev_b32_e32 v21, 16, v5
	v_cmp_gt_i32_e64 s[0:1], s30, v45
	s_nop 1
	v_cndmask_b32_e64 v21, 0, v21, s[0:1]
	v_cmp_gt_i32_e64 s[0:1], s29, v44
	s_nop 1
	v_cndmask_b32_e64 v5, 0, v5, s[0:1]
	v_perm_b32 v5, v21, v5, s20
	v_lshrrev_b32_e32 v21, 16, v4
	v_cmp_gt_i32_e64 s[0:1], s28, v39
	s_nop 1
	v_cndmask_b32_e64 v21, 0, v21, s[0:1]
	v_cmp_gt_i32_e64 s[0:1], s27, v38
	s_nop 1
	v_cndmask_b32_e64 v4, 0, v4, s[0:1]
	v_perm_b32 v4, v21, v4, s20
	;; [unrolled: 8-line block ×4, first 2 shown]
.LBB89_46:                              ;   in Loop: Header=BB89_40 Depth=1
	s_or_b64 exec, exec, s[12:13]
	s_waitcnt vmcnt(0)
	;;#ASMSTART
	v_pk_mul_f16 v2, v43, v2;

	;;#ASMEND
	;;#ASMSTART
	v_pk_mul_f16 v3, v42, v3;

	;;#ASMEND
	;;#ASMSTART
	v_pk_mul_f16 v4, v41, v4;

	;;#ASMEND
	;;#ASMSTART
	v_pk_mul_f16 v5, v40, v5;

	;;#ASMEND
	s_nop 0
	;;#ASMSTART
	v_pk_add_f16 v2, v2, v3;

	;;#ASMEND
	s_nop 0
	;;#ASMSTART
	v_pk_add_f16 v2, v2, v4;

	;;#ASMEND
	;; [unrolled: 5-line block ×3, first 2 shown]
	s_nop 0
	v_lshrrev_b32_e32 v3, 16, v2
	v_and_b32_e32 v2, 0xffff, v2
	;;#ASMSTART
	v_cvt_f32_f16 v50, v2;
	;;#ASMEND
	;;#ASMSTART
	v_cvt_f32_f16 v51, v3;
	;;#ASMEND
	global_load_dwordx4 v[2:5], v[28:29], off offset:3072
	s_and_saveexec_b64 s[12:13], vcc
	s_cbranch_execz .LBB89_48
; %bb.47:                               ;   in Loop: Header=BB89_40 Depth=1
	s_waitcnt vmcnt(0)
	v_lshrrev_b32_e32 v21, 16, v5
	v_cmp_gt_i32_e64 s[0:1], s30, v45
	s_nop 1
	v_cndmask_b32_e64 v21, 0, v21, s[0:1]
	v_cmp_gt_i32_e64 s[0:1], s29, v44
	s_nop 1
	v_cndmask_b32_e64 v5, 0, v5, s[0:1]
	v_perm_b32 v5, v21, v5, s20
	v_lshrrev_b32_e32 v21, 16, v4
	v_cmp_gt_i32_e64 s[0:1], s28, v39
	s_nop 1
	v_cndmask_b32_e64 v21, 0, v21, s[0:1]
	v_cmp_gt_i32_e64 s[0:1], s27, v38
	s_nop 1
	v_cndmask_b32_e64 v4, 0, v4, s[0:1]
	v_perm_b32 v4, v21, v4, s20
	;; [unrolled: 8-line block ×4, first 2 shown]
.LBB89_48:                              ;   in Loop: Header=BB89_40 Depth=1
	s_or_b64 exec, exec, s[12:13]
	s_waitcnt vmcnt(0)
	;;#ASMSTART
	v_pk_mul_f16 v2, v43, v2;

	;;#ASMEND
	;;#ASMSTART
	v_pk_mul_f16 v3, v42, v3;

	;;#ASMEND
	;; [unrolled: 4-line block ×4, first 2 shown]
	s_nop 0
	;;#ASMSTART
	v_pk_add_f16 v2, v2, v3;

	;;#ASMEND
	s_nop 0
	;;#ASMSTART
	v_pk_add_f16 v2, v2, v4;

	;;#ASMEND
	;; [unrolled: 5-line block ×3, first 2 shown]
	s_nop 0
	v_lshrrev_b32_e32 v3, 16, v2
	v_and_b32_e32 v2, 0xffff, v2
	;;#ASMSTART
	v_cvt_f32_f16 v28, v2;
	;;#ASMEND
	;;#ASMSTART
	v_cvt_f32_f16 v29, v3;
	;;#ASMEND
	v_lshl_add_u64 v[2:3], v[26:27], 0, v[14:15]
	global_load_dwordx4 v[2:5], v[2:3], off
	s_and_saveexec_b64 s[12:13], vcc
	s_cbranch_execz .LBB89_50
; %bb.49:                               ;   in Loop: Header=BB89_40 Depth=1
	s_waitcnt vmcnt(0)
	v_lshrrev_b32_e32 v21, 16, v5
	v_cmp_gt_i32_e64 s[0:1], s30, v45
	s_nop 1
	v_cndmask_b32_e64 v21, 0, v21, s[0:1]
	v_cmp_gt_i32_e64 s[0:1], s29, v44
	s_nop 1
	v_cndmask_b32_e64 v5, 0, v5, s[0:1]
	v_perm_b32 v5, v21, v5, s20
	v_lshrrev_b32_e32 v21, 16, v4
	v_cmp_gt_i32_e64 s[0:1], s28, v39
	s_nop 1
	v_cndmask_b32_e64 v21, 0, v21, s[0:1]
	v_cmp_gt_i32_e64 s[0:1], s27, v38
	s_nop 1
	v_cndmask_b32_e64 v4, 0, v4, s[0:1]
	v_perm_b32 v4, v21, v4, s20
	;; [unrolled: 8-line block ×4, first 2 shown]
.LBB89_50:                              ;   in Loop: Header=BB89_40 Depth=1
	s_or_b64 exec, exec, s[12:13]
	s_waitcnt vmcnt(0)
	;;#ASMSTART
	v_pk_mul_f16 v2, v43, v2;

	;;#ASMEND
	;;#ASMSTART
	v_pk_mul_f16 v3, v42, v3;

	;;#ASMEND
	;; [unrolled: 4-line block ×4, first 2 shown]
	v_mov_b32_e32 v21, v15
	;;#ASMSTART
	v_pk_add_f16 v2, v2, v3;

	;;#ASMEND
	s_nop 0
	;;#ASMSTART
	v_pk_add_f16 v2, v2, v4;

	;;#ASMEND
	s_nop 0
	;; [unrolled: 5-line block ×3, first 2 shown]
	v_lshrrev_b32_e32 v3, 16, v2
	v_and_b32_e32 v2, 0xffff, v2
	;;#ASMSTART
	v_cvt_f32_f16 v52, v2;
	;;#ASMEND
	;;#ASMSTART
	v_cvt_f32_f16 v53, v3;
	;;#ASMEND
	v_lshl_add_u64 v[2:3], v[26:27], 0, v[20:21]
	global_load_dwordx4 v[2:5], v[2:3], off
	s_and_saveexec_b64 s[12:13], vcc
	s_cbranch_execz .LBB89_52
; %bb.51:                               ;   in Loop: Header=BB89_40 Depth=1
	s_waitcnt vmcnt(0)
	v_lshrrev_b32_e32 v21, 16, v5
	v_cmp_gt_i32_e64 s[0:1], s30, v45
	s_nop 1
	v_cndmask_b32_e64 v21, 0, v21, s[0:1]
	v_cmp_gt_i32_e64 s[0:1], s29, v44
	s_nop 1
	v_cndmask_b32_e64 v5, 0, v5, s[0:1]
	v_perm_b32 v5, v21, v5, s20
	v_lshrrev_b32_e32 v21, 16, v4
	v_cmp_gt_i32_e64 s[0:1], s28, v39
	s_nop 1
	v_cndmask_b32_e64 v21, 0, v21, s[0:1]
	v_cmp_gt_i32_e64 s[0:1], s27, v38
	s_nop 1
	v_cndmask_b32_e64 v4, 0, v4, s[0:1]
	v_perm_b32 v4, v21, v4, s20
	;; [unrolled: 8-line block ×4, first 2 shown]
.LBB89_52:                              ;   in Loop: Header=BB89_40 Depth=1
	s_or_b64 exec, exec, s[12:13]
	s_waitcnt vmcnt(0)
	;;#ASMSTART
	v_pk_mul_f16 v2, v43, v2;

	;;#ASMEND
	;;#ASMSTART
	v_pk_mul_f16 v3, v42, v3;

	;;#ASMEND
	;; [unrolled: 4-line block ×4, first 2 shown]
	v_mov_b32_e32 v23, v15
	;;#ASMSTART
	v_pk_add_f16 v2, v2, v3;

	;;#ASMEND
	s_nop 0
	;;#ASMSTART
	v_pk_add_f16 v2, v2, v4;

	;;#ASMEND
	s_nop 0
	;; [unrolled: 5-line block ×3, first 2 shown]
	v_lshrrev_b32_e32 v3, 16, v2
	v_and_b32_e32 v2, 0xffff, v2
	;;#ASMSTART
	v_cvt_f32_f16 v21, v2;
	;;#ASMEND
	;;#ASMSTART
	v_cvt_f32_f16 v54, v3;
	;;#ASMEND
	v_lshl_add_u64 v[2:3], v[26:27], 0, v[22:23]
	global_load_dwordx4 v[2:5], v[2:3], off
	s_and_saveexec_b64 s[12:13], vcc
	s_cbranch_execz .LBB89_54
; %bb.53:                               ;   in Loop: Header=BB89_40 Depth=1
	s_waitcnt vmcnt(0)
	v_lshrrev_b32_e32 v23, 16, v5
	v_cmp_gt_i32_e64 s[0:1], s30, v45
	s_nop 1
	v_cndmask_b32_e64 v23, 0, v23, s[0:1]
	v_cmp_gt_i32_e64 s[0:1], s29, v44
	s_nop 1
	v_cndmask_b32_e64 v5, 0, v5, s[0:1]
	v_perm_b32 v5, v23, v5, s20
	v_lshrrev_b32_e32 v23, 16, v4
	v_cmp_gt_i32_e64 s[0:1], s28, v39
	s_nop 1
	v_cndmask_b32_e64 v23, 0, v23, s[0:1]
	v_cmp_gt_i32_e64 s[0:1], s27, v38
	s_nop 1
	v_cndmask_b32_e64 v4, 0, v4, s[0:1]
	v_perm_b32 v4, v23, v4, s20
	;; [unrolled: 8-line block ×4, first 2 shown]
.LBB89_54:                              ;   in Loop: Header=BB89_40 Depth=1
	s_or_b64 exec, exec, s[12:13]
	s_waitcnt vmcnt(0)
	;;#ASMSTART
	v_pk_mul_f16 v2, v43, v2;

	;;#ASMEND
	;;#ASMSTART
	v_pk_mul_f16 v3, v42, v3;

	;;#ASMEND
	;; [unrolled: 4-line block ×4, first 2 shown]
	v_mov_b32_e32 v25, v15
	;;#ASMSTART
	v_pk_add_f16 v2, v2, v3;

	;;#ASMEND
	s_nop 0
	;;#ASMSTART
	v_pk_add_f16 v2, v2, v4;

	;;#ASMEND
	s_nop 0
	;; [unrolled: 5-line block ×3, first 2 shown]
	v_lshrrev_b32_e32 v3, 16, v2
	v_and_b32_e32 v2, 0xffff, v2
	;;#ASMSTART
	v_cvt_f32_f16 v23, v2;
	;;#ASMEND
	;;#ASMSTART
	v_cvt_f32_f16 v55, v3;
	;;#ASMEND
	v_lshl_add_u64 v[2:3], v[26:27], 0, v[24:25]
	global_load_dwordx4 v[2:5], v[2:3], off
	s_and_saveexec_b64 s[0:1], vcc
	s_cbranch_execz .LBB89_39
; %bb.55:                               ;   in Loop: Header=BB89_40 Depth=1
	s_waitcnt vmcnt(0)
	v_lshrrev_b32_e32 v25, 16, v5
	v_cmp_gt_i32_e32 vcc, s30, v45
	s_nop 1
	v_cndmask_b32_e32 v25, 0, v25, vcc
	v_cmp_gt_i32_e32 vcc, s29, v44
	s_nop 1
	v_cndmask_b32_e32 v5, 0, v5, vcc
	v_perm_b32 v5, v25, v5, s20
	v_lshrrev_b32_e32 v25, 16, v4
	v_cmp_gt_i32_e32 vcc, s28, v39
	s_nop 1
	v_cndmask_b32_e32 v25, 0, v25, vcc
	v_cmp_gt_i32_e32 vcc, s27, v38
	s_nop 1
	v_cndmask_b32_e32 v4, 0, v4, vcc
	v_perm_b32 v4, v25, v4, s20
	;; [unrolled: 8-line block ×4, first 2 shown]
	s_branch .LBB89_39
.LBB89_56:
	s_or_b64 exec, exec, s[8:9]
.LBB89_57:
	s_or_b64 exec, exec, s[2:3]
	ds_bpermute_b32 v2, v31, v12
	ds_bpermute_b32 v3, v31, v13
	;; [unrolled: 1-line block ×8, first 2 shown]
	v_and_b32_e32 v1, 0x3c1, v0
	s_waitcnt lgkmcnt(6)
	v_pk_add_f32 v[12:13], v[12:13], v[2:3]
	s_waitcnt lgkmcnt(4)
	v_pk_add_f32 v[10:11], v[10:11], v[4:5]
	;; [unrolled: 2-line block ×4, first 2 shown]
	v_cmp_eq_u32_e32 vcc, 64, v1
	s_barrier
	s_and_saveexec_b64 s[0:1], vcc
	s_cbranch_execz .LBB89_59
; %bb.58:
	v_mov_b32_e32 v6, 0x210
	v_lshl_add_u32 v6, v30, 1, v6
	ds_write2_b32 v6, v12, v13 offset1:32
	ds_write2_b32 v6, v10, v11 offset0:64 offset1:96
	ds_write2_b32 v6, v4, v5 offset0:128 offset1:160
	;; [unrolled: 1-line block ×3, first 2 shown]
.LBB89_59:
	s_or_b64 exec, exec, s[0:1]
	v_cmp_gt_u32_e32 vcc, 64, v0
	s_waitcnt lgkmcnt(0)
	s_barrier
	s_and_saveexec_b64 s[0:1], vcc
	s_cbranch_execz .LBB89_70
; %bb.60:
	v_cmp_eq_u32_e32 vcc, 0, v32
	v_lshrrev_b32_e32 v6, 1, v0
	s_and_saveexec_b64 s[2:3], vcc
	s_cbranch_execnz .LBB89_73
; %bb.61:
	s_or_b64 exec, exec, s[2:3]
	s_and_saveexec_b64 s[2:3], vcc
	s_cbranch_execnz .LBB89_74
.LBB89_62:
	s_or_b64 exec, exec, s[2:3]
	s_and_saveexec_b64 s[2:3], vcc
	s_cbranch_execnz .LBB89_75
.LBB89_63:
	s_or_b64 exec, exec, s[2:3]
	s_and_saveexec_b64 s[2:3], vcc
	s_cbranch_execnz .LBB89_76
.LBB89_64:
	s_or_b64 exec, exec, s[2:3]
	s_and_saveexec_b64 s[2:3], vcc
	s_cbranch_execnz .LBB89_77
.LBB89_65:
	s_or_b64 exec, exec, s[2:3]
	s_and_saveexec_b64 s[2:3], vcc
	s_cbranch_execnz .LBB89_78
.LBB89_66:
	s_or_b64 exec, exec, s[2:3]
	s_and_saveexec_b64 s[2:3], vcc
	s_cbranch_execnz .LBB89_79
.LBB89_67:
	s_or_b64 exec, exec, s[2:3]
	s_and_saveexec_b64 s[2:3], vcc
	s_cbranch_execz .LBB89_69
.LBB89_68:
	v_mov_b32_e32 v7, 0x210
	v_lshl_add_u32 v6, v6, 2, v7
	ds_read_b32 v6, v6 offset:896
	s_waitcnt lgkmcnt(0)
	v_add_f32_e32 v3, v3, v6
.LBB89_69:
	s_or_b64 exec, exec, s[2:3]
.LBB89_70:
	s_or_b64 exec, exec, s[0:1]
	v_cmp_eq_u32_e32 vcc, 0, v1
	s_barrier
	s_and_saveexec_b64 s[0:1], vcc
	s_cbranch_execz .LBB89_72
; %bb.71:
	s_mul_i32 s0, s10, s11
	s_mul_i32 s0, s0, s5
	s_lshl_b32 s0, s0, 8
	s_ashr_i32 s1, s0, 31
	s_lshl_b64 s[0:1], s[0:1], 1
	s_add_u32 s2, s18, s0
	s_mul_i32 s0, s11, s16
	s_addc_u32 s3, s19, s1
	s_ashr_i32 s1, s0, 31
	s_lshl_b64 s[0:1], s[0:1], 1
	s_add_u32 s2, s2, s0
	s_addc_u32 s3, s3, s1
	s_lshl_b32 s0, s4, 8
	s_ashr_i32 s1, s0, 31
	s_lshl_b64 s[0:1], s[0:1], 1
	s_add_u32 s0, s2, s0
	s_addc_u32 s1, s3, s1
	;;#ASMSTART
	v_cvt_f16_f32 v1, v12;

	;;#ASMEND
	global_store_short v0, v1, s[0:1]
	;;#ASMSTART
	v_cvt_f16_f32 v1, v13;

	;;#ASMEND
	global_store_short v0, v1, s[0:1] offset:64
	;;#ASMSTART
	v_cvt_f16_f32 v1, v10;

	;;#ASMEND
	global_store_short v0, v1, s[0:1] offset:128
	;; [unrolled: 5-line block ×7, first 2 shown]
.LBB89_72:
	s_endpgm
.LBB89_73:
	v_mov_b32_e32 v7, 0x210
	v_lshl_add_u32 v7, v6, 2, v7
	ds_read_b32 v7, v7
	s_waitcnt lgkmcnt(0)
	v_add_f32_e32 v12, v12, v7
	s_or_b64 exec, exec, s[2:3]
	s_and_saveexec_b64 s[2:3], vcc
	s_cbranch_execz .LBB89_62
.LBB89_74:
	v_mov_b32_e32 v7, 0x210
	v_lshl_add_u32 v7, v6, 2, v7
	ds_read_b32 v7, v7 offset:128
	s_waitcnt lgkmcnt(0)
	v_add_f32_e32 v13, v13, v7
	s_or_b64 exec, exec, s[2:3]
	s_and_saveexec_b64 s[2:3], vcc
	s_cbranch_execz .LBB89_63
.LBB89_75:
	v_mov_b32_e32 v7, 0x210
	v_lshl_add_u32 v7, v6, 2, v7
	ds_read_b32 v7, v7 offset:256
	s_waitcnt lgkmcnt(0)
	v_add_f32_e32 v10, v10, v7
	s_or_b64 exec, exec, s[2:3]
	s_and_saveexec_b64 s[2:3], vcc
	s_cbranch_execz .LBB89_64
.LBB89_76:
	v_mov_b32_e32 v7, 0x210
	v_lshl_add_u32 v7, v6, 2, v7
	ds_read_b32 v7, v7 offset:384
	s_waitcnt lgkmcnt(0)
	v_add_f32_e32 v11, v11, v7
	s_or_b64 exec, exec, s[2:3]
	s_and_saveexec_b64 s[2:3], vcc
	s_cbranch_execz .LBB89_65
.LBB89_77:
	v_mov_b32_e32 v7, 0x210
	v_lshl_add_u32 v7, v6, 2, v7
	ds_read_b32 v7, v7 offset:512
	s_waitcnt lgkmcnt(0)
	v_add_f32_e32 v4, v4, v7
	s_or_b64 exec, exec, s[2:3]
	s_and_saveexec_b64 s[2:3], vcc
	s_cbranch_execz .LBB89_66
.LBB89_78:
	v_mov_b32_e32 v7, 0x210
	v_lshl_add_u32 v7, v6, 2, v7
	ds_read_b32 v7, v7 offset:640
	s_waitcnt lgkmcnt(0)
	v_add_f32_e32 v5, v5, v7
	s_or_b64 exec, exec, s[2:3]
	s_and_saveexec_b64 s[2:3], vcc
	s_cbranch_execz .LBB89_67
.LBB89_79:
	v_mov_b32_e32 v7, 0x210
	v_lshl_add_u32 v7, v6, 2, v7
	ds_read_b32 v7, v7 offset:768
	s_waitcnt lgkmcnt(0)
	v_add_f32_e32 v2, v2, v7
	s_or_b64 exec, exec, s[2:3]
	s_and_saveexec_b64 s[2:3], vcc
	s_cbranch_execnz .LBB89_68
	s_branch .LBB89_69
	.section	.rodata,"a",@progbits
	.p2align	6, 0x0
	.amdhsa_kernel _ZN4vllm25paged_attention_v1_kernelIttLi256ELi16ELi128ELNS_18Fp8KVCacheDataTypeE0ELb0EEEvPT_PKS2_PKT0_S8_ifPKiSA_iPKfiiiSC_SC_iiiii
		.amdhsa_group_segment_fixed_size 528
		.amdhsa_private_segment_fixed_size 0
		.amdhsa_kernarg_size 384
		.amdhsa_user_sgpr_count 2
		.amdhsa_user_sgpr_dispatch_ptr 0
		.amdhsa_user_sgpr_queue_ptr 0
		.amdhsa_user_sgpr_kernarg_segment_ptr 1
		.amdhsa_user_sgpr_dispatch_id 0
		.amdhsa_user_sgpr_kernarg_preload_length 0
		.amdhsa_user_sgpr_kernarg_preload_offset 0
		.amdhsa_user_sgpr_private_segment_size 0
		.amdhsa_uses_dynamic_stack 0
		.amdhsa_enable_private_segment 0
		.amdhsa_system_sgpr_workgroup_id_x 1
		.amdhsa_system_sgpr_workgroup_id_y 1
		.amdhsa_system_sgpr_workgroup_id_z 1
		.amdhsa_system_sgpr_workgroup_info 0
		.amdhsa_system_vgpr_workitem_id 0
		.amdhsa_next_free_vgpr 61
		.amdhsa_next_free_sgpr 35
		.amdhsa_accum_offset 64
		.amdhsa_reserve_vcc 1
		.amdhsa_float_round_mode_32 0
		.amdhsa_float_round_mode_16_64 0
		.amdhsa_float_denorm_mode_32 3
		.amdhsa_float_denorm_mode_16_64 3
		.amdhsa_dx10_clamp 1
		.amdhsa_ieee_mode 1
		.amdhsa_fp16_overflow 0
		.amdhsa_tg_split 0
		.amdhsa_exception_fp_ieee_invalid_op 0
		.amdhsa_exception_fp_denorm_src 0
		.amdhsa_exception_fp_ieee_div_zero 0
		.amdhsa_exception_fp_ieee_overflow 0
		.amdhsa_exception_fp_ieee_underflow 0
		.amdhsa_exception_fp_ieee_inexact 0
		.amdhsa_exception_int_div_zero 0
	.end_amdhsa_kernel
	.section	.text._ZN4vllm25paged_attention_v1_kernelIttLi256ELi16ELi128ELNS_18Fp8KVCacheDataTypeE0ELb0EEEvPT_PKS2_PKT0_S8_ifPKiSA_iPKfiiiSC_SC_iiiii,"axG",@progbits,_ZN4vllm25paged_attention_v1_kernelIttLi256ELi16ELi128ELNS_18Fp8KVCacheDataTypeE0ELb0EEEvPT_PKS2_PKT0_S8_ifPKiSA_iPKfiiiSC_SC_iiiii,comdat
.Lfunc_end89:
	.size	_ZN4vllm25paged_attention_v1_kernelIttLi256ELi16ELi128ELNS_18Fp8KVCacheDataTypeE0ELb0EEEvPT_PKS2_PKT0_S8_ifPKiSA_iPKfiiiSC_SC_iiiii, .Lfunc_end89-_ZN4vllm25paged_attention_v1_kernelIttLi256ELi16ELi128ELNS_18Fp8KVCacheDataTypeE0ELb0EEEvPT_PKS2_PKT0_S8_ifPKiSA_iPKfiiiSC_SC_iiiii
                                        ; -- End function
	.section	.AMDGPU.csdata,"",@progbits
; Kernel info:
; codeLenInByte = 9288
; NumSgprs: 41
; NumVgprs: 61
; NumAgprs: 0
; TotalNumVgprs: 61
; ScratchSize: 0
; MemoryBound: 0
; FloatMode: 240
; IeeeMode: 1
; LDSByteSize: 528 bytes/workgroup (compile time only)
; SGPRBlocks: 5
; VGPRBlocks: 7
; NumSGPRsForWavesPerEU: 41
; NumVGPRsForWavesPerEU: 61
; AccumOffset: 64
; Occupancy: 8
; WaveLimiterHint : 1
; COMPUTE_PGM_RSRC2:SCRATCH_EN: 0
; COMPUTE_PGM_RSRC2:USER_SGPR: 2
; COMPUTE_PGM_RSRC2:TRAP_HANDLER: 0
; COMPUTE_PGM_RSRC2:TGID_X_EN: 1
; COMPUTE_PGM_RSRC2:TGID_Y_EN: 1
; COMPUTE_PGM_RSRC2:TGID_Z_EN: 1
; COMPUTE_PGM_RSRC2:TIDIG_COMP_CNT: 0
; COMPUTE_PGM_RSRC3_GFX90A:ACCUM_OFFSET: 15
; COMPUTE_PGM_RSRC3_GFX90A:TG_SPLIT: 0
	.section	.text._ZN4vllm25paged_attention_v1_kernelIttLi32ELi32ELi128ELNS_18Fp8KVCacheDataTypeE0ELb1EEEvPT_PKS2_PKT0_S8_ifPKiSA_iPKfiiiSC_SC_iiiii,"axG",@progbits,_ZN4vllm25paged_attention_v1_kernelIttLi32ELi32ELi128ELNS_18Fp8KVCacheDataTypeE0ELb1EEEvPT_PKS2_PKT0_S8_ifPKiSA_iPKfiiiSC_SC_iiiii,comdat
	.protected	_ZN4vllm25paged_attention_v1_kernelIttLi32ELi32ELi128ELNS_18Fp8KVCacheDataTypeE0ELb1EEEvPT_PKS2_PKT0_S8_ifPKiSA_iPKfiiiSC_SC_iiiii ; -- Begin function _ZN4vllm25paged_attention_v1_kernelIttLi32ELi32ELi128ELNS_18Fp8KVCacheDataTypeE0ELb1EEEvPT_PKS2_PKT0_S8_ifPKiSA_iPKfiiiSC_SC_iiiii
	.globl	_ZN4vllm25paged_attention_v1_kernelIttLi32ELi32ELi128ELNS_18Fp8KVCacheDataTypeE0ELb1EEEvPT_PKS2_PKT0_S8_ifPKiSA_iPKfiiiSC_SC_iiiii
	.p2align	8
	.type	_ZN4vllm25paged_attention_v1_kernelIttLi32ELi32ELi128ELNS_18Fp8KVCacheDataTypeE0ELb1EEEvPT_PKS2_PKT0_S8_ifPKiSA_iPKfiiiSC_SC_iiiii,@function
_ZN4vllm25paged_attention_v1_kernelIttLi32ELi32ELi128ELNS_18Fp8KVCacheDataTypeE0ELb1EEEvPT_PKS2_PKT0_S8_ifPKiSA_iPKfiiiSC_SC_iiiii: ; @_ZN4vllm25paged_attention_v1_kernelIttLi32ELi32ELi128ELNS_18Fp8KVCacheDataTypeE0ELb1EEEvPT_PKS2_PKT0_S8_ifPKiSA_iPKfiiiSC_SC_iiiii
; %bb.0:
	s_load_dword s5, s[0:1], 0x80
	s_load_dwordx2 s[6:7], s[0:1], 0x30
	s_load_dwordx2 s[30:31], s[0:1], 0x20
	s_mov_b32 s10, s3
	s_ashr_i32 s11, s3, 31
	s_lshl_b64 s[8:9], s[10:11], 2
	s_waitcnt lgkmcnt(0)
	s_add_u32 s6, s6, s8
	s_addc_u32 s7, s7, s9
	s_abs_i32 s3, s30
	v_cvt_f32_u32_e32 v1, s3
	s_sub_i32 s11, 0, s3
	s_abs_i32 s9, s5
	s_xor_b32 s8, s5, s30
	v_rcp_iflag_f32_e32 v1, v1
	s_ashr_i32 s8, s8, 31
	s_mov_b32 s42, 0
	v_mul_f32_e32 v1, 0x4f7ffffe, v1
	v_cvt_u32_f32_e32 v1, v1
	s_nop 0
	v_readfirstlane_b32 s12, v1
	s_mul_i32 s11, s11, s12
	s_mul_hi_u32 s11, s12, s11
	s_add_i32 s12, s12, s11
	s_mul_hi_u32 s11, s9, s12
	s_mul_i32 s12, s11, s3
	s_sub_i32 s9, s9, s12
	s_add_i32 s12, s11, 1
	s_sub_i32 s13, s9, s3
	s_cmp_ge_u32 s9, s3
	s_cselect_b32 s11, s12, s11
	s_cselect_b32 s9, s13, s9
	s_add_i32 s12, s11, 1
	s_cmp_ge_u32 s9, s3
	s_cselect_b32 s3, s12, s11
	s_xor_b32 s3, s3, s8
	s_sub_i32 s12, s3, s8
	s_abs_i32 s22, s12
	v_cvt_f32_u32_e32 v1, s22
	s_load_dwordx2 s[8:9], s[0:1], 0x40
	s_sub_i32 s3, 0, s22
	s_abs_i32 s23, s2
	v_rcp_iflag_f32_e32 v1, v1
	s_nop 0
	v_mul_f32_e32 v1, 0x4f7ffffe, v1
	v_cvt_u32_f32_e32 v1, v1
	s_nop 0
	v_readfirstlane_b32 s11, v1
	s_mul_i32 s3, s3, s11
	s_mul_hi_u32 s3, s11, s3
	s_add_i32 s11, s11, s3
	s_waitcnt lgkmcnt(0)
	s_cmp_eq_u64 s[8:9], 0
	s_mul_hi_u32 s24, s23, s11
	s_cbranch_scc1 .LBB90_2
; %bb.1:
	s_ashr_i32 s3, s2, 31
	s_lshl_b64 s[14:15], s[2:3], 2
	s_add_u32 s8, s8, s14
	s_addc_u32 s9, s9, s15
	s_load_dword s42, s[8:9], 0x0
.LBB90_2:
	s_load_dword s11, s[6:7], 0x0
	s_ashr_i32 s9, s12, 31
	s_load_dwordx4 s[12:15], s[0:1], 0x48
	s_ashr_i32 s3, s2, 31
	v_and_b32_e32 v4, 1, v0
	s_lshl_b32 s20, s2, 5
	v_cmp_gt_u32_e32 vcc, 8, v0
	v_lshlrev_b32_e32 v8, 3, v0
	s_and_saveexec_b64 s[6:7], vcc
	s_cbranch_execz .LBB90_4
; %bb.3:
	s_load_dwordx2 s[16:17], s[0:1], 0x8
	s_waitcnt lgkmcnt(0)
	s_mul_i32 s18, s10, s12
	s_ashr_i32 s19, s18, 31
	s_lshl_b64 s[18:19], s[18:19], 1
	v_lshlrev_b32_e32 v1, 2, v0
	s_add_u32 s8, s16, s18
	s_addc_u32 s12, s17, s19
	s_ashr_i32 s21, s20, 31
	s_lshl_b64 s[16:17], s[20:21], 1
	s_add_u32 s16, s8, s16
	s_addc_u32 s17, s12, s17
	global_load_dwordx2 v[2:3], v8, s[16:17]
	v_and_b32_e32 v1, 0xff8, v1
	v_lshl_add_u32 v1, v4, 5, v1
	s_waitcnt vmcnt(0)
	ds_write_b64 v1, v[2:3]
.LBB90_4:
	s_or_b64 exec, exec, s[6:7]
	s_mul_i32 s6, s24, s22
	s_sub_i32 s6, s23, s6
	s_xor_b32 s3, s3, s9
	s_add_i32 s7, s24, 1
	s_sub_i32 s9, s6, s22
	s_load_dwordx4 s[16:19], s[0:1], 0x68
	s_load_dword s8, s[0:1], 0x78
	s_cmp_ge_u32 s6, s22
	s_cselect_b32 s7, s7, s24
	s_cselect_b32 s6, s9, s6
	s_add_i32 s9, s7, 1
	s_cmp_ge_u32 s6, s22
	s_cselect_b32 s6, s9, s7
	s_waitcnt lgkmcnt(0)
	s_abs_i32 s21, s19
	v_cvt_f32_u32_e32 v1, s21
	s_xor_b32 s6, s6, s3
	s_sub_i32 s3, s6, s3
	s_sub_i32 s6, 0, s21
	v_rcp_iflag_f32_e32 v1, v1
	s_add_i32 s15, s11, -1
	s_abs_i32 s9, s15
	v_mul_f32_e32 v1, 0x4f7ffffe, v1
	v_cvt_u32_f32_e32 v1, v1
	s_barrier
	v_readfirstlane_b32 s33, v1
	s_mul_i32 s6, s6, s33
	s_mul_hi_u32 s6, s33, s6
	s_add_i32 s33, s33, s6
	s_cmp_lt_i32 s8, 0
	s_mul_hi_u32 s12, s9, s33
	s_cbranch_scc0 .LBB90_6
; %bb.5:
	s_mul_i32 s6, s16, s30
	s_add_i32 s6, s3, s6
	s_mul_i32 s6, s6, s8
	s_sub_i32 s40, 1, s6
	s_mov_b64 s[6:7], 0
	s_branch .LBB90_7
.LBB90_6:
	s_mov_b64 s[6:7], -1
                                        ; implicit-def: $sgpr40
.LBB90_7:
	s_load_dwordx2 s[24:25], s[0:1], 0x28
	s_ashr_i32 s15, s15, 31
	s_andn2_b64 vcc, exec, s[6:7]
	s_ashr_i32 s19, s19, 31
	s_cbranch_vccnz .LBB90_9
; %bb.8:
	s_mul_i32 s6, s5, s16
	s_add_i32 s2, s6, s2
	s_mul_i32 s2, s2, s8
	s_add_i32 s40, s2, 1
.LBB90_9:
	s_load_dword s2, s[0:1], 0x38
	s_load_dwordx2 s[22:23], s[0:1], 0x0
	s_load_dwordx2 s[28:29], s[0:1], 0x18
	s_load_dword s16, s[0:1], 0x88
	s_xor_b32 s6, s15, s19
	s_waitcnt lgkmcnt(0)
	s_mul_i32 s26, s10, s2
	s_mul_i32 s2, s12, s21
	s_sub_i32 s2, s9, s2
	s_ashr_i32 s27, s26, 31
	s_add_i32 s7, s12, 1
	s_sub_i32 s8, s2, s21
	s_cmp_ge_u32 s2, s21
	s_cselect_b32 s7, s7, s12
	s_cselect_b32 s2, s8, s2
	s_add_i32 s8, s7, 1
	s_cmp_ge_u32 s2, s21
	s_cselect_b32 s2, s8, s7
	s_xor_b32 s2, s2, s6
	s_sub_i32 s12, s2, s6
	s_add_i32 s2, s11, 31
	s_ashr_i32 s6, s2, 31
	s_lshr_b32 s6, s6, 27
	s_add_i32 s2, s2, s6
	s_ashr_i32 s41, s2, 5
	v_lshrrev_b32_e32 v1, 6, v0
	v_cmp_gt_i32_e64 s[6:7], s41, v1
	v_mov_b32_e32 v13, 0xff7fffff
	s_mul_i32 s14, s3, s14
	v_lshrrev_b32_e32 v10, 4, v0
	v_lshlrev_b32_e32 v14, 5, v1
	v_mbcnt_lo_u32_b32 v9, -1, 0
	s_and_saveexec_b64 s[34:35], s[6:7]
	s_cbranch_execz .LBB90_19
; %bb.10:
	s_load_dwordx2 s[0:1], s[0:1], 0x10
	s_ashr_i32 s15, s14, 31
	s_sub_i32 s30, s12, s17
	s_lshl_b64 s[2:3], s[14:15], 1
	v_bfe_u32 v11, v0, 1, 5
	s_waitcnt lgkmcnt(0)
	s_add_u32 s0, s0, s2
	s_addc_u32 s1, s1, s3
	s_abs_i32 s15, s18
	v_cvt_f32_u32_e32 v2, s15
	v_lshlrev_b32_e32 v6, 4, v11
	v_mov_b32_e32 v7, 0
	v_cmp_eq_u32_e32 vcc, 0, v4
	v_rcp_iflag_f32_e32 v5, v2
	v_lshl_add_u64 v[2:3], s[0:1], 0, v[6:7]
	s_sub_i32 s0, 0, s15
	v_lshlrev_b32_e32 v12, 5, v4
	v_mul_f32_e32 v5, 0x4f7ffffe, v5
	v_cvt_u32_f32_e32 v5, v5
	v_and_b32_e32 v6, 8, v8
	v_lshl_add_u64 v[2:3], v[2:3], 0, v[6:7]
	v_and_b32_e32 v6, 60, v10
	v_mul_lo_u32 v4, s0, v5
	s_lshl_b64 s[0:1], s[26:27], 2
	s_add_u32 s0, s24, s0
	v_mul_hi_u32 v4, v5, v4
	s_addc_u32 s1, s25, s1
	v_add_u32_e32 v15, v5, v4
	v_lshl_add_u64 v[4:5], s[0:1], 0, v[6:7]
	v_lshlrev_b32_e32 v6, 2, v11
	v_lshl_or_b32 v6, v1, 7, v6
	v_add_u32_e32 v17, 0x50, v6
	v_subrev_u32_e32 v6, s11, v11
	v_mbcnt_hi_u32_b32 v20, -1, v9
	v_add_u32_e32 v18, 1, v6
	v_and_b32_e32 v6, 64, v20
	s_mov_b32 s43, s13
	v_cmp_neq_f32_e64 s[2:3], s42, 0
	v_lshlrev_b32_e32 v16, 5, v1
	s_mov_b64 s[36:37], 0
	v_mov_b32_e32 v19, 0xff7fffff
	v_xor_b32_e32 v21, 1, v20
	v_add_u32_e32 v22, 64, v6
	v_mov_b32_e32 v13, 0xff7fffff
	v_mov_b32_e32 v23, v1
	s_branch .LBB90_13
.LBB90_11:                              ;   in Loop: Header=BB90_13 Depth=1
	s_or_b64 exec, exec, s[38:39]
.LBB90_12:                              ;   in Loop: Header=BB90_13 Depth=1
	s_or_b64 exec, exec, s[8:9]
	v_add_u32_e32 v23, 2, v23
	v_cmp_le_i32_e64 s[0:1], s41, v23
	v_lshl_add_u64 v[4:5], v[4:5], 0, 8
	v_add_u32_e32 v16, 64, v16
	s_or_b64 s[36:37], s[0:1], s[36:37]
	v_add_u32_e32 v17, 0x100, v17
	s_andn2_b64 exec, exec, s[36:37]
	s_cbranch_execz .LBB90_18
.LBB90_13:                              ; =>This Inner Loop Header: Depth=1
	v_mul_hi_u32 v6, v16, s33
	s_waitcnt lgkmcnt(0)
	v_mul_lo_u32 v7, v6, s21
	v_sub_u32_e32 v7, v16, v7
	v_add_u32_e32 v24, 1, v6
	v_cmp_le_u32_e64 s[0:1], s21, v7
	s_nop 1
	v_cndmask_b32_e64 v6, v6, v24, s[0:1]
	v_subrev_u32_e32 v24, s21, v7
	v_cndmask_b32_e64 v7, v7, v24, s[0:1]
	v_add_u32_e32 v24, 1, v6
	v_cmp_le_u32_e64 s[0:1], s21, v7
	s_nop 1
	v_cndmask_b32_e64 v6, v6, v24, s[0:1]
	v_xor_b32_e32 v6, s19, v6
	v_subrev_u32_e32 v6, s19, v6
	v_add_u32_e32 v7, s40, v6
	v_sub_u32_e32 v25, 0, v7
	v_ashrrev_i32_e32 v24, 31, v7
	v_max_i32_e32 v7, v7, v25
	v_mul_hi_u32 v25, v7, v15
	v_mul_lo_u32 v25, v25, s15
	v_sub_u32_e32 v7, v7, v25
	v_subrev_u32_e32 v25, s15, v7
	v_cmp_le_u32_e64 s[0:1], s15, v7
	v_cmp_ge_i32_e64 s[8:9], s30, v6
	s_nop 0
	v_cndmask_b32_e64 v7, v7, v25, s[0:1]
	v_subrev_u32_e32 v25, s15, v7
	v_cmp_le_u32_e64 s[0:1], s15, v7
	s_nop 1
	v_cndmask_b32_e64 v7, v7, v25, s[0:1]
	v_xor_b32_e32 v7, v7, v24
	v_sub_u32_e32 v7, v7, v24
	v_cmp_ne_u32_e64 s[0:1], 0, v7
	s_and_b64 s[0:1], s[0:1], s[8:9]
	s_and_b64 s[38:39], vcc, s[0:1]
	s_and_saveexec_b64 s[8:9], s[38:39]
	s_cbranch_execz .LBB90_15
; %bb.14:                               ;   in Loop: Header=BB90_13 Depth=1
	ds_write_b32 v17, v19
.LBB90_15:                              ;   in Loop: Header=BB90_13 Depth=1
	s_or_b64 exec, exec, s[8:9]
	s_xor_b64 s[0:1], s[0:1], -1
	s_and_saveexec_b64 s[8:9], s[0:1]
	s_cbranch_execz .LBB90_12
; %bb.16:                               ;   in Loop: Header=BB90_13 Depth=1
	global_load_dword v6, v[4:5], off
	s_waitcnt vmcnt(0)
	v_mad_i64_i32 v[6:7], s[0:1], v6, s43, 0
	v_lshl_add_u64 v[24:25], v[6:7], 1, v[2:3]
	global_load_dwordx2 v[26:27], v[24:25], off
	global_load_dwordx2 v[28:29], v[24:25], off offset:512
	global_load_dwordx2 v[30:31], v[24:25], off offset:1024
	;; [unrolled: 1-line block ×3, first 2 shown]
	ds_read_b64 v[24:25], v12
	v_cmp_lt_i32_e64 s[0:1], v21, v22
	s_waitcnt lgkmcnt(0)
	v_lshrrev_b32_e32 v33, 16, v24
	v_and_b32_e32 v24, 0xffff, v24
	v_lshrrev_b32_e32 v34, 16, v25
	v_and_b32_e32 v25, 0xffff, v25
	;;#ASMSTART
	v_cvt_f32_f16 v35, v24;
	;;#ASMEND
	;;#ASMSTART
	v_cvt_f32_f16 v33, v33;
	;;#ASMEND
	v_cndmask_b32_e64 v32, v20, v21, s[0:1]
	s_waitcnt vmcnt(3)
	v_lshrrev_b32_e32 v24, 16, v26
	v_and_b32_e32 v26, 0xffff, v26
	v_lshrrev_b32_e32 v36, 16, v27
	v_and_b32_e32 v27, 0xffff, v27
	;;#ASMSTART
	v_cvt_f32_f16 v26, v26;
	;;#ASMEND
	;;#ASMSTART
	v_cvt_f32_f16 v41, v24;
	;;#ASMEND
	;; [unrolled: 3-line block ×6, first 2 shown]
	ds_read_b64 v[24:25], v12 offset:8
	s_waitcnt vmcnt(2)
	v_lshrrev_b32_e32 v37, 16, v28
	v_and_b32_e32 v28, 0xffff, v28
	v_lshrrev_b32_e32 v38, 16, v29
	v_and_b32_e32 v29, 0xffff, v29
	s_waitcnt vmcnt(0)
	v_lshrrev_b32_e32 v43, 16, v6
	v_and_b32_e32 v44, 0xffff, v6
	v_lshrrev_b32_e32 v45, 16, v7
	v_and_b32_e32 v46, 0xffff, v7
	s_waitcnt lgkmcnt(0)
	v_lshrrev_b32_e32 v6, 16, v24
	v_and_b32_e32 v7, 0xffff, v24
	v_lshrrev_b32_e32 v24, 16, v25
	v_and_b32_e32 v25, 0xffff, v25
	;;#ASMSTART
	v_cvt_f32_f16 v47, v7;
	;;#ASMEND
	;;#ASMSTART
	v_cvt_f32_f16 v48, v6;
	;;#ASMEND
	;; [unrolled: 3-line block ×8, first 2 shown]
	ds_read_b64 v[6:7], v12 offset:16
	v_mul_f32_e32 v28, v47, v28
	v_mul_f32_e32 v25, v25, v29
	v_lshrrev_b32_e32 v39, 16, v30
	v_and_b32_e32 v30, 0xffff, v30
	v_lshrrev_b32_e32 v40, 16, v31
	v_and_b32_e32 v31, 0xffff, v31
	v_mul_f32_e32 v37, v48, v37
	v_mul_f32_e32 v24, v24, v38
	v_fmac_f32_e32 v28, v35, v26
	v_fmac_f32_e32 v25, v42, v27
	s_waitcnt lgkmcnt(0)
	v_lshrrev_b32_e32 v26, 16, v6
	v_and_b32_e32 v6, 0xffff, v6
	v_lshrrev_b32_e32 v27, 16, v7
	v_and_b32_e32 v7, 0xffff, v7
	v_fmac_f32_e32 v37, v33, v41
	v_fmac_f32_e32 v24, v34, v36
	;;#ASMSTART
	v_cvt_f32_f16 v29, v6;
	;;#ASMEND
	;;#ASMSTART
	v_cvt_f32_f16 v26, v26;
	;;#ASMEND
	;; [unrolled: 3-line block ×8, first 2 shown]
	ds_read_b64 v[6:7], v12 offset:24
	v_fmac_f32_e32 v28, v29, v30
	v_fmac_f32_e32 v37, v26, v33
	;; [unrolled: 1-line block ×4, first 2 shown]
	s_waitcnt lgkmcnt(0)
	v_lshrrev_b32_e32 v26, 16, v6
	v_and_b32_e32 v6, 0xffff, v6
	v_lshrrev_b32_e32 v27, 16, v7
	v_and_b32_e32 v7, 0xffff, v7
	;;#ASMSTART
	v_cvt_f32_f16 v6, v6;
	;;#ASMEND
	;;#ASMSTART
	v_cvt_f32_f16 v26, v26;
	;;#ASMEND
	;; [unrolled: 3-line block ×8, first 2 shown]
	s_nop 0
	v_fmac_f32_e32 v28, v6, v29
	v_fmac_f32_e32 v37, v26, v30
	;; [unrolled: 1-line block ×3, first 2 shown]
	v_add_f32_e32 v6, v28, v37
	v_fmac_f32_e32 v24, v27, v33
	v_add_f32_e32 v6, v6, v25
	v_add_f32_e32 v6, v24, v6
	v_lshlrev_b32_e32 v7, 2, v32
	ds_bpermute_b32 v7, v7, v6
	s_and_saveexec_b64 s[38:39], vcc
	s_cbranch_execz .LBB90_11
; %bb.17:                               ;   in Loop: Header=BB90_13 Depth=1
	v_add_u32_e32 v24, v18, v16
	v_cvt_f32_i32_e32 v24, v24
	s_waitcnt lgkmcnt(0)
	v_add_f32_e32 v6, v6, v7
	v_add_u32_e32 v25, v11, v16
	v_cmp_gt_i32_e64 s[0:1], s11, v25
	v_mul_f32_e32 v7, s42, v24
	v_cndmask_b32_e64 v7, 0, v7, s[2:3]
	v_fmac_f32_e32 v7, s31, v6
	v_cndmask_b32_e64 v6, 0, v7, s[0:1]
	ds_write_b32 v17, v6
	v_max_f32_e32 v6, v13, v13
	v_max_f32_e32 v6, v6, v7
	v_cndmask_b32_e64 v13, v13, v6, s[0:1]
	s_branch .LBB90_11
.LBB90_18:
	s_or_b64 exec, exec, s[36:37]
.LBB90_19:
	s_or_b64 exec, exec, s[34:35]
	v_mbcnt_hi_u32_b32 v9, -1, v9
	v_and_b32_e32 v2, 64, v9
	v_add_u32_e32 v11, 64, v2
	v_xor_b32_e32 v2, 32, v9
	v_cmp_lt_i32_e32 vcc, v2, v11
	v_xor_b32_e32 v5, 16, v9
	v_max_f32_e32 v4, v13, v13
	v_cndmask_b32_e32 v2, v9, v2, vcc
	v_lshlrev_b32_e32 v2, 2, v2
	ds_bpermute_b32 v3, v2, v13
	v_cmp_lt_i32_e32 vcc, v5, v11
	v_xor_b32_e32 v6, 8, v9
	s_waitcnt lgkmcnt(1)
	v_xor_b32_e32 v7, 4, v9
	v_xor_b32_e32 v12, 2, v9
	s_waitcnt lgkmcnt(0)
	v_max_f32_e32 v3, v3, v3
	v_max_f32_e32 v4, v4, v3
	v_cndmask_b32_e32 v3, v9, v5, vcc
	v_lshlrev_b32_e32 v3, 2, v3
	ds_bpermute_b32 v5, v3, v4
	v_cmp_lt_i32_e32 vcc, v6, v11
	v_and_b32_e32 v15, 63, v0
	s_waitcnt lgkmcnt(0)
	v_max_f32_e32 v5, v5, v5
	v_max_f32_e32 v5, v4, v5
	v_cndmask_b32_e32 v4, v9, v6, vcc
	v_lshlrev_b32_e32 v4, 2, v4
	ds_bpermute_b32 v6, v4, v5
	v_cmp_lt_i32_e32 vcc, v7, v11
	s_waitcnt lgkmcnt(0)
	v_max_f32_e32 v6, v6, v6
	v_max_f32_e32 v6, v5, v6
	v_cndmask_b32_e32 v5, v9, v7, vcc
	v_lshlrev_b32_e32 v5, 2, v5
	ds_bpermute_b32 v7, v5, v6
	v_cmp_lt_i32_e32 vcc, v12, v11
	s_waitcnt lgkmcnt(0)
	v_max_f32_e32 v7, v7, v7
	v_max_f32_e32 v7, v6, v7
	v_cndmask_b32_e32 v6, v9, v12, vcc
	v_lshlrev_b32_e32 v16, 2, v6
	ds_bpermute_b32 v12, v16, v7
	v_cmp_eq_u32_e32 vcc, 0, v15
	v_lshlrev_b32_e32 v6, 2, v1
	s_and_saveexec_b64 s[0:1], vcc
	s_cbranch_execz .LBB90_21
; %bb.20:
	s_waitcnt lgkmcnt(0)
	v_max_f32_e32 v12, v12, v12
	v_max_f32_e32 v7, v7, v7
	;; [unrolled: 1-line block ×3, first 2 shown]
	ds_write_b32 v6, v7 offset:64
.LBB90_21:
	s_or_b64 exec, exec, s[0:1]
	v_cmp_gt_u32_e64 s[0:1], 2, v15
	s_waitcnt lgkmcnt(0)
	v_mov_b32_e32 v12, 0xff7fffff
	v_lshlrev_b32_e32 v7, 2, v15
	s_barrier
	s_and_saveexec_b64 s[2:3], s[0:1]
	s_cbranch_execz .LBB90_23
; %bb.22:
	ds_read_b32 v12, v7 offset:64
.LBB90_23:
	s_or_b64 exec, exec, s[2:3]
	v_xor_b32_e32 v13, 1, v9
	v_cmp_lt_i32_e64 s[2:3], v13, v11
	s_nop 1
	v_cndmask_b32_e64 v11, v9, v13, s[2:3]
	v_lshlrev_b32_e32 v17, 2, v11
	s_waitcnt lgkmcnt(0)
	ds_bpermute_b32 v11, v17, v12
	v_max_f32_e32 v12, v12, v12
	v_lshlrev_b32_e32 v9, 2, v9
	v_and_b32_e32 v9, 0x100, v9
	s_lshl_b32 s2, s41, 5
	s_waitcnt lgkmcnt(0)
	v_max_f32_e32 v11, v11, v11
	v_max_f32_e32 v11, v12, v11
	ds_bpermute_b32 v12, v9, v11
	s_min_i32 s15, s2, s11
	v_cmp_gt_i32_e64 s[2:3], s15, v0
	v_mov_b32_e32 v11, 0
	s_and_saveexec_b64 s[30:31], s[2:3]
	s_cbranch_execz .LBB90_27
; %bb.24:
	v_mov_b32_e32 v11, 0x50
	v_lshl_add_u32 v13, v0, 2, v11
	s_mov_b64 s[34:35], 0
	v_mov_b32_e32 v11, 0
	v_mov_b32_e32 v18, v0
.LBB90_25:                              ; =>This Inner Loop Header: Depth=1
	ds_read_b32 v19, v13
	v_add_u32_e32 v18, 0x80, v18
	v_cmp_le_i32_e64 s[8:9], s15, v18
	s_or_b64 s[34:35], s[8:9], s[34:35]
	s_waitcnt lgkmcnt(0)
	v_sub_f32_e32 v19, v19, v12
	v_mul_f32_e32 v19, 0x3fb8aa3b, v19
	v_exp_f32_e32 v19, v19
	ds_write_b32 v13, v19
	v_add_f32_e32 v11, v11, v19
	v_add_u32_e32 v13, 0x200, v13
	s_andn2_b64 exec, exec, s[34:35]
	s_cbranch_execnz .LBB90_25
; %bb.26:
	s_or_b64 exec, exec, s[34:35]
.LBB90_27:
	s_or_b64 exec, exec, s[30:31]
	ds_bpermute_b32 v2, v2, v11
	s_waitcnt lgkmcnt(0)
	v_add_f32_e32 v2, v11, v2
	ds_bpermute_b32 v3, v3, v2
	s_waitcnt lgkmcnt(0)
	v_add_f32_e32 v2, v2, v3
	;; [unrolled: 3-line block ×6, first 2 shown]
	s_and_saveexec_b64 s[8:9], vcc
	s_cbranch_execz .LBB90_29
; %bb.28:
	ds_write_b32 v6, v2 offset:72
.LBB90_29:
	s_or_b64 exec, exec, s[8:9]
	s_waitcnt lgkmcnt(0)
	s_barrier
	s_and_saveexec_b64 s[8:9], s[0:1]
	s_cbranch_execz .LBB90_31
; %bb.30:
	ds_read_b32 v2, v7 offset:72
.LBB90_31:
	s_or_b64 exec, exec, s[8:9]
	s_waitcnt lgkmcnt(0)
	ds_bpermute_b32 v3, v17, v2
	s_waitcnt lgkmcnt(0)
	v_add_f32_e32 v2, v2, v3
	ds_bpermute_b32 v2, v9, v2
	s_and_saveexec_b64 s[0:1], s[2:3]
	s_cbranch_execz .LBB90_44
; %bb.32:
	s_waitcnt lgkmcnt(0)
	v_add_f32_e32 v2, 0x358637bd, v2
	v_div_scale_f32 v3, s[2:3], v2, v2, 1.0
	v_rcp_f32_e32 v4, v3
	v_div_scale_f32 v5, vcc, 1.0, v2, 1.0
	s_movk_i32 s2, 0x7f
	v_fma_f32 v6, -v3, v4, 1.0
	v_fmac_f32_e32 v4, v6, v4
	v_mul_f32_e32 v6, v5, v4
	v_fma_f32 v7, -v3, v6, v5
	v_fmac_f32_e32 v6, v7, v4
	v_fma_f32 v3, -v3, v6, v5
	v_div_fmas_f32 v3, v3, v4, v6
	v_xad_u32 v4, v0, -1, s15
	v_div_fixup_f32 v2, v3, v2, 1.0
	v_cmp_lt_u32_e32 vcc, s2, v4
	s_mov_b64 s[8:9], -1
	v_mov_b32_e32 v3, v0
	s_and_saveexec_b64 s[2:3], vcc
	s_cbranch_execz .LBB90_41
; %bb.33:
	v_lshrrev_b32_e32 v4, 7, v4
	v_add_u32_e32 v6, -1, v4
	v_lshrrev_b32_e32 v5, 1, v6
	v_mov_b32_e32 v3, v2
	v_add_u32_e32 v5, 1, v5
	v_cmp_lt_u32_e32 vcc, 13, v6
	v_mov_b32_e32 v9, 0
	s_and_saveexec_b64 s[8:9], vcc
	s_cbranch_execz .LBB90_37
; %bb.34:
	v_mov_b32_e32 v7, 0x50
	v_and_b32_e32 v6, -8, v5
	v_lshl_add_u32 v7, v0, 2, v7
	s_mov_b32 s34, 0
	s_mov_b64 s[30:31], 0
.LBB90_35:                              ; =>This Inner Loop Header: Depth=1
	ds_read2st64_b32 v[12:13], v7 offset1:2
	ds_read2st64_b32 v[18:19], v7 offset0:4 offset1:6
	ds_read2st64_b32 v[20:21], v7 offset0:8 offset1:10
	;; [unrolled: 1-line block ×3, first 2 shown]
	v_add_u32_e32 v6, -8, v6
	s_waitcnt lgkmcnt(3)
	v_pk_mul_f32 v[12:13], v[2:3], v[12:13]
	s_waitcnt lgkmcnt(2)
	v_pk_mul_f32 v[18:19], v[2:3], v[18:19]
	ds_write2st64_b32 v7, v12, v13 offset1:2
	ds_write2st64_b32 v7, v18, v19 offset0:4 offset1:6
	ds_read2st64_b32 v[18:19], v7 offset0:16 offset1:18
	s_waitcnt lgkmcnt(4)
	v_pk_mul_f32 v[12:13], v[2:3], v[20:21]
	ds_write2st64_b32 v7, v12, v13 offset0:8 offset1:10
	s_waitcnt lgkmcnt(4)
	v_pk_mul_f32 v[12:13], v[2:3], v[22:23]
	ds_write2st64_b32 v7, v12, v13 offset0:12 offset1:14
	ds_read2st64_b32 v[12:13], v7 offset0:20 offset1:22
	s_waitcnt lgkmcnt(3)
	v_pk_mul_f32 v[18:19], v[2:3], v[18:19]
	ds_read2st64_b32 v[20:21], v7 offset0:24 offset1:26
	ds_write2st64_b32 v7, v18, v19 offset0:16 offset1:18
	ds_read2st64_b32 v[18:19], v7 offset0:28 offset1:30
	s_waitcnt lgkmcnt(3)
	v_pk_mul_f32 v[12:13], v[2:3], v[12:13]
	ds_write2st64_b32 v7, v12, v13 offset0:20 offset1:22
	s_waitcnt lgkmcnt(3)
	v_pk_mul_f32 v[12:13], v[2:3], v[20:21]
	ds_write2st64_b32 v7, v12, v13 offset0:24 offset1:26
	s_waitcnt lgkmcnt(2)
	v_pk_mul_f32 v[12:13], v[2:3], v[18:19]
	s_add_i32 s34, s34, 16
	v_cmp_eq_u32_e32 vcc, 0, v6
	ds_write2st64_b32 v7, v12, v13 offset0:28 offset1:30
	v_add_u32_e32 v7, 0x2000, v7
	s_or_b64 s[30:31], vcc, s[30:31]
	v_mov_b32_e32 v9, s34
	s_andn2_b64 exec, exec, s[30:31]
	s_cbranch_execnz .LBB90_35
; %bb.36:
	s_or_b64 exec, exec, s[30:31]
.LBB90_37:
	s_or_b64 exec, exec, s[8:9]
	v_and_b32_e32 v5, 7, v5
	v_cmp_ne_u32_e32 vcc, 0, v5
	s_and_saveexec_b64 s[8:9], vcc
	s_cbranch_execz .LBB90_40
; %bb.38:
	v_lshlrev_b32_e32 v6, 9, v9
	v_lshlrev_b32_e32 v7, 2, v0
	s_movk_i32 s30, 0x50
	v_add3_u32 v6, v6, v7, s30
	s_mov_b64 s[30:31], 0
.LBB90_39:                              ; =>This Inner Loop Header: Depth=1
	ds_read2st64_b32 v[12:13], v6 offset1:2
	v_add_u32_e32 v5, -1, v5
	v_cmp_eq_u32_e32 vcc, 0, v5
	s_or_b64 s[30:31], vcc, s[30:31]
	s_waitcnt lgkmcnt(0)
	v_pk_mul_f32 v[12:13], v[2:3], v[12:13]
	ds_write2st64_b32 v6, v12, v13 offset1:2
	v_add_u32_e32 v6, 0x400, v6
	s_andn2_b64 exec, exec, s[30:31]
	s_cbranch_execnz .LBB90_39
.LBB90_40:
	s_or_b64 exec, exec, s[8:9]
	v_add_u32_e32 v4, 1, v4
	v_and_b32_e32 v5, 0x3fffffe, v4
	v_cmp_ne_u32_e32 vcc, v4, v5
	v_lshl_add_u32 v3, v5, 7, v0
	s_orn2_b64 s[8:9], vcc, exec
.LBB90_41:
	s_or_b64 exec, exec, s[2:3]
	s_and_b64 exec, exec, s[8:9]
	s_cbranch_execz .LBB90_44
; %bb.42:
	v_mov_b32_e32 v4, 0x50
	v_lshl_add_u32 v4, v3, 2, v4
	s_mov_b64 s[2:3], 0
.LBB90_43:                              ; =>This Inner Loop Header: Depth=1
	ds_read_b32 v5, v4
	v_add_u32_e32 v3, 0x80, v3
	v_cmp_le_i32_e32 vcc, s15, v3
	s_or_b64 s[2:3], vcc, s[2:3]
	s_waitcnt lgkmcnt(0)
	v_mul_f32_e32 v5, v2, v5
	ds_write_b32 v4, v5
	v_add_u32_e32 v4, 0x200, v4
	s_andn2_b64 exec, exec, s[2:3]
	s_cbranch_execnz .LBB90_43
.LBB90_44:
	s_or_b64 exec, exec, s[0:1]
	v_mov_b32_e32 v7, 0
	v_and_b32_e32 v18, 3, v0
	v_mov_b32_e32 v6, 0
	s_waitcnt lgkmcnt(0)
	s_barrier
	s_and_saveexec_b64 s[2:3], s[6:7]
	s_cbranch_execz .LBB90_54
; %bb.45:
	s_ashr_i32 s15, s14, 31
	s_sub_i32 s17, s12, s17
	s_lshl_b64 s[0:1], s[14:15], 1
	s_add_u32 s0, s28, s0
	s_addc_u32 s1, s29, s1
	s_abs_i32 s14, s18
	v_cvt_f32_u32_e32 v2, s14
	s_sub_i32 s6, 0, s14
	v_and_b32_e32 v19, 24, v8
	s_add_i32 s15, s41, -1
	v_rcp_iflag_f32_e32 v2, v2
	s_mov_b32 s8, 0
	s_mov_b32 s9, s8
	;; [unrolled: 1-line block ×3, first 2 shown]
	v_mul_f32_e32 v2, 0x4f7ffffe, v2
	v_cvt_u32_f32_e32 v2, v2
	s_mov_b32 s18, s11
	s_mov_b32 s28, s11
	;; [unrolled: 1-line block ×3, first 2 shown]
	v_mul_lo_u32 v3, s6, v2
	v_mul_hi_u32 v3, v2, v3
	v_add_u32_e32 v20, v2, v3
	v_lshlrev_b32_e32 v2, 4, v0
	v_mov_b32_e32 v3, 0
	v_and_b32_e32 v2, 0x3f0, v2
	v_lshl_add_u64 v[8:9], s[0:1], 0, v[2:3]
	s_lshl_b64 s[0:1], s[26:27], 2
	s_add_u32 s0, s24, s0
	v_and_b32_e32 v2, 60, v10
	s_addc_u32 s1, s25, s1
	v_lshl_add_u64 v[10:11], s[0:1], 0, v[2:3]
	v_lshlrev_b32_e32 v2, 5, v18
	v_lshl_or_b32 v2, v1, 7, v2
	s_mov_b32 s31, s11
	s_mov_b32 s34, s11
	;; [unrolled: 1-line block ×4, first 2 shown]
	v_add_u32_e32 v21, 0x50, v2
	s_mov_b64 s[6:7], 0
	v_mov_b64_e32 v[6:7], s[8:9]
	s_mov_b32 s24, 0x5040100
	s_branch .LBB90_48
.LBB90_46:                              ;   in Loop: Header=BB90_48 Depth=1
	s_or_b64 exec, exec, s[0:1]
	s_waitcnt vmcnt(0)
	;;#ASMSTART
	v_pk_mul_f16 v2, v33, v2;

	;;#ASMEND
	;;#ASMSTART
	v_pk_mul_f16 v3, v32, v3;

	;;#ASMEND
	;; [unrolled: 4-line block ×4, first 2 shown]
	v_add_f32_e32 v12, v34, v35
	;;#ASMSTART
	v_pk_add_f16 v2, v2, v3;

	;;#ASMEND
	v_add_f32_e32 v6, v6, v12
	;;#ASMSTART
	v_pk_add_f16 v2, v2, v4;

	;;#ASMEND
	s_nop 0
	;;#ASMSTART
	v_pk_add_f16 v2, v2, v5;

	;;#ASMEND
	s_nop 0
	v_lshrrev_b32_e32 v3, 16, v2
	v_and_b32_e32 v2, 0xffff, v2
	;;#ASMSTART
	v_cvt_f32_f16 v2, v2;
	;;#ASMEND
	;;#ASMSTART
	v_cvt_f32_f16 v3, v3;
	;;#ASMEND
	s_nop 0
	v_add_f32_e32 v2, v2, v3
	v_add_f32_e32 v7, v7, v2
.LBB90_47:                              ;   in Loop: Header=BB90_48 Depth=1
	s_or_b64 exec, exec, s[8:9]
	v_add_u32_e32 v1, 2, v1
	v_cmp_le_i32_e32 vcc, s41, v1
	v_lshl_add_u64 v[10:11], v[10:11], 0, 8
	v_add_u32_e32 v14, 64, v14
	s_or_b64 s[6:7], vcc, s[6:7]
	v_add_u32_e32 v21, 0x100, v21
	s_andn2_b64 exec, exec, s[6:7]
	s_cbranch_execz .LBB90_53
.LBB90_48:                              ; =>This Inner Loop Header: Depth=1
	v_mul_hi_u32 v2, v14, s33
	v_mul_lo_u32 v3, v2, s21
	v_sub_u32_e32 v3, v14, v3
	v_add_u32_e32 v4, 1, v2
	v_cmp_le_u32_e32 vcc, s21, v3
	s_nop 1
	v_cndmask_b32_e32 v2, v2, v4, vcc
	v_subrev_u32_e32 v4, s21, v3
	v_cndmask_b32_e32 v3, v3, v4, vcc
	v_add_u32_e32 v4, 1, v2
	v_cmp_le_u32_e32 vcc, s21, v3
	s_nop 1
	v_cndmask_b32_e32 v2, v2, v4, vcc
	v_xor_b32_e32 v2, s19, v2
	v_subrev_u32_e32 v2, s19, v2
	v_add_u32_e32 v3, s40, v2
	v_sub_u32_e32 v5, 0, v3
	v_ashrrev_i32_e32 v4, 31, v3
	v_max_i32_e32 v3, v3, v5
	v_mul_hi_u32 v5, v3, v20
	v_mul_lo_u32 v5, v5, s14
	v_sub_u32_e32 v3, v3, v5
	v_subrev_u32_e32 v5, s14, v3
	v_cmp_le_u32_e32 vcc, s14, v3
	v_cmp_lt_i32_e64 s[0:1], s17, v2
	s_nop 0
	v_cndmask_b32_e32 v3, v3, v5, vcc
	v_subrev_u32_e32 v5, s14, v3
	v_cmp_le_u32_e32 vcc, s14, v3
	s_nop 1
	v_cndmask_b32_e32 v3, v3, v5, vcc
	v_xor_b32_e32 v3, v3, v4
	v_sub_u32_e32 v3, v3, v4
	v_cmp_eq_u32_e32 vcc, 0, v3
	s_or_b64 s[0:1], vcc, s[0:1]
	s_and_saveexec_b64 s[8:9], s[0:1]
	s_cbranch_execz .LBB90_47
; %bb.49:                               ;   in Loop: Header=BB90_48 Depth=1
	global_load_dword v12, v[10:11], off
	ds_read2_b64 v[2:5], v21 offset1:1
	ds_read2_b64 v[22:25], v21 offset0:2 offset1:3
	v_cmp_eq_u32_e32 vcc, s15, v1
	s_waitcnt lgkmcnt(1)
	;;#ASMSTART
	v_cvt_f16_f32 v30, v2;

	;;#ASMEND
	;;#ASMSTART
	v_cvt_f16_f32 v31, v3;

	;;#ASMEND
	;; [unrolled: 4-line block ×4, first 2 shown]
	s_waitcnt lgkmcnt(0)
	;;#ASMSTART
	v_cvt_f16_f32 v35, v22;

	;;#ASMEND
	;;#ASMSTART
	v_cvt_f16_f32 v36, v23;

	;;#ASMEND
	;; [unrolled: 4-line block ×4, first 2 shown]
	v_add_u32_e32 v22, v19, v14
	v_add_u32_e32 v23, 1, v22
	v_or_b32_e32 v25, 3, v22
	v_or_b32_e32 v24, 2, v22
	;; [unrolled: 1-line block ×6, first 2 shown]
	s_waitcnt vmcnt(0)
	v_mad_i64_i32 v[2:3], s[0:1], v12, s30, 0
	v_lshl_add_u64 v[12:13], v[2:3], 1, v[8:9]
	global_load_dwordx4 v[2:5], v[12:13], off
	s_and_saveexec_b64 s[12:13], vcc
	s_cbranch_execz .LBB90_51
; %bb.50:                               ;   in Loop: Header=BB90_48 Depth=1
	s_waitcnt vmcnt(0)
	v_lshrrev_b32_e32 v33, 16, v5
	v_cmp_gt_i32_e64 s[0:1], s36, v29
	s_nop 1
	v_cndmask_b32_e64 v33, 0, v33, s[0:1]
	v_cmp_gt_i32_e64 s[0:1], s35, v28
	s_nop 1
	v_cndmask_b32_e64 v5, 0, v5, s[0:1]
	v_perm_b32 v5, v33, v5, s24
	v_lshrrev_b32_e32 v33, 16, v4
	v_cmp_gt_i32_e64 s[0:1], s34, v27
	s_nop 1
	v_cndmask_b32_e64 v33, 0, v33, s[0:1]
	v_cmp_gt_i32_e64 s[0:1], s31, v26
	s_nop 1
	v_cndmask_b32_e64 v4, 0, v4, s[0:1]
	v_perm_b32 v4, v33, v4, s24
	;; [unrolled: 8-line block ×4, first 2 shown]
.LBB90_51:                              ;   in Loop: Header=BB90_48 Depth=1
	s_or_b64 exec, exec, s[12:13]
	v_and_b32_e32 v30, 0xffff, v30
	v_lshl_or_b32 v33, v31, 16, v30
	v_and_b32_e32 v30, 0xffff, v32
	v_lshl_or_b32 v32, v34, 16, v30
	;; [unrolled: 2-line block ×3, first 2 shown]
	v_and_b32_e32 v30, 0xffff, v37
	s_waitcnt vmcnt(0)
	;;#ASMSTART
	v_pk_mul_f16 v2, v33, v2;

	;;#ASMEND
	v_lshl_or_b32 v30, v38, 16, v30
	;;#ASMSTART
	v_pk_mul_f16 v3, v32, v3;

	;;#ASMEND
	;;#ASMSTART
	v_pk_mul_f16 v4, v31, v4;

	;;#ASMEND
	;; [unrolled: 4-line block ×3, first 2 shown]
	s_nop 0
	;;#ASMSTART
	v_pk_add_f16 v2, v2, v3;

	;;#ASMEND
	s_nop 0
	;;#ASMSTART
	v_pk_add_f16 v2, v2, v4;

	;;#ASMEND
	;; [unrolled: 5-line block ×3, first 2 shown]
	s_nop 0
	v_lshrrev_b32_e32 v3, 16, v2
	v_and_b32_e32 v2, 0xffff, v2
	;;#ASMSTART
	v_cvt_f32_f16 v34, v2;
	;;#ASMEND
	;;#ASMSTART
	v_cvt_f32_f16 v35, v3;
	;;#ASMEND
	global_load_dwordx4 v[2:5], v[12:13], off offset:1024
	s_and_saveexec_b64 s[0:1], vcc
	s_cbranch_execz .LBB90_46
; %bb.52:                               ;   in Loop: Header=BB90_48 Depth=1
	s_waitcnt vmcnt(0)
	v_lshrrev_b32_e32 v12, 16, v5
	v_cmp_gt_i32_e32 vcc, s36, v29
	s_nop 1
	v_cndmask_b32_e32 v12, 0, v12, vcc
	v_cmp_gt_i32_e32 vcc, s35, v28
	s_nop 1
	v_cndmask_b32_e32 v5, 0, v5, vcc
	v_perm_b32 v5, v12, v5, s24
	v_lshrrev_b32_e32 v12, 16, v4
	v_cmp_gt_i32_e32 vcc, s34, v27
	s_nop 1
	v_cndmask_b32_e32 v12, 0, v12, vcc
	v_cmp_gt_i32_e32 vcc, s31, v26
	s_nop 1
	v_cndmask_b32_e32 v4, 0, v4, vcc
	v_perm_b32 v4, v12, v4, s24
	;; [unrolled: 8-line block ×4, first 2 shown]
	s_branch .LBB90_46
.LBB90_53:
	s_or_b64 exec, exec, s[6:7]
.LBB90_54:
	s_or_b64 exec, exec, s[2:3]
	ds_bpermute_b32 v2, v16, v6
	ds_bpermute_b32 v3, v16, v7
	v_and_b32_e32 v1, 0x3c3, v0
	v_cmp_eq_u32_e32 vcc, 64, v1
	s_waitcnt lgkmcnt(0)
	s_barrier
	v_pk_add_f32 v[2:3], v[6:7], v[2:3]
	ds_bpermute_b32 v4, v17, v2
	ds_bpermute_b32 v5, v17, v3
	s_waitcnt lgkmcnt(0)
	v_pk_add_f32 v[2:3], v[2:3], v[4:5]
	s_and_saveexec_b64 s[0:1], vcc
	s_cbranch_execz .LBB90_56
; %bb.55:
	v_add_u32_e32 v5, 0x50, v15
	v_add_u32_e32 v4, 0x50, v0
	ds_write_b32 v5, v2
	ds_write_b32 v4, v3
.LBB90_56:
	s_or_b64 exec, exec, s[0:1]
	v_cmp_gt_u32_e32 vcc, 64, v0
	s_waitcnt lgkmcnt(0)
	s_barrier
	s_and_saveexec_b64 s[0:1], vcc
	s_cbranch_execz .LBB90_62
; %bb.57:
	v_cmp_eq_u32_e32 vcc, 0, v18
	v_lshrrev_b32_e32 v4, 2, v0
	s_and_saveexec_b64 s[2:3], vcc
	s_cbranch_execz .LBB90_59
; %bb.58:
	v_mov_b32_e32 v5, 0x50
	v_lshl_add_u32 v5, v4, 2, v5
	ds_read_b32 v5, v5
	s_waitcnt lgkmcnt(0)
	v_add_f32_e32 v2, v2, v5
.LBB90_59:
	s_or_b64 exec, exec, s[2:3]
	s_and_saveexec_b64 s[2:3], vcc
	s_cbranch_execz .LBB90_61
; %bb.60:
	v_mov_b32_e32 v5, 0x50
	v_lshl_add_u32 v4, v4, 2, v5
	ds_read_b32 v4, v4 offset:64
	s_waitcnt lgkmcnt(0)
	v_add_f32_e32 v3, v3, v4
.LBB90_61:
	s_or_b64 exec, exec, s[2:3]
.LBB90_62:
	s_or_b64 exec, exec, s[0:1]
	v_cmp_eq_u32_e32 vcc, 0, v1
	s_barrier
	s_and_saveexec_b64 s[0:1], vcc
	s_cbranch_execz .LBB90_64
; %bb.63:
	s_mul_i32 s0, s10, s16
	s_mul_i32 s0, s0, s5
	s_lshl_b32 s0, s0, 5
	s_ashr_i32 s1, s0, 31
	s_lshl_b64 s[0:1], s[0:1], 1
	s_add_u32 s2, s22, s0
	s_mul_i32 s0, s16, s20
	s_addc_u32 s3, s23, s1
	s_ashr_i32 s1, s0, 31
	s_lshl_b64 s[0:1], s[0:1], 1
	s_add_u32 s2, s2, s0
	s_addc_u32 s3, s3, s1
	s_lshl_b32 s0, s4, 5
	s_ashr_i32 s1, s0, 31
	s_lshl_b64 s[0:1], s[0:1], 1
	s_add_u32 s0, s2, s0
	s_addc_u32 s1, s3, s1
	v_lshrrev_b32_e32 v0, 1, v0
	;;#ASMSTART
	v_cvt_f16_f32 v1, v2;

	;;#ASMEND
	global_store_short v0, v1, s[0:1]
	;;#ASMSTART
	v_cvt_f16_f32 v1, v3;

	;;#ASMEND
	global_store_short v0, v1, s[0:1] offset:32
.LBB90_64:
	s_endpgm
	.section	.rodata,"a",@progbits
	.p2align	6, 0x0
	.amdhsa_kernel _ZN4vllm25paged_attention_v1_kernelIttLi32ELi32ELi128ELNS_18Fp8KVCacheDataTypeE0ELb1EEEvPT_PKS2_PKT0_S8_ifPKiSA_iPKfiiiSC_SC_iiiii
		.amdhsa_group_segment_fixed_size 80
		.amdhsa_private_segment_fixed_size 0
		.amdhsa_kernarg_size 384
		.amdhsa_user_sgpr_count 2
		.amdhsa_user_sgpr_dispatch_ptr 0
		.amdhsa_user_sgpr_queue_ptr 0
		.amdhsa_user_sgpr_kernarg_segment_ptr 1
		.amdhsa_user_sgpr_dispatch_id 0
		.amdhsa_user_sgpr_kernarg_preload_length 0
		.amdhsa_user_sgpr_kernarg_preload_offset 0
		.amdhsa_user_sgpr_private_segment_size 0
		.amdhsa_uses_dynamic_stack 0
		.amdhsa_enable_private_segment 0
		.amdhsa_system_sgpr_workgroup_id_x 1
		.amdhsa_system_sgpr_workgroup_id_y 1
		.amdhsa_system_sgpr_workgroup_id_z 1
		.amdhsa_system_sgpr_workgroup_info 0
		.amdhsa_system_vgpr_workitem_id 0
		.amdhsa_next_free_vgpr 49
		.amdhsa_next_free_sgpr 44
		.amdhsa_accum_offset 52
		.amdhsa_reserve_vcc 1
		.amdhsa_float_round_mode_32 0
		.amdhsa_float_round_mode_16_64 0
		.amdhsa_float_denorm_mode_32 3
		.amdhsa_float_denorm_mode_16_64 3
		.amdhsa_dx10_clamp 1
		.amdhsa_ieee_mode 1
		.amdhsa_fp16_overflow 0
		.amdhsa_tg_split 0
		.amdhsa_exception_fp_ieee_invalid_op 0
		.amdhsa_exception_fp_denorm_src 0
		.amdhsa_exception_fp_ieee_div_zero 0
		.amdhsa_exception_fp_ieee_overflow 0
		.amdhsa_exception_fp_ieee_underflow 0
		.amdhsa_exception_fp_ieee_inexact 0
		.amdhsa_exception_int_div_zero 0
	.end_amdhsa_kernel
	.section	.text._ZN4vllm25paged_attention_v1_kernelIttLi32ELi32ELi128ELNS_18Fp8KVCacheDataTypeE0ELb1EEEvPT_PKS2_PKT0_S8_ifPKiSA_iPKfiiiSC_SC_iiiii,"axG",@progbits,_ZN4vllm25paged_attention_v1_kernelIttLi32ELi32ELi128ELNS_18Fp8KVCacheDataTypeE0ELb1EEEvPT_PKS2_PKT0_S8_ifPKiSA_iPKfiiiSC_SC_iiiii,comdat
.Lfunc_end90:
	.size	_ZN4vllm25paged_attention_v1_kernelIttLi32ELi32ELi128ELNS_18Fp8KVCacheDataTypeE0ELb1EEEvPT_PKS2_PKT0_S8_ifPKiSA_iPKfiiiSC_SC_iiiii, .Lfunc_end90-_ZN4vllm25paged_attention_v1_kernelIttLi32ELi32ELi128ELNS_18Fp8KVCacheDataTypeE0ELb1EEEvPT_PKS2_PKT0_S8_ifPKiSA_iPKfiiiSC_SC_iiiii
                                        ; -- End function
	.section	.AMDGPU.csdata,"",@progbits
; Kernel info:
; codeLenInByte = 5088
; NumSgprs: 50
; NumVgprs: 49
; NumAgprs: 0
; TotalNumVgprs: 49
; ScratchSize: 0
; MemoryBound: 0
; FloatMode: 240
; IeeeMode: 1
; LDSByteSize: 80 bytes/workgroup (compile time only)
; SGPRBlocks: 6
; VGPRBlocks: 6
; NumSGPRsForWavesPerEU: 50
; NumVGPRsForWavesPerEU: 49
; AccumOffset: 52
; Occupancy: 8
; WaveLimiterHint : 1
; COMPUTE_PGM_RSRC2:SCRATCH_EN: 0
; COMPUTE_PGM_RSRC2:USER_SGPR: 2
; COMPUTE_PGM_RSRC2:TRAP_HANDLER: 0
; COMPUTE_PGM_RSRC2:TGID_X_EN: 1
; COMPUTE_PGM_RSRC2:TGID_Y_EN: 1
; COMPUTE_PGM_RSRC2:TGID_Z_EN: 1
; COMPUTE_PGM_RSRC2:TIDIG_COMP_CNT: 0
; COMPUTE_PGM_RSRC3_GFX90A:ACCUM_OFFSET: 12
; COMPUTE_PGM_RSRC3_GFX90A:TG_SPLIT: 0
	.section	.text._ZN4vllm25paged_attention_v1_kernelIttLi64ELi32ELi128ELNS_18Fp8KVCacheDataTypeE0ELb1EEEvPT_PKS2_PKT0_S8_ifPKiSA_iPKfiiiSC_SC_iiiii,"axG",@progbits,_ZN4vllm25paged_attention_v1_kernelIttLi64ELi32ELi128ELNS_18Fp8KVCacheDataTypeE0ELb1EEEvPT_PKS2_PKT0_S8_ifPKiSA_iPKfiiiSC_SC_iiiii,comdat
	.protected	_ZN4vllm25paged_attention_v1_kernelIttLi64ELi32ELi128ELNS_18Fp8KVCacheDataTypeE0ELb1EEEvPT_PKS2_PKT0_S8_ifPKiSA_iPKfiiiSC_SC_iiiii ; -- Begin function _ZN4vllm25paged_attention_v1_kernelIttLi64ELi32ELi128ELNS_18Fp8KVCacheDataTypeE0ELb1EEEvPT_PKS2_PKT0_S8_ifPKiSA_iPKfiiiSC_SC_iiiii
	.globl	_ZN4vllm25paged_attention_v1_kernelIttLi64ELi32ELi128ELNS_18Fp8KVCacheDataTypeE0ELb1EEEvPT_PKS2_PKT0_S8_ifPKiSA_iPKfiiiSC_SC_iiiii
	.p2align	8
	.type	_ZN4vllm25paged_attention_v1_kernelIttLi64ELi32ELi128ELNS_18Fp8KVCacheDataTypeE0ELb1EEEvPT_PKS2_PKT0_S8_ifPKiSA_iPKfiiiSC_SC_iiiii,@function
_ZN4vllm25paged_attention_v1_kernelIttLi64ELi32ELi128ELNS_18Fp8KVCacheDataTypeE0ELb1EEEvPT_PKS2_PKT0_S8_ifPKiSA_iPKfiiiSC_SC_iiiii: ; @_ZN4vllm25paged_attention_v1_kernelIttLi64ELi32ELi128ELNS_18Fp8KVCacheDataTypeE0ELb1EEEvPT_PKS2_PKT0_S8_ifPKiSA_iPKfiiiSC_SC_iiiii
; %bb.0:
	s_load_dword s5, s[0:1], 0x80
	s_load_dwordx2 s[6:7], s[0:1], 0x30
	s_load_dwordx2 s[30:31], s[0:1], 0x20
	s_mov_b32 s10, s3
	s_ashr_i32 s11, s3, 31
	s_lshl_b64 s[8:9], s[10:11], 2
	s_waitcnt lgkmcnt(0)
	s_add_u32 s6, s6, s8
	s_addc_u32 s7, s7, s9
	s_abs_i32 s3, s30
	v_cvt_f32_u32_e32 v1, s3
	s_sub_i32 s11, 0, s3
	s_abs_i32 s9, s5
	s_xor_b32 s8, s5, s30
	v_rcp_iflag_f32_e32 v1, v1
	s_ashr_i32 s8, s8, 31
	s_mov_b32 s42, 0
	v_mul_f32_e32 v1, 0x4f7ffffe, v1
	v_cvt_u32_f32_e32 v1, v1
	s_nop 0
	v_readfirstlane_b32 s12, v1
	s_mul_i32 s11, s11, s12
	s_mul_hi_u32 s11, s12, s11
	s_add_i32 s12, s12, s11
	s_mul_hi_u32 s11, s9, s12
	s_mul_i32 s12, s11, s3
	s_sub_i32 s9, s9, s12
	s_add_i32 s12, s11, 1
	s_sub_i32 s13, s9, s3
	s_cmp_ge_u32 s9, s3
	s_cselect_b32 s11, s12, s11
	s_cselect_b32 s9, s13, s9
	s_add_i32 s12, s11, 1
	s_cmp_ge_u32 s9, s3
	s_cselect_b32 s3, s12, s11
	s_xor_b32 s3, s3, s8
	s_sub_i32 s12, s3, s8
	s_abs_i32 s11, s12
	v_cvt_f32_u32_e32 v1, s11
	s_load_dwordx2 s[8:9], s[0:1], 0x40
	s_sub_i32 s3, 0, s11
	s_abs_i32 s22, s2
	v_rcp_iflag_f32_e32 v1, v1
	s_nop 0
	v_mul_f32_e32 v1, 0x4f7ffffe, v1
	v_cvt_u32_f32_e32 v1, v1
	s_nop 0
	v_readfirstlane_b32 s13, v1
	s_mul_i32 s3, s3, s13
	s_mul_hi_u32 s3, s13, s3
	s_add_i32 s13, s13, s3
	s_waitcnt lgkmcnt(0)
	s_cmp_eq_u64 s[8:9], 0
	s_mul_hi_u32 s23, s22, s13
	s_cbranch_scc1 .LBB91_2
; %bb.1:
	s_ashr_i32 s3, s2, 31
	s_lshl_b64 s[14:15], s[2:3], 2
	s_add_u32 s8, s8, s14
	s_addc_u32 s9, s9, s15
	s_load_dword s42, s[8:9], 0x0
.LBB91_2:
	s_load_dword s33, s[6:7], 0x0
	s_ashr_i32 s9, s12, 31
	s_load_dwordx4 s[12:15], s[0:1], 0x48
	s_ashr_i32 s3, s2, 31
	v_and_b32_e32 v4, 1, v0
	s_lshl_b32 s20, s2, 6
	v_cmp_gt_u32_e32 vcc, 16, v0
	v_lshlrev_b32_e32 v25, 3, v0
	s_and_saveexec_b64 s[6:7], vcc
	s_cbranch_execz .LBB91_4
; %bb.3:
	s_load_dwordx2 s[16:17], s[0:1], 0x8
	s_waitcnt lgkmcnt(0)
	s_mul_i32 s18, s10, s12
	s_ashr_i32 s19, s18, 31
	s_lshl_b64 s[18:19], s[18:19], 1
	v_lshlrev_b32_e32 v1, 2, v0
	s_add_u32 s8, s16, s18
	s_addc_u32 s12, s17, s19
	s_ashr_i32 s21, s20, 31
	s_lshl_b64 s[16:17], s[20:21], 1
	s_add_u32 s16, s8, s16
	s_addc_u32 s17, s12, s17
	global_load_dwordx2 v[2:3], v25, s[16:17]
	v_and_b32_e32 v1, 0xff8, v1
	v_lshl_add_u32 v1, v4, 6, v1
	s_waitcnt vmcnt(0)
	ds_write_b64 v1, v[2:3]
.LBB91_4:
	s_or_b64 exec, exec, s[6:7]
	s_mul_i32 s6, s23, s11
	s_sub_i32 s6, s22, s6
	s_xor_b32 s3, s3, s9
	s_add_i32 s7, s23, 1
	s_sub_i32 s9, s6, s11
	s_load_dwordx4 s[16:19], s[0:1], 0x68
	s_load_dword s8, s[0:1], 0x78
	s_cmp_ge_u32 s6, s11
	s_cselect_b32 s7, s7, s23
	s_cselect_b32 s6, s9, s6
	s_add_i32 s9, s7, 1
	s_cmp_ge_u32 s6, s11
	s_cselect_b32 s6, s9, s7
	s_waitcnt lgkmcnt(0)
	s_abs_i32 s21, s19
	v_cvt_f32_u32_e32 v1, s21
	s_xor_b32 s6, s6, s3
	s_sub_i32 s3, s6, s3
	s_sub_i32 s6, 0, s21
	v_rcp_iflag_f32_e32 v1, v1
	s_add_i32 s11, s33, -1
	s_abs_i32 s9, s11
	v_mul_f32_e32 v1, 0x4f7ffffe, v1
	v_cvt_u32_f32_e32 v1, v1
	s_barrier
	v_readfirstlane_b32 s40, v1
	s_mul_i32 s6, s6, s40
	s_mul_hi_u32 s6, s40, s6
	s_add_i32 s40, s40, s6
	s_cmp_lt_i32 s8, 0
	s_mul_hi_u32 s12, s9, s40
	s_cbranch_scc0 .LBB91_6
; %bb.5:
	s_mul_i32 s6, s16, s30
	s_add_i32 s6, s3, s6
	s_mul_i32 s6, s6, s8
	s_sub_i32 s41, 1, s6
	s_mov_b64 s[6:7], 0
	s_branch .LBB91_7
.LBB91_6:
	s_mov_b64 s[6:7], -1
                                        ; implicit-def: $sgpr41
.LBB91_7:
	s_load_dwordx2 s[24:25], s[0:1], 0x28
	s_ashr_i32 s15, s11, 31
	s_andn2_b64 vcc, exec, s[6:7]
	s_ashr_i32 s19, s19, 31
	s_cbranch_vccnz .LBB91_9
; %bb.8:
	s_mul_i32 s6, s5, s16
	s_add_i32 s2, s6, s2
	s_mul_i32 s2, s2, s8
	s_add_i32 s41, s2, 1
.LBB91_9:
	s_load_dword s2, s[0:1], 0x38
	s_load_dwordx2 s[22:23], s[0:1], 0x0
	s_load_dwordx2 s[28:29], s[0:1], 0x18
	s_load_dword s11, s[0:1], 0x88
	s_xor_b32 s6, s15, s19
	s_waitcnt lgkmcnt(0)
	s_mul_i32 s26, s10, s2
	s_mul_i32 s2, s12, s21
	s_sub_i32 s2, s9, s2
	s_ashr_i32 s27, s26, 31
	s_add_i32 s7, s12, 1
	s_sub_i32 s8, s2, s21
	s_cmp_ge_u32 s2, s21
	s_cselect_b32 s7, s7, s12
	s_cselect_b32 s2, s8, s2
	s_add_i32 s8, s7, 1
	s_cmp_ge_u32 s2, s21
	s_cselect_b32 s2, s8, s7
	s_xor_b32 s2, s2, s6
	s_sub_i32 s12, s2, s6
	s_add_i32 s2, s33, 31
	s_ashr_i32 s6, s2, 31
	s_lshr_b32 s6, s6, 27
	s_add_i32 s2, s2, s6
	s_ashr_i32 s16, s2, 5
	v_lshrrev_b32_e32 v1, 6, v0
	v_cmp_gt_i32_e64 s[6:7], s16, v1
	v_mov_b32_e32 v30, 0xff7fffff
	s_mul_i32 s14, s3, s14
	v_lshrrev_b32_e32 v26, 4, v0
	v_lshlrev_b32_e32 v24, 5, v1
	v_mbcnt_lo_u32_b32 v27, -1, 0
	s_and_saveexec_b64 s[34:35], s[6:7]
	s_cbranch_execz .LBB91_19
; %bb.10:
	s_load_dwordx2 s[0:1], s[0:1], 0x10
	s_ashr_i32 s15, s14, 31
	s_sub_i32 s30, s12, s17
	s_lshl_b64 s[2:3], s[14:15], 1
	v_bfe_u32 v28, v0, 1, 5
	s_waitcnt lgkmcnt(0)
	s_add_u32 s0, s0, s2
	s_addc_u32 s1, s1, s3
	s_abs_i32 s15, s18
	v_cvt_f32_u32_e32 v2, s15
	v_lshlrev_b32_e32 v6, 4, v28
	v_mov_b32_e32 v7, 0
	v_cmp_eq_u32_e32 vcc, 0, v4
	v_rcp_iflag_f32_e32 v5, v2
	v_lshl_add_u64 v[2:3], s[0:1], 0, v[6:7]
	s_sub_i32 s0, 0, s15
	v_lshlrev_b32_e32 v29, 6, v4
	v_mul_f32_e32 v5, 0x4f7ffffe, v5
	v_cvt_u32_f32_e32 v5, v5
	v_and_b32_e32 v6, 8, v25
	v_lshl_add_u64 v[2:3], v[2:3], 0, v[6:7]
	v_and_b32_e32 v6, 60, v26
	v_mul_lo_u32 v4, s0, v5
	s_lshl_b64 s[0:1], s[26:27], 2
	s_add_u32 s0, s24, s0
	v_mul_hi_u32 v4, v5, v4
	s_addc_u32 s1, s25, s1
	v_add_u32_e32 v31, v5, v4
	v_lshl_add_u64 v[4:5], s[0:1], 0, v[6:7]
	v_lshlrev_b32_e32 v6, 2, v28
	v_lshl_or_b32 v6, v1, 7, v6
	v_add_u32_e32 v33, 0x90, v6
	v_subrev_u32_e32 v6, s33, v28
	v_mbcnt_hi_u32_b32 v36, -1, v27
	v_add_u32_e32 v34, 1, v6
	v_and_b32_e32 v6, 64, v36
	s_mov_b32 s43, s13
	v_cmp_neq_f32_e64 s[2:3], s42, 0
	v_lshlrev_b32_e32 v32, 5, v1
	s_mov_b64 s[36:37], 0
	v_mov_b32_e32 v35, 0xff7fffff
	v_xor_b32_e32 v37, 1, v36
	v_add_u32_e32 v38, 64, v6
	v_mov_b32_e32 v30, 0xff7fffff
	v_mov_b32_e32 v39, v1
	s_branch .LBB91_13
.LBB91_11:                              ;   in Loop: Header=BB91_13 Depth=1
	s_or_b64 exec, exec, s[38:39]
.LBB91_12:                              ;   in Loop: Header=BB91_13 Depth=1
	s_or_b64 exec, exec, s[8:9]
	v_add_u32_e32 v39, 2, v39
	v_cmp_le_i32_e64 s[0:1], s16, v39
	v_lshl_add_u64 v[4:5], v[4:5], 0, 8
	v_add_u32_e32 v32, 64, v32
	s_or_b64 s[36:37], s[0:1], s[36:37]
	v_add_u32_e32 v33, 0x100, v33
	s_andn2_b64 exec, exec, s[36:37]
	s_cbranch_execz .LBB91_18
.LBB91_13:                              ; =>This Inner Loop Header: Depth=1
	v_mul_hi_u32 v6, v32, s40
	s_waitcnt lgkmcnt(0)
	v_mul_lo_u32 v7, v6, s21
	v_sub_u32_e32 v7, v32, v7
	v_add_u32_e32 v8, 1, v6
	v_cmp_le_u32_e64 s[0:1], s21, v7
	s_nop 1
	v_cndmask_b32_e64 v6, v6, v8, s[0:1]
	v_subrev_u32_e32 v8, s21, v7
	v_cndmask_b32_e64 v7, v7, v8, s[0:1]
	v_add_u32_e32 v8, 1, v6
	v_cmp_le_u32_e64 s[0:1], s21, v7
	s_nop 1
	v_cndmask_b32_e64 v6, v6, v8, s[0:1]
	v_xor_b32_e32 v6, s19, v6
	v_subrev_u32_e32 v6, s19, v6
	v_add_u32_e32 v7, s41, v6
	v_sub_u32_e32 v9, 0, v7
	v_ashrrev_i32_e32 v8, 31, v7
	v_max_i32_e32 v7, v7, v9
	v_mul_hi_u32 v9, v7, v31
	v_mul_lo_u32 v9, v9, s15
	v_sub_u32_e32 v7, v7, v9
	v_subrev_u32_e32 v9, s15, v7
	v_cmp_le_u32_e64 s[0:1], s15, v7
	v_cmp_ge_i32_e64 s[8:9], s30, v6
	s_nop 0
	v_cndmask_b32_e64 v7, v7, v9, s[0:1]
	v_subrev_u32_e32 v9, s15, v7
	v_cmp_le_u32_e64 s[0:1], s15, v7
	s_nop 1
	v_cndmask_b32_e64 v7, v7, v9, s[0:1]
	v_xor_b32_e32 v7, v7, v8
	v_sub_u32_e32 v7, v7, v8
	v_cmp_ne_u32_e64 s[0:1], 0, v7
	s_and_b64 s[0:1], s[0:1], s[8:9]
	s_and_b64 s[38:39], vcc, s[0:1]
	s_and_saveexec_b64 s[8:9], s[38:39]
	s_cbranch_execz .LBB91_15
; %bb.14:                               ;   in Loop: Header=BB91_13 Depth=1
	ds_write_b32 v33, v35
.LBB91_15:                              ;   in Loop: Header=BB91_13 Depth=1
	s_or_b64 exec, exec, s[8:9]
	s_xor_b64 s[0:1], s[0:1], -1
	s_and_saveexec_b64 s[8:9], s[0:1]
	s_cbranch_execz .LBB91_12
; %bb.16:                               ;   in Loop: Header=BB91_13 Depth=1
	global_load_dword v6, v[4:5], off
	s_waitcnt vmcnt(0)
	v_mad_i64_i32 v[6:7], s[0:1], v6, s43, 0
	v_lshl_add_u64 v[22:23], v[6:7], 1, v[2:3]
	global_load_dwordx2 v[20:21], v[22:23], off
	global_load_dwordx2 v[18:19], v[22:23], off offset:512
	global_load_dwordx2 v[16:17], v[22:23], off offset:1024
	;; [unrolled: 1-line block ×7, first 2 shown]
	ds_read_b64 v[22:23], v29
	v_cmp_lt_i32_e64 s[0:1], v37, v38
	s_waitcnt lgkmcnt(0)
	v_lshrrev_b32_e32 v41, 16, v22
	v_and_b32_e32 v22, 0xffff, v22
	v_lshrrev_b32_e32 v42, 16, v23
	v_and_b32_e32 v23, 0xffff, v23
	;;#ASMSTART
	v_cvt_f32_f16 v22, v22;
	;;#ASMEND
	;;#ASMSTART
	v_cvt_f32_f16 v41, v41;
	;;#ASMEND
	v_cndmask_b32_e64 v40, v36, v37, s[0:1]
	s_waitcnt vmcnt(7)
	v_lshrrev_b32_e32 v43, 16, v20
	v_and_b32_e32 v20, 0xffff, v20
	v_lshrrev_b32_e32 v44, 16, v21
	v_and_b32_e32 v21, 0xffff, v21
	;;#ASMSTART
	v_cvt_f32_f16 v20, v20;
	;;#ASMEND
	;;#ASMSTART
	v_cvt_f32_f16 v43, v43;
	;;#ASMEND
	s_waitcnt vmcnt(1)
	v_lshrrev_b32_e32 v55, 16, v8
	v_and_b32_e32 v56, 0xffff, v8
	v_lshrrev_b32_e32 v57, 16, v9
	v_and_b32_e32 v58, 0xffff, v9
	;;#ASMSTART
	v_cvt_f32_f16 v23, v23;
	;;#ASMEND
	;;#ASMSTART
	v_cvt_f32_f16 v42, v42;
	;;#ASMEND
	;; [unrolled: 3-line block ×4, first 2 shown]
	ds_read_b64 v[8:9], v29 offset:8
	v_lshrrev_b32_e32 v45, 16, v18
	v_and_b32_e32 v18, 0xffff, v18
	v_lshrrev_b32_e32 v46, 16, v19
	v_and_b32_e32 v19, 0xffff, v19
	s_waitcnt vmcnt(0)
	v_lshrrev_b32_e32 v59, 16, v6
	v_and_b32_e32 v60, 0xffff, v6
	v_lshrrev_b32_e32 v61, 16, v7
	v_and_b32_e32 v62, 0xffff, v7
	s_waitcnt lgkmcnt(0)
	v_lshrrev_b32_e32 v6, 16, v8
	v_and_b32_e32 v7, 0xffff, v8
	v_lshrrev_b32_e32 v8, 16, v9
	v_and_b32_e32 v9, 0xffff, v9
	;;#ASMSTART
	v_cvt_f32_f16 v63, v7;
	;;#ASMEND
	;;#ASMSTART
	v_cvt_f32_f16 v64, v6;
	;;#ASMEND
	;; [unrolled: 3-line block ×8, first 2 shown]
	ds_read_b64 v[6:7], v29 offset:16
	v_mul_f32_e32 v18, v63, v18
	v_lshrrev_b32_e32 v47, 16, v16
	v_and_b32_e32 v16, 0xffff, v16
	v_lshrrev_b32_e32 v48, 16, v17
	v_and_b32_e32 v17, 0xffff, v17
	v_mul_f32_e32 v45, v64, v45
	v_mul_f32_e32 v9, v9, v19
	v_fmac_f32_e32 v18, v22, v20
	s_waitcnt lgkmcnt(0)
	v_lshrrev_b32_e32 v19, 16, v6
	v_and_b32_e32 v6, 0xffff, v6
	v_lshrrev_b32_e32 v20, 16, v7
	v_and_b32_e32 v7, 0xffff, v7
	v_fmac_f32_e32 v45, v41, v43
	v_fmac_f32_e32 v9, v23, v21
	;;#ASMSTART
	v_cvt_f32_f16 v21, v6;
	;;#ASMEND
	;;#ASMSTART
	v_cvt_f32_f16 v19, v19;
	;;#ASMEND
	;; [unrolled: 3-line block ×8, first 2 shown]
	ds_read_b64 v[6:7], v29 offset:24
	v_mul_f32_e32 v8, v8, v46
	v_lshrrev_b32_e32 v49, 16, v14
	v_and_b32_e32 v14, 0xffff, v14
	v_lshrrev_b32_e32 v50, 16, v15
	v_and_b32_e32 v15, 0xffff, v15
	v_fmac_f32_e32 v8, v42, v44
	v_fmac_f32_e32 v18, v21, v16
	;; [unrolled: 1-line block ×3, first 2 shown]
	s_waitcnt lgkmcnt(0)
	v_lshrrev_b32_e32 v16, 16, v6
	v_and_b32_e32 v6, 0xffff, v6
	v_lshrrev_b32_e32 v17, 16, v7
	v_and_b32_e32 v7, 0xffff, v7
	v_fmac_f32_e32 v45, v19, v22
	v_fmac_f32_e32 v8, v20, v41
	;;#ASMSTART
	v_cvt_f32_f16 v19, v6;
	;;#ASMEND
	;;#ASMSTART
	v_cvt_f32_f16 v16, v16;
	;;#ASMEND
	;; [unrolled: 3-line block ×8, first 2 shown]
	ds_read_b64 v[6:7], v29 offset:32
	v_lshrrev_b32_e32 v51, 16, v12
	v_and_b32_e32 v12, 0xffff, v12
	v_lshrrev_b32_e32 v52, 16, v13
	v_and_b32_e32 v13, 0xffff, v13
	v_fmac_f32_e32 v18, v19, v14
	v_fmac_f32_e32 v9, v21, v15
	s_waitcnt lgkmcnt(0)
	v_lshrrev_b32_e32 v14, 16, v6
	v_and_b32_e32 v6, 0xffff, v6
	v_lshrrev_b32_e32 v15, 16, v7
	v_and_b32_e32 v7, 0xffff, v7
	v_fmac_f32_e32 v45, v16, v20
	v_fmac_f32_e32 v8, v17, v22
	;;#ASMSTART
	v_cvt_f32_f16 v16, v6;
	;;#ASMEND
	;;#ASMSTART
	v_cvt_f32_f16 v14, v14;
	;;#ASMEND
	;; [unrolled: 3-line block ×8, first 2 shown]
	ds_read_b64 v[6:7], v29 offset:40
	v_lshrrev_b32_e32 v53, 16, v10
	v_and_b32_e32 v10, 0xffff, v10
	v_lshrrev_b32_e32 v54, 16, v11
	v_and_b32_e32 v11, 0xffff, v11
	v_fmac_f32_e32 v18, v16, v12
	v_fmac_f32_e32 v9, v19, v13
	s_waitcnt lgkmcnt(0)
	v_lshrrev_b32_e32 v12, 16, v6
	v_and_b32_e32 v6, 0xffff, v6
	v_lshrrev_b32_e32 v13, 16, v7
	v_and_b32_e32 v7, 0xffff, v7
	v_fmac_f32_e32 v45, v14, v17
	v_fmac_f32_e32 v8, v15, v20
	;;#ASMSTART
	v_cvt_f32_f16 v14, v6;
	;;#ASMEND
	;;#ASMSTART
	v_cvt_f32_f16 v12, v12;
	;;#ASMEND
	;; [unrolled: 3-line block ×8, first 2 shown]
	ds_read_b64 v[6:7], v29 offset:48
	v_fmac_f32_e32 v18, v14, v10
	v_fmac_f32_e32 v9, v16, v11
	;; [unrolled: 1-line block ×4, first 2 shown]
	s_waitcnt lgkmcnt(0)
	v_lshrrev_b32_e32 v10, 16, v6
	v_and_b32_e32 v6, 0xffff, v6
	v_lshrrev_b32_e32 v11, 16, v7
	v_and_b32_e32 v7, 0xffff, v7
	;;#ASMSTART
	v_cvt_f32_f16 v12, v6;
	;;#ASMEND
	;;#ASMSTART
	v_cvt_f32_f16 v10, v10;
	;;#ASMEND
	;; [unrolled: 3-line block ×8, first 2 shown]
	ds_read_b64 v[6:7], v29 offset:56
	v_fmac_f32_e32 v18, v12, v13
	v_fmac_f32_e32 v45, v10, v14
	;; [unrolled: 1-line block ×4, first 2 shown]
	s_waitcnt lgkmcnt(0)
	v_lshrrev_b32_e32 v10, 16, v6
	v_and_b32_e32 v6, 0xffff, v6
	v_lshrrev_b32_e32 v11, 16, v7
	v_and_b32_e32 v7, 0xffff, v7
	;;#ASMSTART
	v_cvt_f32_f16 v6, v6;
	;;#ASMEND
	;;#ASMSTART
	v_cvt_f32_f16 v10, v10;
	;;#ASMEND
	;; [unrolled: 3-line block ×8, first 2 shown]
	s_nop 0
	v_fmac_f32_e32 v18, v6, v12
	v_fmac_f32_e32 v45, v10, v13
	;; [unrolled: 1-line block ×3, first 2 shown]
	v_add_f32_e32 v6, v18, v45
	v_fmac_f32_e32 v8, v11, v15
	v_add_f32_e32 v6, v6, v9
	v_add_f32_e32 v6, v8, v6
	v_lshlrev_b32_e32 v7, 2, v40
	ds_bpermute_b32 v7, v7, v6
	s_and_saveexec_b64 s[38:39], vcc
	s_cbranch_execz .LBB91_11
; %bb.17:                               ;   in Loop: Header=BB91_13 Depth=1
	v_add_u32_e32 v8, v34, v32
	v_cvt_f32_i32_e32 v8, v8
	s_waitcnt lgkmcnt(0)
	v_add_f32_e32 v6, v6, v7
	v_add_u32_e32 v9, v28, v32
	v_cmp_gt_i32_e64 s[0:1], s33, v9
	v_mul_f32_e32 v7, s42, v8
	v_cndmask_b32_e64 v7, 0, v7, s[2:3]
	v_fmac_f32_e32 v7, s31, v6
	v_cndmask_b32_e64 v6, 0, v7, s[0:1]
	ds_write_b32 v33, v6
	v_max_f32_e32 v6, v30, v30
	v_max_f32_e32 v6, v6, v7
	v_cndmask_b32_e64 v30, v30, v6, s[0:1]
	s_branch .LBB91_11
.LBB91_18:
	s_or_b64 exec, exec, s[36:37]
.LBB91_19:
	s_or_b64 exec, exec, s[34:35]
	v_mbcnt_hi_u32_b32 v8, -1, v27
	v_and_b32_e32 v2, 64, v8
	v_add_u32_e32 v9, 64, v2
	v_xor_b32_e32 v2, 32, v8
	v_cmp_lt_i32_e32 vcc, v2, v9
	v_xor_b32_e32 v5, 16, v8
	v_max_f32_e32 v4, v30, v30
	v_cndmask_b32_e32 v2, v8, v2, vcc
	v_lshlrev_b32_e32 v2, 2, v2
	ds_bpermute_b32 v3, v2, v30
	v_cmp_lt_i32_e32 vcc, v5, v9
	v_xor_b32_e32 v6, 8, v8
	s_waitcnt lgkmcnt(1)
	v_xor_b32_e32 v7, 4, v8
	v_xor_b32_e32 v10, 2, v8
	s_waitcnt lgkmcnt(0)
	v_max_f32_e32 v3, v3, v3
	v_max_f32_e32 v4, v4, v3
	v_cndmask_b32_e32 v3, v8, v5, vcc
	v_lshlrev_b32_e32 v3, 2, v3
	ds_bpermute_b32 v5, v3, v4
	v_cmp_lt_i32_e32 vcc, v6, v9
	v_and_b32_e32 v16, 63, v0
	s_waitcnt lgkmcnt(0)
	v_max_f32_e32 v5, v5, v5
	v_max_f32_e32 v5, v4, v5
	v_cndmask_b32_e32 v4, v8, v6, vcc
	v_lshlrev_b32_e32 v4, 2, v4
	ds_bpermute_b32 v6, v4, v5
	v_cmp_lt_i32_e32 vcc, v7, v9
	s_waitcnt lgkmcnt(0)
	v_max_f32_e32 v6, v6, v6
	v_max_f32_e32 v6, v5, v6
	v_cndmask_b32_e32 v5, v8, v7, vcc
	v_lshlrev_b32_e32 v5, 2, v5
	ds_bpermute_b32 v7, v5, v6
	v_cmp_lt_i32_e32 vcc, v10, v9
	s_waitcnt lgkmcnt(0)
	v_max_f32_e32 v7, v7, v7
	v_max_f32_e32 v7, v6, v7
	v_cndmask_b32_e32 v6, v8, v10, vcc
	v_lshlrev_b32_e32 v17, 2, v6
	ds_bpermute_b32 v10, v17, v7
	v_cmp_eq_u32_e32 vcc, 0, v16
	v_lshlrev_b32_e32 v6, 2, v1
	s_and_saveexec_b64 s[0:1], vcc
	s_cbranch_execz .LBB91_21
; %bb.20:
	s_waitcnt lgkmcnt(0)
	v_max_f32_e32 v10, v10, v10
	v_max_f32_e32 v7, v7, v7
	;; [unrolled: 1-line block ×3, first 2 shown]
	ds_write_b32 v6, v7 offset:128
.LBB91_21:
	s_or_b64 exec, exec, s[0:1]
	v_cmp_gt_u32_e64 s[0:1], 2, v16
	s_waitcnt lgkmcnt(0)
	v_mov_b32_e32 v10, 0xff7fffff
	v_lshlrev_b32_e32 v7, 2, v16
	s_barrier
	s_and_saveexec_b64 s[2:3], s[0:1]
	s_cbranch_execz .LBB91_23
; %bb.22:
	ds_read_b32 v10, v7 offset:128
.LBB91_23:
	s_or_b64 exec, exec, s[2:3]
	v_xor_b32_e32 v11, 1, v8
	v_cmp_lt_i32_e64 s[2:3], v11, v9
	s_nop 1
	v_cndmask_b32_e64 v9, v8, v11, s[2:3]
	v_lshlrev_b32_e32 v18, 2, v9
	s_waitcnt lgkmcnt(0)
	ds_bpermute_b32 v9, v18, v10
	v_max_f32_e32 v10, v10, v10
	v_lshlrev_b32_e32 v8, 2, v8
	v_and_b32_e32 v8, 0x100, v8
	s_lshl_b32 s2, s16, 5
	s_waitcnt lgkmcnt(0)
	v_max_f32_e32 v9, v9, v9
	v_max_f32_e32 v9, v10, v9
	ds_bpermute_b32 v10, v8, v9
	s_min_i32 s15, s2, s33
	v_cmp_gt_i32_e64 s[2:3], s15, v0
	v_mov_b32_e32 v9, 0
	s_and_saveexec_b64 s[30:31], s[2:3]
	s_cbranch_execz .LBB91_27
; %bb.24:
	v_mov_b32_e32 v9, 0x90
	v_lshl_add_u32 v11, v0, 2, v9
	s_mov_b64 s[34:35], 0
	v_mov_b32_e32 v9, 0
	v_mov_b32_e32 v12, v0
.LBB91_25:                              ; =>This Inner Loop Header: Depth=1
	ds_read_b32 v13, v11
	v_add_u32_e32 v12, 0x80, v12
	v_cmp_le_i32_e64 s[8:9], s15, v12
	s_or_b64 s[34:35], s[8:9], s[34:35]
	s_waitcnt lgkmcnt(0)
	v_sub_f32_e32 v13, v13, v10
	v_mul_f32_e32 v13, 0x3fb8aa3b, v13
	v_exp_f32_e32 v13, v13
	ds_write_b32 v11, v13
	v_add_f32_e32 v9, v9, v13
	v_add_u32_e32 v11, 0x200, v11
	s_andn2_b64 exec, exec, s[34:35]
	s_cbranch_execnz .LBB91_25
; %bb.26:
	s_or_b64 exec, exec, s[34:35]
.LBB91_27:
	s_or_b64 exec, exec, s[30:31]
	ds_bpermute_b32 v2, v2, v9
	s_waitcnt lgkmcnt(0)
	v_add_f32_e32 v2, v9, v2
	ds_bpermute_b32 v3, v3, v2
	s_waitcnt lgkmcnt(0)
	v_add_f32_e32 v2, v2, v3
	;; [unrolled: 3-line block ×6, first 2 shown]
	s_and_saveexec_b64 s[8:9], vcc
	s_cbranch_execz .LBB91_29
; %bb.28:
	ds_write_b32 v6, v2 offset:136
.LBB91_29:
	s_or_b64 exec, exec, s[8:9]
	s_waitcnt lgkmcnt(0)
	s_barrier
	s_and_saveexec_b64 s[8:9], s[0:1]
	s_cbranch_execz .LBB91_31
; %bb.30:
	ds_read_b32 v2, v7 offset:136
.LBB91_31:
	s_or_b64 exec, exec, s[8:9]
	s_waitcnt lgkmcnt(0)
	ds_bpermute_b32 v3, v18, v2
	s_waitcnt lgkmcnt(0)
	v_add_f32_e32 v2, v2, v3
	ds_bpermute_b32 v2, v8, v2
	s_and_saveexec_b64 s[0:1], s[2:3]
	s_cbranch_execz .LBB91_44
; %bb.32:
	s_waitcnt lgkmcnt(0)
	v_add_f32_e32 v2, 0x358637bd, v2
	v_div_scale_f32 v3, s[2:3], v2, v2, 1.0
	v_rcp_f32_e32 v4, v3
	v_div_scale_f32 v5, vcc, 1.0, v2, 1.0
	s_movk_i32 s2, 0x7f
	v_fma_f32 v6, -v3, v4, 1.0
	v_fmac_f32_e32 v4, v6, v4
	v_mul_f32_e32 v6, v5, v4
	v_fma_f32 v7, -v3, v6, v5
	v_fmac_f32_e32 v6, v7, v4
	v_fma_f32 v3, -v3, v6, v5
	v_div_fmas_f32 v3, v3, v4, v6
	v_xad_u32 v4, v0, -1, s15
	v_div_fixup_f32 v2, v3, v2, 1.0
	v_cmp_lt_u32_e32 vcc, s2, v4
	s_mov_b64 s[8:9], -1
	v_mov_b32_e32 v3, v0
	s_and_saveexec_b64 s[2:3], vcc
	s_cbranch_execz .LBB91_41
; %bb.33:
	v_lshrrev_b32_e32 v4, 7, v4
	v_add_u32_e32 v6, -1, v4
	v_lshrrev_b32_e32 v5, 1, v6
	v_mov_b32_e32 v3, v2
	v_add_u32_e32 v5, 1, v5
	v_cmp_lt_u32_e32 vcc, 13, v6
	v_mov_b32_e32 v8, 0
	s_and_saveexec_b64 s[8:9], vcc
	s_cbranch_execz .LBB91_37
; %bb.34:
	v_mov_b32_e32 v7, 0x90
	v_and_b32_e32 v6, -8, v5
	v_lshl_add_u32 v7, v0, 2, v7
	s_mov_b32 s34, 0
	s_mov_b64 s[30:31], 0
.LBB91_35:                              ; =>This Inner Loop Header: Depth=1
	ds_read2st64_b32 v[8:9], v7 offset1:2
	ds_read2st64_b32 v[10:11], v7 offset0:4 offset1:6
	ds_read2st64_b32 v[12:13], v7 offset0:8 offset1:10
	;; [unrolled: 1-line block ×3, first 2 shown]
	v_add_u32_e32 v6, -8, v6
	s_waitcnt lgkmcnt(3)
	v_pk_mul_f32 v[8:9], v[2:3], v[8:9]
	s_waitcnt lgkmcnt(2)
	v_pk_mul_f32 v[10:11], v[2:3], v[10:11]
	ds_write2st64_b32 v7, v8, v9 offset1:2
	ds_write2st64_b32 v7, v10, v11 offset0:4 offset1:6
	ds_read2st64_b32 v[10:11], v7 offset0:16 offset1:18
	s_waitcnt lgkmcnt(4)
	v_pk_mul_f32 v[8:9], v[2:3], v[12:13]
	ds_write2st64_b32 v7, v8, v9 offset0:8 offset1:10
	s_waitcnt lgkmcnt(4)
	v_pk_mul_f32 v[8:9], v[2:3], v[14:15]
	ds_write2st64_b32 v7, v8, v9 offset0:12 offset1:14
	ds_read2st64_b32 v[8:9], v7 offset0:20 offset1:22
	s_waitcnt lgkmcnt(3)
	v_pk_mul_f32 v[10:11], v[2:3], v[10:11]
	ds_read2st64_b32 v[12:13], v7 offset0:24 offset1:26
	ds_write2st64_b32 v7, v10, v11 offset0:16 offset1:18
	ds_read2st64_b32 v[10:11], v7 offset0:28 offset1:30
	s_waitcnt lgkmcnt(3)
	v_pk_mul_f32 v[8:9], v[2:3], v[8:9]
	ds_write2st64_b32 v7, v8, v9 offset0:20 offset1:22
	s_waitcnt lgkmcnt(3)
	v_pk_mul_f32 v[8:9], v[2:3], v[12:13]
	ds_write2st64_b32 v7, v8, v9 offset0:24 offset1:26
	s_waitcnt lgkmcnt(2)
	v_pk_mul_f32 v[8:9], v[2:3], v[10:11]
	s_add_i32 s34, s34, 16
	v_cmp_eq_u32_e32 vcc, 0, v6
	ds_write2st64_b32 v7, v8, v9 offset0:28 offset1:30
	v_add_u32_e32 v7, 0x2000, v7
	s_or_b64 s[30:31], vcc, s[30:31]
	v_mov_b32_e32 v8, s34
	s_andn2_b64 exec, exec, s[30:31]
	s_cbranch_execnz .LBB91_35
; %bb.36:
	s_or_b64 exec, exec, s[30:31]
.LBB91_37:
	s_or_b64 exec, exec, s[8:9]
	v_and_b32_e32 v5, 7, v5
	v_cmp_ne_u32_e32 vcc, 0, v5
	s_and_saveexec_b64 s[8:9], vcc
	s_cbranch_execz .LBB91_40
; %bb.38:
	v_lshlrev_b32_e32 v6, 9, v8
	v_lshlrev_b32_e32 v7, 2, v0
	s_movk_i32 s30, 0x90
	v_add3_u32 v6, v6, v7, s30
	s_mov_b64 s[30:31], 0
.LBB91_39:                              ; =>This Inner Loop Header: Depth=1
	ds_read2st64_b32 v[8:9], v6 offset1:2
	v_add_u32_e32 v5, -1, v5
	v_cmp_eq_u32_e32 vcc, 0, v5
	s_or_b64 s[30:31], vcc, s[30:31]
	s_waitcnt lgkmcnt(0)
	v_pk_mul_f32 v[8:9], v[2:3], v[8:9]
	ds_write2st64_b32 v6, v8, v9 offset1:2
	v_add_u32_e32 v6, 0x400, v6
	s_andn2_b64 exec, exec, s[30:31]
	s_cbranch_execnz .LBB91_39
.LBB91_40:
	s_or_b64 exec, exec, s[8:9]
	v_add_u32_e32 v4, 1, v4
	v_and_b32_e32 v5, 0x3fffffe, v4
	v_cmp_ne_u32_e32 vcc, v4, v5
	v_lshl_add_u32 v3, v5, 7, v0
	s_orn2_b64 s[8:9], vcc, exec
.LBB91_41:
	s_or_b64 exec, exec, s[2:3]
	s_and_b64 exec, exec, s[8:9]
	s_cbranch_execz .LBB91_44
; %bb.42:
	v_mov_b32_e32 v4, 0x90
	v_lshl_add_u32 v4, v3, 2, v4
	s_mov_b64 s[2:3], 0
.LBB91_43:                              ; =>This Inner Loop Header: Depth=1
	ds_read_b32 v5, v4
	v_add_u32_e32 v3, 0x80, v3
	v_cmp_le_i32_e32 vcc, s15, v3
	s_or_b64 s[2:3], vcc, s[2:3]
	s_waitcnt lgkmcnt(0)
	v_mul_f32_e32 v5, v2, v5
	ds_write_b32 v4, v5
	v_add_u32_e32 v4, 0x200, v4
	s_andn2_b64 exec, exec, s[2:3]
	s_cbranch_execnz .LBB91_43
.LBB91_44:
	s_or_b64 exec, exec, s[0:1]
	v_mov_b32_e32 v5, 0
	v_and_b32_e32 v19, 3, v0
	v_mov_b32_e32 v4, 0
	v_mov_b32_e32 v3, 0
	s_waitcnt lgkmcnt(0)
	v_mov_b32_e32 v2, 0
	s_barrier
	s_and_saveexec_b64 s[2:3], s[6:7]
	s_cbranch_execz .LBB91_58
; %bb.45:
	s_ashr_i32 s15, s14, 31
	s_sub_i32 s17, s12, s17
	s_lshl_b64 s[0:1], s[14:15], 1
	s_add_u32 s0, s28, s0
	s_addc_u32 s1, s29, s1
	s_abs_i32 s14, s18
	v_cvt_f32_u32_e32 v2, s14
	s_sub_i32 s6, 0, s14
	s_add_i32 s15, s16, -1
	s_mov_b32 s44, 0
	v_rcp_iflag_f32_e32 v2, v2
	s_mov_b32 s45, s44
	s_mov_b32 s46, s44
	;; [unrolled: 1-line block ×3, first 2 shown]
	v_mul_f32_e32 v2, 0x4f7ffffe, v2
	v_cvt_u32_f32_e32 v2, v2
	v_and_b32_e32 v20, 24, v25
	s_mov_b32 s30, s13
	s_mov_b32 s18, s33
	v_mul_lo_u32 v3, s6, v2
	v_mul_hi_u32 v3, v2, v3
	v_add_u32_e32 v21, v2, v3
	v_lshlrev_b32_e32 v2, 4, v0
	v_mov_b32_e32 v3, 0
	v_and_b32_e32 v2, 0x3f0, v2
	v_lshl_add_u64 v[10:11], s[0:1], 0, v[2:3]
	s_lshl_b64 s[0:1], s[26:27], 2
	s_add_u32 s0, s24, s0
	v_and_b32_e32 v2, 60, v26
	s_addc_u32 s1, s25, s1
	v_lshl_add_u64 v[12:13], s[0:1], 0, v[2:3]
	v_lshlrev_b32_e32 v2, 5, v19
	v_lshl_or_b32 v2, v1, 7, v2
	v_add_u32_e32 v22, 0x90, v2
	v_mov_b64_e32 v[2:3], s[44:45]
	s_mov_b32 s28, s33
	s_mov_b32 s29, s33
	s_mov_b32 s31, s33
	s_mov_b32 s34, s33
	s_mov_b32 s35, s33
	s_mov_b32 s36, s33
	s_mov_b64 s[6:7], 0
	v_mov_b64_e32 v[4:5], s[46:47]
	s_mov_b32 s24, 0x5040100
	s_branch .LBB91_48
.LBB91_46:                              ;   in Loop: Header=BB91_48 Depth=1
	s_or_b64 exec, exec, s[0:1]
	s_waitcnt vmcnt(0)
	;;#ASMSTART
	v_pk_mul_f16 v6, v35, v6;

	;;#ASMEND
	;;#ASMSTART
	v_pk_mul_f16 v7, v34, v7;

	;;#ASMEND
	;; [unrolled: 4-line block ×4, first 2 shown]
	v_add_f32_e32 v14, v36, v37
	;;#ASMSTART
	v_pk_add_f16 v6, v6, v7;

	;;#ASMEND
	v_add_f32_e32 v2, v2, v14
	;;#ASMSTART
	v_pk_add_f16 v6, v6, v8;

	;;#ASMEND
	;; [unrolled: 5-line block ×3, first 2 shown]
	v_add_f32_e32 v3, v3, v14
	v_lshrrev_b32_e32 v7, 16, v6
	v_and_b32_e32 v6, 0xffff, v6
	;;#ASMSTART
	v_cvt_f32_f16 v6, v6;
	;;#ASMEND
	v_add_f32_e32 v14, v40, v41
	;;#ASMSTART
	v_cvt_f32_f16 v7, v7;
	;;#ASMEND
	v_add_f32_e32 v4, v4, v14
	v_add_f32_e32 v6, v6, v7
	;; [unrolled: 1-line block ×3, first 2 shown]
.LBB91_47:                              ;   in Loop: Header=BB91_48 Depth=1
	s_or_b64 exec, exec, s[8:9]
	v_add_u32_e32 v1, 2, v1
	v_cmp_le_i32_e32 vcc, s16, v1
	v_lshl_add_u64 v[12:13], v[12:13], 0, 8
	v_add_u32_e32 v24, 64, v24
	s_or_b64 s[6:7], vcc, s[6:7]
	v_add_u32_e32 v22, 0x100, v22
	s_andn2_b64 exec, exec, s[6:7]
	s_cbranch_execz .LBB91_57
.LBB91_48:                              ; =>This Inner Loop Header: Depth=1
	v_mul_hi_u32 v6, v24, s40
	v_mul_lo_u32 v7, v6, s21
	v_sub_u32_e32 v7, v24, v7
	v_add_u32_e32 v8, 1, v6
	v_cmp_le_u32_e32 vcc, s21, v7
	s_nop 1
	v_cndmask_b32_e32 v6, v6, v8, vcc
	v_subrev_u32_e32 v8, s21, v7
	v_cndmask_b32_e32 v7, v7, v8, vcc
	v_add_u32_e32 v8, 1, v6
	v_cmp_le_u32_e32 vcc, s21, v7
	s_nop 1
	v_cndmask_b32_e32 v6, v6, v8, vcc
	v_xor_b32_e32 v6, s19, v6
	v_subrev_u32_e32 v6, s19, v6
	v_add_u32_e32 v7, s41, v6
	v_sub_u32_e32 v9, 0, v7
	v_ashrrev_i32_e32 v8, 31, v7
	v_max_i32_e32 v7, v7, v9
	v_mul_hi_u32 v9, v7, v21
	v_mul_lo_u32 v9, v9, s14
	v_sub_u32_e32 v7, v7, v9
	v_subrev_u32_e32 v9, s14, v7
	v_cmp_le_u32_e32 vcc, s14, v7
	v_cmp_lt_i32_e64 s[0:1], s17, v6
	s_nop 0
	v_cndmask_b32_e32 v7, v7, v9, vcc
	v_subrev_u32_e32 v9, s14, v7
	v_cmp_le_u32_e32 vcc, s14, v7
	s_nop 1
	v_cndmask_b32_e32 v7, v7, v9, vcc
	v_xor_b32_e32 v7, v7, v8
	v_sub_u32_e32 v7, v7, v8
	v_cmp_eq_u32_e32 vcc, 0, v7
	s_or_b64 s[0:1], vcc, s[0:1]
	s_and_saveexec_b64 s[8:9], s[0:1]
	s_cbranch_execz .LBB91_47
; %bb.49:                               ;   in Loop: Header=BB91_48 Depth=1
	global_load_dword v14, v[12:13], off
	ds_read2_b64 v[6:9], v22 offset1:1
	ds_read2_b64 v[26:29], v22 offset0:2 offset1:3
	v_add_u32_e32 v23, v20, v24
	v_cmp_eq_u32_e32 vcc, s15, v1
	s_waitcnt lgkmcnt(1)
	;;#ASMSTART
	v_cvt_f16_f32 v32, v6;

	;;#ASMEND
	;;#ASMSTART
	v_cvt_f16_f32 v33, v7;

	;;#ASMEND
	;; [unrolled: 4-line block ×4, first 2 shown]
	s_waitcnt lgkmcnt(0)
	;;#ASMSTART
	v_cvt_f16_f32 v37, v26;

	;;#ASMEND
	;;#ASMSTART
	v_cvt_f16_f32 v38, v27;

	;;#ASMEND
	;; [unrolled: 4-line block ×4, first 2 shown]
	v_add_u32_e32 v25, 1, v23
	v_or_b32_e32 v27, 3, v23
	v_or_b32_e32 v26, 2, v23
	;; [unrolled: 1-line block ×6, first 2 shown]
	s_waitcnt vmcnt(0)
	v_mad_i64_i32 v[6:7], s[0:1], v14, s30, 0
	v_lshl_add_u64 v[14:15], v[6:7], 1, v[10:11]
	global_load_dwordx4 v[6:9], v[14:15], off
	s_and_saveexec_b64 s[12:13], vcc
	s_cbranch_execz .LBB91_51
; %bb.50:                               ;   in Loop: Header=BB91_48 Depth=1
	s_waitcnt vmcnt(0)
	v_lshrrev_b32_e32 v35, 16, v9
	v_cmp_gt_i32_e64 s[0:1], s36, v31
	s_nop 1
	v_cndmask_b32_e64 v35, 0, v35, s[0:1]
	v_cmp_gt_i32_e64 s[0:1], s35, v30
	s_nop 1
	v_cndmask_b32_e64 v9, 0, v9, s[0:1]
	v_perm_b32 v9, v35, v9, s24
	v_lshrrev_b32_e32 v35, 16, v8
	v_cmp_gt_i32_e64 s[0:1], s34, v29
	s_nop 1
	v_cndmask_b32_e64 v35, 0, v35, s[0:1]
	v_cmp_gt_i32_e64 s[0:1], s31, v28
	s_nop 1
	v_cndmask_b32_e64 v8, 0, v8, s[0:1]
	v_perm_b32 v8, v35, v8, s24
	;; [unrolled: 8-line block ×4, first 2 shown]
.LBB91_51:                              ;   in Loop: Header=BB91_48 Depth=1
	s_or_b64 exec, exec, s[12:13]
	v_and_b32_e32 v32, 0xffff, v32
	v_lshl_or_b32 v35, v33, 16, v32
	v_and_b32_e32 v32, 0xffff, v34
	v_lshl_or_b32 v34, v36, 16, v32
	;; [unrolled: 2-line block ×3, first 2 shown]
	v_and_b32_e32 v32, 0xffff, v39
	s_waitcnt vmcnt(0)
	;;#ASMSTART
	v_pk_mul_f16 v6, v35, v6;

	;;#ASMEND
	v_lshl_or_b32 v32, v40, 16, v32
	;;#ASMSTART
	v_pk_mul_f16 v7, v34, v7;

	;;#ASMEND
	;;#ASMSTART
	v_pk_mul_f16 v8, v33, v8;

	;;#ASMEND
	;; [unrolled: 4-line block ×3, first 2 shown]
	s_nop 0
	;;#ASMSTART
	v_pk_add_f16 v6, v6, v7;

	;;#ASMEND
	s_nop 0
	;;#ASMSTART
	v_pk_add_f16 v6, v6, v8;

	;;#ASMEND
	;; [unrolled: 5-line block ×3, first 2 shown]
	s_nop 0
	v_lshrrev_b32_e32 v7, 16, v6
	v_and_b32_e32 v6, 0xffff, v6
	;;#ASMSTART
	v_cvt_f32_f16 v36, v6;
	;;#ASMEND
	;;#ASMSTART
	v_cvt_f32_f16 v37, v7;
	;;#ASMEND
	global_load_dwordx4 v[6:9], v[14:15], off offset:1024
	s_and_saveexec_b64 s[12:13], vcc
	s_cbranch_execz .LBB91_53
; %bb.52:                               ;   in Loop: Header=BB91_48 Depth=1
	s_waitcnt vmcnt(0)
	v_lshrrev_b32_e32 v38, 16, v9
	v_cmp_gt_i32_e64 s[0:1], s36, v31
	s_nop 1
	v_cndmask_b32_e64 v38, 0, v38, s[0:1]
	v_cmp_gt_i32_e64 s[0:1], s35, v30
	s_nop 1
	v_cndmask_b32_e64 v9, 0, v9, s[0:1]
	v_perm_b32 v9, v38, v9, s24
	v_lshrrev_b32_e32 v38, 16, v8
	v_cmp_gt_i32_e64 s[0:1], s34, v29
	s_nop 1
	v_cndmask_b32_e64 v38, 0, v38, s[0:1]
	v_cmp_gt_i32_e64 s[0:1], s31, v28
	s_nop 1
	v_cndmask_b32_e64 v8, 0, v8, s[0:1]
	v_perm_b32 v8, v38, v8, s24
	;; [unrolled: 8-line block ×4, first 2 shown]
.LBB91_53:                              ;   in Loop: Header=BB91_48 Depth=1
	s_or_b64 exec, exec, s[12:13]
	s_waitcnt vmcnt(0)
	;;#ASMSTART
	v_pk_mul_f16 v6, v35, v6;

	;;#ASMEND
	;;#ASMSTART
	v_pk_mul_f16 v7, v34, v7;

	;;#ASMEND
	;; [unrolled: 4-line block ×4, first 2 shown]
	s_nop 0
	;;#ASMSTART
	v_pk_add_f16 v6, v6, v7;

	;;#ASMEND
	s_nop 0
	;;#ASMSTART
	v_pk_add_f16 v6, v6, v8;

	;;#ASMEND
	;; [unrolled: 5-line block ×3, first 2 shown]
	s_nop 0
	v_lshrrev_b32_e32 v7, 16, v6
	v_and_b32_e32 v6, 0xffff, v6
	;;#ASMSTART
	v_cvt_f32_f16 v38, v6;
	;;#ASMEND
	;;#ASMSTART
	v_cvt_f32_f16 v39, v7;
	;;#ASMEND
	global_load_dwordx4 v[6:9], v[14:15], off offset:2048
	s_and_saveexec_b64 s[12:13], vcc
	s_cbranch_execz .LBB91_55
; %bb.54:                               ;   in Loop: Header=BB91_48 Depth=1
	s_waitcnt vmcnt(0)
	v_lshrrev_b32_e32 v40, 16, v9
	v_cmp_gt_i32_e64 s[0:1], s36, v31
	s_nop 1
	v_cndmask_b32_e64 v40, 0, v40, s[0:1]
	v_cmp_gt_i32_e64 s[0:1], s35, v30
	s_nop 1
	v_cndmask_b32_e64 v9, 0, v9, s[0:1]
	v_perm_b32 v9, v40, v9, s24
	v_lshrrev_b32_e32 v40, 16, v8
	v_cmp_gt_i32_e64 s[0:1], s34, v29
	s_nop 1
	v_cndmask_b32_e64 v40, 0, v40, s[0:1]
	v_cmp_gt_i32_e64 s[0:1], s31, v28
	s_nop 1
	v_cndmask_b32_e64 v8, 0, v8, s[0:1]
	v_perm_b32 v8, v40, v8, s24
	;; [unrolled: 8-line block ×4, first 2 shown]
.LBB91_55:                              ;   in Loop: Header=BB91_48 Depth=1
	s_or_b64 exec, exec, s[12:13]
	s_waitcnt vmcnt(0)
	;;#ASMSTART
	v_pk_mul_f16 v6, v35, v6;

	;;#ASMEND
	;;#ASMSTART
	v_pk_mul_f16 v7, v34, v7;

	;;#ASMEND
	;; [unrolled: 4-line block ×4, first 2 shown]
	s_nop 0
	;;#ASMSTART
	v_pk_add_f16 v6, v6, v7;

	;;#ASMEND
	s_nop 0
	;;#ASMSTART
	v_pk_add_f16 v6, v6, v8;

	;;#ASMEND
	;; [unrolled: 5-line block ×3, first 2 shown]
	s_nop 0
	v_lshrrev_b32_e32 v7, 16, v6
	v_and_b32_e32 v6, 0xffff, v6
	;;#ASMSTART
	v_cvt_f32_f16 v40, v6;
	;;#ASMEND
	;;#ASMSTART
	v_cvt_f32_f16 v41, v7;
	;;#ASMEND
	global_load_dwordx4 v[6:9], v[14:15], off offset:3072
	s_and_saveexec_b64 s[0:1], vcc
	s_cbranch_execz .LBB91_46
; %bb.56:                               ;   in Loop: Header=BB91_48 Depth=1
	s_waitcnt vmcnt(0)
	v_lshrrev_b32_e32 v14, 16, v9
	v_cmp_gt_i32_e32 vcc, s36, v31
	s_nop 1
	v_cndmask_b32_e32 v14, 0, v14, vcc
	v_cmp_gt_i32_e32 vcc, s35, v30
	s_nop 1
	v_cndmask_b32_e32 v9, 0, v9, vcc
	v_perm_b32 v9, v14, v9, s24
	v_lshrrev_b32_e32 v14, 16, v8
	v_cmp_gt_i32_e32 vcc, s34, v29
	s_nop 1
	v_cndmask_b32_e32 v14, 0, v14, vcc
	v_cmp_gt_i32_e32 vcc, s31, v28
	s_nop 1
	v_cndmask_b32_e32 v8, 0, v8, vcc
	v_perm_b32 v8, v14, v8, s24
	;; [unrolled: 8-line block ×4, first 2 shown]
	s_branch .LBB91_46
.LBB91_57:
	s_or_b64 exec, exec, s[6:7]
.LBB91_58:
	s_or_b64 exec, exec, s[2:3]
	ds_bpermute_b32 v6, v17, v2
	ds_bpermute_b32 v7, v17, v3
	ds_bpermute_b32 v8, v17, v4
	ds_bpermute_b32 v9, v17, v5
	v_and_b32_e32 v1, 0x3c3, v0
	v_cmp_eq_u32_e32 vcc, 64, v1
	s_waitcnt lgkmcnt(2)
	v_pk_add_f32 v[2:3], v[2:3], v[6:7]
	ds_bpermute_b32 v6, v18, v2
	s_waitcnt lgkmcnt(1)
	v_pk_add_f32 v[8:9], v[4:5], v[8:9]
	ds_bpermute_b32 v7, v18, v3
	ds_bpermute_b32 v10, v18, v8
	;; [unrolled: 1-line block ×3, first 2 shown]
	s_waitcnt lgkmcnt(0)
	s_barrier
	v_pk_add_f32 v[4:5], v[2:3], v[6:7]
	v_pk_add_f32 v[2:3], v[8:9], v[10:11]
	s_and_saveexec_b64 s[0:1], vcc
	s_cbranch_execz .LBB91_60
; %bb.59:
	v_add_u32_e32 v6, 0x90, v16
	ds_write2_b32 v6, v4, v5 offset1:16
	ds_write2_b32 v6, v2, v3 offset0:32 offset1:48
.LBB91_60:
	s_or_b64 exec, exec, s[0:1]
	v_cmp_gt_u32_e32 vcc, 64, v0
	s_waitcnt lgkmcnt(0)
	s_barrier
	s_and_saveexec_b64 s[0:1], vcc
	s_cbranch_execz .LBB91_67
; %bb.61:
	v_cmp_eq_u32_e32 vcc, 0, v19
	v_lshrrev_b32_e32 v6, 2, v0
	s_and_saveexec_b64 s[2:3], vcc
	s_cbranch_execnz .LBB91_70
; %bb.62:
	s_or_b64 exec, exec, s[2:3]
	s_and_saveexec_b64 s[2:3], vcc
	s_cbranch_execnz .LBB91_71
.LBB91_63:
	s_or_b64 exec, exec, s[2:3]
	s_and_saveexec_b64 s[2:3], vcc
	s_cbranch_execnz .LBB91_72
.LBB91_64:
	s_or_b64 exec, exec, s[2:3]
	s_and_saveexec_b64 s[2:3], vcc
	s_cbranch_execz .LBB91_66
.LBB91_65:
	v_mov_b32_e32 v7, 0x90
	v_lshl_add_u32 v6, v6, 2, v7
	ds_read_b32 v6, v6 offset:192
	s_waitcnt lgkmcnt(0)
	v_add_f32_e32 v3, v3, v6
.LBB91_66:
	s_or_b64 exec, exec, s[2:3]
.LBB91_67:
	s_or_b64 exec, exec, s[0:1]
	v_cmp_eq_u32_e32 vcc, 0, v1
	s_barrier
	s_and_saveexec_b64 s[0:1], vcc
	s_cbranch_execz .LBB91_69
; %bb.68:
	s_mul_i32 s0, s10, s11
	s_mul_i32 s0, s0, s5
	s_lshl_b32 s0, s0, 6
	s_ashr_i32 s1, s0, 31
	s_lshl_b64 s[0:1], s[0:1], 1
	s_add_u32 s2, s22, s0
	s_mul_i32 s0, s11, s20
	s_addc_u32 s3, s23, s1
	s_ashr_i32 s1, s0, 31
	s_lshl_b64 s[0:1], s[0:1], 1
	s_add_u32 s2, s2, s0
	s_addc_u32 s3, s3, s1
	s_lshl_b32 s0, s4, 6
	s_ashr_i32 s1, s0, 31
	s_lshl_b64 s[0:1], s[0:1], 1
	s_add_u32 s0, s2, s0
	s_addc_u32 s1, s3, s1
	v_lshrrev_b32_e32 v0, 1, v0
	;;#ASMSTART
	v_cvt_f16_f32 v1, v4;

	;;#ASMEND
	global_store_short v0, v1, s[0:1]
	;;#ASMSTART
	v_cvt_f16_f32 v1, v5;

	;;#ASMEND
	global_store_short v0, v1, s[0:1] offset:32
	;;#ASMSTART
	v_cvt_f16_f32 v1, v2;

	;;#ASMEND
	global_store_short v0, v1, s[0:1] offset:64
	;; [unrolled: 5-line block ×3, first 2 shown]
.LBB91_69:
	s_endpgm
.LBB91_70:
	v_mov_b32_e32 v7, 0x90
	v_lshl_add_u32 v7, v6, 2, v7
	ds_read_b32 v7, v7
	s_waitcnt lgkmcnt(0)
	v_add_f32_e32 v4, v4, v7
	s_or_b64 exec, exec, s[2:3]
	s_and_saveexec_b64 s[2:3], vcc
	s_cbranch_execz .LBB91_63
.LBB91_71:
	v_mov_b32_e32 v7, 0x90
	v_lshl_add_u32 v7, v6, 2, v7
	ds_read_b32 v7, v7 offset:64
	s_waitcnt lgkmcnt(0)
	v_add_f32_e32 v5, v5, v7
	s_or_b64 exec, exec, s[2:3]
	s_and_saveexec_b64 s[2:3], vcc
	s_cbranch_execz .LBB91_64
.LBB91_72:
	v_mov_b32_e32 v7, 0x90
	v_lshl_add_u32 v7, v6, 2, v7
	ds_read_b32 v7, v7 offset:128
	s_waitcnt lgkmcnt(0)
	v_add_f32_e32 v2, v2, v7
	s_or_b64 exec, exec, s[2:3]
	s_and_saveexec_b64 s[2:3], vcc
	s_cbranch_execnz .LBB91_65
	s_branch .LBB91_66
	.section	.rodata,"a",@progbits
	.p2align	6, 0x0
	.amdhsa_kernel _ZN4vllm25paged_attention_v1_kernelIttLi64ELi32ELi128ELNS_18Fp8KVCacheDataTypeE0ELb1EEEvPT_PKS2_PKT0_S8_ifPKiSA_iPKfiiiSC_SC_iiiii
		.amdhsa_group_segment_fixed_size 144
		.amdhsa_private_segment_fixed_size 0
		.amdhsa_kernarg_size 384
		.amdhsa_user_sgpr_count 2
		.amdhsa_user_sgpr_dispatch_ptr 0
		.amdhsa_user_sgpr_queue_ptr 0
		.amdhsa_user_sgpr_kernarg_segment_ptr 1
		.amdhsa_user_sgpr_dispatch_id 0
		.amdhsa_user_sgpr_kernarg_preload_length 0
		.amdhsa_user_sgpr_kernarg_preload_offset 0
		.amdhsa_user_sgpr_private_segment_size 0
		.amdhsa_uses_dynamic_stack 0
		.amdhsa_enable_private_segment 0
		.amdhsa_system_sgpr_workgroup_id_x 1
		.amdhsa_system_sgpr_workgroup_id_y 1
		.amdhsa_system_sgpr_workgroup_id_z 1
		.amdhsa_system_sgpr_workgroup_info 0
		.amdhsa_system_vgpr_workitem_id 0
		.amdhsa_next_free_vgpr 65
		.amdhsa_next_free_sgpr 48
		.amdhsa_accum_offset 68
		.amdhsa_reserve_vcc 1
		.amdhsa_float_round_mode_32 0
		.amdhsa_float_round_mode_16_64 0
		.amdhsa_float_denorm_mode_32 3
		.amdhsa_float_denorm_mode_16_64 3
		.amdhsa_dx10_clamp 1
		.amdhsa_ieee_mode 1
		.amdhsa_fp16_overflow 0
		.amdhsa_tg_split 0
		.amdhsa_exception_fp_ieee_invalid_op 0
		.amdhsa_exception_fp_denorm_src 0
		.amdhsa_exception_fp_ieee_div_zero 0
		.amdhsa_exception_fp_ieee_overflow 0
		.amdhsa_exception_fp_ieee_underflow 0
		.amdhsa_exception_fp_ieee_inexact 0
		.amdhsa_exception_int_div_zero 0
	.end_amdhsa_kernel
	.section	.text._ZN4vllm25paged_attention_v1_kernelIttLi64ELi32ELi128ELNS_18Fp8KVCacheDataTypeE0ELb1EEEvPT_PKS2_PKT0_S8_ifPKiSA_iPKfiiiSC_SC_iiiii,"axG",@progbits,_ZN4vllm25paged_attention_v1_kernelIttLi64ELi32ELi128ELNS_18Fp8KVCacheDataTypeE0ELb1EEEvPT_PKS2_PKT0_S8_ifPKiSA_iPKfiiiSC_SC_iiiii,comdat
.Lfunc_end91:
	.size	_ZN4vllm25paged_attention_v1_kernelIttLi64ELi32ELi128ELNS_18Fp8KVCacheDataTypeE0ELb1EEEvPT_PKS2_PKT0_S8_ifPKiSA_iPKfiiiSC_SC_iiiii, .Lfunc_end91-_ZN4vllm25paged_attention_v1_kernelIttLi64ELi32ELi128ELNS_18Fp8KVCacheDataTypeE0ELb1EEEvPT_PKS2_PKT0_S8_ifPKiSA_iPKfiiiSC_SC_iiiii
                                        ; -- End function
	.section	.AMDGPU.csdata,"",@progbits
; Kernel info:
; codeLenInByte = 6580
; NumSgprs: 54
; NumVgprs: 65
; NumAgprs: 0
; TotalNumVgprs: 65
; ScratchSize: 0
; MemoryBound: 0
; FloatMode: 240
; IeeeMode: 1
; LDSByteSize: 144 bytes/workgroup (compile time only)
; SGPRBlocks: 6
; VGPRBlocks: 8
; NumSGPRsForWavesPerEU: 54
; NumVGPRsForWavesPerEU: 65
; AccumOffset: 68
; Occupancy: 7
; WaveLimiterHint : 1
; COMPUTE_PGM_RSRC2:SCRATCH_EN: 0
; COMPUTE_PGM_RSRC2:USER_SGPR: 2
; COMPUTE_PGM_RSRC2:TRAP_HANDLER: 0
; COMPUTE_PGM_RSRC2:TGID_X_EN: 1
; COMPUTE_PGM_RSRC2:TGID_Y_EN: 1
; COMPUTE_PGM_RSRC2:TGID_Z_EN: 1
; COMPUTE_PGM_RSRC2:TIDIG_COMP_CNT: 0
; COMPUTE_PGM_RSRC3_GFX90A:ACCUM_OFFSET: 16
; COMPUTE_PGM_RSRC3_GFX90A:TG_SPLIT: 0
	.section	.text._ZN4vllm25paged_attention_v1_kernelIttLi80ELi32ELi128ELNS_18Fp8KVCacheDataTypeE0ELb1EEEvPT_PKS2_PKT0_S8_ifPKiSA_iPKfiiiSC_SC_iiiii,"axG",@progbits,_ZN4vllm25paged_attention_v1_kernelIttLi80ELi32ELi128ELNS_18Fp8KVCacheDataTypeE0ELb1EEEvPT_PKS2_PKT0_S8_ifPKiSA_iPKfiiiSC_SC_iiiii,comdat
	.protected	_ZN4vllm25paged_attention_v1_kernelIttLi80ELi32ELi128ELNS_18Fp8KVCacheDataTypeE0ELb1EEEvPT_PKS2_PKT0_S8_ifPKiSA_iPKfiiiSC_SC_iiiii ; -- Begin function _ZN4vllm25paged_attention_v1_kernelIttLi80ELi32ELi128ELNS_18Fp8KVCacheDataTypeE0ELb1EEEvPT_PKS2_PKT0_S8_ifPKiSA_iPKfiiiSC_SC_iiiii
	.globl	_ZN4vllm25paged_attention_v1_kernelIttLi80ELi32ELi128ELNS_18Fp8KVCacheDataTypeE0ELb1EEEvPT_PKS2_PKT0_S8_ifPKiSA_iPKfiiiSC_SC_iiiii
	.p2align	8
	.type	_ZN4vllm25paged_attention_v1_kernelIttLi80ELi32ELi128ELNS_18Fp8KVCacheDataTypeE0ELb1EEEvPT_PKS2_PKT0_S8_ifPKiSA_iPKfiiiSC_SC_iiiii,@function
_ZN4vllm25paged_attention_v1_kernelIttLi80ELi32ELi128ELNS_18Fp8KVCacheDataTypeE0ELb1EEEvPT_PKS2_PKT0_S8_ifPKiSA_iPKfiiiSC_SC_iiiii: ; @_ZN4vllm25paged_attention_v1_kernelIttLi80ELi32ELi128ELNS_18Fp8KVCacheDataTypeE0ELb1EEEvPT_PKS2_PKT0_S8_ifPKiSA_iPKfiiiSC_SC_iiiii
; %bb.0:
	s_load_dword s5, s[0:1], 0x80
	s_load_dwordx2 s[6:7], s[0:1], 0x30
	s_load_dwordx2 s[30:31], s[0:1], 0x20
	s_mov_b32 s20, s3
	s_ashr_i32 s21, s3, 31
	s_lshl_b64 s[8:9], s[20:21], 2
	s_waitcnt lgkmcnt(0)
	s_add_u32 s6, s6, s8
	s_addc_u32 s7, s7, s9
	s_abs_i32 s3, s30
	v_cvt_f32_u32_e32 v1, s3
	s_sub_i32 s10, 0, s3
	s_abs_i32 s9, s5
	s_xor_b32 s8, s5, s30
	v_rcp_iflag_f32_e32 v1, v1
	s_ashr_i32 s8, s8, 31
	s_mov_b32 s42, 0
	v_mul_f32_e32 v1, 0x4f7ffffe, v1
	v_cvt_u32_f32_e32 v1, v1
	s_nop 0
	v_readfirstlane_b32 s11, v1
	s_mul_i32 s10, s10, s11
	s_mul_hi_u32 s10, s11, s10
	s_add_i32 s11, s11, s10
	s_mul_hi_u32 s10, s9, s11
	s_mul_i32 s11, s10, s3
	s_sub_i32 s9, s9, s11
	s_add_i32 s11, s10, 1
	s_sub_i32 s12, s9, s3
	s_cmp_ge_u32 s9, s3
	s_cselect_b32 s10, s11, s10
	s_cselect_b32 s9, s12, s9
	s_add_i32 s11, s10, 1
	s_cmp_ge_u32 s9, s3
	s_cselect_b32 s3, s11, s10
	s_xor_b32 s3, s3, s8
	s_sub_i32 s12, s3, s8
	s_abs_i32 s10, s12
	v_cvt_f32_u32_e32 v1, s10
	s_load_dwordx2 s[8:9], s[0:1], 0x40
	s_sub_i32 s3, 0, s10
	s_abs_i32 s11, s2
	v_rcp_iflag_f32_e32 v1, v1
	s_nop 0
	v_mul_f32_e32 v1, 0x4f7ffffe, v1
	v_cvt_u32_f32_e32 v1, v1
	s_nop 0
	v_readfirstlane_b32 s13, v1
	s_mul_i32 s3, s3, s13
	s_mul_hi_u32 s3, s13, s3
	s_add_i32 s13, s13, s3
	s_waitcnt lgkmcnt(0)
	s_cmp_eq_u64 s[8:9], 0
	s_mul_hi_u32 s24, s11, s13
	s_cbranch_scc1 .LBB92_2
; %bb.1:
	s_ashr_i32 s3, s2, 31
	s_lshl_b64 s[14:15], s[2:3], 2
	s_add_u32 s8, s8, s14
	s_addc_u32 s9, s9, s15
	s_load_dword s42, s[8:9], 0x0
.LBB92_2:
	s_load_dword s21, s[6:7], 0x0
	s_ashr_i32 s9, s12, 31
	s_load_dwordx4 s[12:15], s[0:1], 0x48
	s_ashr_i32 s3, s2, 31
	v_and_b32_e32 v4, 1, v0
	s_movk_i32 s8, 0x50
	s_mul_i32 s22, s2, 0x50
	v_cmp_gt_u32_e32 vcc, 20, v0
	v_lshlrev_b32_e32 v18, 3, v0
	s_and_saveexec_b64 s[6:7], vcc
	s_cbranch_execz .LBB92_4
; %bb.3:
	s_load_dwordx2 s[16:17], s[0:1], 0x8
	s_waitcnt lgkmcnt(0)
	s_mul_i32 s18, s20, s12
	s_ashr_i32 s19, s18, 31
	s_lshl_b64 s[18:19], s[18:19], 1
	v_lshlrev_b32_e32 v1, 2, v0
	s_add_u32 s12, s16, s18
	s_addc_u32 s15, s17, s19
	s_ashr_i32 s23, s22, 31
	s_lshl_b64 s[16:17], s[22:23], 1
	s_add_u32 s16, s12, s16
	s_addc_u32 s17, s15, s17
	global_load_dwordx2 v[2:3], v18, s[16:17]
	v_and_b32_e32 v1, 0xff8, v1
	v_mad_u32_u24 v1, v4, s8, v1
	s_waitcnt vmcnt(0)
	ds_write_b64 v1, v[2:3]
.LBB92_4:
	s_or_b64 exec, exec, s[6:7]
	s_mul_i32 s6, s24, s10
	s_sub_i32 s6, s11, s6
	s_xor_b32 s3, s3, s9
	s_add_i32 s7, s24, 1
	s_sub_i32 s9, s6, s10
	s_load_dwordx4 s[16:19], s[0:1], 0x68
	s_load_dword s8, s[0:1], 0x78
	s_cmp_ge_u32 s6, s10
	s_cselect_b32 s7, s7, s24
	s_cselect_b32 s6, s9, s6
	s_add_i32 s9, s7, 1
	s_cmp_ge_u32 s6, s10
	s_cselect_b32 s6, s9, s7
	s_waitcnt lgkmcnt(0)
	s_abs_i32 s23, s19
	v_cvt_f32_u32_e32 v1, s23
	s_xor_b32 s6, s6, s3
	s_sub_i32 s3, s6, s3
	s_sub_i32 s6, 0, s23
	v_rcp_iflag_f32_e32 v1, v1
	s_add_i32 s15, s21, -1
	s_abs_i32 s9, s15
	v_mul_f32_e32 v1, 0x4f7ffffe, v1
	v_cvt_u32_f32_e32 v1, v1
	s_barrier
	v_readfirstlane_b32 s33, v1
	s_mul_i32 s6, s6, s33
	s_mul_hi_u32 s6, s33, s6
	s_add_i32 s33, s33, s6
	s_cmp_lt_i32 s8, 0
	s_mul_hi_u32 s12, s9, s33
	s_cbranch_scc0 .LBB92_6
; %bb.5:
	s_mul_i32 s6, s16, s30
	s_add_i32 s6, s3, s6
	s_mul_i32 s6, s6, s8
	s_sub_i32 s40, 1, s6
	s_mov_b64 s[6:7], 0
	s_branch .LBB92_7
.LBB92_6:
	s_mov_b64 s[6:7], -1
                                        ; implicit-def: $sgpr40
.LBB92_7:
	s_load_dwordx2 s[10:11], s[0:1], 0x28
	s_ashr_i32 s15, s15, 31
	s_andn2_b64 vcc, exec, s[6:7]
	s_ashr_i32 s19, s19, 31
	s_cbranch_vccnz .LBB92_9
; %bb.8:
	s_mul_i32 s6, s5, s16
	s_add_i32 s2, s6, s2
	s_mul_i32 s2, s2, s8
	s_add_i32 s40, s2, 1
.LBB92_9:
	s_load_dword s2, s[0:1], 0x38
	s_load_dwordx2 s[24:25], s[0:1], 0x0
	s_load_dwordx2 s[28:29], s[0:1], 0x18
	s_load_dword s16, s[0:1], 0x88
	s_xor_b32 s6, s15, s19
	s_waitcnt lgkmcnt(0)
	s_mul_i32 s26, s20, s2
	s_mul_i32 s2, s12, s23
	s_sub_i32 s2, s9, s2
	s_ashr_i32 s27, s26, 31
	s_add_i32 s7, s12, 1
	s_sub_i32 s8, s2, s23
	s_cmp_ge_u32 s2, s23
	s_cselect_b32 s7, s7, s12
	s_cselect_b32 s2, s8, s2
	s_add_i32 s8, s7, 1
	s_cmp_ge_u32 s2, s23
	s_cselect_b32 s2, s8, s7
	s_xor_b32 s2, s2, s6
	s_sub_i32 s12, s2, s6
	s_add_i32 s2, s21, 31
	s_ashr_i32 s6, s2, 31
	s_lshr_b32 s6, s6, 27
	s_add_i32 s2, s2, s6
	s_ashr_i32 s41, s2, 5
	v_lshrrev_b32_e32 v1, 6, v0
	v_cmp_gt_i32_e64 s[6:7], s41, v1
	v_mov_b32_e32 v24, 0xff7fffff
	s_mul_i32 s14, s3, s14
	v_lshrrev_b32_e32 v19, 4, v0
	v_lshlrev_b32_e32 v22, 5, v1
	v_mbcnt_lo_u32_b32 v20, -1, 0
	s_and_saveexec_b64 s[34:35], s[6:7]
	s_cbranch_execz .LBB92_19
; %bb.10:
	s_load_dwordx2 s[0:1], s[0:1], 0x10
	s_ashr_i32 s15, s14, 31
	s_sub_i32 s30, s12, s17
	s_lshl_b64 s[8:9], s[14:15], 1
	v_bfe_u32 v21, v0, 1, 5
	s_waitcnt lgkmcnt(0)
	s_add_u32 s0, s0, s8
	s_addc_u32 s1, s1, s9
	s_abs_i32 s15, s18
	v_cvt_f32_u32_e32 v2, s15
	s_sub_i32 s8, 0, s15
	v_cmp_eq_u32_e64 s[2:3], 0, v4
	v_lshlrev_b32_e32 v6, 4, v21
	v_rcp_iflag_f32_e32 v5, v2
	v_mov_b32_e32 v7, 0
	v_mul_u32_u24_e32 v23, 0x50, v4
	v_lshl_add_u64 v[2:3], s[0:1], 0, v[6:7]
	v_mul_f32_e32 v5, 0x4f7ffffe, v5
	v_cvt_u32_f32_e32 v5, v5
	v_and_b32_e32 v6, 8, v18
	v_lshl_add_u64 v[2:3], v[2:3], 0, v[6:7]
	v_and_b32_e32 v6, 60, v19
	v_mul_lo_u32 v4, s8, v5
	s_lshl_b64 s[8:9], s[26:27], 2
	s_add_u32 s8, s10, s8
	v_mul_hi_u32 v4, v5, v4
	s_addc_u32 s9, s11, s9
	v_add_u32_e32 v25, v5, v4
	v_lshl_add_u64 v[4:5], s[8:9], 0, v[6:7]
	v_lshlrev_b32_e32 v6, 2, v21
	v_lshl_or_b32 v6, v1, 7, v6
	v_add_u32_e32 v27, 0xb0, v6
	v_subrev_u32_e32 v6, s21, v21
	v_mbcnt_hi_u32_b32 v30, -1, v20
	v_add_u32_e32 v28, 1, v6
	v_and_b32_e32 v6, 64, v30
	s_mov_b32 s43, s13
	v_cmp_neq_f32_e64 s[0:1], s42, 0
	v_lshlrev_b32_e32 v26, 5, v1
	s_mov_b64 s[36:37], 0
	v_mov_b32_e32 v29, 0xff7fffff
	s_movk_i32 s44, 0x1000
	v_xor_b32_e32 v31, 1, v30
	v_add_u32_e32 v32, 64, v6
	v_mov_b32_e32 v24, 0xff7fffff
	v_mov_b32_e32 v33, v1
	s_branch .LBB92_13
.LBB92_11:                              ;   in Loop: Header=BB92_13 Depth=1
	s_or_b64 exec, exec, s[38:39]
.LBB92_12:                              ;   in Loop: Header=BB92_13 Depth=1
	s_or_b64 exec, exec, s[8:9]
	v_add_u32_e32 v33, 2, v33
	v_cmp_le_i32_e32 vcc, s41, v33
	v_lshl_add_u64 v[4:5], v[4:5], 0, 8
	v_add_u32_e32 v26, 64, v26
	s_or_b64 s[36:37], vcc, s[36:37]
	v_add_u32_e32 v27, 0x100, v27
	s_andn2_b64 exec, exec, s[36:37]
	s_cbranch_execz .LBB92_18
.LBB92_13:                              ; =>This Inner Loop Header: Depth=1
	v_mul_hi_u32 v6, v26, s33
	s_waitcnt lgkmcnt(0)
	v_mul_lo_u32 v7, v6, s23
	v_sub_u32_e32 v7, v26, v7
	v_add_u32_e32 v8, 1, v6
	v_cmp_le_u32_e32 vcc, s23, v7
	s_nop 1
	v_cndmask_b32_e32 v6, v6, v8, vcc
	v_subrev_u32_e32 v8, s23, v7
	v_cndmask_b32_e32 v7, v7, v8, vcc
	v_add_u32_e32 v8, 1, v6
	v_cmp_le_u32_e32 vcc, s23, v7
	s_nop 1
	v_cndmask_b32_e32 v6, v6, v8, vcc
	v_xor_b32_e32 v6, s19, v6
	v_subrev_u32_e32 v6, s19, v6
	v_add_u32_e32 v7, s40, v6
	v_sub_u32_e32 v9, 0, v7
	v_ashrrev_i32_e32 v8, 31, v7
	v_max_i32_e32 v7, v7, v9
	v_mul_hi_u32 v9, v7, v25
	v_mul_lo_u32 v9, v9, s15
	v_sub_u32_e32 v7, v7, v9
	v_subrev_u32_e32 v9, s15, v7
	v_cmp_le_u32_e32 vcc, s15, v7
	v_cmp_ge_i32_e64 s[8:9], s30, v6
	s_nop 0
	v_cndmask_b32_e32 v7, v7, v9, vcc
	v_subrev_u32_e32 v9, s15, v7
	v_cmp_le_u32_e32 vcc, s15, v7
	s_nop 1
	v_cndmask_b32_e32 v7, v7, v9, vcc
	v_xor_b32_e32 v7, v7, v8
	v_sub_u32_e32 v7, v7, v8
	v_cmp_ne_u32_e32 vcc, 0, v7
	s_and_b64 s[8:9], vcc, s[8:9]
	s_and_b64 s[46:47], s[2:3], s[8:9]
	s_and_saveexec_b64 s[38:39], s[46:47]
	s_cbranch_execz .LBB92_15
; %bb.14:                               ;   in Loop: Header=BB92_13 Depth=1
	ds_write_b32 v27, v29
.LBB92_15:                              ;   in Loop: Header=BB92_13 Depth=1
	s_or_b64 exec, exec, s[38:39]
	s_xor_b64 s[38:39], s[8:9], -1
	s_and_saveexec_b64 s[8:9], s[38:39]
	s_cbranch_execz .LBB92_12
; %bb.16:                               ;   in Loop: Header=BB92_13 Depth=1
	global_load_dword v6, v[4:5], off
	s_waitcnt vmcnt(0)
	v_mad_i64_i32 v[6:7], s[38:39], v6, s43, 0
	v_lshl_add_u64 v[6:7], v[6:7], 1, v[2:3]
	global_load_dwordx2 v[34:35], v[6:7], off
	global_load_dwordx2 v[36:37], v[6:7], off offset:512
	global_load_dwordx2 v[38:39], v[6:7], off offset:1024
	;; [unrolled: 1-line block ×7, first 2 shown]
	v_add_co_u32_e32 v42, vcc, s44, v6
	s_waitcnt vmcnt(7)
	v_lshrrev_b32_e32 v46, 16, v34
	v_addc_co_u32_e32 v43, vcc, 0, v7, vcc
	global_load_dwordx2 v[8:9], v[42:43], off
	global_load_dwordx2 v[6:7], v[42:43], off offset:512
	ds_read_b64 v[42:43], v23
	v_and_b32_e32 v34, 0xffff, v34
	v_lshrrev_b32_e32 v47, 16, v35
	v_and_b32_e32 v35, 0xffff, v35
	s_waitcnt vmcnt(2)
	v_lshrrev_b32_e32 v60, 16, v10
	s_waitcnt lgkmcnt(0)
	v_lshrrev_b32_e32 v44, 16, v42
	v_and_b32_e32 v42, 0xffff, v42
	v_lshrrev_b32_e32 v45, 16, v43
	v_and_b32_e32 v43, 0xffff, v43
	;;#ASMSTART
	v_cvt_f32_f16 v42, v42;
	;;#ASMEND
	;;#ASMSTART
	v_cvt_f32_f16 v44, v44;
	;;#ASMEND
	v_and_b32_e32 v61, 0xffff, v10
	v_lshrrev_b32_e32 v62, 16, v11
	v_and_b32_e32 v63, 0xffff, v11
	;;#ASMSTART
	v_cvt_f32_f16 v34, v34;
	;;#ASMEND
	;;#ASMSTART
	v_cvt_f32_f16 v46, v46;
	;;#ASMEND
	;;#ASMSTART
	v_cvt_f32_f16 v43, v43;
	;;#ASMEND
	;;#ASMSTART
	v_cvt_f32_f16 v45, v45;
	;;#ASMEND
	;;#ASMSTART
	v_cvt_f32_f16 v35, v35;
	;;#ASMEND
	;;#ASMSTART
	v_cvt_f32_f16 v47, v47;
	;;#ASMEND
	ds_read_b64 v[10:11], v23 offset:8
	v_lshrrev_b32_e32 v48, 16, v36
	v_and_b32_e32 v36, 0xffff, v36
	v_lshrrev_b32_e32 v49, 16, v37
	v_and_b32_e32 v37, 0xffff, v37
	;; [unrolled: 2-line block ×12, first 2 shown]
	v_cmp_lt_i32_e32 vcc, v31, v32
	s_waitcnt vmcnt(1)
	v_lshrrev_b32_e32 v64, 16, v8
	v_and_b32_e32 v65, 0xffff, v8
	v_lshrrev_b32_e32 v66, 16, v9
	v_and_b32_e32 v67, 0xffff, v9
	s_waitcnt lgkmcnt(0)
	v_lshrrev_b32_e32 v8, 16, v10
	v_and_b32_e32 v9, 0xffff, v10
	v_lshrrev_b32_e32 v10, 16, v11
	v_and_b32_e32 v11, 0xffff, v11
	;;#ASMSTART
	v_cvt_f32_f16 v69, v9;
	;;#ASMEND
	;;#ASMSTART
	v_cvt_f32_f16 v70, v8;
	;;#ASMEND
	;; [unrolled: 3-line block ×8, first 2 shown]
	ds_read_b64 v[8:9], v23 offset:16
	v_mul_f32_e32 v36, v69, v36
	v_mul_f32_e32 v11, v11, v37
	;; [unrolled: 1-line block ×3, first 2 shown]
	v_fmac_f32_e32 v36, v42, v34
	v_fmac_f32_e32 v11, v43, v35
	s_waitcnt lgkmcnt(0)
	v_lshrrev_b32_e32 v34, 16, v8
	v_and_b32_e32 v8, 0xffff, v8
	v_lshrrev_b32_e32 v35, 16, v9
	v_and_b32_e32 v9, 0xffff, v9
	v_fmac_f32_e32 v48, v44, v46
	;;#ASMSTART
	v_cvt_f32_f16 v37, v8;
	;;#ASMEND
	;;#ASMSTART
	v_cvt_f32_f16 v34, v34;
	;;#ASMEND
	;; [unrolled: 3-line block ×8, first 2 shown]
	ds_read_b64 v[8:9], v23 offset:24
	v_mul_f32_e32 v10, v10, v49
	v_fmac_f32_e32 v10, v45, v47
	v_fmac_f32_e32 v48, v34, v42
	;; [unrolled: 1-line block ×3, first 2 shown]
	s_waitcnt lgkmcnt(0)
	v_lshrrev_b32_e32 v34, 16, v8
	v_and_b32_e32 v8, 0xffff, v8
	v_lshrrev_b32_e32 v35, 16, v9
	v_and_b32_e32 v9, 0xffff, v9
	v_fmac_f32_e32 v36, v37, v38
	v_fmac_f32_e32 v11, v43, v39
	;;#ASMSTART
	v_cvt_f32_f16 v37, v8;
	;;#ASMEND
	;;#ASMSTART
	v_cvt_f32_f16 v34, v34;
	;;#ASMEND
	;;#ASMSTART
	v_cvt_f32_f16 v38, v40;
	;;#ASMEND
	;;#ASMSTART
	v_cvt_f32_f16 v39, v52;
	;;#ASMEND
	;;#ASMSTART
	v_cvt_f32_f16 v40, v9;
	;;#ASMEND
	;;#ASMSTART
	v_cvt_f32_f16 v35, v35;
	;;#ASMEND
	;;#ASMSTART
	v_cvt_f32_f16 v41, v41;
	;;#ASMEND
	;;#ASMSTART
	v_cvt_f32_f16 v42, v53;
	;;#ASMEND
	ds_read_b64 v[8:9], v23 offset:32
	v_fmac_f32_e32 v48, v34, v39
	v_fmac_f32_e32 v10, v35, v42
	v_fmac_f32_e32 v36, v37, v38
	v_fmac_f32_e32 v11, v40, v41
	s_waitcnt lgkmcnt(0)
	v_lshrrev_b32_e32 v34, 16, v8
	v_and_b32_e32 v8, 0xffff, v8
	v_lshrrev_b32_e32 v35, 16, v9
	v_and_b32_e32 v9, 0xffff, v9
	;;#ASMSTART
	v_cvt_f32_f16 v37, v8;
	;;#ASMEND
	;;#ASMSTART
	v_cvt_f32_f16 v34, v34;
	;;#ASMEND
	;;#ASMSTART
	v_cvt_f32_f16 v16, v16;
	;;#ASMEND
	;;#ASMSTART
	v_cvt_f32_f16 v38, v54;
	;;#ASMEND
	;;#ASMSTART
	v_cvt_f32_f16 v39, v9;
	;;#ASMEND
	;;#ASMSTART
	v_cvt_f32_f16 v35, v35;
	;;#ASMEND
	;;#ASMSTART
	v_cvt_f32_f16 v17, v17;
	;;#ASMEND
	;;#ASMSTART
	v_cvt_f32_f16 v40, v55;
	;;#ASMEND
	ds_read_b64 v[8:9], v23 offset:40
	v_fmac_f32_e32 v36, v37, v16
	v_fmac_f32_e32 v11, v39, v17
	v_fmac_f32_e32 v48, v34, v38
	v_fmac_f32_e32 v10, v35, v40
	s_waitcnt lgkmcnt(0)
	v_lshrrev_b32_e32 v16, 16, v8
	v_and_b32_e32 v8, 0xffff, v8
	v_lshrrev_b32_e32 v17, 16, v9
	v_and_b32_e32 v9, 0xffff, v9
	;; [unrolled: 34-line block ×5, first 2 shown]
	;;#ASMSTART
	v_cvt_f32_f16 v14, v8;
	;;#ASMEND
	;;#ASMSTART
	v_cvt_f32_f16 v12, v12;
	;;#ASMEND
	;; [unrolled: 3-line block ×8, first 2 shown]
	ds_read_b64 v[8:9], v23 offset:72
	s_waitcnt vmcnt(0)
	v_lshrrev_b32_e32 v68, 16, v6
	v_and_b32_e32 v6, 0xffff, v6
	v_fmac_f32_e32 v48, v12, v16
	v_fmac_f32_e32 v36, v14, v15
	s_waitcnt lgkmcnt(0)
	v_lshrrev_b32_e32 v12, 16, v8
	v_and_b32_e32 v8, 0xffff, v8
	;;#ASMSTART
	v_cvt_f32_f16 v8, v8;
	;;#ASMEND
	;;#ASMSTART
	v_cvt_f32_f16 v12, v12;
	;;#ASMEND
	;; [unrolled: 3-line block ×3, first 2 shown]
	v_fmac_f32_e32 v11, v17, v34
	v_fmac_f32_e32 v36, v8, v6
	v_lshrrev_b32_e32 v6, 16, v9
	v_and_b32_e32 v8, 0xffff, v9
	v_fmac_f32_e32 v10, v13, v35
	;;#ASMSTART
	v_cvt_f32_f16 v13, v68;
	;;#ASMEND
	;;#ASMSTART
	v_cvt_f32_f16 v8, v8;
	;;#ASMEND
	;; [unrolled: 3-line block ×3, first 2 shown]
	v_lshrrev_b32_e32 v9, 16, v7
	v_fmac_f32_e32 v48, v12, v13
	v_and_b32_e32 v7, 0xffff, v7
	;;#ASMSTART
	v_cvt_f32_f16 v7, v7;
	;;#ASMEND
	;;#ASMSTART
	v_cvt_f32_f16 v9, v9;
	;;#ASMEND
	s_nop 0
	v_fmac_f32_e32 v11, v8, v7
	v_fmac_f32_e32 v10, v6, v9
	v_add_f32_e32 v6, v36, v48
	v_add_f32_e32 v6, v6, v11
	v_cndmask_b32_e32 v7, v30, v31, vcc
	v_add_f32_e32 v6, v10, v6
	v_lshlrev_b32_e32 v7, 2, v7
	ds_bpermute_b32 v7, v7, v6
	s_and_saveexec_b64 s[38:39], s[2:3]
	s_cbranch_execz .LBB92_11
; %bb.17:                               ;   in Loop: Header=BB92_13 Depth=1
	v_add_u32_e32 v8, v28, v26
	v_cvt_f32_i32_e32 v8, v8
	s_waitcnt lgkmcnt(0)
	v_add_f32_e32 v6, v6, v7
	v_add_u32_e32 v9, v21, v26
	v_cmp_gt_i32_e32 vcc, s21, v9
	v_mul_f32_e32 v7, s42, v8
	v_cndmask_b32_e64 v7, 0, v7, s[0:1]
	v_fmac_f32_e32 v7, s31, v6
	v_cndmask_b32_e32 v6, 0, v7, vcc
	ds_write_b32 v27, v6
	v_max_f32_e32 v6, v24, v24
	v_max_f32_e32 v6, v6, v7
	v_cndmask_b32_e32 v24, v24, v6, vcc
	s_branch .LBB92_11
.LBB92_18:
	s_or_b64 exec, exec, s[36:37]
.LBB92_19:
	s_or_b64 exec, exec, s[34:35]
	v_mbcnt_hi_u32_b32 v9, -1, v20
	v_and_b32_e32 v2, 64, v9
	v_add_u32_e32 v10, 64, v2
	v_xor_b32_e32 v2, 32, v9
	v_cmp_lt_i32_e32 vcc, v2, v10
	v_xor_b32_e32 v5, 16, v9
	v_max_f32_e32 v4, v24, v24
	v_cndmask_b32_e32 v2, v9, v2, vcc
	v_lshlrev_b32_e32 v2, 2, v2
	ds_bpermute_b32 v3, v2, v24
	v_cmp_lt_i32_e32 vcc, v5, v10
	v_xor_b32_e32 v6, 8, v9
	s_waitcnt lgkmcnt(1)
	v_xor_b32_e32 v7, 4, v9
	v_xor_b32_e32 v11, 2, v9
	s_waitcnt lgkmcnt(0)
	v_max_f32_e32 v3, v3, v3
	v_max_f32_e32 v4, v4, v3
	v_cndmask_b32_e32 v3, v9, v5, vcc
	v_lshlrev_b32_e32 v3, 2, v3
	ds_bpermute_b32 v5, v3, v4
	v_cmp_lt_i32_e32 vcc, v6, v10
	v_and_b32_e32 v23, 63, v0
	s_waitcnt lgkmcnt(0)
	v_max_f32_e32 v5, v5, v5
	v_max_f32_e32 v5, v4, v5
	v_cndmask_b32_e32 v4, v9, v6, vcc
	v_lshlrev_b32_e32 v4, 2, v4
	ds_bpermute_b32 v6, v4, v5
	v_cmp_lt_i32_e32 vcc, v7, v10
	s_waitcnt lgkmcnt(0)
	v_max_f32_e32 v6, v6, v6
	v_max_f32_e32 v6, v5, v6
	v_cndmask_b32_e32 v5, v9, v7, vcc
	v_lshlrev_b32_e32 v5, 2, v5
	ds_bpermute_b32 v7, v5, v6
	v_cmp_lt_i32_e32 vcc, v11, v10
	s_waitcnt lgkmcnt(0)
	v_max_f32_e32 v7, v7, v7
	v_max_f32_e32 v8, v6, v7
	v_cndmask_b32_e32 v6, v9, v11, vcc
	v_lshlrev_b32_e32 v7, 2, v6
	ds_bpermute_b32 v11, v7, v8
	v_cmp_eq_u32_e32 vcc, 0, v23
	v_lshlrev_b32_e32 v6, 2, v1
	s_and_saveexec_b64 s[0:1], vcc
	s_cbranch_execz .LBB92_21
; %bb.20:
	s_waitcnt lgkmcnt(0)
	v_max_f32_e32 v11, v11, v11
	v_max_f32_e32 v8, v8, v8
	;; [unrolled: 1-line block ×3, first 2 shown]
	ds_write_b32 v6, v8 offset:160
.LBB92_21:
	s_or_b64 exec, exec, s[0:1]
	v_cmp_gt_u32_e64 s[0:1], 2, v23
	s_waitcnt lgkmcnt(0)
	v_mov_b32_e32 v11, 0xff7fffff
	v_lshlrev_b32_e32 v8, 2, v23
	s_barrier
	s_and_saveexec_b64 s[2:3], s[0:1]
	s_cbranch_execz .LBB92_23
; %bb.22:
	ds_read_b32 v11, v8 offset:160
.LBB92_23:
	s_or_b64 exec, exec, s[2:3]
	v_xor_b32_e32 v12, 1, v9
	v_cmp_lt_i32_e64 s[2:3], v12, v10
	s_nop 1
	v_cndmask_b32_e64 v10, v9, v12, s[2:3]
	v_lshlrev_b32_e32 v24, 2, v10
	s_waitcnt lgkmcnt(0)
	ds_bpermute_b32 v10, v24, v11
	v_max_f32_e32 v11, v11, v11
	v_lshlrev_b32_e32 v9, 2, v9
	v_and_b32_e32 v9, 0x100, v9
	s_lshl_b32 s2, s41, 5
	s_waitcnt lgkmcnt(0)
	v_max_f32_e32 v10, v10, v10
	v_max_f32_e32 v10, v11, v10
	ds_bpermute_b32 v11, v9, v10
	s_min_i32 s15, s2, s21
	v_cmp_gt_i32_e64 s[2:3], s15, v0
	v_mov_b32_e32 v10, 0
	s_and_saveexec_b64 s[30:31], s[2:3]
	s_cbranch_execz .LBB92_27
; %bb.24:
	v_mov_b32_e32 v10, 0xb0
	v_lshl_add_u32 v12, v0, 2, v10
	s_mov_b64 s[34:35], 0
	v_mov_b32_e32 v10, 0
	v_mov_b32_e32 v13, v0
.LBB92_25:                              ; =>This Inner Loop Header: Depth=1
	ds_read_b32 v14, v12
	v_add_u32_e32 v13, 0x80, v13
	v_cmp_le_i32_e64 s[8:9], s15, v13
	s_or_b64 s[34:35], s[8:9], s[34:35]
	s_waitcnt lgkmcnt(0)
	v_sub_f32_e32 v14, v14, v11
	v_mul_f32_e32 v14, 0x3fb8aa3b, v14
	v_exp_f32_e32 v14, v14
	ds_write_b32 v12, v14
	v_add_f32_e32 v10, v10, v14
	v_add_u32_e32 v12, 0x200, v12
	s_andn2_b64 exec, exec, s[34:35]
	s_cbranch_execnz .LBB92_25
; %bb.26:
	s_or_b64 exec, exec, s[34:35]
.LBB92_27:
	s_or_b64 exec, exec, s[30:31]
	ds_bpermute_b32 v2, v2, v10
	s_waitcnt lgkmcnt(0)
	v_add_f32_e32 v2, v10, v2
	ds_bpermute_b32 v3, v3, v2
	s_waitcnt lgkmcnt(0)
	v_add_f32_e32 v2, v2, v3
	;; [unrolled: 3-line block ×6, first 2 shown]
	s_and_saveexec_b64 s[8:9], vcc
	s_cbranch_execz .LBB92_29
; %bb.28:
	ds_write_b32 v6, v2 offset:168
.LBB92_29:
	s_or_b64 exec, exec, s[8:9]
	s_waitcnt lgkmcnt(0)
	s_barrier
	s_and_saveexec_b64 s[8:9], s[0:1]
	s_cbranch_execz .LBB92_31
; %bb.30:
	ds_read_b32 v2, v8 offset:168
.LBB92_31:
	s_or_b64 exec, exec, s[8:9]
	s_waitcnt lgkmcnt(0)
	ds_bpermute_b32 v3, v24, v2
	s_waitcnt lgkmcnt(0)
	v_add_f32_e32 v2, v2, v3
	ds_bpermute_b32 v2, v9, v2
	s_and_saveexec_b64 s[0:1], s[2:3]
	s_cbranch_execz .LBB92_44
; %bb.32:
	s_waitcnt lgkmcnt(0)
	v_add_f32_e32 v2, 0x358637bd, v2
	v_div_scale_f32 v3, s[2:3], v2, v2, 1.0
	v_rcp_f32_e32 v4, v3
	v_div_scale_f32 v5, vcc, 1.0, v2, 1.0
	s_movk_i32 s2, 0x7f
	v_fma_f32 v6, -v3, v4, 1.0
	v_fmac_f32_e32 v4, v6, v4
	v_mul_f32_e32 v6, v5, v4
	v_fma_f32 v8, -v3, v6, v5
	v_fmac_f32_e32 v6, v8, v4
	v_fma_f32 v3, -v3, v6, v5
	v_div_fmas_f32 v3, v3, v4, v6
	v_xad_u32 v4, v0, -1, s15
	v_div_fixup_f32 v2, v3, v2, 1.0
	v_cmp_lt_u32_e32 vcc, s2, v4
	s_mov_b64 s[8:9], -1
	v_mov_b32_e32 v3, v0
	s_and_saveexec_b64 s[2:3], vcc
	s_cbranch_execz .LBB92_41
; %bb.33:
	v_lshrrev_b32_e32 v4, 7, v4
	v_add_u32_e32 v6, -1, v4
	v_lshrrev_b32_e32 v5, 1, v6
	v_mov_b32_e32 v3, v2
	v_add_u32_e32 v5, 1, v5
	v_cmp_lt_u32_e32 vcc, 13, v6
	v_mov_b32_e32 v9, 0
	s_and_saveexec_b64 s[8:9], vcc
	s_cbranch_execz .LBB92_37
; %bb.34:
	v_mov_b32_e32 v8, 0xb0
	v_and_b32_e32 v6, -8, v5
	v_lshl_add_u32 v8, v0, 2, v8
	s_mov_b32 s34, 0
	s_mov_b64 s[30:31], 0
.LBB92_35:                              ; =>This Inner Loop Header: Depth=1
	ds_read2st64_b32 v[10:11], v8 offset1:2
	ds_read2st64_b32 v[12:13], v8 offset0:4 offset1:6
	ds_read2st64_b32 v[14:15], v8 offset0:8 offset1:10
	;; [unrolled: 1-line block ×3, first 2 shown]
	v_add_u32_e32 v6, -8, v6
	s_waitcnt lgkmcnt(3)
	v_pk_mul_f32 v[10:11], v[2:3], v[10:11]
	s_waitcnt lgkmcnt(2)
	v_pk_mul_f32 v[12:13], v[2:3], v[12:13]
	ds_write2st64_b32 v8, v10, v11 offset1:2
	ds_write2st64_b32 v8, v12, v13 offset0:4 offset1:6
	ds_read2st64_b32 v[12:13], v8 offset0:16 offset1:18
	s_waitcnt lgkmcnt(4)
	v_pk_mul_f32 v[10:11], v[2:3], v[14:15]
	ds_write2st64_b32 v8, v10, v11 offset0:8 offset1:10
	s_waitcnt lgkmcnt(4)
	v_pk_mul_f32 v[10:11], v[2:3], v[16:17]
	ds_write2st64_b32 v8, v10, v11 offset0:12 offset1:14
	ds_read2st64_b32 v[10:11], v8 offset0:20 offset1:22
	s_waitcnt lgkmcnt(3)
	v_pk_mul_f32 v[12:13], v[2:3], v[12:13]
	ds_read2st64_b32 v[14:15], v8 offset0:24 offset1:26
	ds_write2st64_b32 v8, v12, v13 offset0:16 offset1:18
	ds_read2st64_b32 v[12:13], v8 offset0:28 offset1:30
	s_waitcnt lgkmcnt(3)
	v_pk_mul_f32 v[10:11], v[2:3], v[10:11]
	ds_write2st64_b32 v8, v10, v11 offset0:20 offset1:22
	s_waitcnt lgkmcnt(3)
	v_pk_mul_f32 v[10:11], v[2:3], v[14:15]
	ds_write2st64_b32 v8, v10, v11 offset0:24 offset1:26
	s_waitcnt lgkmcnt(2)
	v_pk_mul_f32 v[10:11], v[2:3], v[12:13]
	s_add_i32 s34, s34, 16
	v_cmp_eq_u32_e32 vcc, 0, v6
	ds_write2st64_b32 v8, v10, v11 offset0:28 offset1:30
	v_add_u32_e32 v8, 0x2000, v8
	s_or_b64 s[30:31], vcc, s[30:31]
	v_mov_b32_e32 v9, s34
	s_andn2_b64 exec, exec, s[30:31]
	s_cbranch_execnz .LBB92_35
; %bb.36:
	s_or_b64 exec, exec, s[30:31]
.LBB92_37:
	s_or_b64 exec, exec, s[8:9]
	v_and_b32_e32 v5, 7, v5
	v_cmp_ne_u32_e32 vcc, 0, v5
	s_and_saveexec_b64 s[8:9], vcc
	s_cbranch_execz .LBB92_40
; %bb.38:
	v_lshlrev_b32_e32 v6, 9, v9
	v_lshlrev_b32_e32 v8, 2, v0
	s_movk_i32 s30, 0xb0
	v_add3_u32 v6, v6, v8, s30
	s_mov_b64 s[30:31], 0
.LBB92_39:                              ; =>This Inner Loop Header: Depth=1
	ds_read2st64_b32 v[8:9], v6 offset1:2
	v_add_u32_e32 v5, -1, v5
	v_cmp_eq_u32_e32 vcc, 0, v5
	s_or_b64 s[30:31], vcc, s[30:31]
	s_waitcnt lgkmcnt(0)
	v_pk_mul_f32 v[8:9], v[2:3], v[8:9]
	ds_write2st64_b32 v6, v8, v9 offset1:2
	v_add_u32_e32 v6, 0x400, v6
	s_andn2_b64 exec, exec, s[30:31]
	s_cbranch_execnz .LBB92_39
.LBB92_40:
	s_or_b64 exec, exec, s[8:9]
	v_add_u32_e32 v4, 1, v4
	v_and_b32_e32 v5, 0x3fffffe, v4
	v_cmp_ne_u32_e32 vcc, v4, v5
	v_lshl_add_u32 v3, v5, 7, v0
	s_orn2_b64 s[8:9], vcc, exec
.LBB92_41:
	s_or_b64 exec, exec, s[2:3]
	s_and_b64 exec, exec, s[8:9]
	s_cbranch_execz .LBB92_44
; %bb.42:
	v_mov_b32_e32 v4, 0xb0
	v_lshl_add_u32 v4, v3, 2, v4
	s_mov_b64 s[2:3], 0
.LBB92_43:                              ; =>This Inner Loop Header: Depth=1
	ds_read_b32 v5, v4
	v_add_u32_e32 v3, 0x80, v3
	v_cmp_le_i32_e32 vcc, s15, v3
	s_or_b64 s[2:3], vcc, s[2:3]
	s_waitcnt lgkmcnt(0)
	v_mul_f32_e32 v5, v2, v5
	ds_write_b32 v4, v5
	v_add_u32_e32 v4, 0x200, v4
	s_andn2_b64 exec, exec, s[2:3]
	s_cbranch_execnz .LBB92_43
.LBB92_44:
	s_or_b64 exec, exec, s[0:1]
	s_mov_b32 s8, 0
	v_mov_b32_e32 v6, 0
	v_and_b32_e32 v25, 3, v0
	v_mov_b32_e32 v5, 0
	v_mov_b32_e32 v4, 0
	;; [unrolled: 1-line block ×3, first 2 shown]
	s_waitcnt lgkmcnt(0)
	v_mov_b32_e32 v2, 0
	s_barrier
	s_and_saveexec_b64 s[2:3], s[6:7]
	s_cbranch_execz .LBB92_60
; %bb.45:
	s_ashr_i32 s15, s14, 31
	s_sub_i32 s17, s12, s17
	s_lshl_b64 s[0:1], s[14:15], 1
	s_add_u32 s6, s28, s0
	s_addc_u32 s7, s29, s1
	s_abs_i32 s18, s18
	v_cvt_f32_u32_e32 v2, s18
	s_sub_i32 s0, 0, s18
	s_add_i32 s28, s41, -1
	v_and_b32_e32 v8, 0x1f8, v18
	v_rcp_iflag_f32_e32 v2, v2
	v_mov_b32_e32 v13, 0
	v_or_b32_e32 v10, 0x800, v8
	v_and_b32_e32 v12, 60, v19
	v_mul_f32_e32 v2, 0x4f7ffffe, v2
	v_cvt_u32_f32_e32 v2, v2
	s_mov_b32 s9, s8
	s_mov_b32 s12, s8
	v_and_b32_e32 v26, 24, v18
	v_mul_lo_u32 v3, s0, v2
	v_mul_hi_u32 v3, v2, v3
	v_add_u32_e32 v27, v2, v3
	s_lshl_b64 s[0:1], s[26:27], 2
	v_lshlrev_b32_e32 v2, 5, v25
	s_add_u32 s0, s10, s0
	v_lshl_or_b32 v2, v1, 7, v2
	s_addc_u32 s1, s11, s1
	v_add_u32_e32 v28, 0xb0, v2
	s_mov_b32 s10, s8
	s_mov_b32 s11, s8
	v_mov_b32_e32 v2, s8
	s_mov_b32 s29, s21
	s_mov_b32 s30, s21
	s_mov_b32 s31, s21
	s_mov_b32 s34, s21
	s_mov_b32 s35, s21
	s_mov_b32 s36, s21
	s_mov_b32 s37, s21
	v_lshl_add_u64 v[14:15], s[0:1], 0, v[12:13]
	s_mov_b64 s[14:15], 0
	v_mov_b32_e32 v3, s9
	v_mov_b32_e32 v4, s10
	;; [unrolled: 1-line block ×4, first 2 shown]
	v_lshlrev_b32_e32 v16, 1, v8
	s_mov_b32 s12, 0x5040100
	v_lshlrev_b32_e32 v12, 1, v10
	s_branch .LBB92_48
.LBB92_46:                              ;   in Loop: Header=BB92_48 Depth=1
	s_or_b64 exec, exec, s[0:1]
	s_waitcnt vmcnt(0)
	;;#ASMSTART
	v_pk_mul_f16 v8, v39, v8;

	;;#ASMEND
	;;#ASMSTART
	v_pk_mul_f16 v9, v38, v9;

	;;#ASMEND
	;; [unrolled: 4-line block ×4, first 2 shown]
	v_add_f32_e32 v17, v40, v41
	;;#ASMSTART
	v_pk_add_f16 v8, v8, v9;

	;;#ASMEND
	v_add_f32_e32 v2, v2, v17
	;;#ASMSTART
	v_pk_add_f16 v8, v8, v10;

	;;#ASMEND
	;; [unrolled: 5-line block ×3, first 2 shown]
	v_add_f32_e32 v3, v3, v17
	v_lshrrev_b32_e32 v9, 16, v8
	v_and_b32_e32 v8, 0xffff, v8
	v_add_f32_e32 v17, v44, v45
	;;#ASMSTART
	v_cvt_f32_f16 v8, v8;
	;;#ASMEND
	v_add_f32_e32 v4, v4, v17
	v_add_f32_e32 v17, v20, v21
	;;#ASMSTART
	v_cvt_f32_f16 v9, v9;
	;;#ASMEND
	v_add_f32_e32 v5, v5, v17
	v_add_f32_e32 v8, v8, v9
	;; [unrolled: 1-line block ×3, first 2 shown]
.LBB92_47:                              ;   in Loop: Header=BB92_48 Depth=1
	s_or_b64 exec, exec, s[8:9]
	v_add_u32_e32 v1, 2, v1
	v_cmp_le_i32_e32 vcc, s41, v1
	v_lshl_add_u64 v[14:15], v[14:15], 0, 8
	v_add_u32_e32 v22, 64, v22
	s_or_b64 s[14:15], vcc, s[14:15]
	v_add_u32_e32 v28, 0x100, v28
	s_andn2_b64 exec, exec, s[14:15]
	s_cbranch_execz .LBB92_59
.LBB92_48:                              ; =>This Inner Loop Header: Depth=1
	v_mul_hi_u32 v8, v22, s33
	v_mul_lo_u32 v9, v8, s23
	v_sub_u32_e32 v9, v22, v9
	v_add_u32_e32 v10, 1, v8
	v_cmp_le_u32_e32 vcc, s23, v9
	s_nop 1
	v_cndmask_b32_e32 v8, v8, v10, vcc
	v_subrev_u32_e32 v10, s23, v9
	v_cndmask_b32_e32 v9, v9, v10, vcc
	v_add_u32_e32 v10, 1, v8
	v_cmp_le_u32_e32 vcc, s23, v9
	s_nop 1
	v_cndmask_b32_e32 v8, v8, v10, vcc
	v_xor_b32_e32 v8, s19, v8
	v_subrev_u32_e32 v8, s19, v8
	v_add_u32_e32 v9, s40, v8
	v_sub_u32_e32 v11, 0, v9
	v_ashrrev_i32_e32 v10, 31, v9
	v_max_i32_e32 v9, v9, v11
	v_mul_hi_u32 v11, v9, v27
	v_mul_lo_u32 v11, v11, s18
	v_sub_u32_e32 v9, v9, v11
	v_subrev_u32_e32 v11, s18, v9
	v_cmp_le_u32_e32 vcc, s18, v9
	v_cmp_lt_i32_e64 s[0:1], s17, v8
	s_nop 0
	v_cndmask_b32_e32 v9, v9, v11, vcc
	v_subrev_u32_e32 v11, s18, v9
	v_cmp_le_u32_e32 vcc, s18, v9
	s_nop 1
	v_cndmask_b32_e32 v9, v9, v11, vcc
	v_xor_b32_e32 v9, v9, v10
	v_sub_u32_e32 v9, v9, v10
	v_cmp_eq_u32_e32 vcc, 0, v9
	s_or_b64 s[0:1], vcc, s[0:1]
	s_and_saveexec_b64 s[8:9], s[0:1]
	s_cbranch_execz .LBB92_47
; %bb.49:                               ;   in Loop: Header=BB92_48 Depth=1
	global_load_dword v17, v[14:15], off
	ds_read2_b64 v[8:11], v28 offset1:1
	ds_read2_b64 v[18:21], v28 offset0:2 offset1:3
	v_cmp_eq_u32_e32 vcc, s28, v1
	s_waitcnt lgkmcnt(1)
	;;#ASMSTART
	v_cvt_f16_f32 v36, v8;

	;;#ASMEND
	;;#ASMSTART
	v_cvt_f16_f32 v37, v9;

	;;#ASMEND
	;; [unrolled: 4-line block ×4, first 2 shown]
	s_waitcnt lgkmcnt(0)
	;;#ASMSTART
	v_cvt_f16_f32 v41, v18;

	;;#ASMEND
	;;#ASMSTART
	v_cvt_f16_f32 v42, v19;

	;;#ASMEND
	;; [unrolled: 4-line block ×4, first 2 shown]
	s_waitcnt vmcnt(0)
	v_mad_i64_i32 v[8:9], s[0:1], v17, s13, 0
	v_lshl_add_u64 v[18:19], v[8:9], 1, s[6:7]
	v_mov_b32_e32 v17, v13
	v_lshl_add_u64 v[20:21], v[18:19], 0, v[16:17]
	global_load_dwordx4 v[8:11], v[20:21], off
	v_add_u32_e32 v17, v26, v22
	v_add_u32_e32 v29, 1, v17
	v_or_b32_e32 v31, 3, v17
	v_or_b32_e32 v30, 2, v17
	;; [unrolled: 1-line block ×6, first 2 shown]
	s_and_saveexec_b64 s[10:11], vcc
	s_cbranch_execz .LBB92_51
; %bb.50:                               ;   in Loop: Header=BB92_48 Depth=1
	s_waitcnt vmcnt(0)
	v_lshrrev_b32_e32 v39, 16, v11
	v_cmp_gt_i32_e64 s[0:1], s37, v35
	s_nop 1
	v_cndmask_b32_e64 v39, 0, v39, s[0:1]
	v_cmp_gt_i32_e64 s[0:1], s36, v34
	s_nop 1
	v_cndmask_b32_e64 v11, 0, v11, s[0:1]
	v_perm_b32 v11, v39, v11, s12
	v_lshrrev_b32_e32 v39, 16, v10
	v_cmp_gt_i32_e64 s[0:1], s35, v33
	s_nop 1
	v_cndmask_b32_e64 v39, 0, v39, s[0:1]
	v_cmp_gt_i32_e64 s[0:1], s34, v32
	s_nop 1
	v_cndmask_b32_e64 v10, 0, v10, s[0:1]
	v_perm_b32 v10, v39, v10, s12
	;; [unrolled: 8-line block ×4, first 2 shown]
.LBB92_51:                              ;   in Loop: Header=BB92_48 Depth=1
	s_or_b64 exec, exec, s[10:11]
	v_and_b32_e32 v36, 0xffff, v36
	v_lshl_or_b32 v39, v37, 16, v36
	v_and_b32_e32 v36, 0xffff, v38
	v_lshl_or_b32 v38, v40, 16, v36
	;; [unrolled: 2-line block ×3, first 2 shown]
	v_and_b32_e32 v36, 0xffff, v43
	s_waitcnt vmcnt(0)
	;;#ASMSTART
	v_pk_mul_f16 v8, v39, v8;

	;;#ASMEND
	v_lshl_or_b32 v36, v44, 16, v36
	;;#ASMSTART
	v_pk_mul_f16 v9, v38, v9;

	;;#ASMEND
	;;#ASMSTART
	v_pk_mul_f16 v10, v37, v10;

	;;#ASMEND
	;; [unrolled: 4-line block ×3, first 2 shown]
	s_nop 0
	;;#ASMSTART
	v_pk_add_f16 v8, v8, v9;

	;;#ASMEND
	s_nop 0
	;;#ASMSTART
	v_pk_add_f16 v8, v8, v10;

	;;#ASMEND
	;; [unrolled: 5-line block ×3, first 2 shown]
	s_nop 0
	v_lshrrev_b32_e32 v9, 16, v8
	v_and_b32_e32 v8, 0xffff, v8
	;;#ASMSTART
	v_cvt_f32_f16 v40, v8;
	;;#ASMEND
	;;#ASMSTART
	v_cvt_f32_f16 v41, v9;
	;;#ASMEND
	global_load_dwordx4 v[8:11], v[20:21], off offset:1024
	s_and_saveexec_b64 s[10:11], vcc
	s_cbranch_execz .LBB92_53
; %bb.52:                               ;   in Loop: Header=BB92_48 Depth=1
	s_waitcnt vmcnt(0)
	v_lshrrev_b32_e32 v42, 16, v11
	v_cmp_gt_i32_e64 s[0:1], s37, v35
	s_nop 1
	v_cndmask_b32_e64 v42, 0, v42, s[0:1]
	v_cmp_gt_i32_e64 s[0:1], s36, v34
	s_nop 1
	v_cndmask_b32_e64 v11, 0, v11, s[0:1]
	v_perm_b32 v11, v42, v11, s12
	v_lshrrev_b32_e32 v42, 16, v10
	v_cmp_gt_i32_e64 s[0:1], s35, v33
	s_nop 1
	v_cndmask_b32_e64 v42, 0, v42, s[0:1]
	v_cmp_gt_i32_e64 s[0:1], s34, v32
	s_nop 1
	v_cndmask_b32_e64 v10, 0, v10, s[0:1]
	v_perm_b32 v10, v42, v10, s12
	;; [unrolled: 8-line block ×4, first 2 shown]
.LBB92_53:                              ;   in Loop: Header=BB92_48 Depth=1
	s_or_b64 exec, exec, s[10:11]
	s_waitcnt vmcnt(0)
	;;#ASMSTART
	v_pk_mul_f16 v8, v39, v8;

	;;#ASMEND
	;;#ASMSTART
	v_pk_mul_f16 v9, v38, v9;

	;;#ASMEND
	;; [unrolled: 4-line block ×4, first 2 shown]
	s_nop 0
	;;#ASMSTART
	v_pk_add_f16 v8, v8, v9;

	;;#ASMEND
	s_nop 0
	;;#ASMSTART
	v_pk_add_f16 v8, v8, v10;

	;;#ASMEND
	;; [unrolled: 5-line block ×3, first 2 shown]
	s_nop 0
	v_lshrrev_b32_e32 v9, 16, v8
	v_and_b32_e32 v8, 0xffff, v8
	;;#ASMSTART
	v_cvt_f32_f16 v42, v8;
	;;#ASMEND
	;;#ASMSTART
	v_cvt_f32_f16 v43, v9;
	;;#ASMEND
	global_load_dwordx4 v[8:11], v[20:21], off offset:2048
	s_and_saveexec_b64 s[10:11], vcc
	s_cbranch_execz .LBB92_55
; %bb.54:                               ;   in Loop: Header=BB92_48 Depth=1
	s_waitcnt vmcnt(0)
	v_lshrrev_b32_e32 v44, 16, v11
	v_cmp_gt_i32_e64 s[0:1], s37, v35
	s_nop 1
	v_cndmask_b32_e64 v44, 0, v44, s[0:1]
	v_cmp_gt_i32_e64 s[0:1], s36, v34
	s_nop 1
	v_cndmask_b32_e64 v11, 0, v11, s[0:1]
	v_perm_b32 v11, v44, v11, s12
	v_lshrrev_b32_e32 v44, 16, v10
	v_cmp_gt_i32_e64 s[0:1], s35, v33
	s_nop 1
	v_cndmask_b32_e64 v44, 0, v44, s[0:1]
	v_cmp_gt_i32_e64 s[0:1], s34, v32
	s_nop 1
	v_cndmask_b32_e64 v10, 0, v10, s[0:1]
	v_perm_b32 v10, v44, v10, s12
	;; [unrolled: 8-line block ×4, first 2 shown]
.LBB92_55:                              ;   in Loop: Header=BB92_48 Depth=1
	s_or_b64 exec, exec, s[10:11]
	s_waitcnt vmcnt(0)
	;;#ASMSTART
	v_pk_mul_f16 v8, v39, v8;

	;;#ASMEND
	;;#ASMSTART
	v_pk_mul_f16 v9, v38, v9;

	;;#ASMEND
	;; [unrolled: 4-line block ×4, first 2 shown]
	s_nop 0
	;;#ASMSTART
	v_pk_add_f16 v8, v8, v9;

	;;#ASMEND
	s_nop 0
	;;#ASMSTART
	v_pk_add_f16 v8, v8, v10;

	;;#ASMEND
	;; [unrolled: 5-line block ×3, first 2 shown]
	s_nop 0
	v_lshrrev_b32_e32 v9, 16, v8
	v_and_b32_e32 v8, 0xffff, v8
	;;#ASMSTART
	v_cvt_f32_f16 v44, v8;
	;;#ASMEND
	;;#ASMSTART
	v_cvt_f32_f16 v45, v9;
	;;#ASMEND
	global_load_dwordx4 v[8:11], v[20:21], off offset:3072
	s_and_saveexec_b64 s[10:11], vcc
	s_cbranch_execz .LBB92_57
; %bb.56:                               ;   in Loop: Header=BB92_48 Depth=1
	s_waitcnt vmcnt(0)
	v_lshrrev_b32_e32 v20, 16, v11
	v_cmp_gt_i32_e64 s[0:1], s37, v35
	s_nop 1
	v_cndmask_b32_e64 v20, 0, v20, s[0:1]
	v_cmp_gt_i32_e64 s[0:1], s36, v34
	s_nop 1
	v_cndmask_b32_e64 v11, 0, v11, s[0:1]
	v_perm_b32 v11, v20, v11, s12
	v_lshrrev_b32_e32 v20, 16, v10
	v_cmp_gt_i32_e64 s[0:1], s35, v33
	s_nop 1
	v_cndmask_b32_e64 v20, 0, v20, s[0:1]
	v_cmp_gt_i32_e64 s[0:1], s34, v32
	s_nop 1
	v_cndmask_b32_e64 v10, 0, v10, s[0:1]
	v_perm_b32 v10, v20, v10, s12
	;; [unrolled: 8-line block ×4, first 2 shown]
.LBB92_57:                              ;   in Loop: Header=BB92_48 Depth=1
	s_or_b64 exec, exec, s[10:11]
	s_waitcnt vmcnt(0)
	;;#ASMSTART
	v_pk_mul_f16 v8, v39, v8;

	;;#ASMEND
	;;#ASMSTART
	v_pk_mul_f16 v9, v38, v9;

	;;#ASMEND
	;; [unrolled: 4-line block ×4, first 2 shown]
	s_nop 0
	;;#ASMSTART
	v_pk_add_f16 v8, v8, v9;

	;;#ASMEND
	s_nop 0
	;;#ASMSTART
	v_pk_add_f16 v8, v8, v10;

	;;#ASMEND
	;; [unrolled: 5-line block ×3, first 2 shown]
	s_nop 0
	v_lshrrev_b32_e32 v9, 16, v8
	v_and_b32_e32 v8, 0xffff, v8
	;;#ASMSTART
	v_cvt_f32_f16 v20, v8;
	;;#ASMEND
	;;#ASMSTART
	v_cvt_f32_f16 v21, v9;
	;;#ASMEND
	v_lshl_add_u64 v[8:9], v[18:19], 0, v[12:13]
	global_load_dwordx4 v[8:11], v[8:9], off
	s_and_saveexec_b64 s[0:1], vcc
	s_cbranch_execz .LBB92_46
; %bb.58:                               ;   in Loop: Header=BB92_48 Depth=1
	s_waitcnt vmcnt(0)
	v_lshrrev_b32_e32 v18, 16, v11
	v_cmp_gt_i32_e32 vcc, s37, v35
	s_nop 1
	v_cndmask_b32_e32 v18, 0, v18, vcc
	v_cmp_gt_i32_e32 vcc, s36, v34
	s_nop 1
	v_cndmask_b32_e32 v11, 0, v11, vcc
	v_perm_b32 v11, v18, v11, s12
	v_lshrrev_b32_e32 v18, 16, v10
	v_cmp_gt_i32_e32 vcc, s35, v33
	s_nop 1
	v_cndmask_b32_e32 v18, 0, v18, vcc
	v_cmp_gt_i32_e32 vcc, s34, v32
	s_nop 1
	v_cndmask_b32_e32 v10, 0, v10, vcc
	v_perm_b32 v10, v18, v10, s12
	;; [unrolled: 8-line block ×4, first 2 shown]
	s_branch .LBB92_46
.LBB92_59:
	s_or_b64 exec, exec, s[14:15]
.LBB92_60:
	s_or_b64 exec, exec, s[2:3]
	ds_bpermute_b32 v8, v7, v2
	ds_bpermute_b32 v9, v7, v3
	;; [unrolled: 1-line block ×5, first 2 shown]
	s_waitcnt lgkmcnt(0)
	v_pk_add_f32 v[2:3], v[2:3], v[8:9]
	ds_bpermute_b32 v8, v24, v2
	v_pk_add_f32 v[4:5], v[4:5], v[10:11]
	v_add_f32_e32 v1, v6, v1
	ds_bpermute_b32 v9, v24, v3
	ds_bpermute_b32 v10, v24, v4
	ds_bpermute_b32 v11, v24, v5
	ds_bpermute_b32 v12, v24, v1
	s_barrier
	s_waitcnt lgkmcnt(3)
	v_pk_add_f32 v[6:7], v[2:3], v[8:9]
	s_waitcnt lgkmcnt(0)
	v_pk_add_f32 v[2:3], v[4:5], v[10:11]
	v_add_f32_e32 v4, v1, v12
	v_and_b32_e32 v1, 0x3c3, v0
	v_cmp_eq_u32_e32 vcc, 64, v1
	s_and_saveexec_b64 s[0:1], vcc
	s_cbranch_execz .LBB92_62
; %bb.61:
	v_add_u32_e32 v5, 0xb0, v23
	ds_write2_b32 v5, v6, v7 offset1:16
	ds_write2_b32 v5, v2, v3 offset0:32 offset1:48
	ds_write_b32 v5, v4 offset:256
.LBB92_62:
	s_or_b64 exec, exec, s[0:1]
	v_cmp_gt_u32_e32 vcc, 64, v0
	s_waitcnt lgkmcnt(0)
	s_barrier
	s_and_saveexec_b64 s[0:1], vcc
	s_cbranch_execz .LBB92_70
; %bb.63:
	v_cmp_eq_u32_e32 vcc, 0, v25
	v_lshrrev_b32_e32 v5, 2, v0
	s_and_saveexec_b64 s[2:3], vcc
	s_cbranch_execnz .LBB92_73
; %bb.64:
	s_or_b64 exec, exec, s[2:3]
	s_and_saveexec_b64 s[2:3], vcc
	s_cbranch_execnz .LBB92_74
.LBB92_65:
	s_or_b64 exec, exec, s[2:3]
	s_and_saveexec_b64 s[2:3], vcc
	s_cbranch_execnz .LBB92_75
.LBB92_66:
	s_or_b64 exec, exec, s[2:3]
	s_and_saveexec_b64 s[2:3], vcc
	s_cbranch_execnz .LBB92_76
.LBB92_67:
	s_or_b64 exec, exec, s[2:3]
	s_and_saveexec_b64 s[2:3], vcc
	s_cbranch_execz .LBB92_69
.LBB92_68:
	v_mov_b32_e32 v8, 0xb0
	v_lshl_add_u32 v5, v5, 2, v8
	ds_read_b32 v5, v5 offset:256
	s_waitcnt lgkmcnt(0)
	v_add_f32_e32 v4, v4, v5
.LBB92_69:
	s_or_b64 exec, exec, s[2:3]
.LBB92_70:
	s_or_b64 exec, exec, s[0:1]
	v_cmp_eq_u32_e32 vcc, 0, v1
	s_barrier
	s_and_saveexec_b64 s[0:1], vcc
	s_cbranch_execz .LBB92_72
; %bb.71:
	s_mul_i32 s0, s20, s16
	s_mul_i32 s0, s0, s5
	s_mulk_i32 s0, 0x50
	s_ashr_i32 s1, s0, 31
	s_lshl_b64 s[0:1], s[0:1], 1
	s_add_u32 s2, s24, s0
	s_mul_i32 s0, s16, s22
	s_addc_u32 s3, s25, s1
	s_ashr_i32 s1, s0, 31
	s_lshl_b64 s[0:1], s[0:1], 1
	s_add_u32 s2, s2, s0
	s_mul_i32 s0, s4, 0x50
	s_addc_u32 s3, s3, s1
	s_ashr_i32 s1, s0, 31
	s_lshl_b64 s[0:1], s[0:1], 1
	s_add_u32 s0, s2, s0
	s_addc_u32 s1, s3, s1
	v_lshrrev_b32_e32 v0, 1, v0
	;;#ASMSTART
	v_cvt_f16_f32 v1, v6;

	;;#ASMEND
	global_store_short v0, v1, s[0:1]
	;;#ASMSTART
	v_cvt_f16_f32 v1, v7;

	;;#ASMEND
	global_store_short v0, v1, s[0:1] offset:32
	;;#ASMSTART
	v_cvt_f16_f32 v1, v2;

	;;#ASMEND
	global_store_short v0, v1, s[0:1] offset:64
	;; [unrolled: 5-line block ×4, first 2 shown]
.LBB92_72:
	s_endpgm
.LBB92_73:
	v_mov_b32_e32 v8, 0xb0
	v_lshl_add_u32 v8, v5, 2, v8
	ds_read_b32 v8, v8
	s_waitcnt lgkmcnt(0)
	v_add_f32_e32 v6, v6, v8
	s_or_b64 exec, exec, s[2:3]
	s_and_saveexec_b64 s[2:3], vcc
	s_cbranch_execz .LBB92_65
.LBB92_74:
	v_mov_b32_e32 v8, 0xb0
	v_lshl_add_u32 v8, v5, 2, v8
	ds_read_b32 v8, v8 offset:64
	s_waitcnt lgkmcnt(0)
	v_add_f32_e32 v7, v7, v8
	s_or_b64 exec, exec, s[2:3]
	s_and_saveexec_b64 s[2:3], vcc
	s_cbranch_execz .LBB92_66
.LBB92_75:
	v_mov_b32_e32 v8, 0xb0
	v_lshl_add_u32 v8, v5, 2, v8
	ds_read_b32 v8, v8 offset:128
	s_waitcnt lgkmcnt(0)
	v_add_f32_e32 v2, v2, v8
	s_or_b64 exec, exec, s[2:3]
	s_and_saveexec_b64 s[2:3], vcc
	s_cbranch_execz .LBB92_67
.LBB92_76:
	v_mov_b32_e32 v8, 0xb0
	v_lshl_add_u32 v8, v5, 2, v8
	ds_read_b32 v8, v8 offset:192
	s_waitcnt lgkmcnt(0)
	v_add_f32_e32 v3, v3, v8
	s_or_b64 exec, exec, s[2:3]
	s_and_saveexec_b64 s[2:3], vcc
	s_cbranch_execnz .LBB92_68
	s_branch .LBB92_69
	.section	.rodata,"a",@progbits
	.p2align	6, 0x0
	.amdhsa_kernel _ZN4vllm25paged_attention_v1_kernelIttLi80ELi32ELi128ELNS_18Fp8KVCacheDataTypeE0ELb1EEEvPT_PKS2_PKT0_S8_ifPKiSA_iPKfiiiSC_SC_iiiii
		.amdhsa_group_segment_fixed_size 176
		.amdhsa_private_segment_fixed_size 0
		.amdhsa_kernarg_size 384
		.amdhsa_user_sgpr_count 2
		.amdhsa_user_sgpr_dispatch_ptr 0
		.amdhsa_user_sgpr_queue_ptr 0
		.amdhsa_user_sgpr_kernarg_segment_ptr 1
		.amdhsa_user_sgpr_dispatch_id 0
		.amdhsa_user_sgpr_kernarg_preload_length 0
		.amdhsa_user_sgpr_kernarg_preload_offset 0
		.amdhsa_user_sgpr_private_segment_size 0
		.amdhsa_uses_dynamic_stack 0
		.amdhsa_enable_private_segment 0
		.amdhsa_system_sgpr_workgroup_id_x 1
		.amdhsa_system_sgpr_workgroup_id_y 1
		.amdhsa_system_sgpr_workgroup_id_z 1
		.amdhsa_system_sgpr_workgroup_info 0
		.amdhsa_system_vgpr_workitem_id 0
		.amdhsa_next_free_vgpr 71
		.amdhsa_next_free_sgpr 48
		.amdhsa_accum_offset 72
		.amdhsa_reserve_vcc 1
		.amdhsa_float_round_mode_32 0
		.amdhsa_float_round_mode_16_64 0
		.amdhsa_float_denorm_mode_32 3
		.amdhsa_float_denorm_mode_16_64 3
		.amdhsa_dx10_clamp 1
		.amdhsa_ieee_mode 1
		.amdhsa_fp16_overflow 0
		.amdhsa_tg_split 0
		.amdhsa_exception_fp_ieee_invalid_op 0
		.amdhsa_exception_fp_denorm_src 0
		.amdhsa_exception_fp_ieee_div_zero 0
		.amdhsa_exception_fp_ieee_overflow 0
		.amdhsa_exception_fp_ieee_underflow 0
		.amdhsa_exception_fp_ieee_inexact 0
		.amdhsa_exception_int_div_zero 0
	.end_amdhsa_kernel
	.section	.text._ZN4vllm25paged_attention_v1_kernelIttLi80ELi32ELi128ELNS_18Fp8KVCacheDataTypeE0ELb1EEEvPT_PKS2_PKT0_S8_ifPKiSA_iPKfiiiSC_SC_iiiii,"axG",@progbits,_ZN4vllm25paged_attention_v1_kernelIttLi80ELi32ELi128ELNS_18Fp8KVCacheDataTypeE0ELb1EEEvPT_PKS2_PKT0_S8_ifPKiSA_iPKfiiiSC_SC_iiiii,comdat
.Lfunc_end92:
	.size	_ZN4vllm25paged_attention_v1_kernelIttLi80ELi32ELi128ELNS_18Fp8KVCacheDataTypeE0ELb1EEEvPT_PKS2_PKT0_S8_ifPKiSA_iPKfiiiSC_SC_iiiii, .Lfunc_end92-_ZN4vllm25paged_attention_v1_kernelIttLi80ELi32ELi128ELNS_18Fp8KVCacheDataTypeE0ELb1EEEvPT_PKS2_PKT0_S8_ifPKiSA_iPKfiiiSC_SC_iiiii
                                        ; -- End function
	.section	.AMDGPU.csdata,"",@progbits
; Kernel info:
; codeLenInByte = 7336
; NumSgprs: 54
; NumVgprs: 71
; NumAgprs: 0
; TotalNumVgprs: 71
; ScratchSize: 0
; MemoryBound: 0
; FloatMode: 240
; IeeeMode: 1
; LDSByteSize: 176 bytes/workgroup (compile time only)
; SGPRBlocks: 6
; VGPRBlocks: 8
; NumSGPRsForWavesPerEU: 54
; NumVGPRsForWavesPerEU: 71
; AccumOffset: 72
; Occupancy: 7
; WaveLimiterHint : 1
; COMPUTE_PGM_RSRC2:SCRATCH_EN: 0
; COMPUTE_PGM_RSRC2:USER_SGPR: 2
; COMPUTE_PGM_RSRC2:TRAP_HANDLER: 0
; COMPUTE_PGM_RSRC2:TGID_X_EN: 1
; COMPUTE_PGM_RSRC2:TGID_Y_EN: 1
; COMPUTE_PGM_RSRC2:TGID_Z_EN: 1
; COMPUTE_PGM_RSRC2:TIDIG_COMP_CNT: 0
; COMPUTE_PGM_RSRC3_GFX90A:ACCUM_OFFSET: 17
; COMPUTE_PGM_RSRC3_GFX90A:TG_SPLIT: 0
	.section	.text._ZN4vllm25paged_attention_v1_kernelIttLi96ELi32ELi128ELNS_18Fp8KVCacheDataTypeE0ELb1EEEvPT_PKS2_PKT0_S8_ifPKiSA_iPKfiiiSC_SC_iiiii,"axG",@progbits,_ZN4vllm25paged_attention_v1_kernelIttLi96ELi32ELi128ELNS_18Fp8KVCacheDataTypeE0ELb1EEEvPT_PKS2_PKT0_S8_ifPKiSA_iPKfiiiSC_SC_iiiii,comdat
	.protected	_ZN4vllm25paged_attention_v1_kernelIttLi96ELi32ELi128ELNS_18Fp8KVCacheDataTypeE0ELb1EEEvPT_PKS2_PKT0_S8_ifPKiSA_iPKfiiiSC_SC_iiiii ; -- Begin function _ZN4vllm25paged_attention_v1_kernelIttLi96ELi32ELi128ELNS_18Fp8KVCacheDataTypeE0ELb1EEEvPT_PKS2_PKT0_S8_ifPKiSA_iPKfiiiSC_SC_iiiii
	.globl	_ZN4vllm25paged_attention_v1_kernelIttLi96ELi32ELi128ELNS_18Fp8KVCacheDataTypeE0ELb1EEEvPT_PKS2_PKT0_S8_ifPKiSA_iPKfiiiSC_SC_iiiii
	.p2align	8
	.type	_ZN4vllm25paged_attention_v1_kernelIttLi96ELi32ELi128ELNS_18Fp8KVCacheDataTypeE0ELb1EEEvPT_PKS2_PKT0_S8_ifPKiSA_iPKfiiiSC_SC_iiiii,@function
_ZN4vllm25paged_attention_v1_kernelIttLi96ELi32ELi128ELNS_18Fp8KVCacheDataTypeE0ELb1EEEvPT_PKS2_PKT0_S8_ifPKiSA_iPKfiiiSC_SC_iiiii: ; @_ZN4vllm25paged_attention_v1_kernelIttLi96ELi32ELi128ELNS_18Fp8KVCacheDataTypeE0ELb1EEEvPT_PKS2_PKT0_S8_ifPKiSA_iPKfiiiSC_SC_iiiii
; %bb.0:
	s_load_dword s5, s[0:1], 0x80
	s_load_dwordx2 s[6:7], s[0:1], 0x30
	s_load_dwordx2 s[30:31], s[0:1], 0x20
	s_mov_b32 s20, s3
	s_ashr_i32 s21, s3, 31
	s_lshl_b64 s[8:9], s[20:21], 2
	s_waitcnt lgkmcnt(0)
	s_add_u32 s6, s6, s8
	s_addc_u32 s7, s7, s9
	s_abs_i32 s3, s30
	v_cvt_f32_u32_e32 v1, s3
	s_sub_i32 s10, 0, s3
	s_abs_i32 s9, s5
	s_xor_b32 s8, s5, s30
	v_rcp_iflag_f32_e32 v1, v1
	s_ashr_i32 s8, s8, 31
	s_mov_b32 s42, 0
	v_mul_f32_e32 v1, 0x4f7ffffe, v1
	v_cvt_u32_f32_e32 v1, v1
	s_nop 0
	v_readfirstlane_b32 s11, v1
	s_mul_i32 s10, s10, s11
	s_mul_hi_u32 s10, s11, s10
	s_add_i32 s11, s11, s10
	s_mul_hi_u32 s10, s9, s11
	s_mul_i32 s11, s10, s3
	s_sub_i32 s9, s9, s11
	s_add_i32 s11, s10, 1
	s_sub_i32 s12, s9, s3
	s_cmp_ge_u32 s9, s3
	s_cselect_b32 s10, s11, s10
	s_cselect_b32 s9, s12, s9
	s_add_i32 s11, s10, 1
	s_cmp_ge_u32 s9, s3
	s_cselect_b32 s3, s11, s10
	s_xor_b32 s3, s3, s8
	s_sub_i32 s12, s3, s8
	s_abs_i32 s10, s12
	v_cvt_f32_u32_e32 v1, s10
	s_load_dwordx2 s[8:9], s[0:1], 0x40
	s_sub_i32 s3, 0, s10
	s_abs_i32 s11, s2
	v_rcp_iflag_f32_e32 v1, v1
	s_nop 0
	v_mul_f32_e32 v1, 0x4f7ffffe, v1
	v_cvt_u32_f32_e32 v1, v1
	s_nop 0
	v_readfirstlane_b32 s13, v1
	s_mul_i32 s3, s3, s13
	s_mul_hi_u32 s3, s13, s3
	s_add_i32 s13, s13, s3
	s_waitcnt lgkmcnt(0)
	s_cmp_eq_u64 s[8:9], 0
	s_mul_hi_u32 s24, s11, s13
	s_cbranch_scc1 .LBB93_2
; %bb.1:
	s_ashr_i32 s3, s2, 31
	s_lshl_b64 s[14:15], s[2:3], 2
	s_add_u32 s8, s8, s14
	s_addc_u32 s9, s9, s15
	s_load_dword s42, s[8:9], 0x0
.LBB93_2:
	s_load_dword s21, s[6:7], 0x0
	s_ashr_i32 s9, s12, 31
	s_load_dwordx4 s[12:15], s[0:1], 0x48
	s_ashr_i32 s3, s2, 31
	v_and_b32_e32 v4, 1, v0
	s_movk_i32 s8, 0x60
	s_mul_i32 s22, s2, 0x60
	v_cmp_gt_u32_e32 vcc, 24, v0
	v_lshlrev_b32_e32 v22, 3, v0
	s_and_saveexec_b64 s[6:7], vcc
	s_cbranch_execz .LBB93_4
; %bb.3:
	s_load_dwordx2 s[16:17], s[0:1], 0x8
	s_waitcnt lgkmcnt(0)
	s_mul_i32 s18, s20, s12
	s_ashr_i32 s19, s18, 31
	s_lshl_b64 s[18:19], s[18:19], 1
	v_lshlrev_b32_e32 v1, 2, v0
	s_add_u32 s12, s16, s18
	s_addc_u32 s15, s17, s19
	s_ashr_i32 s23, s22, 31
	s_lshl_b64 s[16:17], s[22:23], 1
	s_add_u32 s16, s12, s16
	s_addc_u32 s17, s15, s17
	global_load_dwordx2 v[2:3], v22, s[16:17]
	v_and_b32_e32 v1, 0xff8, v1
	v_mad_u32_u24 v1, v4, s8, v1
	s_waitcnt vmcnt(0)
	ds_write_b64 v1, v[2:3]
.LBB93_4:
	s_or_b64 exec, exec, s[6:7]
	s_mul_i32 s6, s24, s10
	s_sub_i32 s6, s11, s6
	s_xor_b32 s3, s3, s9
	s_add_i32 s7, s24, 1
	s_sub_i32 s9, s6, s10
	s_load_dwordx4 s[16:19], s[0:1], 0x68
	s_load_dword s8, s[0:1], 0x78
	s_cmp_ge_u32 s6, s10
	s_cselect_b32 s7, s7, s24
	s_cselect_b32 s6, s9, s6
	s_add_i32 s9, s7, 1
	s_cmp_ge_u32 s6, s10
	s_cselect_b32 s6, s9, s7
	s_waitcnt lgkmcnt(0)
	s_abs_i32 s23, s19
	v_cvt_f32_u32_e32 v1, s23
	s_xor_b32 s6, s6, s3
	s_sub_i32 s3, s6, s3
	s_sub_i32 s6, 0, s23
	v_rcp_iflag_f32_e32 v1, v1
	s_add_i32 s15, s21, -1
	s_abs_i32 s9, s15
	v_mul_f32_e32 v1, 0x4f7ffffe, v1
	v_cvt_u32_f32_e32 v1, v1
	s_barrier
	v_readfirstlane_b32 s33, v1
	s_mul_i32 s6, s6, s33
	s_mul_hi_u32 s6, s33, s6
	s_add_i32 s33, s33, s6
	s_cmp_lt_i32 s8, 0
	s_mul_hi_u32 s12, s9, s33
	s_cbranch_scc0 .LBB93_6
; %bb.5:
	s_mul_i32 s6, s16, s30
	s_add_i32 s6, s3, s6
	s_mul_i32 s6, s6, s8
	s_sub_i32 s40, 1, s6
	s_mov_b64 s[6:7], 0
	s_branch .LBB93_7
.LBB93_6:
	s_mov_b64 s[6:7], -1
                                        ; implicit-def: $sgpr40
.LBB93_7:
	s_load_dwordx2 s[10:11], s[0:1], 0x28
	s_ashr_i32 s15, s15, 31
	s_andn2_b64 vcc, exec, s[6:7]
	s_ashr_i32 s19, s19, 31
	s_cbranch_vccnz .LBB93_9
; %bb.8:
	s_mul_i32 s6, s5, s16
	s_add_i32 s2, s6, s2
	s_mul_i32 s2, s2, s8
	s_add_i32 s40, s2, 1
.LBB93_9:
	s_load_dword s2, s[0:1], 0x38
	s_load_dwordx2 s[24:25], s[0:1], 0x0
	s_load_dwordx2 s[28:29], s[0:1], 0x18
	s_load_dword s16, s[0:1], 0x88
	s_xor_b32 s6, s15, s19
	s_waitcnt lgkmcnt(0)
	s_mul_i32 s26, s20, s2
	s_mul_i32 s2, s12, s23
	s_sub_i32 s2, s9, s2
	s_ashr_i32 s27, s26, 31
	s_add_i32 s7, s12, 1
	s_sub_i32 s8, s2, s23
	s_cmp_ge_u32 s2, s23
	s_cselect_b32 s7, s7, s12
	s_cselect_b32 s2, s8, s2
	s_add_i32 s8, s7, 1
	s_cmp_ge_u32 s2, s23
	s_cselect_b32 s2, s8, s7
	s_xor_b32 s2, s2, s6
	s_sub_i32 s12, s2, s6
	s_add_i32 s2, s21, 31
	s_ashr_i32 s6, s2, 31
	s_lshr_b32 s6, s6, 27
	s_add_i32 s2, s2, s6
	s_ashr_i32 s41, s2, 5
	v_lshrrev_b32_e32 v1, 6, v0
	v_cmp_gt_i32_e64 s[6:7], s41, v1
	v_mov_b32_e32 v28, 0xff7fffff
	s_mul_i32 s14, s3, s14
	v_lshrrev_b32_e32 v23, 4, v0
	v_lshlrev_b32_e32 v24, 5, v1
	v_mbcnt_lo_u32_b32 v25, -1, 0
	s_and_saveexec_b64 s[34:35], s[6:7]
	s_cbranch_execz .LBB93_19
; %bb.10:
	s_load_dwordx2 s[0:1], s[0:1], 0x10
	s_ashr_i32 s15, s14, 31
	s_sub_i32 s30, s12, s17
	s_lshl_b64 s[8:9], s[14:15], 1
	v_bfe_u32 v26, v0, 1, 5
	s_waitcnt lgkmcnt(0)
	s_add_u32 s0, s0, s8
	s_addc_u32 s1, s1, s9
	s_abs_i32 s15, s18
	v_cvt_f32_u32_e32 v2, s15
	s_sub_i32 s8, 0, s15
	v_cmp_eq_u32_e64 s[2:3], 0, v4
	v_lshlrev_b32_e32 v6, 4, v26
	v_rcp_iflag_f32_e32 v5, v2
	v_mov_b32_e32 v7, 0
	v_mul_u32_u24_e32 v27, 0x60, v4
	v_lshl_add_u64 v[2:3], s[0:1], 0, v[6:7]
	v_mul_f32_e32 v5, 0x4f7ffffe, v5
	v_cvt_u32_f32_e32 v5, v5
	v_and_b32_e32 v6, 8, v22
	v_lshl_add_u64 v[2:3], v[2:3], 0, v[6:7]
	v_and_b32_e32 v6, 60, v23
	v_mul_lo_u32 v4, s8, v5
	s_lshl_b64 s[8:9], s[26:27], 2
	s_add_u32 s8, s10, s8
	v_mul_hi_u32 v4, v5, v4
	s_addc_u32 s9, s11, s9
	v_add_u32_e32 v29, v5, v4
	v_lshl_add_u64 v[4:5], s[8:9], 0, v[6:7]
	v_lshlrev_b32_e32 v6, 2, v26
	v_lshl_or_b32 v6, v1, 7, v6
	v_add_u32_e32 v31, 0xd0, v6
	v_subrev_u32_e32 v6, s21, v26
	v_mbcnt_hi_u32_b32 v34, -1, v25
	v_add_u32_e32 v32, 1, v6
	v_and_b32_e32 v6, 64, v34
	s_mov_b32 s43, s13
	v_cmp_neq_f32_e64 s[0:1], s42, 0
	v_lshlrev_b32_e32 v30, 5, v1
	s_mov_b64 s[36:37], 0
	v_mov_b32_e32 v33, 0xff7fffff
	s_movk_i32 s44, 0x1000
	v_xor_b32_e32 v35, 1, v34
	v_add_u32_e32 v36, 64, v6
	v_mov_b32_e32 v28, 0xff7fffff
	v_mov_b32_e32 v37, v1
	s_branch .LBB93_13
.LBB93_11:                              ;   in Loop: Header=BB93_13 Depth=1
	s_or_b64 exec, exec, s[38:39]
.LBB93_12:                              ;   in Loop: Header=BB93_13 Depth=1
	s_or_b64 exec, exec, s[8:9]
	v_add_u32_e32 v37, 2, v37
	v_cmp_le_i32_e32 vcc, s41, v37
	v_lshl_add_u64 v[4:5], v[4:5], 0, 8
	v_add_u32_e32 v30, 64, v30
	s_or_b64 s[36:37], vcc, s[36:37]
	v_add_u32_e32 v31, 0x100, v31
	s_andn2_b64 exec, exec, s[36:37]
	s_cbranch_execz .LBB93_18
.LBB93_13:                              ; =>This Inner Loop Header: Depth=1
	v_mul_hi_u32 v6, v30, s33
	s_waitcnt lgkmcnt(0)
	v_mul_lo_u32 v7, v6, s23
	v_sub_u32_e32 v7, v30, v7
	v_add_u32_e32 v8, 1, v6
	v_cmp_le_u32_e32 vcc, s23, v7
	s_nop 1
	v_cndmask_b32_e32 v6, v6, v8, vcc
	v_subrev_u32_e32 v8, s23, v7
	v_cndmask_b32_e32 v7, v7, v8, vcc
	v_add_u32_e32 v8, 1, v6
	v_cmp_le_u32_e32 vcc, s23, v7
	s_nop 1
	v_cndmask_b32_e32 v6, v6, v8, vcc
	v_xor_b32_e32 v6, s19, v6
	v_subrev_u32_e32 v6, s19, v6
	v_add_u32_e32 v7, s40, v6
	v_sub_u32_e32 v9, 0, v7
	v_ashrrev_i32_e32 v8, 31, v7
	v_max_i32_e32 v7, v7, v9
	v_mul_hi_u32 v9, v7, v29
	v_mul_lo_u32 v9, v9, s15
	v_sub_u32_e32 v7, v7, v9
	v_subrev_u32_e32 v9, s15, v7
	v_cmp_le_u32_e32 vcc, s15, v7
	v_cmp_ge_i32_e64 s[8:9], s30, v6
	s_nop 0
	v_cndmask_b32_e32 v7, v7, v9, vcc
	v_subrev_u32_e32 v9, s15, v7
	v_cmp_le_u32_e32 vcc, s15, v7
	s_nop 1
	v_cndmask_b32_e32 v7, v7, v9, vcc
	v_xor_b32_e32 v7, v7, v8
	v_sub_u32_e32 v7, v7, v8
	v_cmp_ne_u32_e32 vcc, 0, v7
	s_and_b64 s[8:9], vcc, s[8:9]
	s_and_b64 s[46:47], s[2:3], s[8:9]
	s_and_saveexec_b64 s[38:39], s[46:47]
	s_cbranch_execz .LBB93_15
; %bb.14:                               ;   in Loop: Header=BB93_13 Depth=1
	ds_write_b32 v31, v33
.LBB93_15:                              ;   in Loop: Header=BB93_13 Depth=1
	s_or_b64 exec, exec, s[38:39]
	s_xor_b64 s[38:39], s[8:9], -1
	s_and_saveexec_b64 s[8:9], s[38:39]
	s_cbranch_execz .LBB93_12
; %bb.16:                               ;   in Loop: Header=BB93_13 Depth=1
	global_load_dword v6, v[4:5], off
	s_waitcnt vmcnt(0)
	v_mad_i64_i32 v[6:7], s[38:39], v6, s43, 0
	v_lshl_add_u64 v[6:7], v[6:7], 1, v[2:3]
	global_load_dwordx2 v[38:39], v[6:7], off
	global_load_dwordx2 v[40:41], v[6:7], off offset:512
	global_load_dwordx2 v[42:43], v[6:7], off offset:1024
	global_load_dwordx2 v[44:45], v[6:7], off offset:1536
	global_load_dwordx2 v[20:21], v[6:7], off offset:2048
	global_load_dwordx2 v[18:19], v[6:7], off offset:2560
	global_load_dwordx2 v[16:17], v[6:7], off offset:3072
	global_load_dwordx2 v[14:15], v[6:7], off offset:3584
	v_add_co_u32_e32 v46, vcc, s44, v6
	s_waitcnt vmcnt(6)
	v_lshrrev_b32_e32 v52, 16, v40
	v_addc_co_u32_e32 v47, vcc, 0, v7, vcc
	global_load_dwordx2 v[12:13], v[46:47], off
	global_load_dwordx2 v[10:11], v[46:47], off offset:512
	ds_read_b64 v[6:7], v27
	v_and_b32_e32 v40, 0xffff, v40
	s_waitcnt vmcnt(2)
	v_lshrrev_b32_e32 v64, 16, v14
	v_and_b32_e32 v65, 0xffff, v14
	v_lshrrev_b32_e32 v66, 16, v15
	s_waitcnt lgkmcnt(0)
	v_lshrrev_b32_e32 v48, 16, v6
	v_and_b32_e32 v49, 0xffff, v6
	v_lshrrev_b32_e32 v50, 16, v7
	v_and_b32_e32 v51, 0xffff, v7
	global_load_dwordx2 v[8:9], v[46:47], off offset:1024
	global_load_dwordx2 v[6:7], v[46:47], off offset:1536
	;;#ASMSTART
	v_cvt_f32_f16 v46, v49;
	;;#ASMEND
	;;#ASMSTART
	v_cvt_f32_f16 v47, v48;
	;;#ASMEND
	v_lshrrev_b32_e32 v48, 16, v38
	v_and_b32_e32 v38, 0xffff, v38
	v_lshrrev_b32_e32 v49, 16, v39
	v_and_b32_e32 v39, 0xffff, v39
	v_and_b32_e32 v67, 0xffff, v15
	;;#ASMSTART
	v_cvt_f32_f16 v38, v38;
	;;#ASMEND
	;;#ASMSTART
	v_cvt_f32_f16 v48, v48;
	;;#ASMEND
	;; [unrolled: 3-line block ×6, first 2 shown]
	ds_read_b64 v[14:15], v27 offset:8
	v_lshrrev_b32_e32 v53, 16, v41
	v_and_b32_e32 v41, 0xffff, v41
	v_lshrrev_b32_e32 v54, 16, v42
	v_and_b32_e32 v42, 0xffff, v42
	;; [unrolled: 2-line block ×11, first 2 shown]
	v_cmp_lt_i32_e32 vcc, v35, v36
	s_waitcnt vmcnt(3)
	v_lshrrev_b32_e32 v68, 16, v12
	v_and_b32_e32 v69, 0xffff, v12
	v_lshrrev_b32_e32 v70, 16, v13
	v_and_b32_e32 v71, 0xffff, v13
	s_waitcnt lgkmcnt(0)
	v_lshrrev_b32_e32 v12, 16, v14
	v_and_b32_e32 v13, 0xffff, v14
	v_lshrrev_b32_e32 v14, 16, v15
	v_and_b32_e32 v15, 0xffff, v15
	;;#ASMSTART
	v_cvt_f32_f16 v73, v13;
	;;#ASMEND
	;;#ASMSTART
	v_cvt_f32_f16 v74, v12;
	;;#ASMEND
	;; [unrolled: 3-line block ×8, first 2 shown]
	ds_read_b64 v[12:13], v27 offset:16
	v_mul_f32_e32 v40, v73, v40
	v_mul_f32_e32 v15, v15, v41
	;; [unrolled: 1-line block ×3, first 2 shown]
	v_fmac_f32_e32 v40, v46, v38
	v_fmac_f32_e32 v15, v51, v39
	s_waitcnt lgkmcnt(0)
	v_lshrrev_b32_e32 v38, 16, v12
	v_and_b32_e32 v12, 0xffff, v12
	v_lshrrev_b32_e32 v39, 16, v13
	v_and_b32_e32 v13, 0xffff, v13
	v_fmac_f32_e32 v52, v47, v48
	;;#ASMSTART
	v_cvt_f32_f16 v41, v12;
	;;#ASMEND
	;;#ASMSTART
	v_cvt_f32_f16 v38, v38;
	;;#ASMEND
	;; [unrolled: 3-line block ×8, first 2 shown]
	ds_read_b64 v[12:13], v27 offset:24
	v_mul_f32_e32 v14, v14, v53
	v_fmac_f32_e32 v14, v50, v49
	v_fmac_f32_e32 v52, v38, v46
	;; [unrolled: 1-line block ×3, first 2 shown]
	s_waitcnt lgkmcnt(0)
	v_lshrrev_b32_e32 v38, 16, v12
	v_and_b32_e32 v12, 0xffff, v12
	v_lshrrev_b32_e32 v39, 16, v13
	v_and_b32_e32 v13, 0xffff, v13
	v_fmac_f32_e32 v40, v41, v42
	v_fmac_f32_e32 v15, v47, v43
	;;#ASMSTART
	v_cvt_f32_f16 v41, v12;
	;;#ASMEND
	;;#ASMSTART
	v_cvt_f32_f16 v38, v38;
	;;#ASMEND
	;;#ASMSTART
	v_cvt_f32_f16 v42, v44;
	;;#ASMEND
	;;#ASMSTART
	v_cvt_f32_f16 v43, v56;
	;;#ASMEND
	;;#ASMSTART
	v_cvt_f32_f16 v44, v13;
	;;#ASMEND
	;;#ASMSTART
	v_cvt_f32_f16 v39, v39;
	;;#ASMEND
	;;#ASMSTART
	v_cvt_f32_f16 v45, v45;
	;;#ASMEND
	;;#ASMSTART
	v_cvt_f32_f16 v46, v57;
	;;#ASMEND
	ds_read_b64 v[12:13], v27 offset:32
	v_fmac_f32_e32 v52, v38, v43
	v_fmac_f32_e32 v14, v39, v46
	v_fmac_f32_e32 v40, v41, v42
	v_fmac_f32_e32 v15, v44, v45
	s_waitcnt lgkmcnt(0)
	v_lshrrev_b32_e32 v38, 16, v12
	v_and_b32_e32 v12, 0xffff, v12
	v_lshrrev_b32_e32 v39, 16, v13
	v_and_b32_e32 v13, 0xffff, v13
	;;#ASMSTART
	v_cvt_f32_f16 v41, v12;
	;;#ASMEND
	;;#ASMSTART
	v_cvt_f32_f16 v38, v38;
	;;#ASMEND
	;;#ASMSTART
	v_cvt_f32_f16 v20, v20;
	;;#ASMEND
	;;#ASMSTART
	v_cvt_f32_f16 v42, v58;
	;;#ASMEND
	;;#ASMSTART
	v_cvt_f32_f16 v43, v13;
	;;#ASMEND
	;;#ASMSTART
	v_cvt_f32_f16 v39, v39;
	;;#ASMEND
	;;#ASMSTART
	v_cvt_f32_f16 v21, v21;
	;;#ASMEND
	;;#ASMSTART
	v_cvt_f32_f16 v44, v59;
	;;#ASMEND
	ds_read_b64 v[12:13], v27 offset:40
	v_fmac_f32_e32 v40, v41, v20
	v_fmac_f32_e32 v15, v43, v21
	v_fmac_f32_e32 v52, v38, v42
	v_fmac_f32_e32 v14, v39, v44
	s_waitcnt lgkmcnt(0)
	v_lshrrev_b32_e32 v20, 16, v12
	v_and_b32_e32 v12, 0xffff, v12
	v_lshrrev_b32_e32 v21, 16, v13
	v_and_b32_e32 v13, 0xffff, v13
	;; [unrolled: 34-line block ×5, first 2 shown]
	;;#ASMSTART
	v_cvt_f32_f16 v18, v12;
	;;#ASMEND
	;;#ASMSTART
	v_cvt_f32_f16 v16, v16;
	;;#ASMEND
	;; [unrolled: 3-line block ×8, first 2 shown]
	ds_read_b64 v[12:13], v27 offset:72
	s_waitcnt vmcnt(2)
	v_lshrrev_b32_e32 v72, 16, v10
	v_and_b32_e32 v10, 0xffff, v10
	v_fmac_f32_e32 v52, v16, v20
	v_fmac_f32_e32 v14, v17, v39
	s_waitcnt lgkmcnt(0)
	v_lshrrev_b32_e32 v16, 16, v12
	v_and_b32_e32 v12, 0xffff, v12
	;;#ASMSTART
	v_cvt_f32_f16 v12, v12;
	;;#ASMEND
	;;#ASMSTART
	v_cvt_f32_f16 v16, v16;
	;;#ASMEND
	;; [unrolled: 3-line block ×3, first 2 shown]
	v_lshrrev_b32_e32 v10, 16, v13
	v_and_b32_e32 v13, 0xffff, v13
	v_fmac_f32_e32 v40, v18, v19
	;;#ASMSTART
	v_cvt_f32_f16 v18, v72;
	;;#ASMEND
	;;#ASMSTART
	v_cvt_f32_f16 v13, v13;
	;;#ASMEND
	;; [unrolled: 3-line block ×3, first 2 shown]
	v_lshrrev_b32_e32 v10, 16, v11
	v_and_b32_e32 v11, 0xffff, v11
	v_fmac_f32_e32 v15, v21, v38
	;;#ASMSTART
	v_cvt_f32_f16 v20, v11;
	;;#ASMEND
	;;#ASMSTART
	v_cvt_f32_f16 v21, v10;
	;;#ASMEND
	ds_read_b64 v[10:11], v27 offset:80
	v_fmac_f32_e32 v40, v12, v17
	v_fmac_f32_e32 v15, v13, v20
	s_waitcnt vmcnt(1)
	v_lshrrev_b32_e32 v13, 16, v8
	v_and_b32_e32 v8, 0xffff, v8
	s_waitcnt lgkmcnt(0)
	v_lshrrev_b32_e32 v12, 16, v10
	v_and_b32_e32 v10, 0xffff, v10
	v_fmac_f32_e32 v52, v16, v18
	;;#ASMSTART
	v_cvt_f32_f16 v10, v10;
	;;#ASMEND
	;;#ASMSTART
	v_cvt_f32_f16 v12, v12;
	;;#ASMEND
	;; [unrolled: 3-line block ×3, first 2 shown]
	v_lshrrev_b32_e32 v8, 16, v11
	v_and_b32_e32 v11, 0xffff, v11
	;;#ASMSTART
	v_cvt_f32_f16 v13, v13;
	;;#ASMEND
	;;#ASMSTART
	v_cvt_f32_f16 v11, v11;
	;;#ASMEND
	;; [unrolled: 3-line block ×3, first 2 shown]
	v_lshrrev_b32_e32 v8, 16, v9
	v_and_b32_e32 v9, 0xffff, v9
	v_fmac_f32_e32 v14, v19, v21
	;;#ASMSTART
	v_cvt_f32_f16 v18, v9;
	;;#ASMEND
	;;#ASMSTART
	v_cvt_f32_f16 v19, v8;
	;;#ASMEND
	ds_read_b64 v[8:9], v27 offset:88
	v_fmac_f32_e32 v40, v10, v16
	v_fmac_f32_e32 v15, v11, v18
	s_waitcnt vmcnt(0)
	v_lshrrev_b32_e32 v11, 16, v6
	v_and_b32_e32 v6, 0xffff, v6
	s_waitcnt lgkmcnt(0)
	v_lshrrev_b32_e32 v10, 16, v8
	v_and_b32_e32 v8, 0xffff, v8
	;;#ASMSTART
	v_cvt_f32_f16 v8, v8;
	;;#ASMEND
	;;#ASMSTART
	v_cvt_f32_f16 v10, v10;
	;;#ASMEND
	;; [unrolled: 3-line block ×3, first 2 shown]
	v_fmac_f32_e32 v52, v12, v13
	v_fmac_f32_e32 v40, v8, v6
	v_lshrrev_b32_e32 v6, 16, v9
	v_and_b32_e32 v8, 0xffff, v9
	v_fmac_f32_e32 v14, v17, v19
	;;#ASMSTART
	v_cvt_f32_f16 v11, v11;
	;;#ASMEND
	;;#ASMSTART
	v_cvt_f32_f16 v8, v8;
	;;#ASMEND
	;; [unrolled: 3-line block ×3, first 2 shown]
	v_lshrrev_b32_e32 v9, 16, v7
	v_fmac_f32_e32 v52, v10, v11
	v_and_b32_e32 v7, 0xffff, v7
	;;#ASMSTART
	v_cvt_f32_f16 v7, v7;
	;;#ASMEND
	;;#ASMSTART
	v_cvt_f32_f16 v9, v9;
	;;#ASMEND
	s_nop 0
	v_fmac_f32_e32 v15, v8, v7
	v_fmac_f32_e32 v14, v6, v9
	v_add_f32_e32 v6, v40, v52
	v_add_f32_e32 v6, v6, v15
	v_cndmask_b32_e32 v7, v34, v35, vcc
	v_add_f32_e32 v6, v14, v6
	v_lshlrev_b32_e32 v7, 2, v7
	ds_bpermute_b32 v7, v7, v6
	s_and_saveexec_b64 s[38:39], s[2:3]
	s_cbranch_execz .LBB93_11
; %bb.17:                               ;   in Loop: Header=BB93_13 Depth=1
	v_add_u32_e32 v8, v32, v30
	v_cvt_f32_i32_e32 v8, v8
	s_waitcnt lgkmcnt(0)
	v_add_f32_e32 v6, v6, v7
	v_add_u32_e32 v9, v26, v30
	v_cmp_gt_i32_e32 vcc, s21, v9
	v_mul_f32_e32 v7, s42, v8
	v_cndmask_b32_e64 v7, 0, v7, s[0:1]
	v_fmac_f32_e32 v7, s31, v6
	v_cndmask_b32_e32 v6, 0, v7, vcc
	ds_write_b32 v31, v6
	v_max_f32_e32 v6, v28, v28
	v_max_f32_e32 v6, v6, v7
	v_cndmask_b32_e32 v28, v28, v6, vcc
	s_branch .LBB93_11
.LBB93_18:
	s_or_b64 exec, exec, s[36:37]
.LBB93_19:
	s_or_b64 exec, exec, s[34:35]
	v_mbcnt_hi_u32_b32 v8, -1, v25
	v_and_b32_e32 v2, 64, v8
	v_add_u32_e32 v9, 64, v2
	v_xor_b32_e32 v2, 32, v8
	v_cmp_lt_i32_e32 vcc, v2, v9
	v_xor_b32_e32 v5, 16, v8
	v_max_f32_e32 v4, v28, v28
	v_cndmask_b32_e32 v2, v8, v2, vcc
	v_lshlrev_b32_e32 v2, 2, v2
	ds_bpermute_b32 v3, v2, v28
	v_cmp_lt_i32_e32 vcc, v5, v9
	v_xor_b32_e32 v6, 8, v8
	s_waitcnt lgkmcnt(1)
	v_xor_b32_e32 v7, 4, v8
	v_xor_b32_e32 v10, 2, v8
	s_waitcnt lgkmcnt(0)
	v_max_f32_e32 v3, v3, v3
	v_max_f32_e32 v4, v4, v3
	v_cndmask_b32_e32 v3, v8, v5, vcc
	v_lshlrev_b32_e32 v3, 2, v3
	ds_bpermute_b32 v5, v3, v4
	v_cmp_lt_i32_e32 vcc, v6, v9
	v_and_b32_e32 v25, 63, v0
	s_waitcnt lgkmcnt(0)
	v_max_f32_e32 v5, v5, v5
	v_max_f32_e32 v5, v4, v5
	v_cndmask_b32_e32 v4, v8, v6, vcc
	v_lshlrev_b32_e32 v4, 2, v4
	ds_bpermute_b32 v6, v4, v5
	v_cmp_lt_i32_e32 vcc, v7, v9
	s_waitcnt lgkmcnt(0)
	v_max_f32_e32 v6, v6, v6
	v_max_f32_e32 v6, v5, v6
	v_cndmask_b32_e32 v5, v8, v7, vcc
	v_lshlrev_b32_e32 v5, 2, v5
	ds_bpermute_b32 v7, v5, v6
	v_cmp_lt_i32_e32 vcc, v10, v9
	s_waitcnt lgkmcnt(0)
	v_max_f32_e32 v7, v7, v7
	v_max_f32_e32 v7, v6, v7
	v_cndmask_b32_e32 v6, v8, v10, vcc
	v_lshlrev_b32_e32 v26, 2, v6
	ds_bpermute_b32 v10, v26, v7
	v_cmp_eq_u32_e32 vcc, 0, v25
	v_lshlrev_b32_e32 v6, 2, v1
	s_and_saveexec_b64 s[0:1], vcc
	s_cbranch_execz .LBB93_21
; %bb.20:
	s_waitcnt lgkmcnt(0)
	v_max_f32_e32 v10, v10, v10
	v_max_f32_e32 v7, v7, v7
	;; [unrolled: 1-line block ×3, first 2 shown]
	ds_write_b32 v6, v7 offset:192
.LBB93_21:
	s_or_b64 exec, exec, s[0:1]
	v_cmp_gt_u32_e64 s[0:1], 2, v25
	s_waitcnt lgkmcnt(0)
	v_mov_b32_e32 v10, 0xff7fffff
	v_lshlrev_b32_e32 v7, 2, v25
	s_barrier
	s_and_saveexec_b64 s[2:3], s[0:1]
	s_cbranch_execz .LBB93_23
; %bb.22:
	ds_read_b32 v10, v7 offset:192
.LBB93_23:
	s_or_b64 exec, exec, s[2:3]
	v_xor_b32_e32 v11, 1, v8
	v_cmp_lt_i32_e64 s[2:3], v11, v9
	s_nop 1
	v_cndmask_b32_e64 v9, v8, v11, s[2:3]
	v_lshlrev_b32_e32 v27, 2, v9
	s_waitcnt lgkmcnt(0)
	ds_bpermute_b32 v9, v27, v10
	v_max_f32_e32 v10, v10, v10
	v_lshlrev_b32_e32 v8, 2, v8
	v_and_b32_e32 v8, 0x100, v8
	s_lshl_b32 s2, s41, 5
	s_waitcnt lgkmcnt(0)
	v_max_f32_e32 v9, v9, v9
	v_max_f32_e32 v9, v10, v9
	ds_bpermute_b32 v10, v8, v9
	s_min_i32 s15, s2, s21
	v_cmp_gt_i32_e64 s[2:3], s15, v0
	v_mov_b32_e32 v9, 0
	s_and_saveexec_b64 s[30:31], s[2:3]
	s_cbranch_execz .LBB93_27
; %bb.24:
	v_mov_b32_e32 v9, 0xd0
	v_lshl_add_u32 v11, v0, 2, v9
	s_mov_b64 s[34:35], 0
	v_mov_b32_e32 v9, 0
	v_mov_b32_e32 v12, v0
.LBB93_25:                              ; =>This Inner Loop Header: Depth=1
	ds_read_b32 v13, v11
	v_add_u32_e32 v12, 0x80, v12
	v_cmp_le_i32_e64 s[8:9], s15, v12
	s_or_b64 s[34:35], s[8:9], s[34:35]
	s_waitcnt lgkmcnt(0)
	v_sub_f32_e32 v13, v13, v10
	v_mul_f32_e32 v13, 0x3fb8aa3b, v13
	v_exp_f32_e32 v13, v13
	ds_write_b32 v11, v13
	v_add_f32_e32 v9, v9, v13
	v_add_u32_e32 v11, 0x200, v11
	s_andn2_b64 exec, exec, s[34:35]
	s_cbranch_execnz .LBB93_25
; %bb.26:
	s_or_b64 exec, exec, s[34:35]
.LBB93_27:
	s_or_b64 exec, exec, s[30:31]
	ds_bpermute_b32 v2, v2, v9
	s_waitcnt lgkmcnt(0)
	v_add_f32_e32 v2, v9, v2
	ds_bpermute_b32 v3, v3, v2
	s_waitcnt lgkmcnt(0)
	v_add_f32_e32 v2, v2, v3
	;; [unrolled: 3-line block ×6, first 2 shown]
	s_and_saveexec_b64 s[8:9], vcc
	s_cbranch_execz .LBB93_29
; %bb.28:
	ds_write_b32 v6, v2 offset:200
.LBB93_29:
	s_or_b64 exec, exec, s[8:9]
	s_waitcnt lgkmcnt(0)
	s_barrier
	s_and_saveexec_b64 s[8:9], s[0:1]
	s_cbranch_execz .LBB93_31
; %bb.30:
	ds_read_b32 v2, v7 offset:200
.LBB93_31:
	s_or_b64 exec, exec, s[8:9]
	s_waitcnt lgkmcnt(0)
	ds_bpermute_b32 v3, v27, v2
	s_waitcnt lgkmcnt(0)
	v_add_f32_e32 v2, v2, v3
	ds_bpermute_b32 v2, v8, v2
	s_and_saveexec_b64 s[0:1], s[2:3]
	s_cbranch_execz .LBB93_44
; %bb.32:
	s_waitcnt lgkmcnt(0)
	v_add_f32_e32 v2, 0x358637bd, v2
	v_div_scale_f32 v3, s[2:3], v2, v2, 1.0
	v_rcp_f32_e32 v4, v3
	v_div_scale_f32 v5, vcc, 1.0, v2, 1.0
	s_movk_i32 s2, 0x7f
	v_fma_f32 v6, -v3, v4, 1.0
	v_fmac_f32_e32 v4, v6, v4
	v_mul_f32_e32 v6, v5, v4
	v_fma_f32 v7, -v3, v6, v5
	v_fmac_f32_e32 v6, v7, v4
	v_fma_f32 v3, -v3, v6, v5
	v_div_fmas_f32 v3, v3, v4, v6
	v_xad_u32 v4, v0, -1, s15
	v_div_fixup_f32 v2, v3, v2, 1.0
	v_cmp_lt_u32_e32 vcc, s2, v4
	s_mov_b64 s[8:9], -1
	v_mov_b32_e32 v3, v0
	s_and_saveexec_b64 s[2:3], vcc
	s_cbranch_execz .LBB93_41
; %bb.33:
	v_lshrrev_b32_e32 v4, 7, v4
	v_add_u32_e32 v6, -1, v4
	v_lshrrev_b32_e32 v5, 1, v6
	v_mov_b32_e32 v3, v2
	v_add_u32_e32 v5, 1, v5
	v_cmp_lt_u32_e32 vcc, 13, v6
	v_mov_b32_e32 v8, 0
	s_and_saveexec_b64 s[8:9], vcc
	s_cbranch_execz .LBB93_37
; %bb.34:
	v_mov_b32_e32 v7, 0xd0
	v_and_b32_e32 v6, -8, v5
	v_lshl_add_u32 v7, v0, 2, v7
	s_mov_b32 s34, 0
	s_mov_b64 s[30:31], 0
.LBB93_35:                              ; =>This Inner Loop Header: Depth=1
	ds_read2st64_b32 v[8:9], v7 offset1:2
	ds_read2st64_b32 v[10:11], v7 offset0:4 offset1:6
	ds_read2st64_b32 v[12:13], v7 offset0:8 offset1:10
	ds_read2st64_b32 v[14:15], v7 offset0:12 offset1:14
	v_add_u32_e32 v6, -8, v6
	s_waitcnt lgkmcnt(3)
	v_pk_mul_f32 v[8:9], v[2:3], v[8:9]
	s_waitcnt lgkmcnt(2)
	v_pk_mul_f32 v[10:11], v[2:3], v[10:11]
	ds_write2st64_b32 v7, v8, v9 offset1:2
	ds_write2st64_b32 v7, v10, v11 offset0:4 offset1:6
	ds_read2st64_b32 v[10:11], v7 offset0:16 offset1:18
	s_waitcnt lgkmcnt(4)
	v_pk_mul_f32 v[8:9], v[2:3], v[12:13]
	ds_write2st64_b32 v7, v8, v9 offset0:8 offset1:10
	s_waitcnt lgkmcnt(4)
	v_pk_mul_f32 v[8:9], v[2:3], v[14:15]
	ds_write2st64_b32 v7, v8, v9 offset0:12 offset1:14
	ds_read2st64_b32 v[8:9], v7 offset0:20 offset1:22
	s_waitcnt lgkmcnt(3)
	v_pk_mul_f32 v[10:11], v[2:3], v[10:11]
	ds_read2st64_b32 v[12:13], v7 offset0:24 offset1:26
	ds_write2st64_b32 v7, v10, v11 offset0:16 offset1:18
	ds_read2st64_b32 v[10:11], v7 offset0:28 offset1:30
	s_waitcnt lgkmcnt(3)
	v_pk_mul_f32 v[8:9], v[2:3], v[8:9]
	ds_write2st64_b32 v7, v8, v9 offset0:20 offset1:22
	s_waitcnt lgkmcnt(3)
	v_pk_mul_f32 v[8:9], v[2:3], v[12:13]
	ds_write2st64_b32 v7, v8, v9 offset0:24 offset1:26
	s_waitcnt lgkmcnt(2)
	v_pk_mul_f32 v[8:9], v[2:3], v[10:11]
	s_add_i32 s34, s34, 16
	v_cmp_eq_u32_e32 vcc, 0, v6
	ds_write2st64_b32 v7, v8, v9 offset0:28 offset1:30
	v_add_u32_e32 v7, 0x2000, v7
	s_or_b64 s[30:31], vcc, s[30:31]
	v_mov_b32_e32 v8, s34
	s_andn2_b64 exec, exec, s[30:31]
	s_cbranch_execnz .LBB93_35
; %bb.36:
	s_or_b64 exec, exec, s[30:31]
.LBB93_37:
	s_or_b64 exec, exec, s[8:9]
	v_and_b32_e32 v5, 7, v5
	v_cmp_ne_u32_e32 vcc, 0, v5
	s_and_saveexec_b64 s[8:9], vcc
	s_cbranch_execz .LBB93_40
; %bb.38:
	v_lshlrev_b32_e32 v6, 9, v8
	v_lshlrev_b32_e32 v7, 2, v0
	s_movk_i32 s30, 0xd0
	v_add3_u32 v6, v6, v7, s30
	s_mov_b64 s[30:31], 0
.LBB93_39:                              ; =>This Inner Loop Header: Depth=1
	ds_read2st64_b32 v[8:9], v6 offset1:2
	v_add_u32_e32 v5, -1, v5
	v_cmp_eq_u32_e32 vcc, 0, v5
	s_or_b64 s[30:31], vcc, s[30:31]
	s_waitcnt lgkmcnt(0)
	v_pk_mul_f32 v[8:9], v[2:3], v[8:9]
	ds_write2st64_b32 v6, v8, v9 offset1:2
	v_add_u32_e32 v6, 0x400, v6
	s_andn2_b64 exec, exec, s[30:31]
	s_cbranch_execnz .LBB93_39
.LBB93_40:
	s_or_b64 exec, exec, s[8:9]
	v_add_u32_e32 v4, 1, v4
	v_and_b32_e32 v5, 0x3fffffe, v4
	v_cmp_ne_u32_e32 vcc, v4, v5
	v_lshl_add_u32 v3, v5, 7, v0
	s_orn2_b64 s[8:9], vcc, exec
.LBB93_41:
	s_or_b64 exec, exec, s[2:3]
	s_and_b64 exec, exec, s[8:9]
	s_cbranch_execz .LBB93_44
; %bb.42:
	v_mov_b32_e32 v4, 0xd0
	v_lshl_add_u32 v4, v3, 2, v4
	s_mov_b64 s[2:3], 0
.LBB93_43:                              ; =>This Inner Loop Header: Depth=1
	ds_read_b32 v5, v4
	v_add_u32_e32 v3, 0x80, v3
	v_cmp_le_i32_e32 vcc, s15, v3
	s_or_b64 s[2:3], vcc, s[2:3]
	s_waitcnt lgkmcnt(0)
	v_mul_f32_e32 v5, v2, v5
	ds_write_b32 v4, v5
	v_add_u32_e32 v4, 0x200, v4
	s_andn2_b64 exec, exec, s[2:3]
	s_cbranch_execnz .LBB93_43
.LBB93_44:
	s_or_b64 exec, exec, s[0:1]
	s_mov_b32 s8, 0
	v_mov_b32_e32 v7, 0
	v_and_b32_e32 v28, 3, v0
	v_mov_b32_e32 v6, 0
	v_mov_b32_e32 v5, 0
	;; [unrolled: 1-line block ×4, first 2 shown]
	s_waitcnt lgkmcnt(0)
	v_mov_b32_e32 v2, 0
	s_barrier
	s_and_saveexec_b64 s[2:3], s[6:7]
	s_cbranch_execz .LBB93_62
; %bb.45:
	s_ashr_i32 s15, s14, 31
	s_sub_i32 s17, s12, s17
	s_lshl_b64 s[0:1], s[14:15], 1
	s_add_u32 s6, s28, s0
	s_addc_u32 s7, s29, s1
	s_abs_i32 s18, s18
	v_cvt_f32_u32_e32 v2, s18
	s_sub_i32 s0, 0, s18
	s_add_i32 s28, s41, -1
	v_and_b32_e32 v8, 0x1f8, v22
	v_rcp_iflag_f32_e32 v2, v2
	s_mov_b32 s9, s8
	s_mov_b32 s30, s13
	v_mov_b32_e32 v13, 0
	v_mul_f32_e32 v2, 0x4f7ffffe, v2
	v_cvt_u32_f32_e32 v2, v2
	v_or_b32_e32 v10, 0x800, v8
	v_or_b32_e32 v18, 0xa00, v8
	v_and_b32_e32 v12, 60, v23
	v_mul_lo_u32 v3, s0, v2
	v_mul_hi_u32 v3, v2, v3
	v_add_u32_e32 v30, v2, v3
	s_lshl_b64 s[0:1], s[26:27], 2
	v_lshlrev_b32_e32 v2, 5, v28
	s_add_u32 s0, s10, s0
	v_lshl_or_b32 v2, v1, 7, v2
	s_addc_u32 s1, s11, s1
	v_add_u32_e32 v31, 0xd0, v2
	s_mov_b32 s10, s8
	s_mov_b32 s11, s8
	;; [unrolled: 1-line block ×4, first 2 shown]
	v_mov_b64_e32 v[2:3], s[8:9]
	v_and_b32_e32 v29, 24, v22
	s_mov_b32 s29, s21
	s_mov_b32 s31, s21
	;; [unrolled: 1-line block ×7, first 2 shown]
	v_lshl_add_u64 v[14:15], s[0:1], 0, v[12:13]
	s_mov_b64 s[14:15], 0
	v_mov_b64_e32 v[4:5], s[10:11]
	v_mov_b64_e32 v[6:7], s[12:13]
	v_lshlrev_b32_e32 v16, 1, v8
	s_mov_b32 s12, 0x5040100
	v_lshlrev_b32_e32 v12, 1, v10
	v_lshlrev_b32_e32 v18, 1, v18
	s_branch .LBB93_48
.LBB93_46:                              ;   in Loop: Header=BB93_48 Depth=1
	s_or_b64 exec, exec, s[0:1]
	s_waitcnt vmcnt(0)
	;;#ASMSTART
	v_pk_mul_f16 v8, v42, v8;

	;;#ASMEND
	;;#ASMSTART
	v_pk_mul_f16 v9, v41, v9;

	;;#ASMEND
	;;#ASMSTART
	v_pk_mul_f16 v10, v40, v10;

	;;#ASMEND
	;;#ASMSTART
	v_pk_mul_f16 v11, v39, v11;

	;;#ASMEND
	v_add_f32_e32 v17, v43, v44
	;;#ASMSTART
	v_pk_add_f16 v8, v8, v9;

	;;#ASMEND
	v_add_f32_e32 v2, v2, v17
	;;#ASMSTART
	v_pk_add_f16 v8, v8, v10;

	;;#ASMEND
	;; [unrolled: 5-line block ×3, first 2 shown]
	v_add_f32_e32 v3, v3, v17
	v_add_f32_e32 v17, v47, v48
	v_lshrrev_b32_e32 v9, 16, v8
	v_and_b32_e32 v8, 0xffff, v8
	v_add_f32_e32 v4, v4, v17
	v_add_f32_e32 v17, v22, v23
	;;#ASMSTART
	v_cvt_f32_f16 v8, v8;
	;;#ASMEND
	v_add_f32_e32 v5, v5, v17
	v_add_f32_e32 v17, v49, v50
	;;#ASMSTART
	v_cvt_f32_f16 v9, v9;
	;;#ASMEND
	v_add_f32_e32 v6, v6, v17
	v_add_f32_e32 v8, v8, v9
	;; [unrolled: 1-line block ×3, first 2 shown]
.LBB93_47:                              ;   in Loop: Header=BB93_48 Depth=1
	s_or_b64 exec, exec, s[8:9]
	v_add_u32_e32 v1, 2, v1
	v_cmp_le_i32_e32 vcc, s41, v1
	v_lshl_add_u64 v[14:15], v[14:15], 0, 8
	v_add_u32_e32 v24, 64, v24
	s_or_b64 s[14:15], vcc, s[14:15]
	v_add_u32_e32 v31, 0x100, v31
	s_andn2_b64 exec, exec, s[14:15]
	s_cbranch_execz .LBB93_61
.LBB93_48:                              ; =>This Inner Loop Header: Depth=1
	v_mul_hi_u32 v8, v24, s33
	v_mul_lo_u32 v9, v8, s23
	v_sub_u32_e32 v9, v24, v9
	v_add_u32_e32 v10, 1, v8
	v_cmp_le_u32_e32 vcc, s23, v9
	s_nop 1
	v_cndmask_b32_e32 v8, v8, v10, vcc
	v_subrev_u32_e32 v10, s23, v9
	v_cndmask_b32_e32 v9, v9, v10, vcc
	v_add_u32_e32 v10, 1, v8
	v_cmp_le_u32_e32 vcc, s23, v9
	s_nop 1
	v_cndmask_b32_e32 v8, v8, v10, vcc
	v_xor_b32_e32 v8, s19, v8
	v_subrev_u32_e32 v8, s19, v8
	v_add_u32_e32 v9, s40, v8
	v_sub_u32_e32 v11, 0, v9
	v_ashrrev_i32_e32 v10, 31, v9
	v_max_i32_e32 v9, v9, v11
	v_mul_hi_u32 v11, v9, v30
	v_mul_lo_u32 v11, v11, s18
	v_sub_u32_e32 v9, v9, v11
	v_subrev_u32_e32 v11, s18, v9
	v_cmp_le_u32_e32 vcc, s18, v9
	v_cmp_lt_i32_e64 s[0:1], s17, v8
	s_nop 0
	v_cndmask_b32_e32 v9, v9, v11, vcc
	v_subrev_u32_e32 v11, s18, v9
	v_cmp_le_u32_e32 vcc, s18, v9
	s_nop 1
	v_cndmask_b32_e32 v9, v9, v11, vcc
	v_xor_b32_e32 v9, v9, v10
	v_sub_u32_e32 v9, v9, v10
	v_cmp_eq_u32_e32 vcc, 0, v9
	s_or_b64 s[0:1], vcc, s[0:1]
	s_and_saveexec_b64 s[8:9], s[0:1]
	s_cbranch_execz .LBB93_47
; %bb.49:                               ;   in Loop: Header=BB93_48 Depth=1
	global_load_dword v17, v[14:15], off
	ds_read2_b64 v[8:11], v31 offset1:1
	ds_read2_b64 v[20:23], v31 offset0:2 offset1:3
	v_cmp_eq_u32_e32 vcc, s28, v1
	s_waitcnt lgkmcnt(1)
	;;#ASMSTART
	v_cvt_f16_f32 v19, v8;

	;;#ASMEND
	;;#ASMSTART
	v_cvt_f16_f32 v39, v9;

	;;#ASMEND
	;; [unrolled: 4-line block ×4, first 2 shown]
	s_waitcnt lgkmcnt(0)
	;;#ASMSTART
	v_cvt_f16_f32 v43, v20;

	;;#ASMEND
	;;#ASMSTART
	v_cvt_f16_f32 v44, v21;

	;;#ASMEND
	;; [unrolled: 4-line block ×4, first 2 shown]
	s_waitcnt vmcnt(0)
	v_mad_i64_i32 v[8:9], s[0:1], v17, s30, 0
	v_lshl_add_u64 v[20:21], v[8:9], 1, s[6:7]
	v_mov_b32_e32 v17, v13
	v_lshl_add_u64 v[22:23], v[20:21], 0, v[16:17]
	global_load_dwordx4 v[8:11], v[22:23], off
	v_add_u32_e32 v17, v29, v24
	v_add_u32_e32 v32, 1, v17
	v_or_b32_e32 v34, 3, v17
	v_or_b32_e32 v33, 2, v17
	;; [unrolled: 1-line block ×6, first 2 shown]
	s_and_saveexec_b64 s[10:11], vcc
	s_cbranch_execz .LBB93_51
; %bb.50:                               ;   in Loop: Header=BB93_48 Depth=1
	s_waitcnt vmcnt(0)
	v_lshrrev_b32_e32 v42, 16, v11
	v_cmp_gt_i32_e64 s[0:1], s38, v38
	s_nop 1
	v_cndmask_b32_e64 v42, 0, v42, s[0:1]
	v_cmp_gt_i32_e64 s[0:1], s37, v37
	s_nop 1
	v_cndmask_b32_e64 v11, 0, v11, s[0:1]
	v_perm_b32 v11, v42, v11, s12
	v_lshrrev_b32_e32 v42, 16, v10
	v_cmp_gt_i32_e64 s[0:1], s36, v36
	s_nop 1
	v_cndmask_b32_e64 v42, 0, v42, s[0:1]
	v_cmp_gt_i32_e64 s[0:1], s35, v35
	s_nop 1
	v_cndmask_b32_e64 v10, 0, v10, s[0:1]
	v_perm_b32 v10, v42, v10, s12
	;; [unrolled: 8-line block ×4, first 2 shown]
.LBB93_51:                              ;   in Loop: Header=BB93_48 Depth=1
	s_or_b64 exec, exec, s[10:11]
	v_and_b32_e32 v19, 0xffff, v19
	v_lshl_or_b32 v42, v39, 16, v19
	v_and_b32_e32 v19, 0xffff, v40
	v_lshl_or_b32 v41, v41, 16, v19
	;; [unrolled: 2-line block ×3, first 2 shown]
	v_and_b32_e32 v19, 0xffff, v45
	s_waitcnt vmcnt(0)
	;;#ASMSTART
	v_pk_mul_f16 v8, v42, v8;

	;;#ASMEND
	v_lshl_or_b32 v39, v46, 16, v19
	;;#ASMSTART
	v_pk_mul_f16 v9, v41, v9;

	;;#ASMEND
	;;#ASMSTART
	v_pk_mul_f16 v10, v40, v10;

	;;#ASMEND
	;; [unrolled: 4-line block ×3, first 2 shown]
	s_nop 0
	;;#ASMSTART
	v_pk_add_f16 v8, v8, v9;

	;;#ASMEND
	s_nop 0
	;;#ASMSTART
	v_pk_add_f16 v8, v8, v10;

	;;#ASMEND
	;; [unrolled: 5-line block ×3, first 2 shown]
	s_nop 0
	v_lshrrev_b32_e32 v9, 16, v8
	v_and_b32_e32 v8, 0xffff, v8
	;;#ASMSTART
	v_cvt_f32_f16 v43, v8;
	;;#ASMEND
	;;#ASMSTART
	v_cvt_f32_f16 v44, v9;
	;;#ASMEND
	global_load_dwordx4 v[8:11], v[22:23], off offset:1024
	s_and_saveexec_b64 s[10:11], vcc
	s_cbranch_execz .LBB93_53
; %bb.52:                               ;   in Loop: Header=BB93_48 Depth=1
	s_waitcnt vmcnt(0)
	v_lshrrev_b32_e32 v19, 16, v11
	v_cmp_gt_i32_e64 s[0:1], s38, v38
	s_nop 1
	v_cndmask_b32_e64 v19, 0, v19, s[0:1]
	v_cmp_gt_i32_e64 s[0:1], s37, v37
	s_nop 1
	v_cndmask_b32_e64 v11, 0, v11, s[0:1]
	v_perm_b32 v11, v19, v11, s12
	v_lshrrev_b32_e32 v19, 16, v10
	v_cmp_gt_i32_e64 s[0:1], s36, v36
	s_nop 1
	v_cndmask_b32_e64 v19, 0, v19, s[0:1]
	v_cmp_gt_i32_e64 s[0:1], s35, v35
	s_nop 1
	v_cndmask_b32_e64 v10, 0, v10, s[0:1]
	v_perm_b32 v10, v19, v10, s12
	;; [unrolled: 8-line block ×4, first 2 shown]
.LBB93_53:                              ;   in Loop: Header=BB93_48 Depth=1
	s_or_b64 exec, exec, s[10:11]
	s_waitcnt vmcnt(0)
	;;#ASMSTART
	v_pk_mul_f16 v8, v42, v8;

	;;#ASMEND
	;;#ASMSTART
	v_pk_mul_f16 v9, v41, v9;

	;;#ASMEND
	;;#ASMSTART
	v_pk_mul_f16 v10, v40, v10;

	;;#ASMEND
	;;#ASMSTART
	v_pk_mul_f16 v11, v39, v11;

	;;#ASMEND
	s_nop 0
	;;#ASMSTART
	v_pk_add_f16 v8, v8, v9;

	;;#ASMEND
	s_nop 0
	;;#ASMSTART
	v_pk_add_f16 v8, v8, v10;

	;;#ASMEND
	;; [unrolled: 5-line block ×3, first 2 shown]
	s_nop 0
	v_lshrrev_b32_e32 v9, 16, v8
	v_and_b32_e32 v8, 0xffff, v8
	;;#ASMSTART
	v_cvt_f32_f16 v45, v8;
	;;#ASMEND
	;;#ASMSTART
	v_cvt_f32_f16 v46, v9;
	;;#ASMEND
	global_load_dwordx4 v[8:11], v[22:23], off offset:2048
	s_and_saveexec_b64 s[10:11], vcc
	s_cbranch_execz .LBB93_55
; %bb.54:                               ;   in Loop: Header=BB93_48 Depth=1
	s_waitcnt vmcnt(0)
	v_lshrrev_b32_e32 v19, 16, v11
	v_cmp_gt_i32_e64 s[0:1], s38, v38
	s_nop 1
	v_cndmask_b32_e64 v19, 0, v19, s[0:1]
	v_cmp_gt_i32_e64 s[0:1], s37, v37
	s_nop 1
	v_cndmask_b32_e64 v11, 0, v11, s[0:1]
	v_perm_b32 v11, v19, v11, s12
	v_lshrrev_b32_e32 v19, 16, v10
	v_cmp_gt_i32_e64 s[0:1], s36, v36
	s_nop 1
	v_cndmask_b32_e64 v19, 0, v19, s[0:1]
	v_cmp_gt_i32_e64 s[0:1], s35, v35
	s_nop 1
	v_cndmask_b32_e64 v10, 0, v10, s[0:1]
	v_perm_b32 v10, v19, v10, s12
	;; [unrolled: 8-line block ×4, first 2 shown]
.LBB93_55:                              ;   in Loop: Header=BB93_48 Depth=1
	s_or_b64 exec, exec, s[10:11]
	s_waitcnt vmcnt(0)
	;;#ASMSTART
	v_pk_mul_f16 v8, v42, v8;

	;;#ASMEND
	;;#ASMSTART
	v_pk_mul_f16 v9, v41, v9;

	;;#ASMEND
	;; [unrolled: 4-line block ×4, first 2 shown]
	s_nop 0
	;;#ASMSTART
	v_pk_add_f16 v8, v8, v9;

	;;#ASMEND
	s_nop 0
	;;#ASMSTART
	v_pk_add_f16 v8, v8, v10;

	;;#ASMEND
	;; [unrolled: 5-line block ×3, first 2 shown]
	s_nop 0
	v_lshrrev_b32_e32 v9, 16, v8
	v_and_b32_e32 v8, 0xffff, v8
	;;#ASMSTART
	v_cvt_f32_f16 v47, v8;
	;;#ASMEND
	;;#ASMSTART
	v_cvt_f32_f16 v48, v9;
	;;#ASMEND
	global_load_dwordx4 v[8:11], v[22:23], off offset:3072
	s_and_saveexec_b64 s[10:11], vcc
	s_cbranch_execz .LBB93_57
; %bb.56:                               ;   in Loop: Header=BB93_48 Depth=1
	s_waitcnt vmcnt(0)
	v_lshrrev_b32_e32 v19, 16, v11
	v_cmp_gt_i32_e64 s[0:1], s38, v38
	s_nop 1
	v_cndmask_b32_e64 v19, 0, v19, s[0:1]
	v_cmp_gt_i32_e64 s[0:1], s37, v37
	s_nop 1
	v_cndmask_b32_e64 v11, 0, v11, s[0:1]
	v_perm_b32 v11, v19, v11, s12
	v_lshrrev_b32_e32 v19, 16, v10
	v_cmp_gt_i32_e64 s[0:1], s36, v36
	s_nop 1
	v_cndmask_b32_e64 v19, 0, v19, s[0:1]
	v_cmp_gt_i32_e64 s[0:1], s35, v35
	s_nop 1
	v_cndmask_b32_e64 v10, 0, v10, s[0:1]
	v_perm_b32 v10, v19, v10, s12
	;; [unrolled: 8-line block ×4, first 2 shown]
.LBB93_57:                              ;   in Loop: Header=BB93_48 Depth=1
	s_or_b64 exec, exec, s[10:11]
	s_waitcnt vmcnt(0)
	;;#ASMSTART
	v_pk_mul_f16 v8, v42, v8;

	;;#ASMEND
	;;#ASMSTART
	v_pk_mul_f16 v9, v41, v9;

	;;#ASMEND
	;; [unrolled: 4-line block ×4, first 2 shown]
	s_nop 0
	;;#ASMSTART
	v_pk_add_f16 v8, v8, v9;

	;;#ASMEND
	s_nop 0
	;;#ASMSTART
	v_pk_add_f16 v8, v8, v10;

	;;#ASMEND
	;; [unrolled: 5-line block ×3, first 2 shown]
	s_nop 0
	v_lshrrev_b32_e32 v9, 16, v8
	v_and_b32_e32 v8, 0xffff, v8
	;;#ASMSTART
	v_cvt_f32_f16 v22, v8;
	;;#ASMEND
	;;#ASMSTART
	v_cvt_f32_f16 v23, v9;
	;;#ASMEND
	v_lshl_add_u64 v[8:9], v[20:21], 0, v[12:13]
	global_load_dwordx4 v[8:11], v[8:9], off
	s_and_saveexec_b64 s[10:11], vcc
	s_cbranch_execz .LBB93_59
; %bb.58:                               ;   in Loop: Header=BB93_48 Depth=1
	s_waitcnt vmcnt(0)
	v_lshrrev_b32_e32 v19, 16, v11
	v_cmp_gt_i32_e64 s[0:1], s38, v38
	s_nop 1
	v_cndmask_b32_e64 v19, 0, v19, s[0:1]
	v_cmp_gt_i32_e64 s[0:1], s37, v37
	s_nop 1
	v_cndmask_b32_e64 v11, 0, v11, s[0:1]
	v_perm_b32 v11, v19, v11, s12
	v_lshrrev_b32_e32 v19, 16, v10
	v_cmp_gt_i32_e64 s[0:1], s36, v36
	s_nop 1
	v_cndmask_b32_e64 v19, 0, v19, s[0:1]
	v_cmp_gt_i32_e64 s[0:1], s35, v35
	s_nop 1
	v_cndmask_b32_e64 v10, 0, v10, s[0:1]
	v_perm_b32 v10, v19, v10, s12
	;; [unrolled: 8-line block ×4, first 2 shown]
.LBB93_59:                              ;   in Loop: Header=BB93_48 Depth=1
	s_or_b64 exec, exec, s[10:11]
	s_waitcnt vmcnt(0)
	;;#ASMSTART
	v_pk_mul_f16 v8, v42, v8;

	;;#ASMEND
	;;#ASMSTART
	v_pk_mul_f16 v9, v41, v9;

	;;#ASMEND
	;; [unrolled: 4-line block ×4, first 2 shown]
	v_mov_b32_e32 v19, v13
	;;#ASMSTART
	v_pk_add_f16 v8, v8, v9;

	;;#ASMEND
	s_nop 0
	;;#ASMSTART
	v_pk_add_f16 v8, v8, v10;

	;;#ASMEND
	s_nop 0
	;;#ASMSTART
	v_pk_add_f16 v8, v8, v11;

	;;#ASMEND
	s_nop 0
	v_lshrrev_b32_e32 v9, 16, v8
	v_and_b32_e32 v8, 0xffff, v8
	;;#ASMSTART
	v_cvt_f32_f16 v49, v8;
	;;#ASMEND
	;;#ASMSTART
	v_cvt_f32_f16 v50, v9;
	;;#ASMEND
	v_lshl_add_u64 v[8:9], v[20:21], 0, v[18:19]
	global_load_dwordx4 v[8:11], v[8:9], off
	s_and_saveexec_b64 s[0:1], vcc
	s_cbranch_execz .LBB93_46
; %bb.60:                               ;   in Loop: Header=BB93_48 Depth=1
	s_waitcnt vmcnt(0)
	v_lshrrev_b32_e32 v19, 16, v11
	v_cmp_gt_i32_e32 vcc, s38, v38
	s_nop 1
	v_cndmask_b32_e32 v19, 0, v19, vcc
	v_cmp_gt_i32_e32 vcc, s37, v37
	s_nop 1
	v_cndmask_b32_e32 v11, 0, v11, vcc
	v_perm_b32 v11, v19, v11, s12
	v_lshrrev_b32_e32 v19, 16, v10
	v_cmp_gt_i32_e32 vcc, s36, v36
	s_nop 1
	v_cndmask_b32_e32 v19, 0, v19, vcc
	v_cmp_gt_i32_e32 vcc, s35, v35
	s_nop 1
	v_cndmask_b32_e32 v10, 0, v10, vcc
	v_perm_b32 v10, v19, v10, s12
	;; [unrolled: 8-line block ×4, first 2 shown]
	s_branch .LBB93_46
.LBB93_61:
	s_or_b64 exec, exec, s[14:15]
.LBB93_62:
	s_or_b64 exec, exec, s[2:3]
	ds_bpermute_b32 v8, v26, v2
	ds_bpermute_b32 v9, v26, v3
	;; [unrolled: 1-line block ×6, first 2 shown]
	s_waitcnt lgkmcnt(4)
	v_pk_add_f32 v[2:3], v[2:3], v[8:9]
	ds_bpermute_b32 v8, v27, v2
	s_waitcnt lgkmcnt(3)
	v_pk_add_f32 v[4:5], v[4:5], v[10:11]
	ds_bpermute_b32 v9, v27, v3
	;; [unrolled: 3-line block ×3, first 2 shown]
	ds_bpermute_b32 v11, v27, v5
	ds_bpermute_b32 v14, v27, v12
	;; [unrolled: 1-line block ×3, first 2 shown]
	v_and_b32_e32 v1, 0x3c3, v0
	s_waitcnt lgkmcnt(4)
	v_pk_add_f32 v[6:7], v[2:3], v[8:9]
	s_waitcnt lgkmcnt(2)
	v_pk_add_f32 v[4:5], v[4:5], v[10:11]
	v_cmp_eq_u32_e32 vcc, 64, v1
	s_waitcnt lgkmcnt(0)
	v_pk_add_f32 v[2:3], v[12:13], v[14:15]
	s_barrier
	s_and_saveexec_b64 s[0:1], vcc
	s_cbranch_execz .LBB93_64
; %bb.63:
	v_add_u32_e32 v8, 0xd0, v25
	ds_write2_b32 v8, v6, v7 offset1:16
	ds_write2_b32 v8, v4, v5 offset0:32 offset1:48
	ds_write2_b32 v8, v2, v3 offset0:64 offset1:80
.LBB93_64:
	s_or_b64 exec, exec, s[0:1]
	v_cmp_gt_u32_e32 vcc, 64, v0
	s_waitcnt lgkmcnt(0)
	s_barrier
	s_and_saveexec_b64 s[0:1], vcc
	s_cbranch_execz .LBB93_73
; %bb.65:
	v_cmp_eq_u32_e32 vcc, 0, v28
	v_lshrrev_b32_e32 v8, 2, v0
	s_and_saveexec_b64 s[2:3], vcc
	s_cbranch_execnz .LBB93_76
; %bb.66:
	s_or_b64 exec, exec, s[2:3]
	s_and_saveexec_b64 s[2:3], vcc
	s_cbranch_execnz .LBB93_77
.LBB93_67:
	s_or_b64 exec, exec, s[2:3]
	s_and_saveexec_b64 s[2:3], vcc
	s_cbranch_execnz .LBB93_78
.LBB93_68:
	s_or_b64 exec, exec, s[2:3]
	s_and_saveexec_b64 s[2:3], vcc
	s_cbranch_execnz .LBB93_79
.LBB93_69:
	s_or_b64 exec, exec, s[2:3]
	s_and_saveexec_b64 s[2:3], vcc
	s_cbranch_execnz .LBB93_80
.LBB93_70:
	s_or_b64 exec, exec, s[2:3]
	s_and_saveexec_b64 s[2:3], vcc
	s_cbranch_execz .LBB93_72
.LBB93_71:
	v_mov_b32_e32 v9, 0xd0
	v_lshl_add_u32 v8, v8, 2, v9
	ds_read_b32 v8, v8 offset:320
	s_waitcnt lgkmcnt(0)
	v_add_f32_e32 v3, v3, v8
.LBB93_72:
	s_or_b64 exec, exec, s[2:3]
.LBB93_73:
	s_or_b64 exec, exec, s[0:1]
	v_cmp_eq_u32_e32 vcc, 0, v1
	s_barrier
	s_and_saveexec_b64 s[0:1], vcc
	s_cbranch_execz .LBB93_75
; %bb.74:
	s_mul_i32 s0, s20, s16
	s_mul_i32 s0, s0, s5
	s_mulk_i32 s0, 0x60
	s_ashr_i32 s1, s0, 31
	s_lshl_b64 s[0:1], s[0:1], 1
	s_add_u32 s2, s24, s0
	s_mul_i32 s0, s16, s22
	s_addc_u32 s3, s25, s1
	s_ashr_i32 s1, s0, 31
	s_lshl_b64 s[0:1], s[0:1], 1
	s_add_u32 s2, s2, s0
	s_mul_i32 s0, s4, 0x60
	s_addc_u32 s3, s3, s1
	s_ashr_i32 s1, s0, 31
	s_lshl_b64 s[0:1], s[0:1], 1
	s_add_u32 s0, s2, s0
	s_addc_u32 s1, s3, s1
	v_lshrrev_b32_e32 v0, 1, v0
	;;#ASMSTART
	v_cvt_f16_f32 v1, v6;

	;;#ASMEND
	global_store_short v0, v1, s[0:1]
	;;#ASMSTART
	v_cvt_f16_f32 v1, v7;

	;;#ASMEND
	global_store_short v0, v1, s[0:1] offset:32
	;;#ASMSTART
	v_cvt_f16_f32 v1, v4;

	;;#ASMEND
	global_store_short v0, v1, s[0:1] offset:64
	;; [unrolled: 5-line block ×5, first 2 shown]
.LBB93_75:
	s_endpgm
.LBB93_76:
	v_mov_b32_e32 v9, 0xd0
	v_lshl_add_u32 v9, v8, 2, v9
	ds_read_b32 v9, v9
	s_waitcnt lgkmcnt(0)
	v_add_f32_e32 v6, v6, v9
	s_or_b64 exec, exec, s[2:3]
	s_and_saveexec_b64 s[2:3], vcc
	s_cbranch_execz .LBB93_67
.LBB93_77:
	v_mov_b32_e32 v9, 0xd0
	v_lshl_add_u32 v9, v8, 2, v9
	ds_read_b32 v9, v9 offset:64
	s_waitcnt lgkmcnt(0)
	v_add_f32_e32 v7, v7, v9
	s_or_b64 exec, exec, s[2:3]
	s_and_saveexec_b64 s[2:3], vcc
	s_cbranch_execz .LBB93_68
.LBB93_78:
	v_mov_b32_e32 v9, 0xd0
	v_lshl_add_u32 v9, v8, 2, v9
	ds_read_b32 v9, v9 offset:128
	s_waitcnt lgkmcnt(0)
	v_add_f32_e32 v4, v4, v9
	s_or_b64 exec, exec, s[2:3]
	s_and_saveexec_b64 s[2:3], vcc
	s_cbranch_execz .LBB93_69
.LBB93_79:
	v_mov_b32_e32 v9, 0xd0
	v_lshl_add_u32 v9, v8, 2, v9
	ds_read_b32 v9, v9 offset:192
	s_waitcnt lgkmcnt(0)
	v_add_f32_e32 v5, v5, v9
	s_or_b64 exec, exec, s[2:3]
	s_and_saveexec_b64 s[2:3], vcc
	s_cbranch_execz .LBB93_70
.LBB93_80:
	v_mov_b32_e32 v9, 0xd0
	v_lshl_add_u32 v9, v8, 2, v9
	ds_read_b32 v9, v9 offset:256
	s_waitcnt lgkmcnt(0)
	v_add_f32_e32 v2, v2, v9
	s_or_b64 exec, exec, s[2:3]
	s_and_saveexec_b64 s[2:3], vcc
	s_cbranch_execnz .LBB93_71
	s_branch .LBB93_72
	.section	.rodata,"a",@progbits
	.p2align	6, 0x0
	.amdhsa_kernel _ZN4vllm25paged_attention_v1_kernelIttLi96ELi32ELi128ELNS_18Fp8KVCacheDataTypeE0ELb1EEEvPT_PKS2_PKT0_S8_ifPKiSA_iPKfiiiSC_SC_iiiii
		.amdhsa_group_segment_fixed_size 208
		.amdhsa_private_segment_fixed_size 0
		.amdhsa_kernarg_size 384
		.amdhsa_user_sgpr_count 2
		.amdhsa_user_sgpr_dispatch_ptr 0
		.amdhsa_user_sgpr_queue_ptr 0
		.amdhsa_user_sgpr_kernarg_segment_ptr 1
		.amdhsa_user_sgpr_dispatch_id 0
		.amdhsa_user_sgpr_kernarg_preload_length 0
		.amdhsa_user_sgpr_kernarg_preload_offset 0
		.amdhsa_user_sgpr_private_segment_size 0
		.amdhsa_uses_dynamic_stack 0
		.amdhsa_enable_private_segment 0
		.amdhsa_system_sgpr_workgroup_id_x 1
		.amdhsa_system_sgpr_workgroup_id_y 1
		.amdhsa_system_sgpr_workgroup_id_z 1
		.amdhsa_system_sgpr_workgroup_info 0
		.amdhsa_system_vgpr_workitem_id 0
		.amdhsa_next_free_vgpr 75
		.amdhsa_next_free_sgpr 48
		.amdhsa_accum_offset 76
		.amdhsa_reserve_vcc 1
		.amdhsa_float_round_mode_32 0
		.amdhsa_float_round_mode_16_64 0
		.amdhsa_float_denorm_mode_32 3
		.amdhsa_float_denorm_mode_16_64 3
		.amdhsa_dx10_clamp 1
		.amdhsa_ieee_mode 1
		.amdhsa_fp16_overflow 0
		.amdhsa_tg_split 0
		.amdhsa_exception_fp_ieee_invalid_op 0
		.amdhsa_exception_fp_denorm_src 0
		.amdhsa_exception_fp_ieee_div_zero 0
		.amdhsa_exception_fp_ieee_overflow 0
		.amdhsa_exception_fp_ieee_underflow 0
		.amdhsa_exception_fp_ieee_inexact 0
		.amdhsa_exception_int_div_zero 0
	.end_amdhsa_kernel
	.section	.text._ZN4vllm25paged_attention_v1_kernelIttLi96ELi32ELi128ELNS_18Fp8KVCacheDataTypeE0ELb1EEEvPT_PKS2_PKT0_S8_ifPKiSA_iPKfiiiSC_SC_iiiii,"axG",@progbits,_ZN4vllm25paged_attention_v1_kernelIttLi96ELi32ELi128ELNS_18Fp8KVCacheDataTypeE0ELb1EEEvPT_PKS2_PKT0_S8_ifPKiSA_iPKfiiiSC_SC_iiiii,comdat
.Lfunc_end93:
	.size	_ZN4vllm25paged_attention_v1_kernelIttLi96ELi32ELi128ELNS_18Fp8KVCacheDataTypeE0ELb1EEEvPT_PKS2_PKT0_S8_ifPKiSA_iPKfiiiSC_SC_iiiii, .Lfunc_end93-_ZN4vllm25paged_attention_v1_kernelIttLi96ELi32ELi128ELNS_18Fp8KVCacheDataTypeE0ELb1EEEvPT_PKS2_PKT0_S8_ifPKiSA_iPKfiiiSC_SC_iiiii
                                        ; -- End function
	.section	.AMDGPU.csdata,"",@progbits
; Kernel info:
; codeLenInByte = 8116
; NumSgprs: 54
; NumVgprs: 75
; NumAgprs: 0
; TotalNumVgprs: 75
; ScratchSize: 0
; MemoryBound: 0
; FloatMode: 240
; IeeeMode: 1
; LDSByteSize: 208 bytes/workgroup (compile time only)
; SGPRBlocks: 6
; VGPRBlocks: 9
; NumSGPRsForWavesPerEU: 54
; NumVGPRsForWavesPerEU: 75
; AccumOffset: 76
; Occupancy: 6
; WaveLimiterHint : 1
; COMPUTE_PGM_RSRC2:SCRATCH_EN: 0
; COMPUTE_PGM_RSRC2:USER_SGPR: 2
; COMPUTE_PGM_RSRC2:TRAP_HANDLER: 0
; COMPUTE_PGM_RSRC2:TGID_X_EN: 1
; COMPUTE_PGM_RSRC2:TGID_Y_EN: 1
; COMPUTE_PGM_RSRC2:TGID_Z_EN: 1
; COMPUTE_PGM_RSRC2:TIDIG_COMP_CNT: 0
; COMPUTE_PGM_RSRC3_GFX90A:ACCUM_OFFSET: 18
; COMPUTE_PGM_RSRC3_GFX90A:TG_SPLIT: 0
	.section	.text._ZN4vllm25paged_attention_v1_kernelIttLi112ELi32ELi128ELNS_18Fp8KVCacheDataTypeE0ELb1EEEvPT_PKS2_PKT0_S8_ifPKiSA_iPKfiiiSC_SC_iiiii,"axG",@progbits,_ZN4vllm25paged_attention_v1_kernelIttLi112ELi32ELi128ELNS_18Fp8KVCacheDataTypeE0ELb1EEEvPT_PKS2_PKT0_S8_ifPKiSA_iPKfiiiSC_SC_iiiii,comdat
	.protected	_ZN4vllm25paged_attention_v1_kernelIttLi112ELi32ELi128ELNS_18Fp8KVCacheDataTypeE0ELb1EEEvPT_PKS2_PKT0_S8_ifPKiSA_iPKfiiiSC_SC_iiiii ; -- Begin function _ZN4vllm25paged_attention_v1_kernelIttLi112ELi32ELi128ELNS_18Fp8KVCacheDataTypeE0ELb1EEEvPT_PKS2_PKT0_S8_ifPKiSA_iPKfiiiSC_SC_iiiii
	.globl	_ZN4vllm25paged_attention_v1_kernelIttLi112ELi32ELi128ELNS_18Fp8KVCacheDataTypeE0ELb1EEEvPT_PKS2_PKT0_S8_ifPKiSA_iPKfiiiSC_SC_iiiii
	.p2align	8
	.type	_ZN4vllm25paged_attention_v1_kernelIttLi112ELi32ELi128ELNS_18Fp8KVCacheDataTypeE0ELb1EEEvPT_PKS2_PKT0_S8_ifPKiSA_iPKfiiiSC_SC_iiiii,@function
_ZN4vllm25paged_attention_v1_kernelIttLi112ELi32ELi128ELNS_18Fp8KVCacheDataTypeE0ELb1EEEvPT_PKS2_PKT0_S8_ifPKiSA_iPKfiiiSC_SC_iiiii: ; @_ZN4vllm25paged_attention_v1_kernelIttLi112ELi32ELi128ELNS_18Fp8KVCacheDataTypeE0ELb1EEEvPT_PKS2_PKT0_S8_ifPKiSA_iPKfiiiSC_SC_iiiii
; %bb.0:
	s_load_dword s5, s[0:1], 0x80
	s_load_dwordx2 s[6:7], s[0:1], 0x30
	s_load_dwordx2 s[30:31], s[0:1], 0x20
	s_mov_b32 s20, s3
	s_ashr_i32 s21, s3, 31
	s_lshl_b64 s[8:9], s[20:21], 2
	s_waitcnt lgkmcnt(0)
	s_add_u32 s6, s6, s8
	s_addc_u32 s7, s7, s9
	s_abs_i32 s3, s30
	v_cvt_f32_u32_e32 v1, s3
	s_sub_i32 s10, 0, s3
	s_abs_i32 s9, s5
	s_xor_b32 s8, s5, s30
	v_rcp_iflag_f32_e32 v1, v1
	s_ashr_i32 s8, s8, 31
	s_mov_b32 s43, 0
	v_mul_f32_e32 v1, 0x4f7ffffe, v1
	v_cvt_u32_f32_e32 v1, v1
	s_nop 0
	v_readfirstlane_b32 s11, v1
	s_mul_i32 s10, s10, s11
	s_mul_hi_u32 s10, s11, s10
	s_add_i32 s11, s11, s10
	s_mul_hi_u32 s10, s9, s11
	s_mul_i32 s11, s10, s3
	s_sub_i32 s9, s9, s11
	s_add_i32 s11, s10, 1
	s_sub_i32 s12, s9, s3
	s_cmp_ge_u32 s9, s3
	s_cselect_b32 s10, s11, s10
	s_cselect_b32 s9, s12, s9
	s_add_i32 s11, s10, 1
	s_cmp_ge_u32 s9, s3
	s_cselect_b32 s3, s11, s10
	s_xor_b32 s3, s3, s8
	s_sub_i32 s12, s3, s8
	s_abs_i32 s10, s12
	v_cvt_f32_u32_e32 v1, s10
	s_load_dwordx2 s[8:9], s[0:1], 0x40
	s_sub_i32 s3, 0, s10
	s_abs_i32 s11, s2
	v_rcp_iflag_f32_e32 v1, v1
	s_nop 0
	v_mul_f32_e32 v1, 0x4f7ffffe, v1
	v_cvt_u32_f32_e32 v1, v1
	s_nop 0
	v_readfirstlane_b32 s13, v1
	s_mul_i32 s3, s3, s13
	s_mul_hi_u32 s3, s13, s3
	s_add_i32 s13, s13, s3
	s_waitcnt lgkmcnt(0)
	s_cmp_eq_u64 s[8:9], 0
	s_mul_hi_u32 s24, s11, s13
	s_cbranch_scc1 .LBB94_2
; %bb.1:
	s_ashr_i32 s3, s2, 31
	s_lshl_b64 s[14:15], s[2:3], 2
	s_add_u32 s8, s8, s14
	s_addc_u32 s9, s9, s15
	s_load_dword s43, s[8:9], 0x0
.LBB94_2:
	s_load_dword s21, s[6:7], 0x0
	s_ashr_i32 s9, s12, 31
	s_load_dwordx4 s[12:15], s[0:1], 0x48
	s_ashr_i32 s3, s2, 31
	v_and_b32_e32 v4, 1, v0
	s_movk_i32 s8, 0x70
	s_mul_i32 s22, s2, 0x70
	v_cmp_gt_u32_e32 vcc, 28, v0
	v_lshlrev_b32_e32 v26, 3, v0
	s_and_saveexec_b64 s[6:7], vcc
	s_cbranch_execz .LBB94_4
; %bb.3:
	s_load_dwordx2 s[16:17], s[0:1], 0x8
	s_waitcnt lgkmcnt(0)
	s_mul_i32 s18, s20, s12
	s_ashr_i32 s19, s18, 31
	s_lshl_b64 s[18:19], s[18:19], 1
	v_lshlrev_b32_e32 v1, 2, v0
	s_add_u32 s12, s16, s18
	s_addc_u32 s15, s17, s19
	s_ashr_i32 s23, s22, 31
	s_lshl_b64 s[16:17], s[22:23], 1
	s_add_u32 s16, s12, s16
	s_addc_u32 s17, s15, s17
	global_load_dwordx2 v[2:3], v26, s[16:17]
	v_and_b32_e32 v1, 0xff8, v1
	v_mad_u32_u24 v1, v4, s8, v1
	s_waitcnt vmcnt(0)
	ds_write_b64 v1, v[2:3]
.LBB94_4:
	s_or_b64 exec, exec, s[6:7]
	s_mul_i32 s6, s24, s10
	s_sub_i32 s6, s11, s6
	s_xor_b32 s3, s3, s9
	s_add_i32 s7, s24, 1
	s_sub_i32 s9, s6, s10
	s_load_dwordx4 s[16:19], s[0:1], 0x68
	s_load_dword s8, s[0:1], 0x78
	s_cmp_ge_u32 s6, s10
	s_cselect_b32 s7, s7, s24
	s_cselect_b32 s6, s9, s6
	s_add_i32 s9, s7, 1
	s_cmp_ge_u32 s6, s10
	s_cselect_b32 s6, s9, s7
	s_waitcnt lgkmcnt(0)
	s_abs_i32 s23, s19
	v_cvt_f32_u32_e32 v1, s23
	s_xor_b32 s6, s6, s3
	s_sub_i32 s3, s6, s3
	s_sub_i32 s6, 0, s23
	v_rcp_iflag_f32_e32 v1, v1
	s_add_i32 s15, s21, -1
	s_abs_i32 s9, s15
	v_mul_f32_e32 v1, 0x4f7ffffe, v1
	v_cvt_u32_f32_e32 v1, v1
	s_barrier
	v_readfirstlane_b32 s33, v1
	s_mul_i32 s6, s6, s33
	s_mul_hi_u32 s6, s33, s6
	s_add_i32 s33, s33, s6
	s_cmp_lt_i32 s8, 0
	s_mul_hi_u32 s12, s9, s33
	s_cbranch_scc0 .LBB94_6
; %bb.5:
	s_mul_i32 s6, s16, s30
	s_add_i32 s6, s3, s6
	s_mul_i32 s6, s6, s8
	s_sub_i32 s40, 1, s6
	s_mov_b64 s[6:7], 0
	s_branch .LBB94_7
.LBB94_6:
	s_mov_b64 s[6:7], -1
                                        ; implicit-def: $sgpr40
.LBB94_7:
	s_load_dwordx2 s[10:11], s[0:1], 0x28
	s_ashr_i32 s15, s15, 31
	s_andn2_b64 vcc, exec, s[6:7]
	s_ashr_i32 s41, s19, 31
	s_cbranch_vccnz .LBB94_9
; %bb.8:
	s_mul_i32 s6, s5, s16
	s_add_i32 s2, s6, s2
	s_mul_i32 s2, s2, s8
	s_add_i32 s40, s2, 1
.LBB94_9:
	s_load_dword s2, s[0:1], 0x38
	s_load_dwordx2 s[24:25], s[0:1], 0x0
	s_load_dwordx2 s[28:29], s[0:1], 0x18
	s_load_dword s19, s[0:1], 0x88
	s_xor_b32 s6, s15, s41
	s_waitcnt lgkmcnt(0)
	s_mul_i32 s26, s20, s2
	s_mul_i32 s2, s12, s23
	s_sub_i32 s2, s9, s2
	s_ashr_i32 s27, s26, 31
	s_add_i32 s7, s12, 1
	s_sub_i32 s8, s2, s23
	s_cmp_ge_u32 s2, s23
	s_cselect_b32 s7, s7, s12
	s_cselect_b32 s2, s8, s2
	s_add_i32 s8, s7, 1
	s_cmp_ge_u32 s2, s23
	s_cselect_b32 s2, s8, s7
	s_xor_b32 s2, s2, s6
	s_sub_i32 s12, s2, s6
	s_add_i32 s2, s21, 31
	s_ashr_i32 s6, s2, 31
	s_lshr_b32 s6, s6, 27
	s_add_i32 s2, s2, s6
	s_ashr_i32 s42, s2, 5
	v_lshrrev_b32_e32 v1, 6, v0
	v_cmp_gt_i32_e64 s[6:7], s42, v1
	v_mov_b32_e32 v32, 0xff7fffff
	s_mul_i32 s14, s3, s14
	v_lshrrev_b32_e32 v27, 4, v0
	v_lshlrev_b32_e32 v28, 5, v1
	v_mbcnt_lo_u32_b32 v29, -1, 0
	s_and_saveexec_b64 s[34:35], s[6:7]
	s_cbranch_execz .LBB94_19
; %bb.10:
	s_load_dwordx2 s[0:1], s[0:1], 0x10
	s_ashr_i32 s15, s14, 31
	s_sub_i32 s16, s12, s17
	s_lshl_b64 s[8:9], s[14:15], 1
	v_bfe_u32 v30, v0, 1, 5
	s_waitcnt lgkmcnt(0)
	s_add_u32 s0, s0, s8
	s_addc_u32 s1, s1, s9
	s_abs_i32 s15, s18
	v_cvt_f32_u32_e32 v2, s15
	s_sub_i32 s8, 0, s15
	v_cmp_eq_u32_e64 s[2:3], 0, v4
	v_lshlrev_b32_e32 v6, 4, v30
	v_rcp_iflag_f32_e32 v5, v2
	v_mov_b32_e32 v7, 0
	v_mul_u32_u24_e32 v31, 0x70, v4
	v_lshl_add_u64 v[2:3], s[0:1], 0, v[6:7]
	v_mul_f32_e32 v5, 0x4f7ffffe, v5
	v_cvt_u32_f32_e32 v5, v5
	v_and_b32_e32 v6, 8, v26
	v_lshl_add_u64 v[2:3], v[2:3], 0, v[6:7]
	v_and_b32_e32 v6, 60, v27
	v_mul_lo_u32 v4, s8, v5
	s_lshl_b64 s[8:9], s[26:27], 2
	s_add_u32 s8, s10, s8
	v_mul_hi_u32 v4, v5, v4
	s_addc_u32 s9, s11, s9
	v_add_u32_e32 v33, v5, v4
	v_lshl_add_u64 v[4:5], s[8:9], 0, v[6:7]
	v_lshlrev_b32_e32 v6, 2, v30
	v_lshl_or_b32 v6, v1, 7, v6
	v_add_u32_e32 v35, 0xf0, v6
	v_subrev_u32_e32 v6, s21, v30
	v_mbcnt_hi_u32_b32 v38, -1, v29
	v_add_u32_e32 v36, 1, v6
	v_and_b32_e32 v6, 64, v38
	s_mov_b32 s30, s13
	v_cmp_neq_f32_e64 s[0:1], s43, 0
	v_lshlrev_b32_e32 v34, 5, v1
	s_mov_b64 s[36:37], 0
	v_mov_b32_e32 v37, 0xff7fffff
	s_movk_i32 s44, 0x1000
	v_xor_b32_e32 v39, 1, v38
	v_add_u32_e32 v40, 64, v6
	v_mov_b32_e32 v32, 0xff7fffff
	v_mov_b32_e32 v41, v1
	s_branch .LBB94_13
.LBB94_11:                              ;   in Loop: Header=BB94_13 Depth=1
	s_or_b64 exec, exec, s[38:39]
.LBB94_12:                              ;   in Loop: Header=BB94_13 Depth=1
	s_or_b64 exec, exec, s[8:9]
	v_add_u32_e32 v41, 2, v41
	v_cmp_le_i32_e32 vcc, s42, v41
	v_lshl_add_u64 v[4:5], v[4:5], 0, 8
	v_add_u32_e32 v34, 64, v34
	s_or_b64 s[36:37], vcc, s[36:37]
	v_add_u32_e32 v35, 0x100, v35
	s_andn2_b64 exec, exec, s[36:37]
	s_cbranch_execz .LBB94_18
.LBB94_13:                              ; =>This Inner Loop Header: Depth=1
	v_mul_hi_u32 v6, v34, s33
	s_waitcnt lgkmcnt(0)
	v_mul_lo_u32 v7, v6, s23
	v_sub_u32_e32 v7, v34, v7
	v_add_u32_e32 v8, 1, v6
	v_cmp_le_u32_e32 vcc, s23, v7
	s_nop 1
	v_cndmask_b32_e32 v6, v6, v8, vcc
	v_subrev_u32_e32 v8, s23, v7
	v_cndmask_b32_e32 v7, v7, v8, vcc
	v_add_u32_e32 v8, 1, v6
	v_cmp_le_u32_e32 vcc, s23, v7
	s_nop 1
	v_cndmask_b32_e32 v6, v6, v8, vcc
	v_xor_b32_e32 v6, s41, v6
	v_subrev_u32_e32 v6, s41, v6
	v_add_u32_e32 v7, s40, v6
	v_sub_u32_e32 v9, 0, v7
	v_ashrrev_i32_e32 v8, 31, v7
	v_max_i32_e32 v7, v7, v9
	v_mul_hi_u32 v9, v7, v33
	v_mul_lo_u32 v9, v9, s15
	v_sub_u32_e32 v7, v7, v9
	v_subrev_u32_e32 v9, s15, v7
	v_cmp_le_u32_e32 vcc, s15, v7
	v_cmp_ge_i32_e64 s[8:9], s16, v6
	s_nop 0
	v_cndmask_b32_e32 v7, v7, v9, vcc
	v_subrev_u32_e32 v9, s15, v7
	v_cmp_le_u32_e32 vcc, s15, v7
	s_nop 1
	v_cndmask_b32_e32 v7, v7, v9, vcc
	v_xor_b32_e32 v7, v7, v8
	v_sub_u32_e32 v7, v7, v8
	v_cmp_ne_u32_e32 vcc, 0, v7
	s_and_b64 s[8:9], vcc, s[8:9]
	s_and_b64 s[46:47], s[2:3], s[8:9]
	s_and_saveexec_b64 s[38:39], s[46:47]
	s_cbranch_execz .LBB94_15
; %bb.14:                               ;   in Loop: Header=BB94_13 Depth=1
	ds_write_b32 v35, v37
.LBB94_15:                              ;   in Loop: Header=BB94_13 Depth=1
	s_or_b64 exec, exec, s[38:39]
	s_xor_b64 s[38:39], s[8:9], -1
	s_and_saveexec_b64 s[8:9], s[38:39]
	s_cbranch_execz .LBB94_12
; %bb.16:                               ;   in Loop: Header=BB94_13 Depth=1
	global_load_dword v6, v[4:5], off
	s_waitcnt vmcnt(0)
	v_mad_i64_i32 v[6:7], s[38:39], v6, s30, 0
	v_lshl_add_u64 v[6:7], v[6:7], 1, v[2:3]
	global_load_dwordx2 v[44:45], v[6:7], off
	global_load_dwordx2 v[46:47], v[6:7], off offset:512
	global_load_dwordx2 v[48:49], v[6:7], off offset:1024
	;; [unrolled: 1-line block ×7, first 2 shown]
	v_add_co_u32_e32 v42, vcc, s44, v6
	s_waitcnt vmcnt(6)
	v_lshrrev_b32_e32 v56, 16, v46
	v_addc_co_u32_e32 v43, vcc, 0, v7, vcc
	global_load_dwordx2 v[16:17], v[42:43], off
	global_load_dwordx2 v[14:15], v[42:43], off offset:512
	ds_read_b64 v[6:7], v31
	v_and_b32_e32 v46, 0xffff, v46
	s_waitcnt vmcnt(2)
	v_lshrrev_b32_e32 v70, 16, v18
	v_and_b32_e32 v71, 0xffff, v18
	v_lshrrev_b32_e32 v72, 16, v19
	s_waitcnt lgkmcnt(0)
	v_lshrrev_b32_e32 v52, 16, v6
	v_and_b32_e32 v53, 0xffff, v6
	v_lshrrev_b32_e32 v54, 16, v7
	v_and_b32_e32 v55, 0xffff, v7
	global_load_dwordx2 v[12:13], v[42:43], off offset:1024
	global_load_dwordx2 v[10:11], v[42:43], off offset:1536
	;; [unrolled: 1-line block ×4, first 2 shown]
	;;#ASMSTART
	v_cvt_f32_f16 v42, v53;
	;;#ASMEND
	;;#ASMSTART
	v_cvt_f32_f16 v43, v52;
	;;#ASMEND
	v_lshrrev_b32_e32 v52, 16, v44
	v_and_b32_e32 v44, 0xffff, v44
	v_lshrrev_b32_e32 v53, 16, v45
	v_and_b32_e32 v45, 0xffff, v45
	v_and_b32_e32 v73, 0xffff, v19
	;;#ASMSTART
	v_cvt_f32_f16 v44, v44;
	;;#ASMEND
	;;#ASMSTART
	v_cvt_f32_f16 v52, v52;
	;;#ASMEND
	;; [unrolled: 3-line block ×6, first 2 shown]
	ds_read_b64 v[18:19], v31 offset:8
	v_lshrrev_b32_e32 v57, 16, v47
	v_and_b32_e32 v47, 0xffff, v47
	v_lshrrev_b32_e32 v66, 16, v20
	v_and_b32_e32 v67, 0xffff, v20
	;; [unrolled: 2-line block ×11, first 2 shown]
	v_cmp_lt_i32_e32 vcc, v39, v40
	s_waitcnt vmcnt(5)
	v_lshrrev_b32_e32 v74, 16, v16
	v_and_b32_e32 v75, 0xffff, v16
	v_lshrrev_b32_e32 v76, 16, v17
	v_and_b32_e32 v77, 0xffff, v17
	s_waitcnt lgkmcnt(0)
	v_lshrrev_b32_e32 v16, 16, v18
	v_and_b32_e32 v17, 0xffff, v18
	v_lshrrev_b32_e32 v18, 16, v19
	v_and_b32_e32 v19, 0xffff, v19
	;;#ASMSTART
	v_cvt_f32_f16 v17, v17;
	;;#ASMEND
	;;#ASMSTART
	v_cvt_f32_f16 v79, v16;
	;;#ASMEND
	;; [unrolled: 3-line block ×8, first 2 shown]
	ds_read_b64 v[20:21], v31 offset:16
	v_mul_f32_e32 v16, v17, v16
	v_mul_f32_e32 v17, v79, v46
	;; [unrolled: 1-line block ×3, first 2 shown]
	v_fmac_f32_e32 v16, v42, v44
	v_fmac_f32_e32 v17, v43, v52
	s_waitcnt lgkmcnt(0)
	v_lshrrev_b32_e32 v42, 16, v20
	v_and_b32_e32 v20, 0xffff, v20
	v_lshrrev_b32_e32 v43, 16, v21
	v_and_b32_e32 v21, 0xffff, v21
	v_mul_f32_e32 v19, v56, v47
	v_fmac_f32_e32 v18, v55, v45
	;;#ASMSTART
	v_cvt_f32_f16 v44, v20;
	;;#ASMEND
	;;#ASMSTART
	v_cvt_f32_f16 v42, v42;
	;;#ASMEND
	;; [unrolled: 3-line block ×8, first 2 shown]
	ds_read_b64 v[20:21], v31 offset:24
	v_fmac_f32_e32 v19, v54, v53
	v_fmac_f32_e32 v17, v42, v46
	;; [unrolled: 1-line block ×4, first 2 shown]
	s_waitcnt lgkmcnt(0)
	v_lshrrev_b32_e32 v42, 16, v20
	v_and_b32_e32 v20, 0xffff, v20
	v_lshrrev_b32_e32 v43, 16, v21
	v_and_b32_e32 v21, 0xffff, v21
	v_fmac_f32_e32 v18, v47, v48
	;;#ASMSTART
	v_cvt_f32_f16 v44, v20;
	;;#ASMEND
	;;#ASMSTART
	v_cvt_f32_f16 v42, v42;
	;;#ASMEND
	;;#ASMSTART
	v_cvt_f32_f16 v45, v50;
	;;#ASMEND
	;;#ASMSTART
	v_cvt_f32_f16 v46, v60;
	;;#ASMEND
	;;#ASMSTART
	v_cvt_f32_f16 v47, v21;
	;;#ASMEND
	;;#ASMSTART
	v_cvt_f32_f16 v43, v43;
	;;#ASMEND
	;;#ASMSTART
	v_cvt_f32_f16 v48, v51;
	;;#ASMEND
	;;#ASMSTART
	v_cvt_f32_f16 v49, v61;
	;;#ASMEND
	ds_read_b64 v[20:21], v31 offset:32
	v_fmac_f32_e32 v17, v42, v46
	v_fmac_f32_e32 v19, v43, v49
	v_fmac_f32_e32 v16, v44, v45
	v_fmac_f32_e32 v18, v47, v48
	s_waitcnt lgkmcnt(0)
	v_lshrrev_b32_e32 v42, 16, v20
	v_and_b32_e32 v20, 0xffff, v20
	v_lshrrev_b32_e32 v43, 16, v21
	v_and_b32_e32 v21, 0xffff, v21
	;;#ASMSTART
	v_cvt_f32_f16 v44, v20;
	;;#ASMEND
	;;#ASMSTART
	v_cvt_f32_f16 v42, v42;
	;;#ASMEND
	;;#ASMSTART
	v_cvt_f32_f16 v24, v24;
	;;#ASMEND
	;;#ASMSTART
	v_cvt_f32_f16 v45, v62;
	;;#ASMEND
	;;#ASMSTART
	v_cvt_f32_f16 v46, v21;
	;;#ASMEND
	;;#ASMSTART
	v_cvt_f32_f16 v43, v43;
	;;#ASMEND
	;;#ASMSTART
	v_cvt_f32_f16 v25, v25;
	;;#ASMEND
	;;#ASMSTART
	v_cvt_f32_f16 v47, v63;
	;;#ASMEND
	ds_read_b64 v[20:21], v31 offset:40
	v_fmac_f32_e32 v16, v44, v24
	v_fmac_f32_e32 v18, v46, v25
	v_fmac_f32_e32 v17, v42, v45
	v_fmac_f32_e32 v19, v43, v47
	s_waitcnt lgkmcnt(0)
	v_lshrrev_b32_e32 v24, 16, v20
	v_and_b32_e32 v20, 0xffff, v20
	v_lshrrev_b32_e32 v25, 16, v21
	v_and_b32_e32 v21, 0xffff, v21
	;;#ASMSTART
	v_cvt_f32_f16 v42, v20;
	;;#ASMEND
	;;#ASMSTART
	v_cvt_f32_f16 v24, v24;
	;;#ASMEND
	;;#ASMSTART
	v_cvt_f32_f16 v22, v22;
	;;#ASMEND
	;;#ASMSTART
	v_cvt_f32_f16 v43, v64;
	;;#ASMEND
	;;#ASMSTART
	v_cvt_f32_f16 v44, v21;
	;;#ASMEND
	;;#ASMSTART
	v_cvt_f32_f16 v25, v25;
	;;#ASMEND
	;;#ASMSTART
	v_cvt_f32_f16 v23, v23;
	;;#ASMEND
	;;#ASMSTART
	v_cvt_f32_f16 v45, v65;
	;;#ASMEND
	ds_read_b64 v[20:21], v31 offset:48
	v_fmac_f32_e32 v16, v42, v22
	v_fmac_f32_e32 v18, v44, v23
	v_fmac_f32_e32 v17, v24, v43
	v_fmac_f32_e32 v19, v25, v45
	s_waitcnt lgkmcnt(0)
	v_lshrrev_b32_e32 v22, 16, v20
	v_and_b32_e32 v20, 0xffff, v20
	v_lshrrev_b32_e32 v23, 16, v21
	v_and_b32_e32 v21, 0xffff, v21
	;;#ASMSTART
	v_cvt_f32_f16 v24, v20;
	;;#ASMEND
	;;#ASMSTART
	v_cvt_f32_f16 v22, v22;
	;;#ASMEND
	;;#ASMSTART
	v_cvt_f32_f16 v25, v67;
	;;#ASMEND
	;;#ASMSTART
	v_cvt_f32_f16 v42, v66;
	;;#ASMEND
	;;#ASMSTART
	v_cvt_f32_f16 v43, v21;
	;;#ASMEND
	;;#ASMSTART
	v_cvt_f32_f16 v23, v23;
	;;#ASMEND
	;;#ASMSTART
	v_cvt_f32_f16 v44, v69;
	;;#ASMEND
	;;#ASMSTART
	v_cvt_f32_f16 v45, v68;
	;;#ASMEND
	ds_read_b64 v[20:21], v31 offset:56
	v_fmac_f32_e32 v17, v22, v42
	v_fmac_f32_e32 v19, v23, v45
	v_fmac_f32_e32 v16, v24, v25
	v_fmac_f32_e32 v18, v43, v44
	s_waitcnt lgkmcnt(0)
	v_lshrrev_b32_e32 v22, 16, v20
	v_and_b32_e32 v20, 0xffff, v20
	v_lshrrev_b32_e32 v23, 16, v21
	v_and_b32_e32 v21, 0xffff, v21
	;;#ASMSTART
	v_cvt_f32_f16 v24, v20;
	;;#ASMEND
	;;#ASMSTART
	v_cvt_f32_f16 v22, v22;
	;;#ASMEND
	;;#ASMSTART
	v_cvt_f32_f16 v25, v71;
	;;#ASMEND
	;;#ASMSTART
	v_cvt_f32_f16 v42, v70;
	;;#ASMEND
	;;#ASMSTART
	v_cvt_f32_f16 v43, v21;
	;;#ASMEND
	;;#ASMSTART
	v_cvt_f32_f16 v23, v23;
	;;#ASMEND
	;;#ASMSTART
	v_cvt_f32_f16 v44, v73;
	;;#ASMEND
	;;#ASMSTART
	v_cvt_f32_f16 v45, v72;
	;;#ASMEND
	ds_read_b64 v[20:21], v31 offset:64
	v_fmac_f32_e32 v17, v22, v42
	v_fmac_f32_e32 v19, v23, v45
	v_fmac_f32_e32 v16, v24, v25
	v_fmac_f32_e32 v18, v43, v44
	s_waitcnt lgkmcnt(0)
	v_lshrrev_b32_e32 v22, 16, v20
	v_and_b32_e32 v20, 0xffff, v20
	v_lshrrev_b32_e32 v23, 16, v21
	v_and_b32_e32 v21, 0xffff, v21
	;;#ASMSTART
	v_cvt_f32_f16 v24, v20;
	;;#ASMEND
	;;#ASMSTART
	v_cvt_f32_f16 v22, v22;
	;;#ASMEND
	;; [unrolled: 3-line block ×8, first 2 shown]
	ds_read_b64 v[20:21], v31 offset:72
	s_waitcnt vmcnt(4)
	v_lshrrev_b32_e32 v78, 16, v14
	v_fmac_f32_e32 v17, v22, v42
	v_and_b32_e32 v14, 0xffff, v14
	v_fmac_f32_e32 v19, v23, v45
	s_waitcnt lgkmcnt(0)
	v_lshrrev_b32_e32 v22, 16, v20
	v_and_b32_e32 v20, 0xffff, v20
	;;#ASMSTART
	v_cvt_f32_f16 v20, v20;
	;;#ASMEND
	;;#ASMSTART
	v_cvt_f32_f16 v22, v22;
	;;#ASMEND
	;;#ASMSTART
	v_cvt_f32_f16 v23, v14;
	;;#ASMEND
	v_lshrrev_b32_e32 v14, 16, v21
	v_and_b32_e32 v21, 0xffff, v21
	v_fmac_f32_e32 v16, v24, v25
	;;#ASMSTART
	v_cvt_f32_f16 v24, v78;
	;;#ASMEND
	;;#ASMSTART
	v_cvt_f32_f16 v21, v21;
	;;#ASMEND
	;;#ASMSTART
	v_cvt_f32_f16 v25, v14;
	;;#ASMEND
	v_lshrrev_b32_e32 v14, 16, v15
	v_and_b32_e32 v15, 0xffff, v15
	v_fmac_f32_e32 v18, v43, v44
	;;#ASMSTART
	v_cvt_f32_f16 v42, v15;
	;;#ASMEND
	;;#ASMSTART
	v_cvt_f32_f16 v43, v14;
	;;#ASMEND
	ds_read_b64 v[14:15], v31 offset:80
	v_fmac_f32_e32 v16, v20, v23
	v_fmac_f32_e32 v18, v21, v42
	s_waitcnt vmcnt(3)
	v_lshrrev_b32_e32 v21, 16, v12
	v_and_b32_e32 v12, 0xffff, v12
	s_waitcnt lgkmcnt(0)
	v_lshrrev_b32_e32 v20, 16, v14
	v_and_b32_e32 v14, 0xffff, v14
	v_fmac_f32_e32 v17, v22, v24
	;;#ASMSTART
	v_cvt_f32_f16 v14, v14;
	;;#ASMEND
	;;#ASMSTART
	v_cvt_f32_f16 v20, v20;
	;;#ASMEND
	;;#ASMSTART
	v_cvt_f32_f16 v22, v12;
	;;#ASMEND
	v_lshrrev_b32_e32 v12, 16, v15
	v_and_b32_e32 v15, 0xffff, v15
	;;#ASMSTART
	v_cvt_f32_f16 v21, v21;
	;;#ASMEND
	;;#ASMSTART
	v_cvt_f32_f16 v15, v15;
	;;#ASMEND
	;;#ASMSTART
	v_cvt_f32_f16 v23, v12;
	;;#ASMEND
	v_lshrrev_b32_e32 v12, 16, v13
	v_and_b32_e32 v13, 0xffff, v13
	v_fmac_f32_e32 v19, v25, v43
	;;#ASMSTART
	v_cvt_f32_f16 v24, v13;
	;;#ASMEND
	;;#ASMSTART
	v_cvt_f32_f16 v25, v12;
	;;#ASMEND
	ds_read_b64 v[12:13], v31 offset:88
	v_fmac_f32_e32 v16, v14, v22
	v_fmac_f32_e32 v18, v15, v24
	s_waitcnt vmcnt(2)
	v_lshrrev_b32_e32 v15, 16, v10
	v_and_b32_e32 v10, 0xffff, v10
	s_waitcnt lgkmcnt(0)
	v_lshrrev_b32_e32 v14, 16, v12
	v_and_b32_e32 v12, 0xffff, v12
	v_fmac_f32_e32 v17, v20, v21
	;;#ASMSTART
	v_cvt_f32_f16 v12, v12;
	;;#ASMEND
	;;#ASMSTART
	v_cvt_f32_f16 v14, v14;
	;;#ASMEND
	;;#ASMSTART
	v_cvt_f32_f16 v20, v10;
	;;#ASMEND
	v_lshrrev_b32_e32 v10, 16, v13
	v_and_b32_e32 v13, 0xffff, v13
	;; [unrolled: 39-line block ×3, first 2 shown]
	;;#ASMSTART
	v_cvt_f32_f16 v13, v13;
	;;#ASMEND
	;;#ASMSTART
	v_cvt_f32_f16 v11, v11;
	;;#ASMEND
	;; [unrolled: 3-line block ×3, first 2 shown]
	v_lshrrev_b32_e32 v8, 16, v9
	v_and_b32_e32 v9, 0xffff, v9
	v_fmac_f32_e32 v19, v21, v23
	;;#ASMSTART
	v_cvt_f32_f16 v20, v9;
	;;#ASMEND
	;;#ASMSTART
	v_cvt_f32_f16 v21, v8;
	;;#ASMEND
	ds_read_b64 v[8:9], v31 offset:104
	v_fmac_f32_e32 v16, v10, v14
	v_fmac_f32_e32 v18, v11, v20
	s_waitcnt vmcnt(0)
	v_lshrrev_b32_e32 v11, 16, v6
	v_and_b32_e32 v6, 0xffff, v6
	s_waitcnt lgkmcnt(0)
	v_lshrrev_b32_e32 v10, 16, v8
	v_and_b32_e32 v8, 0xffff, v8
	;;#ASMSTART
	v_cvt_f32_f16 v8, v8;
	;;#ASMEND
	;;#ASMSTART
	v_cvt_f32_f16 v10, v10;
	;;#ASMEND
	;;#ASMSTART
	v_cvt_f32_f16 v6, v6;
	;;#ASMEND
	v_fmac_f32_e32 v17, v12, v13
	v_fmac_f32_e32 v16, v8, v6
	v_lshrrev_b32_e32 v6, 16, v9
	v_and_b32_e32 v8, 0xffff, v9
	v_fmac_f32_e32 v19, v15, v21
	;;#ASMSTART
	v_cvt_f32_f16 v11, v11;
	;;#ASMEND
	;;#ASMSTART
	v_cvt_f32_f16 v8, v8;
	;;#ASMEND
	;; [unrolled: 3-line block ×3, first 2 shown]
	v_lshrrev_b32_e32 v9, 16, v7
	v_fmac_f32_e32 v17, v10, v11
	v_and_b32_e32 v7, 0xffff, v7
	;;#ASMSTART
	v_cvt_f32_f16 v7, v7;
	;;#ASMEND
	;;#ASMSTART
	v_cvt_f32_f16 v9, v9;
	;;#ASMEND
	s_nop 0
	v_fmac_f32_e32 v18, v8, v7
	v_fmac_f32_e32 v19, v6, v9
	v_add_f32_e32 v6, v16, v17
	v_add_f32_e32 v6, v6, v18
	v_cndmask_b32_e32 v7, v38, v39, vcc
	v_add_f32_e32 v6, v19, v6
	v_lshlrev_b32_e32 v7, 2, v7
	ds_bpermute_b32 v7, v7, v6
	s_and_saveexec_b64 s[38:39], s[2:3]
	s_cbranch_execz .LBB94_11
; %bb.17:                               ;   in Loop: Header=BB94_13 Depth=1
	v_add_u32_e32 v8, v36, v34
	v_cvt_f32_i32_e32 v8, v8
	s_waitcnt lgkmcnt(0)
	v_add_f32_e32 v6, v6, v7
	v_add_u32_e32 v9, v30, v34
	v_cmp_gt_i32_e32 vcc, s21, v9
	v_mul_f32_e32 v7, s43, v8
	v_cndmask_b32_e64 v7, 0, v7, s[0:1]
	v_fmac_f32_e32 v7, s31, v6
	v_cndmask_b32_e32 v6, 0, v7, vcc
	ds_write_b32 v35, v6
	v_max_f32_e32 v6, v32, v32
	v_max_f32_e32 v6, v6, v7
	v_cndmask_b32_e32 v32, v32, v6, vcc
	s_branch .LBB94_11
.LBB94_18:
	s_or_b64 exec, exec, s[36:37]
.LBB94_19:
	s_or_b64 exec, exec, s[34:35]
	v_mbcnt_hi_u32_b32 v8, -1, v29
	v_and_b32_e32 v2, 64, v8
	v_add_u32_e32 v10, 64, v2
	v_xor_b32_e32 v2, 32, v8
	v_cmp_lt_i32_e32 vcc, v2, v10
	v_xor_b32_e32 v5, 16, v8
	v_max_f32_e32 v4, v32, v32
	v_cndmask_b32_e32 v2, v8, v2, vcc
	v_lshlrev_b32_e32 v2, 2, v2
	ds_bpermute_b32 v3, v2, v32
	v_cmp_lt_i32_e32 vcc, v5, v10
	v_xor_b32_e32 v6, 8, v8
	s_waitcnt lgkmcnt(1)
	v_xor_b32_e32 v7, 4, v8
	v_xor_b32_e32 v9, 2, v8
	s_waitcnt lgkmcnt(0)
	v_max_f32_e32 v3, v3, v3
	v_max_f32_e32 v4, v4, v3
	v_cndmask_b32_e32 v3, v8, v5, vcc
	v_lshlrev_b32_e32 v3, 2, v3
	ds_bpermute_b32 v5, v3, v4
	v_cmp_lt_i32_e32 vcc, v6, v10
	v_and_b32_e32 v29, 63, v0
	s_waitcnt lgkmcnt(0)
	v_max_f32_e32 v5, v5, v5
	v_max_f32_e32 v5, v4, v5
	v_cndmask_b32_e32 v4, v8, v6, vcc
	v_lshlrev_b32_e32 v4, 2, v4
	ds_bpermute_b32 v6, v4, v5
	v_cmp_lt_i32_e32 vcc, v7, v10
	s_waitcnt lgkmcnt(0)
	v_max_f32_e32 v6, v6, v6
	v_max_f32_e32 v6, v5, v6
	v_cndmask_b32_e32 v5, v8, v7, vcc
	v_lshlrev_b32_e32 v5, 2, v5
	ds_bpermute_b32 v7, v5, v6
	v_cmp_lt_i32_e32 vcc, v9, v10
	s_waitcnt lgkmcnt(0)
	v_max_f32_e32 v7, v7, v7
	v_max_f32_e32 v7, v6, v7
	v_cndmask_b32_e32 v6, v8, v9, vcc
	v_lshlrev_b32_e32 v9, 2, v6
	ds_bpermute_b32 v11, v9, v7
	v_cmp_eq_u32_e32 vcc, 0, v29
	v_lshlrev_b32_e32 v6, 2, v1
	s_and_saveexec_b64 s[0:1], vcc
	s_cbranch_execz .LBB94_21
; %bb.20:
	s_waitcnt lgkmcnt(0)
	v_max_f32_e32 v11, v11, v11
	v_max_f32_e32 v7, v7, v7
	;; [unrolled: 1-line block ×3, first 2 shown]
	ds_write_b32 v6, v7 offset:224
.LBB94_21:
	s_or_b64 exec, exec, s[0:1]
	v_cmp_gt_u32_e64 s[0:1], 2, v29
	s_waitcnt lgkmcnt(0)
	v_mov_b32_e32 v11, 0xff7fffff
	v_lshlrev_b32_e32 v7, 2, v29
	s_barrier
	s_and_saveexec_b64 s[2:3], s[0:1]
	s_cbranch_execz .LBB94_23
; %bb.22:
	ds_read_b32 v11, v7 offset:224
.LBB94_23:
	s_or_b64 exec, exec, s[2:3]
	v_xor_b32_e32 v12, 1, v8
	v_cmp_lt_i32_e64 s[2:3], v12, v10
	s_nop 1
	v_cndmask_b32_e64 v10, v8, v12, s[2:3]
	v_lshlrev_b32_e32 v30, 2, v10
	s_waitcnt lgkmcnt(0)
	ds_bpermute_b32 v10, v30, v11
	v_max_f32_e32 v11, v11, v11
	v_lshlrev_b32_e32 v8, 2, v8
	v_and_b32_e32 v8, 0x100, v8
	s_lshl_b32 s2, s42, 5
	s_waitcnt lgkmcnt(0)
	v_max_f32_e32 v10, v10, v10
	v_max_f32_e32 v10, v11, v10
	ds_bpermute_b32 v11, v8, v10
	s_min_i32 s15, s2, s21
	v_cmp_gt_i32_e64 s[2:3], s15, v0
	v_mov_b32_e32 v10, 0
	s_and_saveexec_b64 s[30:31], s[2:3]
	s_cbranch_execz .LBB94_27
; %bb.24:
	v_mov_b32_e32 v10, 0xf0
	v_lshl_add_u32 v12, v0, 2, v10
	s_mov_b64 s[34:35], 0
	v_mov_b32_e32 v10, 0
	v_mov_b32_e32 v13, v0
.LBB94_25:                              ; =>This Inner Loop Header: Depth=1
	ds_read_b32 v14, v12
	v_add_u32_e32 v13, 0x80, v13
	v_cmp_le_i32_e64 s[8:9], s15, v13
	s_or_b64 s[34:35], s[8:9], s[34:35]
	s_waitcnt lgkmcnt(0)
	v_sub_f32_e32 v14, v14, v11
	v_mul_f32_e32 v14, 0x3fb8aa3b, v14
	v_exp_f32_e32 v14, v14
	ds_write_b32 v12, v14
	v_add_f32_e32 v10, v10, v14
	v_add_u32_e32 v12, 0x200, v12
	s_andn2_b64 exec, exec, s[34:35]
	s_cbranch_execnz .LBB94_25
; %bb.26:
	s_or_b64 exec, exec, s[34:35]
.LBB94_27:
	s_or_b64 exec, exec, s[30:31]
	ds_bpermute_b32 v2, v2, v10
	s_waitcnt lgkmcnt(0)
	v_add_f32_e32 v2, v10, v2
	ds_bpermute_b32 v3, v3, v2
	s_waitcnt lgkmcnt(0)
	v_add_f32_e32 v2, v2, v3
	;; [unrolled: 3-line block ×6, first 2 shown]
	s_and_saveexec_b64 s[8:9], vcc
	s_cbranch_execz .LBB94_29
; %bb.28:
	ds_write_b32 v6, v2 offset:232
.LBB94_29:
	s_or_b64 exec, exec, s[8:9]
	s_waitcnt lgkmcnt(0)
	s_barrier
	s_and_saveexec_b64 s[8:9], s[0:1]
	s_cbranch_execz .LBB94_31
; %bb.30:
	ds_read_b32 v2, v7 offset:232
.LBB94_31:
	s_or_b64 exec, exec, s[8:9]
	s_waitcnt lgkmcnt(0)
	ds_bpermute_b32 v3, v30, v2
	s_waitcnt lgkmcnt(0)
	v_add_f32_e32 v2, v2, v3
	ds_bpermute_b32 v2, v8, v2
	s_and_saveexec_b64 s[0:1], s[2:3]
	s_cbranch_execz .LBB94_44
; %bb.32:
	s_waitcnt lgkmcnt(0)
	v_add_f32_e32 v2, 0x358637bd, v2
	v_div_scale_f32 v3, s[2:3], v2, v2, 1.0
	v_rcp_f32_e32 v4, v3
	v_div_scale_f32 v5, vcc, 1.0, v2, 1.0
	s_movk_i32 s2, 0x7f
	v_fma_f32 v6, -v3, v4, 1.0
	v_fmac_f32_e32 v4, v6, v4
	v_mul_f32_e32 v6, v5, v4
	v_fma_f32 v7, -v3, v6, v5
	v_fmac_f32_e32 v6, v7, v4
	v_fma_f32 v3, -v3, v6, v5
	v_div_fmas_f32 v3, v3, v4, v6
	v_xad_u32 v4, v0, -1, s15
	v_div_fixup_f32 v2, v3, v2, 1.0
	v_cmp_lt_u32_e32 vcc, s2, v4
	s_mov_b64 s[8:9], -1
	v_mov_b32_e32 v3, v0
	s_and_saveexec_b64 s[2:3], vcc
	s_cbranch_execz .LBB94_41
; %bb.33:
	v_lshrrev_b32_e32 v4, 7, v4
	v_add_u32_e32 v6, -1, v4
	v_lshrrev_b32_e32 v5, 1, v6
	v_mov_b32_e32 v3, v2
	v_add_u32_e32 v5, 1, v5
	v_cmp_lt_u32_e32 vcc, 13, v6
	v_mov_b32_e32 v8, 0
	s_and_saveexec_b64 s[8:9], vcc
	s_cbranch_execz .LBB94_37
; %bb.34:
	v_mov_b32_e32 v7, 0xf0
	v_and_b32_e32 v6, -8, v5
	v_lshl_add_u32 v7, v0, 2, v7
	s_mov_b32 s16, 0
	s_mov_b64 s[30:31], 0
.LBB94_35:                              ; =>This Inner Loop Header: Depth=1
	ds_read2st64_b32 v[10:11], v7 offset1:2
	ds_read2st64_b32 v[12:13], v7 offset0:4 offset1:6
	ds_read2st64_b32 v[14:15], v7 offset0:8 offset1:10
	;; [unrolled: 1-line block ×3, first 2 shown]
	v_add_u32_e32 v6, -8, v6
	s_waitcnt lgkmcnt(3)
	v_pk_mul_f32 v[10:11], v[2:3], v[10:11]
	s_waitcnt lgkmcnt(2)
	v_pk_mul_f32 v[12:13], v[2:3], v[12:13]
	ds_write2st64_b32 v7, v10, v11 offset1:2
	ds_write2st64_b32 v7, v12, v13 offset0:4 offset1:6
	ds_read2st64_b32 v[12:13], v7 offset0:16 offset1:18
	s_waitcnt lgkmcnt(4)
	v_pk_mul_f32 v[10:11], v[2:3], v[14:15]
	ds_write2st64_b32 v7, v10, v11 offset0:8 offset1:10
	s_waitcnt lgkmcnt(4)
	v_pk_mul_f32 v[10:11], v[2:3], v[16:17]
	ds_write2st64_b32 v7, v10, v11 offset0:12 offset1:14
	ds_read2st64_b32 v[10:11], v7 offset0:20 offset1:22
	s_waitcnt lgkmcnt(3)
	v_pk_mul_f32 v[12:13], v[2:3], v[12:13]
	ds_read2st64_b32 v[14:15], v7 offset0:24 offset1:26
	ds_write2st64_b32 v7, v12, v13 offset0:16 offset1:18
	ds_read2st64_b32 v[12:13], v7 offset0:28 offset1:30
	s_waitcnt lgkmcnt(3)
	v_pk_mul_f32 v[10:11], v[2:3], v[10:11]
	ds_write2st64_b32 v7, v10, v11 offset0:20 offset1:22
	s_waitcnt lgkmcnt(3)
	v_pk_mul_f32 v[10:11], v[2:3], v[14:15]
	ds_write2st64_b32 v7, v10, v11 offset0:24 offset1:26
	s_waitcnt lgkmcnt(2)
	v_pk_mul_f32 v[10:11], v[2:3], v[12:13]
	s_add_i32 s16, s16, 16
	v_cmp_eq_u32_e32 vcc, 0, v6
	ds_write2st64_b32 v7, v10, v11 offset0:28 offset1:30
	v_add_u32_e32 v7, 0x2000, v7
	s_or_b64 s[30:31], vcc, s[30:31]
	v_mov_b32_e32 v8, s16
	s_andn2_b64 exec, exec, s[30:31]
	s_cbranch_execnz .LBB94_35
; %bb.36:
	s_or_b64 exec, exec, s[30:31]
.LBB94_37:
	s_or_b64 exec, exec, s[8:9]
	v_and_b32_e32 v5, 7, v5
	v_cmp_ne_u32_e32 vcc, 0, v5
	s_and_saveexec_b64 s[8:9], vcc
	s_cbranch_execz .LBB94_40
; %bb.38:
	v_lshlrev_b32_e32 v6, 9, v8
	v_lshlrev_b32_e32 v7, 2, v0
	s_movk_i32 s16, 0xf0
	v_add3_u32 v6, v6, v7, s16
	s_mov_b64 s[30:31], 0
.LBB94_39:                              ; =>This Inner Loop Header: Depth=1
	ds_read2st64_b32 v[10:11], v6 offset1:2
	v_add_u32_e32 v5, -1, v5
	v_cmp_eq_u32_e32 vcc, 0, v5
	s_or_b64 s[30:31], vcc, s[30:31]
	s_waitcnt lgkmcnt(0)
	v_pk_mul_f32 v[10:11], v[2:3], v[10:11]
	ds_write2st64_b32 v6, v10, v11 offset1:2
	v_add_u32_e32 v6, 0x400, v6
	s_andn2_b64 exec, exec, s[30:31]
	s_cbranch_execnz .LBB94_39
.LBB94_40:
	s_or_b64 exec, exec, s[8:9]
	v_add_u32_e32 v4, 1, v4
	v_and_b32_e32 v5, 0x3fffffe, v4
	v_cmp_ne_u32_e32 vcc, v4, v5
	v_lshl_add_u32 v3, v5, 7, v0
	s_orn2_b64 s[8:9], vcc, exec
.LBB94_41:
	s_or_b64 exec, exec, s[2:3]
	s_and_b64 exec, exec, s[8:9]
	s_cbranch_execz .LBB94_44
; %bb.42:
	v_mov_b32_e32 v4, 0xf0
	v_lshl_add_u32 v4, v3, 2, v4
	s_mov_b64 s[2:3], 0
.LBB94_43:                              ; =>This Inner Loop Header: Depth=1
	ds_read_b32 v5, v4
	v_add_u32_e32 v3, 0x80, v3
	v_cmp_le_i32_e32 vcc, s15, v3
	s_or_b64 s[2:3], vcc, s[2:3]
	s_waitcnt lgkmcnt(0)
	v_mul_f32_e32 v5, v2, v5
	ds_write_b32 v4, v5
	v_add_u32_e32 v4, 0x200, v4
	s_andn2_b64 exec, exec, s[2:3]
	s_cbranch_execnz .LBB94_43
.LBB94_44:
	s_or_b64 exec, exec, s[0:1]
	s_mov_b32 s8, 0
	v_mov_b32_e32 v8, 0
	v_and_b32_e32 v31, 3, v0
	v_mov_b32_e32 v7, 0
	v_mov_b32_e32 v6, 0
	;; [unrolled: 1-line block ×5, first 2 shown]
	s_waitcnt lgkmcnt(0)
	v_mov_b32_e32 v2, 0
	s_barrier
	s_and_saveexec_b64 s[2:3], s[6:7]
	s_cbranch_execz .LBB94_64
; %bb.45:
	s_ashr_i32 s15, s14, 31
	s_sub_i32 s30, s12, s17
	s_lshl_b64 s[0:1], s[14:15], 1
	s_add_u32 s6, s28, s0
	s_addc_u32 s7, s29, s1
	s_abs_i32 s18, s18
	v_cvt_f32_u32_e32 v2, s18
	s_sub_i32 s0, 0, s18
	s_add_i32 s15, s42, -1
	v_and_b32_e32 v10, 0x1f8, v26
	v_rcp_iflag_f32_e32 v2, v2
	s_mov_b32 s31, s13
	v_mov_b32_e32 v15, 0
	v_or_b32_e32 v12, 0x800, v10
	v_mul_f32_e32 v2, 0x4f7ffffe, v2
	v_cvt_u32_f32_e32 v2, v2
	v_or_b32_e32 v20, 0xa00, v10
	v_or_b32_e32 v22, 0xc00, v10
	v_and_b32_e32 v14, 60, v27
	v_mul_lo_u32 v3, s0, v2
	v_mul_hi_u32 v3, v2, v3
	v_add_u32_e32 v33, v2, v3
	s_lshl_b64 s[0:1], s[26:27], 2
	v_lshlrev_b32_e32 v2, 5, v31
	s_add_u32 s0, s10, s0
	v_lshl_or_b32 v2, v1, 7, v2
	s_addc_u32 s1, s11, s1
	v_add_u32_e32 v34, 0xf0, v2
	s_mov_b32 s9, s8
	s_mov_b32 s10, s8
	;; [unrolled: 1-line block ×6, first 2 shown]
	v_mov_b32_e32 v2, s8
	v_and_b32_e32 v32, 24, v26
	s_mov_b32 s28, s21
	s_mov_b32 s29, s21
	;; [unrolled: 1-line block ×7, first 2 shown]
	v_lshl_add_u64 v[16:17], s[0:1], 0, v[14:15]
	s_mov_b64 s[16:17], 0
	v_mov_b32_e32 v3, s9
	v_mov_b32_e32 v4, s10
	;; [unrolled: 1-line block ×6, first 2 shown]
	v_lshlrev_b32_e32 v18, 1, v10
	s_mov_b32 s12, 0x5040100
	v_lshlrev_b32_e32 v14, 1, v12
	v_lshlrev_b32_e32 v20, 1, v20
	;; [unrolled: 1-line block ×3, first 2 shown]
	s_branch .LBB94_48
.LBB94_46:                              ;   in Loop: Header=BB94_48 Depth=1
	s_or_b64 exec, exec, s[0:1]
	s_waitcnt vmcnt(0)
	;;#ASMSTART
	v_pk_mul_f16 v10, v45, v10;

	;;#ASMEND
	v_add_f32_e32 v19, v46, v47
	;;#ASMSTART
	v_pk_mul_f16 v11, v44, v11;

	;;#ASMEND
	;;#ASMSTART
	v_pk_mul_f16 v12, v43, v12;

	;;#ASMEND
	;; [unrolled: 4-line block ×3, first 2 shown]
	v_add_f32_e32 v2, v2, v19
	;;#ASMSTART
	v_pk_add_f16 v10, v10, v11;

	;;#ASMEND
	v_add_f32_e32 v19, v48, v49
	;;#ASMSTART
	v_pk_add_f16 v10, v10, v12;

	;;#ASMEND
	v_add_f32_e32 v3, v3, v19
	v_add_f32_e32 v19, v50, v51
	;;#ASMSTART
	v_pk_add_f16 v10, v10, v13;

	;;#ASMEND
	v_add_f32_e32 v4, v4, v19
	v_add_f32_e32 v19, v26, v27
	v_lshrrev_b32_e32 v11, 16, v10
	v_and_b32_e32 v10, 0xffff, v10
	v_add_f32_e32 v5, v5, v19
	v_add_f32_e32 v19, v52, v53
	;;#ASMSTART
	v_cvt_f32_f16 v10, v10;
	;;#ASMEND
	v_add_f32_e32 v6, v6, v19
	v_add_f32_e32 v19, v21, v54
	;;#ASMSTART
	v_cvt_f32_f16 v11, v11;
	;;#ASMEND
	v_add_f32_e32 v7, v7, v19
	v_add_f32_e32 v10, v10, v11
	v_add_f32_e32 v8, v8, v10
.LBB94_47:                              ;   in Loop: Header=BB94_48 Depth=1
	s_or_b64 exec, exec, s[8:9]
	v_add_u32_e32 v1, 2, v1
	v_cmp_le_i32_e32 vcc, s42, v1
	v_lshl_add_u64 v[16:17], v[16:17], 0, 8
	v_add_u32_e32 v28, 64, v28
	s_or_b64 s[16:17], vcc, s[16:17]
	v_add_u32_e32 v34, 0x100, v34
	s_andn2_b64 exec, exec, s[16:17]
	s_cbranch_execz .LBB94_63
.LBB94_48:                              ; =>This Inner Loop Header: Depth=1
	v_mul_hi_u32 v10, v28, s33
	v_mul_lo_u32 v11, v10, s23
	v_sub_u32_e32 v11, v28, v11
	v_add_u32_e32 v12, 1, v10
	v_cmp_le_u32_e32 vcc, s23, v11
	s_nop 1
	v_cndmask_b32_e32 v10, v10, v12, vcc
	v_subrev_u32_e32 v12, s23, v11
	v_cndmask_b32_e32 v11, v11, v12, vcc
	v_add_u32_e32 v12, 1, v10
	v_cmp_le_u32_e32 vcc, s23, v11
	s_nop 1
	v_cndmask_b32_e32 v10, v10, v12, vcc
	v_xor_b32_e32 v10, s41, v10
	v_subrev_u32_e32 v10, s41, v10
	v_add_u32_e32 v11, s40, v10
	v_sub_u32_e32 v13, 0, v11
	v_ashrrev_i32_e32 v12, 31, v11
	v_max_i32_e32 v11, v11, v13
	v_mul_hi_u32 v13, v11, v33
	v_mul_lo_u32 v13, v13, s18
	v_sub_u32_e32 v11, v11, v13
	v_subrev_u32_e32 v13, s18, v11
	v_cmp_le_u32_e32 vcc, s18, v11
	v_cmp_lt_i32_e64 s[0:1], s30, v10
	s_nop 0
	v_cndmask_b32_e32 v11, v11, v13, vcc
	v_subrev_u32_e32 v13, s18, v11
	v_cmp_le_u32_e32 vcc, s18, v11
	s_nop 1
	v_cndmask_b32_e32 v11, v11, v13, vcc
	v_xor_b32_e32 v11, v11, v12
	v_sub_u32_e32 v11, v11, v12
	v_cmp_eq_u32_e32 vcc, 0, v11
	s_or_b64 s[0:1], vcc, s[0:1]
	s_and_saveexec_b64 s[8:9], s[0:1]
	s_cbranch_execz .LBB94_47
; %bb.49:                               ;   in Loop: Header=BB94_48 Depth=1
	global_load_dword v19, v[16:17], off
	ds_read2_b64 v[10:13], v34 offset1:1
	ds_read2_b64 v[24:27], v34 offset0:2 offset1:3
	v_cmp_eq_u32_e32 vcc, s15, v1
	s_waitcnt lgkmcnt(1)
	;;#ASMSTART
	v_cvt_f16_f32 v21, v10;

	;;#ASMEND
	;;#ASMSTART
	v_cvt_f16_f32 v23, v11;

	;;#ASMEND
	;; [unrolled: 4-line block ×4, first 2 shown]
	s_waitcnt lgkmcnt(0)
	;;#ASMSTART
	v_cvt_f16_f32 v46, v24;

	;;#ASMEND
	;;#ASMSTART
	v_cvt_f16_f32 v47, v25;

	;;#ASMEND
	;; [unrolled: 4-line block ×4, first 2 shown]
	s_waitcnt vmcnt(0)
	v_mad_i64_i32 v[10:11], s[0:1], v19, s31, 0
	v_lshl_add_u64 v[24:25], v[10:11], 1, s[6:7]
	v_mov_b32_e32 v19, v15
	v_lshl_add_u64 v[26:27], v[24:25], 0, v[18:19]
	global_load_dwordx4 v[10:13], v[26:27], off
	v_add_u32_e32 v19, v32, v28
	v_add_u32_e32 v35, 1, v19
	v_or_b32_e32 v37, 3, v19
	v_or_b32_e32 v36, 2, v19
	;; [unrolled: 1-line block ×6, first 2 shown]
	s_and_saveexec_b64 s[10:11], vcc
	s_cbranch_execz .LBB94_51
; %bb.50:                               ;   in Loop: Header=BB94_48 Depth=1
	s_waitcnt vmcnt(0)
	v_lshrrev_b32_e32 v44, 16, v13
	v_cmp_gt_i32_e64 s[0:1], s38, v41
	s_nop 1
	v_cndmask_b32_e64 v44, 0, v44, s[0:1]
	v_cmp_gt_i32_e64 s[0:1], s37, v40
	s_nop 1
	v_cndmask_b32_e64 v13, 0, v13, s[0:1]
	v_perm_b32 v13, v44, v13, s12
	v_lshrrev_b32_e32 v44, 16, v12
	v_cmp_gt_i32_e64 s[0:1], s36, v39
	s_nop 1
	v_cndmask_b32_e64 v44, 0, v44, s[0:1]
	v_cmp_gt_i32_e64 s[0:1], s35, v38
	s_nop 1
	v_cndmask_b32_e64 v12, 0, v12, s[0:1]
	v_perm_b32 v12, v44, v12, s12
	;; [unrolled: 8-line block ×4, first 2 shown]
.LBB94_51:                              ;   in Loop: Header=BB94_48 Depth=1
	s_or_b64 exec, exec, s[10:11]
	v_and_b32_e32 v21, 0xffff, v21
	v_lshl_or_b32 v45, v23, 16, v21
	v_and_b32_e32 v21, 0xffff, v42
	v_lshl_or_b32 v44, v43, 16, v21
	;; [unrolled: 2-line block ×3, first 2 shown]
	v_and_b32_e32 v21, 0xffff, v48
	s_waitcnt vmcnt(0)
	;;#ASMSTART
	v_pk_mul_f16 v10, v45, v10;

	;;#ASMEND
	v_lshl_or_b32 v42, v49, 16, v21
	;;#ASMSTART
	v_pk_mul_f16 v11, v44, v11;

	;;#ASMEND
	;;#ASMSTART
	v_pk_mul_f16 v12, v43, v12;

	;;#ASMEND
	;; [unrolled: 4-line block ×3, first 2 shown]
	s_nop 0
	;;#ASMSTART
	v_pk_add_f16 v10, v10, v11;

	;;#ASMEND
	s_nop 0
	;;#ASMSTART
	v_pk_add_f16 v10, v10, v12;

	;;#ASMEND
	;; [unrolled: 5-line block ×3, first 2 shown]
	s_nop 0
	v_lshrrev_b32_e32 v11, 16, v10
	v_and_b32_e32 v10, 0xffff, v10
	;;#ASMSTART
	v_cvt_f32_f16 v46, v10;
	;;#ASMEND
	;;#ASMSTART
	v_cvt_f32_f16 v47, v11;
	;;#ASMEND
	global_load_dwordx4 v[10:13], v[26:27], off offset:1024
	s_and_saveexec_b64 s[10:11], vcc
	s_cbranch_execz .LBB94_53
; %bb.52:                               ;   in Loop: Header=BB94_48 Depth=1
	s_waitcnt vmcnt(0)
	v_lshrrev_b32_e32 v21, 16, v13
	v_cmp_gt_i32_e64 s[0:1], s38, v41
	s_nop 1
	v_cndmask_b32_e64 v21, 0, v21, s[0:1]
	v_cmp_gt_i32_e64 s[0:1], s37, v40
	s_nop 1
	v_cndmask_b32_e64 v13, 0, v13, s[0:1]
	v_perm_b32 v13, v21, v13, s12
	v_lshrrev_b32_e32 v21, 16, v12
	v_cmp_gt_i32_e64 s[0:1], s36, v39
	s_nop 1
	v_cndmask_b32_e64 v21, 0, v21, s[0:1]
	v_cmp_gt_i32_e64 s[0:1], s35, v38
	s_nop 1
	v_cndmask_b32_e64 v12, 0, v12, s[0:1]
	v_perm_b32 v12, v21, v12, s12
	;; [unrolled: 8-line block ×4, first 2 shown]
.LBB94_53:                              ;   in Loop: Header=BB94_48 Depth=1
	s_or_b64 exec, exec, s[10:11]
	s_waitcnt vmcnt(0)
	;;#ASMSTART
	v_pk_mul_f16 v10, v45, v10;

	;;#ASMEND
	;;#ASMSTART
	v_pk_mul_f16 v11, v44, v11;

	;;#ASMEND
	;; [unrolled: 4-line block ×4, first 2 shown]
	s_nop 0
	;;#ASMSTART
	v_pk_add_f16 v10, v10, v11;

	;;#ASMEND
	s_nop 0
	;;#ASMSTART
	v_pk_add_f16 v10, v10, v12;

	;;#ASMEND
	;; [unrolled: 5-line block ×3, first 2 shown]
	s_nop 0
	v_lshrrev_b32_e32 v11, 16, v10
	v_and_b32_e32 v10, 0xffff, v10
	;;#ASMSTART
	v_cvt_f32_f16 v48, v10;
	;;#ASMEND
	;;#ASMSTART
	v_cvt_f32_f16 v49, v11;
	;;#ASMEND
	global_load_dwordx4 v[10:13], v[26:27], off offset:2048
	s_and_saveexec_b64 s[10:11], vcc
	s_cbranch_execz .LBB94_55
; %bb.54:                               ;   in Loop: Header=BB94_48 Depth=1
	s_waitcnt vmcnt(0)
	v_lshrrev_b32_e32 v21, 16, v13
	v_cmp_gt_i32_e64 s[0:1], s38, v41
	s_nop 1
	v_cndmask_b32_e64 v21, 0, v21, s[0:1]
	v_cmp_gt_i32_e64 s[0:1], s37, v40
	s_nop 1
	v_cndmask_b32_e64 v13, 0, v13, s[0:1]
	v_perm_b32 v13, v21, v13, s12
	v_lshrrev_b32_e32 v21, 16, v12
	v_cmp_gt_i32_e64 s[0:1], s36, v39
	s_nop 1
	v_cndmask_b32_e64 v21, 0, v21, s[0:1]
	v_cmp_gt_i32_e64 s[0:1], s35, v38
	s_nop 1
	v_cndmask_b32_e64 v12, 0, v12, s[0:1]
	v_perm_b32 v12, v21, v12, s12
	;; [unrolled: 8-line block ×4, first 2 shown]
.LBB94_55:                              ;   in Loop: Header=BB94_48 Depth=1
	s_or_b64 exec, exec, s[10:11]
	s_waitcnt vmcnt(0)
	;;#ASMSTART
	v_pk_mul_f16 v10, v45, v10;

	;;#ASMEND
	;;#ASMSTART
	v_pk_mul_f16 v11, v44, v11;

	;;#ASMEND
	;; [unrolled: 4-line block ×4, first 2 shown]
	s_nop 0
	;;#ASMSTART
	v_pk_add_f16 v10, v10, v11;

	;;#ASMEND
	s_nop 0
	;;#ASMSTART
	v_pk_add_f16 v10, v10, v12;

	;;#ASMEND
	;; [unrolled: 5-line block ×3, first 2 shown]
	s_nop 0
	v_lshrrev_b32_e32 v11, 16, v10
	v_and_b32_e32 v10, 0xffff, v10
	;;#ASMSTART
	v_cvt_f32_f16 v50, v10;
	;;#ASMEND
	;;#ASMSTART
	v_cvt_f32_f16 v51, v11;
	;;#ASMEND
	global_load_dwordx4 v[10:13], v[26:27], off offset:3072
	s_and_saveexec_b64 s[10:11], vcc
	s_cbranch_execz .LBB94_57
; %bb.56:                               ;   in Loop: Header=BB94_48 Depth=1
	s_waitcnt vmcnt(0)
	v_lshrrev_b32_e32 v21, 16, v13
	v_cmp_gt_i32_e64 s[0:1], s38, v41
	s_nop 1
	v_cndmask_b32_e64 v21, 0, v21, s[0:1]
	v_cmp_gt_i32_e64 s[0:1], s37, v40
	s_nop 1
	v_cndmask_b32_e64 v13, 0, v13, s[0:1]
	v_perm_b32 v13, v21, v13, s12
	v_lshrrev_b32_e32 v21, 16, v12
	v_cmp_gt_i32_e64 s[0:1], s36, v39
	s_nop 1
	v_cndmask_b32_e64 v21, 0, v21, s[0:1]
	v_cmp_gt_i32_e64 s[0:1], s35, v38
	s_nop 1
	v_cndmask_b32_e64 v12, 0, v12, s[0:1]
	v_perm_b32 v12, v21, v12, s12
	;; [unrolled: 8-line block ×4, first 2 shown]
.LBB94_57:                              ;   in Loop: Header=BB94_48 Depth=1
	s_or_b64 exec, exec, s[10:11]
	s_waitcnt vmcnt(0)
	;;#ASMSTART
	v_pk_mul_f16 v10, v45, v10;

	;;#ASMEND
	;;#ASMSTART
	v_pk_mul_f16 v11, v44, v11;

	;;#ASMEND
	;; [unrolled: 4-line block ×4, first 2 shown]
	s_nop 0
	;;#ASMSTART
	v_pk_add_f16 v10, v10, v11;

	;;#ASMEND
	s_nop 0
	;;#ASMSTART
	v_pk_add_f16 v10, v10, v12;

	;;#ASMEND
	;; [unrolled: 5-line block ×3, first 2 shown]
	s_nop 0
	v_lshrrev_b32_e32 v11, 16, v10
	v_and_b32_e32 v10, 0xffff, v10
	;;#ASMSTART
	v_cvt_f32_f16 v26, v10;
	;;#ASMEND
	;;#ASMSTART
	v_cvt_f32_f16 v27, v11;
	;;#ASMEND
	v_lshl_add_u64 v[10:11], v[24:25], 0, v[14:15]
	global_load_dwordx4 v[10:13], v[10:11], off
	s_and_saveexec_b64 s[10:11], vcc
	s_cbranch_execz .LBB94_59
; %bb.58:                               ;   in Loop: Header=BB94_48 Depth=1
	s_waitcnt vmcnt(0)
	v_lshrrev_b32_e32 v21, 16, v13
	v_cmp_gt_i32_e64 s[0:1], s38, v41
	s_nop 1
	v_cndmask_b32_e64 v21, 0, v21, s[0:1]
	v_cmp_gt_i32_e64 s[0:1], s37, v40
	s_nop 1
	v_cndmask_b32_e64 v13, 0, v13, s[0:1]
	v_perm_b32 v13, v21, v13, s12
	v_lshrrev_b32_e32 v21, 16, v12
	v_cmp_gt_i32_e64 s[0:1], s36, v39
	s_nop 1
	v_cndmask_b32_e64 v21, 0, v21, s[0:1]
	v_cmp_gt_i32_e64 s[0:1], s35, v38
	s_nop 1
	v_cndmask_b32_e64 v12, 0, v12, s[0:1]
	v_perm_b32 v12, v21, v12, s12
	;; [unrolled: 8-line block ×4, first 2 shown]
.LBB94_59:                              ;   in Loop: Header=BB94_48 Depth=1
	s_or_b64 exec, exec, s[10:11]
	s_waitcnt vmcnt(0)
	;;#ASMSTART
	v_pk_mul_f16 v10, v45, v10;

	;;#ASMEND
	;;#ASMSTART
	v_pk_mul_f16 v11, v44, v11;

	;;#ASMEND
	;; [unrolled: 4-line block ×4, first 2 shown]
	v_mov_b32_e32 v21, v15
	;;#ASMSTART
	v_pk_add_f16 v10, v10, v11;

	;;#ASMEND
	s_nop 0
	;;#ASMSTART
	v_pk_add_f16 v10, v10, v12;

	;;#ASMEND
	s_nop 0
	;; [unrolled: 5-line block ×3, first 2 shown]
	v_lshrrev_b32_e32 v11, 16, v10
	v_and_b32_e32 v10, 0xffff, v10
	;;#ASMSTART
	v_cvt_f32_f16 v52, v10;
	;;#ASMEND
	;;#ASMSTART
	v_cvt_f32_f16 v53, v11;
	;;#ASMEND
	v_lshl_add_u64 v[10:11], v[24:25], 0, v[20:21]
	global_load_dwordx4 v[10:13], v[10:11], off
	s_and_saveexec_b64 s[10:11], vcc
	s_cbranch_execz .LBB94_61
; %bb.60:                               ;   in Loop: Header=BB94_48 Depth=1
	s_waitcnt vmcnt(0)
	v_lshrrev_b32_e32 v21, 16, v13
	v_cmp_gt_i32_e64 s[0:1], s38, v41
	s_nop 1
	v_cndmask_b32_e64 v21, 0, v21, s[0:1]
	v_cmp_gt_i32_e64 s[0:1], s37, v40
	s_nop 1
	v_cndmask_b32_e64 v13, 0, v13, s[0:1]
	v_perm_b32 v13, v21, v13, s12
	v_lshrrev_b32_e32 v21, 16, v12
	v_cmp_gt_i32_e64 s[0:1], s36, v39
	s_nop 1
	v_cndmask_b32_e64 v21, 0, v21, s[0:1]
	v_cmp_gt_i32_e64 s[0:1], s35, v38
	s_nop 1
	v_cndmask_b32_e64 v12, 0, v12, s[0:1]
	v_perm_b32 v12, v21, v12, s12
	;; [unrolled: 8-line block ×4, first 2 shown]
.LBB94_61:                              ;   in Loop: Header=BB94_48 Depth=1
	s_or_b64 exec, exec, s[10:11]
	s_waitcnt vmcnt(0)
	;;#ASMSTART
	v_pk_mul_f16 v10, v45, v10;

	;;#ASMEND
	;;#ASMSTART
	v_pk_mul_f16 v11, v44, v11;

	;;#ASMEND
	;; [unrolled: 4-line block ×4, first 2 shown]
	v_mov_b32_e32 v23, v15
	;;#ASMSTART
	v_pk_add_f16 v10, v10, v11;

	;;#ASMEND
	s_nop 0
	;;#ASMSTART
	v_pk_add_f16 v10, v10, v12;

	;;#ASMEND
	s_nop 0
	;; [unrolled: 5-line block ×3, first 2 shown]
	v_lshrrev_b32_e32 v11, 16, v10
	v_and_b32_e32 v10, 0xffff, v10
	;;#ASMSTART
	v_cvt_f32_f16 v21, v10;
	;;#ASMEND
	;;#ASMSTART
	v_cvt_f32_f16 v54, v11;
	;;#ASMEND
	v_lshl_add_u64 v[10:11], v[24:25], 0, v[22:23]
	global_load_dwordx4 v[10:13], v[10:11], off
	s_and_saveexec_b64 s[0:1], vcc
	s_cbranch_execz .LBB94_46
; %bb.62:                               ;   in Loop: Header=BB94_48 Depth=1
	s_waitcnt vmcnt(0)
	v_lshrrev_b32_e32 v23, 16, v13
	v_cmp_gt_i32_e32 vcc, s38, v41
	s_nop 1
	v_cndmask_b32_e32 v23, 0, v23, vcc
	v_cmp_gt_i32_e32 vcc, s37, v40
	s_nop 1
	v_cndmask_b32_e32 v13, 0, v13, vcc
	v_perm_b32 v13, v23, v13, s12
	v_lshrrev_b32_e32 v23, 16, v12
	v_cmp_gt_i32_e32 vcc, s36, v39
	s_nop 1
	v_cndmask_b32_e32 v23, 0, v23, vcc
	v_cmp_gt_i32_e32 vcc, s35, v38
	s_nop 1
	v_cndmask_b32_e32 v12, 0, v12, vcc
	v_perm_b32 v12, v23, v12, s12
	;; [unrolled: 8-line block ×4, first 2 shown]
	s_branch .LBB94_46
.LBB94_63:
	s_or_b64 exec, exec, s[16:17]
.LBB94_64:
	s_or_b64 exec, exec, s[2:3]
	ds_bpermute_b32 v10, v9, v2
	ds_bpermute_b32 v11, v9, v3
	;; [unrolled: 1-line block ×7, first 2 shown]
	s_waitcnt lgkmcnt(5)
	v_pk_add_f32 v[2:3], v[2:3], v[10:11]
	s_waitcnt lgkmcnt(3)
	v_pk_add_f32 v[6:7], v[6:7], v[14:15]
	s_waitcnt lgkmcnt(2)
	v_add_f32_e32 v1, v8, v1
	ds_bpermute_b32 v10, v30, v2
	ds_bpermute_b32 v11, v30, v3
	s_waitcnt lgkmcnt(2)
	v_pk_add_f32 v[4:5], v[4:5], v[12:13]
	ds_bpermute_b32 v14, v30, v6
	ds_bpermute_b32 v15, v30, v7
	;; [unrolled: 1-line block ×5, first 2 shown]
	s_waitcnt lgkmcnt(5)
	v_pk_add_f32 v[8:9], v[2:3], v[10:11]
	s_waitcnt lgkmcnt(3)
	v_pk_add_f32 v[2:3], v[6:7], v[14:15]
	s_waitcnt lgkmcnt(2)
	v_add_f32_e32 v6, v1, v16
	v_and_b32_e32 v1, 0x3c3, v0
	s_waitcnt lgkmcnt(0)
	v_pk_add_f32 v[4:5], v[4:5], v[12:13]
	v_cmp_eq_u32_e32 vcc, 64, v1
	s_barrier
	s_and_saveexec_b64 s[0:1], vcc
	s_cbranch_execz .LBB94_66
; %bb.65:
	v_add_u32_e32 v7, 0xf0, v29
	ds_write2_b32 v7, v8, v9 offset1:16
	ds_write2_b32 v7, v4, v5 offset0:32 offset1:48
	ds_write2_b32 v7, v2, v3 offset0:64 offset1:80
	ds_write_b32 v7, v6 offset:384
.LBB94_66:
	s_or_b64 exec, exec, s[0:1]
	v_cmp_gt_u32_e32 vcc, 64, v0
	s_waitcnt lgkmcnt(0)
	s_barrier
	s_and_saveexec_b64 s[0:1], vcc
	s_cbranch_execz .LBB94_76
; %bb.67:
	v_cmp_eq_u32_e32 vcc, 0, v31
	v_lshrrev_b32_e32 v7, 2, v0
	s_and_saveexec_b64 s[2:3], vcc
	s_cbranch_execnz .LBB94_79
; %bb.68:
	s_or_b64 exec, exec, s[2:3]
	s_and_saveexec_b64 s[2:3], vcc
	s_cbranch_execnz .LBB94_80
.LBB94_69:
	s_or_b64 exec, exec, s[2:3]
	s_and_saveexec_b64 s[2:3], vcc
	s_cbranch_execnz .LBB94_81
.LBB94_70:
	s_or_b64 exec, exec, s[2:3]
	s_and_saveexec_b64 s[2:3], vcc
	s_cbranch_execnz .LBB94_82
.LBB94_71:
	s_or_b64 exec, exec, s[2:3]
	s_and_saveexec_b64 s[2:3], vcc
	s_cbranch_execnz .LBB94_83
.LBB94_72:
	s_or_b64 exec, exec, s[2:3]
	s_and_saveexec_b64 s[2:3], vcc
	s_cbranch_execnz .LBB94_84
.LBB94_73:
	s_or_b64 exec, exec, s[2:3]
	s_and_saveexec_b64 s[2:3], vcc
	s_cbranch_execz .LBB94_75
.LBB94_74:
	v_mov_b32_e32 v10, 0xf0
	v_lshl_add_u32 v7, v7, 2, v10
	ds_read_b32 v7, v7 offset:384
	s_waitcnt lgkmcnt(0)
	v_add_f32_e32 v6, v6, v7
.LBB94_75:
	s_or_b64 exec, exec, s[2:3]
.LBB94_76:
	s_or_b64 exec, exec, s[0:1]
	v_cmp_eq_u32_e32 vcc, 0, v1
	s_barrier
	s_and_saveexec_b64 s[0:1], vcc
	s_cbranch_execz .LBB94_78
; %bb.77:
	s_mul_i32 s0, s20, s19
	s_mul_i32 s0, s0, s5
	s_mulk_i32 s0, 0x70
	s_ashr_i32 s1, s0, 31
	s_lshl_b64 s[0:1], s[0:1], 1
	s_add_u32 s2, s24, s0
	s_mul_i32 s0, s19, s22
	s_addc_u32 s3, s25, s1
	s_ashr_i32 s1, s0, 31
	s_lshl_b64 s[0:1], s[0:1], 1
	s_add_u32 s2, s2, s0
	s_mul_i32 s0, s4, 0x70
	s_addc_u32 s3, s3, s1
	s_ashr_i32 s1, s0, 31
	s_lshl_b64 s[0:1], s[0:1], 1
	s_add_u32 s0, s2, s0
	s_addc_u32 s1, s3, s1
	v_lshrrev_b32_e32 v0, 1, v0
	;;#ASMSTART
	v_cvt_f16_f32 v1, v8;

	;;#ASMEND
	global_store_short v0, v1, s[0:1]
	;;#ASMSTART
	v_cvt_f16_f32 v1, v9;

	;;#ASMEND
	global_store_short v0, v1, s[0:1] offset:32
	;;#ASMSTART
	v_cvt_f16_f32 v1, v4;

	;;#ASMEND
	global_store_short v0, v1, s[0:1] offset:64
	;; [unrolled: 5-line block ×6, first 2 shown]
.LBB94_78:
	s_endpgm
.LBB94_79:
	v_mov_b32_e32 v10, 0xf0
	v_lshl_add_u32 v10, v7, 2, v10
	ds_read_b32 v10, v10
	s_waitcnt lgkmcnt(0)
	v_add_f32_e32 v8, v8, v10
	s_or_b64 exec, exec, s[2:3]
	s_and_saveexec_b64 s[2:3], vcc
	s_cbranch_execz .LBB94_69
.LBB94_80:
	v_mov_b32_e32 v10, 0xf0
	v_lshl_add_u32 v10, v7, 2, v10
	ds_read_b32 v10, v10 offset:64
	s_waitcnt lgkmcnt(0)
	v_add_f32_e32 v9, v9, v10
	s_or_b64 exec, exec, s[2:3]
	s_and_saveexec_b64 s[2:3], vcc
	s_cbranch_execz .LBB94_70
.LBB94_81:
	v_mov_b32_e32 v10, 0xf0
	v_lshl_add_u32 v10, v7, 2, v10
	ds_read_b32 v10, v10 offset:128
	s_waitcnt lgkmcnt(0)
	v_add_f32_e32 v4, v4, v10
	s_or_b64 exec, exec, s[2:3]
	s_and_saveexec_b64 s[2:3], vcc
	s_cbranch_execz .LBB94_71
.LBB94_82:
	v_mov_b32_e32 v10, 0xf0
	v_lshl_add_u32 v10, v7, 2, v10
	ds_read_b32 v10, v10 offset:192
	s_waitcnt lgkmcnt(0)
	v_add_f32_e32 v5, v5, v10
	s_or_b64 exec, exec, s[2:3]
	s_and_saveexec_b64 s[2:3], vcc
	s_cbranch_execz .LBB94_72
.LBB94_83:
	v_mov_b32_e32 v10, 0xf0
	v_lshl_add_u32 v10, v7, 2, v10
	ds_read_b32 v10, v10 offset:256
	s_waitcnt lgkmcnt(0)
	v_add_f32_e32 v2, v2, v10
	s_or_b64 exec, exec, s[2:3]
	s_and_saveexec_b64 s[2:3], vcc
	s_cbranch_execz .LBB94_73
.LBB94_84:
	v_mov_b32_e32 v10, 0xf0
	v_lshl_add_u32 v10, v7, 2, v10
	ds_read_b32 v10, v10 offset:320
	s_waitcnt lgkmcnt(0)
	v_add_f32_e32 v3, v3, v10
	s_or_b64 exec, exec, s[2:3]
	s_and_saveexec_b64 s[2:3], vcc
	s_cbranch_execnz .LBB94_74
	s_branch .LBB94_75
	.section	.rodata,"a",@progbits
	.p2align	6, 0x0
	.amdhsa_kernel _ZN4vllm25paged_attention_v1_kernelIttLi112ELi32ELi128ELNS_18Fp8KVCacheDataTypeE0ELb1EEEvPT_PKS2_PKT0_S8_ifPKiSA_iPKfiiiSC_SC_iiiii
		.amdhsa_group_segment_fixed_size 240
		.amdhsa_private_segment_fixed_size 0
		.amdhsa_kernarg_size 384
		.amdhsa_user_sgpr_count 2
		.amdhsa_user_sgpr_dispatch_ptr 0
		.amdhsa_user_sgpr_queue_ptr 0
		.amdhsa_user_sgpr_kernarg_segment_ptr 1
		.amdhsa_user_sgpr_dispatch_id 0
		.amdhsa_user_sgpr_kernarg_preload_length 0
		.amdhsa_user_sgpr_kernarg_preload_offset 0
		.amdhsa_user_sgpr_private_segment_size 0
		.amdhsa_uses_dynamic_stack 0
		.amdhsa_enable_private_segment 0
		.amdhsa_system_sgpr_workgroup_id_x 1
		.amdhsa_system_sgpr_workgroup_id_y 1
		.amdhsa_system_sgpr_workgroup_id_z 1
		.amdhsa_system_sgpr_workgroup_info 0
		.amdhsa_system_vgpr_workitem_id 0
		.amdhsa_next_free_vgpr 80
		.amdhsa_next_free_sgpr 48
		.amdhsa_accum_offset 80
		.amdhsa_reserve_vcc 1
		.amdhsa_float_round_mode_32 0
		.amdhsa_float_round_mode_16_64 0
		.amdhsa_float_denorm_mode_32 3
		.amdhsa_float_denorm_mode_16_64 3
		.amdhsa_dx10_clamp 1
		.amdhsa_ieee_mode 1
		.amdhsa_fp16_overflow 0
		.amdhsa_tg_split 0
		.amdhsa_exception_fp_ieee_invalid_op 0
		.amdhsa_exception_fp_denorm_src 0
		.amdhsa_exception_fp_ieee_div_zero 0
		.amdhsa_exception_fp_ieee_overflow 0
		.amdhsa_exception_fp_ieee_underflow 0
		.amdhsa_exception_fp_ieee_inexact 0
		.amdhsa_exception_int_div_zero 0
	.end_amdhsa_kernel
	.section	.text._ZN4vllm25paged_attention_v1_kernelIttLi112ELi32ELi128ELNS_18Fp8KVCacheDataTypeE0ELb1EEEvPT_PKS2_PKT0_S8_ifPKiSA_iPKfiiiSC_SC_iiiii,"axG",@progbits,_ZN4vllm25paged_attention_v1_kernelIttLi112ELi32ELi128ELNS_18Fp8KVCacheDataTypeE0ELb1EEEvPT_PKS2_PKT0_S8_ifPKiSA_iPKfiiiSC_SC_iiiii,comdat
.Lfunc_end94:
	.size	_ZN4vllm25paged_attention_v1_kernelIttLi112ELi32ELi128ELNS_18Fp8KVCacheDataTypeE0ELb1EEEvPT_PKS2_PKT0_S8_ifPKiSA_iPKfiiiSC_SC_iiiii, .Lfunc_end94-_ZN4vllm25paged_attention_v1_kernelIttLi112ELi32ELi128ELNS_18Fp8KVCacheDataTypeE0ELb1EEEvPT_PKS2_PKT0_S8_ifPKiSA_iPKfiiiSC_SC_iiiii
                                        ; -- End function
	.section	.AMDGPU.csdata,"",@progbits
; Kernel info:
; codeLenInByte = 8920
; NumSgprs: 54
; NumVgprs: 80
; NumAgprs: 0
; TotalNumVgprs: 80
; ScratchSize: 0
; MemoryBound: 0
; FloatMode: 240
; IeeeMode: 1
; LDSByteSize: 240 bytes/workgroup (compile time only)
; SGPRBlocks: 6
; VGPRBlocks: 9
; NumSGPRsForWavesPerEU: 54
; NumVGPRsForWavesPerEU: 80
; AccumOffset: 80
; Occupancy: 6
; WaveLimiterHint : 1
; COMPUTE_PGM_RSRC2:SCRATCH_EN: 0
; COMPUTE_PGM_RSRC2:USER_SGPR: 2
; COMPUTE_PGM_RSRC2:TRAP_HANDLER: 0
; COMPUTE_PGM_RSRC2:TGID_X_EN: 1
; COMPUTE_PGM_RSRC2:TGID_Y_EN: 1
; COMPUTE_PGM_RSRC2:TGID_Z_EN: 1
; COMPUTE_PGM_RSRC2:TIDIG_COMP_CNT: 0
; COMPUTE_PGM_RSRC3_GFX90A:ACCUM_OFFSET: 19
; COMPUTE_PGM_RSRC3_GFX90A:TG_SPLIT: 0
	.section	.text._ZN4vllm25paged_attention_v1_kernelIttLi120ELi32ELi128ELNS_18Fp8KVCacheDataTypeE0ELb1EEEvPT_PKS2_PKT0_S8_ifPKiSA_iPKfiiiSC_SC_iiiii,"axG",@progbits,_ZN4vllm25paged_attention_v1_kernelIttLi120ELi32ELi128ELNS_18Fp8KVCacheDataTypeE0ELb1EEEvPT_PKS2_PKT0_S8_ifPKiSA_iPKfiiiSC_SC_iiiii,comdat
	.protected	_ZN4vllm25paged_attention_v1_kernelIttLi120ELi32ELi128ELNS_18Fp8KVCacheDataTypeE0ELb1EEEvPT_PKS2_PKT0_S8_ifPKiSA_iPKfiiiSC_SC_iiiii ; -- Begin function _ZN4vllm25paged_attention_v1_kernelIttLi120ELi32ELi128ELNS_18Fp8KVCacheDataTypeE0ELb1EEEvPT_PKS2_PKT0_S8_ifPKiSA_iPKfiiiSC_SC_iiiii
	.globl	_ZN4vllm25paged_attention_v1_kernelIttLi120ELi32ELi128ELNS_18Fp8KVCacheDataTypeE0ELb1EEEvPT_PKS2_PKT0_S8_ifPKiSA_iPKfiiiSC_SC_iiiii
	.p2align	8
	.type	_ZN4vllm25paged_attention_v1_kernelIttLi120ELi32ELi128ELNS_18Fp8KVCacheDataTypeE0ELb1EEEvPT_PKS2_PKT0_S8_ifPKiSA_iPKfiiiSC_SC_iiiii,@function
_ZN4vllm25paged_attention_v1_kernelIttLi120ELi32ELi128ELNS_18Fp8KVCacheDataTypeE0ELb1EEEvPT_PKS2_PKT0_S8_ifPKiSA_iPKfiiiSC_SC_iiiii: ; @_ZN4vllm25paged_attention_v1_kernelIttLi120ELi32ELi128ELNS_18Fp8KVCacheDataTypeE0ELb1EEEvPT_PKS2_PKT0_S8_ifPKiSA_iPKfiiiSC_SC_iiiii
; %bb.0:
	s_load_dword s5, s[0:1], 0x80
	s_load_dwordx2 s[6:7], s[0:1], 0x30
	s_load_dwordx2 s[30:31], s[0:1], 0x20
	s_mov_b32 s20, s3
	s_ashr_i32 s21, s3, 31
	s_lshl_b64 s[8:9], s[20:21], 2
	s_waitcnt lgkmcnt(0)
	s_add_u32 s6, s6, s8
	s_addc_u32 s7, s7, s9
	s_abs_i32 s3, s30
	v_cvt_f32_u32_e32 v1, s3
	s_sub_i32 s10, 0, s3
	s_abs_i32 s9, s5
	s_xor_b32 s8, s5, s30
	v_rcp_iflag_f32_e32 v1, v1
	s_ashr_i32 s8, s8, 31
	s_mov_b32 s43, 0
	v_mul_f32_e32 v1, 0x4f7ffffe, v1
	v_cvt_u32_f32_e32 v1, v1
	s_nop 0
	v_readfirstlane_b32 s11, v1
	s_mul_i32 s10, s10, s11
	s_mul_hi_u32 s10, s11, s10
	s_add_i32 s11, s11, s10
	s_mul_hi_u32 s10, s9, s11
	s_mul_i32 s11, s10, s3
	s_sub_i32 s9, s9, s11
	s_add_i32 s11, s10, 1
	s_sub_i32 s12, s9, s3
	s_cmp_ge_u32 s9, s3
	s_cselect_b32 s10, s11, s10
	s_cselect_b32 s9, s12, s9
	s_add_i32 s11, s10, 1
	s_cmp_ge_u32 s9, s3
	s_cselect_b32 s3, s11, s10
	s_xor_b32 s3, s3, s8
	s_sub_i32 s12, s3, s8
	s_abs_i32 s10, s12
	v_cvt_f32_u32_e32 v1, s10
	s_load_dwordx2 s[8:9], s[0:1], 0x40
	s_sub_i32 s3, 0, s10
	s_abs_i32 s11, s2
	v_rcp_iflag_f32_e32 v1, v1
	s_nop 0
	v_mul_f32_e32 v1, 0x4f7ffffe, v1
	v_cvt_u32_f32_e32 v1, v1
	s_nop 0
	v_readfirstlane_b32 s13, v1
	s_mul_i32 s3, s3, s13
	s_mul_hi_u32 s3, s13, s3
	s_add_i32 s13, s13, s3
	s_waitcnt lgkmcnt(0)
	s_cmp_eq_u64 s[8:9], 0
	s_mul_hi_u32 s24, s11, s13
	s_cbranch_scc1 .LBB95_2
; %bb.1:
	s_ashr_i32 s3, s2, 31
	s_lshl_b64 s[14:15], s[2:3], 2
	s_add_u32 s8, s8, s14
	s_addc_u32 s9, s9, s15
	s_load_dword s43, s[8:9], 0x0
.LBB95_2:
	s_load_dword s21, s[6:7], 0x0
	s_ashr_i32 s9, s12, 31
	s_load_dwordx4 s[12:15], s[0:1], 0x48
	s_ashr_i32 s3, s2, 31
	v_and_b32_e32 v4, 1, v0
	s_movk_i32 s8, 0x78
	s_mul_i32 s22, s2, 0x78
	v_cmp_gt_u32_e32 vcc, 30, v0
	v_lshlrev_b32_e32 v39, 3, v0
	s_and_saveexec_b64 s[6:7], vcc
	s_cbranch_execz .LBB95_4
; %bb.3:
	s_load_dwordx2 s[16:17], s[0:1], 0x8
	s_waitcnt lgkmcnt(0)
	s_mul_i32 s18, s20, s12
	s_ashr_i32 s19, s18, 31
	s_lshl_b64 s[18:19], s[18:19], 1
	v_lshlrev_b32_e32 v1, 2, v0
	s_add_u32 s12, s16, s18
	s_addc_u32 s15, s17, s19
	s_ashr_i32 s23, s22, 31
	s_lshl_b64 s[16:17], s[22:23], 1
	s_add_u32 s16, s12, s16
	s_addc_u32 s17, s15, s17
	global_load_dwordx2 v[2:3], v39, s[16:17]
	v_and_b32_e32 v1, 0xff8, v1
	v_mad_u32_u24 v1, v4, s8, v1
	s_waitcnt vmcnt(0)
	ds_write_b64 v1, v[2:3]
.LBB95_4:
	s_or_b64 exec, exec, s[6:7]
	s_mul_i32 s6, s24, s10
	s_sub_i32 s6, s11, s6
	s_xor_b32 s3, s3, s9
	s_add_i32 s7, s24, 1
	s_sub_i32 s9, s6, s10
	s_load_dwordx4 s[16:19], s[0:1], 0x68
	s_load_dword s8, s[0:1], 0x78
	s_cmp_ge_u32 s6, s10
	s_cselect_b32 s7, s7, s24
	s_cselect_b32 s6, s9, s6
	s_add_i32 s9, s7, 1
	s_cmp_ge_u32 s6, s10
	s_cselect_b32 s6, s9, s7
	s_waitcnt lgkmcnt(0)
	s_abs_i32 s23, s19
	v_cvt_f32_u32_e32 v1, s23
	s_xor_b32 s6, s6, s3
	s_sub_i32 s3, s6, s3
	s_sub_i32 s6, 0, s23
	v_rcp_iflag_f32_e32 v1, v1
	s_add_i32 s15, s21, -1
	s_abs_i32 s9, s15
	v_mul_f32_e32 v1, 0x4f7ffffe, v1
	v_cvt_u32_f32_e32 v1, v1
	s_barrier
	v_readfirstlane_b32 s33, v1
	s_mul_i32 s6, s6, s33
	s_mul_hi_u32 s6, s33, s6
	s_add_i32 s33, s33, s6
	s_cmp_lt_i32 s8, 0
	s_mul_hi_u32 s12, s9, s33
	s_cbranch_scc0 .LBB95_6
; %bb.5:
	s_mul_i32 s6, s16, s30
	s_add_i32 s6, s3, s6
	s_mul_i32 s6, s6, s8
	s_sub_i32 s40, 1, s6
	s_mov_b64 s[6:7], 0
	s_branch .LBB95_7
.LBB95_6:
	s_mov_b64 s[6:7], -1
                                        ; implicit-def: $sgpr40
.LBB95_7:
	s_load_dwordx2 s[10:11], s[0:1], 0x28
	s_ashr_i32 s15, s15, 31
	s_andn2_b64 vcc, exec, s[6:7]
	s_ashr_i32 s41, s19, 31
	s_cbranch_vccnz .LBB95_9
; %bb.8:
	s_mul_i32 s6, s5, s16
	s_add_i32 s2, s6, s2
	s_mul_i32 s2, s2, s8
	s_add_i32 s40, s2, 1
.LBB95_9:
	s_load_dword s2, s[0:1], 0x38
	s_load_dwordx2 s[24:25], s[0:1], 0x0
	s_load_dwordx2 s[28:29], s[0:1], 0x18
	s_load_dword s19, s[0:1], 0x88
	s_xor_b32 s6, s15, s41
	s_waitcnt lgkmcnt(0)
	s_mul_i32 s26, s20, s2
	s_mul_i32 s2, s12, s23
	s_sub_i32 s2, s9, s2
	s_ashr_i32 s27, s26, 31
	s_add_i32 s7, s12, 1
	s_sub_i32 s8, s2, s23
	s_cmp_ge_u32 s2, s23
	s_cselect_b32 s7, s7, s12
	s_cselect_b32 s2, s8, s2
	s_add_i32 s8, s7, 1
	s_cmp_ge_u32 s2, s23
	s_cselect_b32 s2, s8, s7
	s_xor_b32 s2, s2, s6
	s_sub_i32 s12, s2, s6
	s_add_i32 s2, s21, 31
	s_ashr_i32 s6, s2, 31
	s_lshr_b32 s6, s6, 27
	s_add_i32 s2, s2, s6
	s_ashr_i32 s42, s2, 5
	v_lshrrev_b32_e32 v1, 6, v0
	v_cmp_gt_i32_e64 s[6:7], s42, v1
	v_mov_b32_e32 v44, 0xff7fffff
	s_mul_i32 s14, s3, s14
	v_lshrrev_b32_e32 v40, 4, v0
	v_lshlrev_b32_e32 v38, 5, v1
	v_mbcnt_lo_u32_b32 v41, -1, 0
	s_and_saveexec_b64 s[34:35], s[6:7]
	s_cbranch_execz .LBB95_19
; %bb.10:
	s_load_dwordx2 s[0:1], s[0:1], 0x10
	s_ashr_i32 s15, s14, 31
	s_sub_i32 s16, s12, s17
	s_lshl_b64 s[8:9], s[14:15], 1
	v_bfe_u32 v42, v0, 1, 5
	s_waitcnt lgkmcnt(0)
	s_add_u32 s0, s0, s8
	s_addc_u32 s1, s1, s9
	s_abs_i32 s15, s18
	v_cvt_f32_u32_e32 v2, s15
	s_sub_i32 s8, 0, s15
	v_cmp_eq_u32_e64 s[2:3], 0, v4
	v_lshlrev_b32_e32 v6, 4, v42
	v_rcp_iflag_f32_e32 v5, v2
	v_mov_b32_e32 v7, 0
	v_mul_u32_u24_e32 v43, 0x78, v4
	v_lshl_add_u64 v[2:3], s[0:1], 0, v[6:7]
	v_mul_f32_e32 v5, 0x4f7ffffe, v5
	v_cvt_u32_f32_e32 v5, v5
	v_and_b32_e32 v6, 8, v39
	v_lshl_add_u64 v[2:3], v[2:3], 0, v[6:7]
	v_and_b32_e32 v6, 60, v40
	v_mul_lo_u32 v4, s8, v5
	s_lshl_b64 s[8:9], s[26:27], 2
	s_add_u32 s8, s10, s8
	v_mul_hi_u32 v4, v5, v4
	s_addc_u32 s9, s11, s9
	v_add_u32_e32 v45, v5, v4
	v_lshl_add_u64 v[4:5], s[8:9], 0, v[6:7]
	v_lshlrev_b32_e32 v6, 2, v42
	v_lshl_or_b32 v6, v1, 7, v6
	v_add_u32_e32 v47, 0x100, v6
	v_subrev_u32_e32 v6, s21, v42
	v_mbcnt_hi_u32_b32 v49, -1, v41
	v_add_u32_e32 v48, 1, v6
	v_and_b32_e32 v6, 64, v49
	s_mov_b32 s30, s13
	v_cmp_neq_f32_e64 s[0:1], s43, 0
	v_lshlrev_b32_e32 v46, 5, v1
	s_mov_b64 s[36:37], 0
	s_movk_i32 s44, 0x1000
	v_xor_b32_e32 v50, 1, v49
	v_add_u32_e32 v51, 64, v6
	v_mov_b32_e32 v44, 0xff7fffff
	v_mov_b32_e32 v52, v1
	s_branch .LBB95_13
.LBB95_11:                              ;   in Loop: Header=BB95_13 Depth=1
	s_or_b64 exec, exec, s[38:39]
.LBB95_12:                              ;   in Loop: Header=BB95_13 Depth=1
	s_or_b64 exec, exec, s[8:9]
	v_add_u32_e32 v52, 2, v52
	v_cmp_le_i32_e32 vcc, s42, v52
	v_lshl_add_u64 v[4:5], v[4:5], 0, 8
	v_add_u32_e32 v46, 64, v46
	s_or_b64 s[36:37], vcc, s[36:37]
	v_add_u32_e32 v47, 0x100, v47
	s_andn2_b64 exec, exec, s[36:37]
	s_cbranch_execz .LBB95_18
.LBB95_13:                              ; =>This Inner Loop Header: Depth=1
	v_mul_hi_u32 v6, v46, s33
	s_waitcnt lgkmcnt(0)
	v_mul_lo_u32 v7, v6, s23
	v_sub_u32_e32 v7, v46, v7
	v_add_u32_e32 v8, 1, v6
	v_cmp_le_u32_e32 vcc, s23, v7
	s_nop 1
	v_cndmask_b32_e32 v6, v6, v8, vcc
	v_subrev_u32_e32 v8, s23, v7
	v_cndmask_b32_e32 v7, v7, v8, vcc
	v_add_u32_e32 v8, 1, v6
	v_cmp_le_u32_e32 vcc, s23, v7
	s_nop 1
	v_cndmask_b32_e32 v6, v6, v8, vcc
	v_xor_b32_e32 v6, s41, v6
	v_subrev_u32_e32 v6, s41, v6
	v_add_u32_e32 v7, s40, v6
	v_sub_u32_e32 v9, 0, v7
	v_ashrrev_i32_e32 v8, 31, v7
	v_max_i32_e32 v7, v7, v9
	v_mul_hi_u32 v9, v7, v45
	v_mul_lo_u32 v9, v9, s15
	v_sub_u32_e32 v7, v7, v9
	v_subrev_u32_e32 v9, s15, v7
	v_cmp_le_u32_e32 vcc, s15, v7
	v_cmp_ge_i32_e64 s[8:9], s16, v6
	s_nop 0
	v_cndmask_b32_e32 v7, v7, v9, vcc
	v_subrev_u32_e32 v9, s15, v7
	v_cmp_le_u32_e32 vcc, s15, v7
	s_nop 1
	v_cndmask_b32_e32 v7, v7, v9, vcc
	v_xor_b32_e32 v7, v7, v8
	v_sub_u32_e32 v7, v7, v8
	v_cmp_ne_u32_e32 vcc, 0, v7
	s_and_b64 s[8:9], vcc, s[8:9]
	s_and_b64 s[46:47], s[2:3], s[8:9]
	s_and_saveexec_b64 s[38:39], s[46:47]
	s_cbranch_execz .LBB95_15
; %bb.14:                               ;   in Loop: Header=BB95_13 Depth=1
	v_mov_b32_e32 v6, 0xff7fffff
	ds_write_b32 v47, v6
.LBB95_15:                              ;   in Loop: Header=BB95_13 Depth=1
	s_or_b64 exec, exec, s[38:39]
	s_xor_b64 s[38:39], s[8:9], -1
	s_and_saveexec_b64 s[8:9], s[38:39]
	s_cbranch_execz .LBB95_12
; %bb.16:                               ;   in Loop: Header=BB95_13 Depth=1
	global_load_dword v6, v[4:5], off
	s_waitcnt vmcnt(0)
	v_mad_i64_i32 v[6:7], s[38:39], v6, s30, 0
	v_lshl_add_u64 v[6:7], v[6:7], 1, v[2:3]
	global_load_dwordx2 v[34:35], v[6:7], off
	global_load_dwordx2 v[32:33], v[6:7], off offset:512
	global_load_dwordx2 v[30:31], v[6:7], off offset:1024
	;; [unrolled: 1-line block ×7, first 2 shown]
	v_add_co_u32_e32 v36, vcc, s44, v6
	s_waitcnt vmcnt(6)
	v_lshrrev_b32_e32 v57, 16, v32
	v_addc_co_u32_e32 v37, vcc, 0, v7, vcc
	global_load_dwordx2 v[18:19], v[36:37], off
	ds_read_b64 v[6:7], v43
	v_and_b32_e32 v32, 0xffff, v32
	s_waitcnt vmcnt(1)
	v_lshrrev_b32_e32 v71, 16, v20
	v_and_b32_e32 v72, 0xffff, v20
	v_lshrrev_b32_e32 v73, 16, v21
	s_waitcnt lgkmcnt(0)
	v_lshrrev_b32_e32 v53, 16, v6
	v_and_b32_e32 v54, 0xffff, v6
	v_lshrrev_b32_e32 v55, 16, v7
	v_and_b32_e32 v56, 0xffff, v7
	global_load_dwordx2 v[10:11], v[36:37], off offset:512
	global_load_dwordx2 v[8:9], v[36:37], off offset:1024
	;; [unrolled: 1-line block ×6, first 2 shown]
	;;#ASMSTART
	v_cvt_f32_f16 v36, v54;
	;;#ASMEND
	;;#ASMSTART
	v_cvt_f32_f16 v37, v53;
	;;#ASMEND
	v_lshrrev_b32_e32 v53, 16, v34
	v_and_b32_e32 v34, 0xffff, v34
	v_lshrrev_b32_e32 v54, 16, v35
	v_and_b32_e32 v35, 0xffff, v35
	v_and_b32_e32 v74, 0xffff, v21
	;;#ASMSTART
	v_cvt_f32_f16 v34, v34;
	;;#ASMEND
	;;#ASMSTART
	v_cvt_f32_f16 v53, v53;
	;;#ASMEND
	;; [unrolled: 3-line block ×6, first 2 shown]
	ds_read_b64 v[20:21], v43 offset:8
	v_lshrrev_b32_e32 v58, 16, v33
	v_and_b32_e32 v33, 0xffff, v33
	v_lshrrev_b32_e32 v67, 16, v22
	v_and_b32_e32 v68, 0xffff, v22
	;; [unrolled: 2-line block ×11, first 2 shown]
	v_cmp_lt_i32_e32 vcc, v50, v51
	s_waitcnt vmcnt(6)
	v_lshrrev_b32_e32 v75, 16, v18
	v_and_b32_e32 v76, 0xffff, v18
	v_lshrrev_b32_e32 v77, 16, v19
	v_and_b32_e32 v78, 0xffff, v19
	s_waitcnt lgkmcnt(0)
	v_lshrrev_b32_e32 v18, 16, v20
	v_and_b32_e32 v19, 0xffff, v20
	v_lshrrev_b32_e32 v20, 16, v21
	v_and_b32_e32 v21, 0xffff, v21
	;;#ASMSTART
	v_cvt_f32_f16 v19, v19;
	;;#ASMEND
	;;#ASMSTART
	v_cvt_f32_f16 v79, v18;
	;;#ASMEND
	;; [unrolled: 3-line block ×8, first 2 shown]
	ds_read_b64 v[22:23], v43 offset:16
	v_mul_f32_e32 v18, v19, v18
	v_mul_f32_e32 v19, v79, v32
	;; [unrolled: 1-line block ×4, first 2 shown]
	s_waitcnt lgkmcnt(0)
	v_lshrrev_b32_e32 v32, 16, v22
	v_and_b32_e32 v22, 0xffff, v22
	v_lshrrev_b32_e32 v33, 16, v23
	v_and_b32_e32 v23, 0xffff, v23
	v_fmac_f32_e32 v18, v36, v34
	v_fmac_f32_e32 v19, v37, v53
	;; [unrolled: 1-line block ×3, first 2 shown]
	;;#ASMSTART
	v_cvt_f32_f16 v34, v22;
	;;#ASMEND
	;;#ASMSTART
	v_cvt_f32_f16 v32, v32;
	;;#ASMEND
	;; [unrolled: 3-line block ×8, first 2 shown]
	ds_read_b64 v[22:23], v43 offset:24
	v_fmac_f32_e32 v21, v55, v54
	v_fmac_f32_e32 v18, v34, v30
	;; [unrolled: 1-line block ×4, first 2 shown]
	s_waitcnt lgkmcnt(0)
	v_lshrrev_b32_e32 v30, 16, v22
	v_and_b32_e32 v22, 0xffff, v22
	v_lshrrev_b32_e32 v31, 16, v23
	v_and_b32_e32 v23, 0xffff, v23
	v_fmac_f32_e32 v21, v33, v37
	;;#ASMSTART
	v_cvt_f32_f16 v32, v22;
	;;#ASMEND
	;;#ASMSTART
	v_cvt_f32_f16 v30, v30;
	;;#ASMEND
	;;#ASMSTART
	v_cvt_f32_f16 v28, v28;
	;;#ASMEND
	;;#ASMSTART
	v_cvt_f32_f16 v33, v61;
	;;#ASMEND
	;;#ASMSTART
	v_cvt_f32_f16 v34, v23;
	;;#ASMEND
	;;#ASMSTART
	v_cvt_f32_f16 v31, v31;
	;;#ASMEND
	;;#ASMSTART
	v_cvt_f32_f16 v29, v29;
	;;#ASMEND
	;;#ASMSTART
	v_cvt_f32_f16 v35, v62;
	;;#ASMEND
	ds_read_b64 v[22:23], v43 offset:32
	v_fmac_f32_e32 v18, v32, v28
	v_fmac_f32_e32 v20, v34, v29
	v_fmac_f32_e32 v19, v30, v33
	v_fmac_f32_e32 v21, v31, v35
	s_waitcnt lgkmcnt(0)
	v_lshrrev_b32_e32 v28, 16, v22
	v_and_b32_e32 v22, 0xffff, v22
	v_lshrrev_b32_e32 v29, 16, v23
	v_and_b32_e32 v23, 0xffff, v23
	;;#ASMSTART
	v_cvt_f32_f16 v30, v22;
	;;#ASMEND
	;;#ASMSTART
	v_cvt_f32_f16 v28, v28;
	;;#ASMEND
	;;#ASMSTART
	v_cvt_f32_f16 v26, v26;
	;;#ASMEND
	;;#ASMSTART
	v_cvt_f32_f16 v31, v63;
	;;#ASMEND
	;;#ASMSTART
	v_cvt_f32_f16 v32, v23;
	;;#ASMEND
	;;#ASMSTART
	v_cvt_f32_f16 v29, v29;
	;;#ASMEND
	;;#ASMSTART
	v_cvt_f32_f16 v27, v27;
	;;#ASMEND
	;;#ASMSTART
	v_cvt_f32_f16 v33, v64;
	;;#ASMEND
	ds_read_b64 v[22:23], v43 offset:40
	v_fmac_f32_e32 v18, v30, v26
	v_fmac_f32_e32 v20, v32, v27
	v_fmac_f32_e32 v19, v28, v31
	v_fmac_f32_e32 v21, v29, v33
	s_waitcnt lgkmcnt(0)
	v_lshrrev_b32_e32 v26, 16, v22
	v_and_b32_e32 v22, 0xffff, v22
	v_lshrrev_b32_e32 v27, 16, v23
	v_and_b32_e32 v23, 0xffff, v23
	;; [unrolled: 34-line block ×5, first 2 shown]
	;;#ASMSTART
	v_cvt_f32_f16 v26, v22;
	;;#ASMEND
	;;#ASMSTART
	v_cvt_f32_f16 v24, v24;
	;;#ASMEND
	;; [unrolled: 3-line block ×8, first 2 shown]
	ds_read_b64 v[22:23], v43 offset:72
	v_fmac_f32_e32 v19, v24, v28
	v_fmac_f32_e32 v21, v25, v31
	s_waitcnt vmcnt(5)
	v_lshrrev_b32_e32 v25, 16, v10
	v_and_b32_e32 v10, 0xffff, v10
	s_waitcnt lgkmcnt(0)
	v_lshrrev_b32_e32 v24, 16, v22
	v_and_b32_e32 v22, 0xffff, v22
	v_fmac_f32_e32 v18, v26, v27
	;;#ASMSTART
	v_cvt_f32_f16 v22, v22;
	;;#ASMEND
	;;#ASMSTART
	v_cvt_f32_f16 v24, v24;
	;;#ASMEND
	;;#ASMSTART
	v_cvt_f32_f16 v26, v10;
	;;#ASMEND
	v_lshrrev_b32_e32 v10, 16, v23
	v_and_b32_e32 v23, 0xffff, v23
	;;#ASMSTART
	v_cvt_f32_f16 v25, v25;
	;;#ASMEND
	;;#ASMSTART
	v_cvt_f32_f16 v23, v23;
	;;#ASMEND
	;;#ASMSTART
	v_cvt_f32_f16 v27, v10;
	;;#ASMEND
	v_lshrrev_b32_e32 v10, 16, v11
	v_and_b32_e32 v11, 0xffff, v11
	v_fmac_f32_e32 v20, v29, v30
	;;#ASMSTART
	v_cvt_f32_f16 v28, v11;
	;;#ASMEND
	;;#ASMSTART
	v_cvt_f32_f16 v29, v10;
	;;#ASMEND
	ds_read_b64 v[10:11], v43 offset:80
	v_fmac_f32_e32 v18, v22, v26
	v_fmac_f32_e32 v20, v23, v28
	s_waitcnt vmcnt(4)
	v_lshrrev_b32_e32 v23, 16, v8
	v_and_b32_e32 v8, 0xffff, v8
	s_waitcnt lgkmcnt(0)
	v_lshrrev_b32_e32 v22, 16, v10
	v_and_b32_e32 v10, 0xffff, v10
	v_fmac_f32_e32 v19, v24, v25
	;;#ASMSTART
	v_cvt_f32_f16 v10, v10;
	;;#ASMEND
	;;#ASMSTART
	v_cvt_f32_f16 v22, v22;
	;;#ASMEND
	;;#ASMSTART
	v_cvt_f32_f16 v24, v8;
	;;#ASMEND
	v_lshrrev_b32_e32 v8, 16, v11
	v_and_b32_e32 v11, 0xffff, v11
	;;#ASMSTART
	v_cvt_f32_f16 v23, v23;
	;;#ASMEND
	;;#ASMSTART
	v_cvt_f32_f16 v11, v11;
	;;#ASMEND
	;;#ASMSTART
	v_cvt_f32_f16 v25, v8;
	;;#ASMEND
	v_lshrrev_b32_e32 v8, 16, v9
	v_and_b32_e32 v9, 0xffff, v9
	v_fmac_f32_e32 v21, v27, v29
	;;#ASMSTART
	v_cvt_f32_f16 v26, v9;
	;;#ASMEND
	;;#ASMSTART
	v_cvt_f32_f16 v27, v8;
	;;#ASMEND
	ds_read_b64 v[8:9], v43 offset:88
	v_fmac_f32_e32 v18, v10, v24
	v_fmac_f32_e32 v20, v11, v26
	s_waitcnt vmcnt(3)
	v_lshrrev_b32_e32 v11, 16, v6
	v_and_b32_e32 v6, 0xffff, v6
	s_waitcnt lgkmcnt(0)
	v_lshrrev_b32_e32 v10, 16, v8
	v_and_b32_e32 v8, 0xffff, v8
	v_fmac_f32_e32 v19, v22, v23
	;;#ASMSTART
	v_cvt_f32_f16 v8, v8;
	;;#ASMEND
	;;#ASMSTART
	v_cvt_f32_f16 v10, v10;
	;;#ASMEND
	;;#ASMSTART
	v_cvt_f32_f16 v22, v6;
	;;#ASMEND
	v_lshrrev_b32_e32 v6, 16, v9
	v_and_b32_e32 v9, 0xffff, v9
	;;#ASMSTART
	v_cvt_f32_f16 v11, v11;
	;;#ASMEND
	;;#ASMSTART
	v_cvt_f32_f16 v9, v9;
	;;#ASMEND
	;;#ASMSTART
	v_cvt_f32_f16 v23, v6;
	;;#ASMEND
	v_lshrrev_b32_e32 v6, 16, v7
	v_and_b32_e32 v7, 0xffff, v7
	v_fmac_f32_e32 v21, v25, v27
	;;#ASMSTART
	v_cvt_f32_f16 v24, v7;
	;;#ASMEND
	;;#ASMSTART
	v_cvt_f32_f16 v25, v6;
	;;#ASMEND
	ds_read_b64 v[6:7], v43 offset:96
	v_fmac_f32_e32 v18, v8, v22
	v_fmac_f32_e32 v19, v10, v11
	;; [unrolled: 1-line block ×3, first 2 shown]
	s_waitcnt vmcnt(2)
	v_and_b32_e32 v10, 0xffff, v16
	s_waitcnt lgkmcnt(0)
	v_lshrrev_b32_e32 v8, 16, v6
	v_and_b32_e32 v6, 0xffff, v6
	;;#ASMSTART
	v_cvt_f32_f16 v9, v6;
	;;#ASMEND
	v_lshrrev_b32_e32 v6, 16, v16
	;;#ASMSTART
	v_cvt_f32_f16 v8, v8;
	;;#ASMEND
	;;#ASMSTART
	v_cvt_f32_f16 v10, v10;
	;;#ASMEND
	;; [unrolled: 3-line block ×3, first 2 shown]
	v_lshrrev_b32_e32 v6, 16, v7
	v_and_b32_e32 v7, 0xffff, v7
	;;#ASMSTART
	v_cvt_f32_f16 v16, v7;
	;;#ASMEND
	;;#ASMSTART
	v_cvt_f32_f16 v22, v6;
	;;#ASMEND
	v_lshrrev_b32_e32 v6, 16, v17
	v_and_b32_e32 v7, 0xffff, v17
	v_fmac_f32_e32 v21, v23, v25
	;;#ASMSTART
	v_cvt_f32_f16 v17, v7;
	;;#ASMEND
	;;#ASMSTART
	v_cvt_f32_f16 v23, v6;
	;;#ASMEND
	ds_read_b64 v[6:7], v43 offset:104
	v_fmac_f32_e32 v19, v8, v11
	v_fmac_f32_e32 v18, v9, v10
	s_waitcnt vmcnt(1)
	v_and_b32_e32 v10, 0xffff, v14
	v_fmac_f32_e32 v20, v16, v17
	s_waitcnt lgkmcnt(0)
	v_lshrrev_b32_e32 v8, 16, v6
	v_and_b32_e32 v6, 0xffff, v6
	;;#ASMSTART
	v_cvt_f32_f16 v9, v6;
	;;#ASMEND
	v_lshrrev_b32_e32 v6, 16, v14
	;;#ASMSTART
	v_cvt_f32_f16 v8, v8;
	;;#ASMEND
	;;#ASMSTART
	v_cvt_f32_f16 v10, v10;
	;;#ASMEND
	;; [unrolled: 3-line block ×3, first 2 shown]
	v_lshrrev_b32_e32 v6, 16, v7
	v_and_b32_e32 v7, 0xffff, v7
	;;#ASMSTART
	v_cvt_f32_f16 v14, v7;
	;;#ASMEND
	;;#ASMSTART
	v_cvt_f32_f16 v16, v6;
	;;#ASMEND
	v_lshrrev_b32_e32 v6, 16, v15
	v_and_b32_e32 v7, 0xffff, v15
	;;#ASMSTART
	v_cvt_f32_f16 v15, v7;
	;;#ASMEND
	;;#ASMSTART
	v_cvt_f32_f16 v17, v6;
	;;#ASMEND
	ds_read_b64 v[6:7], v43 offset:112
	v_fmac_f32_e32 v19, v8, v11
	v_fmac_f32_e32 v18, v9, v10
	s_waitcnt vmcnt(0)
	v_lshrrev_b32_e32 v9, 16, v12
	v_and_b32_e32 v10, 0xffff, v12
	s_waitcnt lgkmcnt(0)
	v_lshrrev_b32_e32 v8, 16, v6
	v_and_b32_e32 v6, 0xffff, v6
	;;#ASMSTART
	v_cvt_f32_f16 v6, v6;
	;;#ASMEND
	v_fmac_f32_e32 v21, v22, v23
	;;#ASMSTART
	v_cvt_f32_f16 v8, v8;
	;;#ASMEND
	;;#ASMSTART
	v_cvt_f32_f16 v10, v10;
	;;#ASMEND
	;; [unrolled: 3-line block ×3, first 2 shown]
	v_fmac_f32_e32 v20, v14, v15
	v_fmac_f32_e32 v18, v6, v10
	v_lshrrev_b32_e32 v6, 16, v7
	v_and_b32_e32 v7, 0xffff, v7
	v_fmac_f32_e32 v21, v16, v17
	v_fmac_f32_e32 v19, v8, v9
	;;#ASMSTART
	v_cvt_f32_f16 v7, v7;
	;;#ASMEND
	;;#ASMSTART
	v_cvt_f32_f16 v6, v6;
	;;#ASMEND
	v_lshrrev_b32_e32 v8, 16, v13
	v_and_b32_e32 v9, 0xffff, v13
	;;#ASMSTART
	v_cvt_f32_f16 v9, v9;
	;;#ASMEND
	;;#ASMSTART
	v_cvt_f32_f16 v8, v8;
	;;#ASMEND
	s_nop 0
	v_fmac_f32_e32 v20, v7, v9
	v_fmac_f32_e32 v21, v6, v8
	v_add_f32_e32 v6, v18, v19
	v_add_f32_e32 v6, v6, v20
	v_cndmask_b32_e32 v7, v49, v50, vcc
	v_add_f32_e32 v6, v21, v6
	v_lshlrev_b32_e32 v7, 2, v7
	ds_bpermute_b32 v7, v7, v6
	s_and_saveexec_b64 s[38:39], s[2:3]
	s_cbranch_execz .LBB95_11
; %bb.17:                               ;   in Loop: Header=BB95_13 Depth=1
	v_add_u32_e32 v8, v48, v46
	v_cvt_f32_i32_e32 v8, v8
	s_waitcnt lgkmcnt(0)
	v_add_f32_e32 v6, v6, v7
	v_add_u32_e32 v9, v42, v46
	v_cmp_gt_i32_e32 vcc, s21, v9
	v_mul_f32_e32 v7, s43, v8
	v_cndmask_b32_e64 v7, 0, v7, s[0:1]
	v_fmac_f32_e32 v7, s31, v6
	v_cndmask_b32_e32 v6, 0, v7, vcc
	ds_write_b32 v47, v6
	v_max_f32_e32 v6, v44, v44
	v_max_f32_e32 v6, v6, v7
	v_cndmask_b32_e32 v44, v44, v6, vcc
	s_branch .LBB95_11
.LBB95_18:
	s_or_b64 exec, exec, s[36:37]
.LBB95_19:
	s_or_b64 exec, exec, s[34:35]
	v_mbcnt_hi_u32_b32 v9, -1, v41
	v_and_b32_e32 v2, 64, v9
	v_add_u32_e32 v10, 64, v2
	v_xor_b32_e32 v2, 32, v9
	v_cmp_lt_i32_e32 vcc, v2, v10
	v_xor_b32_e32 v5, 16, v9
	v_max_f32_e32 v4, v44, v44
	v_cndmask_b32_e32 v2, v9, v2, vcc
	v_lshlrev_b32_e32 v2, 2, v2
	ds_bpermute_b32 v3, v2, v44
	v_cmp_lt_i32_e32 vcc, v5, v10
	v_xor_b32_e32 v6, 8, v9
	s_waitcnt lgkmcnt(1)
	v_xor_b32_e32 v7, 4, v9
	v_xor_b32_e32 v11, 2, v9
	s_waitcnt lgkmcnt(0)
	v_max_f32_e32 v3, v3, v3
	v_max_f32_e32 v4, v4, v3
	v_cndmask_b32_e32 v3, v9, v5, vcc
	v_lshlrev_b32_e32 v3, 2, v3
	ds_bpermute_b32 v5, v3, v4
	v_cmp_lt_i32_e32 vcc, v6, v10
	s_waitcnt lgkmcnt(0)
	v_max_f32_e32 v5, v5, v5
	v_max_f32_e32 v4, v4, v5
	v_cndmask_b32_e32 v5, v9, v6, vcc
	v_lshlrev_b32_e32 v5, 2, v5
	ds_bpermute_b32 v6, v5, v4
	v_cmp_lt_i32_e32 vcc, v7, v10
	;; [unrolled: 7-line block ×3, first 2 shown]
	s_waitcnt lgkmcnt(0)
	v_max_f32_e32 v7, v7, v7
	v_max_f32_e32 v8, v4, v7
	v_cndmask_b32_e32 v4, v9, v11, vcc
	v_lshlrev_b32_e32 v30, 2, v4
	ds_bpermute_b32 v11, v30, v8
	v_and_b32_e32 v4, 63, v0
	v_cmp_eq_u32_e32 vcc, 0, v4
	v_lshlrev_b32_e32 v7, 2, v1
	s_and_saveexec_b64 s[0:1], vcc
	s_cbranch_execz .LBB95_21
; %bb.20:
	s_waitcnt lgkmcnt(0)
	v_max_f32_e32 v11, v11, v11
	v_max_f32_e32 v8, v8, v8
	;; [unrolled: 1-line block ×3, first 2 shown]
	ds_write_b32 v7, v8 offset:240
.LBB95_21:
	s_or_b64 exec, exec, s[0:1]
	v_cmp_gt_u32_e64 s[0:1], 2, v4
	s_waitcnt lgkmcnt(0)
	v_mov_b32_e32 v11, 0xff7fffff
	v_lshlrev_b32_e32 v8, 2, v4
	s_barrier
	s_and_saveexec_b64 s[2:3], s[0:1]
	s_cbranch_execz .LBB95_23
; %bb.22:
	ds_read_b32 v11, v8 offset:240
.LBB95_23:
	s_or_b64 exec, exec, s[2:3]
	v_xor_b32_e32 v12, 1, v9
	v_cmp_lt_i32_e64 s[2:3], v12, v10
	s_nop 1
	v_cndmask_b32_e64 v10, v9, v12, s[2:3]
	v_lshlrev_b32_e32 v31, 2, v10
	s_waitcnt lgkmcnt(0)
	ds_bpermute_b32 v10, v31, v11
	v_max_f32_e32 v11, v11, v11
	v_lshlrev_b32_e32 v9, 2, v9
	v_and_b32_e32 v9, 0x100, v9
	s_lshl_b32 s2, s42, 5
	s_waitcnt lgkmcnt(0)
	v_max_f32_e32 v10, v10, v10
	v_max_f32_e32 v10, v11, v10
	ds_bpermute_b32 v11, v9, v10
	s_min_i32 s15, s2, s21
	v_cmp_gt_i32_e64 s[2:3], s15, v0
	v_mov_b32_e32 v10, 0
	s_and_saveexec_b64 s[30:31], s[2:3]
	s_cbranch_execz .LBB95_27
; %bb.24:
	v_mov_b32_e32 v10, 0x100
	v_lshl_add_u32 v12, v0, 2, v10
	s_mov_b64 s[34:35], 0
	v_mov_b32_e32 v10, 0
	v_mov_b32_e32 v13, v0
.LBB95_25:                              ; =>This Inner Loop Header: Depth=1
	ds_read_b32 v14, v12
	v_add_u32_e32 v13, 0x80, v13
	v_cmp_le_i32_e64 s[8:9], s15, v13
	s_or_b64 s[34:35], s[8:9], s[34:35]
	s_waitcnt lgkmcnt(0)
	v_sub_f32_e32 v14, v14, v11
	v_mul_f32_e32 v14, 0x3fb8aa3b, v14
	v_exp_f32_e32 v14, v14
	ds_write_b32 v12, v14
	v_add_f32_e32 v10, v10, v14
	v_add_u32_e32 v12, 0x200, v12
	s_andn2_b64 exec, exec, s[34:35]
	s_cbranch_execnz .LBB95_25
; %bb.26:
	s_or_b64 exec, exec, s[34:35]
.LBB95_27:
	s_or_b64 exec, exec, s[30:31]
	ds_bpermute_b32 v2, v2, v10
	s_waitcnt lgkmcnt(0)
	v_add_f32_e32 v2, v10, v2
	ds_bpermute_b32 v3, v3, v2
	s_waitcnt lgkmcnt(0)
	v_add_f32_e32 v2, v2, v3
	;; [unrolled: 3-line block ×6, first 2 shown]
	s_and_saveexec_b64 s[8:9], vcc
	s_cbranch_execz .LBB95_29
; %bb.28:
	ds_write_b32 v7, v2 offset:248
.LBB95_29:
	s_or_b64 exec, exec, s[8:9]
	s_waitcnt lgkmcnt(0)
	s_barrier
	s_and_saveexec_b64 s[8:9], s[0:1]
	s_cbranch_execz .LBB95_31
; %bb.30:
	ds_read_b32 v2, v8 offset:248
.LBB95_31:
	s_or_b64 exec, exec, s[8:9]
	s_waitcnt lgkmcnt(0)
	ds_bpermute_b32 v3, v31, v2
	s_waitcnt lgkmcnt(0)
	v_add_f32_e32 v2, v2, v3
	ds_bpermute_b32 v2, v9, v2
	s_and_saveexec_b64 s[0:1], s[2:3]
	s_cbranch_execz .LBB95_44
; %bb.32:
	s_waitcnt lgkmcnt(0)
	v_add_f32_e32 v2, 0x358637bd, v2
	v_div_scale_f32 v3, s[2:3], v2, v2, 1.0
	v_rcp_f32_e32 v5, v3
	v_div_scale_f32 v6, vcc, 1.0, v2, 1.0
	s_movk_i32 s2, 0x7f
	v_fma_f32 v7, -v3, v5, 1.0
	v_fmac_f32_e32 v5, v7, v5
	v_mul_f32_e32 v7, v6, v5
	v_fma_f32 v8, -v3, v7, v6
	v_fmac_f32_e32 v7, v8, v5
	v_fma_f32 v3, -v3, v7, v6
	v_div_fmas_f32 v3, v3, v5, v7
	v_xad_u32 v5, v0, -1, s15
	v_div_fixup_f32 v2, v3, v2, 1.0
	v_cmp_lt_u32_e32 vcc, s2, v5
	s_mov_b64 s[8:9], -1
	v_mov_b32_e32 v3, v0
	s_and_saveexec_b64 s[2:3], vcc
	s_cbranch_execz .LBB95_41
; %bb.33:
	v_lshrrev_b32_e32 v5, 7, v5
	v_add_u32_e32 v7, -1, v5
	v_lshrrev_b32_e32 v6, 1, v7
	v_mov_b32_e32 v3, v2
	v_add_u32_e32 v6, 1, v6
	v_cmp_lt_u32_e32 vcc, 13, v7
	v_mov_b32_e32 v9, 0
	s_and_saveexec_b64 s[8:9], vcc
	s_cbranch_execz .LBB95_37
; %bb.34:
	v_mov_b32_e32 v8, 0x100
	v_and_b32_e32 v7, -8, v6
	v_lshl_add_u32 v8, v0, 2, v8
	s_mov_b32 s16, 0
	s_mov_b64 s[30:31], 0
.LBB95_35:                              ; =>This Inner Loop Header: Depth=1
	ds_read2st64_b32 v[10:11], v8 offset1:2
	ds_read2st64_b32 v[12:13], v8 offset0:4 offset1:6
	ds_read2st64_b32 v[14:15], v8 offset0:8 offset1:10
	;; [unrolled: 1-line block ×3, first 2 shown]
	v_add_u32_e32 v7, -8, v7
	s_waitcnt lgkmcnt(3)
	v_pk_mul_f32 v[10:11], v[2:3], v[10:11]
	s_waitcnt lgkmcnt(2)
	v_pk_mul_f32 v[12:13], v[2:3], v[12:13]
	ds_write2st64_b32 v8, v10, v11 offset1:2
	ds_write2st64_b32 v8, v12, v13 offset0:4 offset1:6
	ds_read2st64_b32 v[12:13], v8 offset0:16 offset1:18
	s_waitcnt lgkmcnt(4)
	v_pk_mul_f32 v[10:11], v[2:3], v[14:15]
	ds_write2st64_b32 v8, v10, v11 offset0:8 offset1:10
	s_waitcnt lgkmcnt(4)
	v_pk_mul_f32 v[10:11], v[2:3], v[16:17]
	ds_write2st64_b32 v8, v10, v11 offset0:12 offset1:14
	ds_read2st64_b32 v[10:11], v8 offset0:20 offset1:22
	s_waitcnt lgkmcnt(3)
	v_pk_mul_f32 v[12:13], v[2:3], v[12:13]
	ds_read2st64_b32 v[14:15], v8 offset0:24 offset1:26
	ds_write2st64_b32 v8, v12, v13 offset0:16 offset1:18
	ds_read2st64_b32 v[12:13], v8 offset0:28 offset1:30
	s_waitcnt lgkmcnt(3)
	v_pk_mul_f32 v[10:11], v[2:3], v[10:11]
	ds_write2st64_b32 v8, v10, v11 offset0:20 offset1:22
	s_waitcnt lgkmcnt(3)
	v_pk_mul_f32 v[10:11], v[2:3], v[14:15]
	ds_write2st64_b32 v8, v10, v11 offset0:24 offset1:26
	s_waitcnt lgkmcnt(2)
	v_pk_mul_f32 v[10:11], v[2:3], v[12:13]
	s_add_i32 s16, s16, 16
	v_cmp_eq_u32_e32 vcc, 0, v7
	ds_write2st64_b32 v8, v10, v11 offset0:28 offset1:30
	v_add_u32_e32 v8, 0x2000, v8
	s_or_b64 s[30:31], vcc, s[30:31]
	v_mov_b32_e32 v9, s16
	s_andn2_b64 exec, exec, s[30:31]
	s_cbranch_execnz .LBB95_35
; %bb.36:
	s_or_b64 exec, exec, s[30:31]
.LBB95_37:
	s_or_b64 exec, exec, s[8:9]
	v_and_b32_e32 v6, 7, v6
	v_cmp_ne_u32_e32 vcc, 0, v6
	s_and_saveexec_b64 s[8:9], vcc
	s_cbranch_execz .LBB95_40
; %bb.38:
	v_lshlrev_b32_e32 v7, 9, v9
	v_lshlrev_b32_e32 v8, 2, v0
	s_movk_i32 s16, 0x100
	v_add3_u32 v7, v7, v8, s16
	s_mov_b64 s[30:31], 0
.LBB95_39:                              ; =>This Inner Loop Header: Depth=1
	ds_read2st64_b32 v[8:9], v7 offset1:2
	v_add_u32_e32 v6, -1, v6
	v_cmp_eq_u32_e32 vcc, 0, v6
	s_or_b64 s[30:31], vcc, s[30:31]
	s_waitcnt lgkmcnt(0)
	v_pk_mul_f32 v[8:9], v[2:3], v[8:9]
	ds_write2st64_b32 v7, v8, v9 offset1:2
	v_add_u32_e32 v7, 0x400, v7
	s_andn2_b64 exec, exec, s[30:31]
	s_cbranch_execnz .LBB95_39
.LBB95_40:
	s_or_b64 exec, exec, s[8:9]
	v_add_u32_e32 v5, 1, v5
	v_and_b32_e32 v6, 0x3fffffe, v5
	v_cmp_ne_u32_e32 vcc, v5, v6
	v_lshl_add_u32 v3, v6, 7, v0
	s_orn2_b64 s[8:9], vcc, exec
.LBB95_41:
	s_or_b64 exec, exec, s[2:3]
	s_and_b64 exec, exec, s[8:9]
	s_cbranch_execz .LBB95_44
; %bb.42:
	v_mov_b32_e32 v5, 0x100
	v_lshl_add_u32 v5, v3, 2, v5
	s_mov_b64 s[2:3], 0
.LBB95_43:                              ; =>This Inner Loop Header: Depth=1
	ds_read_b32 v6, v5
	v_add_u32_e32 v3, 0x80, v3
	v_cmp_le_i32_e32 vcc, s15, v3
	s_or_b64 s[2:3], vcc, s[2:3]
	s_waitcnt lgkmcnt(0)
	v_mul_f32_e32 v6, v2, v6
	ds_write_b32 v5, v6
	v_add_u32_e32 v5, 0x200, v5
	s_andn2_b64 exec, exec, s[2:3]
	s_cbranch_execnz .LBB95_43
.LBB95_44:
	s_or_b64 exec, exec, s[0:1]
	s_mov_b32 s8, 0
	v_mov_b32_e32 v9, 0
	v_lshrrev_b32_e32 v33, 2, v4
	v_and_b32_e32 v32, 3, v0
	v_mov_b32_e32 v8, 0
	v_mov_b32_e32 v7, 0
	;; [unrolled: 1-line block ×6, first 2 shown]
	s_waitcnt lgkmcnt(0)
	v_mov_b32_e32 v2, 0
	s_barrier
	s_and_saveexec_b64 s[30:31], s[6:7]
	s_cbranch_execz .LBB95_68
; %bb.45:
	s_ashr_i32 s15, s14, 31
	s_sub_i32 s34, s12, s17
	s_lshl_b64 s[0:1], s[14:15], 1
	s_add_u32 s6, s28, s0
	s_addc_u32 s7, s29, s1
	s_abs_i32 s18, s18
	v_cvt_f32_u32_e32 v3, s18
	v_and_b32_e32 v34, 24, v39
	v_or_b32_e32 v2, 0x70, v33
	s_movk_i32 s0, 0x78
	v_cmp_gt_u32_e32 vcc, s0, v2
	v_lshl_or_b32 v24, v2, 5, v34
	v_rcp_iflag_f32_e32 v2, v3
	s_sub_i32 s0, 0, s18
	s_add_i32 s28, s42, -1
	v_lshl_or_b32 v10, v33, 5, v34
	v_mul_f32_e32 v2, 0x4f7ffffe, v2
	v_cvt_u32_f32_e32 v2, v2
	s_mov_b32 s9, s8
	s_mov_b32 s35, s13
	v_mov_b32_e32 v15, 0
	v_mul_lo_u32 v3, s0, v2
	v_mul_hi_u32 v3, v2, v3
	v_add_u32_e32 v35, v2, v3
	s_lshl_b64 s[0:1], s[26:27], 2
	v_lshlrev_b32_e32 v2, 5, v32
	s_add_u32 s0, s10, s0
	v_lshl_or_b32 v2, v1, 7, v2
	v_or_b32_e32 v12, 0x800, v10
	v_or_b32_e32 v20, 0xa00, v10
	;; [unrolled: 1-line block ×3, first 2 shown]
	v_and_b32_e32 v14, 60, v40
	s_addc_u32 s1, s11, s1
	v_add_u32_e32 v36, 0x100, v2
	s_mov_b32 s10, s8
	s_mov_b32 s11, s8
	;; [unrolled: 1-line block ×6, first 2 shown]
	v_mov_b64_e32 v[2:3], s[8:9]
	s_mov_b32 s29, s21
	s_mov_b32 s36, s21
	;; [unrolled: 1-line block ×7, first 2 shown]
	v_lshl_add_u64 v[16:17], s[0:1], 0, v[14:15]
	s_mov_b64 s[16:17], 0
	v_mov_b64_e32 v[4:5], s[10:11]
	v_mov_b64_e32 v[6:7], s[12:13]
	;; [unrolled: 1-line block ×3, first 2 shown]
	v_lshlrev_b32_e32 v18, 1, v10
	s_mov_b32 s12, 0x5040100
	v_lshlrev_b32_e32 v14, 1, v12
	v_lshlrev_b32_e32 v20, 1, v20
	;; [unrolled: 1-line block ×4, first 2 shown]
	s_branch .LBB95_49
.LBB95_46:                              ;   in Loop: Header=BB95_49 Depth=1
	s_or_b64 exec, exec, s[10:11]
	s_waitcnt vmcnt(0)
	;;#ASMSTART
	v_pk_mul_f16 v10, v41, v10;

	;;#ASMEND
	;;#ASMSTART
	v_pk_mul_f16 v11, v40, v11;

	;;#ASMEND
	;;#ASMSTART
	v_pk_mul_f16 v12, v39, v12;

	;;#ASMEND
	;;#ASMSTART
	v_pk_mul_f16 v13, v37, v13;

	;;#ASMEND
	s_nop 0
	;;#ASMSTART
	v_pk_add_f16 v10, v10, v11;

	;;#ASMEND
	s_nop 0
	;;#ASMSTART
	v_pk_add_f16 v10, v10, v12;

	;;#ASMEND
	s_nop 0
	;;#ASMSTART
	v_pk_add_f16 v10, v10, v13;

	;;#ASMEND
	s_nop 0
	v_lshrrev_b32_e32 v11, 16, v10
	v_and_b32_e32 v10, 0xffff, v10
	;;#ASMSTART
	v_cvt_f32_f16 v10, v10;
	;;#ASMEND
	;;#ASMSTART
	v_cvt_f32_f16 v11, v11;
	;;#ASMEND
	s_nop 0
	v_add_f32_e32 v10, v10, v11
	v_add_f32_e32 v9, v9, v10
.LBB95_47:                              ;   in Loop: Header=BB95_49 Depth=1
	s_or_b64 exec, exec, s[2:3]
.LBB95_48:                              ;   in Loop: Header=BB95_49 Depth=1
	s_or_b64 exec, exec, s[8:9]
	v_add_u32_e32 v1, 2, v1
	v_cmp_le_i32_e64 s[0:1], s42, v1
	v_lshl_add_u64 v[16:17], v[16:17], 0, 8
	v_add_u32_e32 v38, 64, v38
	s_or_b64 s[16:17], s[0:1], s[16:17]
	v_add_u32_e32 v36, 0x100, v36
	s_andn2_b64 exec, exec, s[16:17]
	s_cbranch_execz .LBB95_67
.LBB95_49:                              ; =>This Inner Loop Header: Depth=1
	v_mul_hi_u32 v10, v38, s33
	v_mul_lo_u32 v11, v10, s23
	v_sub_u32_e32 v11, v38, v11
	v_add_u32_e32 v12, 1, v10
	v_cmp_le_u32_e64 s[0:1], s23, v11
	s_nop 1
	v_cndmask_b32_e64 v10, v10, v12, s[0:1]
	v_subrev_u32_e32 v12, s23, v11
	v_cndmask_b32_e64 v11, v11, v12, s[0:1]
	v_add_u32_e32 v12, 1, v10
	v_cmp_le_u32_e64 s[0:1], s23, v11
	s_nop 1
	v_cndmask_b32_e64 v10, v10, v12, s[0:1]
	v_xor_b32_e32 v10, s41, v10
	v_subrev_u32_e32 v10, s41, v10
	v_add_u32_e32 v11, s40, v10
	v_sub_u32_e32 v13, 0, v11
	v_ashrrev_i32_e32 v12, 31, v11
	v_max_i32_e32 v11, v11, v13
	v_mul_hi_u32 v13, v11, v35
	v_mul_lo_u32 v13, v13, s18
	v_sub_u32_e32 v11, v11, v13
	v_subrev_u32_e32 v13, s18, v11
	v_cmp_le_u32_e64 s[0:1], s18, v11
	v_cmp_lt_i32_e64 s[2:3], s34, v10
	s_nop 0
	v_cndmask_b32_e64 v11, v11, v13, s[0:1]
	v_subrev_u32_e32 v13, s18, v11
	v_cmp_le_u32_e64 s[0:1], s18, v11
	s_nop 1
	v_cndmask_b32_e64 v11, v11, v13, s[0:1]
	v_xor_b32_e32 v11, v11, v12
	v_sub_u32_e32 v11, v11, v12
	v_cmp_eq_u32_e64 s[0:1], 0, v11
	s_or_b64 s[0:1], s[0:1], s[2:3]
	s_and_saveexec_b64 s[8:9], s[0:1]
	s_cbranch_execz .LBB95_48
; %bb.50:                               ;   in Loop: Header=BB95_49 Depth=1
	global_load_dword v19, v[16:17], off
	ds_read2_b64 v[10:13], v36 offset1:1
	ds_read2_b64 v[26:29], v36 offset0:2 offset1:3
	s_waitcnt lgkmcnt(1)
	;;#ASMSTART
	v_cvt_f16_f32 v21, v10;

	;;#ASMEND
	;;#ASMSTART
	v_cvt_f16_f32 v23, v11;

	;;#ASMEND
	;; [unrolled: 4-line block ×4, first 2 shown]
	s_waitcnt lgkmcnt(0)
	;;#ASMSTART
	v_cvt_f16_f32 v39, v26;

	;;#ASMEND
	;;#ASMSTART
	v_cvt_f16_f32 v42, v27;

	;;#ASMEND
	;; [unrolled: 4-line block ×4, first 2 shown]
	s_waitcnt vmcnt(0)
	v_mad_i64_i32 v[10:11], s[0:1], v19, s35, 0
	v_lshl_add_u64 v[26:27], v[10:11], 1, s[6:7]
	v_mov_b32_e32 v19, v15
	v_lshl_add_u64 v[28:29], v[26:27], 0, v[18:19]
	global_load_dwordx4 v[10:13], v[28:29], off
	v_add_u32_e32 v19, v34, v38
	v_cmp_eq_u32_e64 s[0:1], s28, v1
	s_and_saveexec_b64 s[10:11], s[0:1]
	s_cbranch_execz .LBB95_52
; %bb.51:                               ;   in Loop: Header=BB95_49 Depth=1
	v_or_b32_e32 v48, 7, v19
	v_or_b32_e32 v49, 6, v19
	s_waitcnt vmcnt(0)
	v_lshrrev_b32_e32 v50, 16, v13
	v_cmp_gt_i32_e64 s[2:3], s44, v48
	v_or_b32_e32 v46, 5, v19
	v_or_b32_e32 v47, 4, v19
	v_cndmask_b32_e64 v48, 0, v50, s[2:3]
	v_cmp_gt_i32_e64 s[2:3], s43, v49
	v_or_b32_e32 v41, 3, v19
	v_or_b32_e32 v45, 2, v19
	v_cndmask_b32_e64 v13, 0, v13, s[2:3]
	v_perm_b32 v13, v48, v13, s12
	v_lshrrev_b32_e32 v48, 16, v12
	v_cmp_gt_i32_e64 s[2:3], s39, v46
	v_add_u32_e32 v40, 1, v19
	s_nop 0
	v_cndmask_b32_e64 v46, 0, v48, s[2:3]
	v_cmp_gt_i32_e64 s[2:3], s38, v47
	s_nop 1
	v_cndmask_b32_e64 v12, 0, v12, s[2:3]
	v_perm_b32 v12, v46, v12, s12
	v_lshrrev_b32_e32 v46, 16, v11
	v_cmp_gt_i32_e64 s[2:3], s37, v41
	s_nop 1
	v_cndmask_b32_e64 v41, 0, v46, s[2:3]
	v_cmp_gt_i32_e64 s[2:3], s36, v45
	s_nop 1
	v_cndmask_b32_e64 v11, 0, v11, s[2:3]
	v_perm_b32 v11, v41, v11, s12
	v_lshrrev_b32_e32 v41, 16, v10
	v_cmp_gt_i32_e64 s[2:3], s29, v40
	s_nop 1
	v_cndmask_b32_e64 v40, 0, v41, s[2:3]
	v_cmp_gt_i32_e64 s[2:3], s21, v19
	s_nop 1
	v_cndmask_b32_e64 v10, 0, v10, s[2:3]
	v_perm_b32 v10, v40, v10, s12
.LBB95_52:                              ;   in Loop: Header=BB95_49 Depth=1
	s_or_b64 exec, exec, s[10:11]
	v_and_b32_e32 v21, 0xffff, v21
	v_lshl_or_b32 v41, v23, 16, v21
	v_and_b32_e32 v21, 0xffff, v25
	v_lshl_or_b32 v40, v37, 16, v21
	;; [unrolled: 2-line block ×3, first 2 shown]
	v_and_b32_e32 v21, 0xffff, v43
	s_waitcnt vmcnt(0)
	;;#ASMSTART
	v_pk_mul_f16 v10, v41, v10;

	;;#ASMEND
	v_lshl_or_b32 v37, v44, 16, v21
	;;#ASMSTART
	v_pk_mul_f16 v11, v40, v11;

	;;#ASMEND
	;;#ASMSTART
	v_pk_mul_f16 v12, v39, v12;

	;;#ASMEND
	;; [unrolled: 4-line block ×3, first 2 shown]
	s_nop 0
	;;#ASMSTART
	v_pk_add_f16 v10, v10, v11;

	;;#ASMEND
	s_nop 0
	;;#ASMSTART
	v_pk_add_f16 v10, v10, v12;

	;;#ASMEND
	;; [unrolled: 5-line block ×3, first 2 shown]
	s_nop 0
	v_lshrrev_b32_e32 v11, 16, v10
	v_and_b32_e32 v10, 0xffff, v10
	;;#ASMSTART
	v_cvt_f32_f16 v25, v10;
	;;#ASMEND
	;;#ASMSTART
	v_cvt_f32_f16 v42, v11;
	;;#ASMEND
	global_load_dwordx4 v[10:13], v[28:29], off offset:1024
	s_and_saveexec_b64 s[10:11], s[0:1]
	s_cbranch_execz .LBB95_54
; %bb.53:                               ;   in Loop: Header=BB95_49 Depth=1
	v_or_b32_e32 v46, 7, v19
	v_or_b32_e32 v47, 6, v19
	s_waitcnt vmcnt(0)
	v_lshrrev_b32_e32 v48, 16, v13
	v_cmp_gt_i32_e64 s[2:3], s44, v46
	v_or_b32_e32 v44, 5, v19
	v_or_b32_e32 v45, 4, v19
	v_cndmask_b32_e64 v46, 0, v48, s[2:3]
	v_cmp_gt_i32_e64 s[2:3], s43, v47
	v_or_b32_e32 v23, 3, v19
	v_or_b32_e32 v43, 2, v19
	v_cndmask_b32_e64 v13, 0, v13, s[2:3]
	v_perm_b32 v13, v46, v13, s12
	v_lshrrev_b32_e32 v46, 16, v12
	v_cmp_gt_i32_e64 s[2:3], s39, v44
	v_add_u32_e32 v21, 1, v19
	s_nop 0
	v_cndmask_b32_e64 v44, 0, v46, s[2:3]
	v_cmp_gt_i32_e64 s[2:3], s38, v45
	s_nop 1
	v_cndmask_b32_e64 v12, 0, v12, s[2:3]
	v_perm_b32 v12, v44, v12, s12
	v_lshrrev_b32_e32 v44, 16, v11
	v_cmp_gt_i32_e64 s[2:3], s37, v23
	s_nop 1
	v_cndmask_b32_e64 v23, 0, v44, s[2:3]
	v_cmp_gt_i32_e64 s[2:3], s36, v43
	s_nop 1
	v_cndmask_b32_e64 v11, 0, v11, s[2:3]
	v_perm_b32 v11, v23, v11, s12
	v_lshrrev_b32_e32 v23, 16, v10
	v_cmp_gt_i32_e64 s[2:3], s29, v21
	s_nop 1
	v_cndmask_b32_e64 v21, 0, v23, s[2:3]
	v_cmp_gt_i32_e64 s[2:3], s21, v19
	s_nop 1
	v_cndmask_b32_e64 v10, 0, v10, s[2:3]
	v_perm_b32 v10, v21, v10, s12
.LBB95_54:                              ;   in Loop: Header=BB95_49 Depth=1
	s_or_b64 exec, exec, s[10:11]
	s_waitcnt vmcnt(0)
	;;#ASMSTART
	v_pk_mul_f16 v10, v41, v10;

	;;#ASMEND
	;;#ASMSTART
	v_pk_mul_f16 v11, v40, v11;

	;;#ASMEND
	;; [unrolled: 4-line block ×4, first 2 shown]
	s_nop 0
	;;#ASMSTART
	v_pk_add_f16 v10, v10, v11;

	;;#ASMEND
	s_nop 0
	;;#ASMSTART
	v_pk_add_f16 v10, v10, v12;

	;;#ASMEND
	;; [unrolled: 5-line block ×3, first 2 shown]
	s_nop 0
	v_lshrrev_b32_e32 v11, 16, v10
	v_and_b32_e32 v10, 0xffff, v10
	;;#ASMSTART
	v_cvt_f32_f16 v43, v10;
	;;#ASMEND
	;;#ASMSTART
	v_cvt_f32_f16 v44, v11;
	;;#ASMEND
	global_load_dwordx4 v[10:13], v[28:29], off offset:2048
	s_and_saveexec_b64 s[10:11], s[0:1]
	s_cbranch_execz .LBB95_56
; %bb.55:                               ;   in Loop: Header=BB95_49 Depth=1
	v_or_b32_e32 v48, 7, v19
	v_or_b32_e32 v49, 6, v19
	s_waitcnt vmcnt(0)
	v_lshrrev_b32_e32 v50, 16, v13
	v_cmp_gt_i32_e64 s[2:3], s44, v48
	v_or_b32_e32 v46, 5, v19
	v_or_b32_e32 v47, 4, v19
	v_cndmask_b32_e64 v48, 0, v50, s[2:3]
	v_cmp_gt_i32_e64 s[2:3], s43, v49
	v_or_b32_e32 v23, 3, v19
	v_or_b32_e32 v45, 2, v19
	v_cndmask_b32_e64 v13, 0, v13, s[2:3]
	v_perm_b32 v13, v48, v13, s12
	v_lshrrev_b32_e32 v48, 16, v12
	v_cmp_gt_i32_e64 s[2:3], s39, v46
	v_add_u32_e32 v21, 1, v19
	s_nop 0
	v_cndmask_b32_e64 v46, 0, v48, s[2:3]
	v_cmp_gt_i32_e64 s[2:3], s38, v47
	s_nop 1
	v_cndmask_b32_e64 v12, 0, v12, s[2:3]
	v_perm_b32 v12, v46, v12, s12
	v_lshrrev_b32_e32 v46, 16, v11
	v_cmp_gt_i32_e64 s[2:3], s37, v23
	s_nop 1
	v_cndmask_b32_e64 v23, 0, v46, s[2:3]
	v_cmp_gt_i32_e64 s[2:3], s36, v45
	s_nop 1
	v_cndmask_b32_e64 v11, 0, v11, s[2:3]
	v_perm_b32 v11, v23, v11, s12
	v_lshrrev_b32_e32 v23, 16, v10
	v_cmp_gt_i32_e64 s[2:3], s29, v21
	s_nop 1
	v_cndmask_b32_e64 v21, 0, v23, s[2:3]
	v_cmp_gt_i32_e64 s[2:3], s21, v19
	s_nop 1
	v_cndmask_b32_e64 v10, 0, v10, s[2:3]
	v_perm_b32 v10, v21, v10, s12
.LBB95_56:                              ;   in Loop: Header=BB95_49 Depth=1
	s_or_b64 exec, exec, s[10:11]
	s_waitcnt vmcnt(0)
	;;#ASMSTART
	v_pk_mul_f16 v10, v41, v10;

	;;#ASMEND
	;;#ASMSTART
	v_pk_mul_f16 v11, v40, v11;

	;;#ASMEND
	;; [unrolled: 4-line block ×4, first 2 shown]
	s_nop 0
	;;#ASMSTART
	v_pk_add_f16 v10, v10, v11;

	;;#ASMEND
	s_nop 0
	;;#ASMSTART
	v_pk_add_f16 v10, v10, v12;

	;;#ASMEND
	;; [unrolled: 5-line block ×3, first 2 shown]
	s_nop 0
	v_lshrrev_b32_e32 v11, 16, v10
	v_and_b32_e32 v10, 0xffff, v10
	;;#ASMSTART
	v_cvt_f32_f16 v45, v10;
	;;#ASMEND
	;;#ASMSTART
	v_cvt_f32_f16 v46, v11;
	;;#ASMEND
	global_load_dwordx4 v[10:13], v[28:29], off offset:3072
	s_and_saveexec_b64 s[10:11], s[0:1]
	s_cbranch_execz .LBB95_58
; %bb.57:                               ;   in Loop: Header=BB95_49 Depth=1
	v_or_b32_e32 v48, 7, v19
	v_or_b32_e32 v49, 6, v19
	s_waitcnt vmcnt(0)
	v_lshrrev_b32_e32 v50, 16, v13
	v_cmp_gt_i32_e64 s[2:3], s44, v48
	v_or_b32_e32 v29, 5, v19
	v_or_b32_e32 v47, 4, v19
	v_cndmask_b32_e64 v48, 0, v50, s[2:3]
	v_cmp_gt_i32_e64 s[2:3], s43, v49
	v_or_b32_e32 v23, 3, v19
	v_or_b32_e32 v28, 2, v19
	v_cndmask_b32_e64 v13, 0, v13, s[2:3]
	v_perm_b32 v13, v48, v13, s12
	v_lshrrev_b32_e32 v48, 16, v12
	v_cmp_gt_i32_e64 s[2:3], s39, v29
	v_add_u32_e32 v21, 1, v19
	s_nop 0
	v_cndmask_b32_e64 v29, 0, v48, s[2:3]
	v_cmp_gt_i32_e64 s[2:3], s38, v47
	s_nop 1
	v_cndmask_b32_e64 v12, 0, v12, s[2:3]
	v_perm_b32 v12, v29, v12, s12
	v_lshrrev_b32_e32 v29, 16, v11
	v_cmp_gt_i32_e64 s[2:3], s37, v23
	s_nop 1
	v_cndmask_b32_e64 v23, 0, v29, s[2:3]
	v_cmp_gt_i32_e64 s[2:3], s36, v28
	s_nop 1
	v_cndmask_b32_e64 v11, 0, v11, s[2:3]
	v_perm_b32 v11, v23, v11, s12
	v_lshrrev_b32_e32 v23, 16, v10
	v_cmp_gt_i32_e64 s[2:3], s29, v21
	s_nop 1
	v_cndmask_b32_e64 v21, 0, v23, s[2:3]
	v_cmp_gt_i32_e64 s[2:3], s21, v19
	s_nop 1
	v_cndmask_b32_e64 v10, 0, v10, s[2:3]
	v_perm_b32 v10, v21, v10, s12
.LBB95_58:                              ;   in Loop: Header=BB95_49 Depth=1
	s_or_b64 exec, exec, s[10:11]
	s_waitcnt vmcnt(0)
	;;#ASMSTART
	v_pk_mul_f16 v10, v41, v10;

	;;#ASMEND
	;;#ASMSTART
	v_pk_mul_f16 v11, v40, v11;

	;;#ASMEND
	;; [unrolled: 4-line block ×4, first 2 shown]
	s_nop 0
	;;#ASMSTART
	v_pk_add_f16 v10, v10, v11;

	;;#ASMEND
	s_nop 0
	;;#ASMSTART
	v_pk_add_f16 v10, v10, v12;

	;;#ASMEND
	;; [unrolled: 5-line block ×3, first 2 shown]
	s_nop 0
	v_lshrrev_b32_e32 v11, 16, v10
	v_and_b32_e32 v10, 0xffff, v10
	;;#ASMSTART
	v_cvt_f32_f16 v28, v10;
	;;#ASMEND
	;;#ASMSTART
	v_cvt_f32_f16 v29, v11;
	;;#ASMEND
	v_lshl_add_u64 v[10:11], v[26:27], 0, v[14:15]
	global_load_dwordx4 v[10:13], v[10:11], off
	s_and_saveexec_b64 s[10:11], s[0:1]
	s_cbranch_execz .LBB95_60
; %bb.59:                               ;   in Loop: Header=BB95_49 Depth=1
	v_or_b32_e32 v50, 7, v19
	v_or_b32_e32 v51, 6, v19
	s_waitcnt vmcnt(0)
	v_lshrrev_b32_e32 v52, 16, v13
	v_cmp_gt_i32_e64 s[2:3], s44, v50
	v_or_b32_e32 v48, 5, v19
	v_or_b32_e32 v49, 4, v19
	v_cndmask_b32_e64 v50, 0, v52, s[2:3]
	v_cmp_gt_i32_e64 s[2:3], s43, v51
	v_or_b32_e32 v23, 3, v19
	v_or_b32_e32 v47, 2, v19
	v_cndmask_b32_e64 v13, 0, v13, s[2:3]
	v_perm_b32 v13, v50, v13, s12
	v_lshrrev_b32_e32 v50, 16, v12
	v_cmp_gt_i32_e64 s[2:3], s39, v48
	v_add_u32_e32 v21, 1, v19
	s_nop 0
	v_cndmask_b32_e64 v48, 0, v50, s[2:3]
	v_cmp_gt_i32_e64 s[2:3], s38, v49
	s_nop 1
	v_cndmask_b32_e64 v12, 0, v12, s[2:3]
	v_perm_b32 v12, v48, v12, s12
	v_lshrrev_b32_e32 v48, 16, v11
	v_cmp_gt_i32_e64 s[2:3], s37, v23
	s_nop 1
	v_cndmask_b32_e64 v23, 0, v48, s[2:3]
	v_cmp_gt_i32_e64 s[2:3], s36, v47
	s_nop 1
	v_cndmask_b32_e64 v11, 0, v11, s[2:3]
	v_perm_b32 v11, v23, v11, s12
	v_lshrrev_b32_e32 v23, 16, v10
	v_cmp_gt_i32_e64 s[2:3], s29, v21
	s_nop 1
	v_cndmask_b32_e64 v21, 0, v23, s[2:3]
	v_cmp_gt_i32_e64 s[2:3], s21, v19
	s_nop 1
	v_cndmask_b32_e64 v10, 0, v10, s[2:3]
	v_perm_b32 v10, v21, v10, s12
.LBB95_60:                              ;   in Loop: Header=BB95_49 Depth=1
	s_or_b64 exec, exec, s[10:11]
	s_waitcnt vmcnt(0)
	;;#ASMSTART
	v_pk_mul_f16 v10, v41, v10;

	;;#ASMEND
	;;#ASMSTART
	v_pk_mul_f16 v11, v40, v11;

	;;#ASMEND
	;;#ASMSTART
	v_pk_mul_f16 v12, v39, v12;

	;;#ASMEND
	;;#ASMSTART
	v_pk_mul_f16 v13, v37, v13;

	;;#ASMEND
	v_mov_b32_e32 v21, v15
	;;#ASMSTART
	v_pk_add_f16 v10, v10, v11;

	;;#ASMEND
	s_nop 0
	;;#ASMSTART
	v_pk_add_f16 v10, v10, v12;

	;;#ASMEND
	s_nop 0
	;; [unrolled: 5-line block ×3, first 2 shown]
	v_lshrrev_b32_e32 v11, 16, v10
	v_and_b32_e32 v10, 0xffff, v10
	;;#ASMSTART
	v_cvt_f32_f16 v47, v10;
	;;#ASMEND
	;;#ASMSTART
	v_cvt_f32_f16 v48, v11;
	;;#ASMEND
	v_lshl_add_u64 v[10:11], v[26:27], 0, v[20:21]
	global_load_dwordx4 v[10:13], v[10:11], off
	s_and_saveexec_b64 s[10:11], s[0:1]
	s_cbranch_execz .LBB95_62
; %bb.61:                               ;   in Loop: Header=BB95_49 Depth=1
	v_or_b32_e32 v52, 7, v19
	v_or_b32_e32 v53, 6, v19
	s_waitcnt vmcnt(0)
	v_lshrrev_b32_e32 v54, 16, v13
	v_cmp_gt_i32_e64 s[2:3], s44, v52
	v_or_b32_e32 v50, 5, v19
	v_or_b32_e32 v51, 4, v19
	v_cndmask_b32_e64 v52, 0, v54, s[2:3]
	v_cmp_gt_i32_e64 s[2:3], s43, v53
	v_or_b32_e32 v23, 3, v19
	v_or_b32_e32 v49, 2, v19
	v_cndmask_b32_e64 v13, 0, v13, s[2:3]
	v_perm_b32 v13, v52, v13, s12
	v_lshrrev_b32_e32 v52, 16, v12
	v_cmp_gt_i32_e64 s[2:3], s39, v50
	v_add_u32_e32 v21, 1, v19
	s_nop 0
	v_cndmask_b32_e64 v50, 0, v52, s[2:3]
	v_cmp_gt_i32_e64 s[2:3], s38, v51
	s_nop 1
	v_cndmask_b32_e64 v12, 0, v12, s[2:3]
	v_perm_b32 v12, v50, v12, s12
	v_lshrrev_b32_e32 v50, 16, v11
	v_cmp_gt_i32_e64 s[2:3], s37, v23
	s_nop 1
	v_cndmask_b32_e64 v23, 0, v50, s[2:3]
	v_cmp_gt_i32_e64 s[2:3], s36, v49
	s_nop 1
	v_cndmask_b32_e64 v11, 0, v11, s[2:3]
	v_perm_b32 v11, v23, v11, s12
	v_lshrrev_b32_e32 v23, 16, v10
	v_cmp_gt_i32_e64 s[2:3], s29, v21
	s_nop 1
	v_cndmask_b32_e64 v21, 0, v23, s[2:3]
	v_cmp_gt_i32_e64 s[2:3], s21, v19
	s_nop 1
	v_cndmask_b32_e64 v10, 0, v10, s[2:3]
	v_perm_b32 v10, v21, v10, s12
.LBB95_62:                              ;   in Loop: Header=BB95_49 Depth=1
	s_or_b64 exec, exec, s[10:11]
	s_waitcnt vmcnt(0)
	;;#ASMSTART
	v_pk_mul_f16 v10, v41, v10;

	;;#ASMEND
	;;#ASMSTART
	v_pk_mul_f16 v11, v40, v11;

	;;#ASMEND
	;; [unrolled: 4-line block ×4, first 2 shown]
	v_mov_b32_e32 v23, v15
	;;#ASMSTART
	v_pk_add_f16 v10, v10, v11;

	;;#ASMEND
	s_nop 0
	;;#ASMSTART
	v_pk_add_f16 v10, v10, v12;

	;;#ASMEND
	s_nop 0
	;; [unrolled: 5-line block ×3, first 2 shown]
	v_lshrrev_b32_e32 v11, 16, v10
	v_and_b32_e32 v10, 0xffff, v10
	;;#ASMSTART
	v_cvt_f32_f16 v21, v10;
	;;#ASMEND
	;;#ASMSTART
	v_cvt_f32_f16 v49, v11;
	;;#ASMEND
	v_lshl_add_u64 v[10:11], v[26:27], 0, v[22:23]
	global_load_dwordx4 v[10:13], v[10:11], off
	s_and_saveexec_b64 s[10:11], s[0:1]
	s_cbranch_execz .LBB95_64
; %bb.63:                               ;   in Loop: Header=BB95_49 Depth=1
	v_or_b32_e32 v54, 7, v19
	v_or_b32_e32 v55, 6, v19
	s_waitcnt vmcnt(0)
	v_lshrrev_b32_e32 v56, 16, v13
	v_cmp_gt_i32_e64 s[2:3], s44, v54
	v_or_b32_e32 v52, 5, v19
	v_or_b32_e32 v53, 4, v19
	v_cndmask_b32_e64 v54, 0, v56, s[2:3]
	v_cmp_gt_i32_e64 s[2:3], s43, v55
	v_or_b32_e32 v50, 3, v19
	v_or_b32_e32 v51, 2, v19
	v_cndmask_b32_e64 v13, 0, v13, s[2:3]
	v_perm_b32 v13, v54, v13, s12
	v_lshrrev_b32_e32 v54, 16, v12
	v_cmp_gt_i32_e64 s[2:3], s39, v52
	v_add_u32_e32 v23, 1, v19
	s_nop 0
	v_cndmask_b32_e64 v52, 0, v54, s[2:3]
	v_cmp_gt_i32_e64 s[2:3], s38, v53
	s_nop 1
	v_cndmask_b32_e64 v12, 0, v12, s[2:3]
	v_perm_b32 v12, v52, v12, s12
	v_lshrrev_b32_e32 v52, 16, v11
	v_cmp_gt_i32_e64 s[2:3], s37, v50
	s_nop 1
	v_cndmask_b32_e64 v50, 0, v52, s[2:3]
	v_cmp_gt_i32_e64 s[2:3], s36, v51
	s_nop 1
	v_cndmask_b32_e64 v11, 0, v11, s[2:3]
	v_perm_b32 v11, v50, v11, s12
	v_lshrrev_b32_e32 v50, 16, v10
	v_cmp_gt_i32_e64 s[2:3], s29, v23
	s_nop 1
	v_cndmask_b32_e64 v23, 0, v50, s[2:3]
	v_cmp_gt_i32_e64 s[2:3], s21, v19
	s_nop 1
	v_cndmask_b32_e64 v10, 0, v10, s[2:3]
	v_perm_b32 v10, v23, v10, s12
.LBB95_64:                              ;   in Loop: Header=BB95_49 Depth=1
	s_or_b64 exec, exec, s[10:11]
	s_waitcnt vmcnt(0)
	;;#ASMSTART
	v_pk_mul_f16 v10, v41, v10;

	;;#ASMEND
	;;#ASMSTART
	v_pk_mul_f16 v11, v40, v11;

	;;#ASMEND
	;; [unrolled: 4-line block ×4, first 2 shown]
	v_add_f32_e32 v23, v25, v42
	;;#ASMSTART
	v_pk_add_f16 v10, v10, v11;

	;;#ASMEND
	v_add_f32_e32 v2, v2, v23
	;;#ASMSTART
	v_pk_add_f16 v10, v10, v12;

	;;#ASMEND
	;; [unrolled: 5-line block ×3, first 2 shown]
	v_add_f32_e32 v3, v3, v23
	v_add_f32_e32 v23, v45, v46
	v_lshrrev_b32_e32 v11, 16, v10
	v_and_b32_e32 v10, 0xffff, v10
	v_add_f32_e32 v4, v4, v23
	v_add_f32_e32 v23, v28, v29
	;;#ASMSTART
	v_cvt_f32_f16 v10, v10;
	;;#ASMEND
	v_add_f32_e32 v5, v5, v23
	v_add_f32_e32 v23, v47, v48
	;; [unrolled: 1-line block ×3, first 2 shown]
	;;#ASMSTART
	v_cvt_f32_f16 v11, v11;
	;;#ASMEND
	v_add_f32_e32 v6, v6, v23
	v_add_f32_e32 v10, v10, v11
	;; [unrolled: 1-line block ×4, first 2 shown]
	s_and_saveexec_b64 s[2:3], vcc
	s_cbranch_execz .LBB95_47
; %bb.65:                               ;   in Loop: Header=BB95_49 Depth=1
	v_mov_b32_e32 v25, v15
	v_lshl_add_u64 v[10:11], v[26:27], 0, v[24:25]
	global_load_dwordx4 v[10:13], v[10:11], off
	s_and_saveexec_b64 s[10:11], s[0:1]
	s_cbranch_execz .LBB95_46
; %bb.66:                               ;   in Loop: Header=BB95_49 Depth=1
	v_or_b32_e32 v28, 7, v19
	v_or_b32_e32 v29, 6, v19
	s_waitcnt vmcnt(0)
	v_lshrrev_b32_e32 v42, 16, v13
	v_cmp_gt_i32_e64 s[0:1], s44, v28
	v_or_b32_e32 v26, 5, v19
	v_or_b32_e32 v27, 4, v19
	v_cndmask_b32_e64 v28, 0, v42, s[0:1]
	v_cmp_gt_i32_e64 s[0:1], s43, v29
	v_or_b32_e32 v23, 3, v19
	v_or_b32_e32 v25, 2, v19
	v_cndmask_b32_e64 v13, 0, v13, s[0:1]
	v_perm_b32 v13, v28, v13, s12
	v_lshrrev_b32_e32 v28, 16, v12
	v_cmp_gt_i32_e64 s[0:1], s39, v26
	v_add_u32_e32 v21, 1, v19
	s_nop 0
	v_cndmask_b32_e64 v26, 0, v28, s[0:1]
	v_cmp_gt_i32_e64 s[0:1], s38, v27
	s_nop 1
	v_cndmask_b32_e64 v12, 0, v12, s[0:1]
	v_perm_b32 v12, v26, v12, s12
	v_lshrrev_b32_e32 v26, 16, v11
	v_cmp_gt_i32_e64 s[0:1], s37, v23
	s_nop 1
	v_cndmask_b32_e64 v23, 0, v26, s[0:1]
	v_cmp_gt_i32_e64 s[0:1], s36, v25
	s_nop 1
	v_cndmask_b32_e64 v11, 0, v11, s[0:1]
	v_perm_b32 v11, v23, v11, s12
	v_lshrrev_b32_e32 v23, 16, v10
	v_cmp_gt_i32_e64 s[0:1], s29, v21
	s_nop 1
	v_cndmask_b32_e64 v21, 0, v23, s[0:1]
	v_cmp_gt_i32_e64 s[0:1], s21, v19
	s_nop 1
	v_cndmask_b32_e64 v10, 0, v10, s[0:1]
	v_perm_b32 v10, v21, v10, s12
	s_branch .LBB95_46
.LBB95_67:
	s_or_b64 exec, exec, s[16:17]
.LBB95_68:
	s_or_b64 exec, exec, s[30:31]
	ds_bpermute_b32 v12, v30, v4
	ds_bpermute_b32 v13, v30, v5
	;; [unrolled: 1-line block ×6, first 2 shown]
	s_waitcnt lgkmcnt(4)
	v_pk_add_f32 v[4:5], v[4:5], v[12:13]
	ds_bpermute_b32 v12, v30, v6
	ds_bpermute_b32 v13, v30, v7
	s_waitcnt lgkmcnt(4)
	v_pk_add_f32 v[2:3], v[2:3], v[10:11]
	s_waitcnt lgkmcnt(2)
	v_pk_add_f32 v[16:17], v[8:9], v[16:17]
	ds_bpermute_b32 v10, v31, v2
	ds_bpermute_b32 v11, v31, v3
	s_waitcnt lgkmcnt(2)
	v_pk_add_f32 v[12:13], v[6:7], v[12:13]
	ds_bpermute_b32 v14, v31, v4
	ds_bpermute_b32 v15, v31, v5
	;; [unrolled: 1-line block ×6, first 2 shown]
	v_and_b32_e32 v1, 0x3c0, v0
	s_waitcnt lgkmcnt(6)
	v_pk_add_f32 v[8:9], v[2:3], v[10:11]
	s_waitcnt lgkmcnt(4)
	v_pk_add_f32 v[6:7], v[4:5], v[14:15]
	;; [unrolled: 2-line block ×4, first 2 shown]
	v_cmp_eq_u32_e32 vcc, 64, v1
	s_barrier
	s_and_saveexec_b64 s[2:3], vcc
	s_cbranch_execz .LBB95_73
; %bb.69:
	v_cmp_eq_u32_e32 vcc, 0, v32
	s_and_saveexec_b64 s[0:1], vcc
	s_cbranch_execz .LBB95_71
; %bb.70:
	v_mov_b32_e32 v1, 0x100
	v_lshl_add_u32 v1, v33, 2, v1
	ds_write2_b32 v1, v8, v9 offset1:16
	ds_write2_b32 v1, v6, v7 offset0:32 offset1:48
	ds_write2_b32 v1, v4, v5 offset0:64 offset1:80
	ds_write_b32 v1, v2 offset:384
.LBB95_71:
	s_or_b64 exec, exec, s[0:1]
	v_or_b32_e32 v1, 0x70, v33
	s_movk_i32 s0, 0x78
	v_cmp_gt_u32_e64 s[0:1], s0, v1
	s_and_b64 s[0:1], vcc, s[0:1]
	s_and_b64 exec, exec, s[0:1]
	s_cbranch_execz .LBB95_73
; %bb.72:
	v_mov_b32_e32 v1, 0x100
	v_lshl_add_u32 v1, v33, 2, v1
	ds_write_b32 v1, v3 offset:448
.LBB95_73:
	s_or_b64 exec, exec, s[2:3]
	v_cmp_gt_u32_e32 vcc, 64, v0
	v_lshrrev_b32_e32 v0, 2, v0
	s_waitcnt lgkmcnt(0)
	s_barrier
	s_and_saveexec_b64 s[6:7], vcc
	s_cbranch_execz .LBB95_85
; %bb.74:
	v_cmp_eq_u32_e64 s[0:1], 0, v32
	s_and_saveexec_b64 s[2:3], s[0:1]
	s_cbranch_execnz .LBB95_91
; %bb.75:
	s_or_b64 exec, exec, s[2:3]
	s_and_saveexec_b64 s[2:3], s[0:1]
	s_cbranch_execnz .LBB95_92
.LBB95_76:
	s_or_b64 exec, exec, s[2:3]
	s_and_saveexec_b64 s[2:3], s[0:1]
	s_cbranch_execnz .LBB95_93
.LBB95_77:
	s_or_b64 exec, exec, s[2:3]
	s_and_saveexec_b64 s[2:3], s[0:1]
	s_cbranch_execnz .LBB95_94
.LBB95_78:
	s_or_b64 exec, exec, s[2:3]
	s_and_saveexec_b64 s[2:3], s[0:1]
	s_cbranch_execnz .LBB95_95
.LBB95_79:
	s_or_b64 exec, exec, s[2:3]
	s_and_saveexec_b64 s[2:3], s[0:1]
	s_cbranch_execnz .LBB95_96
.LBB95_80:
	s_or_b64 exec, exec, s[2:3]
	s_and_saveexec_b64 s[2:3], s[0:1]
	s_cbranch_execz .LBB95_82
.LBB95_81:
	v_mov_b32_e32 v1, 0x100
	v_lshl_add_u32 v1, v0, 2, v1
	ds_read_b32 v1, v1 offset:384
	s_waitcnt lgkmcnt(0)
	v_add_f32_e32 v2, v2, v1
.LBB95_82:
	s_or_b64 exec, exec, s[2:3]
	v_or_b32_e32 v1, 0x70, v0
	s_movk_i32 s2, 0x78
	v_cmp_gt_u32_e64 s[2:3], s2, v1
	s_and_b64 s[2:3], s[0:1], s[2:3]
	s_and_saveexec_b64 s[0:1], s[2:3]
	s_cbranch_execz .LBB95_84
; %bb.83:
	v_mov_b32_e32 v1, 0x100
	v_lshl_add_u32 v1, v0, 2, v1
	ds_read_b32 v1, v1 offset:448
	s_waitcnt lgkmcnt(0)
	v_add_f32_e32 v3, v3, v1
.LBB95_84:
	s_or_b64 exec, exec, s[0:1]
.LBB95_85:
	s_or_b64 exec, exec, s[6:7]
	s_barrier
	s_and_saveexec_b64 s[0:1], vcc
	s_cbranch_execz .LBB95_90
; %bb.86:
	s_mul_i32 s0, s20, s19
	s_mul_i32 s0, s0, s5
	s_mulk_i32 s0, 0x78
	s_ashr_i32 s1, s0, 31
	s_lshl_b64 s[0:1], s[0:1], 1
	s_add_u32 s2, s24, s0
	s_mul_i32 s0, s19, s22
	s_addc_u32 s3, s25, s1
	s_ashr_i32 s1, s0, 31
	s_lshl_b64 s[0:1], s[0:1], 1
	s_add_u32 s2, s2, s0
	s_mul_i32 s0, s4, 0x78
	s_addc_u32 s3, s3, s1
	s_ashr_i32 s1, s0, 31
	s_lshl_b64 s[0:1], s[0:1], 1
	s_add_u32 s2, s2, s0
	s_movk_i32 s5, 0x78
	s_addc_u32 s3, s3, s1
	v_cmp_eq_u32_e32 vcc, 0, v32
	v_lshlrev_b32_e32 v1, 1, v0
	s_and_saveexec_b64 s[0:1], vcc
	s_cbranch_execz .LBB95_88
; %bb.87:
	;;#ASMSTART
	v_cvt_f16_f32 v8, v8;

	;;#ASMEND
	global_store_short v1, v8, s[2:3]
	;;#ASMSTART
	v_cvt_f16_f32 v8, v9;

	;;#ASMEND
	global_store_short v1, v8, s[2:3] offset:32
	;;#ASMSTART
	v_cvt_f16_f32 v6, v6;

	;;#ASMEND
	global_store_short v1, v6, s[2:3] offset:64
	;; [unrolled: 5-line block ×6, first 2 shown]
.LBB95_88:
	s_or_b64 exec, exec, s[0:1]
	v_or_b32_e32 v0, 0x70, v0
	v_cmp_gt_u32_e64 s[0:1], s5, v0
	s_and_b64 s[0:1], vcc, s[0:1]
	s_and_b64 exec, exec, s[0:1]
	s_cbranch_execz .LBB95_90
; %bb.89:
	;;#ASMSTART
	v_cvt_f16_f32 v0, v3;

	;;#ASMEND
	global_store_short v1, v0, s[2:3] offset:224
.LBB95_90:
	s_endpgm
.LBB95_91:
	v_mov_b32_e32 v1, 0x100
	v_lshl_add_u32 v1, v0, 2, v1
	ds_read_b32 v1, v1
	s_waitcnt lgkmcnt(0)
	v_add_f32_e32 v8, v8, v1
	s_or_b64 exec, exec, s[2:3]
	s_and_saveexec_b64 s[2:3], s[0:1]
	s_cbranch_execz .LBB95_76
.LBB95_92:
	v_mov_b32_e32 v1, 0x100
	v_lshl_add_u32 v1, v0, 2, v1
	ds_read_b32 v1, v1 offset:64
	s_waitcnt lgkmcnt(0)
	v_add_f32_e32 v9, v9, v1
	s_or_b64 exec, exec, s[2:3]
	s_and_saveexec_b64 s[2:3], s[0:1]
	s_cbranch_execz .LBB95_77
.LBB95_93:
	v_mov_b32_e32 v1, 0x100
	v_lshl_add_u32 v1, v0, 2, v1
	ds_read_b32 v1, v1 offset:128
	s_waitcnt lgkmcnt(0)
	v_add_f32_e32 v6, v6, v1
	s_or_b64 exec, exec, s[2:3]
	s_and_saveexec_b64 s[2:3], s[0:1]
	s_cbranch_execz .LBB95_78
.LBB95_94:
	v_mov_b32_e32 v1, 0x100
	v_lshl_add_u32 v1, v0, 2, v1
	ds_read_b32 v1, v1 offset:192
	s_waitcnt lgkmcnt(0)
	v_add_f32_e32 v7, v7, v1
	s_or_b64 exec, exec, s[2:3]
	s_and_saveexec_b64 s[2:3], s[0:1]
	s_cbranch_execz .LBB95_79
.LBB95_95:
	v_mov_b32_e32 v1, 0x100
	v_lshl_add_u32 v1, v0, 2, v1
	ds_read_b32 v1, v1 offset:256
	s_waitcnt lgkmcnt(0)
	v_add_f32_e32 v4, v4, v1
	s_or_b64 exec, exec, s[2:3]
	s_and_saveexec_b64 s[2:3], s[0:1]
	s_cbranch_execz .LBB95_80
.LBB95_96:
	v_mov_b32_e32 v1, 0x100
	v_lshl_add_u32 v1, v0, 2, v1
	ds_read_b32 v1, v1 offset:320
	s_waitcnt lgkmcnt(0)
	v_add_f32_e32 v5, v5, v1
	s_or_b64 exec, exec, s[2:3]
	s_and_saveexec_b64 s[2:3], s[0:1]
	s_cbranch_execnz .LBB95_81
	s_branch .LBB95_82
	.section	.rodata,"a",@progbits
	.p2align	6, 0x0
	.amdhsa_kernel _ZN4vllm25paged_attention_v1_kernelIttLi120ELi32ELi128ELNS_18Fp8KVCacheDataTypeE0ELb1EEEvPT_PKS2_PKT0_S8_ifPKiSA_iPKfiiiSC_SC_iiiii
		.amdhsa_group_segment_fixed_size 256
		.amdhsa_private_segment_fixed_size 0
		.amdhsa_kernarg_size 384
		.amdhsa_user_sgpr_count 2
		.amdhsa_user_sgpr_dispatch_ptr 0
		.amdhsa_user_sgpr_queue_ptr 0
		.amdhsa_user_sgpr_kernarg_segment_ptr 1
		.amdhsa_user_sgpr_dispatch_id 0
		.amdhsa_user_sgpr_kernarg_preload_length 0
		.amdhsa_user_sgpr_kernarg_preload_offset 0
		.amdhsa_user_sgpr_private_segment_size 0
		.amdhsa_uses_dynamic_stack 0
		.amdhsa_enable_private_segment 0
		.amdhsa_system_sgpr_workgroup_id_x 1
		.amdhsa_system_sgpr_workgroup_id_y 1
		.amdhsa_system_sgpr_workgroup_id_z 1
		.amdhsa_system_sgpr_workgroup_info 0
		.amdhsa_system_vgpr_workitem_id 0
		.amdhsa_next_free_vgpr 80
		.amdhsa_next_free_sgpr 48
		.amdhsa_accum_offset 80
		.amdhsa_reserve_vcc 1
		.amdhsa_float_round_mode_32 0
		.amdhsa_float_round_mode_16_64 0
		.amdhsa_float_denorm_mode_32 3
		.amdhsa_float_denorm_mode_16_64 3
		.amdhsa_dx10_clamp 1
		.amdhsa_ieee_mode 1
		.amdhsa_fp16_overflow 0
		.amdhsa_tg_split 0
		.amdhsa_exception_fp_ieee_invalid_op 0
		.amdhsa_exception_fp_denorm_src 0
		.amdhsa_exception_fp_ieee_div_zero 0
		.amdhsa_exception_fp_ieee_overflow 0
		.amdhsa_exception_fp_ieee_underflow 0
		.amdhsa_exception_fp_ieee_inexact 0
		.amdhsa_exception_int_div_zero 0
	.end_amdhsa_kernel
	.section	.text._ZN4vllm25paged_attention_v1_kernelIttLi120ELi32ELi128ELNS_18Fp8KVCacheDataTypeE0ELb1EEEvPT_PKS2_PKT0_S8_ifPKiSA_iPKfiiiSC_SC_iiiii,"axG",@progbits,_ZN4vllm25paged_attention_v1_kernelIttLi120ELi32ELi128ELNS_18Fp8KVCacheDataTypeE0ELb1EEEvPT_PKS2_PKT0_S8_ifPKiSA_iPKfiiiSC_SC_iiiii,comdat
.Lfunc_end95:
	.size	_ZN4vllm25paged_attention_v1_kernelIttLi120ELi32ELi128ELNS_18Fp8KVCacheDataTypeE0ELb1EEEvPT_PKS2_PKT0_S8_ifPKiSA_iPKfiiiSC_SC_iiiii, .Lfunc_end95-_ZN4vllm25paged_attention_v1_kernelIttLi120ELi32ELi128ELNS_18Fp8KVCacheDataTypeE0ELb1EEEvPT_PKS2_PKT0_S8_ifPKiSA_iPKfiiiSC_SC_iiiii
                                        ; -- End function
	.section	.AMDGPU.csdata,"",@progbits
; Kernel info:
; codeLenInByte = 9952
; NumSgprs: 54
; NumVgprs: 80
; NumAgprs: 0
; TotalNumVgprs: 80
; ScratchSize: 0
; MemoryBound: 0
; FloatMode: 240
; IeeeMode: 1
; LDSByteSize: 256 bytes/workgroup (compile time only)
; SGPRBlocks: 6
; VGPRBlocks: 9
; NumSGPRsForWavesPerEU: 54
; NumVGPRsForWavesPerEU: 80
; AccumOffset: 80
; Occupancy: 6
; WaveLimiterHint : 1
; COMPUTE_PGM_RSRC2:SCRATCH_EN: 0
; COMPUTE_PGM_RSRC2:USER_SGPR: 2
; COMPUTE_PGM_RSRC2:TRAP_HANDLER: 0
; COMPUTE_PGM_RSRC2:TGID_X_EN: 1
; COMPUTE_PGM_RSRC2:TGID_Y_EN: 1
; COMPUTE_PGM_RSRC2:TGID_Z_EN: 1
; COMPUTE_PGM_RSRC2:TIDIG_COMP_CNT: 0
; COMPUTE_PGM_RSRC3_GFX90A:ACCUM_OFFSET: 19
; COMPUTE_PGM_RSRC3_GFX90A:TG_SPLIT: 0
	.section	.text._ZN4vllm25paged_attention_v1_kernelIttLi128ELi32ELi128ELNS_18Fp8KVCacheDataTypeE0ELb1EEEvPT_PKS2_PKT0_S8_ifPKiSA_iPKfiiiSC_SC_iiiii,"axG",@progbits,_ZN4vllm25paged_attention_v1_kernelIttLi128ELi32ELi128ELNS_18Fp8KVCacheDataTypeE0ELb1EEEvPT_PKS2_PKT0_S8_ifPKiSA_iPKfiiiSC_SC_iiiii,comdat
	.protected	_ZN4vllm25paged_attention_v1_kernelIttLi128ELi32ELi128ELNS_18Fp8KVCacheDataTypeE0ELb1EEEvPT_PKS2_PKT0_S8_ifPKiSA_iPKfiiiSC_SC_iiiii ; -- Begin function _ZN4vllm25paged_attention_v1_kernelIttLi128ELi32ELi128ELNS_18Fp8KVCacheDataTypeE0ELb1EEEvPT_PKS2_PKT0_S8_ifPKiSA_iPKfiiiSC_SC_iiiii
	.globl	_ZN4vllm25paged_attention_v1_kernelIttLi128ELi32ELi128ELNS_18Fp8KVCacheDataTypeE0ELb1EEEvPT_PKS2_PKT0_S8_ifPKiSA_iPKfiiiSC_SC_iiiii
	.p2align	8
	.type	_ZN4vllm25paged_attention_v1_kernelIttLi128ELi32ELi128ELNS_18Fp8KVCacheDataTypeE0ELb1EEEvPT_PKS2_PKT0_S8_ifPKiSA_iPKfiiiSC_SC_iiiii,@function
_ZN4vllm25paged_attention_v1_kernelIttLi128ELi32ELi128ELNS_18Fp8KVCacheDataTypeE0ELb1EEEvPT_PKS2_PKT0_S8_ifPKiSA_iPKfiiiSC_SC_iiiii: ; @_ZN4vllm25paged_attention_v1_kernelIttLi128ELi32ELi128ELNS_18Fp8KVCacheDataTypeE0ELb1EEEvPT_PKS2_PKT0_S8_ifPKiSA_iPKfiiiSC_SC_iiiii
; %bb.0:
	s_load_dword s5, s[0:1], 0x80
	s_load_dwordx2 s[6:7], s[0:1], 0x30
	s_load_dwordx2 s[30:31], s[0:1], 0x20
	s_mov_b32 s20, s3
	s_ashr_i32 s21, s3, 31
	s_lshl_b64 s[8:9], s[20:21], 2
	s_waitcnt lgkmcnt(0)
	s_add_u32 s6, s6, s8
	s_addc_u32 s7, s7, s9
	s_abs_i32 s3, s30
	v_cvt_f32_u32_e32 v1, s3
	s_sub_i32 s10, 0, s3
	s_abs_i32 s9, s5
	s_xor_b32 s8, s5, s30
	v_rcp_iflag_f32_e32 v1, v1
	s_ashr_i32 s8, s8, 31
	s_mov_b32 s43, 0
	v_mul_f32_e32 v1, 0x4f7ffffe, v1
	v_cvt_u32_f32_e32 v1, v1
	s_nop 0
	v_readfirstlane_b32 s11, v1
	s_mul_i32 s10, s10, s11
	s_mul_hi_u32 s10, s11, s10
	s_add_i32 s11, s11, s10
	s_mul_hi_u32 s10, s9, s11
	s_mul_i32 s11, s10, s3
	s_sub_i32 s9, s9, s11
	s_add_i32 s11, s10, 1
	s_sub_i32 s12, s9, s3
	s_cmp_ge_u32 s9, s3
	s_cselect_b32 s10, s11, s10
	s_cselect_b32 s9, s12, s9
	s_add_i32 s11, s10, 1
	s_cmp_ge_u32 s9, s3
	s_cselect_b32 s3, s11, s10
	s_xor_b32 s3, s3, s8
	s_sub_i32 s12, s3, s8
	s_abs_i32 s10, s12
	v_cvt_f32_u32_e32 v1, s10
	s_load_dwordx2 s[8:9], s[0:1], 0x40
	s_sub_i32 s3, 0, s10
	s_abs_i32 s11, s2
	v_rcp_iflag_f32_e32 v1, v1
	s_nop 0
	v_mul_f32_e32 v1, 0x4f7ffffe, v1
	v_cvt_u32_f32_e32 v1, v1
	s_nop 0
	v_readfirstlane_b32 s13, v1
	s_mul_i32 s3, s3, s13
	s_mul_hi_u32 s3, s13, s3
	s_add_i32 s13, s13, s3
	s_waitcnt lgkmcnt(0)
	s_cmp_eq_u64 s[8:9], 0
	s_mul_hi_u32 s24, s11, s13
	s_cbranch_scc1 .LBB96_2
; %bb.1:
	s_ashr_i32 s3, s2, 31
	s_lshl_b64 s[14:15], s[2:3], 2
	s_add_u32 s8, s8, s14
	s_addc_u32 s9, s9, s15
	s_load_dword s43, s[8:9], 0x0
.LBB96_2:
	s_load_dword s21, s[6:7], 0x0
	s_ashr_i32 s9, s12, 31
	s_load_dwordx4 s[12:15], s[0:1], 0x48
	s_ashr_i32 s3, s2, 31
	v_and_b32_e32 v4, 1, v0
	s_lshl_b32 s22, s2, 7
	v_cmp_gt_u32_e32 vcc, 32, v0
	v_lshlrev_b32_e32 v31, 3, v0
	s_and_saveexec_b64 s[6:7], vcc
	s_cbranch_execz .LBB96_4
; %bb.3:
	s_load_dwordx2 s[16:17], s[0:1], 0x8
	s_waitcnt lgkmcnt(0)
	s_mul_i32 s18, s20, s12
	s_ashr_i32 s19, s18, 31
	s_lshl_b64 s[18:19], s[18:19], 1
	v_lshlrev_b32_e32 v1, 2, v0
	s_add_u32 s8, s16, s18
	s_addc_u32 s12, s17, s19
	s_ashr_i32 s23, s22, 31
	s_lshl_b64 s[16:17], s[22:23], 1
	s_add_u32 s16, s8, s16
	s_addc_u32 s17, s12, s17
	global_load_dwordx2 v[2:3], v31, s[16:17]
	v_and_b32_e32 v1, 0xff8, v1
	v_lshl_add_u32 v1, v4, 7, v1
	s_waitcnt vmcnt(0)
	ds_write_b64 v1, v[2:3]
.LBB96_4:
	s_or_b64 exec, exec, s[6:7]
	s_mul_i32 s6, s24, s10
	s_sub_i32 s6, s11, s6
	s_xor_b32 s3, s3, s9
	s_add_i32 s7, s24, 1
	s_sub_i32 s9, s6, s10
	s_load_dwordx4 s[16:19], s[0:1], 0x68
	s_load_dword s8, s[0:1], 0x78
	s_cmp_ge_u32 s6, s10
	s_cselect_b32 s7, s7, s24
	s_cselect_b32 s6, s9, s6
	s_add_i32 s9, s7, 1
	s_cmp_ge_u32 s6, s10
	s_cselect_b32 s6, s9, s7
	s_waitcnt lgkmcnt(0)
	s_abs_i32 s23, s19
	v_cvt_f32_u32_e32 v1, s23
	s_xor_b32 s6, s6, s3
	s_sub_i32 s3, s6, s3
	s_sub_i32 s6, 0, s23
	v_rcp_iflag_f32_e32 v1, v1
	s_add_i32 s15, s21, -1
	s_abs_i32 s9, s15
	v_mul_f32_e32 v1, 0x4f7ffffe, v1
	v_cvt_u32_f32_e32 v1, v1
	s_barrier
	v_readfirstlane_b32 s33, v1
	s_mul_i32 s6, s6, s33
	s_mul_hi_u32 s6, s33, s6
	s_add_i32 s33, s33, s6
	s_cmp_lt_i32 s8, 0
	s_mul_hi_u32 s12, s9, s33
	s_cbranch_scc0 .LBB96_6
; %bb.5:
	s_mul_i32 s6, s16, s30
	s_add_i32 s6, s3, s6
	s_mul_i32 s6, s6, s8
	s_sub_i32 s40, 1, s6
	s_mov_b64 s[6:7], 0
	s_branch .LBB96_7
.LBB96_6:
	s_mov_b64 s[6:7], -1
                                        ; implicit-def: $sgpr40
.LBB96_7:
	s_load_dwordx2 s[10:11], s[0:1], 0x28
	s_ashr_i32 s15, s15, 31
	s_andn2_b64 vcc, exec, s[6:7]
	s_ashr_i32 s41, s19, 31
	s_cbranch_vccnz .LBB96_9
; %bb.8:
	s_mul_i32 s6, s5, s16
	s_add_i32 s2, s6, s2
	s_mul_i32 s2, s2, s8
	s_add_i32 s40, s2, 1
.LBB96_9:
	s_load_dword s2, s[0:1], 0x38
	s_load_dwordx2 s[24:25], s[0:1], 0x0
	s_load_dwordx2 s[28:29], s[0:1], 0x18
	s_load_dword s19, s[0:1], 0x88
	s_xor_b32 s6, s15, s41
	s_waitcnt lgkmcnt(0)
	s_mul_i32 s26, s20, s2
	s_mul_i32 s2, s12, s23
	s_sub_i32 s2, s9, s2
	s_ashr_i32 s27, s26, 31
	s_add_i32 s7, s12, 1
	s_sub_i32 s8, s2, s23
	s_cmp_ge_u32 s2, s23
	s_cselect_b32 s7, s7, s12
	s_cselect_b32 s2, s8, s2
	s_add_i32 s8, s7, 1
	s_cmp_ge_u32 s2, s23
	s_cselect_b32 s2, s8, s7
	s_xor_b32 s2, s2, s6
	s_sub_i32 s12, s2, s6
	s_add_i32 s2, s21, 31
	s_ashr_i32 s6, s2, 31
	s_lshr_b32 s6, s6, 27
	s_add_i32 s2, s2, s6
	s_ashr_i32 s42, s2, 5
	v_lshrrev_b32_e32 v1, 6, v0
	v_cmp_gt_i32_e64 s[6:7], s42, v1
	v_mov_b32_e32 v36, 0xff7fffff
	s_mul_i32 s14, s3, s14
	v_lshrrev_b32_e32 v32, 4, v0
	v_lshlrev_b32_e32 v30, 5, v1
	v_mbcnt_lo_u32_b32 v33, -1, 0
	s_and_saveexec_b64 s[34:35], s[6:7]
	s_cbranch_execz .LBB96_19
; %bb.10:
	s_load_dwordx2 s[0:1], s[0:1], 0x10
	s_ashr_i32 s15, s14, 31
	s_sub_i32 s16, s12, s17
	s_lshl_b64 s[8:9], s[14:15], 1
	v_bfe_u32 v34, v0, 1, 5
	s_waitcnt lgkmcnt(0)
	s_add_u32 s0, s0, s8
	s_addc_u32 s1, s1, s9
	s_abs_i32 s15, s18
	v_cvt_f32_u32_e32 v2, s15
	s_sub_i32 s8, 0, s15
	v_cmp_eq_u32_e64 s[2:3], 0, v4
	v_lshlrev_b32_e32 v6, 4, v34
	v_rcp_iflag_f32_e32 v5, v2
	v_mov_b32_e32 v7, 0
	v_lshlrev_b32_e32 v35, 7, v4
	v_lshl_add_u64 v[2:3], s[0:1], 0, v[6:7]
	v_mul_f32_e32 v5, 0x4f7ffffe, v5
	v_cvt_u32_f32_e32 v5, v5
	v_and_b32_e32 v6, 8, v31
	v_lshl_add_u64 v[2:3], v[2:3], 0, v[6:7]
	v_and_b32_e32 v6, 60, v32
	v_mul_lo_u32 v4, s8, v5
	s_lshl_b64 s[8:9], s[26:27], 2
	s_add_u32 s8, s10, s8
	v_mul_hi_u32 v4, v5, v4
	s_addc_u32 s9, s11, s9
	v_add_u32_e32 v37, v5, v4
	v_lshl_add_u64 v[4:5], s[8:9], 0, v[6:7]
	v_lshlrev_b32_e32 v6, 2, v34
	v_lshl_or_b32 v6, v1, 7, v6
	v_add_u32_e32 v39, 0x110, v6
	v_subrev_u32_e32 v6, s21, v34
	v_mbcnt_hi_u32_b32 v42, -1, v33
	v_add_u32_e32 v40, 1, v6
	v_and_b32_e32 v6, 64, v42
	s_mov_b32 s30, s13
	v_cmp_neq_f32_e64 s[0:1], s43, 0
	v_lshlrev_b32_e32 v38, 5, v1
	s_mov_b64 s[36:37], 0
	v_mov_b32_e32 v41, 0xff7fffff
	s_movk_i32 s44, 0x1000
	v_xor_b32_e32 v43, 1, v42
	v_add_u32_e32 v44, 64, v6
	v_mov_b32_e32 v36, 0xff7fffff
	v_mov_b32_e32 v45, v1
	s_branch .LBB96_13
.LBB96_11:                              ;   in Loop: Header=BB96_13 Depth=1
	s_or_b64 exec, exec, s[38:39]
.LBB96_12:                              ;   in Loop: Header=BB96_13 Depth=1
	s_or_b64 exec, exec, s[8:9]
	v_add_u32_e32 v45, 2, v45
	v_cmp_le_i32_e32 vcc, s42, v45
	v_lshl_add_u64 v[4:5], v[4:5], 0, 8
	v_add_u32_e32 v38, 64, v38
	s_or_b64 s[36:37], vcc, s[36:37]
	v_add_u32_e32 v39, 0x100, v39
	s_andn2_b64 exec, exec, s[36:37]
	s_cbranch_execz .LBB96_18
.LBB96_13:                              ; =>This Inner Loop Header: Depth=1
	v_mul_hi_u32 v6, v38, s33
	s_waitcnt lgkmcnt(0)
	v_mul_lo_u32 v7, v6, s23
	v_sub_u32_e32 v7, v38, v7
	v_add_u32_e32 v8, 1, v6
	v_cmp_le_u32_e32 vcc, s23, v7
	s_nop 1
	v_cndmask_b32_e32 v6, v6, v8, vcc
	v_subrev_u32_e32 v8, s23, v7
	v_cndmask_b32_e32 v7, v7, v8, vcc
	v_add_u32_e32 v8, 1, v6
	v_cmp_le_u32_e32 vcc, s23, v7
	s_nop 1
	v_cndmask_b32_e32 v6, v6, v8, vcc
	v_xor_b32_e32 v6, s41, v6
	v_subrev_u32_e32 v6, s41, v6
	v_add_u32_e32 v7, s40, v6
	v_sub_u32_e32 v9, 0, v7
	v_ashrrev_i32_e32 v8, 31, v7
	v_max_i32_e32 v7, v7, v9
	v_mul_hi_u32 v9, v7, v37
	v_mul_lo_u32 v9, v9, s15
	v_sub_u32_e32 v7, v7, v9
	v_subrev_u32_e32 v9, s15, v7
	v_cmp_le_u32_e32 vcc, s15, v7
	v_cmp_ge_i32_e64 s[8:9], s16, v6
	s_nop 0
	v_cndmask_b32_e32 v7, v7, v9, vcc
	v_subrev_u32_e32 v9, s15, v7
	v_cmp_le_u32_e32 vcc, s15, v7
	s_nop 1
	v_cndmask_b32_e32 v7, v7, v9, vcc
	v_xor_b32_e32 v7, v7, v8
	v_sub_u32_e32 v7, v7, v8
	v_cmp_ne_u32_e32 vcc, 0, v7
	s_and_b64 s[8:9], vcc, s[8:9]
	s_and_b64 s[46:47], s[2:3], s[8:9]
	s_and_saveexec_b64 s[38:39], s[46:47]
	s_cbranch_execz .LBB96_15
; %bb.14:                               ;   in Loop: Header=BB96_13 Depth=1
	ds_write_b32 v39, v41
.LBB96_15:                              ;   in Loop: Header=BB96_13 Depth=1
	s_or_b64 exec, exec, s[38:39]
	s_xor_b64 s[38:39], s[8:9], -1
	s_and_saveexec_b64 s[8:9], s[38:39]
	s_cbranch_execz .LBB96_12
; %bb.16:                               ;   in Loop: Header=BB96_13 Depth=1
	global_load_dword v6, v[4:5], off
	s_waitcnt vmcnt(0)
	v_mad_i64_i32 v[6:7], s[38:39], v6, s30, 0
	v_lshl_add_u64 v[6:7], v[6:7], 1, v[2:3]
	global_load_dwordx2 v[48:49], v[6:7], off
	global_load_dwordx2 v[50:51], v[6:7], off offset:512
	global_load_dwordx2 v[52:53], v[6:7], off offset:1024
	;; [unrolled: 1-line block ×7, first 2 shown]
	v_add_co_u32_e32 v46, vcc, s44, v6
	s_waitcnt vmcnt(6)
	v_lshrrev_b32_e32 v60, 16, v50
	v_addc_co_u32_e32 v47, vcc, 0, v7, vcc
	global_load_dwordx2 v[20:21], v[46:47], off
	ds_read_b64 v[6:7], v35
	v_and_b32_e32 v50, 0xffff, v50
	s_waitcnt vmcnt(1)
	v_lshrrev_b32_e32 v74, 16, v22
	v_and_b32_e32 v75, 0xffff, v22
	v_lshrrev_b32_e32 v76, 16, v23
	s_waitcnt lgkmcnt(0)
	v_lshrrev_b32_e32 v56, 16, v6
	v_and_b32_e32 v57, 0xffff, v6
	v_lshrrev_b32_e32 v58, 16, v7
	v_and_b32_e32 v59, 0xffff, v7
	global_load_dwordx2 v[18:19], v[46:47], off offset:512
	global_load_dwordx2 v[16:17], v[46:47], off offset:1024
	;; [unrolled: 1-line block ×7, first 2 shown]
	;;#ASMSTART
	v_cvt_f32_f16 v46, v57;
	;;#ASMEND
	;;#ASMSTART
	v_cvt_f32_f16 v47, v56;
	;;#ASMEND
	v_lshrrev_b32_e32 v56, 16, v48
	v_and_b32_e32 v48, 0xffff, v48
	v_lshrrev_b32_e32 v57, 16, v49
	v_and_b32_e32 v49, 0xffff, v49
	v_and_b32_e32 v77, 0xffff, v23
	;;#ASMSTART
	v_cvt_f32_f16 v48, v48;
	;;#ASMEND
	;;#ASMSTART
	v_cvt_f32_f16 v56, v56;
	;;#ASMEND
	;; [unrolled: 3-line block ×6, first 2 shown]
	ds_read_b64 v[22:23], v35 offset:8
	v_lshrrev_b32_e32 v61, 16, v51
	v_and_b32_e32 v51, 0xffff, v51
	v_lshrrev_b32_e32 v70, 16, v24
	v_and_b32_e32 v71, 0xffff, v24
	;; [unrolled: 2-line block ×11, first 2 shown]
	v_cmp_lt_i32_e32 vcc, v43, v44
	s_waitcnt vmcnt(7)
	v_lshrrev_b32_e32 v78, 16, v20
	v_and_b32_e32 v79, 0xffff, v20
	v_lshrrev_b32_e32 v80, 16, v21
	v_and_b32_e32 v81, 0xffff, v21
	s_waitcnt lgkmcnt(0)
	v_and_b32_e32 v20, 0xffff, v22
	v_lshrrev_b32_e32 v21, 16, v22
	v_lshrrev_b32_e32 v22, 16, v23
	v_and_b32_e32 v23, 0xffff, v23
	;;#ASMSTART
	v_cvt_f32_f16 v20, v20;
	;;#ASMEND
	;;#ASMSTART
	v_cvt_f32_f16 v21, v21;
	;;#ASMEND
	;; [unrolled: 3-line block ×8, first 2 shown]
	ds_read_b64 v[24:25], v35 offset:16
	v_mul_f32_e32 v20, v20, v50
	v_mul_f32_e32 v21, v21, v60
	;; [unrolled: 1-line block ×3, first 2 shown]
	v_fmac_f32_e32 v20, v46, v48
	v_fmac_f32_e32 v21, v47, v56
	s_waitcnt lgkmcnt(0)
	v_lshrrev_b32_e32 v46, 16, v24
	v_and_b32_e32 v24, 0xffff, v24
	v_lshrrev_b32_e32 v47, 16, v25
	v_and_b32_e32 v25, 0xffff, v25
	v_mul_f32_e32 v23, v82, v51
	v_fmac_f32_e32 v22, v59, v49
	;;#ASMSTART
	v_cvt_f32_f16 v48, v24;
	;;#ASMEND
	;;#ASMSTART
	v_cvt_f32_f16 v46, v46;
	;;#ASMEND
	;;#ASMSTART
	v_cvt_f32_f16 v49, v52;
	;;#ASMEND
	;;#ASMSTART
	v_cvt_f32_f16 v50, v62;
	;;#ASMEND
	;;#ASMSTART
	v_cvt_f32_f16 v51, v25;
	;;#ASMEND
	;;#ASMSTART
	v_cvt_f32_f16 v47, v47;
	;;#ASMEND
	;;#ASMSTART
	v_cvt_f32_f16 v52, v53;
	;;#ASMEND
	;;#ASMSTART
	v_cvt_f32_f16 v53, v63;
	;;#ASMEND
	ds_read_b64 v[24:25], v35 offset:24
	v_fmac_f32_e32 v23, v58, v57
	v_fmac_f32_e32 v21, v46, v50
	;; [unrolled: 1-line block ×4, first 2 shown]
	s_waitcnt lgkmcnt(0)
	v_lshrrev_b32_e32 v46, 16, v24
	v_and_b32_e32 v24, 0xffff, v24
	v_lshrrev_b32_e32 v47, 16, v25
	v_and_b32_e32 v25, 0xffff, v25
	v_fmac_f32_e32 v22, v51, v52
	;;#ASMSTART
	v_cvt_f32_f16 v48, v24;
	;;#ASMEND
	;;#ASMSTART
	v_cvt_f32_f16 v46, v46;
	;;#ASMEND
	;;#ASMSTART
	v_cvt_f32_f16 v49, v54;
	;;#ASMEND
	;;#ASMSTART
	v_cvt_f32_f16 v50, v64;
	;;#ASMEND
	;;#ASMSTART
	v_cvt_f32_f16 v51, v25;
	;;#ASMEND
	;;#ASMSTART
	v_cvt_f32_f16 v47, v47;
	;;#ASMEND
	;;#ASMSTART
	v_cvt_f32_f16 v52, v55;
	;;#ASMEND
	;;#ASMSTART
	v_cvt_f32_f16 v53, v65;
	;;#ASMEND
	ds_read_b64 v[24:25], v35 offset:32
	v_fmac_f32_e32 v21, v46, v50
	v_fmac_f32_e32 v23, v47, v53
	v_fmac_f32_e32 v20, v48, v49
	v_fmac_f32_e32 v22, v51, v52
	s_waitcnt lgkmcnt(0)
	v_lshrrev_b32_e32 v46, 16, v24
	v_and_b32_e32 v24, 0xffff, v24
	v_lshrrev_b32_e32 v47, 16, v25
	v_and_b32_e32 v25, 0xffff, v25
	;;#ASMSTART
	v_cvt_f32_f16 v48, v24;
	;;#ASMEND
	;;#ASMSTART
	v_cvt_f32_f16 v46, v46;
	;;#ASMEND
	;;#ASMSTART
	v_cvt_f32_f16 v28, v28;
	;;#ASMEND
	;;#ASMSTART
	v_cvt_f32_f16 v49, v66;
	;;#ASMEND
	;;#ASMSTART
	v_cvt_f32_f16 v50, v25;
	;;#ASMEND
	;;#ASMSTART
	v_cvt_f32_f16 v47, v47;
	;;#ASMEND
	;;#ASMSTART
	v_cvt_f32_f16 v29, v29;
	;;#ASMEND
	;;#ASMSTART
	v_cvt_f32_f16 v51, v67;
	;;#ASMEND
	ds_read_b64 v[24:25], v35 offset:40
	v_fmac_f32_e32 v20, v48, v28
	v_fmac_f32_e32 v22, v50, v29
	v_fmac_f32_e32 v21, v46, v49
	v_fmac_f32_e32 v23, v47, v51
	s_waitcnt lgkmcnt(0)
	v_lshrrev_b32_e32 v28, 16, v24
	v_and_b32_e32 v24, 0xffff, v24
	v_lshrrev_b32_e32 v29, 16, v25
	v_and_b32_e32 v25, 0xffff, v25
	;; [unrolled: 34-line block ×5, first 2 shown]
	;;#ASMSTART
	v_cvt_f32_f16 v28, v24;
	;;#ASMEND
	;;#ASMSTART
	v_cvt_f32_f16 v26, v26;
	;;#ASMEND
	;; [unrolled: 3-line block ×8, first 2 shown]
	ds_read_b64 v[24:25], v35 offset:72
	v_fmac_f32_e32 v21, v26, v46
	v_fmac_f32_e32 v23, v27, v49
	s_waitcnt vmcnt(6)
	v_lshrrev_b32_e32 v27, 16, v18
	v_and_b32_e32 v18, 0xffff, v18
	s_waitcnt lgkmcnt(0)
	v_lshrrev_b32_e32 v26, 16, v24
	v_and_b32_e32 v24, 0xffff, v24
	v_fmac_f32_e32 v20, v28, v29
	;;#ASMSTART
	v_cvt_f32_f16 v24, v24;
	;;#ASMEND
	;;#ASMSTART
	v_cvt_f32_f16 v26, v26;
	;;#ASMEND
	;;#ASMSTART
	v_cvt_f32_f16 v28, v18;
	;;#ASMEND
	v_lshrrev_b32_e32 v18, 16, v25
	v_and_b32_e32 v25, 0xffff, v25
	;;#ASMSTART
	v_cvt_f32_f16 v27, v27;
	;;#ASMEND
	;;#ASMSTART
	v_cvt_f32_f16 v25, v25;
	;;#ASMEND
	;;#ASMSTART
	v_cvt_f32_f16 v29, v18;
	;;#ASMEND
	v_lshrrev_b32_e32 v18, 16, v19
	v_and_b32_e32 v19, 0xffff, v19
	v_fmac_f32_e32 v22, v47, v48
	;;#ASMSTART
	v_cvt_f32_f16 v46, v19;
	;;#ASMEND
	;;#ASMSTART
	v_cvt_f32_f16 v47, v18;
	;;#ASMEND
	ds_read_b64 v[18:19], v35 offset:80
	v_fmac_f32_e32 v20, v24, v28
	v_fmac_f32_e32 v22, v25, v46
	s_waitcnt vmcnt(5)
	v_lshrrev_b32_e32 v25, 16, v16
	v_and_b32_e32 v16, 0xffff, v16
	s_waitcnt lgkmcnt(0)
	v_lshrrev_b32_e32 v24, 16, v18
	v_and_b32_e32 v18, 0xffff, v18
	v_fmac_f32_e32 v21, v26, v27
	;;#ASMSTART
	v_cvt_f32_f16 v18, v18;
	;;#ASMEND
	;;#ASMSTART
	v_cvt_f32_f16 v24, v24;
	;;#ASMEND
	;;#ASMSTART
	v_cvt_f32_f16 v26, v16;
	;;#ASMEND
	v_lshrrev_b32_e32 v16, 16, v19
	v_and_b32_e32 v19, 0xffff, v19
	;;#ASMSTART
	v_cvt_f32_f16 v25, v25;
	;;#ASMEND
	;;#ASMSTART
	v_cvt_f32_f16 v19, v19;
	;;#ASMEND
	;;#ASMSTART
	v_cvt_f32_f16 v27, v16;
	;;#ASMEND
	v_lshrrev_b32_e32 v16, 16, v17
	v_and_b32_e32 v17, 0xffff, v17
	v_fmac_f32_e32 v23, v29, v47
	;;#ASMSTART
	v_cvt_f32_f16 v28, v17;
	;;#ASMEND
	;;#ASMSTART
	v_cvt_f32_f16 v29, v16;
	;;#ASMEND
	;; [unrolled: 39-line block ×6, first 2 shown]
	ds_read_b64 v[8:9], v35 offset:120
	v_fmac_f32_e32 v20, v10, v14
	v_fmac_f32_e32 v22, v11, v16
	s_waitcnt vmcnt(0)
	v_lshrrev_b32_e32 v11, 16, v6
	v_and_b32_e32 v6, 0xffff, v6
	s_waitcnt lgkmcnt(0)
	v_lshrrev_b32_e32 v10, 16, v8
	v_and_b32_e32 v8, 0xffff, v8
	;;#ASMSTART
	v_cvt_f32_f16 v8, v8;
	;;#ASMEND
	;;#ASMSTART
	v_cvt_f32_f16 v10, v10;
	;;#ASMEND
	;; [unrolled: 3-line block ×3, first 2 shown]
	v_fmac_f32_e32 v21, v12, v13
	v_fmac_f32_e32 v20, v8, v6
	v_lshrrev_b32_e32 v6, 16, v9
	v_and_b32_e32 v8, 0xffff, v9
	v_fmac_f32_e32 v23, v15, v17
	;;#ASMSTART
	v_cvt_f32_f16 v11, v11;
	;;#ASMEND
	;;#ASMSTART
	v_cvt_f32_f16 v8, v8;
	;;#ASMEND
	;; [unrolled: 3-line block ×3, first 2 shown]
	v_lshrrev_b32_e32 v9, 16, v7
	v_fmac_f32_e32 v21, v10, v11
	v_and_b32_e32 v7, 0xffff, v7
	;;#ASMSTART
	v_cvt_f32_f16 v7, v7;
	;;#ASMEND
	;;#ASMSTART
	v_cvt_f32_f16 v9, v9;
	;;#ASMEND
	s_nop 0
	v_fmac_f32_e32 v22, v8, v7
	v_fmac_f32_e32 v23, v6, v9
	v_add_f32_e32 v6, v20, v21
	v_add_f32_e32 v6, v6, v22
	v_cndmask_b32_e32 v7, v42, v43, vcc
	v_add_f32_e32 v6, v23, v6
	v_lshlrev_b32_e32 v7, 2, v7
	ds_bpermute_b32 v7, v7, v6
	s_and_saveexec_b64 s[38:39], s[2:3]
	s_cbranch_execz .LBB96_11
; %bb.17:                               ;   in Loop: Header=BB96_13 Depth=1
	v_add_u32_e32 v8, v40, v38
	v_cvt_f32_i32_e32 v8, v8
	s_waitcnt lgkmcnt(0)
	v_add_f32_e32 v6, v6, v7
	v_add_u32_e32 v9, v34, v38
	v_cmp_gt_i32_e32 vcc, s21, v9
	v_mul_f32_e32 v7, s43, v8
	v_cndmask_b32_e64 v7, 0, v7, s[0:1]
	v_fmac_f32_e32 v7, s31, v6
	v_cndmask_b32_e32 v6, 0, v7, vcc
	ds_write_b32 v39, v6
	v_max_f32_e32 v6, v36, v36
	v_max_f32_e32 v6, v6, v7
	v_cndmask_b32_e32 v36, v36, v6, vcc
	s_branch .LBB96_11
.LBB96_18:
	s_or_b64 exec, exec, s[36:37]
.LBB96_19:
	s_or_b64 exec, exec, s[34:35]
	v_mbcnt_hi_u32_b32 v8, -1, v33
	v_and_b32_e32 v2, 64, v8
	v_add_u32_e32 v9, 64, v2
	v_xor_b32_e32 v2, 32, v8
	v_cmp_lt_i32_e32 vcc, v2, v9
	v_xor_b32_e32 v5, 16, v8
	v_max_f32_e32 v4, v36, v36
	v_cndmask_b32_e32 v2, v8, v2, vcc
	v_lshlrev_b32_e32 v2, 2, v2
	ds_bpermute_b32 v3, v2, v36
	v_cmp_lt_i32_e32 vcc, v5, v9
	v_xor_b32_e32 v6, 8, v8
	s_waitcnt lgkmcnt(1)
	v_xor_b32_e32 v7, 4, v8
	v_xor_b32_e32 v10, 2, v8
	s_waitcnt lgkmcnt(0)
	v_max_f32_e32 v3, v3, v3
	v_max_f32_e32 v4, v4, v3
	v_cndmask_b32_e32 v3, v8, v5, vcc
	v_lshlrev_b32_e32 v3, 2, v3
	ds_bpermute_b32 v5, v3, v4
	v_cmp_lt_i32_e32 vcc, v6, v9
	v_and_b32_e32 v33, 63, v0
	s_waitcnt lgkmcnt(0)
	v_max_f32_e32 v5, v5, v5
	v_max_f32_e32 v5, v4, v5
	v_cndmask_b32_e32 v4, v8, v6, vcc
	v_lshlrev_b32_e32 v4, 2, v4
	ds_bpermute_b32 v6, v4, v5
	v_cmp_lt_i32_e32 vcc, v7, v9
	s_waitcnt lgkmcnt(0)
	v_max_f32_e32 v6, v6, v6
	v_max_f32_e32 v6, v5, v6
	v_cndmask_b32_e32 v5, v8, v7, vcc
	v_lshlrev_b32_e32 v5, 2, v5
	ds_bpermute_b32 v7, v5, v6
	v_cmp_lt_i32_e32 vcc, v10, v9
	s_waitcnt lgkmcnt(0)
	v_max_f32_e32 v7, v7, v7
	v_max_f32_e32 v7, v6, v7
	v_cndmask_b32_e32 v6, v8, v10, vcc
	v_lshlrev_b32_e32 v34, 2, v6
	ds_bpermute_b32 v10, v34, v7
	v_cmp_eq_u32_e32 vcc, 0, v33
	v_lshlrev_b32_e32 v6, 2, v1
	s_and_saveexec_b64 s[0:1], vcc
	s_cbranch_execz .LBB96_21
; %bb.20:
	s_waitcnt lgkmcnt(0)
	v_max_f32_e32 v10, v10, v10
	v_max_f32_e32 v7, v7, v7
	;; [unrolled: 1-line block ×3, first 2 shown]
	ds_write_b32 v6, v7 offset:256
.LBB96_21:
	s_or_b64 exec, exec, s[0:1]
	v_cmp_gt_u32_e64 s[0:1], 2, v33
	s_waitcnt lgkmcnt(0)
	v_mov_b32_e32 v10, 0xff7fffff
	v_lshlrev_b32_e32 v7, 2, v33
	s_barrier
	s_and_saveexec_b64 s[2:3], s[0:1]
	s_cbranch_execz .LBB96_23
; %bb.22:
	ds_read_b32 v10, v7 offset:256
.LBB96_23:
	s_or_b64 exec, exec, s[2:3]
	v_xor_b32_e32 v11, 1, v8
	v_cmp_lt_i32_e64 s[2:3], v11, v9
	s_nop 1
	v_cndmask_b32_e64 v9, v8, v11, s[2:3]
	v_lshlrev_b32_e32 v35, 2, v9
	s_waitcnt lgkmcnt(0)
	ds_bpermute_b32 v9, v35, v10
	v_max_f32_e32 v10, v10, v10
	v_lshlrev_b32_e32 v8, 2, v8
	v_and_b32_e32 v8, 0x100, v8
	s_lshl_b32 s2, s42, 5
	s_waitcnt lgkmcnt(0)
	v_max_f32_e32 v9, v9, v9
	v_max_f32_e32 v9, v10, v9
	ds_bpermute_b32 v10, v8, v9
	s_min_i32 s15, s2, s21
	v_cmp_gt_i32_e64 s[2:3], s15, v0
	v_mov_b32_e32 v9, 0
	s_and_saveexec_b64 s[30:31], s[2:3]
	s_cbranch_execz .LBB96_27
; %bb.24:
	v_mov_b32_e32 v9, 0x110
	v_lshl_add_u32 v11, v0, 2, v9
	s_mov_b64 s[34:35], 0
	v_mov_b32_e32 v9, 0
	v_mov_b32_e32 v12, v0
.LBB96_25:                              ; =>This Inner Loop Header: Depth=1
	ds_read_b32 v13, v11
	v_add_u32_e32 v12, 0x80, v12
	v_cmp_le_i32_e64 s[8:9], s15, v12
	s_or_b64 s[34:35], s[8:9], s[34:35]
	s_waitcnt lgkmcnt(0)
	v_sub_f32_e32 v13, v13, v10
	v_mul_f32_e32 v13, 0x3fb8aa3b, v13
	v_exp_f32_e32 v13, v13
	ds_write_b32 v11, v13
	v_add_f32_e32 v9, v9, v13
	v_add_u32_e32 v11, 0x200, v11
	s_andn2_b64 exec, exec, s[34:35]
	s_cbranch_execnz .LBB96_25
; %bb.26:
	s_or_b64 exec, exec, s[34:35]
.LBB96_27:
	s_or_b64 exec, exec, s[30:31]
	ds_bpermute_b32 v2, v2, v9
	s_waitcnt lgkmcnt(0)
	v_add_f32_e32 v2, v9, v2
	ds_bpermute_b32 v3, v3, v2
	s_waitcnt lgkmcnt(0)
	v_add_f32_e32 v2, v2, v3
	;; [unrolled: 3-line block ×6, first 2 shown]
	s_and_saveexec_b64 s[8:9], vcc
	s_cbranch_execz .LBB96_29
; %bb.28:
	ds_write_b32 v6, v2 offset:264
.LBB96_29:
	s_or_b64 exec, exec, s[8:9]
	s_waitcnt lgkmcnt(0)
	s_barrier
	s_and_saveexec_b64 s[8:9], s[0:1]
	s_cbranch_execz .LBB96_31
; %bb.30:
	ds_read_b32 v2, v7 offset:264
.LBB96_31:
	s_or_b64 exec, exec, s[8:9]
	s_waitcnt lgkmcnt(0)
	ds_bpermute_b32 v3, v35, v2
	s_waitcnt lgkmcnt(0)
	v_add_f32_e32 v2, v2, v3
	ds_bpermute_b32 v2, v8, v2
	s_and_saveexec_b64 s[0:1], s[2:3]
	s_cbranch_execz .LBB96_44
; %bb.32:
	s_waitcnt lgkmcnt(0)
	v_add_f32_e32 v2, 0x358637bd, v2
	v_div_scale_f32 v3, s[2:3], v2, v2, 1.0
	v_rcp_f32_e32 v4, v3
	v_div_scale_f32 v5, vcc, 1.0, v2, 1.0
	s_movk_i32 s2, 0x7f
	v_fma_f32 v6, -v3, v4, 1.0
	v_fmac_f32_e32 v4, v6, v4
	v_mul_f32_e32 v6, v5, v4
	v_fma_f32 v7, -v3, v6, v5
	v_fmac_f32_e32 v6, v7, v4
	v_fma_f32 v3, -v3, v6, v5
	v_div_fmas_f32 v3, v3, v4, v6
	v_xad_u32 v4, v0, -1, s15
	v_div_fixup_f32 v2, v3, v2, 1.0
	v_cmp_lt_u32_e32 vcc, s2, v4
	s_mov_b64 s[8:9], -1
	v_mov_b32_e32 v3, v0
	s_and_saveexec_b64 s[2:3], vcc
	s_cbranch_execz .LBB96_41
; %bb.33:
	v_lshrrev_b32_e32 v4, 7, v4
	v_add_u32_e32 v6, -1, v4
	v_lshrrev_b32_e32 v5, 1, v6
	v_mov_b32_e32 v3, v2
	v_add_u32_e32 v5, 1, v5
	v_cmp_lt_u32_e32 vcc, 13, v6
	v_mov_b32_e32 v8, 0
	s_and_saveexec_b64 s[8:9], vcc
	s_cbranch_execz .LBB96_37
; %bb.34:
	v_mov_b32_e32 v7, 0x110
	v_and_b32_e32 v6, -8, v5
	v_lshl_add_u32 v7, v0, 2, v7
	s_mov_b32 s16, 0
	s_mov_b64 s[30:31], 0
.LBB96_35:                              ; =>This Inner Loop Header: Depth=1
	ds_read2st64_b32 v[8:9], v7 offset1:2
	ds_read2st64_b32 v[10:11], v7 offset0:4 offset1:6
	ds_read2st64_b32 v[12:13], v7 offset0:8 offset1:10
	;; [unrolled: 1-line block ×3, first 2 shown]
	v_add_u32_e32 v6, -8, v6
	s_waitcnt lgkmcnt(3)
	v_pk_mul_f32 v[8:9], v[2:3], v[8:9]
	s_waitcnt lgkmcnt(2)
	v_pk_mul_f32 v[10:11], v[2:3], v[10:11]
	ds_write2st64_b32 v7, v8, v9 offset1:2
	ds_write2st64_b32 v7, v10, v11 offset0:4 offset1:6
	ds_read2st64_b32 v[10:11], v7 offset0:16 offset1:18
	s_waitcnt lgkmcnt(4)
	v_pk_mul_f32 v[8:9], v[2:3], v[12:13]
	ds_write2st64_b32 v7, v8, v9 offset0:8 offset1:10
	s_waitcnt lgkmcnt(4)
	v_pk_mul_f32 v[8:9], v[2:3], v[14:15]
	ds_write2st64_b32 v7, v8, v9 offset0:12 offset1:14
	ds_read2st64_b32 v[8:9], v7 offset0:20 offset1:22
	s_waitcnt lgkmcnt(3)
	v_pk_mul_f32 v[10:11], v[2:3], v[10:11]
	ds_read2st64_b32 v[12:13], v7 offset0:24 offset1:26
	ds_write2st64_b32 v7, v10, v11 offset0:16 offset1:18
	ds_read2st64_b32 v[10:11], v7 offset0:28 offset1:30
	s_waitcnt lgkmcnt(3)
	v_pk_mul_f32 v[8:9], v[2:3], v[8:9]
	ds_write2st64_b32 v7, v8, v9 offset0:20 offset1:22
	s_waitcnt lgkmcnt(3)
	v_pk_mul_f32 v[8:9], v[2:3], v[12:13]
	ds_write2st64_b32 v7, v8, v9 offset0:24 offset1:26
	s_waitcnt lgkmcnt(2)
	v_pk_mul_f32 v[8:9], v[2:3], v[10:11]
	s_add_i32 s16, s16, 16
	v_cmp_eq_u32_e32 vcc, 0, v6
	ds_write2st64_b32 v7, v8, v9 offset0:28 offset1:30
	v_add_u32_e32 v7, 0x2000, v7
	s_or_b64 s[30:31], vcc, s[30:31]
	v_mov_b32_e32 v8, s16
	s_andn2_b64 exec, exec, s[30:31]
	s_cbranch_execnz .LBB96_35
; %bb.36:
	s_or_b64 exec, exec, s[30:31]
.LBB96_37:
	s_or_b64 exec, exec, s[8:9]
	v_and_b32_e32 v5, 7, v5
	v_cmp_ne_u32_e32 vcc, 0, v5
	s_and_saveexec_b64 s[8:9], vcc
	s_cbranch_execz .LBB96_40
; %bb.38:
	v_lshlrev_b32_e32 v6, 9, v8
	v_lshlrev_b32_e32 v7, 2, v0
	s_movk_i32 s16, 0x110
	v_add3_u32 v6, v6, v7, s16
	s_mov_b64 s[30:31], 0
.LBB96_39:                              ; =>This Inner Loop Header: Depth=1
	ds_read2st64_b32 v[8:9], v6 offset1:2
	v_add_u32_e32 v5, -1, v5
	v_cmp_eq_u32_e32 vcc, 0, v5
	s_or_b64 s[30:31], vcc, s[30:31]
	s_waitcnt lgkmcnt(0)
	v_pk_mul_f32 v[8:9], v[2:3], v[8:9]
	ds_write2st64_b32 v6, v8, v9 offset1:2
	v_add_u32_e32 v6, 0x400, v6
	s_andn2_b64 exec, exec, s[30:31]
	s_cbranch_execnz .LBB96_39
.LBB96_40:
	s_or_b64 exec, exec, s[8:9]
	v_add_u32_e32 v4, 1, v4
	v_and_b32_e32 v5, 0x3fffffe, v4
	v_cmp_ne_u32_e32 vcc, v4, v5
	v_lshl_add_u32 v3, v5, 7, v0
	s_orn2_b64 s[8:9], vcc, exec
.LBB96_41:
	s_or_b64 exec, exec, s[2:3]
	s_and_b64 exec, exec, s[8:9]
	s_cbranch_execz .LBB96_44
; %bb.42:
	v_mov_b32_e32 v4, 0x110
	v_lshl_add_u32 v4, v3, 2, v4
	s_mov_b64 s[2:3], 0
.LBB96_43:                              ; =>This Inner Loop Header: Depth=1
	ds_read_b32 v5, v4
	v_add_u32_e32 v3, 0x80, v3
	v_cmp_le_i32_e32 vcc, s15, v3
	s_or_b64 s[2:3], vcc, s[2:3]
	s_waitcnt lgkmcnt(0)
	v_mul_f32_e32 v5, v2, v5
	ds_write_b32 v4, v5
	v_add_u32_e32 v4, 0x200, v4
	s_andn2_b64 exec, exec, s[2:3]
	s_cbranch_execnz .LBB96_43
.LBB96_44:
	s_or_b64 exec, exec, s[0:1]
	s_mov_b32 s8, 0
	v_mov_b32_e32 v9, 0
	v_and_b32_e32 v36, 3, v0
	v_mov_b32_e32 v8, 0
	v_mov_b32_e32 v7, 0
	;; [unrolled: 1-line block ×6, first 2 shown]
	s_waitcnt lgkmcnt(0)
	v_mov_b32_e32 v2, 0
	s_barrier
	s_and_saveexec_b64 s[2:3], s[6:7]
	s_cbranch_execz .LBB96_66
; %bb.45:
	s_ashr_i32 s15, s14, 31
	s_sub_i32 s30, s12, s17
	s_lshl_b64 s[0:1], s[14:15], 1
	s_add_u32 s6, s28, s0
	s_addc_u32 s7, s29, s1
	s_abs_i32 s18, s18
	v_cvt_f32_u32_e32 v2, s18
	s_sub_i32 s0, 0, s18
	v_and_b32_e32 v37, 24, v31
	s_add_i32 s28, s42, -1
	v_rcp_iflag_f32_e32 v2, v2
	v_and_b32_e32 v10, 0x1f8, v31
	s_mov_b32 s9, s8
	s_mov_b32 s31, s13
	v_mul_f32_e32 v2, 0x4f7ffffe, v2
	v_cvt_u32_f32_e32 v2, v2
	v_mov_b32_e32 v15, 0
	v_or_b32_e32 v12, 0x800, v10
	v_or_b32_e32 v20, 0xa00, v10
	v_mul_lo_u32 v3, s0, v2
	v_mul_hi_u32 v3, v2, v3
	v_add_u32_e32 v31, v2, v3
	s_lshl_b64 s[0:1], s[26:27], 2
	v_lshlrev_b32_e32 v2, 5, v36
	s_add_u32 s0, s10, s0
	v_lshl_or_b32 v2, v1, 7, v2
	v_or_b32_e32 v22, 0xc00, v10
	v_or_b32_e32 v24, 0xe00, v10
	v_and_b32_e32 v14, 60, v32
	s_addc_u32 s1, s11, s1
	v_add_u32_e32 v32, 0x110, v2
	s_mov_b32 s10, s8
	s_mov_b32 s11, s8
	;; [unrolled: 1-line block ×6, first 2 shown]
	v_mov_b64_e32 v[2:3], s[8:9]
	s_mov_b32 s29, s21
	s_mov_b32 s34, s21
	;; [unrolled: 1-line block ×7, first 2 shown]
	v_lshl_add_u64 v[16:17], s[0:1], 0, v[14:15]
	s_mov_b64 s[16:17], 0
	v_mov_b64_e32 v[4:5], s[10:11]
	v_mov_b64_e32 v[6:7], s[12:13]
	;; [unrolled: 1-line block ×3, first 2 shown]
	v_lshlrev_b32_e32 v18, 1, v10
	s_mov_b32 s12, 0x5040100
	v_lshlrev_b32_e32 v14, 1, v12
	v_lshlrev_b32_e32 v20, 1, v20
	;; [unrolled: 1-line block ×4, first 2 shown]
	s_branch .LBB96_48
.LBB96_46:                              ;   in Loop: Header=BB96_48 Depth=1
	s_or_b64 exec, exec, s[0:1]
	v_add_f32_e32 v19, v49, v50
	s_waitcnt vmcnt(0)
	;;#ASMSTART
	v_pk_mul_f16 v10, v48, v10;

	;;#ASMEND
	v_add_f32_e32 v2, v2, v19
	v_add_f32_e32 v19, v51, v52
	;;#ASMSTART
	v_pk_mul_f16 v11, v47, v11;

	;;#ASMEND
	;;#ASMSTART
	v_pk_mul_f16 v12, v46, v12;

	;;#ASMEND
	;;#ASMSTART
	v_pk_mul_f16 v13, v45, v13;

	;;#ASMEND
	v_add_f32_e32 v3, v3, v19
	;;#ASMSTART
	v_pk_add_f16 v10, v10, v11;

	;;#ASMEND
	v_add_f32_e32 v19, v53, v54
	;;#ASMSTART
	v_pk_add_f16 v10, v10, v12;

	;;#ASMEND
	v_add_f32_e32 v4, v4, v19
	v_add_f32_e32 v19, v28, v29
	;;#ASMSTART
	v_pk_add_f16 v10, v10, v13;

	;;#ASMEND
	v_add_f32_e32 v5, v5, v19
	v_add_f32_e32 v19, v55, v56
	v_lshrrev_b32_e32 v11, 16, v10
	v_and_b32_e32 v10, 0xffff, v10
	v_add_f32_e32 v6, v6, v19
	v_add_f32_e32 v19, v21, v57
	;;#ASMSTART
	v_cvt_f32_f16 v10, v10;
	;;#ASMEND
	v_add_f32_e32 v7, v7, v19
	v_add_f32_e32 v19, v23, v58
	;;#ASMSTART
	v_cvt_f32_f16 v11, v11;
	;;#ASMEND
	v_add_f32_e32 v8, v8, v19
	v_add_f32_e32 v10, v10, v11
	;; [unrolled: 1-line block ×3, first 2 shown]
.LBB96_47:                              ;   in Loop: Header=BB96_48 Depth=1
	s_or_b64 exec, exec, s[8:9]
	v_add_u32_e32 v1, 2, v1
	v_cmp_le_i32_e32 vcc, s42, v1
	v_lshl_add_u64 v[16:17], v[16:17], 0, 8
	v_add_u32_e32 v30, 64, v30
	s_or_b64 s[16:17], vcc, s[16:17]
	v_add_u32_e32 v32, 0x100, v32
	s_andn2_b64 exec, exec, s[16:17]
	s_cbranch_execz .LBB96_65
.LBB96_48:                              ; =>This Inner Loop Header: Depth=1
	v_mul_hi_u32 v10, v30, s33
	v_mul_lo_u32 v11, v10, s23
	v_sub_u32_e32 v11, v30, v11
	v_add_u32_e32 v12, 1, v10
	v_cmp_le_u32_e32 vcc, s23, v11
	s_nop 1
	v_cndmask_b32_e32 v10, v10, v12, vcc
	v_subrev_u32_e32 v12, s23, v11
	v_cndmask_b32_e32 v11, v11, v12, vcc
	v_add_u32_e32 v12, 1, v10
	v_cmp_le_u32_e32 vcc, s23, v11
	s_nop 1
	v_cndmask_b32_e32 v10, v10, v12, vcc
	v_xor_b32_e32 v10, s41, v10
	v_subrev_u32_e32 v10, s41, v10
	v_add_u32_e32 v11, s40, v10
	v_sub_u32_e32 v13, 0, v11
	v_ashrrev_i32_e32 v12, 31, v11
	v_max_i32_e32 v11, v11, v13
	v_mul_hi_u32 v13, v11, v31
	v_mul_lo_u32 v13, v13, s18
	v_sub_u32_e32 v11, v11, v13
	v_subrev_u32_e32 v13, s18, v11
	v_cmp_le_u32_e32 vcc, s18, v11
	v_cmp_lt_i32_e64 s[0:1], s30, v10
	s_nop 0
	v_cndmask_b32_e32 v11, v11, v13, vcc
	v_subrev_u32_e32 v13, s18, v11
	v_cmp_le_u32_e32 vcc, s18, v11
	s_nop 1
	v_cndmask_b32_e32 v11, v11, v13, vcc
	v_xor_b32_e32 v11, v11, v12
	v_sub_u32_e32 v11, v11, v12
	v_cmp_eq_u32_e32 vcc, 0, v11
	s_or_b64 s[0:1], vcc, s[0:1]
	s_and_saveexec_b64 s[8:9], s[0:1]
	s_cbranch_execz .LBB96_47
; %bb.49:                               ;   in Loop: Header=BB96_48 Depth=1
	global_load_dword v19, v[16:17], off
	ds_read2_b64 v[10:13], v32 offset1:1
	ds_read2_b64 v[26:29], v32 offset0:2 offset1:3
	v_cmp_eq_u32_e32 vcc, s28, v1
	s_waitcnt lgkmcnt(1)
	;;#ASMSTART
	v_cvt_f16_f32 v21, v10;

	;;#ASMEND
	;;#ASMSTART
	v_cvt_f16_f32 v23, v11;

	;;#ASMEND
	;; [unrolled: 4-line block ×4, first 2 shown]
	s_waitcnt lgkmcnt(0)
	;;#ASMSTART
	v_cvt_f16_f32 v46, v26;

	;;#ASMEND
	;;#ASMSTART
	v_cvt_f16_f32 v49, v27;

	;;#ASMEND
	;; [unrolled: 4-line block ×4, first 2 shown]
	s_waitcnt vmcnt(0)
	v_mad_i64_i32 v[10:11], s[0:1], v19, s31, 0
	v_lshl_add_u64 v[26:27], v[10:11], 1, s[6:7]
	v_mov_b32_e32 v19, v15
	v_lshl_add_u64 v[28:29], v[26:27], 0, v[18:19]
	global_load_dwordx4 v[10:13], v[28:29], off
	v_add_u32_e32 v19, v37, v30
	v_add_u32_e32 v38, 1, v19
	v_or_b32_e32 v40, 3, v19
	v_or_b32_e32 v39, 2, v19
	;; [unrolled: 1-line block ×6, first 2 shown]
	s_and_saveexec_b64 s[10:11], vcc
	s_cbranch_execz .LBB96_51
; %bb.50:                               ;   in Loop: Header=BB96_48 Depth=1
	s_waitcnt vmcnt(0)
	v_lshrrev_b32_e32 v47, 16, v13
	v_cmp_gt_i32_e64 s[0:1], s39, v44
	s_nop 1
	v_cndmask_b32_e64 v47, 0, v47, s[0:1]
	v_cmp_gt_i32_e64 s[0:1], s38, v43
	s_nop 1
	v_cndmask_b32_e64 v13, 0, v13, s[0:1]
	v_perm_b32 v13, v47, v13, s12
	v_lshrrev_b32_e32 v47, 16, v12
	v_cmp_gt_i32_e64 s[0:1], s37, v42
	s_nop 1
	v_cndmask_b32_e64 v47, 0, v47, s[0:1]
	v_cmp_gt_i32_e64 s[0:1], s36, v41
	s_nop 1
	v_cndmask_b32_e64 v12, 0, v12, s[0:1]
	v_perm_b32 v12, v47, v12, s12
	v_lshrrev_b32_e32 v47, 16, v11
	v_cmp_gt_i32_e64 s[0:1], s35, v40
	s_nop 1
	v_cndmask_b32_e64 v47, 0, v47, s[0:1]
	v_cmp_gt_i32_e64 s[0:1], s34, v39
	s_nop 1
	v_cndmask_b32_e64 v11, 0, v11, s[0:1]
	v_perm_b32 v11, v47, v11, s12
	v_lshrrev_b32_e32 v47, 16, v10
	v_cmp_gt_i32_e64 s[0:1], s29, v38
	s_nop 1
	v_cndmask_b32_e64 v47, 0, v47, s[0:1]
	v_cmp_gt_i32_e64 s[0:1], s21, v19
	s_nop 1
	v_cndmask_b32_e64 v10, 0, v10, s[0:1]
	v_perm_b32 v10, v47, v10, s12
.LBB96_51:                              ;   in Loop: Header=BB96_48 Depth=1
	s_or_b64 exec, exec, s[10:11]
	v_and_b32_e32 v21, 0xffff, v21
	v_lshl_or_b32 v48, v23, 16, v21
	v_and_b32_e32 v21, 0xffff, v25
	v_lshl_or_b32 v47, v45, 16, v21
	v_and_b32_e32 v21, 0xffff, v46
	v_lshl_or_b32 v46, v49, 16, v21
	v_and_b32_e32 v21, 0xffff, v50
	s_waitcnt vmcnt(0)
	;;#ASMSTART
	v_pk_mul_f16 v10, v48, v10;

	;;#ASMEND
	v_lshl_or_b32 v45, v51, 16, v21
	;;#ASMSTART
	v_pk_mul_f16 v11, v47, v11;

	;;#ASMEND
	;;#ASMSTART
	v_pk_mul_f16 v12, v46, v12;

	;;#ASMEND
	;; [unrolled: 4-line block ×3, first 2 shown]
	s_nop 0
	;;#ASMSTART
	v_pk_add_f16 v10, v10, v11;

	;;#ASMEND
	s_nop 0
	;;#ASMSTART
	v_pk_add_f16 v10, v10, v12;

	;;#ASMEND
	s_nop 0
	;;#ASMSTART
	v_pk_add_f16 v10, v10, v13;

	;;#ASMEND
	s_nop 0
	v_lshrrev_b32_e32 v11, 16, v10
	v_and_b32_e32 v10, 0xffff, v10
	;;#ASMSTART
	v_cvt_f32_f16 v49, v10;
	;;#ASMEND
	;;#ASMSTART
	v_cvt_f32_f16 v50, v11;
	;;#ASMEND
	global_load_dwordx4 v[10:13], v[28:29], off offset:1024
	s_and_saveexec_b64 s[10:11], vcc
	s_cbranch_execz .LBB96_53
; %bb.52:                               ;   in Loop: Header=BB96_48 Depth=1
	s_waitcnt vmcnt(0)
	v_lshrrev_b32_e32 v21, 16, v13
	v_cmp_gt_i32_e64 s[0:1], s39, v44
	s_nop 1
	v_cndmask_b32_e64 v21, 0, v21, s[0:1]
	v_cmp_gt_i32_e64 s[0:1], s38, v43
	s_nop 1
	v_cndmask_b32_e64 v13, 0, v13, s[0:1]
	v_perm_b32 v13, v21, v13, s12
	v_lshrrev_b32_e32 v21, 16, v12
	v_cmp_gt_i32_e64 s[0:1], s37, v42
	s_nop 1
	v_cndmask_b32_e64 v21, 0, v21, s[0:1]
	v_cmp_gt_i32_e64 s[0:1], s36, v41
	s_nop 1
	v_cndmask_b32_e64 v12, 0, v12, s[0:1]
	v_perm_b32 v12, v21, v12, s12
	;; [unrolled: 8-line block ×4, first 2 shown]
.LBB96_53:                              ;   in Loop: Header=BB96_48 Depth=1
	s_or_b64 exec, exec, s[10:11]
	s_waitcnt vmcnt(0)
	;;#ASMSTART
	v_pk_mul_f16 v10, v48, v10;

	;;#ASMEND
	;;#ASMSTART
	v_pk_mul_f16 v11, v47, v11;

	;;#ASMEND
	;; [unrolled: 4-line block ×4, first 2 shown]
	s_nop 0
	;;#ASMSTART
	v_pk_add_f16 v10, v10, v11;

	;;#ASMEND
	s_nop 0
	;;#ASMSTART
	v_pk_add_f16 v10, v10, v12;

	;;#ASMEND
	;; [unrolled: 5-line block ×3, first 2 shown]
	s_nop 0
	v_lshrrev_b32_e32 v11, 16, v10
	v_and_b32_e32 v10, 0xffff, v10
	;;#ASMSTART
	v_cvt_f32_f16 v51, v10;
	;;#ASMEND
	;;#ASMSTART
	v_cvt_f32_f16 v52, v11;
	;;#ASMEND
	global_load_dwordx4 v[10:13], v[28:29], off offset:2048
	s_and_saveexec_b64 s[10:11], vcc
	s_cbranch_execz .LBB96_55
; %bb.54:                               ;   in Loop: Header=BB96_48 Depth=1
	s_waitcnt vmcnt(0)
	v_lshrrev_b32_e32 v21, 16, v13
	v_cmp_gt_i32_e64 s[0:1], s39, v44
	s_nop 1
	v_cndmask_b32_e64 v21, 0, v21, s[0:1]
	v_cmp_gt_i32_e64 s[0:1], s38, v43
	s_nop 1
	v_cndmask_b32_e64 v13, 0, v13, s[0:1]
	v_perm_b32 v13, v21, v13, s12
	v_lshrrev_b32_e32 v21, 16, v12
	v_cmp_gt_i32_e64 s[0:1], s37, v42
	s_nop 1
	v_cndmask_b32_e64 v21, 0, v21, s[0:1]
	v_cmp_gt_i32_e64 s[0:1], s36, v41
	s_nop 1
	v_cndmask_b32_e64 v12, 0, v12, s[0:1]
	v_perm_b32 v12, v21, v12, s12
	;; [unrolled: 8-line block ×4, first 2 shown]
.LBB96_55:                              ;   in Loop: Header=BB96_48 Depth=1
	s_or_b64 exec, exec, s[10:11]
	s_waitcnt vmcnt(0)
	;;#ASMSTART
	v_pk_mul_f16 v10, v48, v10;

	;;#ASMEND
	;;#ASMSTART
	v_pk_mul_f16 v11, v47, v11;

	;;#ASMEND
	;; [unrolled: 4-line block ×4, first 2 shown]
	s_nop 0
	;;#ASMSTART
	v_pk_add_f16 v10, v10, v11;

	;;#ASMEND
	s_nop 0
	;;#ASMSTART
	v_pk_add_f16 v10, v10, v12;

	;;#ASMEND
	;; [unrolled: 5-line block ×3, first 2 shown]
	s_nop 0
	v_lshrrev_b32_e32 v11, 16, v10
	v_and_b32_e32 v10, 0xffff, v10
	;;#ASMSTART
	v_cvt_f32_f16 v53, v10;
	;;#ASMEND
	;;#ASMSTART
	v_cvt_f32_f16 v54, v11;
	;;#ASMEND
	global_load_dwordx4 v[10:13], v[28:29], off offset:3072
	s_and_saveexec_b64 s[10:11], vcc
	s_cbranch_execz .LBB96_57
; %bb.56:                               ;   in Loop: Header=BB96_48 Depth=1
	s_waitcnt vmcnt(0)
	v_lshrrev_b32_e32 v21, 16, v13
	v_cmp_gt_i32_e64 s[0:1], s39, v44
	s_nop 1
	v_cndmask_b32_e64 v21, 0, v21, s[0:1]
	v_cmp_gt_i32_e64 s[0:1], s38, v43
	s_nop 1
	v_cndmask_b32_e64 v13, 0, v13, s[0:1]
	v_perm_b32 v13, v21, v13, s12
	v_lshrrev_b32_e32 v21, 16, v12
	v_cmp_gt_i32_e64 s[0:1], s37, v42
	s_nop 1
	v_cndmask_b32_e64 v21, 0, v21, s[0:1]
	v_cmp_gt_i32_e64 s[0:1], s36, v41
	s_nop 1
	v_cndmask_b32_e64 v12, 0, v12, s[0:1]
	v_perm_b32 v12, v21, v12, s12
	;; [unrolled: 8-line block ×4, first 2 shown]
.LBB96_57:                              ;   in Loop: Header=BB96_48 Depth=1
	s_or_b64 exec, exec, s[10:11]
	s_waitcnt vmcnt(0)
	;;#ASMSTART
	v_pk_mul_f16 v10, v48, v10;

	;;#ASMEND
	;;#ASMSTART
	v_pk_mul_f16 v11, v47, v11;

	;;#ASMEND
	;; [unrolled: 4-line block ×4, first 2 shown]
	s_nop 0
	;;#ASMSTART
	v_pk_add_f16 v10, v10, v11;

	;;#ASMEND
	s_nop 0
	;;#ASMSTART
	v_pk_add_f16 v10, v10, v12;

	;;#ASMEND
	;; [unrolled: 5-line block ×3, first 2 shown]
	s_nop 0
	v_lshrrev_b32_e32 v11, 16, v10
	v_and_b32_e32 v10, 0xffff, v10
	;;#ASMSTART
	v_cvt_f32_f16 v28, v10;
	;;#ASMEND
	;;#ASMSTART
	v_cvt_f32_f16 v29, v11;
	;;#ASMEND
	v_lshl_add_u64 v[10:11], v[26:27], 0, v[14:15]
	global_load_dwordx4 v[10:13], v[10:11], off
	s_and_saveexec_b64 s[10:11], vcc
	s_cbranch_execz .LBB96_59
; %bb.58:                               ;   in Loop: Header=BB96_48 Depth=1
	s_waitcnt vmcnt(0)
	v_lshrrev_b32_e32 v21, 16, v13
	v_cmp_gt_i32_e64 s[0:1], s39, v44
	s_nop 1
	v_cndmask_b32_e64 v21, 0, v21, s[0:1]
	v_cmp_gt_i32_e64 s[0:1], s38, v43
	s_nop 1
	v_cndmask_b32_e64 v13, 0, v13, s[0:1]
	v_perm_b32 v13, v21, v13, s12
	v_lshrrev_b32_e32 v21, 16, v12
	v_cmp_gt_i32_e64 s[0:1], s37, v42
	s_nop 1
	v_cndmask_b32_e64 v21, 0, v21, s[0:1]
	v_cmp_gt_i32_e64 s[0:1], s36, v41
	s_nop 1
	v_cndmask_b32_e64 v12, 0, v12, s[0:1]
	v_perm_b32 v12, v21, v12, s12
	;; [unrolled: 8-line block ×4, first 2 shown]
.LBB96_59:                              ;   in Loop: Header=BB96_48 Depth=1
	s_or_b64 exec, exec, s[10:11]
	s_waitcnt vmcnt(0)
	;;#ASMSTART
	v_pk_mul_f16 v10, v48, v10;

	;;#ASMEND
	;;#ASMSTART
	v_pk_mul_f16 v11, v47, v11;

	;;#ASMEND
	;; [unrolled: 4-line block ×4, first 2 shown]
	v_mov_b32_e32 v21, v15
	;;#ASMSTART
	v_pk_add_f16 v10, v10, v11;

	;;#ASMEND
	s_nop 0
	;;#ASMSTART
	v_pk_add_f16 v10, v10, v12;

	;;#ASMEND
	s_nop 0
	;; [unrolled: 5-line block ×3, first 2 shown]
	v_lshrrev_b32_e32 v11, 16, v10
	v_and_b32_e32 v10, 0xffff, v10
	;;#ASMSTART
	v_cvt_f32_f16 v55, v10;
	;;#ASMEND
	;;#ASMSTART
	v_cvt_f32_f16 v56, v11;
	;;#ASMEND
	v_lshl_add_u64 v[10:11], v[26:27], 0, v[20:21]
	global_load_dwordx4 v[10:13], v[10:11], off
	s_and_saveexec_b64 s[10:11], vcc
	s_cbranch_execz .LBB96_61
; %bb.60:                               ;   in Loop: Header=BB96_48 Depth=1
	s_waitcnt vmcnt(0)
	v_lshrrev_b32_e32 v21, 16, v13
	v_cmp_gt_i32_e64 s[0:1], s39, v44
	s_nop 1
	v_cndmask_b32_e64 v21, 0, v21, s[0:1]
	v_cmp_gt_i32_e64 s[0:1], s38, v43
	s_nop 1
	v_cndmask_b32_e64 v13, 0, v13, s[0:1]
	v_perm_b32 v13, v21, v13, s12
	v_lshrrev_b32_e32 v21, 16, v12
	v_cmp_gt_i32_e64 s[0:1], s37, v42
	s_nop 1
	v_cndmask_b32_e64 v21, 0, v21, s[0:1]
	v_cmp_gt_i32_e64 s[0:1], s36, v41
	s_nop 1
	v_cndmask_b32_e64 v12, 0, v12, s[0:1]
	v_perm_b32 v12, v21, v12, s12
	;; [unrolled: 8-line block ×4, first 2 shown]
.LBB96_61:                              ;   in Loop: Header=BB96_48 Depth=1
	s_or_b64 exec, exec, s[10:11]
	s_waitcnt vmcnt(0)
	;;#ASMSTART
	v_pk_mul_f16 v10, v48, v10;

	;;#ASMEND
	;;#ASMSTART
	v_pk_mul_f16 v11, v47, v11;

	;;#ASMEND
	;; [unrolled: 4-line block ×4, first 2 shown]
	v_mov_b32_e32 v23, v15
	;;#ASMSTART
	v_pk_add_f16 v10, v10, v11;

	;;#ASMEND
	s_nop 0
	;;#ASMSTART
	v_pk_add_f16 v10, v10, v12;

	;;#ASMEND
	s_nop 0
	;; [unrolled: 5-line block ×3, first 2 shown]
	v_lshrrev_b32_e32 v11, 16, v10
	v_and_b32_e32 v10, 0xffff, v10
	;;#ASMSTART
	v_cvt_f32_f16 v21, v10;
	;;#ASMEND
	;;#ASMSTART
	v_cvt_f32_f16 v57, v11;
	;;#ASMEND
	v_lshl_add_u64 v[10:11], v[26:27], 0, v[22:23]
	global_load_dwordx4 v[10:13], v[10:11], off
	s_and_saveexec_b64 s[10:11], vcc
	s_cbranch_execz .LBB96_63
; %bb.62:                               ;   in Loop: Header=BB96_48 Depth=1
	s_waitcnt vmcnt(0)
	v_lshrrev_b32_e32 v23, 16, v13
	v_cmp_gt_i32_e64 s[0:1], s39, v44
	s_nop 1
	v_cndmask_b32_e64 v23, 0, v23, s[0:1]
	v_cmp_gt_i32_e64 s[0:1], s38, v43
	s_nop 1
	v_cndmask_b32_e64 v13, 0, v13, s[0:1]
	v_perm_b32 v13, v23, v13, s12
	v_lshrrev_b32_e32 v23, 16, v12
	v_cmp_gt_i32_e64 s[0:1], s37, v42
	s_nop 1
	v_cndmask_b32_e64 v23, 0, v23, s[0:1]
	v_cmp_gt_i32_e64 s[0:1], s36, v41
	s_nop 1
	v_cndmask_b32_e64 v12, 0, v12, s[0:1]
	v_perm_b32 v12, v23, v12, s12
	v_lshrrev_b32_e32 v23, 16, v11
	v_cmp_gt_i32_e64 s[0:1], s35, v40
	s_nop 1
	v_cndmask_b32_e64 v23, 0, v23, s[0:1]
	v_cmp_gt_i32_e64 s[0:1], s34, v39
	s_nop 1
	v_cndmask_b32_e64 v11, 0, v11, s[0:1]
	v_perm_b32 v11, v23, v11, s12
	v_lshrrev_b32_e32 v23, 16, v10
	v_cmp_gt_i32_e64 s[0:1], s29, v38
	s_nop 1
	v_cndmask_b32_e64 v23, 0, v23, s[0:1]
	v_cmp_gt_i32_e64 s[0:1], s21, v19
	s_nop 1
	v_cndmask_b32_e64 v10, 0, v10, s[0:1]
	v_perm_b32 v10, v23, v10, s12
.LBB96_63:                              ;   in Loop: Header=BB96_48 Depth=1
	s_or_b64 exec, exec, s[10:11]
	s_waitcnt vmcnt(0)
	;;#ASMSTART
	v_pk_mul_f16 v10, v48, v10;

	;;#ASMEND
	;;#ASMSTART
	v_pk_mul_f16 v11, v47, v11;

	;;#ASMEND
	;; [unrolled: 4-line block ×4, first 2 shown]
	v_mov_b32_e32 v25, v15
	;;#ASMSTART
	v_pk_add_f16 v10, v10, v11;

	;;#ASMEND
	s_nop 0
	;;#ASMSTART
	v_pk_add_f16 v10, v10, v12;

	;;#ASMEND
	s_nop 0
	;; [unrolled: 5-line block ×3, first 2 shown]
	v_lshrrev_b32_e32 v11, 16, v10
	v_and_b32_e32 v10, 0xffff, v10
	;;#ASMSTART
	v_cvt_f32_f16 v23, v10;
	;;#ASMEND
	;;#ASMSTART
	v_cvt_f32_f16 v58, v11;
	;;#ASMEND
	v_lshl_add_u64 v[10:11], v[26:27], 0, v[24:25]
	global_load_dwordx4 v[10:13], v[10:11], off
	s_and_saveexec_b64 s[0:1], vcc
	s_cbranch_execz .LBB96_46
; %bb.64:                               ;   in Loop: Header=BB96_48 Depth=1
	s_waitcnt vmcnt(0)
	v_lshrrev_b32_e32 v25, 16, v13
	v_cmp_gt_i32_e32 vcc, s39, v44
	s_nop 1
	v_cndmask_b32_e32 v25, 0, v25, vcc
	v_cmp_gt_i32_e32 vcc, s38, v43
	s_nop 1
	v_cndmask_b32_e32 v13, 0, v13, vcc
	v_perm_b32 v13, v25, v13, s12
	v_lshrrev_b32_e32 v25, 16, v12
	v_cmp_gt_i32_e32 vcc, s37, v42
	s_nop 1
	v_cndmask_b32_e32 v25, 0, v25, vcc
	v_cmp_gt_i32_e32 vcc, s36, v41
	s_nop 1
	v_cndmask_b32_e32 v12, 0, v12, vcc
	v_perm_b32 v12, v25, v12, s12
	;; [unrolled: 8-line block ×4, first 2 shown]
	s_branch .LBB96_46
.LBB96_65:
	s_or_b64 exec, exec, s[16:17]
.LBB96_66:
	s_or_b64 exec, exec, s[2:3]
	ds_bpermute_b32 v12, v34, v4
	ds_bpermute_b32 v13, v34, v5
	;; [unrolled: 1-line block ×6, first 2 shown]
	s_waitcnt lgkmcnt(4)
	v_pk_add_f32 v[4:5], v[4:5], v[12:13]
	ds_bpermute_b32 v12, v34, v6
	ds_bpermute_b32 v13, v34, v7
	s_waitcnt lgkmcnt(4)
	v_pk_add_f32 v[2:3], v[2:3], v[10:11]
	s_waitcnt lgkmcnt(2)
	v_pk_add_f32 v[16:17], v[8:9], v[16:17]
	ds_bpermute_b32 v10, v35, v2
	ds_bpermute_b32 v11, v35, v3
	s_waitcnt lgkmcnt(2)
	v_pk_add_f32 v[12:13], v[6:7], v[12:13]
	ds_bpermute_b32 v14, v35, v4
	ds_bpermute_b32 v15, v35, v5
	;; [unrolled: 1-line block ×6, first 2 shown]
	v_and_b32_e32 v1, 0x3c3, v0
	s_waitcnt lgkmcnt(6)
	v_pk_add_f32 v[8:9], v[2:3], v[10:11]
	s_waitcnt lgkmcnt(4)
	v_pk_add_f32 v[6:7], v[4:5], v[14:15]
	;; [unrolled: 2-line block ×4, first 2 shown]
	v_cmp_eq_u32_e32 vcc, 64, v1
	s_barrier
	s_and_saveexec_b64 s[0:1], vcc
	s_cbranch_execz .LBB96_68
; %bb.67:
	v_add_u32_e32 v10, 0x110, v33
	ds_write2_b32 v10, v8, v9 offset1:16
	ds_write2_b32 v10, v6, v7 offset0:32 offset1:48
	ds_write2_b32 v10, v4, v5 offset0:64 offset1:80
	;; [unrolled: 1-line block ×3, first 2 shown]
.LBB96_68:
	s_or_b64 exec, exec, s[0:1]
	v_cmp_gt_u32_e32 vcc, 64, v0
	s_waitcnt lgkmcnt(0)
	s_barrier
	s_and_saveexec_b64 s[0:1], vcc
	s_cbranch_execz .LBB96_79
; %bb.69:
	v_cmp_eq_u32_e32 vcc, 0, v36
	v_lshrrev_b32_e32 v10, 2, v0
	s_and_saveexec_b64 s[2:3], vcc
	s_cbranch_execnz .LBB96_82
; %bb.70:
	s_or_b64 exec, exec, s[2:3]
	s_and_saveexec_b64 s[2:3], vcc
	s_cbranch_execnz .LBB96_83
.LBB96_71:
	s_or_b64 exec, exec, s[2:3]
	s_and_saveexec_b64 s[2:3], vcc
	s_cbranch_execnz .LBB96_84
.LBB96_72:
	s_or_b64 exec, exec, s[2:3]
	s_and_saveexec_b64 s[2:3], vcc
	s_cbranch_execnz .LBB96_85
.LBB96_73:
	s_or_b64 exec, exec, s[2:3]
	s_and_saveexec_b64 s[2:3], vcc
	s_cbranch_execnz .LBB96_86
.LBB96_74:
	s_or_b64 exec, exec, s[2:3]
	s_and_saveexec_b64 s[2:3], vcc
	s_cbranch_execnz .LBB96_87
.LBB96_75:
	s_or_b64 exec, exec, s[2:3]
	s_and_saveexec_b64 s[2:3], vcc
	s_cbranch_execnz .LBB96_88
.LBB96_76:
	s_or_b64 exec, exec, s[2:3]
	s_and_saveexec_b64 s[2:3], vcc
	s_cbranch_execz .LBB96_78
.LBB96_77:
	v_mov_b32_e32 v11, 0x110
	v_lshl_add_u32 v10, v10, 2, v11
	ds_read_b32 v10, v10 offset:448
	s_waitcnt lgkmcnt(0)
	v_add_f32_e32 v3, v3, v10
.LBB96_78:
	s_or_b64 exec, exec, s[2:3]
.LBB96_79:
	s_or_b64 exec, exec, s[0:1]
	v_cmp_eq_u32_e32 vcc, 0, v1
	s_barrier
	s_and_saveexec_b64 s[0:1], vcc
	s_cbranch_execz .LBB96_81
; %bb.80:
	s_mul_i32 s0, s20, s19
	s_mul_i32 s0, s0, s5
	s_lshl_b32 s0, s0, 7
	s_ashr_i32 s1, s0, 31
	s_lshl_b64 s[0:1], s[0:1], 1
	s_add_u32 s2, s24, s0
	s_mul_i32 s0, s19, s22
	s_addc_u32 s3, s25, s1
	s_ashr_i32 s1, s0, 31
	s_lshl_b64 s[0:1], s[0:1], 1
	s_add_u32 s2, s2, s0
	s_addc_u32 s3, s3, s1
	s_lshl_b32 s0, s4, 7
	s_ashr_i32 s1, s0, 31
	s_lshl_b64 s[0:1], s[0:1], 1
	s_add_u32 s0, s2, s0
	s_addc_u32 s1, s3, s1
	v_lshrrev_b32_e32 v0, 1, v0
	;;#ASMSTART
	v_cvt_f16_f32 v1, v8;

	;;#ASMEND
	global_store_short v0, v1, s[0:1]
	;;#ASMSTART
	v_cvt_f16_f32 v1, v9;

	;;#ASMEND
	global_store_short v0, v1, s[0:1] offset:32
	;;#ASMSTART
	v_cvt_f16_f32 v1, v6;

	;;#ASMEND
	global_store_short v0, v1, s[0:1] offset:64
	;; [unrolled: 5-line block ×7, first 2 shown]
.LBB96_81:
	s_endpgm
.LBB96_82:
	v_mov_b32_e32 v11, 0x110
	v_lshl_add_u32 v11, v10, 2, v11
	ds_read_b32 v11, v11
	s_waitcnt lgkmcnt(0)
	v_add_f32_e32 v8, v8, v11
	s_or_b64 exec, exec, s[2:3]
	s_and_saveexec_b64 s[2:3], vcc
	s_cbranch_execz .LBB96_71
.LBB96_83:
	v_mov_b32_e32 v11, 0x110
	v_lshl_add_u32 v11, v10, 2, v11
	ds_read_b32 v11, v11 offset:64
	s_waitcnt lgkmcnt(0)
	v_add_f32_e32 v9, v9, v11
	s_or_b64 exec, exec, s[2:3]
	s_and_saveexec_b64 s[2:3], vcc
	s_cbranch_execz .LBB96_72
.LBB96_84:
	v_mov_b32_e32 v11, 0x110
	v_lshl_add_u32 v11, v10, 2, v11
	ds_read_b32 v11, v11 offset:128
	s_waitcnt lgkmcnt(0)
	v_add_f32_e32 v6, v6, v11
	s_or_b64 exec, exec, s[2:3]
	s_and_saveexec_b64 s[2:3], vcc
	s_cbranch_execz .LBB96_73
.LBB96_85:
	v_mov_b32_e32 v11, 0x110
	v_lshl_add_u32 v11, v10, 2, v11
	ds_read_b32 v11, v11 offset:192
	s_waitcnt lgkmcnt(0)
	v_add_f32_e32 v7, v7, v11
	s_or_b64 exec, exec, s[2:3]
	s_and_saveexec_b64 s[2:3], vcc
	s_cbranch_execz .LBB96_74
.LBB96_86:
	v_mov_b32_e32 v11, 0x110
	v_lshl_add_u32 v11, v10, 2, v11
	ds_read_b32 v11, v11 offset:256
	s_waitcnt lgkmcnt(0)
	v_add_f32_e32 v4, v4, v11
	s_or_b64 exec, exec, s[2:3]
	s_and_saveexec_b64 s[2:3], vcc
	s_cbranch_execz .LBB96_75
.LBB96_87:
	v_mov_b32_e32 v11, 0x110
	v_lshl_add_u32 v11, v10, 2, v11
	ds_read_b32 v11, v11 offset:320
	s_waitcnt lgkmcnt(0)
	v_add_f32_e32 v5, v5, v11
	s_or_b64 exec, exec, s[2:3]
	s_and_saveexec_b64 s[2:3], vcc
	s_cbranch_execz .LBB96_76
.LBB96_88:
	v_mov_b32_e32 v11, 0x110
	v_lshl_add_u32 v11, v10, 2, v11
	ds_read_b32 v11, v11 offset:384
	s_waitcnt lgkmcnt(0)
	v_add_f32_e32 v2, v2, v11
	s_or_b64 exec, exec, s[2:3]
	s_and_saveexec_b64 s[2:3], vcc
	s_cbranch_execnz .LBB96_77
	s_branch .LBB96_78
	.section	.rodata,"a",@progbits
	.p2align	6, 0x0
	.amdhsa_kernel _ZN4vllm25paged_attention_v1_kernelIttLi128ELi32ELi128ELNS_18Fp8KVCacheDataTypeE0ELb1EEEvPT_PKS2_PKT0_S8_ifPKiSA_iPKfiiiSC_SC_iiiii
		.amdhsa_group_segment_fixed_size 272
		.amdhsa_private_segment_fixed_size 0
		.amdhsa_kernarg_size 384
		.amdhsa_user_sgpr_count 2
		.amdhsa_user_sgpr_dispatch_ptr 0
		.amdhsa_user_sgpr_queue_ptr 0
		.amdhsa_user_sgpr_kernarg_segment_ptr 1
		.amdhsa_user_sgpr_dispatch_id 0
		.amdhsa_user_sgpr_kernarg_preload_length 0
		.amdhsa_user_sgpr_kernarg_preload_offset 0
		.amdhsa_user_sgpr_private_segment_size 0
		.amdhsa_uses_dynamic_stack 0
		.amdhsa_enable_private_segment 0
		.amdhsa_system_sgpr_workgroup_id_x 1
		.amdhsa_system_sgpr_workgroup_id_y 1
		.amdhsa_system_sgpr_workgroup_id_z 1
		.amdhsa_system_sgpr_workgroup_info 0
		.amdhsa_system_vgpr_workitem_id 0
		.amdhsa_next_free_vgpr 83
		.amdhsa_next_free_sgpr 48
		.amdhsa_accum_offset 84
		.amdhsa_reserve_vcc 1
		.amdhsa_float_round_mode_32 0
		.amdhsa_float_round_mode_16_64 0
		.amdhsa_float_denorm_mode_32 3
		.amdhsa_float_denorm_mode_16_64 3
		.amdhsa_dx10_clamp 1
		.amdhsa_ieee_mode 1
		.amdhsa_fp16_overflow 0
		.amdhsa_tg_split 0
		.amdhsa_exception_fp_ieee_invalid_op 0
		.amdhsa_exception_fp_denorm_src 0
		.amdhsa_exception_fp_ieee_div_zero 0
		.amdhsa_exception_fp_ieee_overflow 0
		.amdhsa_exception_fp_ieee_underflow 0
		.amdhsa_exception_fp_ieee_inexact 0
		.amdhsa_exception_int_div_zero 0
	.end_amdhsa_kernel
	.section	.text._ZN4vllm25paged_attention_v1_kernelIttLi128ELi32ELi128ELNS_18Fp8KVCacheDataTypeE0ELb1EEEvPT_PKS2_PKT0_S8_ifPKiSA_iPKfiiiSC_SC_iiiii,"axG",@progbits,_ZN4vllm25paged_attention_v1_kernelIttLi128ELi32ELi128ELNS_18Fp8KVCacheDataTypeE0ELb1EEEvPT_PKS2_PKT0_S8_ifPKiSA_iPKfiiiSC_SC_iiiii,comdat
.Lfunc_end96:
	.size	_ZN4vllm25paged_attention_v1_kernelIttLi128ELi32ELi128ELNS_18Fp8KVCacheDataTypeE0ELb1EEEvPT_PKS2_PKT0_S8_ifPKiSA_iPKfiiiSC_SC_iiiii, .Lfunc_end96-_ZN4vllm25paged_attention_v1_kernelIttLi128ELi32ELi128ELNS_18Fp8KVCacheDataTypeE0ELb1EEEvPT_PKS2_PKT0_S8_ifPKiSA_iPKfiiiSC_SC_iiiii
                                        ; -- End function
	.section	.AMDGPU.csdata,"",@progbits
; Kernel info:
; codeLenInByte = 9664
; NumSgprs: 54
; NumVgprs: 83
; NumAgprs: 0
; TotalNumVgprs: 83
; ScratchSize: 0
; MemoryBound: 0
; FloatMode: 240
; IeeeMode: 1
; LDSByteSize: 272 bytes/workgroup (compile time only)
; SGPRBlocks: 6
; VGPRBlocks: 10
; NumSGPRsForWavesPerEU: 54
; NumVGPRsForWavesPerEU: 83
; AccumOffset: 84
; Occupancy: 5
; WaveLimiterHint : 1
; COMPUTE_PGM_RSRC2:SCRATCH_EN: 0
; COMPUTE_PGM_RSRC2:USER_SGPR: 2
; COMPUTE_PGM_RSRC2:TRAP_HANDLER: 0
; COMPUTE_PGM_RSRC2:TGID_X_EN: 1
; COMPUTE_PGM_RSRC2:TGID_Y_EN: 1
; COMPUTE_PGM_RSRC2:TGID_Z_EN: 1
; COMPUTE_PGM_RSRC2:TIDIG_COMP_CNT: 0
; COMPUTE_PGM_RSRC3_GFX90A:ACCUM_OFFSET: 20
; COMPUTE_PGM_RSRC3_GFX90A:TG_SPLIT: 0
	.section	.text._ZN4vllm25paged_attention_v1_kernelIttLi192ELi32ELi128ELNS_18Fp8KVCacheDataTypeE0ELb1EEEvPT_PKS2_PKT0_S8_ifPKiSA_iPKfiiiSC_SC_iiiii,"axG",@progbits,_ZN4vllm25paged_attention_v1_kernelIttLi192ELi32ELi128ELNS_18Fp8KVCacheDataTypeE0ELb1EEEvPT_PKS2_PKT0_S8_ifPKiSA_iPKfiiiSC_SC_iiiii,comdat
	.protected	_ZN4vllm25paged_attention_v1_kernelIttLi192ELi32ELi128ELNS_18Fp8KVCacheDataTypeE0ELb1EEEvPT_PKS2_PKT0_S8_ifPKiSA_iPKfiiiSC_SC_iiiii ; -- Begin function _ZN4vllm25paged_attention_v1_kernelIttLi192ELi32ELi128ELNS_18Fp8KVCacheDataTypeE0ELb1EEEvPT_PKS2_PKT0_S8_ifPKiSA_iPKfiiiSC_SC_iiiii
	.globl	_ZN4vllm25paged_attention_v1_kernelIttLi192ELi32ELi128ELNS_18Fp8KVCacheDataTypeE0ELb1EEEvPT_PKS2_PKT0_S8_ifPKiSA_iPKfiiiSC_SC_iiiii
	.p2align	8
	.type	_ZN4vllm25paged_attention_v1_kernelIttLi192ELi32ELi128ELNS_18Fp8KVCacheDataTypeE0ELb1EEEvPT_PKS2_PKT0_S8_ifPKiSA_iPKfiiiSC_SC_iiiii,@function
_ZN4vllm25paged_attention_v1_kernelIttLi192ELi32ELi128ELNS_18Fp8KVCacheDataTypeE0ELb1EEEvPT_PKS2_PKT0_S8_ifPKiSA_iPKfiiiSC_SC_iiiii: ; @_ZN4vllm25paged_attention_v1_kernelIttLi192ELi32ELi128ELNS_18Fp8KVCacheDataTypeE0ELb1EEEvPT_PKS2_PKT0_S8_ifPKiSA_iPKfiiiSC_SC_iiiii
; %bb.0:
	s_load_dword s5, s[0:1], 0x80
	s_load_dwordx2 s[6:7], s[0:1], 0x30
	s_load_dwordx2 s[30:31], s[0:1], 0x20
	s_mov_b32 s10, s3
	s_ashr_i32 s11, s3, 31
	s_lshl_b64 s[8:9], s[10:11], 2
	s_waitcnt lgkmcnt(0)
	s_add_u32 s6, s6, s8
	s_addc_u32 s7, s7, s9
	s_abs_i32 s3, s30
	v_cvt_f32_u32_e32 v1, s3
	s_sub_i32 s11, 0, s3
	s_abs_i32 s9, s5
	s_xor_b32 s8, s5, s30
	v_rcp_iflag_f32_e32 v1, v1
	s_ashr_i32 s8, s8, 31
	s_mov_b32 s42, 0
	v_mul_f32_e32 v1, 0x4f7ffffe, v1
	v_cvt_u32_f32_e32 v1, v1
	s_nop 0
	v_readfirstlane_b32 s12, v1
	s_mul_i32 s11, s11, s12
	s_mul_hi_u32 s11, s12, s11
	s_add_i32 s12, s12, s11
	s_mul_hi_u32 s11, s9, s12
	s_mul_i32 s12, s11, s3
	s_sub_i32 s9, s9, s12
	s_add_i32 s12, s11, 1
	s_sub_i32 s13, s9, s3
	s_cmp_ge_u32 s9, s3
	s_cselect_b32 s11, s12, s11
	s_cselect_b32 s9, s13, s9
	s_add_i32 s12, s11, 1
	s_cmp_ge_u32 s9, s3
	s_cselect_b32 s3, s12, s11
	s_xor_b32 s3, s3, s8
	s_sub_i32 s12, s3, s8
	s_abs_i32 s11, s12
	v_cvt_f32_u32_e32 v1, s11
	s_load_dwordx2 s[8:9], s[0:1], 0x40
	s_sub_i32 s3, 0, s11
	s_abs_i32 s22, s2
	v_rcp_iflag_f32_e32 v1, v1
	s_nop 0
	v_mul_f32_e32 v1, 0x4f7ffffe, v1
	v_cvt_u32_f32_e32 v1, v1
	s_nop 0
	v_readfirstlane_b32 s13, v1
	s_mul_i32 s3, s3, s13
	s_mul_hi_u32 s3, s13, s3
	s_add_i32 s13, s13, s3
	s_waitcnt lgkmcnt(0)
	s_cmp_eq_u64 s[8:9], 0
	s_mul_hi_u32 s23, s22, s13
	s_cbranch_scc1 .LBB97_2
; %bb.1:
	s_ashr_i32 s3, s2, 31
	s_lshl_b64 s[14:15], s[2:3], 2
	s_add_u32 s8, s8, s14
	s_addc_u32 s9, s9, s15
	s_load_dword s42, s[8:9], 0x0
.LBB97_2:
	s_load_dword s33, s[6:7], 0x0
	s_ashr_i32 s9, s12, 31
	s_load_dwordx4 s[12:15], s[0:1], 0x48
	s_ashr_i32 s3, s2, 31
	v_and_b32_e32 v4, 1, v0
	s_movk_i32 s8, 0xc0
	s_mul_i32 s20, s2, 0xc0
	v_cmp_gt_u32_e32 vcc, 48, v0
	v_lshlrev_b32_e32 v53, 3, v0
	s_and_saveexec_b64 s[6:7], vcc
	s_cbranch_execz .LBB97_4
; %bb.3:
	s_load_dwordx2 s[16:17], s[0:1], 0x8
	s_waitcnt lgkmcnt(0)
	s_mul_i32 s18, s10, s12
	s_ashr_i32 s19, s18, 31
	s_lshl_b64 s[18:19], s[18:19], 1
	v_lshlrev_b32_e32 v1, 2, v0
	s_add_u32 s12, s16, s18
	s_addc_u32 s15, s17, s19
	s_ashr_i32 s21, s20, 31
	s_lshl_b64 s[16:17], s[20:21], 1
	s_add_u32 s16, s12, s16
	s_addc_u32 s17, s15, s17
	global_load_dwordx2 v[2:3], v53, s[16:17]
	v_and_b32_e32 v1, 0xff8, v1
	v_mad_u32_u24 v1, v4, s8, v1
	s_waitcnt vmcnt(0)
	ds_write_b64 v1, v[2:3]
.LBB97_4:
	s_or_b64 exec, exec, s[6:7]
	s_mul_i32 s6, s23, s11
	s_sub_i32 s6, s22, s6
	s_xor_b32 s3, s3, s9
	s_add_i32 s7, s23, 1
	s_sub_i32 s9, s6, s11
	s_load_dwordx4 s[16:19], s[0:1], 0x68
	s_load_dword s8, s[0:1], 0x78
	s_cmp_ge_u32 s6, s11
	s_cselect_b32 s7, s7, s23
	s_cselect_b32 s6, s9, s6
	s_add_i32 s9, s7, 1
	s_cmp_ge_u32 s6, s11
	s_cselect_b32 s6, s9, s7
	s_waitcnt lgkmcnt(0)
	s_abs_i32 s21, s19
	v_cvt_f32_u32_e32 v1, s21
	s_xor_b32 s6, s6, s3
	s_sub_i32 s3, s6, s3
	s_sub_i32 s6, 0, s21
	v_rcp_iflag_f32_e32 v1, v1
	s_add_i32 s11, s33, -1
	s_abs_i32 s9, s11
	v_mul_f32_e32 v1, 0x4f7ffffe, v1
	v_cvt_u32_f32_e32 v1, v1
	s_barrier
	v_readfirstlane_b32 s40, v1
	s_mul_i32 s6, s6, s40
	s_mul_hi_u32 s6, s40, s6
	s_add_i32 s40, s40, s6
	s_cmp_lt_i32 s8, 0
	s_mul_hi_u32 s12, s9, s40
	s_cbranch_scc0 .LBB97_6
; %bb.5:
	s_mul_i32 s6, s16, s30
	s_add_i32 s6, s3, s6
	s_mul_i32 s6, s6, s8
	s_sub_i32 s41, 1, s6
	s_mov_b64 s[6:7], 0
	s_branch .LBB97_7
.LBB97_6:
	s_mov_b64 s[6:7], -1
                                        ; implicit-def: $sgpr41
.LBB97_7:
	s_load_dwordx2 s[24:25], s[0:1], 0x28
	s_ashr_i32 s15, s11, 31
	s_andn2_b64 vcc, exec, s[6:7]
	s_ashr_i32 s19, s19, 31
	s_cbranch_vccnz .LBB97_9
; %bb.8:
	s_mul_i32 s6, s5, s16
	s_add_i32 s2, s6, s2
	s_mul_i32 s2, s2, s8
	s_add_i32 s41, s2, 1
.LBB97_9:
	s_load_dword s2, s[0:1], 0x38
	s_load_dwordx2 s[22:23], s[0:1], 0x0
	s_load_dwordx2 s[28:29], s[0:1], 0x18
	s_load_dword s11, s[0:1], 0x88
	s_xor_b32 s6, s15, s19
	s_waitcnt lgkmcnt(0)
	s_mul_i32 s26, s10, s2
	s_mul_i32 s2, s12, s21
	s_sub_i32 s2, s9, s2
	s_ashr_i32 s27, s26, 31
	s_add_i32 s7, s12, 1
	s_sub_i32 s8, s2, s21
	s_cmp_ge_u32 s2, s21
	s_cselect_b32 s7, s7, s12
	s_cselect_b32 s2, s8, s2
	s_add_i32 s8, s7, 1
	s_cmp_ge_u32 s2, s21
	s_cselect_b32 s2, s8, s7
	s_xor_b32 s2, s2, s6
	s_sub_i32 s12, s2, s6
	s_add_i32 s2, s33, 31
	s_ashr_i32 s6, s2, 31
	s_lshr_b32 s6, s6, 27
	s_add_i32 s2, s2, s6
	s_ashr_i32 s16, s2, 5
	v_lshrrev_b32_e32 v1, 6, v0
	v_cmp_gt_i32_e64 s[6:7], s16, v1
	v_mov_b32_e32 v58, 0xff7fffff
	s_mul_i32 s14, s3, s14
	v_lshrrev_b32_e32 v54, 4, v0
	v_lshlrev_b32_e32 v52, 5, v1
	v_mbcnt_lo_u32_b32 v55, -1, 0
	s_and_saveexec_b64 s[34:35], s[6:7]
	s_cbranch_execz .LBB97_19
; %bb.10:
	s_load_dwordx2 s[0:1], s[0:1], 0x10
	s_ashr_i32 s15, s14, 31
	s_sub_i32 s30, s12, s17
	s_lshl_b64 s[8:9], s[14:15], 1
	v_bfe_u32 v56, v0, 1, 5
	s_waitcnt lgkmcnt(0)
	s_add_u32 s0, s0, s8
	s_addc_u32 s1, s1, s9
	s_abs_i32 s15, s18
	v_cvt_f32_u32_e32 v2, s15
	s_sub_i32 s8, 0, s15
	v_cmp_eq_u32_e64 s[2:3], 0, v4
	v_lshlrev_b32_e32 v6, 4, v56
	v_rcp_iflag_f32_e32 v5, v2
	v_mov_b32_e32 v7, 0
	v_mul_u32_u24_e32 v57, 0xc0, v4
	v_lshl_add_u64 v[2:3], s[0:1], 0, v[6:7]
	v_mul_f32_e32 v5, 0x4f7ffffe, v5
	v_cvt_u32_f32_e32 v5, v5
	v_and_b32_e32 v6, 8, v53
	v_lshl_add_u64 v[2:3], v[2:3], 0, v[6:7]
	v_and_b32_e32 v6, 60, v54
	v_mul_lo_u32 v4, s8, v5
	s_lshl_b64 s[8:9], s[26:27], 2
	s_add_u32 s8, s24, s8
	v_mul_hi_u32 v4, v5, v4
	s_addc_u32 s9, s25, s9
	v_add_u32_e32 v59, v5, v4
	v_lshl_add_u64 v[4:5], s[8:9], 0, v[6:7]
	v_lshlrev_b32_e32 v6, 2, v56
	v_lshl_or_b32 v6, v1, 7, v6
	v_add_u32_e32 v61, 0x190, v6
	v_subrev_u32_e32 v6, s33, v56
	v_mbcnt_hi_u32_b32 v64, -1, v55
	v_add_u32_e32 v62, 1, v6
	v_and_b32_e32 v6, 64, v64
	s_mov_b32 s43, s13
	v_cmp_neq_f32_e64 s[0:1], s42, 0
	v_lshlrev_b32_e32 v60, 5, v1
	s_mov_b64 s[36:37], 0
	v_mov_b32_e32 v63, 0xff7fffff
	s_movk_i32 s44, 0x1000
	s_movk_i32 s45, 0x2000
	v_xor_b32_e32 v65, 1, v64
	v_add_u32_e32 v66, 64, v6
	v_mov_b32_e32 v58, 0xff7fffff
	v_mov_b32_e32 v67, v1
	s_branch .LBB97_13
.LBB97_11:                              ;   in Loop: Header=BB97_13 Depth=1
	s_or_b64 exec, exec, s[8:9]
.LBB97_12:                              ;   in Loop: Header=BB97_13 Depth=1
	s_or_b64 exec, exec, s[38:39]
	v_add_u32_e32 v67, 2, v67
	v_cmp_le_i32_e32 vcc, s16, v67
	v_lshl_add_u64 v[4:5], v[4:5], 0, 8
	v_add_u32_e32 v60, 64, v60
	s_or_b64 s[36:37], vcc, s[36:37]
	v_add_u32_e32 v61, 0x100, v61
	s_andn2_b64 exec, exec, s[36:37]
	s_cbranch_execz .LBB97_18
.LBB97_13:                              ; =>This Inner Loop Header: Depth=1
	v_mul_hi_u32 v6, v60, s40
	s_waitcnt lgkmcnt(0)
	v_mul_lo_u32 v7, v6, s21
	v_sub_u32_e32 v7, v60, v7
	v_add_u32_e32 v8, 1, v6
	v_cmp_le_u32_e32 vcc, s21, v7
	s_nop 1
	v_cndmask_b32_e32 v6, v6, v8, vcc
	v_subrev_u32_e32 v8, s21, v7
	v_cndmask_b32_e32 v7, v7, v8, vcc
	v_add_u32_e32 v8, 1, v6
	v_cmp_le_u32_e32 vcc, s21, v7
	s_nop 1
	v_cndmask_b32_e32 v6, v6, v8, vcc
	v_xor_b32_e32 v6, s19, v6
	v_subrev_u32_e32 v6, s19, v6
	v_add_u32_e32 v7, s41, v6
	v_sub_u32_e32 v9, 0, v7
	v_ashrrev_i32_e32 v8, 31, v7
	v_max_i32_e32 v7, v7, v9
	v_mul_hi_u32 v9, v7, v59
	v_mul_lo_u32 v9, v9, s15
	v_sub_u32_e32 v7, v7, v9
	v_subrev_u32_e32 v9, s15, v7
	v_cmp_le_u32_e32 vcc, s15, v7
	v_cmp_ge_i32_e64 s[8:9], s30, v6
	s_nop 0
	v_cndmask_b32_e32 v7, v7, v9, vcc
	v_subrev_u32_e32 v9, s15, v7
	v_cmp_le_u32_e32 vcc, s15, v7
	s_nop 1
	v_cndmask_b32_e32 v7, v7, v9, vcc
	v_xor_b32_e32 v7, v7, v8
	v_sub_u32_e32 v7, v7, v8
	v_cmp_ne_u32_e32 vcc, 0, v7
	s_and_b64 s[8:9], vcc, s[8:9]
	s_and_b64 s[46:47], s[2:3], s[8:9]
	s_and_saveexec_b64 s[38:39], s[46:47]
	s_cbranch_execz .LBB97_15
; %bb.14:                               ;   in Loop: Header=BB97_13 Depth=1
	ds_write_b32 v61, v63
.LBB97_15:                              ;   in Loop: Header=BB97_13 Depth=1
	s_or_b64 exec, exec, s[38:39]
	s_xor_b64 s[8:9], s[8:9], -1
	s_and_saveexec_b64 s[38:39], s[8:9]
	s_cbranch_execz .LBB97_12
; %bb.16:                               ;   in Loop: Header=BB97_13 Depth=1
	global_load_dword v6, v[4:5], off
	s_waitcnt vmcnt(0)
	v_mad_i64_i32 v[6:7], s[8:9], v6, s43, 0
	v_lshl_add_u64 v[6:7], v[6:7], 1, v[2:3]
	global_load_dwordx2 v[70:71], v[6:7], off
	global_load_dwordx2 v[48:49], v[6:7], off offset:512
	global_load_dwordx2 v[50:51], v[6:7], off offset:1024
	;; [unrolled: 1-line block ×7, first 2 shown]
	v_add_co_u32_e32 v8, vcc, s44, v6
	s_mov_b64 s[8:9], vcc
	v_add_co_u32_e32 v68, vcc, s45, v6
	ds_read_b64 v[10:11], v57
	s_nop 0
	v_addc_co_u32_e32 v69, vcc, 0, v7, vcc
	global_load_dwordx2 v[36:37], v[68:69], off offset:-4096
	v_addc_co_u32_e64 v9, vcc, 0, v7, s[8:9]
	global_load_dwordx2 v[26:27], v[8:9], off offset:2560
	global_load_dwordx2 v[24:25], v[8:9], off offset:3072
	;; [unrolled: 1-line block ×3, first 2 shown]
	s_waitcnt lgkmcnt(0)
	v_lshrrev_b32_e32 v72, 16, v10
	v_and_b32_e32 v73, 0xffff, v10
	v_lshrrev_b32_e32 v75, 16, v11
	v_and_b32_e32 v76, 0xffff, v11
	global_load_dwordx2 v[34:35], v[8:9], off offset:512
	global_load_dwordx2 v[32:33], v[8:9], off offset:1024
	;; [unrolled: 1-line block ×4, first 2 shown]
	global_load_dwordx2 v[20:21], v[68:69], off
                                        ; kill: killed $vgpr8 killed $vgpr9
	global_load_dwordx2 v[18:19], v[68:69], off offset:512
	global_load_dwordx2 v[16:17], v[68:69], off offset:1024
	;; [unrolled: 1-line block ×7, first 2 shown]
	;;#ASMSTART
	v_cvt_f32_f16 v68, v73;
	;;#ASMEND
	;;#ASMSTART
	v_cvt_f32_f16 v69, v72;
	;;#ASMEND
	v_cmp_lt_i32_e32 vcc, v65, v66
	s_waitcnt vmcnt(23)
	v_lshrrev_b32_e32 v78, 16, v70
	v_and_b32_e32 v79, 0xffff, v70
	v_lshrrev_b32_e32 v80, 16, v71
	v_and_b32_e32 v81, 0xffff, v71
	;;#ASMSTART
	v_cvt_f32_f16 v79, v79;
	;;#ASMEND
	;;#ASMSTART
	v_cvt_f32_f16 v78, v78;
	;;#ASMEND
	s_waitcnt vmcnt(17)
	v_lshrrev_b32_e32 v88, 16, v40
	v_and_b32_e32 v89, 0xffff, v40
	v_lshrrev_b32_e32 v90, 16, v41
	v_and_b32_e32 v91, 0xffff, v41
	;;#ASMSTART
	v_cvt_f32_f16 v76, v76;
	;;#ASMEND
	;;#ASMSTART
	v_cvt_f32_f16 v75, v75;
	;;#ASMEND
	;; [unrolled: 3-line block ×4, first 2 shown]
	ds_read_b64 v[40:41], v57 offset:8
	v_and_b32_e32 v70, 0xffff, v48
	v_lshrrev_b32_e32 v48, 16, v48
	v_lshrrev_b32_e32 v71, 16, v49
	v_and_b32_e32 v49, 0xffff, v49
	s_waitcnt vmcnt(16)
	v_lshrrev_b32_e32 v92, 16, v38
	v_and_b32_e32 v93, 0xffff, v38
	v_lshrrev_b32_e32 v94, 16, v39
	v_and_b32_e32 v95, 0xffff, v39
	s_waitcnt lgkmcnt(0)
	v_and_b32_e32 v38, 0xffff, v40
	v_lshrrev_b32_e32 v39, 16, v40
	v_lshrrev_b32_e32 v40, 16, v41
	v_and_b32_e32 v41, 0xffff, v41
	v_lshrrev_b32_e32 v84, 16, v42
	v_and_b32_e32 v85, 0xffff, v42
	;; [unrolled: 2-line block ×3, first 2 shown]
	;;#ASMSTART
	v_cvt_f32_f16 v38, v38;
	;;#ASMEND
	;;#ASMSTART
	v_cvt_f32_f16 v39, v39;
	;;#ASMEND
	;; [unrolled: 3-line block ×8, first 2 shown]
	ds_read_b64 v[42:43], v57 offset:16
	v_and_b32_e32 v72, 0xffff, v50
	v_lshrrev_b32_e32 v50, 16, v50
	v_lshrrev_b32_e32 v73, 16, v51
	v_and_b32_e32 v51, 0xffff, v51
	v_mul_f32_e32 v38, v38, v70
	v_mul_f32_e32 v39, v39, v48
	;; [unrolled: 1-line block ×4, first 2 shown]
	s_waitcnt lgkmcnt(0)
	v_lshrrev_b32_e32 v48, 16, v42
	v_and_b32_e32 v42, 0xffff, v42
	v_lshrrev_b32_e32 v49, 16, v43
	v_and_b32_e32 v43, 0xffff, v43
	v_fmac_f32_e32 v38, v68, v79
	v_fmac_f32_e32 v39, v69, v78
	;;#ASMSTART
	v_cvt_f32_f16 v68, v42;
	;;#ASMEND
	;;#ASMSTART
	v_cvt_f32_f16 v48, v48;
	;;#ASMEND
	;; [unrolled: 3-line block ×8, first 2 shown]
	ds_read_b64 v[42:43], v57 offset:24
	v_fmac_f32_e32 v41, v75, v80
	v_lshrrev_b32_e32 v74, 16, v46
	v_and_b32_e32 v46, 0xffff, v46
	v_lshrrev_b32_e32 v77, 16, v47
	v_and_b32_e32 v47, 0xffff, v47
	v_fmac_f32_e32 v40, v76, v81
	v_fmac_f32_e32 v39, v48, v50
	;; [unrolled: 1-line block ×3, first 2 shown]
	s_waitcnt lgkmcnt(0)
	v_lshrrev_b32_e32 v48, 16, v42
	v_and_b32_e32 v42, 0xffff, v42
	v_lshrrev_b32_e32 v49, 16, v43
	v_and_b32_e32 v43, 0xffff, v43
	v_fmac_f32_e32 v38, v68, v69
	v_fmac_f32_e32 v40, v70, v51
	;;#ASMSTART
	v_cvt_f32_f16 v50, v42;
	;;#ASMEND
	;;#ASMSTART
	v_cvt_f32_f16 v48, v48;
	;;#ASMEND
	;; [unrolled: 3-line block ×8, first 2 shown]
	ds_read_b64 v[42:43], v57 offset:32
	v_lshrrev_b32_e32 v82, 16, v44
	v_and_b32_e32 v44, 0xffff, v44
	v_lshrrev_b32_e32 v83, 16, v45
	v_and_b32_e32 v45, 0xffff, v45
	v_fmac_f32_e32 v38, v50, v46
	v_fmac_f32_e32 v40, v68, v47
	s_waitcnt lgkmcnt(0)
	v_lshrrev_b32_e32 v46, 16, v42
	v_and_b32_e32 v42, 0xffff, v42
	v_lshrrev_b32_e32 v47, 16, v43
	v_and_b32_e32 v43, 0xffff, v43
	v_fmac_f32_e32 v39, v48, v51
	v_fmac_f32_e32 v41, v49, v69
	;;#ASMSTART
	v_cvt_f32_f16 v48, v42;
	;;#ASMEND
	;;#ASMSTART
	v_cvt_f32_f16 v46, v46;
	;;#ASMEND
	;;#ASMSTART
	v_cvt_f32_f16 v44, v44;
	;;#ASMEND
	;;#ASMSTART
	v_cvt_f32_f16 v49, v82;
	;;#ASMEND
	;;#ASMSTART
	v_cvt_f32_f16 v50, v43;
	;;#ASMEND
	;;#ASMSTART
	v_cvt_f32_f16 v47, v47;
	;;#ASMEND
	;;#ASMSTART
	v_cvt_f32_f16 v45, v45;
	;;#ASMEND
	;;#ASMSTART
	v_cvt_f32_f16 v51, v83;
	;;#ASMEND
	ds_read_b64 v[42:43], v57 offset:40
	v_fmac_f32_e32 v38, v48, v44
	v_fmac_f32_e32 v40, v50, v45
	v_fmac_f32_e32 v39, v46, v49
	v_fmac_f32_e32 v41, v47, v51
	s_waitcnt lgkmcnt(0)
	v_lshrrev_b32_e32 v44, 16, v42
	v_and_b32_e32 v42, 0xffff, v42
	v_lshrrev_b32_e32 v45, 16, v43
	v_and_b32_e32 v43, 0xffff, v43
	;;#ASMSTART
	v_cvt_f32_f16 v46, v42;
	;;#ASMEND
	;;#ASMSTART
	v_cvt_f32_f16 v44, v44;
	;;#ASMEND
	;;#ASMSTART
	v_cvt_f32_f16 v47, v85;
	;;#ASMEND
	;;#ASMSTART
	v_cvt_f32_f16 v48, v84;
	;;#ASMEND
	;;#ASMSTART
	v_cvt_f32_f16 v49, v43;
	;;#ASMEND
	;;#ASMSTART
	v_cvt_f32_f16 v45, v45;
	;;#ASMEND
	;;#ASMSTART
	v_cvt_f32_f16 v50, v87;
	;;#ASMEND
	;;#ASMSTART
	v_cvt_f32_f16 v51, v86;
	;;#ASMEND
	ds_read_b64 v[42:43], v57 offset:48
	v_fmac_f32_e32 v39, v44, v48
	v_fmac_f32_e32 v41, v45, v51
	v_fmac_f32_e32 v38, v46, v47
	v_fmac_f32_e32 v40, v49, v50
	s_waitcnt lgkmcnt(0)
	v_lshrrev_b32_e32 v44, 16, v42
	v_and_b32_e32 v42, 0xffff, v42
	v_lshrrev_b32_e32 v45, 16, v43
	v_and_b32_e32 v43, 0xffff, v43
	;; [unrolled: 34-line block ×3, first 2 shown]
	;;#ASMSTART
	v_cvt_f32_f16 v46, v42;
	;;#ASMEND
	;;#ASMSTART
	v_cvt_f32_f16 v44, v44;
	;;#ASMEND
	;; [unrolled: 3-line block ×8, first 2 shown]
	ds_read_b64 v[42:43], v57 offset:64
	s_waitcnt vmcnt(15)
	v_lshrrev_b32_e32 v96, 16, v36
	v_fmac_f32_e32 v39, v44, v48
	v_and_b32_e32 v36, 0xffff, v36
	v_fmac_f32_e32 v41, v45, v51
	s_waitcnt lgkmcnt(0)
	v_lshrrev_b32_e32 v44, 16, v42
	v_and_b32_e32 v42, 0xffff, v42
	;;#ASMSTART
	v_cvt_f32_f16 v42, v42;
	;;#ASMEND
	;;#ASMSTART
	v_cvt_f32_f16 v44, v44;
	;;#ASMEND
	;; [unrolled: 3-line block ×3, first 2 shown]
	v_lshrrev_b32_e32 v36, 16, v43
	v_and_b32_e32 v43, 0xffff, v43
	v_fmac_f32_e32 v38, v46, v47
	;;#ASMSTART
	v_cvt_f32_f16 v46, v96;
	;;#ASMEND
	;;#ASMSTART
	v_cvt_f32_f16 v43, v43;
	;;#ASMEND
	;;#ASMSTART
	v_cvt_f32_f16 v47, v36;
	;;#ASMEND
	v_lshrrev_b32_e32 v36, 16, v37
	v_and_b32_e32 v37, 0xffff, v37
	v_fmac_f32_e32 v40, v49, v50
	;;#ASMSTART
	v_cvt_f32_f16 v48, v37;
	;;#ASMEND
	;;#ASMSTART
	v_cvt_f32_f16 v49, v36;
	;;#ASMEND
	ds_read_b64 v[36:37], v57 offset:72
	v_fmac_f32_e32 v38, v42, v45
	v_fmac_f32_e32 v40, v43, v48
	s_waitcnt vmcnt(11)
	v_lshrrev_b32_e32 v43, 16, v34
	v_and_b32_e32 v34, 0xffff, v34
	s_waitcnt lgkmcnt(0)
	v_lshrrev_b32_e32 v42, 16, v36
	v_and_b32_e32 v36, 0xffff, v36
	v_fmac_f32_e32 v39, v44, v46
	;;#ASMSTART
	v_cvt_f32_f16 v36, v36;
	;;#ASMEND
	;;#ASMSTART
	v_cvt_f32_f16 v42, v42;
	;;#ASMEND
	;;#ASMSTART
	v_cvt_f32_f16 v44, v34;
	;;#ASMEND
	v_lshrrev_b32_e32 v34, 16, v37
	v_and_b32_e32 v37, 0xffff, v37
	;;#ASMSTART
	v_cvt_f32_f16 v43, v43;
	;;#ASMEND
	;;#ASMSTART
	v_cvt_f32_f16 v37, v37;
	;;#ASMEND
	;;#ASMSTART
	v_cvt_f32_f16 v45, v34;
	;;#ASMEND
	v_lshrrev_b32_e32 v34, 16, v35
	v_and_b32_e32 v35, 0xffff, v35
	v_fmac_f32_e32 v41, v47, v49
	;;#ASMSTART
	v_cvt_f32_f16 v46, v35;
	;;#ASMEND
	;;#ASMSTART
	v_cvt_f32_f16 v47, v34;
	;;#ASMEND
	ds_read_b64 v[34:35], v57 offset:80
	v_fmac_f32_e32 v38, v36, v44
	v_fmac_f32_e32 v40, v37, v46
	s_waitcnt vmcnt(10)
	v_lshrrev_b32_e32 v37, 16, v32
	v_and_b32_e32 v32, 0xffff, v32
	s_waitcnt lgkmcnt(0)
	v_lshrrev_b32_e32 v36, 16, v34
	v_and_b32_e32 v34, 0xffff, v34
	v_fmac_f32_e32 v39, v42, v43
	;;#ASMSTART
	v_cvt_f32_f16 v34, v34;
	;;#ASMEND
	;;#ASMSTART
	v_cvt_f32_f16 v36, v36;
	;;#ASMEND
	;;#ASMSTART
	v_cvt_f32_f16 v42, v32;
	;;#ASMEND
	v_lshrrev_b32_e32 v32, 16, v35
	v_and_b32_e32 v35, 0xffff, v35
	;; [unrolled: 39-line block ×4, first 2 shown]
	;;#ASMSTART
	v_cvt_f32_f16 v33, v33;
	;;#ASMEND
	;;#ASMSTART
	v_cvt_f32_f16 v31, v31;
	;;#ASMEND
	;;#ASMSTART
	v_cvt_f32_f16 v35, v28;
	;;#ASMEND
	v_lshrrev_b32_e32 v28, 16, v29
	v_and_b32_e32 v29, 0xffff, v29
	v_fmac_f32_e32 v41, v37, v43
	;;#ASMSTART
	v_cvt_f32_f16 v36, v29;
	;;#ASMEND
	;;#ASMSTART
	v_cvt_f32_f16 v37, v28;
	;;#ASMEND
	ds_read_b64 v[28:29], v57 offset:104
	v_fmac_f32_e32 v38, v30, v34
	v_fmac_f32_e32 v40, v31, v36
	v_lshrrev_b32_e32 v31, 16, v26
	v_and_b32_e32 v26, 0xffff, v26
	s_waitcnt lgkmcnt(0)
	v_lshrrev_b32_e32 v30, 16, v28
	v_and_b32_e32 v28, 0xffff, v28
	v_fmac_f32_e32 v39, v32, v33
	;;#ASMSTART
	v_cvt_f32_f16 v28, v28;
	;;#ASMEND
	;;#ASMSTART
	v_cvt_f32_f16 v30, v30;
	;;#ASMEND
	;;#ASMSTART
	v_cvt_f32_f16 v32, v26;
	;;#ASMEND
	v_lshrrev_b32_e32 v26, 16, v29
	v_and_b32_e32 v29, 0xffff, v29
	;;#ASMSTART
	v_cvt_f32_f16 v31, v31;
	;;#ASMEND
	;;#ASMSTART
	v_cvt_f32_f16 v29, v29;
	;;#ASMEND
	;;#ASMSTART
	v_cvt_f32_f16 v33, v26;
	;;#ASMEND
	v_lshrrev_b32_e32 v26, 16, v27
	v_and_b32_e32 v27, 0xffff, v27
	v_fmac_f32_e32 v41, v35, v37
	;;#ASMSTART
	v_cvt_f32_f16 v34, v27;
	;;#ASMEND
	;;#ASMSTART
	v_cvt_f32_f16 v35, v26;
	;;#ASMEND
	ds_read_b64 v[26:27], v57 offset:112
	v_fmac_f32_e32 v38, v28, v32
	v_fmac_f32_e32 v40, v29, v34
	v_lshrrev_b32_e32 v29, 16, v24
	v_and_b32_e32 v24, 0xffff, v24
	s_waitcnt lgkmcnt(0)
	v_lshrrev_b32_e32 v28, 16, v26
	v_and_b32_e32 v26, 0xffff, v26
	v_fmac_f32_e32 v39, v30, v31
	;;#ASMSTART
	v_cvt_f32_f16 v26, v26;
	;;#ASMEND
	;;#ASMSTART
	v_cvt_f32_f16 v28, v28;
	;;#ASMEND
	;;#ASMSTART
	v_cvt_f32_f16 v30, v24;
	;;#ASMEND
	v_lshrrev_b32_e32 v24, 16, v27
	v_and_b32_e32 v27, 0xffff, v27
	;; [unrolled: 38-line block ×3, first 2 shown]
	;;#ASMSTART
	v_cvt_f32_f16 v27, v27;
	;;#ASMEND
	;;#ASMSTART
	v_cvt_f32_f16 v25, v25;
	;;#ASMEND
	;;#ASMSTART
	v_cvt_f32_f16 v29, v22;
	;;#ASMEND
	v_lshrrev_b32_e32 v22, 16, v23
	v_and_b32_e32 v23, 0xffff, v23
	v_fmac_f32_e32 v41, v31, v33
	;;#ASMSTART
	v_cvt_f32_f16 v30, v23;
	;;#ASMEND
	;;#ASMSTART
	v_cvt_f32_f16 v31, v22;
	;;#ASMEND
	ds_read_b64 v[22:23], v57 offset:128
	v_fmac_f32_e32 v38, v24, v28
	v_fmac_f32_e32 v40, v25, v30
	s_waitcnt vmcnt(7)
	v_lshrrev_b32_e32 v25, 16, v20
	v_and_b32_e32 v20, 0xffff, v20
	s_waitcnt lgkmcnt(0)
	v_lshrrev_b32_e32 v24, 16, v22
	v_and_b32_e32 v22, 0xffff, v22
	v_fmac_f32_e32 v39, v26, v27
	;;#ASMSTART
	v_cvt_f32_f16 v22, v22;
	;;#ASMEND
	;;#ASMSTART
	v_cvt_f32_f16 v24, v24;
	;;#ASMEND
	;;#ASMSTART
	v_cvt_f32_f16 v26, v20;
	;;#ASMEND
	v_lshrrev_b32_e32 v20, 16, v23
	v_and_b32_e32 v23, 0xffff, v23
	;;#ASMSTART
	v_cvt_f32_f16 v25, v25;
	;;#ASMEND
	;;#ASMSTART
	v_cvt_f32_f16 v23, v23;
	;;#ASMEND
	;;#ASMSTART
	v_cvt_f32_f16 v27, v20;
	;;#ASMEND
	v_lshrrev_b32_e32 v20, 16, v21
	v_and_b32_e32 v21, 0xffff, v21
	v_fmac_f32_e32 v41, v29, v31
	;;#ASMSTART
	v_cvt_f32_f16 v28, v21;
	;;#ASMEND
	;;#ASMSTART
	v_cvt_f32_f16 v29, v20;
	;;#ASMEND
	ds_read_b64 v[20:21], v57 offset:136
	v_fmac_f32_e32 v38, v22, v26
	v_fmac_f32_e32 v40, v23, v28
	s_waitcnt vmcnt(6)
	v_lshrrev_b32_e32 v23, 16, v18
	v_and_b32_e32 v18, 0xffff, v18
	s_waitcnt lgkmcnt(0)
	v_lshrrev_b32_e32 v22, 16, v20
	v_and_b32_e32 v20, 0xffff, v20
	v_fmac_f32_e32 v39, v24, v25
	;;#ASMSTART
	v_cvt_f32_f16 v20, v20;
	;;#ASMEND
	;;#ASMSTART
	v_cvt_f32_f16 v22, v22;
	;;#ASMEND
	;;#ASMSTART
	v_cvt_f32_f16 v24, v18;
	;;#ASMEND
	v_lshrrev_b32_e32 v18, 16, v21
	v_and_b32_e32 v21, 0xffff, v21
	;; [unrolled: 39-line block ×7, first 2 shown]
	;;#ASMSTART
	v_cvt_f32_f16 v13, v13;
	;;#ASMEND
	;;#ASMSTART
	v_cvt_f32_f16 v11, v11;
	;;#ASMEND
	;; [unrolled: 3-line block ×3, first 2 shown]
	v_lshrrev_b32_e32 v8, 16, v9
	v_and_b32_e32 v9, 0xffff, v9
	v_fmac_f32_e32 v41, v17, v19
	;;#ASMSTART
	v_cvt_f32_f16 v16, v9;
	;;#ASMEND
	;;#ASMSTART
	v_cvt_f32_f16 v17, v8;
	;;#ASMEND
	ds_read_b64 v[8:9], v57 offset:184
	v_fmac_f32_e32 v38, v10, v14
	v_fmac_f32_e32 v40, v11, v16
	s_waitcnt vmcnt(0)
	v_lshrrev_b32_e32 v11, 16, v6
	v_and_b32_e32 v6, 0xffff, v6
	s_waitcnt lgkmcnt(0)
	v_lshrrev_b32_e32 v10, 16, v8
	v_and_b32_e32 v8, 0xffff, v8
	;;#ASMSTART
	v_cvt_f32_f16 v8, v8;
	;;#ASMEND
	;;#ASMSTART
	v_cvt_f32_f16 v10, v10;
	;;#ASMEND
	;; [unrolled: 3-line block ×3, first 2 shown]
	v_fmac_f32_e32 v39, v12, v13
	v_fmac_f32_e32 v38, v8, v6
	v_lshrrev_b32_e32 v6, 16, v9
	v_and_b32_e32 v8, 0xffff, v9
	v_fmac_f32_e32 v41, v15, v17
	;;#ASMSTART
	v_cvt_f32_f16 v11, v11;
	;;#ASMEND
	;;#ASMSTART
	v_cvt_f32_f16 v8, v8;
	;;#ASMEND
	;; [unrolled: 3-line block ×3, first 2 shown]
	v_lshrrev_b32_e32 v9, 16, v7
	v_fmac_f32_e32 v39, v10, v11
	v_and_b32_e32 v7, 0xffff, v7
	;;#ASMSTART
	v_cvt_f32_f16 v7, v7;
	;;#ASMEND
	;;#ASMSTART
	v_cvt_f32_f16 v9, v9;
	;;#ASMEND
	s_nop 0
	v_fmac_f32_e32 v40, v8, v7
	v_fmac_f32_e32 v41, v6, v9
	v_add_f32_e32 v6, v38, v39
	v_add_f32_e32 v6, v6, v40
	v_cndmask_b32_e32 v7, v64, v65, vcc
	v_add_f32_e32 v6, v41, v6
	v_lshlrev_b32_e32 v7, 2, v7
	ds_bpermute_b32 v7, v7, v6
	s_and_saveexec_b64 s[8:9], s[2:3]
	s_cbranch_execz .LBB97_11
; %bb.17:                               ;   in Loop: Header=BB97_13 Depth=1
	v_add_u32_e32 v8, v62, v60
	v_cvt_f32_i32_e32 v8, v8
	s_waitcnt lgkmcnt(0)
	v_add_f32_e32 v6, v6, v7
	v_add_u32_e32 v9, v56, v60
	v_cmp_gt_i32_e32 vcc, s33, v9
	v_mul_f32_e32 v7, s42, v8
	v_cndmask_b32_e64 v7, 0, v7, s[0:1]
	v_fmac_f32_e32 v7, s31, v6
	v_cndmask_b32_e32 v6, 0, v7, vcc
	ds_write_b32 v61, v6
	v_max_f32_e32 v6, v58, v58
	v_max_f32_e32 v6, v6, v7
	v_cndmask_b32_e32 v58, v58, v6, vcc
	s_branch .LBB97_11
.LBB97_18:
	s_or_b64 exec, exec, s[36:37]
.LBB97_19:
	s_or_b64 exec, exec, s[34:35]
	v_mbcnt_hi_u32_b32 v8, -1, v55
	v_and_b32_e32 v2, 64, v8
	v_add_u32_e32 v9, 64, v2
	v_xor_b32_e32 v2, 32, v8
	v_cmp_lt_i32_e32 vcc, v2, v9
	v_xor_b32_e32 v5, 16, v8
	v_max_f32_e32 v4, v58, v58
	v_cndmask_b32_e32 v2, v8, v2, vcc
	v_lshlrev_b32_e32 v2, 2, v2
	ds_bpermute_b32 v3, v2, v58
	v_cmp_lt_i32_e32 vcc, v5, v9
	v_xor_b32_e32 v6, 8, v8
	s_waitcnt lgkmcnt(1)
	v_xor_b32_e32 v7, 4, v8
	v_xor_b32_e32 v10, 2, v8
	s_waitcnt lgkmcnt(0)
	v_max_f32_e32 v3, v3, v3
	v_max_f32_e32 v4, v4, v3
	v_cndmask_b32_e32 v3, v8, v5, vcc
	v_lshlrev_b32_e32 v3, 2, v3
	ds_bpermute_b32 v5, v3, v4
	v_cmp_lt_i32_e32 vcc, v6, v9
	v_and_b32_e32 v42, 63, v0
	s_waitcnt lgkmcnt(0)
	v_max_f32_e32 v5, v5, v5
	v_max_f32_e32 v5, v4, v5
	v_cndmask_b32_e32 v4, v8, v6, vcc
	v_lshlrev_b32_e32 v4, 2, v4
	ds_bpermute_b32 v6, v4, v5
	v_cmp_lt_i32_e32 vcc, v7, v9
	s_waitcnt lgkmcnt(0)
	v_max_f32_e32 v6, v6, v6
	v_max_f32_e32 v6, v5, v6
	v_cndmask_b32_e32 v5, v8, v7, vcc
	v_lshlrev_b32_e32 v5, 2, v5
	ds_bpermute_b32 v7, v5, v6
	v_cmp_lt_i32_e32 vcc, v10, v9
	s_waitcnt lgkmcnt(0)
	v_max_f32_e32 v7, v7, v7
	v_max_f32_e32 v7, v6, v7
	v_cndmask_b32_e32 v6, v8, v10, vcc
	v_lshlrev_b32_e32 v43, 2, v6
	ds_bpermute_b32 v10, v43, v7
	v_cmp_eq_u32_e32 vcc, 0, v42
	v_lshlrev_b32_e32 v6, 2, v1
	s_and_saveexec_b64 s[0:1], vcc
	s_cbranch_execz .LBB97_21
; %bb.20:
	s_waitcnt lgkmcnt(0)
	v_max_f32_e32 v10, v10, v10
	v_max_f32_e32 v7, v7, v7
	;; [unrolled: 1-line block ×3, first 2 shown]
	ds_write_b32 v6, v7 offset:384
.LBB97_21:
	s_or_b64 exec, exec, s[0:1]
	v_cmp_gt_u32_e64 s[0:1], 2, v42
	s_waitcnt lgkmcnt(0)
	v_mov_b32_e32 v10, 0xff7fffff
	v_lshlrev_b32_e32 v7, 2, v42
	s_barrier
	s_and_saveexec_b64 s[2:3], s[0:1]
	s_cbranch_execz .LBB97_23
; %bb.22:
	ds_read_b32 v10, v7 offset:384
.LBB97_23:
	s_or_b64 exec, exec, s[2:3]
	v_xor_b32_e32 v11, 1, v8
	v_cmp_lt_i32_e64 s[2:3], v11, v9
	s_nop 1
	v_cndmask_b32_e64 v9, v8, v11, s[2:3]
	v_lshlrev_b32_e32 v44, 2, v9
	s_waitcnt lgkmcnt(0)
	ds_bpermute_b32 v9, v44, v10
	v_max_f32_e32 v10, v10, v10
	v_lshlrev_b32_e32 v8, 2, v8
	v_and_b32_e32 v8, 0x100, v8
	s_lshl_b32 s2, s16, 5
	s_waitcnt lgkmcnt(0)
	v_max_f32_e32 v9, v9, v9
	v_max_f32_e32 v9, v10, v9
	ds_bpermute_b32 v10, v8, v9
	s_min_i32 s15, s2, s33
	v_cmp_gt_i32_e64 s[2:3], s15, v0
	v_mov_b32_e32 v9, 0
	s_and_saveexec_b64 s[30:31], s[2:3]
	s_cbranch_execz .LBB97_27
; %bb.24:
	v_mov_b32_e32 v9, 0x190
	v_lshl_add_u32 v11, v0, 2, v9
	s_mov_b64 s[34:35], 0
	v_mov_b32_e32 v9, 0
	v_mov_b32_e32 v12, v0
.LBB97_25:                              ; =>This Inner Loop Header: Depth=1
	ds_read_b32 v13, v11
	v_add_u32_e32 v12, 0x80, v12
	v_cmp_le_i32_e64 s[8:9], s15, v12
	s_or_b64 s[34:35], s[8:9], s[34:35]
	s_waitcnt lgkmcnt(0)
	v_sub_f32_e32 v13, v13, v10
	v_mul_f32_e32 v13, 0x3fb8aa3b, v13
	v_exp_f32_e32 v13, v13
	ds_write_b32 v11, v13
	v_add_f32_e32 v9, v9, v13
	v_add_u32_e32 v11, 0x200, v11
	s_andn2_b64 exec, exec, s[34:35]
	s_cbranch_execnz .LBB97_25
; %bb.26:
	s_or_b64 exec, exec, s[34:35]
.LBB97_27:
	s_or_b64 exec, exec, s[30:31]
	ds_bpermute_b32 v2, v2, v9
	s_waitcnt lgkmcnt(0)
	v_add_f32_e32 v2, v9, v2
	ds_bpermute_b32 v3, v3, v2
	s_waitcnt lgkmcnt(0)
	v_add_f32_e32 v2, v2, v3
	;; [unrolled: 3-line block ×6, first 2 shown]
	s_and_saveexec_b64 s[8:9], vcc
	s_cbranch_execz .LBB97_29
; %bb.28:
	ds_write_b32 v6, v2 offset:392
.LBB97_29:
	s_or_b64 exec, exec, s[8:9]
	s_waitcnt lgkmcnt(0)
	s_barrier
	s_and_saveexec_b64 s[8:9], s[0:1]
	s_cbranch_execz .LBB97_31
; %bb.30:
	ds_read_b32 v2, v7 offset:392
.LBB97_31:
	s_or_b64 exec, exec, s[8:9]
	s_waitcnt lgkmcnt(0)
	ds_bpermute_b32 v3, v44, v2
	s_waitcnt lgkmcnt(0)
	v_add_f32_e32 v2, v2, v3
	ds_bpermute_b32 v2, v8, v2
	s_and_saveexec_b64 s[0:1], s[2:3]
	s_cbranch_execz .LBB97_44
; %bb.32:
	s_waitcnt lgkmcnt(0)
	v_add_f32_e32 v2, 0x358637bd, v2
	v_div_scale_f32 v3, s[2:3], v2, v2, 1.0
	v_rcp_f32_e32 v4, v3
	v_div_scale_f32 v5, vcc, 1.0, v2, 1.0
	s_movk_i32 s2, 0x7f
	v_fma_f32 v6, -v3, v4, 1.0
	v_fmac_f32_e32 v4, v6, v4
	v_mul_f32_e32 v6, v5, v4
	v_fma_f32 v7, -v3, v6, v5
	v_fmac_f32_e32 v6, v7, v4
	v_fma_f32 v3, -v3, v6, v5
	v_div_fmas_f32 v3, v3, v4, v6
	v_xad_u32 v4, v0, -1, s15
	v_div_fixup_f32 v2, v3, v2, 1.0
	v_cmp_lt_u32_e32 vcc, s2, v4
	s_mov_b64 s[8:9], -1
	v_mov_b32_e32 v3, v0
	s_and_saveexec_b64 s[2:3], vcc
	s_cbranch_execz .LBB97_41
; %bb.33:
	v_lshrrev_b32_e32 v4, 7, v4
	v_add_u32_e32 v6, -1, v4
	v_lshrrev_b32_e32 v5, 1, v6
	v_mov_b32_e32 v3, v2
	v_add_u32_e32 v5, 1, v5
	v_cmp_lt_u32_e32 vcc, 13, v6
	v_mov_b32_e32 v8, 0
	s_and_saveexec_b64 s[8:9], vcc
	s_cbranch_execz .LBB97_37
; %bb.34:
	v_mov_b32_e32 v7, 0x190
	v_and_b32_e32 v6, -8, v5
	v_lshl_add_u32 v7, v0, 2, v7
	s_mov_b32 s34, 0
	s_mov_b64 s[30:31], 0
.LBB97_35:                              ; =>This Inner Loop Header: Depth=1
	ds_read2st64_b32 v[8:9], v7 offset1:2
	ds_read2st64_b32 v[10:11], v7 offset0:4 offset1:6
	ds_read2st64_b32 v[12:13], v7 offset0:8 offset1:10
	;; [unrolled: 1-line block ×3, first 2 shown]
	v_add_u32_e32 v6, -8, v6
	s_waitcnt lgkmcnt(3)
	v_pk_mul_f32 v[8:9], v[2:3], v[8:9]
	s_waitcnt lgkmcnt(2)
	v_pk_mul_f32 v[10:11], v[2:3], v[10:11]
	ds_write2st64_b32 v7, v8, v9 offset1:2
	ds_write2st64_b32 v7, v10, v11 offset0:4 offset1:6
	ds_read2st64_b32 v[10:11], v7 offset0:16 offset1:18
	s_waitcnt lgkmcnt(4)
	v_pk_mul_f32 v[8:9], v[2:3], v[12:13]
	ds_write2st64_b32 v7, v8, v9 offset0:8 offset1:10
	s_waitcnt lgkmcnt(4)
	v_pk_mul_f32 v[8:9], v[2:3], v[14:15]
	ds_write2st64_b32 v7, v8, v9 offset0:12 offset1:14
	ds_read2st64_b32 v[8:9], v7 offset0:20 offset1:22
	s_waitcnt lgkmcnt(3)
	v_pk_mul_f32 v[10:11], v[2:3], v[10:11]
	ds_read2st64_b32 v[12:13], v7 offset0:24 offset1:26
	ds_write2st64_b32 v7, v10, v11 offset0:16 offset1:18
	ds_read2st64_b32 v[10:11], v7 offset0:28 offset1:30
	s_waitcnt lgkmcnt(3)
	v_pk_mul_f32 v[8:9], v[2:3], v[8:9]
	ds_write2st64_b32 v7, v8, v9 offset0:20 offset1:22
	s_waitcnt lgkmcnt(3)
	v_pk_mul_f32 v[8:9], v[2:3], v[12:13]
	ds_write2st64_b32 v7, v8, v9 offset0:24 offset1:26
	s_waitcnt lgkmcnt(2)
	v_pk_mul_f32 v[8:9], v[2:3], v[10:11]
	s_add_i32 s34, s34, 16
	v_cmp_eq_u32_e32 vcc, 0, v6
	ds_write2st64_b32 v7, v8, v9 offset0:28 offset1:30
	v_add_u32_e32 v7, 0x2000, v7
	s_or_b64 s[30:31], vcc, s[30:31]
	v_mov_b32_e32 v8, s34
	s_andn2_b64 exec, exec, s[30:31]
	s_cbranch_execnz .LBB97_35
; %bb.36:
	s_or_b64 exec, exec, s[30:31]
.LBB97_37:
	s_or_b64 exec, exec, s[8:9]
	v_and_b32_e32 v5, 7, v5
	v_cmp_ne_u32_e32 vcc, 0, v5
	s_and_saveexec_b64 s[8:9], vcc
	s_cbranch_execz .LBB97_40
; %bb.38:
	v_lshlrev_b32_e32 v6, 9, v8
	v_lshlrev_b32_e32 v7, 2, v0
	s_movk_i32 s30, 0x190
	v_add3_u32 v6, v6, v7, s30
	s_mov_b64 s[30:31], 0
.LBB97_39:                              ; =>This Inner Loop Header: Depth=1
	ds_read2st64_b32 v[8:9], v6 offset1:2
	v_add_u32_e32 v5, -1, v5
	v_cmp_eq_u32_e32 vcc, 0, v5
	s_or_b64 s[30:31], vcc, s[30:31]
	s_waitcnt lgkmcnt(0)
	v_pk_mul_f32 v[8:9], v[2:3], v[8:9]
	ds_write2st64_b32 v6, v8, v9 offset1:2
	v_add_u32_e32 v6, 0x400, v6
	s_andn2_b64 exec, exec, s[30:31]
	s_cbranch_execnz .LBB97_39
.LBB97_40:
	s_or_b64 exec, exec, s[8:9]
	v_add_u32_e32 v4, 1, v4
	v_and_b32_e32 v5, 0x3fffffe, v4
	v_cmp_ne_u32_e32 vcc, v4, v5
	v_lshl_add_u32 v3, v5, 7, v0
	s_orn2_b64 s[8:9], vcc, exec
.LBB97_41:
	s_or_b64 exec, exec, s[2:3]
	s_and_b64 exec, exec, s[8:9]
	s_cbranch_execz .LBB97_44
; %bb.42:
	v_mov_b32_e32 v4, 0x190
	v_lshl_add_u32 v4, v3, 2, v4
	s_mov_b64 s[2:3], 0
.LBB97_43:                              ; =>This Inner Loop Header: Depth=1
	ds_read_b32 v5, v4
	v_add_u32_e32 v3, 0x80, v3
	v_cmp_le_i32_e32 vcc, s15, v3
	s_or_b64 s[2:3], vcc, s[2:3]
	s_waitcnt lgkmcnt(0)
	v_mul_f32_e32 v5, v2, v5
	ds_write_b32 v4, v5
	v_add_u32_e32 v4, 0x200, v4
	s_andn2_b64 exec, exec, s[2:3]
	s_cbranch_execnz .LBB97_43
.LBB97_44:
	s_or_b64 exec, exec, s[0:1]
	v_mov_b32_e32 v7, 0
	v_and_b32_e32 v45, 3, v0
	v_mov_b32_e32 v6, 0
	v_mov_b32_e32 v9, 0
	;; [unrolled: 1-line block ×11, first 2 shown]
	s_waitcnt lgkmcnt(0)
	s_barrier
	s_and_saveexec_b64 s[2:3], s[6:7]
	s_cbranch_execz .LBB97_74
; %bb.45:
	s_ashr_i32 s15, s14, 31
	s_sub_i32 s17, s12, s17
	s_lshl_b64 s[0:1], s[14:15], 1
	s_add_u32 s6, s28, s0
	s_addc_u32 s7, s29, s1
	s_abs_i32 s18, s18
	v_cvt_f32_u32_e32 v3, s18
	s_sub_i32 s0, 0, s18
	s_add_i32 s28, s16, -1
	v_and_b32_e32 v2, 0x1f8, v53
	v_rcp_iflag_f32_e32 v3, v3
	v_mov_b32_e32 v17, 0
	v_or_b32_e32 v4, 0x800, v2
	v_or_b32_e32 v6, 0xa00, v2
	v_mul_f32_e32 v3, 0x4f7ffffe, v3
	v_cvt_u32_f32_e32 v3, v3
	v_or_b32_e32 v8, 0xc00, v2
	v_or_b32_e32 v10, 0xe00, v2
	;; [unrolled: 1-line block ×3, first 2 shown]
	v_mul_lo_u32 v5, s0, v3
	v_mul_hi_u32 v5, v3, v5
	s_lshl_b64 s[0:1], s[26:27], 2
	v_add_u32_e32 v47, v3, v5
	s_add_u32 s0, s24, s0
	v_lshlrev_b32_e32 v3, 5, v45
	v_or_b32_e32 v14, 0x1200, v2
	v_or_b32_e32 v18, 0x1400, v2
	;; [unrolled: 1-line block ×3, first 2 shown]
	v_and_b32_e32 v16, 60, v54
	s_addc_u32 s1, s25, s1
	v_lshl_or_b32 v3, v1, 7, v3
	v_and_b32_e32 v46, 24, v53
	s_mov_b32 s30, s13
	s_mov_b32 s29, s33
	;; [unrolled: 1-line block ×8, first 2 shown]
	v_lshl_add_u64 v[20:21], s[0:1], 0, v[16:17]
	v_add_u32_e32 v48, 0x190, v3
	s_mov_b64 s[8:9], 0
	v_lshlrev_b32_e32 v22, 1, v2
	s_mov_b32 s24, 0x5040100
	v_lshlrev_b32_e32 v16, 1, v4
	v_lshlrev_b32_e32 v24, 1, v6
	;; [unrolled: 1-line block ×8, first 2 shown]
	v_mov_b32_e32 v18, v17
	v_mov_b32_e32 v19, v17
	v_mov_b32_e32 v14, v17
	v_mov_b32_e32 v15, v17
	v_mov_b32_e32 v12, v17
	v_mov_b32_e32 v13, v17
	v_mov_b32_e32 v10, v17
	v_mov_b32_e32 v11, v17
	v_mov_b32_e32 v8, v17
	v_mov_b32_e32 v9, v17
	v_mov_b32_e32 v6, v17
	v_mov_b32_e32 v7, v17
	s_branch .LBB97_48
.LBB97_46:                              ;   in Loop: Header=BB97_48 Depth=1
	s_or_b64 exec, exec, s[0:1]
	v_add_f32_e32 v23, v35, v74
	v_add_f32_e32 v6, v6, v23
	;; [unrolled: 1-line block ×9, first 2 shown]
	s_waitcnt vmcnt(0)
	;;#ASMSTART
	v_pk_mul_f16 v2, v58, v2;

	;;#ASMEND
	v_add_f32_e32 v10, v10, v23
	v_add_f32_e32 v23, v25, v69
	;;#ASMSTART
	v_pk_mul_f16 v3, v57, v3;

	;;#ASMEND
	;;#ASMSTART
	v_pk_mul_f16 v4, v56, v4;

	;;#ASMEND
	;; [unrolled: 4-line block ×3, first 2 shown]
	v_add_f32_e32 v13, v13, v23
	;;#ASMSTART
	v_pk_add_f16 v2, v2, v3;

	;;#ASMEND
	v_add_f32_e32 v23, v67, v68
	;;#ASMSTART
	v_pk_add_f16 v2, v2, v4;

	;;#ASMEND
	v_add_f32_e32 v12, v12, v23
	v_add_f32_e32 v23, v40, v41
	;;#ASMSTART
	v_pk_add_f16 v2, v2, v5;

	;;#ASMEND
	v_add_f32_e32 v15, v15, v23
	v_add_f32_e32 v23, v65, v66
	v_lshrrev_b32_e32 v3, 16, v2
	v_and_b32_e32 v2, 0xffff, v2
	v_add_f32_e32 v14, v14, v23
	v_add_f32_e32 v23, v63, v64
	;;#ASMSTART
	v_cvt_f32_f16 v2, v2;
	;;#ASMEND
	v_add_f32_e32 v19, v19, v23
	v_add_f32_e32 v23, v61, v62
	;;#ASMSTART
	v_cvt_f32_f16 v3, v3;
	;;#ASMEND
	v_add_f32_e32 v18, v18, v23
	v_add_f32_e32 v2, v2, v3
	;; [unrolled: 1-line block ×3, first 2 shown]
.LBB97_47:                              ;   in Loop: Header=BB97_48 Depth=1
	s_or_b64 exec, exec, s[12:13]
	v_add_u32_e32 v1, 2, v1
	v_cmp_le_i32_e32 vcc, s16, v1
	v_lshl_add_u64 v[20:21], v[20:21], 0, 8
	v_add_u32_e32 v52, 64, v52
	s_or_b64 s[8:9], vcc, s[8:9]
	v_add_u32_e32 v48, 0x100, v48
	s_andn2_b64 exec, exec, s[8:9]
	s_cbranch_execz .LBB97_73
.LBB97_48:                              ; =>This Inner Loop Header: Depth=1
	v_mul_hi_u32 v2, v52, s40
	v_mul_lo_u32 v3, v2, s21
	v_sub_u32_e32 v3, v52, v3
	v_add_u32_e32 v4, 1, v2
	v_cmp_le_u32_e32 vcc, s21, v3
	s_nop 1
	v_cndmask_b32_e32 v2, v2, v4, vcc
	v_subrev_u32_e32 v4, s21, v3
	v_cndmask_b32_e32 v3, v3, v4, vcc
	v_add_u32_e32 v4, 1, v2
	v_cmp_le_u32_e32 vcc, s21, v3
	s_nop 1
	v_cndmask_b32_e32 v2, v2, v4, vcc
	v_xor_b32_e32 v2, s19, v2
	v_subrev_u32_e32 v2, s19, v2
	v_add_u32_e32 v3, s41, v2
	v_sub_u32_e32 v5, 0, v3
	v_ashrrev_i32_e32 v4, 31, v3
	v_max_i32_e32 v3, v3, v5
	v_mul_hi_u32 v5, v3, v47
	v_mul_lo_u32 v5, v5, s18
	v_sub_u32_e32 v3, v3, v5
	v_subrev_u32_e32 v5, s18, v3
	v_cmp_le_u32_e32 vcc, s18, v3
	v_cmp_lt_i32_e64 s[0:1], s17, v2
	s_nop 0
	v_cndmask_b32_e32 v3, v3, v5, vcc
	v_subrev_u32_e32 v5, s18, v3
	v_cmp_le_u32_e32 vcc, s18, v3
	s_nop 1
	v_cndmask_b32_e32 v3, v3, v5, vcc
	v_xor_b32_e32 v3, v3, v4
	v_sub_u32_e32 v3, v3, v4
	v_cmp_eq_u32_e32 vcc, 0, v3
	s_or_b64 s[0:1], vcc, s[0:1]
	s_and_saveexec_b64 s[12:13], s[0:1]
	s_cbranch_execz .LBB97_47
; %bb.49:                               ;   in Loop: Header=BB97_48 Depth=1
	global_load_dword v23, v[20:21], off
	ds_read2_b64 v[2:5], v48 offset1:1
	ds_read2_b64 v[38:41], v48 offset0:2 offset1:3
	v_cmp_eq_u32_e32 vcc, s28, v1
	s_waitcnt lgkmcnt(1)
	;;#ASMSTART
	v_cvt_f16_f32 v25, v2;

	;;#ASMEND
	;;#ASMSTART
	v_cvt_f16_f32 v27, v3;

	;;#ASMEND
	;; [unrolled: 4-line block ×4, first 2 shown]
	s_waitcnt lgkmcnt(0)
	;;#ASMSTART
	v_cvt_f16_f32 v33, v38;

	;;#ASMEND
	;;#ASMSTART
	v_cvt_f16_f32 v35, v39;

	;;#ASMEND
	;; [unrolled: 4-line block ×4, first 2 shown]
	s_waitcnt vmcnt(0)
	v_mad_i64_i32 v[2:3], s[0:1], v23, s30, 0
	v_lshl_add_u64 v[38:39], v[2:3], 1, s[6:7]
	v_mov_b32_e32 v23, v17
	v_lshl_add_u64 v[40:41], v[38:39], 0, v[22:23]
	global_load_dwordx4 v[2:5], v[40:41], off
	v_add_u32_e32 v23, v46, v52
	v_add_u32_e32 v49, 1, v23
	v_or_b32_e32 v51, 3, v23
	v_or_b32_e32 v50, 2, v23
	;; [unrolled: 1-line block ×6, first 2 shown]
	s_and_saveexec_b64 s[14:15], vcc
	s_cbranch_execz .LBB97_51
; %bb.50:                               ;   in Loop: Header=BB97_48 Depth=1
	s_waitcnt vmcnt(0)
	v_lshrrev_b32_e32 v56, 16, v5
	v_cmp_gt_i32_e64 s[0:1], s38, v60
	s_nop 1
	v_cndmask_b32_e64 v56, 0, v56, s[0:1]
	v_cmp_gt_i32_e64 s[0:1], s37, v59
	s_nop 1
	v_cndmask_b32_e64 v5, 0, v5, s[0:1]
	v_perm_b32 v5, v56, v5, s24
	v_lshrrev_b32_e32 v56, 16, v4
	v_cmp_gt_i32_e64 s[0:1], s36, v54
	s_nop 1
	v_cndmask_b32_e64 v56, 0, v56, s[0:1]
	v_cmp_gt_i32_e64 s[0:1], s35, v53
	s_nop 1
	v_cndmask_b32_e64 v4, 0, v4, s[0:1]
	v_perm_b32 v4, v56, v4, s24
	;; [unrolled: 8-line block ×4, first 2 shown]
.LBB97_51:                              ;   in Loop: Header=BB97_48 Depth=1
	s_or_b64 exec, exec, s[14:15]
	v_and_b32_e32 v25, 0xffff, v25
	v_lshl_or_b32 v58, v27, 16, v25
	v_and_b32_e32 v25, 0xffff, v29
	v_lshl_or_b32 v57, v31, 16, v25
	;; [unrolled: 2-line block ×3, first 2 shown]
	v_and_b32_e32 v25, 0xffff, v37
	s_waitcnt vmcnt(0)
	;;#ASMSTART
	v_pk_mul_f16 v2, v58, v2;

	;;#ASMEND
	v_lshl_or_b32 v55, v55, 16, v25
	;;#ASMSTART
	v_pk_mul_f16 v3, v57, v3;

	;;#ASMEND
	;;#ASMSTART
	v_pk_mul_f16 v4, v56, v4;

	;;#ASMEND
	;; [unrolled: 4-line block ×3, first 2 shown]
	s_nop 0
	;;#ASMSTART
	v_pk_add_f16 v2, v2, v3;

	;;#ASMEND
	s_nop 0
	;;#ASMSTART
	v_pk_add_f16 v2, v2, v4;

	;;#ASMEND
	;; [unrolled: 5-line block ×3, first 2 shown]
	s_nop 0
	v_lshrrev_b32_e32 v3, 16, v2
	v_and_b32_e32 v2, 0xffff, v2
	;;#ASMSTART
	v_cvt_f32_f16 v61, v2;
	;;#ASMEND
	;;#ASMSTART
	v_cvt_f32_f16 v62, v3;
	;;#ASMEND
	global_load_dwordx4 v[2:5], v[40:41], off offset:1024
	s_and_saveexec_b64 s[14:15], vcc
	s_cbranch_execz .LBB97_53
; %bb.52:                               ;   in Loop: Header=BB97_48 Depth=1
	s_waitcnt vmcnt(0)
	v_lshrrev_b32_e32 v25, 16, v5
	v_cmp_gt_i32_e64 s[0:1], s38, v60
	s_nop 1
	v_cndmask_b32_e64 v25, 0, v25, s[0:1]
	v_cmp_gt_i32_e64 s[0:1], s37, v59
	s_nop 1
	v_cndmask_b32_e64 v5, 0, v5, s[0:1]
	v_perm_b32 v5, v25, v5, s24
	v_lshrrev_b32_e32 v25, 16, v4
	v_cmp_gt_i32_e64 s[0:1], s36, v54
	s_nop 1
	v_cndmask_b32_e64 v25, 0, v25, s[0:1]
	v_cmp_gt_i32_e64 s[0:1], s35, v53
	s_nop 1
	v_cndmask_b32_e64 v4, 0, v4, s[0:1]
	v_perm_b32 v4, v25, v4, s24
	;; [unrolled: 8-line block ×4, first 2 shown]
.LBB97_53:                              ;   in Loop: Header=BB97_48 Depth=1
	s_or_b64 exec, exec, s[14:15]
	s_waitcnt vmcnt(0)
	;;#ASMSTART
	v_pk_mul_f16 v2, v58, v2;

	;;#ASMEND
	;;#ASMSTART
	v_pk_mul_f16 v3, v57, v3;

	;;#ASMEND
	;; [unrolled: 4-line block ×4, first 2 shown]
	s_nop 0
	;;#ASMSTART
	v_pk_add_f16 v2, v2, v3;

	;;#ASMEND
	s_nop 0
	;;#ASMSTART
	v_pk_add_f16 v2, v2, v4;

	;;#ASMEND
	;; [unrolled: 5-line block ×3, first 2 shown]
	s_nop 0
	v_lshrrev_b32_e32 v3, 16, v2
	v_and_b32_e32 v2, 0xffff, v2
	;;#ASMSTART
	v_cvt_f32_f16 v63, v2;
	;;#ASMEND
	;;#ASMSTART
	v_cvt_f32_f16 v64, v3;
	;;#ASMEND
	global_load_dwordx4 v[2:5], v[40:41], off offset:2048
	s_and_saveexec_b64 s[14:15], vcc
	s_cbranch_execz .LBB97_55
; %bb.54:                               ;   in Loop: Header=BB97_48 Depth=1
	s_waitcnt vmcnt(0)
	v_lshrrev_b32_e32 v25, 16, v5
	v_cmp_gt_i32_e64 s[0:1], s38, v60
	s_nop 1
	v_cndmask_b32_e64 v25, 0, v25, s[0:1]
	v_cmp_gt_i32_e64 s[0:1], s37, v59
	s_nop 1
	v_cndmask_b32_e64 v5, 0, v5, s[0:1]
	v_perm_b32 v5, v25, v5, s24
	v_lshrrev_b32_e32 v25, 16, v4
	v_cmp_gt_i32_e64 s[0:1], s36, v54
	s_nop 1
	v_cndmask_b32_e64 v25, 0, v25, s[0:1]
	v_cmp_gt_i32_e64 s[0:1], s35, v53
	s_nop 1
	v_cndmask_b32_e64 v4, 0, v4, s[0:1]
	v_perm_b32 v4, v25, v4, s24
	;; [unrolled: 8-line block ×4, first 2 shown]
.LBB97_55:                              ;   in Loop: Header=BB97_48 Depth=1
	s_or_b64 exec, exec, s[14:15]
	s_waitcnt vmcnt(0)
	;;#ASMSTART
	v_pk_mul_f16 v2, v58, v2;

	;;#ASMEND
	;;#ASMSTART
	v_pk_mul_f16 v3, v57, v3;

	;;#ASMEND
	;; [unrolled: 4-line block ×4, first 2 shown]
	s_nop 0
	;;#ASMSTART
	v_pk_add_f16 v2, v2, v3;

	;;#ASMEND
	s_nop 0
	;;#ASMSTART
	v_pk_add_f16 v2, v2, v4;

	;;#ASMEND
	;; [unrolled: 5-line block ×3, first 2 shown]
	s_nop 0
	v_lshrrev_b32_e32 v3, 16, v2
	v_and_b32_e32 v2, 0xffff, v2
	;;#ASMSTART
	v_cvt_f32_f16 v65, v2;
	;;#ASMEND
	;;#ASMSTART
	v_cvt_f32_f16 v66, v3;
	;;#ASMEND
	global_load_dwordx4 v[2:5], v[40:41], off offset:3072
	s_and_saveexec_b64 s[14:15], vcc
	s_cbranch_execz .LBB97_57
; %bb.56:                               ;   in Loop: Header=BB97_48 Depth=1
	s_waitcnt vmcnt(0)
	v_lshrrev_b32_e32 v25, 16, v5
	v_cmp_gt_i32_e64 s[0:1], s38, v60
	s_nop 1
	v_cndmask_b32_e64 v25, 0, v25, s[0:1]
	v_cmp_gt_i32_e64 s[0:1], s37, v59
	s_nop 1
	v_cndmask_b32_e64 v5, 0, v5, s[0:1]
	v_perm_b32 v5, v25, v5, s24
	v_lshrrev_b32_e32 v25, 16, v4
	v_cmp_gt_i32_e64 s[0:1], s36, v54
	s_nop 1
	v_cndmask_b32_e64 v25, 0, v25, s[0:1]
	v_cmp_gt_i32_e64 s[0:1], s35, v53
	s_nop 1
	v_cndmask_b32_e64 v4, 0, v4, s[0:1]
	v_perm_b32 v4, v25, v4, s24
	;; [unrolled: 8-line block ×4, first 2 shown]
.LBB97_57:                              ;   in Loop: Header=BB97_48 Depth=1
	s_or_b64 exec, exec, s[14:15]
	s_waitcnt vmcnt(0)
	;;#ASMSTART
	v_pk_mul_f16 v2, v58, v2;

	;;#ASMEND
	;;#ASMSTART
	v_pk_mul_f16 v3, v57, v3;

	;;#ASMEND
	;; [unrolled: 4-line block ×4, first 2 shown]
	s_nop 0
	;;#ASMSTART
	v_pk_add_f16 v2, v2, v3;

	;;#ASMEND
	s_nop 0
	;;#ASMSTART
	v_pk_add_f16 v2, v2, v4;

	;;#ASMEND
	;; [unrolled: 5-line block ×3, first 2 shown]
	s_nop 0
	v_lshrrev_b32_e32 v3, 16, v2
	v_and_b32_e32 v2, 0xffff, v2
	;;#ASMSTART
	v_cvt_f32_f16 v40, v2;
	;;#ASMEND
	;;#ASMSTART
	v_cvt_f32_f16 v41, v3;
	;;#ASMEND
	v_lshl_add_u64 v[2:3], v[38:39], 0, v[16:17]
	global_load_dwordx4 v[2:5], v[2:3], off
	s_and_saveexec_b64 s[14:15], vcc
	s_cbranch_execz .LBB97_59
; %bb.58:                               ;   in Loop: Header=BB97_48 Depth=1
	s_waitcnt vmcnt(0)
	v_lshrrev_b32_e32 v25, 16, v5
	v_cmp_gt_i32_e64 s[0:1], s38, v60
	s_nop 1
	v_cndmask_b32_e64 v25, 0, v25, s[0:1]
	v_cmp_gt_i32_e64 s[0:1], s37, v59
	s_nop 1
	v_cndmask_b32_e64 v5, 0, v5, s[0:1]
	v_perm_b32 v5, v25, v5, s24
	v_lshrrev_b32_e32 v25, 16, v4
	v_cmp_gt_i32_e64 s[0:1], s36, v54
	s_nop 1
	v_cndmask_b32_e64 v25, 0, v25, s[0:1]
	v_cmp_gt_i32_e64 s[0:1], s35, v53
	s_nop 1
	v_cndmask_b32_e64 v4, 0, v4, s[0:1]
	v_perm_b32 v4, v25, v4, s24
	;; [unrolled: 8-line block ×4, first 2 shown]
.LBB97_59:                              ;   in Loop: Header=BB97_48 Depth=1
	s_or_b64 exec, exec, s[14:15]
	s_waitcnt vmcnt(0)
	;;#ASMSTART
	v_pk_mul_f16 v2, v58, v2;

	;;#ASMEND
	;;#ASMSTART
	v_pk_mul_f16 v3, v57, v3;

	;;#ASMEND
	;; [unrolled: 4-line block ×4, first 2 shown]
	v_mov_b32_e32 v25, v17
	;;#ASMSTART
	v_pk_add_f16 v2, v2, v3;

	;;#ASMEND
	s_nop 0
	;;#ASMSTART
	v_pk_add_f16 v2, v2, v4;

	;;#ASMEND
	s_nop 0
	;; [unrolled: 5-line block ×3, first 2 shown]
	v_lshrrev_b32_e32 v3, 16, v2
	v_and_b32_e32 v2, 0xffff, v2
	;;#ASMSTART
	v_cvt_f32_f16 v67, v2;
	;;#ASMEND
	;;#ASMSTART
	v_cvt_f32_f16 v68, v3;
	;;#ASMEND
	v_lshl_add_u64 v[2:3], v[38:39], 0, v[24:25]
	global_load_dwordx4 v[2:5], v[2:3], off
	s_and_saveexec_b64 s[14:15], vcc
	s_cbranch_execz .LBB97_61
; %bb.60:                               ;   in Loop: Header=BB97_48 Depth=1
	s_waitcnt vmcnt(0)
	v_lshrrev_b32_e32 v25, 16, v5
	v_cmp_gt_i32_e64 s[0:1], s38, v60
	s_nop 1
	v_cndmask_b32_e64 v25, 0, v25, s[0:1]
	v_cmp_gt_i32_e64 s[0:1], s37, v59
	s_nop 1
	v_cndmask_b32_e64 v5, 0, v5, s[0:1]
	v_perm_b32 v5, v25, v5, s24
	v_lshrrev_b32_e32 v25, 16, v4
	v_cmp_gt_i32_e64 s[0:1], s36, v54
	s_nop 1
	v_cndmask_b32_e64 v25, 0, v25, s[0:1]
	v_cmp_gt_i32_e64 s[0:1], s35, v53
	s_nop 1
	v_cndmask_b32_e64 v4, 0, v4, s[0:1]
	v_perm_b32 v4, v25, v4, s24
	;; [unrolled: 8-line block ×4, first 2 shown]
.LBB97_61:                              ;   in Loop: Header=BB97_48 Depth=1
	s_or_b64 exec, exec, s[14:15]
	s_waitcnt vmcnt(0)
	;;#ASMSTART
	v_pk_mul_f16 v2, v58, v2;

	;;#ASMEND
	;;#ASMSTART
	v_pk_mul_f16 v3, v57, v3;

	;;#ASMEND
	;; [unrolled: 4-line block ×4, first 2 shown]
	v_mov_b32_e32 v27, v17
	;;#ASMSTART
	v_pk_add_f16 v2, v2, v3;

	;;#ASMEND
	s_nop 0
	;;#ASMSTART
	v_pk_add_f16 v2, v2, v4;

	;;#ASMEND
	s_nop 0
	;; [unrolled: 5-line block ×3, first 2 shown]
	v_lshrrev_b32_e32 v3, 16, v2
	v_and_b32_e32 v2, 0xffff, v2
	;;#ASMSTART
	v_cvt_f32_f16 v25, v2;
	;;#ASMEND
	;;#ASMSTART
	v_cvt_f32_f16 v69, v3;
	;;#ASMEND
	v_lshl_add_u64 v[2:3], v[38:39], 0, v[26:27]
	global_load_dwordx4 v[2:5], v[2:3], off
	s_and_saveexec_b64 s[14:15], vcc
	s_cbranch_execz .LBB97_63
; %bb.62:                               ;   in Loop: Header=BB97_48 Depth=1
	s_waitcnt vmcnt(0)
	v_lshrrev_b32_e32 v27, 16, v5
	v_cmp_gt_i32_e64 s[0:1], s38, v60
	s_nop 1
	v_cndmask_b32_e64 v27, 0, v27, s[0:1]
	v_cmp_gt_i32_e64 s[0:1], s37, v59
	s_nop 1
	v_cndmask_b32_e64 v5, 0, v5, s[0:1]
	v_perm_b32 v5, v27, v5, s24
	v_lshrrev_b32_e32 v27, 16, v4
	v_cmp_gt_i32_e64 s[0:1], s36, v54
	s_nop 1
	v_cndmask_b32_e64 v27, 0, v27, s[0:1]
	v_cmp_gt_i32_e64 s[0:1], s35, v53
	s_nop 1
	v_cndmask_b32_e64 v4, 0, v4, s[0:1]
	v_perm_b32 v4, v27, v4, s24
	;; [unrolled: 8-line block ×4, first 2 shown]
.LBB97_63:                              ;   in Loop: Header=BB97_48 Depth=1
	s_or_b64 exec, exec, s[14:15]
	s_waitcnt vmcnt(0)
	;;#ASMSTART
	v_pk_mul_f16 v2, v58, v2;

	;;#ASMEND
	;;#ASMSTART
	v_pk_mul_f16 v3, v57, v3;

	;;#ASMEND
	;; [unrolled: 4-line block ×4, first 2 shown]
	v_mov_b32_e32 v29, v17
	;;#ASMSTART
	v_pk_add_f16 v2, v2, v3;

	;;#ASMEND
	s_nop 0
	;;#ASMSTART
	v_pk_add_f16 v2, v2, v4;

	;;#ASMEND
	s_nop 0
	;; [unrolled: 5-line block ×3, first 2 shown]
	v_lshrrev_b32_e32 v3, 16, v2
	v_and_b32_e32 v2, 0xffff, v2
	;;#ASMSTART
	v_cvt_f32_f16 v27, v2;
	;;#ASMEND
	;;#ASMSTART
	v_cvt_f32_f16 v70, v3;
	;;#ASMEND
	v_lshl_add_u64 v[2:3], v[38:39], 0, v[28:29]
	global_load_dwordx4 v[2:5], v[2:3], off
	s_and_saveexec_b64 s[14:15], vcc
	s_cbranch_execz .LBB97_65
; %bb.64:                               ;   in Loop: Header=BB97_48 Depth=1
	s_waitcnt vmcnt(0)
	v_lshrrev_b32_e32 v29, 16, v5
	v_cmp_gt_i32_e64 s[0:1], s38, v60
	s_nop 1
	v_cndmask_b32_e64 v29, 0, v29, s[0:1]
	v_cmp_gt_i32_e64 s[0:1], s37, v59
	s_nop 1
	v_cndmask_b32_e64 v5, 0, v5, s[0:1]
	v_perm_b32 v5, v29, v5, s24
	v_lshrrev_b32_e32 v29, 16, v4
	v_cmp_gt_i32_e64 s[0:1], s36, v54
	s_nop 1
	v_cndmask_b32_e64 v29, 0, v29, s[0:1]
	v_cmp_gt_i32_e64 s[0:1], s35, v53
	s_nop 1
	v_cndmask_b32_e64 v4, 0, v4, s[0:1]
	v_perm_b32 v4, v29, v4, s24
	;; [unrolled: 8-line block ×4, first 2 shown]
.LBB97_65:                              ;   in Loop: Header=BB97_48 Depth=1
	s_or_b64 exec, exec, s[14:15]
	s_waitcnt vmcnt(0)
	;;#ASMSTART
	v_pk_mul_f16 v2, v58, v2;

	;;#ASMEND
	;;#ASMSTART
	v_pk_mul_f16 v3, v57, v3;

	;;#ASMEND
	;; [unrolled: 4-line block ×4, first 2 shown]
	v_mov_b32_e32 v31, v17
	;;#ASMSTART
	v_pk_add_f16 v2, v2, v3;

	;;#ASMEND
	s_nop 0
	;;#ASMSTART
	v_pk_add_f16 v2, v2, v4;

	;;#ASMEND
	s_nop 0
	;;#ASMSTART
	v_pk_add_f16 v2, v2, v5;

	;;#ASMEND
	s_nop 0
	v_lshrrev_b32_e32 v3, 16, v2
	v_and_b32_e32 v2, 0xffff, v2
	;;#ASMSTART
	v_cvt_f32_f16 v29, v2;
	;;#ASMEND
	;;#ASMSTART
	v_cvt_f32_f16 v71, v3;
	;;#ASMEND
	v_lshl_add_u64 v[2:3], v[38:39], 0, v[30:31]
	global_load_dwordx4 v[2:5], v[2:3], off
	s_and_saveexec_b64 s[14:15], vcc
	s_cbranch_execz .LBB97_67
; %bb.66:                               ;   in Loop: Header=BB97_48 Depth=1
	s_waitcnt vmcnt(0)
	v_lshrrev_b32_e32 v31, 16, v5
	v_cmp_gt_i32_e64 s[0:1], s38, v60
	s_nop 1
	v_cndmask_b32_e64 v31, 0, v31, s[0:1]
	v_cmp_gt_i32_e64 s[0:1], s37, v59
	s_nop 1
	v_cndmask_b32_e64 v5, 0, v5, s[0:1]
	v_perm_b32 v5, v31, v5, s24
	v_lshrrev_b32_e32 v31, 16, v4
	v_cmp_gt_i32_e64 s[0:1], s36, v54
	s_nop 1
	v_cndmask_b32_e64 v31, 0, v31, s[0:1]
	v_cmp_gt_i32_e64 s[0:1], s35, v53
	s_nop 1
	v_cndmask_b32_e64 v4, 0, v4, s[0:1]
	v_perm_b32 v4, v31, v4, s24
	;; [unrolled: 8-line block ×4, first 2 shown]
.LBB97_67:                              ;   in Loop: Header=BB97_48 Depth=1
	s_or_b64 exec, exec, s[14:15]
	s_waitcnt vmcnt(0)
	;;#ASMSTART
	v_pk_mul_f16 v2, v58, v2;

	;;#ASMEND
	;;#ASMSTART
	v_pk_mul_f16 v3, v57, v3;

	;;#ASMEND
	;; [unrolled: 4-line block ×4, first 2 shown]
	v_mov_b32_e32 v33, v17
	;;#ASMSTART
	v_pk_add_f16 v2, v2, v3;

	;;#ASMEND
	s_nop 0
	;;#ASMSTART
	v_pk_add_f16 v2, v2, v4;

	;;#ASMEND
	s_nop 0
	;; [unrolled: 5-line block ×3, first 2 shown]
	v_lshrrev_b32_e32 v3, 16, v2
	v_and_b32_e32 v2, 0xffff, v2
	;;#ASMSTART
	v_cvt_f32_f16 v31, v2;
	;;#ASMEND
	;;#ASMSTART
	v_cvt_f32_f16 v72, v3;
	;;#ASMEND
	v_lshl_add_u64 v[2:3], v[38:39], 0, v[32:33]
	global_load_dwordx4 v[2:5], v[2:3], off
	s_and_saveexec_b64 s[14:15], vcc
	s_cbranch_execz .LBB97_69
; %bb.68:                               ;   in Loop: Header=BB97_48 Depth=1
	s_waitcnt vmcnt(0)
	v_lshrrev_b32_e32 v33, 16, v5
	v_cmp_gt_i32_e64 s[0:1], s38, v60
	s_nop 1
	v_cndmask_b32_e64 v33, 0, v33, s[0:1]
	v_cmp_gt_i32_e64 s[0:1], s37, v59
	s_nop 1
	v_cndmask_b32_e64 v5, 0, v5, s[0:1]
	v_perm_b32 v5, v33, v5, s24
	v_lshrrev_b32_e32 v33, 16, v4
	v_cmp_gt_i32_e64 s[0:1], s36, v54
	s_nop 1
	v_cndmask_b32_e64 v33, 0, v33, s[0:1]
	v_cmp_gt_i32_e64 s[0:1], s35, v53
	s_nop 1
	v_cndmask_b32_e64 v4, 0, v4, s[0:1]
	v_perm_b32 v4, v33, v4, s24
	;; [unrolled: 8-line block ×4, first 2 shown]
.LBB97_69:                              ;   in Loop: Header=BB97_48 Depth=1
	s_or_b64 exec, exec, s[14:15]
	s_waitcnt vmcnt(0)
	;;#ASMSTART
	v_pk_mul_f16 v2, v58, v2;

	;;#ASMEND
	;;#ASMSTART
	v_pk_mul_f16 v3, v57, v3;

	;;#ASMEND
	;; [unrolled: 4-line block ×4, first 2 shown]
	v_mov_b32_e32 v35, v17
	;;#ASMSTART
	v_pk_add_f16 v2, v2, v3;

	;;#ASMEND
	s_nop 0
	;;#ASMSTART
	v_pk_add_f16 v2, v2, v4;

	;;#ASMEND
	s_nop 0
	;; [unrolled: 5-line block ×3, first 2 shown]
	v_lshrrev_b32_e32 v3, 16, v2
	v_and_b32_e32 v2, 0xffff, v2
	;;#ASMSTART
	v_cvt_f32_f16 v33, v2;
	;;#ASMEND
	;;#ASMSTART
	v_cvt_f32_f16 v73, v3;
	;;#ASMEND
	v_lshl_add_u64 v[2:3], v[38:39], 0, v[34:35]
	global_load_dwordx4 v[2:5], v[2:3], off
	s_and_saveexec_b64 s[14:15], vcc
	s_cbranch_execz .LBB97_71
; %bb.70:                               ;   in Loop: Header=BB97_48 Depth=1
	s_waitcnt vmcnt(0)
	v_lshrrev_b32_e32 v35, 16, v5
	v_cmp_gt_i32_e64 s[0:1], s38, v60
	s_nop 1
	v_cndmask_b32_e64 v35, 0, v35, s[0:1]
	v_cmp_gt_i32_e64 s[0:1], s37, v59
	s_nop 1
	v_cndmask_b32_e64 v5, 0, v5, s[0:1]
	v_perm_b32 v5, v35, v5, s24
	v_lshrrev_b32_e32 v35, 16, v4
	v_cmp_gt_i32_e64 s[0:1], s36, v54
	s_nop 1
	v_cndmask_b32_e64 v35, 0, v35, s[0:1]
	v_cmp_gt_i32_e64 s[0:1], s35, v53
	s_nop 1
	v_cndmask_b32_e64 v4, 0, v4, s[0:1]
	v_perm_b32 v4, v35, v4, s24
	v_lshrrev_b32_e32 v35, 16, v3
	v_cmp_gt_i32_e64 s[0:1], s34, v51
	s_nop 1
	v_cndmask_b32_e64 v35, 0, v35, s[0:1]
	v_cmp_gt_i32_e64 s[0:1], s31, v50
	s_nop 1
	v_cndmask_b32_e64 v3, 0, v3, s[0:1]
	v_perm_b32 v3, v35, v3, s24
	v_lshrrev_b32_e32 v35, 16, v2
	v_cmp_gt_i32_e64 s[0:1], s29, v49
	s_nop 1
	v_cndmask_b32_e64 v35, 0, v35, s[0:1]
	v_cmp_gt_i32_e64 s[0:1], s33, v23
	s_nop 1
	v_cndmask_b32_e64 v2, 0, v2, s[0:1]
	v_perm_b32 v2, v35, v2, s24
.LBB97_71:                              ;   in Loop: Header=BB97_48 Depth=1
	s_or_b64 exec, exec, s[14:15]
	s_waitcnt vmcnt(0)
	;;#ASMSTART
	v_pk_mul_f16 v2, v58, v2;

	;;#ASMEND
	;;#ASMSTART
	v_pk_mul_f16 v3, v57, v3;

	;;#ASMEND
	;; [unrolled: 4-line block ×4, first 2 shown]
	v_mov_b32_e32 v37, v17
	;;#ASMSTART
	v_pk_add_f16 v2, v2, v3;

	;;#ASMEND
	s_nop 0
	;;#ASMSTART
	v_pk_add_f16 v2, v2, v4;

	;;#ASMEND
	s_nop 0
	;; [unrolled: 5-line block ×3, first 2 shown]
	v_lshrrev_b32_e32 v3, 16, v2
	v_and_b32_e32 v2, 0xffff, v2
	;;#ASMSTART
	v_cvt_f32_f16 v35, v2;
	;;#ASMEND
	;;#ASMSTART
	v_cvt_f32_f16 v74, v3;
	;;#ASMEND
	v_lshl_add_u64 v[2:3], v[38:39], 0, v[36:37]
	global_load_dwordx4 v[2:5], v[2:3], off
	s_and_saveexec_b64 s[0:1], vcc
	s_cbranch_execz .LBB97_46
; %bb.72:                               ;   in Loop: Header=BB97_48 Depth=1
	s_waitcnt vmcnt(0)
	v_lshrrev_b32_e32 v37, 16, v5
	v_cmp_gt_i32_e32 vcc, s38, v60
	s_nop 1
	v_cndmask_b32_e32 v37, 0, v37, vcc
	v_cmp_gt_i32_e32 vcc, s37, v59
	s_nop 1
	v_cndmask_b32_e32 v5, 0, v5, vcc
	v_perm_b32 v5, v37, v5, s24
	v_lshrrev_b32_e32 v37, 16, v4
	v_cmp_gt_i32_e32 vcc, s36, v54
	s_nop 1
	v_cndmask_b32_e32 v37, 0, v37, vcc
	v_cmp_gt_i32_e32 vcc, s35, v53
	s_nop 1
	v_cndmask_b32_e32 v4, 0, v4, vcc
	v_perm_b32 v4, v37, v4, s24
	;; [unrolled: 8-line block ×4, first 2 shown]
	s_branch .LBB97_46
.LBB97_73:
	s_or_b64 exec, exec, s[8:9]
.LBB97_74:
	s_or_b64 exec, exec, s[2:3]
	ds_bpermute_b32 v2, v43, v18
	ds_bpermute_b32 v3, v43, v19
	;; [unrolled: 1-line block ×6, first 2 shown]
	s_waitcnt lgkmcnt(4)
	v_pk_add_f32 v[2:3], v[18:19], v[2:3]
	ds_bpermute_b32 v16, v44, v2
	ds_bpermute_b32 v17, v44, v3
	;; [unrolled: 1-line block ×4, first 2 shown]
	s_waitcnt lgkmcnt(6)
	v_pk_add_f32 v[4:5], v[14:15], v[4:5]
	ds_bpermute_b32 v28, v43, v6
	s_waitcnt lgkmcnt(3)
	v_pk_add_f32 v[2:3], v[2:3], v[16:17]
	ds_bpermute_b32 v29, v43, v7
	s_waitcnt lgkmcnt(2)
	v_pk_add_f32 v[16:17], v[12:13], v[18:19]
	ds_bpermute_b32 v12, v43, v10
	ds_bpermute_b32 v13, v43, v11
	ds_bpermute_b32 v14, v44, v4
	;; [unrolled: 1-line block ×3, first 2 shown]
	v_pk_add_f32 v[20:21], v[8:9], v[20:21]
	ds_bpermute_b32 v18, v44, v16
	s_waitcnt lgkmcnt(3)
	v_pk_add_f32 v[22:23], v[10:11], v[12:13]
	ds_bpermute_b32 v19, v44, v17
	ds_bpermute_b32 v24, v44, v22
	ds_bpermute_b32 v25, v44, v23
	ds_bpermute_b32 v26, v44, v20
	ds_bpermute_b32 v27, v44, v21
	v_pk_add_f32 v[6:7], v[6:7], v[28:29]
	s_waitcnt lgkmcnt(6)
	v_pk_add_f32 v[12:13], v[4:5], v[14:15]
	ds_bpermute_b32 v14, v44, v6
	ds_bpermute_b32 v15, v44, v7
	v_and_b32_e32 v1, 0x3c3, v0
	s_waitcnt lgkmcnt(6)
	v_pk_add_f32 v[10:11], v[16:17], v[18:19]
	s_waitcnt lgkmcnt(4)
	v_pk_add_f32 v[8:9], v[22:23], v[24:25]
	s_waitcnt lgkmcnt(2)
	v_pk_add_f32 v[4:5], v[20:21], v[26:27]
	v_cmp_ne_u32_e32 vcc, 64, v1
	s_waitcnt lgkmcnt(0)
	s_barrier
	s_and_saveexec_b64 s[0:1], vcc
	s_xor_b64 s[0:1], exec, s[0:1]
; %bb.75:
                                        ; implicit-def: $vgpr42
; %bb.76:
	s_or_saveexec_b64 s[0:1], s[0:1]
	v_pk_add_f32 v[6:7], v[6:7], v[14:15]
	s_xor_b64 exec, exec, s[0:1]
	s_cbranch_execz .LBB97_78
; %bb.77:
	v_add_u32_e32 v14, 0x190, v42
	ds_write2_b32 v14, v2, v3 offset1:16
	ds_write2_b32 v14, v12, v13 offset0:32 offset1:48
	ds_write2_b32 v14, v10, v11 offset0:64 offset1:80
	;; [unrolled: 1-line block ×5, first 2 shown]
.LBB97_78:
	s_or_b64 exec, exec, s[0:1]
	v_cmp_gt_u32_e32 vcc, 64, v0
	s_waitcnt lgkmcnt(0)
	s_barrier
	s_and_saveexec_b64 s[0:1], vcc
	s_cbranch_execz .LBB97_93
; %bb.79:
	v_cmp_eq_u32_e32 vcc, 0, v45
	v_lshrrev_b32_e32 v14, 2, v0
	s_and_saveexec_b64 s[2:3], vcc
	s_cbranch_execnz .LBB97_96
; %bb.80:
	s_or_b64 exec, exec, s[2:3]
	s_and_saveexec_b64 s[2:3], vcc
	s_cbranch_execnz .LBB97_97
.LBB97_81:
	s_or_b64 exec, exec, s[2:3]
	s_and_saveexec_b64 s[2:3], vcc
	s_cbranch_execnz .LBB97_98
.LBB97_82:
	s_or_b64 exec, exec, s[2:3]
	s_and_saveexec_b64 s[2:3], vcc
	s_cbranch_execnz .LBB97_99
.LBB97_83:
	s_or_b64 exec, exec, s[2:3]
	s_and_saveexec_b64 s[2:3], vcc
	s_cbranch_execnz .LBB97_100
.LBB97_84:
	s_or_b64 exec, exec, s[2:3]
	s_and_saveexec_b64 s[2:3], vcc
	s_cbranch_execnz .LBB97_101
.LBB97_85:
	s_or_b64 exec, exec, s[2:3]
	s_and_saveexec_b64 s[2:3], vcc
	s_cbranch_execnz .LBB97_102
.LBB97_86:
	s_or_b64 exec, exec, s[2:3]
	s_and_saveexec_b64 s[2:3], vcc
	s_cbranch_execnz .LBB97_103
.LBB97_87:
	s_or_b64 exec, exec, s[2:3]
	s_and_saveexec_b64 s[2:3], vcc
	s_cbranch_execnz .LBB97_104
.LBB97_88:
	s_or_b64 exec, exec, s[2:3]
	s_and_saveexec_b64 s[2:3], vcc
	s_cbranch_execnz .LBB97_105
.LBB97_89:
	s_or_b64 exec, exec, s[2:3]
	s_and_saveexec_b64 s[2:3], vcc
	s_cbranch_execnz .LBB97_106
.LBB97_90:
	s_or_b64 exec, exec, s[2:3]
	s_and_saveexec_b64 s[2:3], vcc
	s_cbranch_execz .LBB97_92
.LBB97_91:
	v_mov_b32_e32 v15, 0x190
	v_lshl_add_u32 v14, v14, 2, v15
	ds_read_b32 v14, v14 offset:704
	s_waitcnt lgkmcnt(0)
	v_add_f32_e32 v7, v7, v14
.LBB97_92:
	s_or_b64 exec, exec, s[2:3]
.LBB97_93:
	s_or_b64 exec, exec, s[0:1]
	v_cmp_eq_u32_e32 vcc, 0, v1
	s_barrier
	s_and_saveexec_b64 s[0:1], vcc
	s_cbranch_execz .LBB97_95
; %bb.94:
	s_mul_i32 s0, s10, s11
	s_mul_i32 s0, s0, s5
	s_mulk_i32 s0, 0xc0
	s_ashr_i32 s1, s0, 31
	s_lshl_b64 s[0:1], s[0:1], 1
	s_add_u32 s2, s22, s0
	s_mul_i32 s0, s11, s20
	s_addc_u32 s3, s23, s1
	s_ashr_i32 s1, s0, 31
	s_lshl_b64 s[0:1], s[0:1], 1
	s_add_u32 s2, s2, s0
	s_mul_i32 s0, s4, 0xc0
	s_addc_u32 s3, s3, s1
	s_ashr_i32 s1, s0, 31
	s_lshl_b64 s[0:1], s[0:1], 1
	s_add_u32 s0, s2, s0
	s_addc_u32 s1, s3, s1
	v_lshrrev_b32_e32 v0, 1, v0
	;;#ASMSTART
	v_cvt_f16_f32 v1, v2;

	;;#ASMEND
	global_store_short v0, v1, s[0:1]
	;;#ASMSTART
	v_cvt_f16_f32 v1, v3;

	;;#ASMEND
	global_store_short v0, v1, s[0:1] offset:32
	;;#ASMSTART
	v_cvt_f16_f32 v1, v12;

	;;#ASMEND
	global_store_short v0, v1, s[0:1] offset:64
	;; [unrolled: 5-line block ×11, first 2 shown]
.LBB97_95:
	s_endpgm
.LBB97_96:
	v_mov_b32_e32 v15, 0x190
	v_lshl_add_u32 v15, v14, 2, v15
	ds_read_b32 v15, v15
	s_waitcnt lgkmcnt(0)
	v_add_f32_e32 v2, v2, v15
	s_or_b64 exec, exec, s[2:3]
	s_and_saveexec_b64 s[2:3], vcc
	s_cbranch_execz .LBB97_81
.LBB97_97:
	v_mov_b32_e32 v15, 0x190
	v_lshl_add_u32 v15, v14, 2, v15
	ds_read_b32 v15, v15 offset:64
	s_waitcnt lgkmcnt(0)
	v_add_f32_e32 v3, v3, v15
	s_or_b64 exec, exec, s[2:3]
	s_and_saveexec_b64 s[2:3], vcc
	s_cbranch_execz .LBB97_82
.LBB97_98:
	v_mov_b32_e32 v15, 0x190
	v_lshl_add_u32 v15, v14, 2, v15
	ds_read_b32 v15, v15 offset:128
	s_waitcnt lgkmcnt(0)
	v_add_f32_e32 v12, v12, v15
	s_or_b64 exec, exec, s[2:3]
	s_and_saveexec_b64 s[2:3], vcc
	s_cbranch_execz .LBB97_83
.LBB97_99:
	v_mov_b32_e32 v15, 0x190
	v_lshl_add_u32 v15, v14, 2, v15
	ds_read_b32 v15, v15 offset:192
	s_waitcnt lgkmcnt(0)
	v_add_f32_e32 v13, v13, v15
	s_or_b64 exec, exec, s[2:3]
	s_and_saveexec_b64 s[2:3], vcc
	s_cbranch_execz .LBB97_84
.LBB97_100:
	v_mov_b32_e32 v15, 0x190
	v_lshl_add_u32 v15, v14, 2, v15
	ds_read_b32 v15, v15 offset:256
	s_waitcnt lgkmcnt(0)
	v_add_f32_e32 v10, v10, v15
	s_or_b64 exec, exec, s[2:3]
	s_and_saveexec_b64 s[2:3], vcc
	s_cbranch_execz .LBB97_85
.LBB97_101:
	v_mov_b32_e32 v15, 0x190
	v_lshl_add_u32 v15, v14, 2, v15
	ds_read_b32 v15, v15 offset:320
	s_waitcnt lgkmcnt(0)
	v_add_f32_e32 v11, v11, v15
	s_or_b64 exec, exec, s[2:3]
	s_and_saveexec_b64 s[2:3], vcc
	s_cbranch_execz .LBB97_86
.LBB97_102:
	v_mov_b32_e32 v15, 0x190
	v_lshl_add_u32 v15, v14, 2, v15
	ds_read_b32 v15, v15 offset:384
	s_waitcnt lgkmcnt(0)
	v_add_f32_e32 v8, v8, v15
	s_or_b64 exec, exec, s[2:3]
	s_and_saveexec_b64 s[2:3], vcc
	s_cbranch_execz .LBB97_87
.LBB97_103:
	v_mov_b32_e32 v15, 0x190
	v_lshl_add_u32 v15, v14, 2, v15
	ds_read_b32 v15, v15 offset:448
	s_waitcnt lgkmcnt(0)
	v_add_f32_e32 v9, v9, v15
	s_or_b64 exec, exec, s[2:3]
	s_and_saveexec_b64 s[2:3], vcc
	s_cbranch_execz .LBB97_88
.LBB97_104:
	v_mov_b32_e32 v15, 0x190
	v_lshl_add_u32 v15, v14, 2, v15
	ds_read_b32 v15, v15 offset:512
	s_waitcnt lgkmcnt(0)
	v_add_f32_e32 v4, v4, v15
	s_or_b64 exec, exec, s[2:3]
	s_and_saveexec_b64 s[2:3], vcc
	s_cbranch_execz .LBB97_89
.LBB97_105:
	v_mov_b32_e32 v15, 0x190
	v_lshl_add_u32 v15, v14, 2, v15
	ds_read_b32 v15, v15 offset:576
	s_waitcnt lgkmcnt(0)
	v_add_f32_e32 v5, v5, v15
	s_or_b64 exec, exec, s[2:3]
	s_and_saveexec_b64 s[2:3], vcc
	s_cbranch_execz .LBB97_90
.LBB97_106:
	v_mov_b32_e32 v15, 0x190
	v_lshl_add_u32 v15, v14, 2, v15
	ds_read_b32 v15, v15 offset:640
	s_waitcnt lgkmcnt(0)
	v_add_f32_e32 v6, v6, v15
	s_or_b64 exec, exec, s[2:3]
	s_and_saveexec_b64 s[2:3], vcc
	s_cbranch_execnz .LBB97_91
	s_branch .LBB97_92
	.section	.rodata,"a",@progbits
	.p2align	6, 0x0
	.amdhsa_kernel _ZN4vllm25paged_attention_v1_kernelIttLi192ELi32ELi128ELNS_18Fp8KVCacheDataTypeE0ELb1EEEvPT_PKS2_PKT0_S8_ifPKiSA_iPKfiiiSC_SC_iiiii
		.amdhsa_group_segment_fixed_size 400
		.amdhsa_private_segment_fixed_size 0
		.amdhsa_kernarg_size 384
		.amdhsa_user_sgpr_count 2
		.amdhsa_user_sgpr_dispatch_ptr 0
		.amdhsa_user_sgpr_queue_ptr 0
		.amdhsa_user_sgpr_kernarg_segment_ptr 1
		.amdhsa_user_sgpr_dispatch_id 0
		.amdhsa_user_sgpr_kernarg_preload_length 0
		.amdhsa_user_sgpr_kernarg_preload_offset 0
		.amdhsa_user_sgpr_private_segment_size 0
		.amdhsa_uses_dynamic_stack 0
		.amdhsa_enable_private_segment 0
		.amdhsa_system_sgpr_workgroup_id_x 1
		.amdhsa_system_sgpr_workgroup_id_y 1
		.amdhsa_system_sgpr_workgroup_id_z 1
		.amdhsa_system_sgpr_workgroup_info 0
		.amdhsa_system_vgpr_workitem_id 0
		.amdhsa_next_free_vgpr 98
		.amdhsa_next_free_sgpr 48
		.amdhsa_accum_offset 100
		.amdhsa_reserve_vcc 1
		.amdhsa_float_round_mode_32 0
		.amdhsa_float_round_mode_16_64 0
		.amdhsa_float_denorm_mode_32 3
		.amdhsa_float_denorm_mode_16_64 3
		.amdhsa_dx10_clamp 1
		.amdhsa_ieee_mode 1
		.amdhsa_fp16_overflow 0
		.amdhsa_tg_split 0
		.amdhsa_exception_fp_ieee_invalid_op 0
		.amdhsa_exception_fp_denorm_src 0
		.amdhsa_exception_fp_ieee_div_zero 0
		.amdhsa_exception_fp_ieee_overflow 0
		.amdhsa_exception_fp_ieee_underflow 0
		.amdhsa_exception_fp_ieee_inexact 0
		.amdhsa_exception_int_div_zero 0
	.end_amdhsa_kernel
	.section	.text._ZN4vllm25paged_attention_v1_kernelIttLi192ELi32ELi128ELNS_18Fp8KVCacheDataTypeE0ELb1EEEvPT_PKS2_PKT0_S8_ifPKiSA_iPKfiiiSC_SC_iiiii,"axG",@progbits,_ZN4vllm25paged_attention_v1_kernelIttLi192ELi32ELi128ELNS_18Fp8KVCacheDataTypeE0ELb1EEEvPT_PKS2_PKT0_S8_ifPKiSA_iPKfiiiSC_SC_iiiii,comdat
.Lfunc_end97:
	.size	_ZN4vllm25paged_attention_v1_kernelIttLi192ELi32ELi128ELNS_18Fp8KVCacheDataTypeE0ELb1EEEvPT_PKS2_PKT0_S8_ifPKiSA_iPKfiiiSC_SC_iiiii, .Lfunc_end97-_ZN4vllm25paged_attention_v1_kernelIttLi192ELi32ELi128ELNS_18Fp8KVCacheDataTypeE0ELb1EEEvPT_PKS2_PKT0_S8_ifPKiSA_iPKfiiiSC_SC_iiiii
                                        ; -- End function
	.section	.AMDGPU.csdata,"",@progbits
; Kernel info:
; codeLenInByte = 12804
; NumSgprs: 54
; NumVgprs: 98
; NumAgprs: 0
; TotalNumVgprs: 98
; ScratchSize: 0
; MemoryBound: 0
; FloatMode: 240
; IeeeMode: 1
; LDSByteSize: 400 bytes/workgroup (compile time only)
; SGPRBlocks: 6
; VGPRBlocks: 12
; NumSGPRsForWavesPerEU: 54
; NumVGPRsForWavesPerEU: 98
; AccumOffset: 100
; Occupancy: 4
; WaveLimiterHint : 1
; COMPUTE_PGM_RSRC2:SCRATCH_EN: 0
; COMPUTE_PGM_RSRC2:USER_SGPR: 2
; COMPUTE_PGM_RSRC2:TRAP_HANDLER: 0
; COMPUTE_PGM_RSRC2:TGID_X_EN: 1
; COMPUTE_PGM_RSRC2:TGID_Y_EN: 1
; COMPUTE_PGM_RSRC2:TGID_Z_EN: 1
; COMPUTE_PGM_RSRC2:TIDIG_COMP_CNT: 0
; COMPUTE_PGM_RSRC3_GFX90A:ACCUM_OFFSET: 24
; COMPUTE_PGM_RSRC3_GFX90A:TG_SPLIT: 0
	.section	.text._ZN4vllm25paged_attention_v1_kernelIttLi256ELi32ELi128ELNS_18Fp8KVCacheDataTypeE0ELb1EEEvPT_PKS2_PKT0_S8_ifPKiSA_iPKfiiiSC_SC_iiiii,"axG",@progbits,_ZN4vllm25paged_attention_v1_kernelIttLi256ELi32ELi128ELNS_18Fp8KVCacheDataTypeE0ELb1EEEvPT_PKS2_PKT0_S8_ifPKiSA_iPKfiiiSC_SC_iiiii,comdat
	.protected	_ZN4vllm25paged_attention_v1_kernelIttLi256ELi32ELi128ELNS_18Fp8KVCacheDataTypeE0ELb1EEEvPT_PKS2_PKT0_S8_ifPKiSA_iPKfiiiSC_SC_iiiii ; -- Begin function _ZN4vllm25paged_attention_v1_kernelIttLi256ELi32ELi128ELNS_18Fp8KVCacheDataTypeE0ELb1EEEvPT_PKS2_PKT0_S8_ifPKiSA_iPKfiiiSC_SC_iiiii
	.globl	_ZN4vllm25paged_attention_v1_kernelIttLi256ELi32ELi128ELNS_18Fp8KVCacheDataTypeE0ELb1EEEvPT_PKS2_PKT0_S8_ifPKiSA_iPKfiiiSC_SC_iiiii
	.p2align	8
	.type	_ZN4vllm25paged_attention_v1_kernelIttLi256ELi32ELi128ELNS_18Fp8KVCacheDataTypeE0ELb1EEEvPT_PKS2_PKT0_S8_ifPKiSA_iPKfiiiSC_SC_iiiii,@function
_ZN4vllm25paged_attention_v1_kernelIttLi256ELi32ELi128ELNS_18Fp8KVCacheDataTypeE0ELb1EEEvPT_PKS2_PKT0_S8_ifPKiSA_iPKfiiiSC_SC_iiiii: ; @_ZN4vllm25paged_attention_v1_kernelIttLi256ELi32ELi128ELNS_18Fp8KVCacheDataTypeE0ELb1EEEvPT_PKS2_PKT0_S8_ifPKiSA_iPKfiiiSC_SC_iiiii
; %bb.0:
	s_load_dword s5, s[0:1], 0x80
	s_load_dwordx2 s[6:7], s[0:1], 0x30
	s_load_dwordx2 s[34:35], s[0:1], 0x20
	s_mov_b32 s20, s3
	s_ashr_i32 s21, s3, 31
	s_lshl_b64 s[8:9], s[20:21], 2
	s_waitcnt lgkmcnt(0)
	s_add_u32 s6, s6, s8
	s_addc_u32 s7, s7, s9
	s_abs_i32 s3, s34
	v_cvt_f32_u32_e32 v1, s3
	s_sub_i32 s10, 0, s3
	s_abs_i32 s9, s5
	s_xor_b32 s8, s5, s34
	v_rcp_iflag_f32_e32 v1, v1
	s_ashr_i32 s8, s8, 31
	s_mov_b32 s45, 0
	v_mul_f32_e32 v1, 0x4f7ffffe, v1
	v_cvt_u32_f32_e32 v1, v1
	s_nop 0
	v_readfirstlane_b32 s11, v1
	s_mul_i32 s10, s10, s11
	s_mul_hi_u32 s10, s11, s10
	s_add_i32 s11, s11, s10
	s_mul_hi_u32 s10, s9, s11
	s_mul_i32 s11, s10, s3
	s_sub_i32 s9, s9, s11
	s_add_i32 s11, s10, 1
	s_sub_i32 s12, s9, s3
	s_cmp_ge_u32 s9, s3
	s_cselect_b32 s10, s11, s10
	s_cselect_b32 s9, s12, s9
	s_add_i32 s11, s10, 1
	s_cmp_ge_u32 s9, s3
	s_cselect_b32 s3, s11, s10
	s_xor_b32 s3, s3, s8
	s_sub_i32 s12, s3, s8
	s_abs_i32 s10, s12
	v_cvt_f32_u32_e32 v1, s10
	s_load_dwordx2 s[8:9], s[0:1], 0x40
	s_sub_i32 s3, 0, s10
	s_abs_i32 s11, s2
	v_rcp_iflag_f32_e32 v1, v1
	s_nop 0
	v_mul_f32_e32 v1, 0x4f7ffffe, v1
	v_cvt_u32_f32_e32 v1, v1
	s_nop 0
	v_readfirstlane_b32 s13, v1
	s_mul_i32 s3, s3, s13
	s_mul_hi_u32 s3, s13, s3
	s_add_i32 s13, s13, s3
	s_waitcnt lgkmcnt(0)
	s_cmp_eq_u64 s[8:9], 0
	s_mul_hi_u32 s24, s11, s13
	s_cbranch_scc1 .LBB98_2
; %bb.1:
	s_ashr_i32 s3, s2, 31
	s_lshl_b64 s[14:15], s[2:3], 2
	s_add_u32 s8, s8, s14
	s_addc_u32 s9, s9, s15
	s_load_dword s45, s[8:9], 0x0
.LBB98_2:
	s_load_dword s21, s[6:7], 0x0
	s_load_dwordx4 s[16:19], s[0:1], 0x48
	s_ashr_i32 s25, s2, 31
	s_ashr_i32 s26, s12, 31
	v_and_b32_e32 v4, 1, v0
	s_lshl_b32 s22, s2, 8
	v_cmp_gt_u32_e64 s[8:9], 64, v0
	v_lshlrev_b32_e32 v71, 3, v0
	s_and_saveexec_b64 s[6:7], s[8:9]
	s_cbranch_execz .LBB98_4
; %bb.3:
	s_load_dwordx2 s[12:13], s[0:1], 0x8
	s_waitcnt lgkmcnt(0)
	s_mul_i32 s14, s20, s16
	s_ashr_i32 s15, s14, 31
	s_lshl_b64 s[14:15], s[14:15], 1
	v_lshlrev_b32_e32 v1, 2, v0
	s_add_u32 s3, s12, s14
	s_addc_u32 s14, s13, s15
	s_ashr_i32 s23, s22, 31
	s_lshl_b64 s[12:13], s[22:23], 1
	s_add_u32 s12, s3, s12
	s_addc_u32 s13, s14, s13
	global_load_dwordx2 v[2:3], v71, s[12:13]
	v_and_b32_e32 v1, 0xff8, v1
	v_lshl_add_u32 v1, v4, 8, v1
	s_waitcnt vmcnt(0)
	ds_write_b64 v1, v[2:3]
.LBB98_4:
	s_or_b64 exec, exec, s[6:7]
	s_mul_i32 s7, s24, s10
	s_sub_i32 s7, s11, s7
	s_xor_b32 s6, s25, s26
	s_add_i32 s11, s24, 1
	s_waitcnt lgkmcnt(0)
	s_sub_i32 s16, s7, s10
	s_load_dwordx4 s[12:15], s[0:1], 0x68
	s_load_dword s3, s[0:1], 0x78
	s_cmp_ge_u32 s7, s10
	s_cselect_b32 s11, s11, s24
	s_cselect_b32 s7, s16, s7
	s_add_i32 s16, s11, 1
	s_cmp_ge_u32 s7, s10
	s_cselect_b32 s7, s16, s11
	s_waitcnt lgkmcnt(0)
	s_abs_i32 s23, s15
	v_cvt_f32_u32_e32 v1, s23
	s_xor_b32 s7, s7, s6
	s_sub_i32 s10, s7, s6
	s_sub_i32 s6, 0, s23
	v_rcp_iflag_f32_e32 v1, v1
	s_add_i32 s16, s21, -1
	s_abs_i32 s11, s16
	v_mul_f32_e32 v1, 0x4f7ffffe, v1
	v_cvt_u32_f32_e32 v1, v1
	s_barrier
	v_readfirstlane_b32 s33, v1
	s_mul_i32 s6, s6, s33
	s_mul_hi_u32 s6, s33, s6
	s_add_i32 s33, s33, s6
	s_cmp_lt_i32 s3, 0
	s_mul_hi_u32 s19, s11, s33
	s_cbranch_scc0 .LBB98_6
; %bb.5:
	s_mul_i32 s6, s12, s34
	s_add_i32 s6, s10, s6
	s_mul_i32 s6, s6, s3
	s_sub_i32 s42, 1, s6
	s_mov_b64 s[6:7], 0
	s_branch .LBB98_7
.LBB98_6:
	s_mov_b64 s[6:7], -1
                                        ; implicit-def: $sgpr42
.LBB98_7:
	s_load_dwordx2 s[26:27], s[0:1], 0x28
	s_ashr_i32 s28, s16, 31
	s_andn2_b64 vcc, exec, s[6:7]
	s_ashr_i32 s43, s15, 31
	s_cbranch_vccnz .LBB98_9
; %bb.8:
	s_mul_i32 s6, s5, s12
	s_add_i32 s2, s6, s2
	s_mul_i32 s2, s2, s3
	s_add_i32 s42, s2, 1
.LBB98_9:
	s_load_dword s2, s[0:1], 0x38
	s_load_dwordx2 s[24:25], s[0:1], 0x0
	s_load_dwordx2 s[30:31], s[0:1], 0x18
	s_load_dword s16, s[0:1], 0x88
	s_xor_b32 s3, s28, s43
	s_waitcnt lgkmcnt(0)
	s_mul_i32 s28, s20, s2
	s_mul_i32 s2, s19, s23
	s_sub_i32 s2, s11, s2
	s_ashr_i32 s29, s28, 31
	s_add_i32 s6, s19, 1
	s_sub_i32 s7, s2, s23
	s_cmp_ge_u32 s2, s23
	s_cselect_b32 s6, s6, s19
	s_cselect_b32 s2, s7, s2
	s_add_i32 s7, s6, 1
	s_cmp_ge_u32 s2, s23
	s_cselect_b32 s2, s7, s6
	s_xor_b32 s2, s2, s3
	s_sub_i32 s12, s2, s3
	s_add_i32 s2, s21, 31
	s_ashr_i32 s3, s2, 31
	s_lshr_b32 s3, s3, 27
	s_add_i32 s2, s2, s3
	s_ashr_i32 s44, s2, 5
	v_lshrrev_b32_e32 v1, 6, v0
	v_cmp_gt_i32_e64 s[2:3], s44, v1
	v_mov_b32_e32 v76, 0xff7fffff
	s_mul_i32 s18, s10, s18
	v_lshrrev_b32_e32 v72, 4, v0
	v_lshlrev_b32_e32 v70, 5, v1
	v_mbcnt_lo_u32_b32 v73, -1, 0
	s_and_saveexec_b64 s[36:37], s[2:3]
	s_cbranch_execz .LBB98_19
; %bb.10:
	s_load_dwordx2 s[6:7], s[0:1], 0x10
	s_ashr_i32 s19, s18, 31
	s_sub_i32 s15, s12, s13
	s_lshl_b64 s[10:11], s[18:19], 1
	v_bfe_u32 v74, v0, 1, 5
	s_waitcnt lgkmcnt(0)
	s_add_u32 s6, s6, s10
	s_addc_u32 s7, s7, s11
	s_abs_i32 s19, s14
	v_cvt_f32_u32_e32 v2, s19
	s_sub_i32 s10, 0, s19
	v_cmp_eq_u32_e64 s[0:1], 0, v4
	v_lshlrev_b32_e32 v6, 4, v74
	v_rcp_iflag_f32_e32 v5, v2
	v_mov_b32_e32 v7, 0
	v_lshlrev_b32_e32 v75, 8, v4
	v_lshl_add_u64 v[2:3], s[6:7], 0, v[6:7]
	v_mul_f32_e32 v5, 0x4f7ffffe, v5
	v_cvt_u32_f32_e32 v5, v5
	v_and_b32_e32 v6, 8, v71
	v_lshl_add_u64 v[2:3], v[2:3], 0, v[6:7]
	v_and_b32_e32 v6, 60, v72
	v_mul_lo_u32 v4, s10, v5
	s_lshl_b64 s[10:11], s[28:29], 2
	s_add_u32 s10, s26, s10
	v_mul_hi_u32 v4, v5, v4
	s_addc_u32 s11, s27, s11
	v_add_u32_e32 v77, v5, v4
	v_lshl_add_u64 v[4:5], s[10:11], 0, v[6:7]
	v_lshlrev_b32_e32 v6, 2, v74
	v_lshl_or_b32 v6, v1, 7, v6
	v_add_u32_e32 v79, 0x210, v6
	v_subrev_u32_e32 v6, s21, v74
	v_mbcnt_hi_u32_b32 v82, -1, v73
	v_add_u32_e32 v80, 1, v6
	v_and_b32_e32 v6, 64, v82
	s_mov_b32 s34, s17
	v_cmp_neq_f32_e64 s[6:7], s45, 0
	v_lshlrev_b32_e32 v78, 5, v1
	s_mov_b64 s[38:39], 0
	v_mov_b32_e32 v81, 0xff7fffff
	s_movk_i32 s46, 0x1000
	s_movk_i32 s47, 0x2000
	;; [unrolled: 1-line block ×3, first 2 shown]
	v_xor_b32_e32 v83, 1, v82
	v_add_u32_e32 v84, 64, v6
	v_mov_b32_e32 v76, 0xff7fffff
	v_mov_b32_e32 v85, v1
	s_branch .LBB98_13
.LBB98_11:                              ;   in Loop: Header=BB98_13 Depth=1
	s_or_b64 exec, exec, s[10:11]
.LBB98_12:                              ;   in Loop: Header=BB98_13 Depth=1
	s_or_b64 exec, exec, s[40:41]
	v_add_u32_e32 v85, 2, v85
	v_cmp_le_i32_e32 vcc, s44, v85
	v_lshl_add_u64 v[4:5], v[4:5], 0, 8
	v_add_u32_e32 v78, 64, v78
	s_or_b64 s[38:39], vcc, s[38:39]
	v_add_u32_e32 v79, 0x100, v79
	s_andn2_b64 exec, exec, s[38:39]
	s_cbranch_execz .LBB98_18
.LBB98_13:                              ; =>This Inner Loop Header: Depth=1
	v_mul_hi_u32 v6, v78, s33
	s_waitcnt lgkmcnt(0)
	v_mul_lo_u32 v7, v6, s23
	v_sub_u32_e32 v7, v78, v7
	v_add_u32_e32 v8, 1, v6
	v_cmp_le_u32_e32 vcc, s23, v7
	s_nop 1
	v_cndmask_b32_e32 v6, v6, v8, vcc
	v_subrev_u32_e32 v8, s23, v7
	v_cndmask_b32_e32 v7, v7, v8, vcc
	v_add_u32_e32 v8, 1, v6
	v_cmp_le_u32_e32 vcc, s23, v7
	s_nop 1
	v_cndmask_b32_e32 v6, v6, v8, vcc
	v_xor_b32_e32 v6, s43, v6
	v_subrev_u32_e32 v6, s43, v6
	v_add_u32_e32 v7, s42, v6
	v_sub_u32_e32 v9, 0, v7
	v_ashrrev_i32_e32 v8, 31, v7
	v_max_i32_e32 v7, v7, v9
	v_mul_hi_u32 v9, v7, v77
	v_mul_lo_u32 v9, v9, s19
	v_sub_u32_e32 v7, v7, v9
	v_subrev_u32_e32 v9, s19, v7
	v_cmp_le_u32_e32 vcc, s19, v7
	v_cmp_ge_i32_e64 s[10:11], s15, v6
	s_nop 0
	v_cndmask_b32_e32 v7, v7, v9, vcc
	v_subrev_u32_e32 v9, s19, v7
	v_cmp_le_u32_e32 vcc, s19, v7
	s_nop 1
	v_cndmask_b32_e32 v7, v7, v9, vcc
	v_xor_b32_e32 v7, v7, v8
	v_sub_u32_e32 v7, v7, v8
	v_cmp_ne_u32_e32 vcc, 0, v7
	s_and_b64 s[10:11], vcc, s[10:11]
	s_and_b64 s[50:51], s[0:1], s[10:11]
	s_and_saveexec_b64 s[40:41], s[50:51]
	s_cbranch_execz .LBB98_15
; %bb.14:                               ;   in Loop: Header=BB98_13 Depth=1
	ds_write_b32 v79, v81
.LBB98_15:                              ;   in Loop: Header=BB98_13 Depth=1
	s_or_b64 exec, exec, s[40:41]
	s_xor_b64 s[10:11], s[10:11], -1
	s_and_saveexec_b64 s[40:41], s[10:11]
	s_cbranch_execz .LBB98_12
; %bb.16:                               ;   in Loop: Header=BB98_13 Depth=1
	global_load_dword v6, v[4:5], off
	s_waitcnt vmcnt(0)
	v_mad_i64_i32 v[6:7], s[10:11], v6, s34, 0
	v_lshl_add_u64 v[6:7], v[6:7], 1, v[2:3]
	global_load_dwordx2 v[68:69], v[6:7], off
	global_load_dwordx2 v[64:65], v[6:7], off offset:512
	global_load_dwordx2 v[66:67], v[6:7], off offset:1024
	;; [unrolled: 1-line block ×7, first 2 shown]
	ds_read_b64 v[8:9], v75
	v_add_co_u32_e64 v22, s[10:11], s48, v6
	s_waitcnt lgkmcnt(0)
	v_lshrrev_b32_e32 v90, 16, v8
	v_and_b32_e32 v91, 0xffff, v8
	v_add_co_u32_e32 v8, vcc, s46, v6
	v_addc_co_u32_e64 v23, s[10:11], 0, v7, s[10:11]
	s_mov_b64 s[10:11], vcc
	v_lshrrev_b32_e32 v88, 16, v9
	v_and_b32_e32 v89, 0xffff, v9
	v_add_co_u32_e32 v86, vcc, s47, v6
	v_addc_co_u32_e64 v9, s[10:11], 0, v7, s[10:11]
	global_load_dwordx2 v[18:19], v[22:23], off offset:512
	global_load_dwordx2 v[16:17], v[22:23], off offset:1024
	;; [unrolled: 1-line block ×4, first 2 shown]
	v_addc_co_u32_e32 v87, vcc, 0, v7, vcc
	global_load_dwordx2 v[50:51], v[8:9], off offset:512
	global_load_dwordx2 v[48:49], v[8:9], off offset:1024
	;; [unrolled: 1-line block ×6, first 2 shown]
	global_load_dwordx2 v[20:21], v[22:23], off
	global_load_dwordx2 v[38:39], v[8:9], off offset:3584
	global_load_dwordx2 v[10:11], v[22:23], off offset:2560
	s_nop 0
	global_load_dwordx2 v[8:9], v[22:23], off offset:3072
	global_load_dwordx2 v[6:7], v[22:23], off offset:3584
	global_load_dwordx2 v[54:55], v[86:87], off offset:-4096
	global_load_dwordx2 v[36:37], v[86:87], off
	global_load_dwordx2 v[34:35], v[86:87], off offset:512
	global_load_dwordx2 v[32:33], v[86:87], off offset:1024
	;; [unrolled: 1-line block ×7, first 2 shown]
	;;#ASMSTART
	v_cvt_f32_f16 v86, v91;
	;;#ASMEND
	;;#ASMSTART
	v_cvt_f32_f16 v87, v90;
	;;#ASMEND
	v_cmp_lt_i32_e32 vcc, v83, v84
	s_waitcnt vmcnt(31)
	v_lshrrev_b32_e32 v90, 16, v68
	v_and_b32_e32 v91, 0xffff, v68
	v_lshrrev_b32_e32 v92, 16, v69
	v_and_b32_e32 v69, 0xffff, v69
	;;#ASMSTART
	v_cvt_f32_f16 v91, v91;
	;;#ASMEND
	s_waitcnt vmcnt(26)
	v_and_b32_e32 v102, 0xffff, v58
	v_lshrrev_b32_e32 v103, 16, v58
	v_and_b32_e32 v104, 0xffff, v59
	v_lshrrev_b32_e32 v105, 16, v59
	;;#ASMSTART
	v_cvt_f32_f16 v90, v90;
	;;#ASMEND
	;;#ASMSTART
	v_cvt_f32_f16 v89, v89;
	;;#ASMEND
	;; [unrolled: 3-line block ×5, first 2 shown]
	ds_read_b64 v[58:59], v75 offset:8
	v_and_b32_e32 v68, 0xffff, v64
	v_lshrrev_b32_e32 v64, 16, v64
	v_and_b32_e32 v93, 0xffff, v65
	v_lshrrev_b32_e32 v65, 16, v65
	s_waitcnt vmcnt(25)
	v_and_b32_e32 v106, 0xffff, v56
	v_lshrrev_b32_e32 v107, 16, v56
	v_and_b32_e32 v108, 0xffff, v57
	v_lshrrev_b32_e32 v109, 16, v57
	s_waitcnt vmcnt(24)
	v_and_b32_e32 v110, 0xffff, v52
	v_lshrrev_b32_e32 v111, 16, v52
	s_waitcnt lgkmcnt(0)
	v_and_b32_e32 v52, 0xffff, v58
	v_lshrrev_b32_e32 v56, 16, v58
	v_lshrrev_b32_e32 v57, 16, v59
	v_and_b32_e32 v58, 0xffff, v59
	v_and_b32_e32 v98, 0xffff, v60
	v_lshrrev_b32_e32 v99, 16, v60
	v_and_b32_e32 v100, 0xffff, v61
	v_lshrrev_b32_e32 v101, 16, v61
	;;#ASMSTART
	v_cvt_f32_f16 v52, v52;
	;;#ASMEND
	;;#ASMSTART
	v_cvt_f32_f16 v56, v56;
	;;#ASMEND
	;; [unrolled: 3-line block ×8, first 2 shown]
	ds_read_b64 v[60:61], v75 offset:16
	v_and_b32_e32 v94, 0xffff, v66
	v_lshrrev_b32_e32 v66, 16, v66
	v_and_b32_e32 v95, 0xffff, v67
	v_lshrrev_b32_e32 v67, 16, v67
	v_mul_f32_e32 v52, v52, v59
	v_mul_f32_e32 v56, v56, v64
	;; [unrolled: 1-line block ×3, first 2 shown]
	s_waitcnt lgkmcnt(0)
	v_and_b32_e32 v59, 0xffff, v60
	v_lshrrev_b32_e32 v60, 16, v60
	v_lshrrev_b32_e32 v64, 16, v61
	v_and_b32_e32 v61, 0xffff, v61
	v_mul_f32_e32 v58, v68, v65
	v_fmac_f32_e32 v52, v86, v91
	v_fmac_f32_e32 v57, v89, v69
	;;#ASMSTART
	v_cvt_f32_f16 v59, v59;
	;;#ASMEND
	;;#ASMSTART
	v_cvt_f32_f16 v65, v60;
	;;#ASMEND
	;;#ASMSTART
	v_cvt_f32_f16 v68, v94;
	;;#ASMEND
	;;#ASMSTART
	v_cvt_f32_f16 v66, v66;
	;;#ASMEND
	;;#ASMSTART
	v_cvt_f32_f16 v69, v61;
	;;#ASMEND
	;;#ASMSTART
	v_cvt_f32_f16 v64, v64;
	;;#ASMEND
	;;#ASMSTART
	v_cvt_f32_f16 v86, v95;
	;;#ASMEND
	;;#ASMSTART
	v_cvt_f32_f16 v67, v67;
	;;#ASMEND
	ds_read_b64 v[60:61], v75 offset:24
	v_fmac_f32_e32 v58, v88, v92
	v_and_b32_e32 v96, 0xffff, v62
	v_lshrrev_b32_e32 v62, 16, v62
	v_and_b32_e32 v97, 0xffff, v63
	v_lshrrev_b32_e32 v63, 16, v63
	v_fmac_f32_e32 v56, v87, v90
	v_fmac_f32_e32 v52, v59, v68
	;; [unrolled: 1-line block ×3, first 2 shown]
	s_waitcnt lgkmcnt(0)
	v_and_b32_e32 v59, 0xffff, v60
	v_lshrrev_b32_e32 v60, 16, v60
	v_lshrrev_b32_e32 v64, 16, v61
	v_and_b32_e32 v61, 0xffff, v61
	v_fmac_f32_e32 v56, v65, v66
	;;#ASMSTART
	v_cvt_f32_f16 v59, v59;
	;;#ASMEND
	;;#ASMSTART
	v_cvt_f32_f16 v65, v60;
	;;#ASMEND
	;; [unrolled: 3-line block ×8, first 2 shown]
	ds_read_b64 v[60:61], v75 offset:32
	v_fmac_f32_e32 v57, v69, v86
	v_fmac_f32_e32 v52, v59, v66
	;; [unrolled: 1-line block ×4, first 2 shown]
	s_waitcnt lgkmcnt(0)
	v_and_b32_e32 v59, 0xffff, v60
	v_lshrrev_b32_e32 v60, 16, v60
	v_lshrrev_b32_e32 v62, 16, v61
	v_and_b32_e32 v61, 0xffff, v61
	v_fmac_f32_e32 v58, v64, v63
	;;#ASMSTART
	v_cvt_f32_f16 v59, v59;
	;;#ASMEND
	;;#ASMSTART
	v_cvt_f32_f16 v63, v60;
	;;#ASMEND
	;; [unrolled: 3-line block ×8, first 2 shown]
	ds_read_b64 v[60:61], v75 offset:40
	v_fmac_f32_e32 v52, v59, v64
	v_fmac_f32_e32 v58, v62, v68
	;; [unrolled: 1-line block ×4, first 2 shown]
	s_waitcnt lgkmcnt(0)
	v_and_b32_e32 v59, 0xffff, v60
	v_lshrrev_b32_e32 v60, 16, v60
	v_lshrrev_b32_e32 v62, 16, v61
	v_and_b32_e32 v61, 0xffff, v61
	;;#ASMSTART
	v_cvt_f32_f16 v59, v59;
	;;#ASMEND
	;;#ASMSTART
	v_cvt_f32_f16 v63, v60;
	;;#ASMEND
	;; [unrolled: 3-line block ×8, first 2 shown]
	ds_read_b64 v[60:61], v75 offset:48
	v_fmac_f32_e32 v52, v59, v64
	v_fmac_f32_e32 v58, v62, v68
	;; [unrolled: 1-line block ×4, first 2 shown]
	s_waitcnt lgkmcnt(0)
	v_and_b32_e32 v59, 0xffff, v60
	v_lshrrev_b32_e32 v60, 16, v60
	v_lshrrev_b32_e32 v62, 16, v61
	v_and_b32_e32 v61, 0xffff, v61
	;;#ASMSTART
	v_cvt_f32_f16 v59, v59;
	;;#ASMEND
	;;#ASMSTART
	v_cvt_f32_f16 v63, v60;
	;;#ASMEND
	;; [unrolled: 3-line block ×8, first 2 shown]
	ds_read_b64 v[60:61], v75 offset:56
	v_fmac_f32_e32 v52, v59, v64
	v_fmac_f32_e32 v58, v62, v68
	;; [unrolled: 1-line block ×4, first 2 shown]
	s_waitcnt lgkmcnt(0)
	v_and_b32_e32 v59, 0xffff, v60
	v_lshrrev_b32_e32 v60, 16, v60
	;;#ASMSTART
	v_cvt_f32_f16 v59, v59;
	;;#ASMEND
	;;#ASMSTART
	v_cvt_f32_f16 v62, v60;
	;;#ASMEND
	v_lshrrev_b32_e32 v60, 16, v61
	;;#ASMSTART
	v_cvt_f32_f16 v63, v110;
	;;#ASMEND
	;;#ASMSTART
	v_cvt_f32_f16 v64, v111;
	;;#ASMEND
	v_and_b32_e32 v61, 0xffff, v61
	;;#ASMSTART
	v_cvt_f32_f16 v65, v61;
	;;#ASMEND
	;;#ASMSTART
	v_cvt_f32_f16 v66, v60;
	;;#ASMEND
	v_and_b32_e32 v60, 0xffff, v53
	v_lshrrev_b32_e32 v53, 16, v53
	;;#ASMSTART
	v_cvt_f32_f16 v67, v60;
	;;#ASMEND
	;;#ASMSTART
	v_cvt_f32_f16 v53, v53;
	;;#ASMEND
	ds_read_b64 v[60:61], v75 offset:64
	v_fmac_f32_e32 v52, v59, v63
	v_fmac_f32_e32 v58, v66, v53
	;; [unrolled: 1-line block ×4, first 2 shown]
	s_waitcnt lgkmcnt(0)
	v_and_b32_e32 v53, 0xffff, v60
	v_lshrrev_b32_e32 v59, 16, v60
	s_waitcnt vmcnt(8)
	v_and_b32_e32 v60, 0xffff, v54
	v_lshrrev_b32_e32 v54, 16, v54
	;;#ASMSTART
	v_cvt_f32_f16 v53, v53;
	;;#ASMEND
	;;#ASMSTART
	v_cvt_f32_f16 v59, v59;
	;;#ASMEND
	;;#ASMSTART
	v_cvt_f32_f16 v60, v60;
	;;#ASMEND
	;;#ASMSTART
	v_cvt_f32_f16 v62, v54;
	;;#ASMEND
	v_lshrrev_b32_e32 v54, 16, v61
	v_and_b32_e32 v61, 0xffff, v61
	;;#ASMSTART
	v_cvt_f32_f16 v61, v61;
	;;#ASMEND
	;;#ASMSTART
	v_cvt_f32_f16 v63, v54;
	;;#ASMEND
	v_and_b32_e32 v54, 0xffff, v55
	;;#ASMSTART
	v_cvt_f32_f16 v64, v54;
	;;#ASMEND
	v_lshrrev_b32_e32 v54, 16, v55
	;;#ASMSTART
	v_cvt_f32_f16 v65, v54;
	;;#ASMEND
	ds_read_b64 v[54:55], v75 offset:72
	v_fmac_f32_e32 v52, v53, v60
	v_fmac_f32_e32 v56, v59, v62
	v_and_b32_e32 v59, 0xffff, v50
	v_lshrrev_b32_e32 v50, 16, v50
	s_waitcnt lgkmcnt(0)
	v_and_b32_e32 v53, 0xffff, v54
	v_lshrrev_b32_e32 v54, 16, v54
	v_fmac_f32_e32 v57, v61, v64
	;;#ASMSTART
	v_cvt_f32_f16 v53, v53;
	;;#ASMEND
	;;#ASMSTART
	v_cvt_f32_f16 v54, v54;
	;;#ASMEND
	;; [unrolled: 3-line block ×4, first 2 shown]
	v_lshrrev_b32_e32 v50, 16, v55
	v_and_b32_e32 v55, 0xffff, v55
	v_lshrrev_b32_e32 v61, 16, v51
	v_and_b32_e32 v51, 0xffff, v51
	v_fmac_f32_e32 v58, v63, v65
	;;#ASMSTART
	v_cvt_f32_f16 v55, v55;
	;;#ASMEND
	;;#ASMSTART
	v_cvt_f32_f16 v62, v50;
	;;#ASMEND
	;; [unrolled: 3-line block ×4, first 2 shown]
	ds_read_b64 v[50:51], v75 offset:80
	v_fmac_f32_e32 v52, v53, v59
	v_fmac_f32_e32 v56, v54, v60
	v_and_b32_e32 v54, 0xffff, v48
	v_lshrrev_b32_e32 v48, 16, v48
	s_waitcnt lgkmcnt(0)
	v_lshrrev_b32_e32 v53, 16, v50
	v_and_b32_e32 v50, 0xffff, v50
	v_fmac_f32_e32 v57, v55, v63
	;;#ASMSTART
	v_cvt_f32_f16 v50, v50;
	;;#ASMEND
	;;#ASMSTART
	v_cvt_f32_f16 v53, v53;
	;;#ASMEND
	;; [unrolled: 3-line block ×4, first 2 shown]
	v_lshrrev_b32_e32 v48, 16, v51
	v_and_b32_e32 v51, 0xffff, v51
	;;#ASMSTART
	v_cvt_f32_f16 v51, v51;
	;;#ASMEND
	;;#ASMSTART
	v_cvt_f32_f16 v59, v48;
	;;#ASMEND
	v_lshrrev_b32_e32 v48, 16, v49
	v_and_b32_e32 v49, 0xffff, v49
	v_fmac_f32_e32 v58, v62, v61
	;;#ASMSTART
	v_cvt_f32_f16 v60, v49;
	;;#ASMEND
	;;#ASMSTART
	v_cvt_f32_f16 v61, v48;
	;;#ASMEND
	ds_read_b64 v[48:49], v75 offset:88
	v_fmac_f32_e32 v52, v50, v54
	v_fmac_f32_e32 v57, v51, v60
	v_lshrrev_b32_e32 v51, 16, v46
	v_and_b32_e32 v46, 0xffff, v46
	s_waitcnt lgkmcnt(0)
	v_lshrrev_b32_e32 v50, 16, v48
	v_and_b32_e32 v48, 0xffff, v48
	v_fmac_f32_e32 v56, v53, v55
	;;#ASMSTART
	v_cvt_f32_f16 v48, v48;
	;;#ASMEND
	;;#ASMSTART
	v_cvt_f32_f16 v50, v50;
	;;#ASMEND
	;;#ASMSTART
	v_cvt_f32_f16 v53, v46;
	;;#ASMEND
	v_lshrrev_b32_e32 v46, 16, v49
	v_and_b32_e32 v49, 0xffff, v49
	;;#ASMSTART
	v_cvt_f32_f16 v51, v51;
	;;#ASMEND
	;;#ASMSTART
	v_cvt_f32_f16 v49, v49;
	;;#ASMEND
	;;#ASMSTART
	v_cvt_f32_f16 v54, v46;
	;;#ASMEND
	v_lshrrev_b32_e32 v46, 16, v47
	v_and_b32_e32 v47, 0xffff, v47
	v_fmac_f32_e32 v58, v59, v61
	;;#ASMSTART
	v_cvt_f32_f16 v55, v47;
	;;#ASMEND
	;;#ASMSTART
	v_cvt_f32_f16 v59, v46;
	;;#ASMEND
	ds_read_b64 v[46:47], v75 offset:96
	v_fmac_f32_e32 v52, v48, v53
	v_fmac_f32_e32 v57, v49, v55
	v_lshrrev_b32_e32 v49, 16, v44
	v_and_b32_e32 v44, 0xffff, v44
	s_waitcnt lgkmcnt(0)
	v_lshrrev_b32_e32 v48, 16, v46
	v_and_b32_e32 v46, 0xffff, v46
	v_fmac_f32_e32 v56, v50, v51
	;;#ASMSTART
	v_cvt_f32_f16 v46, v46;
	;;#ASMEND
	;;#ASMSTART
	v_cvt_f32_f16 v48, v48;
	;;#ASMEND
	;;#ASMSTART
	v_cvt_f32_f16 v50, v44;
	;;#ASMEND
	v_lshrrev_b32_e32 v44, 16, v47
	v_and_b32_e32 v47, 0xffff, v47
	;;#ASMSTART
	v_cvt_f32_f16 v49, v49;
	;;#ASMEND
	;; [unrolled: 38-line block ×5, first 2 shown]
	;;#ASMSTART
	v_cvt_f32_f16 v41, v41;
	;;#ASMEND
	;;#ASMSTART
	v_cvt_f32_f16 v45, v38;
	;;#ASMEND
	v_lshrrev_b32_e32 v38, 16, v39
	v_and_b32_e32 v39, 0xffff, v39
	v_fmac_f32_e32 v58, v47, v49
	;;#ASMSTART
	v_cvt_f32_f16 v46, v39;
	;;#ASMEND
	;;#ASMSTART
	v_cvt_f32_f16 v47, v38;
	;;#ASMEND
	ds_read_b64 v[38:39], v75 offset:128
	v_fmac_f32_e32 v52, v40, v44
	v_fmac_f32_e32 v57, v41, v46
	s_waitcnt vmcnt(7)
	v_lshrrev_b32_e32 v41, 16, v36
	v_and_b32_e32 v36, 0xffff, v36
	s_waitcnt lgkmcnt(0)
	v_lshrrev_b32_e32 v40, 16, v38
	v_and_b32_e32 v38, 0xffff, v38
	v_fmac_f32_e32 v56, v42, v43
	;;#ASMSTART
	v_cvt_f32_f16 v38, v38;
	;;#ASMEND
	;;#ASMSTART
	v_cvt_f32_f16 v40, v40;
	;;#ASMEND
	;;#ASMSTART
	v_cvt_f32_f16 v42, v36;
	;;#ASMEND
	v_lshrrev_b32_e32 v36, 16, v39
	v_and_b32_e32 v39, 0xffff, v39
	;;#ASMSTART
	v_cvt_f32_f16 v41, v41;
	;;#ASMEND
	;;#ASMSTART
	v_cvt_f32_f16 v39, v39;
	;;#ASMEND
	;;#ASMSTART
	v_cvt_f32_f16 v43, v36;
	;;#ASMEND
	v_lshrrev_b32_e32 v36, 16, v37
	v_and_b32_e32 v37, 0xffff, v37
	v_fmac_f32_e32 v58, v45, v47
	;;#ASMSTART
	v_cvt_f32_f16 v44, v37;
	;;#ASMEND
	;;#ASMSTART
	v_cvt_f32_f16 v45, v36;
	;;#ASMEND
	ds_read_b64 v[36:37], v75 offset:136
	v_fmac_f32_e32 v52, v38, v42
	v_fmac_f32_e32 v57, v39, v44
	s_waitcnt vmcnt(6)
	v_lshrrev_b32_e32 v39, 16, v34
	v_and_b32_e32 v34, 0xffff, v34
	s_waitcnt lgkmcnt(0)
	v_lshrrev_b32_e32 v38, 16, v36
	v_and_b32_e32 v36, 0xffff, v36
	v_fmac_f32_e32 v56, v40, v41
	;;#ASMSTART
	v_cvt_f32_f16 v36, v36;
	;;#ASMEND
	;;#ASMSTART
	v_cvt_f32_f16 v38, v38;
	;;#ASMEND
	;;#ASMSTART
	v_cvt_f32_f16 v40, v34;
	;;#ASMEND
	v_lshrrev_b32_e32 v34, 16, v37
	v_and_b32_e32 v37, 0xffff, v37
	;;#ASMSTART
	v_cvt_f32_f16 v39, v39;
	;;#ASMEND
	;; [unrolled: 39-line block ×8, first 2 shown]
	;;#ASMSTART
	v_cvt_f32_f16 v25, v25;
	;;#ASMEND
	;;#ASMSTART
	v_cvt_f32_f16 v29, v22;
	;;#ASMEND
	v_lshrrev_b32_e32 v22, 16, v23
	v_and_b32_e32 v23, 0xffff, v23
	v_fmac_f32_e32 v58, v31, v33
	;;#ASMSTART
	v_cvt_f32_f16 v30, v23;
	;;#ASMEND
	;;#ASMSTART
	v_cvt_f32_f16 v31, v22;
	;;#ASMEND
	ds_read_b64 v[22:23], v75 offset:192
	v_fmac_f32_e32 v52, v24, v28
	v_fmac_f32_e32 v57, v25, v30
	v_lshrrev_b32_e32 v25, 16, v20
	v_and_b32_e32 v20, 0xffff, v20
	s_waitcnt lgkmcnt(0)
	v_lshrrev_b32_e32 v24, 16, v22
	v_and_b32_e32 v22, 0xffff, v22
	v_fmac_f32_e32 v56, v26, v27
	;;#ASMSTART
	v_cvt_f32_f16 v22, v22;
	;;#ASMEND
	;;#ASMSTART
	v_cvt_f32_f16 v24, v24;
	;;#ASMEND
	;;#ASMSTART
	v_cvt_f32_f16 v26, v20;
	;;#ASMEND
	v_lshrrev_b32_e32 v20, 16, v23
	v_and_b32_e32 v23, 0xffff, v23
	;;#ASMSTART
	v_cvt_f32_f16 v25, v25;
	;;#ASMEND
	;;#ASMSTART
	v_cvt_f32_f16 v23, v23;
	;;#ASMEND
	;;#ASMSTART
	v_cvt_f32_f16 v27, v20;
	;;#ASMEND
	v_lshrrev_b32_e32 v20, 16, v21
	v_and_b32_e32 v21, 0xffff, v21
	v_fmac_f32_e32 v58, v29, v31
	;;#ASMSTART
	v_cvt_f32_f16 v28, v21;
	;;#ASMEND
	;;#ASMSTART
	v_cvt_f32_f16 v29, v20;
	;;#ASMEND
	ds_read_b64 v[20:21], v75 offset:200
	v_fmac_f32_e32 v52, v22, v26
	v_fmac_f32_e32 v57, v23, v28
	v_lshrrev_b32_e32 v23, 16, v18
	v_and_b32_e32 v18, 0xffff, v18
	s_waitcnt lgkmcnt(0)
	v_lshrrev_b32_e32 v22, 16, v20
	v_and_b32_e32 v20, 0xffff, v20
	v_fmac_f32_e32 v56, v24, v25
	;;#ASMSTART
	v_cvt_f32_f16 v20, v20;
	;;#ASMEND
	;;#ASMSTART
	v_cvt_f32_f16 v22, v22;
	;;#ASMEND
	;;#ASMSTART
	v_cvt_f32_f16 v24, v18;
	;;#ASMEND
	v_lshrrev_b32_e32 v18, 16, v21
	v_and_b32_e32 v21, 0xffff, v21
	;;#ASMSTART
	v_cvt_f32_f16 v23, v23;
	;;#ASMEND
	;; [unrolled: 38-line block ×7, first 2 shown]
	;;#ASMSTART
	v_cvt_f32_f16 v11, v11;
	;;#ASMEND
	;;#ASMSTART
	v_cvt_f32_f16 v15, v8;
	;;#ASMEND
	v_lshrrev_b32_e32 v8, 16, v9
	v_and_b32_e32 v9, 0xffff, v9
	v_fmac_f32_e32 v58, v17, v19
	;;#ASMSTART
	v_cvt_f32_f16 v16, v9;
	;;#ASMEND
	;;#ASMSTART
	v_cvt_f32_f16 v17, v8;
	;;#ASMEND
	ds_read_b64 v[8:9], v75 offset:248
	v_fmac_f32_e32 v52, v10, v14
	v_fmac_f32_e32 v57, v11, v16
	v_lshrrev_b32_e32 v11, 16, v6
	v_and_b32_e32 v6, 0xffff, v6
	s_waitcnt lgkmcnt(0)
	v_lshrrev_b32_e32 v10, 16, v8
	v_and_b32_e32 v8, 0xffff, v8
	;;#ASMSTART
	v_cvt_f32_f16 v8, v8;
	;;#ASMEND
	;;#ASMSTART
	v_cvt_f32_f16 v10, v10;
	;;#ASMEND
	;; [unrolled: 3-line block ×3, first 2 shown]
	v_fmac_f32_e32 v56, v12, v13
	v_fmac_f32_e32 v52, v8, v6
	v_lshrrev_b32_e32 v6, 16, v9
	v_and_b32_e32 v8, 0xffff, v9
	v_fmac_f32_e32 v58, v15, v17
	;;#ASMSTART
	v_cvt_f32_f16 v11, v11;
	;;#ASMEND
	;;#ASMSTART
	v_cvt_f32_f16 v8, v8;
	;;#ASMEND
	;; [unrolled: 3-line block ×3, first 2 shown]
	v_lshrrev_b32_e32 v9, 16, v7
	v_fmac_f32_e32 v56, v10, v11
	v_and_b32_e32 v7, 0xffff, v7
	;;#ASMSTART
	v_cvt_f32_f16 v7, v7;
	;;#ASMEND
	;;#ASMSTART
	v_cvt_f32_f16 v9, v9;
	;;#ASMEND
	s_nop 0
	v_fmac_f32_e32 v57, v8, v7
	v_fmac_f32_e32 v58, v6, v9
	v_add_f32_e32 v6, v52, v56
	v_add_f32_e32 v6, v6, v57
	v_cndmask_b32_e32 v7, v82, v83, vcc
	v_add_f32_e32 v6, v58, v6
	v_lshlrev_b32_e32 v7, 2, v7
	ds_bpermute_b32 v7, v7, v6
	s_and_saveexec_b64 s[10:11], s[0:1]
	s_cbranch_execz .LBB98_11
; %bb.17:                               ;   in Loop: Header=BB98_13 Depth=1
	v_add_u32_e32 v8, v80, v78
	v_cvt_f32_i32_e32 v8, v8
	s_waitcnt lgkmcnt(0)
	v_add_f32_e32 v6, v6, v7
	v_add_u32_e32 v9, v74, v78
	v_cmp_gt_i32_e32 vcc, s21, v9
	v_mul_f32_e32 v7, s45, v8
	v_cndmask_b32_e64 v7, 0, v7, s[6:7]
	v_fmac_f32_e32 v7, s35, v6
	v_cndmask_b32_e32 v6, 0, v7, vcc
	ds_write_b32 v79, v6
	v_max_f32_e32 v6, v76, v76
	v_max_f32_e32 v6, v6, v7
	v_cndmask_b32_e32 v76, v76, v6, vcc
	s_branch .LBB98_11
.LBB98_18:
	s_or_b64 exec, exec, s[38:39]
.LBB98_19:
	s_or_b64 exec, exec, s[36:37]
	v_mbcnt_hi_u32_b32 v8, -1, v73
	v_and_b32_e32 v2, 64, v8
	v_add_u32_e32 v9, 64, v2
	v_xor_b32_e32 v2, 32, v8
	v_cmp_lt_i32_e32 vcc, v2, v9
	v_xor_b32_e32 v5, 16, v8
	v_max_f32_e32 v4, v76, v76
	v_cndmask_b32_e32 v2, v8, v2, vcc
	v_lshlrev_b32_e32 v2, 2, v2
	ds_bpermute_b32 v3, v2, v76
	v_cmp_lt_i32_e32 vcc, v5, v9
	v_xor_b32_e32 v6, 8, v8
	s_waitcnt lgkmcnt(1)
	v_xor_b32_e32 v7, 4, v8
	v_xor_b32_e32 v10, 2, v8
	s_waitcnt lgkmcnt(0)
	v_max_f32_e32 v3, v3, v3
	v_max_f32_e32 v4, v4, v3
	v_cndmask_b32_e32 v3, v8, v5, vcc
	v_lshlrev_b32_e32 v3, 2, v3
	ds_bpermute_b32 v5, v3, v4
	v_cmp_lt_i32_e32 vcc, v6, v9
	v_and_b32_e32 v54, 63, v0
	s_waitcnt lgkmcnt(0)
	v_max_f32_e32 v5, v5, v5
	v_max_f32_e32 v5, v4, v5
	v_cndmask_b32_e32 v4, v8, v6, vcc
	v_lshlrev_b32_e32 v4, 2, v4
	ds_bpermute_b32 v6, v4, v5
	v_cmp_lt_i32_e32 vcc, v7, v9
	s_waitcnt lgkmcnt(0)
	v_max_f32_e32 v6, v6, v6
	v_max_f32_e32 v6, v5, v6
	v_cndmask_b32_e32 v5, v8, v7, vcc
	v_lshlrev_b32_e32 v5, 2, v5
	ds_bpermute_b32 v7, v5, v6
	v_cmp_lt_i32_e32 vcc, v10, v9
	s_waitcnt lgkmcnt(0)
	v_max_f32_e32 v7, v7, v7
	v_max_f32_e32 v7, v6, v7
	v_cndmask_b32_e32 v6, v8, v10, vcc
	v_lshlrev_b32_e32 v55, 2, v6
	ds_bpermute_b32 v10, v55, v7
	v_cmp_eq_u32_e32 vcc, 0, v54
	v_lshlrev_b32_e32 v6, 2, v1
	s_and_saveexec_b64 s[0:1], vcc
	s_cbranch_execz .LBB98_21
; %bb.20:
	s_waitcnt lgkmcnt(0)
	v_max_f32_e32 v10, v10, v10
	v_max_f32_e32 v7, v7, v7
	;; [unrolled: 1-line block ×3, first 2 shown]
	ds_write_b32 v6, v7 offset:512
.LBB98_21:
	s_or_b64 exec, exec, s[0:1]
	v_cmp_gt_u32_e64 s[0:1], 2, v54
	s_waitcnt lgkmcnt(0)
	v_mov_b32_e32 v10, 0xff7fffff
	v_lshlrev_b32_e32 v7, 2, v54
	s_barrier
	s_and_saveexec_b64 s[6:7], s[0:1]
	s_cbranch_execz .LBB98_23
; %bb.22:
	ds_read_b32 v10, v7 offset:512
.LBB98_23:
	s_or_b64 exec, exec, s[6:7]
	v_xor_b32_e32 v11, 1, v8
	v_cmp_lt_i32_e64 s[6:7], v11, v9
	s_nop 1
	v_cndmask_b32_e64 v9, v8, v11, s[6:7]
	v_lshlrev_b32_e32 v56, 2, v9
	s_waitcnt lgkmcnt(0)
	ds_bpermute_b32 v9, v56, v10
	v_max_f32_e32 v10, v10, v10
	v_lshlrev_b32_e32 v8, 2, v8
	v_and_b32_e32 v8, 0x100, v8
	s_lshl_b32 s6, s44, 5
	s_waitcnt lgkmcnt(0)
	v_max_f32_e32 v9, v9, v9
	v_max_f32_e32 v9, v10, v9
	ds_bpermute_b32 v10, v8, v9
	s_min_i32 s15, s6, s21
	v_cmp_gt_i32_e64 s[6:7], s15, v0
	v_mov_b32_e32 v9, 0
	s_and_saveexec_b64 s[34:35], s[6:7]
	s_cbranch_execz .LBB98_27
; %bb.24:
	v_mov_b32_e32 v9, 0x210
	v_lshl_add_u32 v11, v0, 2, v9
	s_mov_b64 s[36:37], 0
	v_mov_b32_e32 v9, 0
	v_mov_b32_e32 v12, v0
.LBB98_25:                              ; =>This Inner Loop Header: Depth=1
	ds_read_b32 v13, v11
	v_add_u32_e32 v12, 0x80, v12
	v_cmp_le_i32_e64 s[10:11], s15, v12
	s_or_b64 s[36:37], s[10:11], s[36:37]
	s_waitcnt lgkmcnt(0)
	v_sub_f32_e32 v13, v13, v10
	v_mul_f32_e32 v13, 0x3fb8aa3b, v13
	v_exp_f32_e32 v13, v13
	ds_write_b32 v11, v13
	v_add_f32_e32 v9, v9, v13
	v_add_u32_e32 v11, 0x200, v11
	s_andn2_b64 exec, exec, s[36:37]
	s_cbranch_execnz .LBB98_25
; %bb.26:
	s_or_b64 exec, exec, s[36:37]
.LBB98_27:
	s_or_b64 exec, exec, s[34:35]
	ds_bpermute_b32 v2, v2, v9
	s_waitcnt lgkmcnt(0)
	v_add_f32_e32 v2, v9, v2
	ds_bpermute_b32 v3, v3, v2
	s_waitcnt lgkmcnt(0)
	v_add_f32_e32 v2, v2, v3
	;; [unrolled: 3-line block ×6, first 2 shown]
	s_and_saveexec_b64 s[10:11], vcc
	s_cbranch_execz .LBB98_29
; %bb.28:
	ds_write_b32 v6, v2 offset:520
.LBB98_29:
	s_or_b64 exec, exec, s[10:11]
	s_waitcnt lgkmcnt(0)
	s_barrier
	s_and_saveexec_b64 s[10:11], s[0:1]
	s_cbranch_execz .LBB98_31
; %bb.30:
	ds_read_b32 v2, v7 offset:520
.LBB98_31:
	s_or_b64 exec, exec, s[10:11]
	s_waitcnt lgkmcnt(0)
	ds_bpermute_b32 v3, v56, v2
	s_waitcnt lgkmcnt(0)
	v_add_f32_e32 v2, v2, v3
	ds_bpermute_b32 v2, v8, v2
	s_and_saveexec_b64 s[0:1], s[6:7]
	s_cbranch_execz .LBB98_44
; %bb.32:
	s_waitcnt lgkmcnt(0)
	v_add_f32_e32 v2, 0x358637bd, v2
	v_div_scale_f32 v3, s[6:7], v2, v2, 1.0
	v_rcp_f32_e32 v4, v3
	v_div_scale_f32 v5, vcc, 1.0, v2, 1.0
	s_movk_i32 s6, 0x7f
	v_fma_f32 v6, -v3, v4, 1.0
	v_fmac_f32_e32 v4, v6, v4
	v_mul_f32_e32 v6, v5, v4
	v_fma_f32 v7, -v3, v6, v5
	v_fmac_f32_e32 v6, v7, v4
	v_fma_f32 v3, -v3, v6, v5
	v_div_fmas_f32 v3, v3, v4, v6
	v_xad_u32 v4, v0, -1, s15
	v_div_fixup_f32 v2, v3, v2, 1.0
	v_cmp_lt_u32_e32 vcc, s6, v4
	s_mov_b64 s[10:11], -1
	v_mov_b32_e32 v3, v0
	s_and_saveexec_b64 s[6:7], vcc
	s_cbranch_execz .LBB98_41
; %bb.33:
	v_lshrrev_b32_e32 v4, 7, v4
	v_add_u32_e32 v6, -1, v4
	v_lshrrev_b32_e32 v5, 1, v6
	v_mov_b32_e32 v3, v2
	v_add_u32_e32 v5, 1, v5
	v_cmp_lt_u32_e32 vcc, 13, v6
	v_mov_b32_e32 v8, 0
	s_and_saveexec_b64 s[10:11], vcc
	s_cbranch_execz .LBB98_37
; %bb.34:
	v_mov_b32_e32 v7, 0x210
	v_and_b32_e32 v6, -8, v5
	v_lshl_add_u32 v7, v0, 2, v7
	s_mov_b32 s19, 0
	s_mov_b64 s[34:35], 0
.LBB98_35:                              ; =>This Inner Loop Header: Depth=1
	ds_read2st64_b32 v[8:9], v7 offset1:2
	ds_read2st64_b32 v[10:11], v7 offset0:4 offset1:6
	ds_read2st64_b32 v[12:13], v7 offset0:8 offset1:10
	;; [unrolled: 1-line block ×3, first 2 shown]
	v_add_u32_e32 v6, -8, v6
	s_waitcnt lgkmcnt(3)
	v_pk_mul_f32 v[8:9], v[2:3], v[8:9]
	s_waitcnt lgkmcnt(2)
	v_pk_mul_f32 v[10:11], v[2:3], v[10:11]
	ds_write2st64_b32 v7, v8, v9 offset1:2
	ds_write2st64_b32 v7, v10, v11 offset0:4 offset1:6
	ds_read2st64_b32 v[10:11], v7 offset0:16 offset1:18
	s_waitcnt lgkmcnt(4)
	v_pk_mul_f32 v[8:9], v[2:3], v[12:13]
	ds_write2st64_b32 v7, v8, v9 offset0:8 offset1:10
	s_waitcnt lgkmcnt(4)
	v_pk_mul_f32 v[8:9], v[2:3], v[14:15]
	ds_write2st64_b32 v7, v8, v9 offset0:12 offset1:14
	ds_read2st64_b32 v[8:9], v7 offset0:20 offset1:22
	s_waitcnt lgkmcnt(3)
	v_pk_mul_f32 v[10:11], v[2:3], v[10:11]
	ds_read2st64_b32 v[12:13], v7 offset0:24 offset1:26
	ds_write2st64_b32 v7, v10, v11 offset0:16 offset1:18
	ds_read2st64_b32 v[10:11], v7 offset0:28 offset1:30
	s_waitcnt lgkmcnt(3)
	v_pk_mul_f32 v[8:9], v[2:3], v[8:9]
	ds_write2st64_b32 v7, v8, v9 offset0:20 offset1:22
	s_waitcnt lgkmcnt(3)
	v_pk_mul_f32 v[8:9], v[2:3], v[12:13]
	ds_write2st64_b32 v7, v8, v9 offset0:24 offset1:26
	s_waitcnt lgkmcnt(2)
	v_pk_mul_f32 v[8:9], v[2:3], v[10:11]
	s_add_i32 s19, s19, 16
	v_cmp_eq_u32_e32 vcc, 0, v6
	ds_write2st64_b32 v7, v8, v9 offset0:28 offset1:30
	v_add_u32_e32 v7, 0x2000, v7
	s_or_b64 s[34:35], vcc, s[34:35]
	v_mov_b32_e32 v8, s19
	s_andn2_b64 exec, exec, s[34:35]
	s_cbranch_execnz .LBB98_35
; %bb.36:
	s_or_b64 exec, exec, s[34:35]
.LBB98_37:
	s_or_b64 exec, exec, s[10:11]
	v_and_b32_e32 v5, 7, v5
	v_cmp_ne_u32_e32 vcc, 0, v5
	s_and_saveexec_b64 s[10:11], vcc
	s_cbranch_execz .LBB98_40
; %bb.38:
	v_lshlrev_b32_e32 v6, 9, v8
	v_lshlrev_b32_e32 v7, 2, v0
	s_movk_i32 s19, 0x210
	v_add3_u32 v6, v6, v7, s19
	s_mov_b64 s[34:35], 0
.LBB98_39:                              ; =>This Inner Loop Header: Depth=1
	ds_read2st64_b32 v[8:9], v6 offset1:2
	v_add_u32_e32 v5, -1, v5
	v_cmp_eq_u32_e32 vcc, 0, v5
	s_or_b64 s[34:35], vcc, s[34:35]
	s_waitcnt lgkmcnt(0)
	v_pk_mul_f32 v[8:9], v[2:3], v[8:9]
	ds_write2st64_b32 v6, v8, v9 offset1:2
	v_add_u32_e32 v6, 0x400, v6
	s_andn2_b64 exec, exec, s[34:35]
	s_cbranch_execnz .LBB98_39
.LBB98_40:
	s_or_b64 exec, exec, s[10:11]
	v_add_u32_e32 v4, 1, v4
	v_and_b32_e32 v5, 0x3fffffe, v4
	v_cmp_ne_u32_e32 vcc, v4, v5
	v_lshl_add_u32 v3, v5, 7, v0
	s_orn2_b64 s[10:11], vcc, exec
.LBB98_41:
	s_or_b64 exec, exec, s[6:7]
	s_and_b64 exec, exec, s[10:11]
	s_cbranch_execz .LBB98_44
; %bb.42:
	v_mov_b32_e32 v4, 0x210
	v_lshl_add_u32 v4, v3, 2, v4
	s_mov_b64 s[6:7], 0
.LBB98_43:                              ; =>This Inner Loop Header: Depth=1
	ds_read_b32 v5, v4
	v_add_u32_e32 v3, 0x80, v3
	v_cmp_le_i32_e32 vcc, s15, v3
	s_or_b64 s[6:7], vcc, s[6:7]
	s_waitcnt lgkmcnt(0)
	v_mul_f32_e32 v5, v2, v5
	ds_write_b32 v4, v5
	v_add_u32_e32 v4, 0x200, v4
	s_andn2_b64 exec, exec, s[6:7]
	s_cbranch_execnz .LBB98_43
.LBB98_44:
	s_or_b64 exec, exec, s[0:1]
	v_mov_b32_e32 v22, 0
	v_and_b32_e32 v57, 3, v0
	v_mov_b32_e32 v23, 0
	v_mov_b32_e32 v20, 0
	;; [unrolled: 1-line block ×15, first 2 shown]
	s_waitcnt lgkmcnt(0)
	s_barrier
	s_and_saveexec_b64 s[6:7], s[2:3]
	s_cbranch_execz .LBB98_82
; %bb.45:
	s_ashr_i32 s19, s18, 31
	s_sub_i32 s34, s12, s13
	s_lshl_b64 s[0:1], s[18:19], 1
	s_add_u32 s2, s30, s0
	s_addc_u32 s3, s31, s1
	s_abs_i32 s19, s14
	v_cvt_f32_u32_e32 v3, s19
	s_sub_i32 s0, 0, s19
	s_add_i32 s18, s44, -1
	v_and_b32_e32 v2, 0x1f8, v71
	v_rcp_iflag_f32_e32 v3, v3
	v_mov_b32_e32 v19, 0
	v_or_b32_e32 v4, 0x800, v2
	v_or_b32_e32 v6, 0xa00, v2
	v_mul_f32_e32 v3, 0x4f7ffffe, v3
	v_cvt_u32_f32_e32 v3, v3
	v_or_b32_e32 v8, 0xc00, v2
	v_or_b32_e32 v10, 0xe00, v2
	;; [unrolled: 1-line block ×3, first 2 shown]
	v_mul_lo_u32 v5, s0, v3
	v_mul_hi_u32 v5, v3, v5
	s_lshl_b64 s[0:1], s[28:29], 2
	v_add_u32_e32 v59, v3, v5
	s_add_u32 s0, s26, s0
	v_lshlrev_b32_e32 v3, 5, v57
	v_or_b32_e32 v14, 0x1200, v2
	v_or_b32_e32 v16, 0x1400, v2
	;; [unrolled: 1-line block ×7, first 2 shown]
	v_and_b32_e32 v18, 60, v72
	s_addc_u32 s1, s27, s1
	v_lshl_or_b32 v3, v1, 7, v3
	v_and_b32_e32 v58, 24, v71
	s_mov_b32 s30, s21
	s_mov_b32 s31, s21
	;; [unrolled: 1-line block ×7, first 2 shown]
	v_lshl_add_u64 v[24:25], s[0:1], 0, v[18:19]
	v_add_u32_e32 v60, 0x210, v3
	s_mov_b64 s[10:11], 0
	v_lshlrev_b32_e32 v26, 1, v2
	s_mov_b32 s26, 0x5040100
	v_lshlrev_b32_e32 v18, 1, v4
	v_lshlrev_b32_e32 v28, 1, v6
	;; [unrolled: 1-line block ×12, first 2 shown]
	v_mov_b32_e32 v7, v19
	v_mov_b32_e32 v6, v19
	;; [unrolled: 1-line block ×16, first 2 shown]
	s_branch .LBB98_48
.LBB98_46:                              ;   in Loop: Header=BB98_48 Depth=1
	s_or_b64 exec, exec, s[0:1]
	v_add_f32_e32 v27, v47, v90
	v_add_f32_e32 v6, v6, v27
	;; [unrolled: 1-line block ×17, first 2 shown]
	s_waitcnt vmcnt(0)
	;;#ASMSTART
	v_pk_mul_f16 v2, v67, v2;

	;;#ASMEND
	v_add_f32_e32 v14, v14, v27
	v_add_f32_e32 v27, v29, v81
	;;#ASMSTART
	v_pk_mul_f16 v3, v66, v3;

	;;#ASMEND
	;;#ASMSTART
	v_pk_mul_f16 v4, v65, v4;

	;;#ASMEND
	;; [unrolled: 4-line block ×3, first 2 shown]
	v_add_f32_e32 v17, v17, v27
	;;#ASMSTART
	v_pk_add_f16 v2, v2, v3;

	;;#ASMEND
	v_add_f32_e32 v27, v79, v80
	;;#ASMSTART
	v_pk_add_f16 v2, v2, v4;

	;;#ASMEND
	v_add_f32_e32 v16, v16, v27
	v_add_f32_e32 v27, v52, v53
	;;#ASMSTART
	v_pk_add_f16 v2, v2, v5;

	;;#ASMEND
	v_add_f32_e32 v21, v21, v27
	v_add_f32_e32 v27, v77, v78
	v_lshrrev_b32_e32 v3, 16, v2
	v_and_b32_e32 v2, 0xffff, v2
	v_add_f32_e32 v20, v20, v27
	v_add_f32_e32 v27, v75, v76
	;;#ASMSTART
	v_cvt_f32_f16 v2, v2;
	;;#ASMEND
	v_add_f32_e32 v23, v23, v27
	v_add_f32_e32 v27, v73, v74
	;;#ASMSTART
	v_cvt_f32_f16 v3, v3;
	;;#ASMEND
	v_add_f32_e32 v22, v22, v27
	v_add_f32_e32 v2, v2, v3
	;; [unrolled: 1-line block ×3, first 2 shown]
.LBB98_47:                              ;   in Loop: Header=BB98_48 Depth=1
	s_or_b64 exec, exec, s[12:13]
	v_add_u32_e32 v1, 2, v1
	v_cmp_le_i32_e32 vcc, s44, v1
	v_lshl_add_u64 v[24:25], v[24:25], 0, 8
	v_add_u32_e32 v70, 64, v70
	s_or_b64 s[10:11], vcc, s[10:11]
	v_add_u32_e32 v60, 0x100, v60
	s_andn2_b64 exec, exec, s[10:11]
	s_cbranch_execz .LBB98_81
.LBB98_48:                              ; =>This Inner Loop Header: Depth=1
	v_mul_hi_u32 v2, v70, s33
	v_mul_lo_u32 v3, v2, s23
	v_sub_u32_e32 v3, v70, v3
	v_add_u32_e32 v4, 1, v2
	v_cmp_le_u32_e32 vcc, s23, v3
	s_nop 1
	v_cndmask_b32_e32 v2, v2, v4, vcc
	v_subrev_u32_e32 v4, s23, v3
	v_cndmask_b32_e32 v3, v3, v4, vcc
	v_add_u32_e32 v4, 1, v2
	v_cmp_le_u32_e32 vcc, s23, v3
	s_nop 1
	v_cndmask_b32_e32 v2, v2, v4, vcc
	v_xor_b32_e32 v2, s43, v2
	v_subrev_u32_e32 v2, s43, v2
	v_add_u32_e32 v3, s42, v2
	v_sub_u32_e32 v5, 0, v3
	v_ashrrev_i32_e32 v4, 31, v3
	v_max_i32_e32 v3, v3, v5
	v_mul_hi_u32 v5, v3, v59
	v_mul_lo_u32 v5, v5, s19
	v_sub_u32_e32 v3, v3, v5
	v_subrev_u32_e32 v5, s19, v3
	v_cmp_le_u32_e32 vcc, s19, v3
	v_cmp_lt_i32_e64 s[0:1], s34, v2
	s_nop 0
	v_cndmask_b32_e32 v3, v3, v5, vcc
	v_subrev_u32_e32 v5, s19, v3
	v_cmp_le_u32_e32 vcc, s19, v3
	s_nop 1
	v_cndmask_b32_e32 v3, v3, v5, vcc
	v_xor_b32_e32 v3, v3, v4
	v_sub_u32_e32 v3, v3, v4
	v_cmp_eq_u32_e32 vcc, 0, v3
	s_or_b64 s[0:1], vcc, s[0:1]
	s_and_saveexec_b64 s[12:13], s[0:1]
	s_cbranch_execz .LBB98_47
; %bb.49:                               ;   in Loop: Header=BB98_48 Depth=1
	global_load_dword v27, v[24:25], off
	ds_read2_b64 v[2:5], v60 offset1:1
	ds_read2_b64 v[50:53], v60 offset0:2 offset1:3
	v_cmp_eq_u32_e32 vcc, s18, v1
	s_waitcnt lgkmcnt(1)
	;;#ASMSTART
	v_cvt_f16_f32 v29, v2;

	;;#ASMEND
	;;#ASMSTART
	v_cvt_f16_f32 v31, v3;

	;;#ASMEND
	;;#ASMSTART
	v_cvt_f16_f32 v33, v4;

	;;#ASMEND
	;;#ASMSTART
	v_cvt_f16_f32 v35, v5;

	;;#ASMEND
	s_waitcnt lgkmcnt(0)
	;;#ASMSTART
	v_cvt_f16_f32 v37, v50;

	;;#ASMEND
	;;#ASMSTART
	v_cvt_f16_f32 v39, v51;

	;;#ASMEND
	;; [unrolled: 4-line block ×4, first 2 shown]
	s_waitcnt vmcnt(0)
	v_mad_i64_i32 v[2:3], s[0:1], v27, s17, 0
	v_lshl_add_u64 v[50:51], v[2:3], 1, s[2:3]
	v_mov_b32_e32 v27, v19
	v_lshl_add_u64 v[52:53], v[50:51], 0, v[26:27]
	global_load_dwordx4 v[2:5], v[52:53], off
	v_add_u32_e32 v27, v58, v70
	v_add_u32_e32 v61, 1, v27
	v_or_b32_e32 v63, 3, v27
	v_or_b32_e32 v62, 2, v27
	v_or_b32_e32 v69, 5, v27
	v_or_b32_e32 v68, 4, v27
	v_or_b32_e32 v72, 7, v27
	v_or_b32_e32 v71, 6, v27
	s_and_saveexec_b64 s[14:15], vcc
	s_cbranch_execz .LBB98_51
; %bb.50:                               ;   in Loop: Header=BB98_48 Depth=1
	s_waitcnt vmcnt(0)
	v_lshrrev_b32_e32 v45, 16, v5
	v_cmp_gt_i32_e64 s[0:1], s39, v72
	s_nop 1
	v_cndmask_b32_e64 v45, 0, v45, s[0:1]
	v_cmp_gt_i32_e64 s[0:1], s38, v71
	s_nop 1
	v_cndmask_b32_e64 v5, 0, v5, s[0:1]
	v_perm_b32 v5, v45, v5, s26
	v_lshrrev_b32_e32 v45, 16, v4
	v_cmp_gt_i32_e64 s[0:1], s37, v69
	s_nop 1
	v_cndmask_b32_e64 v45, 0, v45, s[0:1]
	v_cmp_gt_i32_e64 s[0:1], s36, v68
	s_nop 1
	v_cndmask_b32_e64 v4, 0, v4, s[0:1]
	v_perm_b32 v4, v45, v4, s26
	;; [unrolled: 8-line block ×4, first 2 shown]
.LBB98_51:                              ;   in Loop: Header=BB98_48 Depth=1
	s_or_b64 exec, exec, s[14:15]
	v_and_b32_e32 v29, 0xffff, v29
	v_lshl_or_b32 v67, v31, 16, v29
	v_and_b32_e32 v29, 0xffff, v33
	v_lshl_or_b32 v66, v35, 16, v29
	;; [unrolled: 2-line block ×3, first 2 shown]
	v_and_b32_e32 v29, 0xffff, v41
	s_waitcnt vmcnt(0)
	;;#ASMSTART
	v_pk_mul_f16 v2, v67, v2;

	;;#ASMEND
	v_lshl_or_b32 v64, v43, 16, v29
	;;#ASMSTART
	v_pk_mul_f16 v3, v66, v3;

	;;#ASMEND
	;;#ASMSTART
	v_pk_mul_f16 v4, v65, v4;

	;;#ASMEND
	;;#ASMSTART
	v_pk_mul_f16 v5, v64, v5;

	;;#ASMEND
	s_nop 0
	;;#ASMSTART
	v_pk_add_f16 v2, v2, v3;

	;;#ASMEND
	s_nop 0
	;;#ASMSTART
	v_pk_add_f16 v2, v2, v4;

	;;#ASMEND
	;; [unrolled: 5-line block ×3, first 2 shown]
	s_nop 0
	v_lshrrev_b32_e32 v3, 16, v2
	v_and_b32_e32 v2, 0xffff, v2
	;;#ASMSTART
	v_cvt_f32_f16 v73, v2;
	;;#ASMEND
	;;#ASMSTART
	v_cvt_f32_f16 v74, v3;
	;;#ASMEND
	global_load_dwordx4 v[2:5], v[52:53], off offset:1024
	s_and_saveexec_b64 s[14:15], vcc
	s_cbranch_execz .LBB98_53
; %bb.52:                               ;   in Loop: Header=BB98_48 Depth=1
	s_waitcnt vmcnt(0)
	v_lshrrev_b32_e32 v29, 16, v5
	v_cmp_gt_i32_e64 s[0:1], s39, v72
	s_nop 1
	v_cndmask_b32_e64 v29, 0, v29, s[0:1]
	v_cmp_gt_i32_e64 s[0:1], s38, v71
	s_nop 1
	v_cndmask_b32_e64 v5, 0, v5, s[0:1]
	v_perm_b32 v5, v29, v5, s26
	v_lshrrev_b32_e32 v29, 16, v4
	v_cmp_gt_i32_e64 s[0:1], s37, v69
	s_nop 1
	v_cndmask_b32_e64 v29, 0, v29, s[0:1]
	v_cmp_gt_i32_e64 s[0:1], s36, v68
	s_nop 1
	v_cndmask_b32_e64 v4, 0, v4, s[0:1]
	v_perm_b32 v4, v29, v4, s26
	;; [unrolled: 8-line block ×4, first 2 shown]
.LBB98_53:                              ;   in Loop: Header=BB98_48 Depth=1
	s_or_b64 exec, exec, s[14:15]
	s_waitcnt vmcnt(0)
	;;#ASMSTART
	v_pk_mul_f16 v2, v67, v2;

	;;#ASMEND
	;;#ASMSTART
	v_pk_mul_f16 v3, v66, v3;

	;;#ASMEND
	;;#ASMSTART
	v_pk_mul_f16 v4, v65, v4;

	;;#ASMEND
	;;#ASMSTART
	v_pk_mul_f16 v5, v64, v5;

	;;#ASMEND
	s_nop 0
	;;#ASMSTART
	v_pk_add_f16 v2, v2, v3;

	;;#ASMEND
	s_nop 0
	;;#ASMSTART
	v_pk_add_f16 v2, v2, v4;

	;;#ASMEND
	;; [unrolled: 5-line block ×3, first 2 shown]
	s_nop 0
	v_lshrrev_b32_e32 v3, 16, v2
	v_and_b32_e32 v2, 0xffff, v2
	;;#ASMSTART
	v_cvt_f32_f16 v75, v2;
	;;#ASMEND
	;;#ASMSTART
	v_cvt_f32_f16 v76, v3;
	;;#ASMEND
	global_load_dwordx4 v[2:5], v[52:53], off offset:2048
	s_and_saveexec_b64 s[14:15], vcc
	s_cbranch_execz .LBB98_55
; %bb.54:                               ;   in Loop: Header=BB98_48 Depth=1
	s_waitcnt vmcnt(0)
	v_lshrrev_b32_e32 v29, 16, v5
	v_cmp_gt_i32_e64 s[0:1], s39, v72
	s_nop 1
	v_cndmask_b32_e64 v29, 0, v29, s[0:1]
	v_cmp_gt_i32_e64 s[0:1], s38, v71
	s_nop 1
	v_cndmask_b32_e64 v5, 0, v5, s[0:1]
	v_perm_b32 v5, v29, v5, s26
	v_lshrrev_b32_e32 v29, 16, v4
	v_cmp_gt_i32_e64 s[0:1], s37, v69
	s_nop 1
	v_cndmask_b32_e64 v29, 0, v29, s[0:1]
	v_cmp_gt_i32_e64 s[0:1], s36, v68
	s_nop 1
	v_cndmask_b32_e64 v4, 0, v4, s[0:1]
	v_perm_b32 v4, v29, v4, s26
	;; [unrolled: 8-line block ×4, first 2 shown]
.LBB98_55:                              ;   in Loop: Header=BB98_48 Depth=1
	s_or_b64 exec, exec, s[14:15]
	s_waitcnt vmcnt(0)
	;;#ASMSTART
	v_pk_mul_f16 v2, v67, v2;

	;;#ASMEND
	;;#ASMSTART
	v_pk_mul_f16 v3, v66, v3;

	;;#ASMEND
	;; [unrolled: 4-line block ×4, first 2 shown]
	s_nop 0
	;;#ASMSTART
	v_pk_add_f16 v2, v2, v3;

	;;#ASMEND
	s_nop 0
	;;#ASMSTART
	v_pk_add_f16 v2, v2, v4;

	;;#ASMEND
	;; [unrolled: 5-line block ×3, first 2 shown]
	s_nop 0
	v_lshrrev_b32_e32 v3, 16, v2
	v_and_b32_e32 v2, 0xffff, v2
	;;#ASMSTART
	v_cvt_f32_f16 v77, v2;
	;;#ASMEND
	;;#ASMSTART
	v_cvt_f32_f16 v78, v3;
	;;#ASMEND
	global_load_dwordx4 v[2:5], v[52:53], off offset:3072
	s_and_saveexec_b64 s[14:15], vcc
	s_cbranch_execz .LBB98_57
; %bb.56:                               ;   in Loop: Header=BB98_48 Depth=1
	s_waitcnt vmcnt(0)
	v_lshrrev_b32_e32 v29, 16, v5
	v_cmp_gt_i32_e64 s[0:1], s39, v72
	s_nop 1
	v_cndmask_b32_e64 v29, 0, v29, s[0:1]
	v_cmp_gt_i32_e64 s[0:1], s38, v71
	s_nop 1
	v_cndmask_b32_e64 v5, 0, v5, s[0:1]
	v_perm_b32 v5, v29, v5, s26
	v_lshrrev_b32_e32 v29, 16, v4
	v_cmp_gt_i32_e64 s[0:1], s37, v69
	s_nop 1
	v_cndmask_b32_e64 v29, 0, v29, s[0:1]
	v_cmp_gt_i32_e64 s[0:1], s36, v68
	s_nop 1
	v_cndmask_b32_e64 v4, 0, v4, s[0:1]
	v_perm_b32 v4, v29, v4, s26
	;; [unrolled: 8-line block ×4, first 2 shown]
.LBB98_57:                              ;   in Loop: Header=BB98_48 Depth=1
	s_or_b64 exec, exec, s[14:15]
	s_waitcnt vmcnt(0)
	;;#ASMSTART
	v_pk_mul_f16 v2, v67, v2;

	;;#ASMEND
	;;#ASMSTART
	v_pk_mul_f16 v3, v66, v3;

	;;#ASMEND
	;; [unrolled: 4-line block ×4, first 2 shown]
	s_nop 0
	;;#ASMSTART
	v_pk_add_f16 v2, v2, v3;

	;;#ASMEND
	s_nop 0
	;;#ASMSTART
	v_pk_add_f16 v2, v2, v4;

	;;#ASMEND
	;; [unrolled: 5-line block ×3, first 2 shown]
	s_nop 0
	v_lshrrev_b32_e32 v3, 16, v2
	v_and_b32_e32 v2, 0xffff, v2
	;;#ASMSTART
	v_cvt_f32_f16 v52, v2;
	;;#ASMEND
	;;#ASMSTART
	v_cvt_f32_f16 v53, v3;
	;;#ASMEND
	v_lshl_add_u64 v[2:3], v[50:51], 0, v[18:19]
	global_load_dwordx4 v[2:5], v[2:3], off
	s_and_saveexec_b64 s[14:15], vcc
	s_cbranch_execz .LBB98_59
; %bb.58:                               ;   in Loop: Header=BB98_48 Depth=1
	s_waitcnt vmcnt(0)
	v_lshrrev_b32_e32 v29, 16, v5
	v_cmp_gt_i32_e64 s[0:1], s39, v72
	s_nop 1
	v_cndmask_b32_e64 v29, 0, v29, s[0:1]
	v_cmp_gt_i32_e64 s[0:1], s38, v71
	s_nop 1
	v_cndmask_b32_e64 v5, 0, v5, s[0:1]
	v_perm_b32 v5, v29, v5, s26
	v_lshrrev_b32_e32 v29, 16, v4
	v_cmp_gt_i32_e64 s[0:1], s37, v69
	s_nop 1
	v_cndmask_b32_e64 v29, 0, v29, s[0:1]
	v_cmp_gt_i32_e64 s[0:1], s36, v68
	s_nop 1
	v_cndmask_b32_e64 v4, 0, v4, s[0:1]
	v_perm_b32 v4, v29, v4, s26
	;; [unrolled: 8-line block ×4, first 2 shown]
.LBB98_59:                              ;   in Loop: Header=BB98_48 Depth=1
	s_or_b64 exec, exec, s[14:15]
	s_waitcnt vmcnt(0)
	;;#ASMSTART
	v_pk_mul_f16 v2, v67, v2;

	;;#ASMEND
	;;#ASMSTART
	v_pk_mul_f16 v3, v66, v3;

	;;#ASMEND
	;; [unrolled: 4-line block ×4, first 2 shown]
	v_mov_b32_e32 v29, v19
	;;#ASMSTART
	v_pk_add_f16 v2, v2, v3;

	;;#ASMEND
	s_nop 0
	;;#ASMSTART
	v_pk_add_f16 v2, v2, v4;

	;;#ASMEND
	s_nop 0
	;; [unrolled: 5-line block ×3, first 2 shown]
	v_lshrrev_b32_e32 v3, 16, v2
	v_and_b32_e32 v2, 0xffff, v2
	;;#ASMSTART
	v_cvt_f32_f16 v79, v2;
	;;#ASMEND
	;;#ASMSTART
	v_cvt_f32_f16 v80, v3;
	;;#ASMEND
	v_lshl_add_u64 v[2:3], v[50:51], 0, v[28:29]
	global_load_dwordx4 v[2:5], v[2:3], off
	s_and_saveexec_b64 s[14:15], vcc
	s_cbranch_execz .LBB98_61
; %bb.60:                               ;   in Loop: Header=BB98_48 Depth=1
	s_waitcnt vmcnt(0)
	v_lshrrev_b32_e32 v29, 16, v5
	v_cmp_gt_i32_e64 s[0:1], s39, v72
	s_nop 1
	v_cndmask_b32_e64 v29, 0, v29, s[0:1]
	v_cmp_gt_i32_e64 s[0:1], s38, v71
	s_nop 1
	v_cndmask_b32_e64 v5, 0, v5, s[0:1]
	v_perm_b32 v5, v29, v5, s26
	v_lshrrev_b32_e32 v29, 16, v4
	v_cmp_gt_i32_e64 s[0:1], s37, v69
	s_nop 1
	v_cndmask_b32_e64 v29, 0, v29, s[0:1]
	v_cmp_gt_i32_e64 s[0:1], s36, v68
	s_nop 1
	v_cndmask_b32_e64 v4, 0, v4, s[0:1]
	v_perm_b32 v4, v29, v4, s26
	;; [unrolled: 8-line block ×4, first 2 shown]
.LBB98_61:                              ;   in Loop: Header=BB98_48 Depth=1
	s_or_b64 exec, exec, s[14:15]
	s_waitcnt vmcnt(0)
	;;#ASMSTART
	v_pk_mul_f16 v2, v67, v2;

	;;#ASMEND
	;;#ASMSTART
	v_pk_mul_f16 v3, v66, v3;

	;;#ASMEND
	;; [unrolled: 4-line block ×4, first 2 shown]
	v_mov_b32_e32 v31, v19
	;;#ASMSTART
	v_pk_add_f16 v2, v2, v3;

	;;#ASMEND
	s_nop 0
	;;#ASMSTART
	v_pk_add_f16 v2, v2, v4;

	;;#ASMEND
	s_nop 0
	;; [unrolled: 5-line block ×3, first 2 shown]
	v_lshrrev_b32_e32 v3, 16, v2
	v_and_b32_e32 v2, 0xffff, v2
	;;#ASMSTART
	v_cvt_f32_f16 v29, v2;
	;;#ASMEND
	;;#ASMSTART
	v_cvt_f32_f16 v81, v3;
	;;#ASMEND
	v_lshl_add_u64 v[2:3], v[50:51], 0, v[30:31]
	global_load_dwordx4 v[2:5], v[2:3], off
	s_and_saveexec_b64 s[14:15], vcc
	s_cbranch_execz .LBB98_63
; %bb.62:                               ;   in Loop: Header=BB98_48 Depth=1
	s_waitcnt vmcnt(0)
	v_lshrrev_b32_e32 v31, 16, v5
	v_cmp_gt_i32_e64 s[0:1], s39, v72
	s_nop 1
	v_cndmask_b32_e64 v31, 0, v31, s[0:1]
	v_cmp_gt_i32_e64 s[0:1], s38, v71
	s_nop 1
	v_cndmask_b32_e64 v5, 0, v5, s[0:1]
	v_perm_b32 v5, v31, v5, s26
	v_lshrrev_b32_e32 v31, 16, v4
	v_cmp_gt_i32_e64 s[0:1], s37, v69
	s_nop 1
	v_cndmask_b32_e64 v31, 0, v31, s[0:1]
	v_cmp_gt_i32_e64 s[0:1], s36, v68
	s_nop 1
	v_cndmask_b32_e64 v4, 0, v4, s[0:1]
	v_perm_b32 v4, v31, v4, s26
	;; [unrolled: 8-line block ×4, first 2 shown]
.LBB98_63:                              ;   in Loop: Header=BB98_48 Depth=1
	s_or_b64 exec, exec, s[14:15]
	s_waitcnt vmcnt(0)
	;;#ASMSTART
	v_pk_mul_f16 v2, v67, v2;

	;;#ASMEND
	;;#ASMSTART
	v_pk_mul_f16 v3, v66, v3;

	;;#ASMEND
	;; [unrolled: 4-line block ×4, first 2 shown]
	v_mov_b32_e32 v33, v19
	;;#ASMSTART
	v_pk_add_f16 v2, v2, v3;

	;;#ASMEND
	s_nop 0
	;;#ASMSTART
	v_pk_add_f16 v2, v2, v4;

	;;#ASMEND
	s_nop 0
	;;#ASMSTART
	v_pk_add_f16 v2, v2, v5;

	;;#ASMEND
	s_nop 0
	v_lshrrev_b32_e32 v3, 16, v2
	v_and_b32_e32 v2, 0xffff, v2
	;;#ASMSTART
	v_cvt_f32_f16 v31, v2;
	;;#ASMEND
	;;#ASMSTART
	v_cvt_f32_f16 v82, v3;
	;;#ASMEND
	v_lshl_add_u64 v[2:3], v[50:51], 0, v[32:33]
	global_load_dwordx4 v[2:5], v[2:3], off
	s_and_saveexec_b64 s[14:15], vcc
	s_cbranch_execz .LBB98_65
; %bb.64:                               ;   in Loop: Header=BB98_48 Depth=1
	s_waitcnt vmcnt(0)
	v_lshrrev_b32_e32 v33, 16, v5
	v_cmp_gt_i32_e64 s[0:1], s39, v72
	s_nop 1
	v_cndmask_b32_e64 v33, 0, v33, s[0:1]
	v_cmp_gt_i32_e64 s[0:1], s38, v71
	s_nop 1
	v_cndmask_b32_e64 v5, 0, v5, s[0:1]
	v_perm_b32 v5, v33, v5, s26
	v_lshrrev_b32_e32 v33, 16, v4
	v_cmp_gt_i32_e64 s[0:1], s37, v69
	s_nop 1
	v_cndmask_b32_e64 v33, 0, v33, s[0:1]
	v_cmp_gt_i32_e64 s[0:1], s36, v68
	s_nop 1
	v_cndmask_b32_e64 v4, 0, v4, s[0:1]
	v_perm_b32 v4, v33, v4, s26
	;; [unrolled: 8-line block ×4, first 2 shown]
.LBB98_65:                              ;   in Loop: Header=BB98_48 Depth=1
	s_or_b64 exec, exec, s[14:15]
	s_waitcnt vmcnt(0)
	;;#ASMSTART
	v_pk_mul_f16 v2, v67, v2;

	;;#ASMEND
	;;#ASMSTART
	v_pk_mul_f16 v3, v66, v3;

	;;#ASMEND
	;;#ASMSTART
	v_pk_mul_f16 v4, v65, v4;

	;;#ASMEND
	;;#ASMSTART
	v_pk_mul_f16 v5, v64, v5;

	;;#ASMEND
	v_mov_b32_e32 v35, v19
	;;#ASMSTART
	v_pk_add_f16 v2, v2, v3;

	;;#ASMEND
	s_nop 0
	;;#ASMSTART
	v_pk_add_f16 v2, v2, v4;

	;;#ASMEND
	s_nop 0
	;; [unrolled: 5-line block ×3, first 2 shown]
	v_lshrrev_b32_e32 v3, 16, v2
	v_and_b32_e32 v2, 0xffff, v2
	;;#ASMSTART
	v_cvt_f32_f16 v33, v2;
	;;#ASMEND
	;;#ASMSTART
	v_cvt_f32_f16 v83, v3;
	;;#ASMEND
	v_lshl_add_u64 v[2:3], v[50:51], 0, v[34:35]
	global_load_dwordx4 v[2:5], v[2:3], off
	s_and_saveexec_b64 s[14:15], vcc
	s_cbranch_execz .LBB98_67
; %bb.66:                               ;   in Loop: Header=BB98_48 Depth=1
	s_waitcnt vmcnt(0)
	v_lshrrev_b32_e32 v35, 16, v5
	v_cmp_gt_i32_e64 s[0:1], s39, v72
	s_nop 1
	v_cndmask_b32_e64 v35, 0, v35, s[0:1]
	v_cmp_gt_i32_e64 s[0:1], s38, v71
	s_nop 1
	v_cndmask_b32_e64 v5, 0, v5, s[0:1]
	v_perm_b32 v5, v35, v5, s26
	v_lshrrev_b32_e32 v35, 16, v4
	v_cmp_gt_i32_e64 s[0:1], s37, v69
	s_nop 1
	v_cndmask_b32_e64 v35, 0, v35, s[0:1]
	v_cmp_gt_i32_e64 s[0:1], s36, v68
	s_nop 1
	v_cndmask_b32_e64 v4, 0, v4, s[0:1]
	v_perm_b32 v4, v35, v4, s26
	v_lshrrev_b32_e32 v35, 16, v3
	v_cmp_gt_i32_e64 s[0:1], s35, v63
	s_nop 1
	v_cndmask_b32_e64 v35, 0, v35, s[0:1]
	v_cmp_gt_i32_e64 s[0:1], s31, v62
	s_nop 1
	v_cndmask_b32_e64 v3, 0, v3, s[0:1]
	v_perm_b32 v3, v35, v3, s26
	v_lshrrev_b32_e32 v35, 16, v2
	v_cmp_gt_i32_e64 s[0:1], s30, v61
	s_nop 1
	v_cndmask_b32_e64 v35, 0, v35, s[0:1]
	v_cmp_gt_i32_e64 s[0:1], s21, v27
	s_nop 1
	v_cndmask_b32_e64 v2, 0, v2, s[0:1]
	v_perm_b32 v2, v35, v2, s26
.LBB98_67:                              ;   in Loop: Header=BB98_48 Depth=1
	s_or_b64 exec, exec, s[14:15]
	s_waitcnt vmcnt(0)
	;;#ASMSTART
	v_pk_mul_f16 v2, v67, v2;

	;;#ASMEND
	;;#ASMSTART
	v_pk_mul_f16 v3, v66, v3;

	;;#ASMEND
	;; [unrolled: 4-line block ×4, first 2 shown]
	v_mov_b32_e32 v37, v19
	;;#ASMSTART
	v_pk_add_f16 v2, v2, v3;

	;;#ASMEND
	s_nop 0
	;;#ASMSTART
	v_pk_add_f16 v2, v2, v4;

	;;#ASMEND
	s_nop 0
	;; [unrolled: 5-line block ×3, first 2 shown]
	v_lshrrev_b32_e32 v3, 16, v2
	v_and_b32_e32 v2, 0xffff, v2
	;;#ASMSTART
	v_cvt_f32_f16 v35, v2;
	;;#ASMEND
	;;#ASMSTART
	v_cvt_f32_f16 v84, v3;
	;;#ASMEND
	v_lshl_add_u64 v[2:3], v[50:51], 0, v[36:37]
	global_load_dwordx4 v[2:5], v[2:3], off
	s_and_saveexec_b64 s[14:15], vcc
	s_cbranch_execz .LBB98_69
; %bb.68:                               ;   in Loop: Header=BB98_48 Depth=1
	s_waitcnt vmcnt(0)
	v_lshrrev_b32_e32 v37, 16, v5
	v_cmp_gt_i32_e64 s[0:1], s39, v72
	s_nop 1
	v_cndmask_b32_e64 v37, 0, v37, s[0:1]
	v_cmp_gt_i32_e64 s[0:1], s38, v71
	s_nop 1
	v_cndmask_b32_e64 v5, 0, v5, s[0:1]
	v_perm_b32 v5, v37, v5, s26
	v_lshrrev_b32_e32 v37, 16, v4
	v_cmp_gt_i32_e64 s[0:1], s37, v69
	s_nop 1
	v_cndmask_b32_e64 v37, 0, v37, s[0:1]
	v_cmp_gt_i32_e64 s[0:1], s36, v68
	s_nop 1
	v_cndmask_b32_e64 v4, 0, v4, s[0:1]
	v_perm_b32 v4, v37, v4, s26
	v_lshrrev_b32_e32 v37, 16, v3
	v_cmp_gt_i32_e64 s[0:1], s35, v63
	s_nop 1
	v_cndmask_b32_e64 v37, 0, v37, s[0:1]
	v_cmp_gt_i32_e64 s[0:1], s31, v62
	s_nop 1
	v_cndmask_b32_e64 v3, 0, v3, s[0:1]
	v_perm_b32 v3, v37, v3, s26
	v_lshrrev_b32_e32 v37, 16, v2
	v_cmp_gt_i32_e64 s[0:1], s30, v61
	s_nop 1
	v_cndmask_b32_e64 v37, 0, v37, s[0:1]
	v_cmp_gt_i32_e64 s[0:1], s21, v27
	s_nop 1
	v_cndmask_b32_e64 v2, 0, v2, s[0:1]
	v_perm_b32 v2, v37, v2, s26
.LBB98_69:                              ;   in Loop: Header=BB98_48 Depth=1
	s_or_b64 exec, exec, s[14:15]
	s_waitcnt vmcnt(0)
	;;#ASMSTART
	v_pk_mul_f16 v2, v67, v2;

	;;#ASMEND
	;;#ASMSTART
	v_pk_mul_f16 v3, v66, v3;

	;;#ASMEND
	;; [unrolled: 4-line block ×4, first 2 shown]
	v_mov_b32_e32 v39, v19
	;;#ASMSTART
	v_pk_add_f16 v2, v2, v3;

	;;#ASMEND
	s_nop 0
	;;#ASMSTART
	v_pk_add_f16 v2, v2, v4;

	;;#ASMEND
	s_nop 0
	;; [unrolled: 5-line block ×3, first 2 shown]
	v_lshrrev_b32_e32 v3, 16, v2
	v_and_b32_e32 v2, 0xffff, v2
	;;#ASMSTART
	v_cvt_f32_f16 v37, v2;
	;;#ASMEND
	;;#ASMSTART
	v_cvt_f32_f16 v85, v3;
	;;#ASMEND
	v_lshl_add_u64 v[2:3], v[50:51], 0, v[38:39]
	global_load_dwordx4 v[2:5], v[2:3], off
	s_and_saveexec_b64 s[14:15], vcc
	s_cbranch_execz .LBB98_71
; %bb.70:                               ;   in Loop: Header=BB98_48 Depth=1
	s_waitcnt vmcnt(0)
	v_lshrrev_b32_e32 v39, 16, v5
	v_cmp_gt_i32_e64 s[0:1], s39, v72
	s_nop 1
	v_cndmask_b32_e64 v39, 0, v39, s[0:1]
	v_cmp_gt_i32_e64 s[0:1], s38, v71
	s_nop 1
	v_cndmask_b32_e64 v5, 0, v5, s[0:1]
	v_perm_b32 v5, v39, v5, s26
	v_lshrrev_b32_e32 v39, 16, v4
	v_cmp_gt_i32_e64 s[0:1], s37, v69
	s_nop 1
	v_cndmask_b32_e64 v39, 0, v39, s[0:1]
	v_cmp_gt_i32_e64 s[0:1], s36, v68
	s_nop 1
	v_cndmask_b32_e64 v4, 0, v4, s[0:1]
	v_perm_b32 v4, v39, v4, s26
	;; [unrolled: 8-line block ×4, first 2 shown]
.LBB98_71:                              ;   in Loop: Header=BB98_48 Depth=1
	s_or_b64 exec, exec, s[14:15]
	s_waitcnt vmcnt(0)
	;;#ASMSTART
	v_pk_mul_f16 v2, v67, v2;

	;;#ASMEND
	;;#ASMSTART
	v_pk_mul_f16 v3, v66, v3;

	;;#ASMEND
	;;#ASMSTART
	v_pk_mul_f16 v4, v65, v4;

	;;#ASMEND
	;;#ASMSTART
	v_pk_mul_f16 v5, v64, v5;

	;;#ASMEND
	v_mov_b32_e32 v41, v19
	;;#ASMSTART
	v_pk_add_f16 v2, v2, v3;

	;;#ASMEND
	s_nop 0
	;;#ASMSTART
	v_pk_add_f16 v2, v2, v4;

	;;#ASMEND
	s_nop 0
	;;#ASMSTART
	v_pk_add_f16 v2, v2, v5;

	;;#ASMEND
	s_nop 0
	v_lshrrev_b32_e32 v3, 16, v2
	v_and_b32_e32 v2, 0xffff, v2
	;;#ASMSTART
	v_cvt_f32_f16 v39, v2;
	;;#ASMEND
	;;#ASMSTART
	v_cvt_f32_f16 v86, v3;
	;;#ASMEND
	v_lshl_add_u64 v[2:3], v[50:51], 0, v[40:41]
	global_load_dwordx4 v[2:5], v[2:3], off
	s_and_saveexec_b64 s[14:15], vcc
	s_cbranch_execz .LBB98_73
; %bb.72:                               ;   in Loop: Header=BB98_48 Depth=1
	s_waitcnt vmcnt(0)
	v_lshrrev_b32_e32 v41, 16, v5
	v_cmp_gt_i32_e64 s[0:1], s39, v72
	s_nop 1
	v_cndmask_b32_e64 v41, 0, v41, s[0:1]
	v_cmp_gt_i32_e64 s[0:1], s38, v71
	s_nop 1
	v_cndmask_b32_e64 v5, 0, v5, s[0:1]
	v_perm_b32 v5, v41, v5, s26
	v_lshrrev_b32_e32 v41, 16, v4
	v_cmp_gt_i32_e64 s[0:1], s37, v69
	s_nop 1
	v_cndmask_b32_e64 v41, 0, v41, s[0:1]
	v_cmp_gt_i32_e64 s[0:1], s36, v68
	s_nop 1
	v_cndmask_b32_e64 v4, 0, v4, s[0:1]
	v_perm_b32 v4, v41, v4, s26
	;; [unrolled: 8-line block ×4, first 2 shown]
.LBB98_73:                              ;   in Loop: Header=BB98_48 Depth=1
	s_or_b64 exec, exec, s[14:15]
	s_waitcnt vmcnt(0)
	;;#ASMSTART
	v_pk_mul_f16 v2, v67, v2;

	;;#ASMEND
	;;#ASMSTART
	v_pk_mul_f16 v3, v66, v3;

	;;#ASMEND
	;; [unrolled: 4-line block ×4, first 2 shown]
	v_mov_b32_e32 v43, v19
	;;#ASMSTART
	v_pk_add_f16 v2, v2, v3;

	;;#ASMEND
	s_nop 0
	;;#ASMSTART
	v_pk_add_f16 v2, v2, v4;

	;;#ASMEND
	s_nop 0
	;; [unrolled: 5-line block ×3, first 2 shown]
	v_lshrrev_b32_e32 v3, 16, v2
	v_and_b32_e32 v2, 0xffff, v2
	;;#ASMSTART
	v_cvt_f32_f16 v41, v2;
	;;#ASMEND
	;;#ASMSTART
	v_cvt_f32_f16 v87, v3;
	;;#ASMEND
	v_lshl_add_u64 v[2:3], v[50:51], 0, v[42:43]
	global_load_dwordx4 v[2:5], v[2:3], off
	s_and_saveexec_b64 s[14:15], vcc
	s_cbranch_execz .LBB98_75
; %bb.74:                               ;   in Loop: Header=BB98_48 Depth=1
	s_waitcnt vmcnt(0)
	v_lshrrev_b32_e32 v43, 16, v5
	v_cmp_gt_i32_e64 s[0:1], s39, v72
	s_nop 1
	v_cndmask_b32_e64 v43, 0, v43, s[0:1]
	v_cmp_gt_i32_e64 s[0:1], s38, v71
	s_nop 1
	v_cndmask_b32_e64 v5, 0, v5, s[0:1]
	v_perm_b32 v5, v43, v5, s26
	v_lshrrev_b32_e32 v43, 16, v4
	v_cmp_gt_i32_e64 s[0:1], s37, v69
	s_nop 1
	v_cndmask_b32_e64 v43, 0, v43, s[0:1]
	v_cmp_gt_i32_e64 s[0:1], s36, v68
	s_nop 1
	v_cndmask_b32_e64 v4, 0, v4, s[0:1]
	v_perm_b32 v4, v43, v4, s26
	;; [unrolled: 8-line block ×4, first 2 shown]
.LBB98_75:                              ;   in Loop: Header=BB98_48 Depth=1
	s_or_b64 exec, exec, s[14:15]
	s_waitcnt vmcnt(0)
	;;#ASMSTART
	v_pk_mul_f16 v2, v67, v2;

	;;#ASMEND
	;;#ASMSTART
	v_pk_mul_f16 v3, v66, v3;

	;;#ASMEND
	;; [unrolled: 4-line block ×4, first 2 shown]
	v_mov_b32_e32 v45, v19
	;;#ASMSTART
	v_pk_add_f16 v2, v2, v3;

	;;#ASMEND
	s_nop 0
	;;#ASMSTART
	v_pk_add_f16 v2, v2, v4;

	;;#ASMEND
	s_nop 0
	;; [unrolled: 5-line block ×3, first 2 shown]
	v_lshrrev_b32_e32 v3, 16, v2
	v_and_b32_e32 v2, 0xffff, v2
	;;#ASMSTART
	v_cvt_f32_f16 v43, v2;
	;;#ASMEND
	;;#ASMSTART
	v_cvt_f32_f16 v88, v3;
	;;#ASMEND
	v_lshl_add_u64 v[2:3], v[50:51], 0, v[44:45]
	global_load_dwordx4 v[2:5], v[2:3], off
	s_and_saveexec_b64 s[14:15], vcc
	s_cbranch_execz .LBB98_77
; %bb.76:                               ;   in Loop: Header=BB98_48 Depth=1
	s_waitcnt vmcnt(0)
	v_lshrrev_b32_e32 v45, 16, v5
	v_cmp_gt_i32_e64 s[0:1], s39, v72
	s_nop 1
	v_cndmask_b32_e64 v45, 0, v45, s[0:1]
	v_cmp_gt_i32_e64 s[0:1], s38, v71
	s_nop 1
	v_cndmask_b32_e64 v5, 0, v5, s[0:1]
	v_perm_b32 v5, v45, v5, s26
	v_lshrrev_b32_e32 v45, 16, v4
	v_cmp_gt_i32_e64 s[0:1], s37, v69
	s_nop 1
	v_cndmask_b32_e64 v45, 0, v45, s[0:1]
	v_cmp_gt_i32_e64 s[0:1], s36, v68
	s_nop 1
	v_cndmask_b32_e64 v4, 0, v4, s[0:1]
	v_perm_b32 v4, v45, v4, s26
	;; [unrolled: 8-line block ×4, first 2 shown]
.LBB98_77:                              ;   in Loop: Header=BB98_48 Depth=1
	s_or_b64 exec, exec, s[14:15]
	s_waitcnt vmcnt(0)
	;;#ASMSTART
	v_pk_mul_f16 v2, v67, v2;

	;;#ASMEND
	;;#ASMSTART
	v_pk_mul_f16 v3, v66, v3;

	;;#ASMEND
	;; [unrolled: 4-line block ×4, first 2 shown]
	v_mov_b32_e32 v47, v19
	;;#ASMSTART
	v_pk_add_f16 v2, v2, v3;

	;;#ASMEND
	s_nop 0
	;;#ASMSTART
	v_pk_add_f16 v2, v2, v4;

	;;#ASMEND
	s_nop 0
	;; [unrolled: 5-line block ×3, first 2 shown]
	v_lshrrev_b32_e32 v3, 16, v2
	v_and_b32_e32 v2, 0xffff, v2
	;;#ASMSTART
	v_cvt_f32_f16 v45, v2;
	;;#ASMEND
	;;#ASMSTART
	v_cvt_f32_f16 v89, v3;
	;;#ASMEND
	v_lshl_add_u64 v[2:3], v[50:51], 0, v[46:47]
	global_load_dwordx4 v[2:5], v[2:3], off
	s_and_saveexec_b64 s[14:15], vcc
	s_cbranch_execz .LBB98_79
; %bb.78:                               ;   in Loop: Header=BB98_48 Depth=1
	s_waitcnt vmcnt(0)
	v_lshrrev_b32_e32 v47, 16, v5
	v_cmp_gt_i32_e64 s[0:1], s39, v72
	s_nop 1
	v_cndmask_b32_e64 v47, 0, v47, s[0:1]
	v_cmp_gt_i32_e64 s[0:1], s38, v71
	s_nop 1
	v_cndmask_b32_e64 v5, 0, v5, s[0:1]
	v_perm_b32 v5, v47, v5, s26
	v_lshrrev_b32_e32 v47, 16, v4
	v_cmp_gt_i32_e64 s[0:1], s37, v69
	s_nop 1
	v_cndmask_b32_e64 v47, 0, v47, s[0:1]
	v_cmp_gt_i32_e64 s[0:1], s36, v68
	s_nop 1
	v_cndmask_b32_e64 v4, 0, v4, s[0:1]
	v_perm_b32 v4, v47, v4, s26
	;; [unrolled: 8-line block ×4, first 2 shown]
.LBB98_79:                              ;   in Loop: Header=BB98_48 Depth=1
	s_or_b64 exec, exec, s[14:15]
	s_waitcnt vmcnt(0)
	;;#ASMSTART
	v_pk_mul_f16 v2, v67, v2;

	;;#ASMEND
	;;#ASMSTART
	v_pk_mul_f16 v3, v66, v3;

	;;#ASMEND
	;;#ASMSTART
	v_pk_mul_f16 v4, v65, v4;

	;;#ASMEND
	;;#ASMSTART
	v_pk_mul_f16 v5, v64, v5;

	;;#ASMEND
	v_mov_b32_e32 v49, v19
	;;#ASMSTART
	v_pk_add_f16 v2, v2, v3;

	;;#ASMEND
	s_nop 0
	;;#ASMSTART
	v_pk_add_f16 v2, v2, v4;

	;;#ASMEND
	s_nop 0
	;; [unrolled: 5-line block ×3, first 2 shown]
	v_lshrrev_b32_e32 v3, 16, v2
	v_and_b32_e32 v2, 0xffff, v2
	;;#ASMSTART
	v_cvt_f32_f16 v47, v2;
	;;#ASMEND
	;;#ASMSTART
	v_cvt_f32_f16 v90, v3;
	;;#ASMEND
	v_lshl_add_u64 v[2:3], v[50:51], 0, v[48:49]
	global_load_dwordx4 v[2:5], v[2:3], off
	s_and_saveexec_b64 s[0:1], vcc
	s_cbranch_execz .LBB98_46
; %bb.80:                               ;   in Loop: Header=BB98_48 Depth=1
	s_waitcnt vmcnt(0)
	v_lshrrev_b32_e32 v49, 16, v5
	v_cmp_gt_i32_e32 vcc, s39, v72
	s_nop 1
	v_cndmask_b32_e32 v49, 0, v49, vcc
	v_cmp_gt_i32_e32 vcc, s38, v71
	s_nop 1
	v_cndmask_b32_e32 v5, 0, v5, vcc
	v_perm_b32 v5, v49, v5, s26
	v_lshrrev_b32_e32 v49, 16, v4
	v_cmp_gt_i32_e32 vcc, s37, v69
	s_nop 1
	v_cndmask_b32_e32 v49, 0, v49, vcc
	v_cmp_gt_i32_e32 vcc, s36, v68
	s_nop 1
	v_cndmask_b32_e32 v4, 0, v4, vcc
	v_perm_b32 v4, v49, v4, s26
	v_lshrrev_b32_e32 v49, 16, v3
	v_cmp_gt_i32_e32 vcc, s35, v63
	s_nop 1
	v_cndmask_b32_e32 v49, 0, v49, vcc
	v_cmp_gt_i32_e32 vcc, s31, v62
	s_nop 1
	v_cndmask_b32_e32 v3, 0, v3, vcc
	v_perm_b32 v3, v49, v3, s26
	v_lshrrev_b32_e32 v49, 16, v2
	v_cmp_gt_i32_e32 vcc, s30, v61
	s_nop 1
	v_cndmask_b32_e32 v49, 0, v49, vcc
	v_cmp_gt_i32_e32 vcc, s21, v27
	s_nop 1
	v_cndmask_b32_e32 v2, 0, v2, vcc
	v_perm_b32 v2, v49, v2, s26
	s_branch .LBB98_46
.LBB98_81:
	s_or_b64 exec, exec, s[10:11]
.LBB98_82:
	s_or_b64 exec, exec, s[6:7]
	ds_bpermute_b32 v4, v55, v20
	ds_bpermute_b32 v5, v55, v21
	;; [unrolled: 1-line block ×6, first 2 shown]
	s_waitcnt lgkmcnt(4)
	v_pk_add_f32 v[4:5], v[20:21], v[4:5]
	ds_bpermute_b32 v20, v56, v4
	ds_bpermute_b32 v21, v56, v5
	s_waitcnt lgkmcnt(4)
	v_pk_add_f32 v[2:3], v[22:23], v[2:3]
	ds_bpermute_b32 v22, v55, v16
	ds_bpermute_b32 v23, v55, v17
	;; [unrolled: 1-line block ×4, first 2 shown]
	s_waitcnt lgkmcnt(4)
	v_pk_add_f32 v[4:5], v[4:5], v[20:21]
	ds_bpermute_b32 v20, v55, v12
	ds_bpermute_b32 v21, v55, v13
	s_waitcnt lgkmcnt(4)
	v_pk_add_f32 v[16:17], v[16:17], v[22:23]
	ds_bpermute_b32 v22, v55, v14
	ds_bpermute_b32 v23, v55, v15
	;; [unrolled: 4-line block ×6, first 2 shown]
	s_waitcnt lgkmcnt(4)
	v_pk_add_f32 v[10:11], v[10:11], v[20:21]
	v_pk_add_f32 v[8:9], v[8:9], v[24:25]
	ds_bpermute_b32 v22, v56, v12
	ds_bpermute_b32 v23, v56, v13
	;; [unrolled: 1-line block ×6, first 2 shown]
	s_waitcnt lgkmcnt(8)
	v_pk_add_f32 v[6:7], v[6:7], v[26:27]
	s_waitcnt lgkmcnt(6)
	v_pk_add_f32 v[14:15], v[14:15], v[18:19]
	ds_bpermute_b32 v18, v56, v6
	ds_bpermute_b32 v19, v56, v7
	v_and_b32_e32 v1, 0x3c3, v0
	s_waitcnt lgkmcnt(6)
	v_pk_add_f32 v[12:13], v[12:13], v[22:23]
	s_waitcnt lgkmcnt(4)
	v_pk_add_f32 v[10:11], v[10:11], v[20:21]
	;; [unrolled: 2-line block ×3, first 2 shown]
	v_cmp_ne_u32_e32 vcc, 64, v1
	s_waitcnt lgkmcnt(0)
	s_barrier
	s_and_saveexec_b64 s[0:1], vcc
	s_xor_b64 s[0:1], exec, s[0:1]
; %bb.83:
                                        ; implicit-def: $vgpr54
; %bb.84:
	s_or_saveexec_b64 s[0:1], s[0:1]
	v_pk_add_f32 v[6:7], v[6:7], v[18:19]
	s_xor_b64 exec, exec, s[0:1]
	s_cbranch_execz .LBB98_86
; %bb.85:
	v_add_u32_e32 v18, 0x210, v54
	ds_write2_b32 v18, v2, v3 offset1:16
	ds_write2_b32 v18, v4, v5 offset0:32 offset1:48
	ds_write2_b32 v18, v16, v17 offset0:64 offset1:80
	;; [unrolled: 1-line block ×7, first 2 shown]
.LBB98_86:
	s_or_b64 exec, exec, s[0:1]
	s_waitcnt lgkmcnt(0)
	s_barrier
	s_and_saveexec_b64 s[0:1], s[8:9]
	s_cbranch_execz .LBB98_105
; %bb.87:
	v_cmp_eq_u32_e32 vcc, 0, v57
	v_lshrrev_b32_e32 v18, 2, v0
	s_and_saveexec_b64 s[2:3], vcc
	s_cbranch_execnz .LBB98_108
; %bb.88:
	s_or_b64 exec, exec, s[2:3]
	s_and_saveexec_b64 s[2:3], vcc
	s_cbranch_execnz .LBB98_109
.LBB98_89:
	s_or_b64 exec, exec, s[2:3]
	s_and_saveexec_b64 s[2:3], vcc
	s_cbranch_execnz .LBB98_110
.LBB98_90:
	s_or_b64 exec, exec, s[2:3]
	s_and_saveexec_b64 s[2:3], vcc
	s_cbranch_execnz .LBB98_111
.LBB98_91:
	s_or_b64 exec, exec, s[2:3]
	s_and_saveexec_b64 s[2:3], vcc
	s_cbranch_execnz .LBB98_112
.LBB98_92:
	s_or_b64 exec, exec, s[2:3]
	s_and_saveexec_b64 s[2:3], vcc
	s_cbranch_execnz .LBB98_113
.LBB98_93:
	s_or_b64 exec, exec, s[2:3]
	s_and_saveexec_b64 s[2:3], vcc
	s_cbranch_execnz .LBB98_114
.LBB98_94:
	s_or_b64 exec, exec, s[2:3]
	s_and_saveexec_b64 s[2:3], vcc
	s_cbranch_execnz .LBB98_115
.LBB98_95:
	s_or_b64 exec, exec, s[2:3]
	s_and_saveexec_b64 s[2:3], vcc
	s_cbranch_execnz .LBB98_116
.LBB98_96:
	s_or_b64 exec, exec, s[2:3]
	s_and_saveexec_b64 s[2:3], vcc
	s_cbranch_execnz .LBB98_117
.LBB98_97:
	s_or_b64 exec, exec, s[2:3]
	s_and_saveexec_b64 s[2:3], vcc
	s_cbranch_execnz .LBB98_118
.LBB98_98:
	s_or_b64 exec, exec, s[2:3]
	s_and_saveexec_b64 s[2:3], vcc
	s_cbranch_execnz .LBB98_119
.LBB98_99:
	s_or_b64 exec, exec, s[2:3]
	s_and_saveexec_b64 s[2:3], vcc
	s_cbranch_execnz .LBB98_120
.LBB98_100:
	s_or_b64 exec, exec, s[2:3]
	s_and_saveexec_b64 s[2:3], vcc
	s_cbranch_execnz .LBB98_121
.LBB98_101:
	s_or_b64 exec, exec, s[2:3]
	s_and_saveexec_b64 s[2:3], vcc
	s_cbranch_execnz .LBB98_122
.LBB98_102:
	s_or_b64 exec, exec, s[2:3]
	s_and_saveexec_b64 s[2:3], vcc
	s_cbranch_execz .LBB98_104
.LBB98_103:
	v_mov_b32_e32 v19, 0x210
	v_lshl_add_u32 v18, v18, 2, v19
	ds_read_b32 v18, v18 offset:960
	s_waitcnt lgkmcnt(0)
	v_add_f32_e32 v7, v7, v18
.LBB98_104:
	s_or_b64 exec, exec, s[2:3]
.LBB98_105:
	s_or_b64 exec, exec, s[0:1]
	v_cmp_eq_u32_e32 vcc, 0, v1
	s_barrier
	s_and_saveexec_b64 s[0:1], vcc
	s_cbranch_execz .LBB98_107
; %bb.106:
	s_mul_i32 s0, s20, s16
	s_mul_i32 s0, s0, s5
	s_lshl_b32 s0, s0, 8
	s_ashr_i32 s1, s0, 31
	s_lshl_b64 s[0:1], s[0:1], 1
	s_add_u32 s2, s24, s0
	s_mul_i32 s0, s16, s22
	s_addc_u32 s3, s25, s1
	s_ashr_i32 s1, s0, 31
	s_lshl_b64 s[0:1], s[0:1], 1
	s_add_u32 s2, s2, s0
	s_addc_u32 s3, s3, s1
	s_lshl_b32 s0, s4, 8
	s_ashr_i32 s1, s0, 31
	s_lshl_b64 s[0:1], s[0:1], 1
	s_add_u32 s0, s2, s0
	s_addc_u32 s1, s3, s1
	v_lshrrev_b32_e32 v0, 1, v0
	;;#ASMSTART
	v_cvt_f16_f32 v1, v2;

	;;#ASMEND
	global_store_short v0, v1, s[0:1]
	;;#ASMSTART
	v_cvt_f16_f32 v1, v3;

	;;#ASMEND
	global_store_short v0, v1, s[0:1] offset:32
	;;#ASMSTART
	v_cvt_f16_f32 v1, v4;

	;;#ASMEND
	global_store_short v0, v1, s[0:1] offset:64
	;; [unrolled: 5-line block ×15, first 2 shown]
.LBB98_107:
	s_endpgm
.LBB98_108:
	v_mov_b32_e32 v19, 0x210
	v_lshl_add_u32 v19, v18, 2, v19
	ds_read_b32 v19, v19
	s_waitcnt lgkmcnt(0)
	v_add_f32_e32 v2, v2, v19
	s_or_b64 exec, exec, s[2:3]
	s_and_saveexec_b64 s[2:3], vcc
	s_cbranch_execz .LBB98_89
.LBB98_109:
	v_mov_b32_e32 v19, 0x210
	v_lshl_add_u32 v19, v18, 2, v19
	ds_read_b32 v19, v19 offset:64
	s_waitcnt lgkmcnt(0)
	v_add_f32_e32 v3, v3, v19
	s_or_b64 exec, exec, s[2:3]
	s_and_saveexec_b64 s[2:3], vcc
	s_cbranch_execz .LBB98_90
.LBB98_110:
	v_mov_b32_e32 v19, 0x210
	v_lshl_add_u32 v19, v18, 2, v19
	ds_read_b32 v19, v19 offset:128
	s_waitcnt lgkmcnt(0)
	v_add_f32_e32 v4, v4, v19
	s_or_b64 exec, exec, s[2:3]
	s_and_saveexec_b64 s[2:3], vcc
	s_cbranch_execz .LBB98_91
.LBB98_111:
	v_mov_b32_e32 v19, 0x210
	v_lshl_add_u32 v19, v18, 2, v19
	ds_read_b32 v19, v19 offset:192
	s_waitcnt lgkmcnt(0)
	v_add_f32_e32 v5, v5, v19
	s_or_b64 exec, exec, s[2:3]
	s_and_saveexec_b64 s[2:3], vcc
	s_cbranch_execz .LBB98_92
.LBB98_112:
	v_mov_b32_e32 v19, 0x210
	v_lshl_add_u32 v19, v18, 2, v19
	ds_read_b32 v19, v19 offset:256
	s_waitcnt lgkmcnt(0)
	v_add_f32_e32 v16, v16, v19
	s_or_b64 exec, exec, s[2:3]
	s_and_saveexec_b64 s[2:3], vcc
	s_cbranch_execz .LBB98_93
.LBB98_113:
	v_mov_b32_e32 v19, 0x210
	v_lshl_add_u32 v19, v18, 2, v19
	ds_read_b32 v19, v19 offset:320
	s_waitcnt lgkmcnt(0)
	v_add_f32_e32 v17, v17, v19
	s_or_b64 exec, exec, s[2:3]
	s_and_saveexec_b64 s[2:3], vcc
	s_cbranch_execz .LBB98_94
.LBB98_114:
	v_mov_b32_e32 v19, 0x210
	v_lshl_add_u32 v19, v18, 2, v19
	ds_read_b32 v19, v19 offset:384
	s_waitcnt lgkmcnt(0)
	v_add_f32_e32 v14, v14, v19
	s_or_b64 exec, exec, s[2:3]
	s_and_saveexec_b64 s[2:3], vcc
	s_cbranch_execz .LBB98_95
.LBB98_115:
	v_mov_b32_e32 v19, 0x210
	v_lshl_add_u32 v19, v18, 2, v19
	ds_read_b32 v19, v19 offset:448
	s_waitcnt lgkmcnt(0)
	v_add_f32_e32 v15, v15, v19
	s_or_b64 exec, exec, s[2:3]
	s_and_saveexec_b64 s[2:3], vcc
	s_cbranch_execz .LBB98_96
.LBB98_116:
	v_mov_b32_e32 v19, 0x210
	v_lshl_add_u32 v19, v18, 2, v19
	ds_read_b32 v19, v19 offset:512
	s_waitcnt lgkmcnt(0)
	v_add_f32_e32 v12, v12, v19
	s_or_b64 exec, exec, s[2:3]
	s_and_saveexec_b64 s[2:3], vcc
	s_cbranch_execz .LBB98_97
.LBB98_117:
	v_mov_b32_e32 v19, 0x210
	v_lshl_add_u32 v19, v18, 2, v19
	ds_read_b32 v19, v19 offset:576
	s_waitcnt lgkmcnt(0)
	v_add_f32_e32 v13, v13, v19
	s_or_b64 exec, exec, s[2:3]
	s_and_saveexec_b64 s[2:3], vcc
	s_cbranch_execz .LBB98_98
.LBB98_118:
	v_mov_b32_e32 v19, 0x210
	v_lshl_add_u32 v19, v18, 2, v19
	ds_read_b32 v19, v19 offset:640
	s_waitcnt lgkmcnt(0)
	v_add_f32_e32 v10, v10, v19
	s_or_b64 exec, exec, s[2:3]
	s_and_saveexec_b64 s[2:3], vcc
	s_cbranch_execz .LBB98_99
.LBB98_119:
	v_mov_b32_e32 v19, 0x210
	v_lshl_add_u32 v19, v18, 2, v19
	ds_read_b32 v19, v19 offset:704
	s_waitcnt lgkmcnt(0)
	v_add_f32_e32 v11, v11, v19
	s_or_b64 exec, exec, s[2:3]
	s_and_saveexec_b64 s[2:3], vcc
	s_cbranch_execz .LBB98_100
.LBB98_120:
	v_mov_b32_e32 v19, 0x210
	v_lshl_add_u32 v19, v18, 2, v19
	ds_read_b32 v19, v19 offset:768
	s_waitcnt lgkmcnt(0)
	v_add_f32_e32 v8, v8, v19
	s_or_b64 exec, exec, s[2:3]
	s_and_saveexec_b64 s[2:3], vcc
	s_cbranch_execz .LBB98_101
.LBB98_121:
	v_mov_b32_e32 v19, 0x210
	v_lshl_add_u32 v19, v18, 2, v19
	ds_read_b32 v19, v19 offset:832
	s_waitcnt lgkmcnt(0)
	v_add_f32_e32 v9, v9, v19
	s_or_b64 exec, exec, s[2:3]
	s_and_saveexec_b64 s[2:3], vcc
	s_cbranch_execz .LBB98_102
.LBB98_122:
	v_mov_b32_e32 v19, 0x210
	v_lshl_add_u32 v19, v18, 2, v19
	ds_read_b32 v19, v19 offset:896
	s_waitcnt lgkmcnt(0)
	v_add_f32_e32 v6, v6, v19
	s_or_b64 exec, exec, s[2:3]
	s_and_saveexec_b64 s[2:3], vcc
	s_cbranch_execnz .LBB98_103
	s_branch .LBB98_104
	.section	.rodata,"a",@progbits
	.p2align	6, 0x0
	.amdhsa_kernel _ZN4vllm25paged_attention_v1_kernelIttLi256ELi32ELi128ELNS_18Fp8KVCacheDataTypeE0ELb1EEEvPT_PKS2_PKT0_S8_ifPKiSA_iPKfiiiSC_SC_iiiii
		.amdhsa_group_segment_fixed_size 528
		.amdhsa_private_segment_fixed_size 0
		.amdhsa_kernarg_size 384
		.amdhsa_user_sgpr_count 2
		.amdhsa_user_sgpr_dispatch_ptr 0
		.amdhsa_user_sgpr_queue_ptr 0
		.amdhsa_user_sgpr_kernarg_segment_ptr 1
		.amdhsa_user_sgpr_dispatch_id 0
		.amdhsa_user_sgpr_kernarg_preload_length 0
		.amdhsa_user_sgpr_kernarg_preload_offset 0
		.amdhsa_user_sgpr_private_segment_size 0
		.amdhsa_uses_dynamic_stack 0
		.amdhsa_enable_private_segment 0
		.amdhsa_system_sgpr_workgroup_id_x 1
		.amdhsa_system_sgpr_workgroup_id_y 1
		.amdhsa_system_sgpr_workgroup_id_z 1
		.amdhsa_system_sgpr_workgroup_info 0
		.amdhsa_system_vgpr_workitem_id 0
		.amdhsa_next_free_vgpr 112
		.amdhsa_next_free_sgpr 52
		.amdhsa_accum_offset 112
		.amdhsa_reserve_vcc 1
		.amdhsa_float_round_mode_32 0
		.amdhsa_float_round_mode_16_64 0
		.amdhsa_float_denorm_mode_32 3
		.amdhsa_float_denorm_mode_16_64 3
		.amdhsa_dx10_clamp 1
		.amdhsa_ieee_mode 1
		.amdhsa_fp16_overflow 0
		.amdhsa_tg_split 0
		.amdhsa_exception_fp_ieee_invalid_op 0
		.amdhsa_exception_fp_denorm_src 0
		.amdhsa_exception_fp_ieee_div_zero 0
		.amdhsa_exception_fp_ieee_overflow 0
		.amdhsa_exception_fp_ieee_underflow 0
		.amdhsa_exception_fp_ieee_inexact 0
		.amdhsa_exception_int_div_zero 0
	.end_amdhsa_kernel
	.section	.text._ZN4vllm25paged_attention_v1_kernelIttLi256ELi32ELi128ELNS_18Fp8KVCacheDataTypeE0ELb1EEEvPT_PKS2_PKT0_S8_ifPKiSA_iPKfiiiSC_SC_iiiii,"axG",@progbits,_ZN4vllm25paged_attention_v1_kernelIttLi256ELi32ELi128ELNS_18Fp8KVCacheDataTypeE0ELb1EEEvPT_PKS2_PKT0_S8_ifPKiSA_iPKfiiiSC_SC_iiiii,comdat
.Lfunc_end98:
	.size	_ZN4vllm25paged_attention_v1_kernelIttLi256ELi32ELi128ELNS_18Fp8KVCacheDataTypeE0ELb1EEEvPT_PKS2_PKT0_S8_ifPKiSA_iPKfiiiSC_SC_iiiii, .Lfunc_end98-_ZN4vllm25paged_attention_v1_kernelIttLi256ELi32ELi128ELNS_18Fp8KVCacheDataTypeE0ELb1EEEvPT_PKS2_PKT0_S8_ifPKiSA_iPKfiiiSC_SC_iiiii
                                        ; -- End function
	.section	.AMDGPU.csdata,"",@progbits
; Kernel info:
; codeLenInByte = 15888
; NumSgprs: 58
; NumVgprs: 112
; NumAgprs: 0
; TotalNumVgprs: 112
; ScratchSize: 0
; MemoryBound: 0
; FloatMode: 240
; IeeeMode: 1
; LDSByteSize: 528 bytes/workgroup (compile time only)
; SGPRBlocks: 7
; VGPRBlocks: 13
; NumSGPRsForWavesPerEU: 58
; NumVGPRsForWavesPerEU: 112
; AccumOffset: 112
; Occupancy: 4
; WaveLimiterHint : 1
; COMPUTE_PGM_RSRC2:SCRATCH_EN: 0
; COMPUTE_PGM_RSRC2:USER_SGPR: 2
; COMPUTE_PGM_RSRC2:TRAP_HANDLER: 0
; COMPUTE_PGM_RSRC2:TGID_X_EN: 1
; COMPUTE_PGM_RSRC2:TGID_Y_EN: 1
; COMPUTE_PGM_RSRC2:TGID_Z_EN: 1
; COMPUTE_PGM_RSRC2:TIDIG_COMP_CNT: 0
; COMPUTE_PGM_RSRC3_GFX90A:ACCUM_OFFSET: 27
; COMPUTE_PGM_RSRC3_GFX90A:TG_SPLIT: 0
	.section	.text._ZN4vllm25paged_attention_v1_kernelIttLi32ELi32ELi128ELNS_18Fp8KVCacheDataTypeE0ELb0EEEvPT_PKS2_PKT0_S8_ifPKiSA_iPKfiiiSC_SC_iiiii,"axG",@progbits,_ZN4vllm25paged_attention_v1_kernelIttLi32ELi32ELi128ELNS_18Fp8KVCacheDataTypeE0ELb0EEEvPT_PKS2_PKT0_S8_ifPKiSA_iPKfiiiSC_SC_iiiii,comdat
	.protected	_ZN4vllm25paged_attention_v1_kernelIttLi32ELi32ELi128ELNS_18Fp8KVCacheDataTypeE0ELb0EEEvPT_PKS2_PKT0_S8_ifPKiSA_iPKfiiiSC_SC_iiiii ; -- Begin function _ZN4vllm25paged_attention_v1_kernelIttLi32ELi32ELi128ELNS_18Fp8KVCacheDataTypeE0ELb0EEEvPT_PKS2_PKT0_S8_ifPKiSA_iPKfiiiSC_SC_iiiii
	.globl	_ZN4vllm25paged_attention_v1_kernelIttLi32ELi32ELi128ELNS_18Fp8KVCacheDataTypeE0ELb0EEEvPT_PKS2_PKT0_S8_ifPKiSA_iPKfiiiSC_SC_iiiii
	.p2align	8
	.type	_ZN4vllm25paged_attention_v1_kernelIttLi32ELi32ELi128ELNS_18Fp8KVCacheDataTypeE0ELb0EEEvPT_PKS2_PKT0_S8_ifPKiSA_iPKfiiiSC_SC_iiiii,@function
_ZN4vllm25paged_attention_v1_kernelIttLi32ELi32ELi128ELNS_18Fp8KVCacheDataTypeE0ELb0EEEvPT_PKS2_PKT0_S8_ifPKiSA_iPKfiiiSC_SC_iiiii: ; @_ZN4vllm25paged_attention_v1_kernelIttLi32ELi32ELi128ELNS_18Fp8KVCacheDataTypeE0ELb0EEEvPT_PKS2_PKT0_S8_ifPKiSA_iPKfiiiSC_SC_iiiii
; %bb.0:
	s_load_dword s5, s[0:1], 0x80
	s_load_dwordx2 s[6:7], s[0:1], 0x30
	s_load_dwordx2 s[8:9], s[0:1], 0x20
	s_mov_b32 s10, s3
	s_ashr_i32 s11, s3, 31
	s_lshl_b64 s[12:13], s[10:11], 2
	s_waitcnt lgkmcnt(0)
	s_add_u32 s6, s6, s12
	s_addc_u32 s7, s7, s13
	s_abs_i32 s3, s8
	v_cvt_f32_u32_e32 v1, s3
	s_sub_i32 s12, 0, s3
	s_abs_i32 s11, s5
	s_xor_b32 s8, s5, s8
	v_rcp_iflag_f32_e32 v1, v1
	s_ashr_i32 s8, s8, 31
	v_mul_f32_e32 v1, 0x4f7ffffe, v1
	v_cvt_u32_f32_e32 v1, v1
	s_nop 0
	v_readfirstlane_b32 s13, v1
	s_mul_i32 s12, s12, s13
	s_mul_hi_u32 s12, s13, s12
	s_add_i32 s13, s13, s12
	s_mul_hi_u32 s12, s11, s13
	s_mul_i32 s13, s12, s3
	s_sub_i32 s11, s11, s13
	s_add_i32 s13, s12, 1
	s_sub_i32 s14, s11, s3
	s_cmp_ge_u32 s11, s3
	s_cselect_b32 s12, s13, s12
	s_cselect_b32 s11, s14, s11
	s_add_i32 s13, s12, 1
	s_cmp_ge_u32 s11, s3
	s_cselect_b32 s3, s13, s12
	s_xor_b32 s3, s3, s8
	s_sub_i32 s14, s3, s8
	s_abs_i32 s11, s14
	v_cvt_f32_u32_e32 v1, s11
	s_load_dwordx2 s[12:13], s[0:1], 0x40
	s_sub_i32 s3, 0, s11
	s_abs_i32 s18, s2
	v_rcp_iflag_f32_e32 v1, v1
	s_mov_b32 s8, 0
	v_mul_f32_e32 v1, 0x4f7ffffe, v1
	v_cvt_u32_f32_e32 v1, v1
	s_nop 0
	v_readfirstlane_b32 s15, v1
	s_mul_i32 s3, s3, s15
	s_mul_hi_u32 s3, s15, s3
	s_add_i32 s15, s15, s3
	s_waitcnt lgkmcnt(0)
	s_cmp_eq_u64 s[12:13], 0
	s_mul_hi_u32 s19, s18, s15
	s_cbranch_scc1 .LBB99_2
; %bb.1:
	s_ashr_i32 s3, s2, 31
	s_lshl_b64 s[16:17], s[2:3], 2
	s_add_u32 s12, s12, s16
	s_addc_u32 s13, s13, s17
	s_load_dword s8, s[12:13], 0x0
.LBB99_2:
	s_load_dword s33, s[6:7], 0x0
	s_ashr_i32 s7, s14, 31
	s_load_dwordx4 s[12:15], s[0:1], 0x48
	s_ashr_i32 s6, s2, 31
	v_and_b32_e32 v4, 1, v0
	s_lshl_b32 s16, s2, 5
	v_cmp_gt_u32_e32 vcc, 8, v0
	v_lshlrev_b32_e32 v8, 3, v0
	s_and_saveexec_b64 s[2:3], vcc
	s_cbranch_execz .LBB99_4
; %bb.3:
	s_load_dwordx2 s[20:21], s[0:1], 0x8
	s_waitcnt lgkmcnt(0)
	s_mul_i32 s22, s10, s12
	s_ashr_i32 s23, s22, 31
	s_lshl_b64 s[22:23], s[22:23], 1
	v_lshlrev_b32_e32 v1, 2, v0
	s_add_u32 s12, s20, s22
	s_addc_u32 s15, s21, s23
	s_ashr_i32 s17, s16, 31
	s_lshl_b64 s[20:21], s[16:17], 1
	s_add_u32 s20, s12, s20
	s_addc_u32 s21, s15, s21
	global_load_dwordx2 v[2:3], v8, s[20:21]
	v_and_b32_e32 v1, 0xff8, v1
	v_lshl_add_u32 v1, v4, 5, v1
	s_waitcnt vmcnt(0)
	ds_write_b64 v1, v[2:3]
.LBB99_4:
	s_or_b64 exec, exec, s[2:3]
	s_waitcnt lgkmcnt(0)
	s_add_i32 s3, s33, 31
	s_ashr_i32 s12, s3, 31
	s_lshr_b32 s12, s12, 27
	s_add_i32 s3, s3, s12
	s_ashr_i32 s12, s3, 5
	s_xor_b32 s3, s6, s7
	s_mul_i32 s6, s19, s11
	s_sub_i32 s6, s18, s6
	s_add_i32 s7, s19, 1
	s_sub_i32 s15, s6, s11
	s_load_dwordx2 s[20:21], s[0:1], 0x28
	s_load_dword s2, s[0:1], 0x38
	s_cmp_ge_u32 s6, s11
	s_cselect_b32 s7, s7, s19
	s_cselect_b32 s6, s15, s6
	s_add_i32 s15, s7, 1
	s_cmp_ge_u32 s6, s11
	s_cselect_b32 s6, s15, s7
	v_lshrrev_b32_e32 v1, 6, v0
	s_xor_b32 s6, s6, s3
	s_waitcnt lgkmcnt(0)
	s_mul_i32 s22, s10, s2
	s_sub_i32 s15, s6, s3
	s_ashr_i32 s23, s22, 31
	v_cmp_gt_i32_e64 s[6:7], s12, v1
	v_cmp_le_i32_e32 vcc, s12, v1
	v_mbcnt_lo_u32_b32 v6, -1, 0
	s_barrier
	s_waitcnt lgkmcnt(0)
                                        ; implicit-def: $sgpr17
                                        ; implicit-def: $vgpr9
                                        ; implicit-def: $vgpr11
	s_and_saveexec_b64 s[2:3], vcc
	s_xor_b64 s[2:3], exec, s[2:3]
; %bb.5:
	v_mbcnt_hi_u32_b32 v9, -1, v6
	v_and_b32_e32 v2, 64, v9
	v_add_u32_e32 v11, 64, v2
	s_mov_b32 s17, 0xff7fffff
                                        ; implicit-def: $vgpr4
                                        ; implicit-def: $vgpr6
; %bb.6:
	s_or_saveexec_b64 s[26:27], s[2:3]
	s_load_dwordx2 s[18:19], s[0:1], 0x0
	s_load_dwordx2 s[24:25], s[0:1], 0x18
	s_load_dword s11, s[0:1], 0x88
	v_mov_b32_e32 v12, s17
	s_mul_i32 s14, s15, s14
	v_lshrrev_b32_e32 v10, 4, v0
	s_xor_b64 exec, exec, s[26:27]
	s_cbranch_execz .LBB99_12
; %bb.7:
	s_load_dwordx2 s[0:1], s[0:1], 0x10
	s_ashr_i32 s15, s14, 31
	s_lshl_b64 s[2:3], s[14:15], 1
	v_bfe_u32 v5, v0, 1, 5
	v_lshlrev_b32_e32 v16, 4, v5
	s_waitcnt lgkmcnt(0)
	s_add_u32 s0, s0, s2
	s_addc_u32 s1, s1, s3
	v_mov_b32_e32 v17, 0
	v_lshl_add_u64 v[2:3], s[0:1], 0, v[16:17]
	s_sub_i32 s15, 1, s33
	s_lshl_b64 s[0:1], s[22:23], 2
	v_and_b32_e32 v16, 8, v8
	v_lshlrev_b32_e32 v13, 5, v4
	v_cmp_eq_u32_e32 vcc, 0, v4
	v_lshlrev_b32_e32 v4, 2, v5
	s_add_u32 s0, s20, s0
	v_mbcnt_hi_u32_b32 v9, -1, v6
	v_lshl_add_u64 v[2:3], v[2:3], 0, v[16:17]
	v_lshl_or_b32 v4, v1, 7, v4
	v_and_b32_e32 v16, 60, v10
	s_addc_u32 s1, s21, s1
	v_and_b32_e32 v6, 64, v9
	s_mov_b32 s17, s13
	v_cmp_neq_f32_e64 s[2:3], s8, 0
	v_lshl_or_b32 v14, v1, 5, v5
	v_add_u32_e32 v15, 0x50, v4
	v_lshl_add_u64 v[4:5], s[0:1], 0, v[16:17]
	s_mov_b64 s[28:29], 0
	v_mov_b32_e32 v12, 0xff7fffff
	v_xor_b32_e32 v16, 1, v9
	v_add_u32_e32 v11, 64, v6
	v_mov_b32_e32 v17, v1
	s_branch .LBB99_9
.LBB99_8:                               ;   in Loop: Header=BB99_9 Depth=1
	s_or_b64 exec, exec, s[30:31]
	v_add_u32_e32 v17, 2, v17
	v_cmp_le_i32_e64 s[0:1], s12, v17
	v_add_u32_e32 v14, 64, v14
	v_add_u32_e32 v15, 0x100, v15
	s_or_b64 s[28:29], s[0:1], s[28:29]
	v_lshl_add_u64 v[4:5], v[4:5], 0, 8
	s_andn2_b64 exec, exec, s[28:29]
	s_cbranch_execz .LBB99_11
.LBB99_9:                               ; =>This Inner Loop Header: Depth=1
	global_load_dword v6, v[4:5], off
	s_waitcnt vmcnt(0) lgkmcnt(0)
	v_mad_i64_i32 v[6:7], s[0:1], v6, s17, 0
	v_lshl_add_u64 v[18:19], v[6:7], 1, v[2:3]
	global_load_dwordx2 v[20:21], v[18:19], off
	global_load_dwordx2 v[22:23], v[18:19], off offset:512
	global_load_dwordx2 v[24:25], v[18:19], off offset:1024
	;; [unrolled: 1-line block ×3, first 2 shown]
	ds_read_b64 v[18:19], v13
	v_cmp_lt_i32_e64 s[0:1], v16, v11
	s_waitcnt lgkmcnt(0)
	v_lshrrev_b32_e32 v27, 16, v18
	v_and_b32_e32 v18, 0xffff, v18
	v_lshrrev_b32_e32 v28, 16, v19
	v_and_b32_e32 v19, 0xffff, v19
	;;#ASMSTART
	v_cvt_f32_f16 v29, v18;
	;;#ASMEND
	;;#ASMSTART
	v_cvt_f32_f16 v27, v27;
	;;#ASMEND
	v_cndmask_b32_e64 v26, v9, v16, s[0:1]
	s_waitcnt vmcnt(3)
	v_lshrrev_b32_e32 v18, 16, v20
	v_and_b32_e32 v20, 0xffff, v20
	v_lshrrev_b32_e32 v30, 16, v21
	v_and_b32_e32 v21, 0xffff, v21
	;;#ASMSTART
	v_cvt_f32_f16 v20, v20;
	;;#ASMEND
	;;#ASMSTART
	v_cvt_f32_f16 v35, v18;
	;;#ASMEND
	;; [unrolled: 3-line block ×6, first 2 shown]
	ds_read_b64 v[18:19], v13 offset:8
	s_waitcnt vmcnt(2)
	v_lshrrev_b32_e32 v31, 16, v22
	v_and_b32_e32 v22, 0xffff, v22
	v_lshrrev_b32_e32 v32, 16, v23
	v_and_b32_e32 v23, 0xffff, v23
	s_waitcnt vmcnt(0)
	v_lshrrev_b32_e32 v37, 16, v6
	v_and_b32_e32 v38, 0xffff, v6
	v_lshrrev_b32_e32 v39, 16, v7
	v_and_b32_e32 v40, 0xffff, v7
	s_waitcnt lgkmcnt(0)
	v_lshrrev_b32_e32 v6, 16, v18
	v_and_b32_e32 v7, 0xffff, v18
	v_lshrrev_b32_e32 v18, 16, v19
	v_and_b32_e32 v19, 0xffff, v19
	;;#ASMSTART
	v_cvt_f32_f16 v41, v7;
	;;#ASMEND
	;;#ASMSTART
	v_cvt_f32_f16 v42, v6;
	;;#ASMEND
	;; [unrolled: 3-line block ×8, first 2 shown]
	ds_read_b64 v[6:7], v13 offset:16
	v_mul_f32_e32 v22, v41, v22
	v_mul_f32_e32 v19, v19, v23
	v_lshrrev_b32_e32 v33, 16, v24
	v_and_b32_e32 v24, 0xffff, v24
	v_lshrrev_b32_e32 v34, 16, v25
	v_and_b32_e32 v25, 0xffff, v25
	v_mul_f32_e32 v31, v42, v31
	v_mul_f32_e32 v18, v18, v32
	v_fmac_f32_e32 v22, v29, v20
	v_fmac_f32_e32 v19, v36, v21
	s_waitcnt lgkmcnt(0)
	v_lshrrev_b32_e32 v20, 16, v6
	v_and_b32_e32 v6, 0xffff, v6
	v_lshrrev_b32_e32 v21, 16, v7
	v_and_b32_e32 v7, 0xffff, v7
	v_fmac_f32_e32 v31, v27, v35
	v_fmac_f32_e32 v18, v28, v30
	;;#ASMSTART
	v_cvt_f32_f16 v23, v6;
	;;#ASMEND
	;;#ASMSTART
	v_cvt_f32_f16 v20, v20;
	;;#ASMEND
	;; [unrolled: 3-line block ×8, first 2 shown]
	ds_read_b64 v[6:7], v13 offset:24
	v_fmac_f32_e32 v22, v23, v24
	v_fmac_f32_e32 v31, v20, v27
	;; [unrolled: 1-line block ×4, first 2 shown]
	s_waitcnt lgkmcnt(0)
	v_lshrrev_b32_e32 v20, 16, v6
	v_and_b32_e32 v6, 0xffff, v6
	v_lshrrev_b32_e32 v21, 16, v7
	v_and_b32_e32 v7, 0xffff, v7
	;;#ASMSTART
	v_cvt_f32_f16 v6, v6;
	;;#ASMEND
	;;#ASMSTART
	v_cvt_f32_f16 v20, v20;
	;;#ASMEND
	;; [unrolled: 3-line block ×8, first 2 shown]
	s_nop 0
	v_fmac_f32_e32 v22, v6, v23
	v_fmac_f32_e32 v31, v20, v24
	;; [unrolled: 1-line block ×3, first 2 shown]
	v_add_f32_e32 v6, v22, v31
	v_fmac_f32_e32 v18, v21, v27
	v_add_f32_e32 v6, v6, v19
	v_add_f32_e32 v6, v18, v6
	v_lshlrev_b32_e32 v7, 2, v26
	ds_bpermute_b32 v7, v7, v6
	s_and_saveexec_b64 s[30:31], vcc
	s_cbranch_execz .LBB99_8
; %bb.10:                               ;   in Loop: Header=BB99_9 Depth=1
	v_add_u32_e32 v18, s15, v14
	v_cvt_f32_i32_e32 v18, v18
	s_waitcnt lgkmcnt(0)
	v_add_f32_e32 v6, v6, v7
	v_cmp_gt_i32_e64 s[0:1], s33, v14
	v_max_f32_e32 v7, v12, v12
	v_mul_f32_e32 v18, s8, v18
	v_cndmask_b32_e64 v18, 0, v18, s[2:3]
	v_fmac_f32_e32 v18, s9, v6
	v_cndmask_b32_e64 v6, 0, v18, s[0:1]
	ds_write_b32 v15, v6
	v_max_f32_e32 v6, v7, v18
	v_cndmask_b32_e64 v12, v12, v6, s[0:1]
	s_branch .LBB99_8
.LBB99_11:
	s_or_b64 exec, exec, s[28:29]
.LBB99_12:
	s_or_b64 exec, exec, s[26:27]
	v_xor_b32_e32 v2, 32, v9
	v_cmp_lt_i32_e32 vcc, v2, v11
	v_xor_b32_e32 v5, 16, v9
	v_max_f32_e32 v4, v12, v12
	v_cndmask_b32_e32 v2, v9, v2, vcc
	v_lshlrev_b32_e32 v2, 2, v2
	ds_bpermute_b32 v3, v2, v12
	v_cmp_lt_i32_e32 vcc, v5, v11
	v_xor_b32_e32 v6, 8, v9
	s_waitcnt lgkmcnt(0)
	v_xor_b32_e32 v7, 4, v9
	v_xor_b32_e32 v12, 2, v9
	v_max_f32_e32 v3, v3, v3
	v_max_f32_e32 v4, v4, v3
	v_cndmask_b32_e32 v3, v9, v5, vcc
	v_lshlrev_b32_e32 v3, 2, v3
	ds_bpermute_b32 v5, v3, v4
	v_cmp_lt_i32_e32 vcc, v6, v11
	v_and_b32_e32 v14, 63, v0
	s_waitcnt lgkmcnt(0)
	v_max_f32_e32 v5, v5, v5
	v_max_f32_e32 v5, v4, v5
	v_cndmask_b32_e32 v4, v9, v6, vcc
	v_lshlrev_b32_e32 v4, 2, v4
	ds_bpermute_b32 v6, v4, v5
	v_cmp_lt_i32_e32 vcc, v7, v11
	s_waitcnt lgkmcnt(0)
	v_max_f32_e32 v6, v6, v6
	v_max_f32_e32 v6, v5, v6
	v_cndmask_b32_e32 v5, v9, v7, vcc
	v_lshlrev_b32_e32 v5, 2, v5
	ds_bpermute_b32 v7, v5, v6
	v_cmp_lt_i32_e32 vcc, v12, v11
	s_waitcnt lgkmcnt(0)
	v_max_f32_e32 v7, v7, v7
	v_max_f32_e32 v7, v6, v7
	v_cndmask_b32_e32 v6, v9, v12, vcc
	v_lshlrev_b32_e32 v15, 2, v6
	ds_bpermute_b32 v12, v15, v7
	v_cmp_eq_u32_e32 vcc, 0, v14
	v_lshlrev_b32_e32 v6, 2, v1
	s_and_saveexec_b64 s[0:1], vcc
	s_cbranch_execz .LBB99_14
; %bb.13:
	s_waitcnt lgkmcnt(0)
	v_max_f32_e32 v12, v12, v12
	v_max_f32_e32 v7, v7, v7
	;; [unrolled: 1-line block ×3, first 2 shown]
	ds_write_b32 v6, v7 offset:64
.LBB99_14:
	s_or_b64 exec, exec, s[0:1]
	v_cmp_gt_u32_e64 s[0:1], 2, v14
	s_waitcnt lgkmcnt(0)
	v_mov_b32_e32 v12, 0xff7fffff
	v_lshlrev_b32_e32 v7, 2, v14
	s_barrier
	s_and_saveexec_b64 s[2:3], s[0:1]
	s_cbranch_execz .LBB99_16
; %bb.15:
	ds_read_b32 v12, v7 offset:64
.LBB99_16:
	s_or_b64 exec, exec, s[2:3]
	v_xor_b32_e32 v13, 1, v9
	v_cmp_lt_i32_e64 s[2:3], v13, v11
	s_nop 1
	v_cndmask_b32_e64 v11, v9, v13, s[2:3]
	v_lshlrev_b32_e32 v16, 2, v11
	s_waitcnt lgkmcnt(0)
	ds_bpermute_b32 v11, v16, v12
	v_max_f32_e32 v12, v12, v12
	v_lshlrev_b32_e32 v9, 2, v9
	v_and_b32_e32 v9, 0xffffff00, v9
	s_lshl_b32 s2, s12, 5
	s_waitcnt lgkmcnt(0)
	v_max_f32_e32 v11, v11, v11
	v_max_f32_e32 v11, v12, v11
	ds_bpermute_b32 v12, v9, v11
	s_min_i32 s15, s2, s33
	v_cmp_gt_i32_e64 s[2:3], s15, v0
	v_mov_b32_e32 v11, 0
	s_and_saveexec_b64 s[26:27], s[2:3]
	s_cbranch_execz .LBB99_20
; %bb.17:
	v_mov_b32_e32 v11, 0x50
	v_lshl_add_u32 v13, v0, 2, v11
	s_mov_b64 s[28:29], 0
	v_mov_b32_e32 v11, 0
	v_mov_b32_e32 v17, v0
.LBB99_18:                              ; =>This Inner Loop Header: Depth=1
	ds_read_b32 v18, v13
	v_add_u32_e32 v17, 0x80, v17
	v_cmp_le_i32_e64 s[8:9], s15, v17
	s_or_b64 s[28:29], s[8:9], s[28:29]
	s_waitcnt lgkmcnt(0)
	v_sub_f32_e32 v18, v18, v12
	v_mul_f32_e32 v18, 0x3fb8aa3b, v18
	v_exp_f32_e32 v18, v18
	ds_write_b32 v13, v18
	v_add_f32_e32 v11, v11, v18
	v_add_u32_e32 v13, 0x200, v13
	s_andn2_b64 exec, exec, s[28:29]
	s_cbranch_execnz .LBB99_18
; %bb.19:
	s_or_b64 exec, exec, s[28:29]
.LBB99_20:
	s_or_b64 exec, exec, s[26:27]
	ds_bpermute_b32 v2, v2, v11
	s_waitcnt lgkmcnt(0)
	v_add_f32_e32 v2, v11, v2
	ds_bpermute_b32 v3, v3, v2
	s_waitcnt lgkmcnt(0)
	v_add_f32_e32 v2, v2, v3
	;; [unrolled: 3-line block ×6, first 2 shown]
	s_and_saveexec_b64 s[8:9], vcc
	s_cbranch_execz .LBB99_22
; %bb.21:
	ds_write_b32 v6, v2 offset:72
.LBB99_22:
	s_or_b64 exec, exec, s[8:9]
	s_waitcnt lgkmcnt(0)
	s_barrier
	s_and_saveexec_b64 s[8:9], s[0:1]
	s_cbranch_execz .LBB99_24
; %bb.23:
	ds_read_b32 v2, v7 offset:72
.LBB99_24:
	s_or_b64 exec, exec, s[8:9]
	s_waitcnt lgkmcnt(0)
	ds_bpermute_b32 v3, v16, v2
	s_waitcnt lgkmcnt(0)
	v_add_f32_e32 v2, v2, v3
	ds_bpermute_b32 v2, v9, v2
	s_and_saveexec_b64 s[0:1], s[2:3]
	s_cbranch_execz .LBB99_37
; %bb.25:
	s_waitcnt lgkmcnt(0)
	v_add_f32_e32 v2, 0x358637bd, v2
	v_div_scale_f32 v3, s[2:3], v2, v2, 1.0
	v_rcp_f32_e32 v4, v3
	v_div_scale_f32 v5, vcc, 1.0, v2, 1.0
	s_movk_i32 s2, 0x7f
	v_fma_f32 v6, -v3, v4, 1.0
	v_fmac_f32_e32 v4, v6, v4
	v_mul_f32_e32 v6, v5, v4
	v_fma_f32 v7, -v3, v6, v5
	v_fmac_f32_e32 v6, v7, v4
	v_fma_f32 v3, -v3, v6, v5
	v_div_fmas_f32 v3, v3, v4, v6
	v_xad_u32 v4, v0, -1, s15
	v_div_fixup_f32 v2, v3, v2, 1.0
	v_cmp_lt_u32_e32 vcc, s2, v4
	s_mov_b64 s[8:9], -1
	v_mov_b32_e32 v3, v0
	s_and_saveexec_b64 s[2:3], vcc
	s_cbranch_execz .LBB99_34
; %bb.26:
	v_lshrrev_b32_e32 v4, 7, v4
	v_add_u32_e32 v6, -1, v4
	v_lshrrev_b32_e32 v5, 1, v6
	v_mov_b32_e32 v3, v2
	v_add_u32_e32 v5, 1, v5
	v_cmp_lt_u32_e32 vcc, 13, v6
	v_mov_b32_e32 v9, 0
	s_and_saveexec_b64 s[8:9], vcc
	s_cbranch_execz .LBB99_30
; %bb.27:
	v_mov_b32_e32 v7, 0x50
	v_and_b32_e32 v6, -8, v5
	v_lshl_add_u32 v7, v0, 2, v7
	s_mov_b32 s17, 0
	s_mov_b64 s[26:27], 0
.LBB99_28:                              ; =>This Inner Loop Header: Depth=1
	ds_read2st64_b32 v[12:13], v7 offset1:2
	ds_read2st64_b32 v[18:19], v7 offset0:4 offset1:6
	ds_read2st64_b32 v[20:21], v7 offset0:8 offset1:10
	;; [unrolled: 1-line block ×3, first 2 shown]
	v_add_u32_e32 v6, -8, v6
	s_waitcnt lgkmcnt(3)
	v_pk_mul_f32 v[12:13], v[2:3], v[12:13]
	s_waitcnt lgkmcnt(2)
	v_pk_mul_f32 v[18:19], v[2:3], v[18:19]
	ds_write2st64_b32 v7, v12, v13 offset1:2
	ds_write2st64_b32 v7, v18, v19 offset0:4 offset1:6
	ds_read2st64_b32 v[18:19], v7 offset0:16 offset1:18
	s_waitcnt lgkmcnt(4)
	v_pk_mul_f32 v[12:13], v[2:3], v[20:21]
	ds_write2st64_b32 v7, v12, v13 offset0:8 offset1:10
	s_waitcnt lgkmcnt(4)
	v_pk_mul_f32 v[12:13], v[2:3], v[22:23]
	ds_write2st64_b32 v7, v12, v13 offset0:12 offset1:14
	ds_read2st64_b32 v[12:13], v7 offset0:20 offset1:22
	s_waitcnt lgkmcnt(3)
	v_pk_mul_f32 v[18:19], v[2:3], v[18:19]
	ds_read2st64_b32 v[20:21], v7 offset0:24 offset1:26
	ds_write2st64_b32 v7, v18, v19 offset0:16 offset1:18
	ds_read2st64_b32 v[18:19], v7 offset0:28 offset1:30
	s_waitcnt lgkmcnt(3)
	v_pk_mul_f32 v[12:13], v[2:3], v[12:13]
	ds_write2st64_b32 v7, v12, v13 offset0:20 offset1:22
	s_waitcnt lgkmcnt(3)
	v_pk_mul_f32 v[12:13], v[2:3], v[20:21]
	ds_write2st64_b32 v7, v12, v13 offset0:24 offset1:26
	s_waitcnt lgkmcnt(2)
	v_pk_mul_f32 v[12:13], v[2:3], v[18:19]
	s_add_i32 s17, s17, 16
	v_cmp_eq_u32_e32 vcc, 0, v6
	ds_write2st64_b32 v7, v12, v13 offset0:28 offset1:30
	v_add_u32_e32 v7, 0x2000, v7
	s_or_b64 s[26:27], vcc, s[26:27]
	v_mov_b32_e32 v9, s17
	s_andn2_b64 exec, exec, s[26:27]
	s_cbranch_execnz .LBB99_28
; %bb.29:
	s_or_b64 exec, exec, s[26:27]
.LBB99_30:
	s_or_b64 exec, exec, s[8:9]
	v_and_b32_e32 v5, 7, v5
	v_cmp_ne_u32_e32 vcc, 0, v5
	s_and_saveexec_b64 s[8:9], vcc
	s_cbranch_execz .LBB99_33
; %bb.31:
	v_lshlrev_b32_e32 v6, 9, v9
	v_lshlrev_b32_e32 v7, 2, v0
	s_movk_i32 s17, 0x50
	v_add3_u32 v6, v6, v7, s17
	s_mov_b64 s[26:27], 0
.LBB99_32:                              ; =>This Inner Loop Header: Depth=1
	ds_read2st64_b32 v[12:13], v6 offset1:2
	v_add_u32_e32 v5, -1, v5
	v_cmp_eq_u32_e32 vcc, 0, v5
	s_or_b64 s[26:27], vcc, s[26:27]
	s_waitcnt lgkmcnt(0)
	v_pk_mul_f32 v[12:13], v[2:3], v[12:13]
	ds_write2st64_b32 v6, v12, v13 offset1:2
	v_add_u32_e32 v6, 0x400, v6
	s_andn2_b64 exec, exec, s[26:27]
	s_cbranch_execnz .LBB99_32
.LBB99_33:
	s_or_b64 exec, exec, s[8:9]
	v_add_u32_e32 v4, 1, v4
	v_and_b32_e32 v5, 0x3fffffe, v4
	v_cmp_ne_u32_e32 vcc, v4, v5
	v_lshl_add_u32 v3, v5, 7, v0
	s_orn2_b64 s[8:9], vcc, exec
.LBB99_34:
	s_or_b64 exec, exec, s[2:3]
	s_and_b64 exec, exec, s[8:9]
	s_cbranch_execz .LBB99_37
; %bb.35:
	v_mov_b32_e32 v4, 0x50
	v_lshl_add_u32 v4, v3, 2, v4
	s_mov_b64 s[2:3], 0
.LBB99_36:                              ; =>This Inner Loop Header: Depth=1
	ds_read_b32 v5, v4
	v_add_u32_e32 v3, 0x80, v3
	v_cmp_le_i32_e32 vcc, s15, v3
	s_or_b64 s[2:3], vcc, s[2:3]
	s_waitcnt lgkmcnt(0)
	v_mul_f32_e32 v5, v2, v5
	ds_write_b32 v4, v5
	v_add_u32_e32 v4, 0x200, v4
	s_andn2_b64 exec, exec, s[2:3]
	s_cbranch_execnz .LBB99_36
.LBB99_37:
	s_or_b64 exec, exec, s[0:1]
	v_mov_b32_e32 v7, 0
	v_and_b32_e32 v17, 3, v0
	v_mov_b32_e32 v6, 0
	s_waitcnt lgkmcnt(0)
	s_barrier
	s_and_saveexec_b64 s[2:3], s[6:7]
	s_cbranch_execz .LBB99_45
; %bb.38:
	s_ashr_i32 s15, s14, 31
	s_lshl_b64 s[0:1], s[14:15], 1
	s_add_u32 s0, s24, s0
	v_lshlrev_b32_e32 v3, 4, v0
	s_addc_u32 s1, s25, s1
	v_and_b32_e32 v6, 0x3f0, v3
	v_mov_b32_e32 v7, 0
	v_and_b32_e32 v2, 24, v8
	s_add_i32 s14, s12, -1
	v_lshl_add_u64 v[8:9], s[0:1], 0, v[6:7]
	s_lshl_b64 s[0:1], s[22:23], 2
	v_lshl_or_b32 v18, v1, 5, v2
	v_lshlrev_b32_e32 v2, 5, v17
	s_add_u32 s0, s20, s0
	v_lshl_or_b32 v2, v1, 7, v2
	v_and_b32_e32 v6, 60, v10
	s_addc_u32 s1, s21, s1
	s_mov_b32 s15, s33
	s_mov_b32 s17, s33
	;; [unrolled: 1-line block ×7, first 2 shown]
	v_add_u32_e32 v19, 0x50, v2
	v_lshl_add_u64 v[10:11], s[0:1], 0, v[6:7]
	s_mov_b64 s[6:7], 0
	s_mov_b32 s20, 0x5040100
	v_mov_b32_e32 v6, v7
	s_branch .LBB99_40
.LBB99_39:                              ;   in Loop: Header=BB99_40 Depth=1
	s_or_b64 exec, exec, s[0:1]
	s_waitcnt vmcnt(0)
	;;#ASMSTART
	v_pk_mul_f16 v2, v30, v2;

	;;#ASMEND
	;;#ASMSTART
	v_pk_mul_f16 v3, v29, v3;

	;;#ASMEND
	;; [unrolled: 4-line block ×4, first 2 shown]
	v_add_u32_e32 v1, 2, v1
	;;#ASMSTART
	v_pk_add_f16 v2, v2, v3;

	;;#ASMEND
	v_add_f32_e32 v12, v31, v32
	;;#ASMSTART
	v_pk_add_f16 v2, v2, v4;

	;;#ASMEND
	v_cmp_le_i32_e32 vcc, s12, v1
	;;#ASMSTART
	v_pk_add_f16 v2, v2, v5;

	;;#ASMEND
	v_add_f32_e32 v6, v6, v12
	v_lshrrev_b32_e32 v3, 16, v2
	v_and_b32_e32 v2, 0xffff, v2
	;;#ASMSTART
	v_cvt_f32_f16 v2, v2;
	;;#ASMEND
	;;#ASMSTART
	v_cvt_f32_f16 v3, v3;
	;;#ASMEND
	v_add_u32_e32 v18, 64, v18
	v_add_f32_e32 v2, v2, v3
	v_add_f32_e32 v7, v7, v2
	v_add_u32_e32 v19, 0x100, v19
	s_or_b64 s[6:7], vcc, s[6:7]
	v_lshl_add_u64 v[10:11], v[10:11], 0, 8
	s_andn2_b64 exec, exec, s[6:7]
	s_cbranch_execz .LBB99_44
.LBB99_40:                              ; =>This Inner Loop Header: Depth=1
	global_load_dword v12, v[10:11], off
	ds_read2_b64 v[2:5], v19 offset1:1
	ds_read2_b64 v[20:23], v19 offset0:2 offset1:3
	v_cmp_eq_u32_e32 vcc, s14, v1
	v_or_b32_e32 v24, 5, v18
	s_waitcnt lgkmcnt(1)
	;;#ASMSTART
	v_cvt_f16_f32 v27, v2;

	;;#ASMEND
	;;#ASMSTART
	v_cvt_f16_f32 v28, v3;

	;;#ASMEND
	;; [unrolled: 4-line block ×4, first 2 shown]
	s_waitcnt lgkmcnt(0)
	;;#ASMSTART
	v_cvt_f16_f32 v32, v20;

	;;#ASMEND
	;;#ASMSTART
	v_cvt_f16_f32 v33, v21;

	;;#ASMEND
	;;#ASMSTART
	v_cvt_f16_f32 v34, v22;

	;;#ASMEND
	;;#ASMSTART
	v_cvt_f16_f32 v35, v23;

	;;#ASMEND
	v_add_u32_e32 v20, 1, v18
	v_or_b32_e32 v22, 3, v18
	v_or_b32_e32 v21, 2, v18
	;; [unrolled: 1-line block ×5, first 2 shown]
	s_waitcnt vmcnt(0)
	v_mad_i64_i32 v[2:3], s[0:1], v12, s13, 0
	v_lshl_add_u64 v[12:13], v[2:3], 1, v[8:9]
	global_load_dwordx4 v[2:5], v[12:13], off
	s_and_saveexec_b64 s[8:9], vcc
	s_cbranch_execz .LBB99_42
; %bb.41:                               ;   in Loop: Header=BB99_40 Depth=1
	s_waitcnt vmcnt(0)
	v_lshrrev_b32_e32 v30, 16, v5
	v_cmp_gt_i32_e64 s[0:1], s28, v26
	s_nop 1
	v_cndmask_b32_e64 v30, 0, v30, s[0:1]
	v_cmp_gt_i32_e64 s[0:1], s27, v25
	s_nop 1
	v_cndmask_b32_e64 v5, 0, v5, s[0:1]
	v_perm_b32 v5, v30, v5, s20
	v_lshrrev_b32_e32 v30, 16, v4
	v_cmp_gt_i32_e64 s[0:1], s26, v24
	s_nop 1
	v_cndmask_b32_e64 v30, 0, v30, s[0:1]
	v_cmp_gt_i32_e64 s[0:1], s25, v23
	s_nop 1
	v_cndmask_b32_e64 v4, 0, v4, s[0:1]
	v_perm_b32 v4, v30, v4, s20
	;; [unrolled: 8-line block ×4, first 2 shown]
.LBB99_42:                              ;   in Loop: Header=BB99_40 Depth=1
	s_or_b64 exec, exec, s[8:9]
	v_and_b32_e32 v27, 0xffff, v27
	v_lshl_or_b32 v30, v28, 16, v27
	v_and_b32_e32 v27, 0xffff, v29
	v_lshl_or_b32 v29, v31, 16, v27
	;; [unrolled: 2-line block ×3, first 2 shown]
	v_and_b32_e32 v27, 0xffff, v34
	s_waitcnt vmcnt(0)
	;;#ASMSTART
	v_pk_mul_f16 v2, v30, v2;

	;;#ASMEND
	v_lshl_or_b32 v27, v35, 16, v27
	;;#ASMSTART
	v_pk_mul_f16 v3, v29, v3;

	;;#ASMEND
	;;#ASMSTART
	v_pk_mul_f16 v4, v28, v4;

	;;#ASMEND
	;; [unrolled: 4-line block ×3, first 2 shown]
	s_nop 0
	;;#ASMSTART
	v_pk_add_f16 v2, v2, v3;

	;;#ASMEND
	s_nop 0
	;;#ASMSTART
	v_pk_add_f16 v2, v2, v4;

	;;#ASMEND
	;; [unrolled: 5-line block ×3, first 2 shown]
	s_nop 0
	v_lshrrev_b32_e32 v3, 16, v2
	v_and_b32_e32 v2, 0xffff, v2
	;;#ASMSTART
	v_cvt_f32_f16 v31, v2;
	;;#ASMEND
	;;#ASMSTART
	v_cvt_f32_f16 v32, v3;
	;;#ASMEND
	global_load_dwordx4 v[2:5], v[12:13], off offset:1024
	s_and_saveexec_b64 s[0:1], vcc
	s_cbranch_execz .LBB99_39
; %bb.43:                               ;   in Loop: Header=BB99_40 Depth=1
	s_waitcnt vmcnt(0)
	v_lshrrev_b32_e32 v12, 16, v5
	v_cmp_gt_i32_e32 vcc, s28, v26
	s_nop 1
	v_cndmask_b32_e32 v12, 0, v12, vcc
	v_cmp_gt_i32_e32 vcc, s27, v25
	s_nop 1
	v_cndmask_b32_e32 v5, 0, v5, vcc
	v_perm_b32 v5, v12, v5, s20
	v_lshrrev_b32_e32 v12, 16, v4
	v_cmp_gt_i32_e32 vcc, s26, v24
	s_nop 1
	v_cndmask_b32_e32 v12, 0, v12, vcc
	v_cmp_gt_i32_e32 vcc, s25, v23
	s_nop 1
	v_cndmask_b32_e32 v4, 0, v4, vcc
	v_perm_b32 v4, v12, v4, s20
	;; [unrolled: 8-line block ×4, first 2 shown]
	s_branch .LBB99_39
.LBB99_44:
	s_or_b64 exec, exec, s[6:7]
.LBB99_45:
	s_or_b64 exec, exec, s[2:3]
	ds_bpermute_b32 v2, v15, v6
	ds_bpermute_b32 v3, v15, v7
	v_and_b32_e32 v1, 0x3c3, v0
	v_cmp_eq_u32_e32 vcc, 64, v1
	s_waitcnt lgkmcnt(0)
	s_barrier
	v_pk_add_f32 v[2:3], v[6:7], v[2:3]
	ds_bpermute_b32 v4, v16, v2
	ds_bpermute_b32 v5, v16, v3
	s_waitcnt lgkmcnt(0)
	v_pk_add_f32 v[2:3], v[2:3], v[4:5]
	s_and_saveexec_b64 s[0:1], vcc
	s_cbranch_execz .LBB99_47
; %bb.46:
	v_add_u32_e32 v5, 0x50, v14
	v_add_u32_e32 v4, 0x50, v0
	ds_write_b32 v5, v2
	ds_write_b32 v4, v3
.LBB99_47:
	s_or_b64 exec, exec, s[0:1]
	v_cmp_gt_u32_e32 vcc, 64, v0
	s_waitcnt lgkmcnt(0)
	s_barrier
	s_and_saveexec_b64 s[0:1], vcc
	s_cbranch_execz .LBB99_53
; %bb.48:
	v_cmp_eq_u32_e32 vcc, 0, v17
	v_lshrrev_b32_e32 v4, 2, v0
	s_and_saveexec_b64 s[2:3], vcc
	s_cbranch_execz .LBB99_50
; %bb.49:
	v_mov_b32_e32 v5, 0x50
	v_lshl_add_u32 v5, v4, 2, v5
	ds_read_b32 v5, v5
	s_waitcnt lgkmcnt(0)
	v_add_f32_e32 v2, v2, v5
.LBB99_50:
	s_or_b64 exec, exec, s[2:3]
	s_and_saveexec_b64 s[2:3], vcc
	s_cbranch_execz .LBB99_52
; %bb.51:
	v_mov_b32_e32 v5, 0x50
	v_lshl_add_u32 v4, v4, 2, v5
	ds_read_b32 v4, v4 offset:64
	s_waitcnt lgkmcnt(0)
	v_add_f32_e32 v3, v3, v4
.LBB99_52:
	s_or_b64 exec, exec, s[2:3]
.LBB99_53:
	s_or_b64 exec, exec, s[0:1]
	v_cmp_eq_u32_e32 vcc, 0, v1
	s_barrier
	s_and_saveexec_b64 s[0:1], vcc
	s_cbranch_execz .LBB99_55
; %bb.54:
	s_mul_i32 s0, s10, s11
	s_mul_i32 s0, s0, s5
	s_lshl_b32 s0, s0, 5
	s_ashr_i32 s1, s0, 31
	s_lshl_b64 s[0:1], s[0:1], 1
	s_add_u32 s2, s18, s0
	s_mul_i32 s0, s11, s16
	s_addc_u32 s3, s19, s1
	s_ashr_i32 s1, s0, 31
	s_lshl_b64 s[0:1], s[0:1], 1
	s_add_u32 s2, s2, s0
	s_addc_u32 s3, s3, s1
	s_lshl_b32 s0, s4, 5
	s_ashr_i32 s1, s0, 31
	s_lshl_b64 s[0:1], s[0:1], 1
	s_add_u32 s0, s2, s0
	s_addc_u32 s1, s3, s1
	v_lshrrev_b32_e32 v0, 1, v0
	;;#ASMSTART
	v_cvt_f16_f32 v1, v2;

	;;#ASMEND
	global_store_short v0, v1, s[0:1]
	;;#ASMSTART
	v_cvt_f16_f32 v1, v3;

	;;#ASMEND
	global_store_short v0, v1, s[0:1] offset:32
.LBB99_55:
	s_endpgm
	.section	.rodata,"a",@progbits
	.p2align	6, 0x0
	.amdhsa_kernel _ZN4vllm25paged_attention_v1_kernelIttLi32ELi32ELi128ELNS_18Fp8KVCacheDataTypeE0ELb0EEEvPT_PKS2_PKT0_S8_ifPKiSA_iPKfiiiSC_SC_iiiii
		.amdhsa_group_segment_fixed_size 80
		.amdhsa_private_segment_fixed_size 0
		.amdhsa_kernarg_size 384
		.amdhsa_user_sgpr_count 2
		.amdhsa_user_sgpr_dispatch_ptr 0
		.amdhsa_user_sgpr_queue_ptr 0
		.amdhsa_user_sgpr_kernarg_segment_ptr 1
		.amdhsa_user_sgpr_dispatch_id 0
		.amdhsa_user_sgpr_kernarg_preload_length 0
		.amdhsa_user_sgpr_kernarg_preload_offset 0
		.amdhsa_user_sgpr_private_segment_size 0
		.amdhsa_uses_dynamic_stack 0
		.amdhsa_enable_private_segment 0
		.amdhsa_system_sgpr_workgroup_id_x 1
		.amdhsa_system_sgpr_workgroup_id_y 1
		.amdhsa_system_sgpr_workgroup_id_z 1
		.amdhsa_system_sgpr_workgroup_info 0
		.amdhsa_system_vgpr_workitem_id 0
		.amdhsa_next_free_vgpr 43
		.amdhsa_next_free_sgpr 34
		.amdhsa_accum_offset 44
		.amdhsa_reserve_vcc 1
		.amdhsa_float_round_mode_32 0
		.amdhsa_float_round_mode_16_64 0
		.amdhsa_float_denorm_mode_32 3
		.amdhsa_float_denorm_mode_16_64 3
		.amdhsa_dx10_clamp 1
		.amdhsa_ieee_mode 1
		.amdhsa_fp16_overflow 0
		.amdhsa_tg_split 0
		.amdhsa_exception_fp_ieee_invalid_op 0
		.amdhsa_exception_fp_denorm_src 0
		.amdhsa_exception_fp_ieee_div_zero 0
		.amdhsa_exception_fp_ieee_overflow 0
		.amdhsa_exception_fp_ieee_underflow 0
		.amdhsa_exception_fp_ieee_inexact 0
		.amdhsa_exception_int_div_zero 0
	.end_amdhsa_kernel
	.section	.text._ZN4vllm25paged_attention_v1_kernelIttLi32ELi32ELi128ELNS_18Fp8KVCacheDataTypeE0ELb0EEEvPT_PKS2_PKT0_S8_ifPKiSA_iPKfiiiSC_SC_iiiii,"axG",@progbits,_ZN4vllm25paged_attention_v1_kernelIttLi32ELi32ELi128ELNS_18Fp8KVCacheDataTypeE0ELb0EEEvPT_PKS2_PKT0_S8_ifPKiSA_iPKfiiiSC_SC_iiiii,comdat
.Lfunc_end99:
	.size	_ZN4vllm25paged_attention_v1_kernelIttLi32ELi32ELi128ELNS_18Fp8KVCacheDataTypeE0ELb0EEEvPT_PKS2_PKT0_S8_ifPKiSA_iPKfiiiSC_SC_iiiii, .Lfunc_end99-_ZN4vllm25paged_attention_v1_kernelIttLi32ELi32ELi128ELNS_18Fp8KVCacheDataTypeE0ELb0EEEvPT_PKS2_PKT0_S8_ifPKiSA_iPKfiiiSC_SC_iiiii
                                        ; -- End function
	.section	.AMDGPU.csdata,"",@progbits
; Kernel info:
; codeLenInByte = 4356
; NumSgprs: 40
; NumVgprs: 43
; NumAgprs: 0
; TotalNumVgprs: 43
; ScratchSize: 0
; MemoryBound: 0
; FloatMode: 240
; IeeeMode: 1
; LDSByteSize: 80 bytes/workgroup (compile time only)
; SGPRBlocks: 4
; VGPRBlocks: 5
; NumSGPRsForWavesPerEU: 40
; NumVGPRsForWavesPerEU: 43
; AccumOffset: 44
; Occupancy: 8
; WaveLimiterHint : 1
; COMPUTE_PGM_RSRC2:SCRATCH_EN: 0
; COMPUTE_PGM_RSRC2:USER_SGPR: 2
; COMPUTE_PGM_RSRC2:TRAP_HANDLER: 0
; COMPUTE_PGM_RSRC2:TGID_X_EN: 1
; COMPUTE_PGM_RSRC2:TGID_Y_EN: 1
; COMPUTE_PGM_RSRC2:TGID_Z_EN: 1
; COMPUTE_PGM_RSRC2:TIDIG_COMP_CNT: 0
; COMPUTE_PGM_RSRC3_GFX90A:ACCUM_OFFSET: 10
; COMPUTE_PGM_RSRC3_GFX90A:TG_SPLIT: 0
	.section	.text._ZN4vllm25paged_attention_v1_kernelIttLi64ELi32ELi128ELNS_18Fp8KVCacheDataTypeE0ELb0EEEvPT_PKS2_PKT0_S8_ifPKiSA_iPKfiiiSC_SC_iiiii,"axG",@progbits,_ZN4vllm25paged_attention_v1_kernelIttLi64ELi32ELi128ELNS_18Fp8KVCacheDataTypeE0ELb0EEEvPT_PKS2_PKT0_S8_ifPKiSA_iPKfiiiSC_SC_iiiii,comdat
	.protected	_ZN4vllm25paged_attention_v1_kernelIttLi64ELi32ELi128ELNS_18Fp8KVCacheDataTypeE0ELb0EEEvPT_PKS2_PKT0_S8_ifPKiSA_iPKfiiiSC_SC_iiiii ; -- Begin function _ZN4vllm25paged_attention_v1_kernelIttLi64ELi32ELi128ELNS_18Fp8KVCacheDataTypeE0ELb0EEEvPT_PKS2_PKT0_S8_ifPKiSA_iPKfiiiSC_SC_iiiii
	.globl	_ZN4vllm25paged_attention_v1_kernelIttLi64ELi32ELi128ELNS_18Fp8KVCacheDataTypeE0ELb0EEEvPT_PKS2_PKT0_S8_ifPKiSA_iPKfiiiSC_SC_iiiii
	.p2align	8
	.type	_ZN4vllm25paged_attention_v1_kernelIttLi64ELi32ELi128ELNS_18Fp8KVCacheDataTypeE0ELb0EEEvPT_PKS2_PKT0_S8_ifPKiSA_iPKfiiiSC_SC_iiiii,@function
_ZN4vllm25paged_attention_v1_kernelIttLi64ELi32ELi128ELNS_18Fp8KVCacheDataTypeE0ELb0EEEvPT_PKS2_PKT0_S8_ifPKiSA_iPKfiiiSC_SC_iiiii: ; @_ZN4vllm25paged_attention_v1_kernelIttLi64ELi32ELi128ELNS_18Fp8KVCacheDataTypeE0ELb0EEEvPT_PKS2_PKT0_S8_ifPKiSA_iPKfiiiSC_SC_iiiii
; %bb.0:
	s_load_dword s5, s[0:1], 0x80
	s_load_dwordx2 s[6:7], s[0:1], 0x30
	s_load_dwordx2 s[8:9], s[0:1], 0x20
	s_mov_b32 s10, s3
	s_ashr_i32 s11, s3, 31
	s_lshl_b64 s[12:13], s[10:11], 2
	s_waitcnt lgkmcnt(0)
	s_add_u32 s6, s6, s12
	s_addc_u32 s7, s7, s13
	s_abs_i32 s3, s8
	v_cvt_f32_u32_e32 v1, s3
	s_sub_i32 s12, 0, s3
	s_abs_i32 s11, s5
	s_xor_b32 s8, s5, s8
	v_rcp_iflag_f32_e32 v1, v1
	s_ashr_i32 s8, s8, 31
	v_mul_f32_e32 v1, 0x4f7ffffe, v1
	v_cvt_u32_f32_e32 v1, v1
	s_nop 0
	v_readfirstlane_b32 s13, v1
	s_mul_i32 s12, s12, s13
	s_mul_hi_u32 s12, s13, s12
	s_add_i32 s13, s13, s12
	s_mul_hi_u32 s12, s11, s13
	s_mul_i32 s13, s12, s3
	s_sub_i32 s11, s11, s13
	s_add_i32 s13, s12, 1
	s_sub_i32 s14, s11, s3
	s_cmp_ge_u32 s11, s3
	s_cselect_b32 s12, s13, s12
	s_cselect_b32 s11, s14, s11
	s_add_i32 s13, s12, 1
	s_cmp_ge_u32 s11, s3
	s_cselect_b32 s3, s13, s12
	s_xor_b32 s3, s3, s8
	s_sub_i32 s14, s3, s8
	s_abs_i32 s11, s14
	v_cvt_f32_u32_e32 v1, s11
	s_load_dwordx2 s[12:13], s[0:1], 0x40
	s_sub_i32 s3, 0, s11
	s_abs_i32 s18, s2
	v_rcp_iflag_f32_e32 v1, v1
	s_mov_b32 s8, 0
	v_mul_f32_e32 v1, 0x4f7ffffe, v1
	v_cvt_u32_f32_e32 v1, v1
	s_nop 0
	v_readfirstlane_b32 s15, v1
	s_mul_i32 s3, s3, s15
	s_mul_hi_u32 s3, s15, s3
	s_add_i32 s15, s15, s3
	s_waitcnt lgkmcnt(0)
	s_cmp_eq_u64 s[12:13], 0
	s_mul_hi_u32 s19, s18, s15
	s_cbranch_scc1 .LBB100_2
; %bb.1:
	s_ashr_i32 s3, s2, 31
	s_lshl_b64 s[16:17], s[2:3], 2
	s_add_u32 s12, s12, s16
	s_addc_u32 s13, s13, s17
	s_load_dword s8, s[12:13], 0x0
.LBB100_2:
	s_load_dword s33, s[6:7], 0x0
	s_ashr_i32 s7, s14, 31
	s_load_dwordx4 s[12:15], s[0:1], 0x48
	s_ashr_i32 s6, s2, 31
	v_and_b32_e32 v4, 1, v0
	s_lshl_b32 s16, s2, 6
	v_cmp_gt_u32_e32 vcc, 16, v0
	v_lshlrev_b32_e32 v24, 3, v0
	s_and_saveexec_b64 s[2:3], vcc
	s_cbranch_execz .LBB100_4
; %bb.3:
	s_load_dwordx2 s[20:21], s[0:1], 0x8
	s_waitcnt lgkmcnt(0)
	s_mul_i32 s22, s10, s12
	s_ashr_i32 s23, s22, 31
	s_lshl_b64 s[22:23], s[22:23], 1
	v_lshlrev_b32_e32 v1, 2, v0
	s_add_u32 s12, s20, s22
	s_addc_u32 s15, s21, s23
	s_ashr_i32 s17, s16, 31
	s_lshl_b64 s[20:21], s[16:17], 1
	s_add_u32 s20, s12, s20
	s_addc_u32 s21, s15, s21
	global_load_dwordx2 v[2:3], v24, s[20:21]
	v_and_b32_e32 v1, 0xff8, v1
	v_lshl_add_u32 v1, v4, 6, v1
	s_waitcnt vmcnt(0)
	ds_write_b64 v1, v[2:3]
.LBB100_4:
	s_or_b64 exec, exec, s[2:3]
	s_waitcnt lgkmcnt(0)
	s_add_i32 s3, s33, 31
	s_ashr_i32 s12, s3, 31
	s_lshr_b32 s12, s12, 27
	s_add_i32 s3, s3, s12
	s_ashr_i32 s12, s3, 5
	s_xor_b32 s3, s6, s7
	s_mul_i32 s6, s19, s11
	s_sub_i32 s6, s18, s6
	s_add_i32 s7, s19, 1
	s_sub_i32 s15, s6, s11
	s_load_dwordx2 s[20:21], s[0:1], 0x28
	s_load_dword s2, s[0:1], 0x38
	s_cmp_ge_u32 s6, s11
	s_cselect_b32 s7, s7, s19
	s_cselect_b32 s6, s15, s6
	s_add_i32 s15, s7, 1
	s_cmp_ge_u32 s6, s11
	s_cselect_b32 s6, s15, s7
	v_lshrrev_b32_e32 v1, 6, v0
	s_xor_b32 s6, s6, s3
	s_waitcnt lgkmcnt(0)
	s_mul_i32 s22, s10, s2
	s_sub_i32 s15, s6, s3
	s_ashr_i32 s23, s22, 31
	v_cmp_gt_i32_e64 s[6:7], s12, v1
	v_cmp_le_i32_e32 vcc, s12, v1
	v_mbcnt_lo_u32_b32 v6, -1, 0
	s_barrier
	s_waitcnt lgkmcnt(0)
                                        ; implicit-def: $sgpr17
                                        ; implicit-def: $vgpr26
                                        ; implicit-def: $vgpr27
	s_and_saveexec_b64 s[2:3], vcc
	s_xor_b64 s[2:3], exec, s[2:3]
; %bb.5:
	v_mbcnt_hi_u32_b32 v26, -1, v6
	v_and_b32_e32 v2, 64, v26
	v_add_u32_e32 v27, 64, v2
	s_mov_b32 s17, 0xff7fffff
                                        ; implicit-def: $vgpr4
                                        ; implicit-def: $vgpr6
; %bb.6:
	s_or_saveexec_b64 s[26:27], s[2:3]
	s_load_dwordx2 s[18:19], s[0:1], 0x0
	s_load_dwordx2 s[24:25], s[0:1], 0x18
	s_load_dword s11, s[0:1], 0x88
	v_mov_b32_e32 v28, s17
	s_mul_i32 s14, s15, s14
	v_lshrrev_b32_e32 v25, 4, v0
	s_xor_b64 exec, exec, s[26:27]
	s_cbranch_execz .LBB100_12
; %bb.7:
	s_load_dwordx2 s[0:1], s[0:1], 0x10
	s_ashr_i32 s15, s14, 31
	s_lshl_b64 s[2:3], s[14:15], 1
	v_bfe_u32 v5, v0, 1, 5
	v_lshlrev_b32_e32 v8, 4, v5
	s_waitcnt lgkmcnt(0)
	s_add_u32 s0, s0, s2
	s_addc_u32 s1, s1, s3
	v_mov_b32_e32 v9, 0
	v_lshl_add_u64 v[2:3], s[0:1], 0, v[8:9]
	s_sub_i32 s15, 1, s33
	s_lshl_b64 s[0:1], s[22:23], 2
	v_and_b32_e32 v8, 8, v24
	v_lshlrev_b32_e32 v29, 6, v4
	v_cmp_eq_u32_e32 vcc, 0, v4
	v_lshlrev_b32_e32 v4, 2, v5
	s_add_u32 s0, s20, s0
	v_mbcnt_hi_u32_b32 v26, -1, v6
	v_lshl_add_u64 v[2:3], v[2:3], 0, v[8:9]
	v_lshl_or_b32 v4, v1, 7, v4
	v_and_b32_e32 v8, 60, v25
	s_addc_u32 s1, s21, s1
	v_and_b32_e32 v6, 64, v26
	s_mov_b32 s17, s13
	v_cmp_neq_f32_e64 s[2:3], s8, 0
	v_lshl_or_b32 v30, v1, 5, v5
	v_add_u32_e32 v31, 0x90, v4
	v_lshl_add_u64 v[4:5], s[0:1], 0, v[8:9]
	s_mov_b64 s[28:29], 0
	v_mov_b32_e32 v28, 0xff7fffff
	v_xor_b32_e32 v32, 1, v26
	v_add_u32_e32 v27, 64, v6
	v_mov_b32_e32 v33, v1
	s_branch .LBB100_9
.LBB100_8:                              ;   in Loop: Header=BB100_9 Depth=1
	s_or_b64 exec, exec, s[30:31]
	v_add_u32_e32 v33, 2, v33
	v_cmp_le_i32_e64 s[0:1], s12, v33
	v_add_u32_e32 v30, 64, v30
	v_add_u32_e32 v31, 0x100, v31
	s_or_b64 s[28:29], s[0:1], s[28:29]
	v_lshl_add_u64 v[4:5], v[4:5], 0, 8
	s_andn2_b64 exec, exec, s[28:29]
	s_cbranch_execz .LBB100_11
.LBB100_9:                              ; =>This Inner Loop Header: Depth=1
	global_load_dword v6, v[4:5], off
	s_waitcnt vmcnt(0) lgkmcnt(0)
	v_mad_i64_i32 v[6:7], s[0:1], v6, s17, 0
	v_lshl_add_u64 v[22:23], v[6:7], 1, v[2:3]
	global_load_dwordx2 v[20:21], v[22:23], off
	global_load_dwordx2 v[18:19], v[22:23], off offset:512
	global_load_dwordx2 v[16:17], v[22:23], off offset:1024
	;; [unrolled: 1-line block ×7, first 2 shown]
	ds_read_b64 v[22:23], v29
	v_cmp_lt_i32_e64 s[0:1], v32, v27
	s_waitcnt lgkmcnt(0)
	v_lshrrev_b32_e32 v35, 16, v22
	v_and_b32_e32 v22, 0xffff, v22
	v_lshrrev_b32_e32 v36, 16, v23
	v_and_b32_e32 v23, 0xffff, v23
	;;#ASMSTART
	v_cvt_f32_f16 v22, v22;
	;;#ASMEND
	;;#ASMSTART
	v_cvt_f32_f16 v35, v35;
	;;#ASMEND
	v_cndmask_b32_e64 v34, v26, v32, s[0:1]
	s_waitcnt vmcnt(7)
	v_lshrrev_b32_e32 v37, 16, v20
	v_and_b32_e32 v20, 0xffff, v20
	v_lshrrev_b32_e32 v38, 16, v21
	v_and_b32_e32 v21, 0xffff, v21
	;;#ASMSTART
	v_cvt_f32_f16 v20, v20;
	;;#ASMEND
	;;#ASMSTART
	v_cvt_f32_f16 v37, v37;
	;;#ASMEND
	s_waitcnt vmcnt(1)
	v_lshrrev_b32_e32 v49, 16, v8
	v_and_b32_e32 v50, 0xffff, v8
	v_lshrrev_b32_e32 v51, 16, v9
	v_and_b32_e32 v52, 0xffff, v9
	;;#ASMSTART
	v_cvt_f32_f16 v23, v23;
	;;#ASMEND
	;;#ASMSTART
	v_cvt_f32_f16 v36, v36;
	;;#ASMEND
	;; [unrolled: 3-line block ×4, first 2 shown]
	ds_read_b64 v[8:9], v29 offset:8
	v_lshrrev_b32_e32 v39, 16, v18
	v_and_b32_e32 v18, 0xffff, v18
	v_lshrrev_b32_e32 v40, 16, v19
	v_and_b32_e32 v19, 0xffff, v19
	s_waitcnt vmcnt(0)
	v_lshrrev_b32_e32 v53, 16, v6
	v_and_b32_e32 v54, 0xffff, v6
	v_lshrrev_b32_e32 v55, 16, v7
	v_and_b32_e32 v56, 0xffff, v7
	s_waitcnt lgkmcnt(0)
	v_lshrrev_b32_e32 v6, 16, v8
	v_and_b32_e32 v7, 0xffff, v8
	v_lshrrev_b32_e32 v8, 16, v9
	v_and_b32_e32 v9, 0xffff, v9
	;;#ASMSTART
	v_cvt_f32_f16 v57, v7;
	;;#ASMEND
	;;#ASMSTART
	v_cvt_f32_f16 v58, v6;
	;;#ASMEND
	;; [unrolled: 3-line block ×8, first 2 shown]
	ds_read_b64 v[6:7], v29 offset:16
	v_mul_f32_e32 v18, v57, v18
	v_lshrrev_b32_e32 v41, 16, v16
	v_and_b32_e32 v16, 0xffff, v16
	v_lshrrev_b32_e32 v42, 16, v17
	v_and_b32_e32 v17, 0xffff, v17
	v_mul_f32_e32 v39, v58, v39
	v_mul_f32_e32 v9, v9, v19
	v_fmac_f32_e32 v18, v22, v20
	s_waitcnt lgkmcnt(0)
	v_lshrrev_b32_e32 v19, 16, v6
	v_and_b32_e32 v6, 0xffff, v6
	v_lshrrev_b32_e32 v20, 16, v7
	v_and_b32_e32 v7, 0xffff, v7
	v_fmac_f32_e32 v39, v35, v37
	v_fmac_f32_e32 v9, v23, v21
	;;#ASMSTART
	v_cvt_f32_f16 v21, v6;
	;;#ASMEND
	;;#ASMSTART
	v_cvt_f32_f16 v19, v19;
	;;#ASMEND
	;; [unrolled: 3-line block ×8, first 2 shown]
	ds_read_b64 v[6:7], v29 offset:24
	v_mul_f32_e32 v8, v8, v40
	v_lshrrev_b32_e32 v43, 16, v14
	v_and_b32_e32 v14, 0xffff, v14
	v_lshrrev_b32_e32 v44, 16, v15
	v_and_b32_e32 v15, 0xffff, v15
	v_fmac_f32_e32 v8, v36, v38
	v_fmac_f32_e32 v18, v21, v16
	;; [unrolled: 1-line block ×3, first 2 shown]
	s_waitcnt lgkmcnt(0)
	v_lshrrev_b32_e32 v16, 16, v6
	v_and_b32_e32 v6, 0xffff, v6
	v_lshrrev_b32_e32 v17, 16, v7
	v_and_b32_e32 v7, 0xffff, v7
	v_fmac_f32_e32 v39, v19, v22
	v_fmac_f32_e32 v8, v20, v35
	;;#ASMSTART
	v_cvt_f32_f16 v19, v6;
	;;#ASMEND
	;;#ASMSTART
	v_cvt_f32_f16 v16, v16;
	;;#ASMEND
	;; [unrolled: 3-line block ×8, first 2 shown]
	ds_read_b64 v[6:7], v29 offset:32
	v_lshrrev_b32_e32 v45, 16, v12
	v_and_b32_e32 v12, 0xffff, v12
	v_lshrrev_b32_e32 v46, 16, v13
	v_and_b32_e32 v13, 0xffff, v13
	v_fmac_f32_e32 v18, v19, v14
	v_fmac_f32_e32 v9, v21, v15
	s_waitcnt lgkmcnt(0)
	v_lshrrev_b32_e32 v14, 16, v6
	v_and_b32_e32 v6, 0xffff, v6
	v_lshrrev_b32_e32 v15, 16, v7
	v_and_b32_e32 v7, 0xffff, v7
	v_fmac_f32_e32 v39, v16, v20
	v_fmac_f32_e32 v8, v17, v22
	;;#ASMSTART
	v_cvt_f32_f16 v16, v6;
	;;#ASMEND
	;;#ASMSTART
	v_cvt_f32_f16 v14, v14;
	;;#ASMEND
	;; [unrolled: 3-line block ×8, first 2 shown]
	ds_read_b64 v[6:7], v29 offset:40
	v_lshrrev_b32_e32 v47, 16, v10
	v_and_b32_e32 v10, 0xffff, v10
	v_lshrrev_b32_e32 v48, 16, v11
	v_and_b32_e32 v11, 0xffff, v11
	v_fmac_f32_e32 v18, v16, v12
	v_fmac_f32_e32 v9, v19, v13
	s_waitcnt lgkmcnt(0)
	v_lshrrev_b32_e32 v12, 16, v6
	v_and_b32_e32 v6, 0xffff, v6
	v_lshrrev_b32_e32 v13, 16, v7
	v_and_b32_e32 v7, 0xffff, v7
	v_fmac_f32_e32 v39, v14, v17
	v_fmac_f32_e32 v8, v15, v20
	;;#ASMSTART
	v_cvt_f32_f16 v14, v6;
	;;#ASMEND
	;;#ASMSTART
	v_cvt_f32_f16 v12, v12;
	;;#ASMEND
	;; [unrolled: 3-line block ×8, first 2 shown]
	ds_read_b64 v[6:7], v29 offset:48
	v_fmac_f32_e32 v18, v14, v10
	v_fmac_f32_e32 v9, v16, v11
	;; [unrolled: 1-line block ×4, first 2 shown]
	s_waitcnt lgkmcnt(0)
	v_lshrrev_b32_e32 v10, 16, v6
	v_and_b32_e32 v6, 0xffff, v6
	v_lshrrev_b32_e32 v11, 16, v7
	v_and_b32_e32 v7, 0xffff, v7
	;;#ASMSTART
	v_cvt_f32_f16 v12, v6;
	;;#ASMEND
	;;#ASMSTART
	v_cvt_f32_f16 v10, v10;
	;;#ASMEND
	;; [unrolled: 3-line block ×8, first 2 shown]
	ds_read_b64 v[6:7], v29 offset:56
	v_fmac_f32_e32 v18, v12, v13
	v_fmac_f32_e32 v39, v10, v14
	;; [unrolled: 1-line block ×4, first 2 shown]
	s_waitcnt lgkmcnt(0)
	v_lshrrev_b32_e32 v10, 16, v6
	v_and_b32_e32 v6, 0xffff, v6
	v_lshrrev_b32_e32 v11, 16, v7
	v_and_b32_e32 v7, 0xffff, v7
	;;#ASMSTART
	v_cvt_f32_f16 v6, v6;
	;;#ASMEND
	;;#ASMSTART
	v_cvt_f32_f16 v10, v10;
	;;#ASMEND
	;; [unrolled: 3-line block ×8, first 2 shown]
	s_nop 0
	v_fmac_f32_e32 v18, v6, v12
	v_fmac_f32_e32 v39, v10, v13
	;; [unrolled: 1-line block ×3, first 2 shown]
	v_add_f32_e32 v6, v18, v39
	v_fmac_f32_e32 v8, v11, v15
	v_add_f32_e32 v6, v6, v9
	v_add_f32_e32 v6, v8, v6
	v_lshlrev_b32_e32 v7, 2, v34
	ds_bpermute_b32 v7, v7, v6
	s_and_saveexec_b64 s[30:31], vcc
	s_cbranch_execz .LBB100_8
; %bb.10:                               ;   in Loop: Header=BB100_9 Depth=1
	v_add_u32_e32 v8, s15, v30
	v_cvt_f32_i32_e32 v8, v8
	s_waitcnt lgkmcnt(0)
	v_add_f32_e32 v6, v6, v7
	v_cmp_gt_i32_e64 s[0:1], s33, v30
	v_max_f32_e32 v7, v28, v28
	v_mul_f32_e32 v8, s8, v8
	v_cndmask_b32_e64 v8, 0, v8, s[2:3]
	v_fmac_f32_e32 v8, s9, v6
	v_cndmask_b32_e64 v6, 0, v8, s[0:1]
	ds_write_b32 v31, v6
	v_max_f32_e32 v6, v7, v8
	v_cndmask_b32_e64 v28, v28, v6, s[0:1]
	s_branch .LBB100_8
.LBB100_11:
	s_or_b64 exec, exec, s[28:29]
.LBB100_12:
	s_or_b64 exec, exec, s[26:27]
	v_xor_b32_e32 v2, 32, v26
	v_cmp_lt_i32_e32 vcc, v2, v27
	v_xor_b32_e32 v5, 16, v26
	v_max_f32_e32 v4, v28, v28
	v_cndmask_b32_e32 v2, v26, v2, vcc
	v_lshlrev_b32_e32 v2, 2, v2
	ds_bpermute_b32 v3, v2, v28
	v_cmp_lt_i32_e32 vcc, v5, v27
	v_xor_b32_e32 v6, 8, v26
	s_waitcnt lgkmcnt(0)
	v_xor_b32_e32 v7, 4, v26
	v_xor_b32_e32 v8, 2, v26
	v_max_f32_e32 v3, v3, v3
	v_max_f32_e32 v4, v4, v3
	v_cndmask_b32_e32 v3, v26, v5, vcc
	v_lshlrev_b32_e32 v3, 2, v3
	ds_bpermute_b32 v5, v3, v4
	v_cmp_lt_i32_e32 vcc, v6, v27
	v_and_b32_e32 v16, 63, v0
	s_waitcnt lgkmcnt(0)
	v_max_f32_e32 v5, v5, v5
	v_max_f32_e32 v5, v4, v5
	v_cndmask_b32_e32 v4, v26, v6, vcc
	v_lshlrev_b32_e32 v4, 2, v4
	ds_bpermute_b32 v6, v4, v5
	v_cmp_lt_i32_e32 vcc, v7, v27
	s_waitcnt lgkmcnt(0)
	v_max_f32_e32 v6, v6, v6
	v_max_f32_e32 v6, v5, v6
	v_cndmask_b32_e32 v5, v26, v7, vcc
	v_lshlrev_b32_e32 v5, 2, v5
	ds_bpermute_b32 v7, v5, v6
	v_cmp_lt_i32_e32 vcc, v8, v27
	s_waitcnt lgkmcnt(0)
	v_max_f32_e32 v7, v7, v7
	v_max_f32_e32 v7, v6, v7
	v_cndmask_b32_e32 v6, v26, v8, vcc
	v_lshlrev_b32_e32 v17, 2, v6
	ds_bpermute_b32 v8, v17, v7
	v_cmp_eq_u32_e32 vcc, 0, v16
	v_lshlrev_b32_e32 v6, 2, v1
	s_and_saveexec_b64 s[0:1], vcc
	s_cbranch_execz .LBB100_14
; %bb.13:
	s_waitcnt lgkmcnt(0)
	v_max_f32_e32 v8, v8, v8
	v_max_f32_e32 v7, v7, v7
	;; [unrolled: 1-line block ×3, first 2 shown]
	ds_write_b32 v6, v7 offset:128
.LBB100_14:
	s_or_b64 exec, exec, s[0:1]
	v_cmp_gt_u32_e64 s[0:1], 2, v16
	s_waitcnt lgkmcnt(0)
	v_mov_b32_e32 v8, 0xff7fffff
	v_lshlrev_b32_e32 v7, 2, v16
	s_barrier
	s_and_saveexec_b64 s[2:3], s[0:1]
	s_cbranch_execz .LBB100_16
; %bb.15:
	ds_read_b32 v8, v7 offset:128
.LBB100_16:
	s_or_b64 exec, exec, s[2:3]
	v_xor_b32_e32 v9, 1, v26
	v_cmp_lt_i32_e64 s[2:3], v9, v27
	v_lshlrev_b32_e32 v10, 2, v26
	s_nop 0
	v_cndmask_b32_e64 v9, v26, v9, s[2:3]
	v_lshlrev_b32_e32 v18, 2, v9
	s_waitcnt lgkmcnt(0)
	ds_bpermute_b32 v9, v18, v8
	v_max_f32_e32 v8, v8, v8
	s_lshl_b32 s2, s12, 5
	s_min_i32 s15, s2, s33
	v_cmp_gt_i32_e64 s[2:3], s15, v0
	s_waitcnt lgkmcnt(0)
	v_max_f32_e32 v9, v9, v9
	v_max_f32_e32 v9, v8, v9
	v_and_b32_e32 v8, 0xffffff00, v10
	ds_bpermute_b32 v10, v8, v9
	v_mov_b32_e32 v9, 0
	s_and_saveexec_b64 s[26:27], s[2:3]
	s_cbranch_execz .LBB100_20
; %bb.17:
	v_mov_b32_e32 v9, 0x90
	v_lshl_add_u32 v11, v0, 2, v9
	s_mov_b64 s[28:29], 0
	v_mov_b32_e32 v9, 0
	v_mov_b32_e32 v12, v0
.LBB100_18:                             ; =>This Inner Loop Header: Depth=1
	ds_read_b32 v13, v11
	v_add_u32_e32 v12, 0x80, v12
	v_cmp_le_i32_e64 s[8:9], s15, v12
	s_or_b64 s[28:29], s[8:9], s[28:29]
	s_waitcnt lgkmcnt(0)
	v_sub_f32_e32 v13, v13, v10
	v_mul_f32_e32 v13, 0x3fb8aa3b, v13
	v_exp_f32_e32 v13, v13
	ds_write_b32 v11, v13
	v_add_f32_e32 v9, v9, v13
	v_add_u32_e32 v11, 0x200, v11
	s_andn2_b64 exec, exec, s[28:29]
	s_cbranch_execnz .LBB100_18
; %bb.19:
	s_or_b64 exec, exec, s[28:29]
.LBB100_20:
	s_or_b64 exec, exec, s[26:27]
	ds_bpermute_b32 v2, v2, v9
	s_waitcnt lgkmcnt(0)
	v_add_f32_e32 v2, v9, v2
	ds_bpermute_b32 v3, v3, v2
	s_waitcnt lgkmcnt(0)
	v_add_f32_e32 v2, v2, v3
	;; [unrolled: 3-line block ×6, first 2 shown]
	s_and_saveexec_b64 s[8:9], vcc
	s_cbranch_execz .LBB100_22
; %bb.21:
	ds_write_b32 v6, v2 offset:136
.LBB100_22:
	s_or_b64 exec, exec, s[8:9]
	s_waitcnt lgkmcnt(0)
	s_barrier
	s_and_saveexec_b64 s[8:9], s[0:1]
	s_cbranch_execz .LBB100_24
; %bb.23:
	ds_read_b32 v2, v7 offset:136
.LBB100_24:
	s_or_b64 exec, exec, s[8:9]
	s_waitcnt lgkmcnt(0)
	ds_bpermute_b32 v3, v18, v2
	s_waitcnt lgkmcnt(0)
	v_add_f32_e32 v2, v2, v3
	ds_bpermute_b32 v2, v8, v2
	s_and_saveexec_b64 s[0:1], s[2:3]
	s_cbranch_execz .LBB100_37
; %bb.25:
	s_waitcnt lgkmcnt(0)
	v_add_f32_e32 v2, 0x358637bd, v2
	v_div_scale_f32 v3, s[2:3], v2, v2, 1.0
	v_rcp_f32_e32 v4, v3
	v_div_scale_f32 v5, vcc, 1.0, v2, 1.0
	s_movk_i32 s2, 0x7f
	v_fma_f32 v6, -v3, v4, 1.0
	v_fmac_f32_e32 v4, v6, v4
	v_mul_f32_e32 v6, v5, v4
	v_fma_f32 v7, -v3, v6, v5
	v_fmac_f32_e32 v6, v7, v4
	v_fma_f32 v3, -v3, v6, v5
	v_div_fmas_f32 v3, v3, v4, v6
	v_xad_u32 v4, v0, -1, s15
	v_div_fixup_f32 v2, v3, v2, 1.0
	v_cmp_lt_u32_e32 vcc, s2, v4
	s_mov_b64 s[8:9], -1
	v_mov_b32_e32 v3, v0
	s_and_saveexec_b64 s[2:3], vcc
	s_cbranch_execz .LBB100_34
; %bb.26:
	v_lshrrev_b32_e32 v4, 7, v4
	v_add_u32_e32 v6, -1, v4
	v_lshrrev_b32_e32 v5, 1, v6
	v_mov_b32_e32 v3, v2
	v_add_u32_e32 v5, 1, v5
	v_cmp_lt_u32_e32 vcc, 13, v6
	v_mov_b32_e32 v8, 0
	s_and_saveexec_b64 s[8:9], vcc
	s_cbranch_execz .LBB100_30
; %bb.27:
	v_mov_b32_e32 v7, 0x90
	v_and_b32_e32 v6, -8, v5
	v_lshl_add_u32 v7, v0, 2, v7
	s_mov_b32 s17, 0
	s_mov_b64 s[26:27], 0
.LBB100_28:                             ; =>This Inner Loop Header: Depth=1
	ds_read2st64_b32 v[8:9], v7 offset1:2
	ds_read2st64_b32 v[10:11], v7 offset0:4 offset1:6
	ds_read2st64_b32 v[12:13], v7 offset0:8 offset1:10
	;; [unrolled: 1-line block ×3, first 2 shown]
	v_add_u32_e32 v6, -8, v6
	s_waitcnt lgkmcnt(3)
	v_pk_mul_f32 v[8:9], v[2:3], v[8:9]
	s_waitcnt lgkmcnt(2)
	v_pk_mul_f32 v[10:11], v[2:3], v[10:11]
	ds_write2st64_b32 v7, v8, v9 offset1:2
	ds_write2st64_b32 v7, v10, v11 offset0:4 offset1:6
	ds_read2st64_b32 v[10:11], v7 offset0:16 offset1:18
	s_waitcnt lgkmcnt(4)
	v_pk_mul_f32 v[8:9], v[2:3], v[12:13]
	ds_write2st64_b32 v7, v8, v9 offset0:8 offset1:10
	s_waitcnt lgkmcnt(4)
	v_pk_mul_f32 v[8:9], v[2:3], v[14:15]
	ds_write2st64_b32 v7, v8, v9 offset0:12 offset1:14
	ds_read2st64_b32 v[8:9], v7 offset0:20 offset1:22
	s_waitcnt lgkmcnt(3)
	v_pk_mul_f32 v[10:11], v[2:3], v[10:11]
	ds_read2st64_b32 v[12:13], v7 offset0:24 offset1:26
	ds_write2st64_b32 v7, v10, v11 offset0:16 offset1:18
	ds_read2st64_b32 v[10:11], v7 offset0:28 offset1:30
	s_waitcnt lgkmcnt(3)
	v_pk_mul_f32 v[8:9], v[2:3], v[8:9]
	ds_write2st64_b32 v7, v8, v9 offset0:20 offset1:22
	s_waitcnt lgkmcnt(3)
	v_pk_mul_f32 v[8:9], v[2:3], v[12:13]
	ds_write2st64_b32 v7, v8, v9 offset0:24 offset1:26
	s_waitcnt lgkmcnt(2)
	v_pk_mul_f32 v[8:9], v[2:3], v[10:11]
	s_add_i32 s17, s17, 16
	v_cmp_eq_u32_e32 vcc, 0, v6
	ds_write2st64_b32 v7, v8, v9 offset0:28 offset1:30
	v_add_u32_e32 v7, 0x2000, v7
	s_or_b64 s[26:27], vcc, s[26:27]
	v_mov_b32_e32 v8, s17
	s_andn2_b64 exec, exec, s[26:27]
	s_cbranch_execnz .LBB100_28
; %bb.29:
	s_or_b64 exec, exec, s[26:27]
.LBB100_30:
	s_or_b64 exec, exec, s[8:9]
	v_and_b32_e32 v5, 7, v5
	v_cmp_ne_u32_e32 vcc, 0, v5
	s_and_saveexec_b64 s[8:9], vcc
	s_cbranch_execz .LBB100_33
; %bb.31:
	v_lshlrev_b32_e32 v6, 9, v8
	v_lshlrev_b32_e32 v7, 2, v0
	s_movk_i32 s17, 0x90
	v_add3_u32 v6, v6, v7, s17
	s_mov_b64 s[26:27], 0
.LBB100_32:                             ; =>This Inner Loop Header: Depth=1
	ds_read2st64_b32 v[8:9], v6 offset1:2
	v_add_u32_e32 v5, -1, v5
	v_cmp_eq_u32_e32 vcc, 0, v5
	s_or_b64 s[26:27], vcc, s[26:27]
	s_waitcnt lgkmcnt(0)
	v_pk_mul_f32 v[8:9], v[2:3], v[8:9]
	ds_write2st64_b32 v6, v8, v9 offset1:2
	v_add_u32_e32 v6, 0x400, v6
	s_andn2_b64 exec, exec, s[26:27]
	s_cbranch_execnz .LBB100_32
.LBB100_33:
	s_or_b64 exec, exec, s[8:9]
	v_add_u32_e32 v4, 1, v4
	v_and_b32_e32 v5, 0x3fffffe, v4
	v_cmp_ne_u32_e32 vcc, v4, v5
	v_lshl_add_u32 v3, v5, 7, v0
	s_orn2_b64 s[8:9], vcc, exec
.LBB100_34:
	s_or_b64 exec, exec, s[2:3]
	s_and_b64 exec, exec, s[8:9]
	s_cbranch_execz .LBB100_37
; %bb.35:
	v_mov_b32_e32 v4, 0x90
	v_lshl_add_u32 v4, v3, 2, v4
	s_mov_b64 s[2:3], 0
.LBB100_36:                             ; =>This Inner Loop Header: Depth=1
	ds_read_b32 v5, v4
	v_add_u32_e32 v3, 0x80, v3
	v_cmp_le_i32_e32 vcc, s15, v3
	s_or_b64 s[2:3], vcc, s[2:3]
	s_waitcnt lgkmcnt(0)
	v_mul_f32_e32 v5, v2, v5
	ds_write_b32 v4, v5
	v_add_u32_e32 v4, 0x200, v4
	s_andn2_b64 exec, exec, s[2:3]
	s_cbranch_execnz .LBB100_36
.LBB100_37:
	s_or_b64 exec, exec, s[0:1]
	v_mov_b32_e32 v9, 0
	v_and_b32_e32 v19, 3, v0
	v_mov_b32_e32 v8, 0
	v_mov_b32_e32 v7, 0
	;; [unrolled: 1-line block ×3, first 2 shown]
	s_waitcnt lgkmcnt(0)
	s_barrier
	s_and_saveexec_b64 s[2:3], s[6:7]
	s_cbranch_execz .LBB100_49
; %bb.38:
	s_ashr_i32 s15, s14, 31
	s_lshl_b64 s[0:1], s[14:15], 1
	s_add_u32 s0, s24, s0
	v_lshlrev_b32_e32 v3, 4, v0
	s_addc_u32 s1, s25, s1
	v_and_b32_e32 v6, 0x3f0, v3
	v_mov_b32_e32 v7, 0
	v_and_b32_e32 v2, 24, v24
	s_add_i32 s14, s12, -1
	v_lshl_add_u64 v[10:11], s[0:1], 0, v[6:7]
	s_lshl_b64 s[0:1], s[22:23], 2
	v_lshl_or_b32 v20, v1, 5, v2
	v_lshlrev_b32_e32 v2, 5, v19
	s_add_u32 s0, s20, s0
	v_lshl_or_b32 v2, v1, 7, v2
	v_and_b32_e32 v6, 60, v25
	s_addc_u32 s1, s21, s1
	s_mov_b32 s15, s33
	s_mov_b32 s17, s33
	;; [unrolled: 1-line block ×7, first 2 shown]
	v_add_u32_e32 v21, 0x90, v2
	v_lshl_add_u64 v[12:13], s[0:1], 0, v[6:7]
	s_mov_b64 s[6:7], 0
	s_mov_b32 s20, 0x5040100
	v_mov_b32_e32 v6, v7
	v_mov_b32_e32 v8, v7
	;; [unrolled: 1-line block ×3, first 2 shown]
	s_branch .LBB100_40
.LBB100_39:                             ;   in Loop: Header=BB100_40 Depth=1
	s_or_b64 exec, exec, s[0:1]
	s_waitcnt vmcnt(0)
	;;#ASMSTART
	v_pk_mul_f16 v2, v32, v2;

	;;#ASMEND
	;;#ASMSTART
	v_pk_mul_f16 v3, v31, v3;

	;;#ASMEND
	;; [unrolled: 4-line block ×4, first 2 shown]
	v_add_f32_e32 v14, v33, v34
	;;#ASMSTART
	v_pk_add_f16 v2, v2, v3;

	;;#ASMEND
	v_add_f32_e32 v6, v6, v14
	;;#ASMSTART
	v_pk_add_f16 v2, v2, v4;

	;;#ASMEND
	v_add_f32_e32 v14, v35, v36
	;;#ASMSTART
	v_pk_add_f16 v2, v2, v5;

	;;#ASMEND
	v_add_u32_e32 v1, 2, v1
	v_lshrrev_b32_e32 v3, 16, v2
	v_and_b32_e32 v2, 0xffff, v2
	;;#ASMSTART
	v_cvt_f32_f16 v2, v2;
	;;#ASMEND
	v_add_f32_e32 v7, v7, v14
	v_add_f32_e32 v14, v37, v38
	;;#ASMSTART
	v_cvt_f32_f16 v3, v3;
	;;#ASMEND
	v_cmp_le_i32_e32 vcc, s12, v1
	v_add_f32_e32 v2, v2, v3
	v_add_f32_e32 v8, v8, v14
	;; [unrolled: 1-line block ×3, first 2 shown]
	v_add_u32_e32 v20, 64, v20
	v_add_u32_e32 v21, 0x100, v21
	s_or_b64 s[6:7], vcc, s[6:7]
	v_lshl_add_u64 v[12:13], v[12:13], 0, 8
	s_andn2_b64 exec, exec, s[6:7]
	s_cbranch_execz .LBB100_48
.LBB100_40:                             ; =>This Inner Loop Header: Depth=1
	global_load_dword v14, v[12:13], off
	ds_read2_b64 v[2:5], v21 offset1:1
	ds_read2_b64 v[22:25], v21 offset0:2 offset1:3
	v_cmp_eq_u32_e32 vcc, s14, v1
	v_or_b32_e32 v26, 5, v20
	s_waitcnt lgkmcnt(1)
	;;#ASMSTART
	v_cvt_f16_f32 v29, v2;

	;;#ASMEND
	;;#ASMSTART
	v_cvt_f16_f32 v30, v3;

	;;#ASMEND
	;; [unrolled: 4-line block ×4, first 2 shown]
	s_waitcnt lgkmcnt(0)
	;;#ASMSTART
	v_cvt_f16_f32 v34, v22;

	;;#ASMEND
	;;#ASMSTART
	v_cvt_f16_f32 v35, v23;

	;;#ASMEND
	;; [unrolled: 4-line block ×4, first 2 shown]
	v_add_u32_e32 v22, 1, v20
	v_or_b32_e32 v24, 3, v20
	v_or_b32_e32 v23, 2, v20
	;; [unrolled: 1-line block ×5, first 2 shown]
	s_waitcnt vmcnt(0)
	v_mad_i64_i32 v[2:3], s[0:1], v14, s13, 0
	v_lshl_add_u64 v[14:15], v[2:3], 1, v[10:11]
	global_load_dwordx4 v[2:5], v[14:15], off
	s_and_saveexec_b64 s[8:9], vcc
	s_cbranch_execz .LBB100_42
; %bb.41:                               ;   in Loop: Header=BB100_40 Depth=1
	s_waitcnt vmcnt(0)
	v_lshrrev_b32_e32 v32, 16, v5
	v_cmp_gt_i32_e64 s[0:1], s28, v28
	s_nop 1
	v_cndmask_b32_e64 v32, 0, v32, s[0:1]
	v_cmp_gt_i32_e64 s[0:1], s27, v27
	s_nop 1
	v_cndmask_b32_e64 v5, 0, v5, s[0:1]
	v_perm_b32 v5, v32, v5, s20
	v_lshrrev_b32_e32 v32, 16, v4
	v_cmp_gt_i32_e64 s[0:1], s26, v26
	s_nop 1
	v_cndmask_b32_e64 v32, 0, v32, s[0:1]
	v_cmp_gt_i32_e64 s[0:1], s25, v25
	s_nop 1
	v_cndmask_b32_e64 v4, 0, v4, s[0:1]
	v_perm_b32 v4, v32, v4, s20
	v_lshrrev_b32_e32 v32, 16, v3
	v_cmp_gt_i32_e64 s[0:1], s24, v24
	s_nop 1
	v_cndmask_b32_e64 v32, 0, v32, s[0:1]
	v_cmp_gt_i32_e64 s[0:1], s17, v23
	s_nop 1
	v_cndmask_b32_e64 v3, 0, v3, s[0:1]
	v_perm_b32 v3, v32, v3, s20
	v_lshrrev_b32_e32 v32, 16, v2
	v_cmp_gt_i32_e64 s[0:1], s15, v22
	s_nop 1
	v_cndmask_b32_e64 v32, 0, v32, s[0:1]
	v_cmp_gt_i32_e64 s[0:1], s33, v20
	s_nop 1
	v_cndmask_b32_e64 v2, 0, v2, s[0:1]
	v_perm_b32 v2, v32, v2, s20
.LBB100_42:                             ;   in Loop: Header=BB100_40 Depth=1
	s_or_b64 exec, exec, s[8:9]
	v_and_b32_e32 v29, 0xffff, v29
	v_lshl_or_b32 v32, v30, 16, v29
	v_and_b32_e32 v29, 0xffff, v31
	v_lshl_or_b32 v31, v33, 16, v29
	v_and_b32_e32 v29, 0xffff, v34
	v_lshl_or_b32 v30, v35, 16, v29
	v_and_b32_e32 v29, 0xffff, v36
	s_waitcnt vmcnt(0)
	;;#ASMSTART
	v_pk_mul_f16 v2, v32, v2;

	;;#ASMEND
	v_lshl_or_b32 v29, v37, 16, v29
	;;#ASMSTART
	v_pk_mul_f16 v3, v31, v3;

	;;#ASMEND
	;;#ASMSTART
	v_pk_mul_f16 v4, v30, v4;

	;;#ASMEND
	;; [unrolled: 4-line block ×3, first 2 shown]
	s_nop 0
	;;#ASMSTART
	v_pk_add_f16 v2, v2, v3;

	;;#ASMEND
	s_nop 0
	;;#ASMSTART
	v_pk_add_f16 v2, v2, v4;

	;;#ASMEND
	;; [unrolled: 5-line block ×3, first 2 shown]
	s_nop 0
	v_lshrrev_b32_e32 v3, 16, v2
	v_and_b32_e32 v2, 0xffff, v2
	;;#ASMSTART
	v_cvt_f32_f16 v33, v2;
	;;#ASMEND
	;;#ASMSTART
	v_cvt_f32_f16 v34, v3;
	;;#ASMEND
	global_load_dwordx4 v[2:5], v[14:15], off offset:1024
	s_and_saveexec_b64 s[8:9], vcc
	s_cbranch_execz .LBB100_44
; %bb.43:                               ;   in Loop: Header=BB100_40 Depth=1
	s_waitcnt vmcnt(0)
	v_lshrrev_b32_e32 v35, 16, v5
	v_cmp_gt_i32_e64 s[0:1], s28, v28
	s_nop 1
	v_cndmask_b32_e64 v35, 0, v35, s[0:1]
	v_cmp_gt_i32_e64 s[0:1], s27, v27
	s_nop 1
	v_cndmask_b32_e64 v5, 0, v5, s[0:1]
	v_perm_b32 v5, v35, v5, s20
	v_lshrrev_b32_e32 v35, 16, v4
	v_cmp_gt_i32_e64 s[0:1], s26, v26
	s_nop 1
	v_cndmask_b32_e64 v35, 0, v35, s[0:1]
	v_cmp_gt_i32_e64 s[0:1], s25, v25
	s_nop 1
	v_cndmask_b32_e64 v4, 0, v4, s[0:1]
	v_perm_b32 v4, v35, v4, s20
	;; [unrolled: 8-line block ×4, first 2 shown]
.LBB100_44:                             ;   in Loop: Header=BB100_40 Depth=1
	s_or_b64 exec, exec, s[8:9]
	s_waitcnt vmcnt(0)
	;;#ASMSTART
	v_pk_mul_f16 v2, v32, v2;

	;;#ASMEND
	;;#ASMSTART
	v_pk_mul_f16 v3, v31, v3;

	;;#ASMEND
	;; [unrolled: 4-line block ×4, first 2 shown]
	s_nop 0
	;;#ASMSTART
	v_pk_add_f16 v2, v2, v3;

	;;#ASMEND
	s_nop 0
	;;#ASMSTART
	v_pk_add_f16 v2, v2, v4;

	;;#ASMEND
	;; [unrolled: 5-line block ×3, first 2 shown]
	s_nop 0
	v_lshrrev_b32_e32 v3, 16, v2
	v_and_b32_e32 v2, 0xffff, v2
	;;#ASMSTART
	v_cvt_f32_f16 v35, v2;
	;;#ASMEND
	;;#ASMSTART
	v_cvt_f32_f16 v36, v3;
	;;#ASMEND
	global_load_dwordx4 v[2:5], v[14:15], off offset:2048
	s_and_saveexec_b64 s[8:9], vcc
	s_cbranch_execz .LBB100_46
; %bb.45:                               ;   in Loop: Header=BB100_40 Depth=1
	s_waitcnt vmcnt(0)
	v_lshrrev_b32_e32 v37, 16, v5
	v_cmp_gt_i32_e64 s[0:1], s28, v28
	s_nop 1
	v_cndmask_b32_e64 v37, 0, v37, s[0:1]
	v_cmp_gt_i32_e64 s[0:1], s27, v27
	s_nop 1
	v_cndmask_b32_e64 v5, 0, v5, s[0:1]
	v_perm_b32 v5, v37, v5, s20
	v_lshrrev_b32_e32 v37, 16, v4
	v_cmp_gt_i32_e64 s[0:1], s26, v26
	s_nop 1
	v_cndmask_b32_e64 v37, 0, v37, s[0:1]
	v_cmp_gt_i32_e64 s[0:1], s25, v25
	s_nop 1
	v_cndmask_b32_e64 v4, 0, v4, s[0:1]
	v_perm_b32 v4, v37, v4, s20
	;; [unrolled: 8-line block ×4, first 2 shown]
.LBB100_46:                             ;   in Loop: Header=BB100_40 Depth=1
	s_or_b64 exec, exec, s[8:9]
	s_waitcnt vmcnt(0)
	;;#ASMSTART
	v_pk_mul_f16 v2, v32, v2;

	;;#ASMEND
	;;#ASMSTART
	v_pk_mul_f16 v3, v31, v3;

	;;#ASMEND
	;; [unrolled: 4-line block ×4, first 2 shown]
	s_nop 0
	;;#ASMSTART
	v_pk_add_f16 v2, v2, v3;

	;;#ASMEND
	s_nop 0
	;;#ASMSTART
	v_pk_add_f16 v2, v2, v4;

	;;#ASMEND
	;; [unrolled: 5-line block ×3, first 2 shown]
	s_nop 0
	v_lshrrev_b32_e32 v3, 16, v2
	v_and_b32_e32 v2, 0xffff, v2
	;;#ASMSTART
	v_cvt_f32_f16 v37, v2;
	;;#ASMEND
	;;#ASMSTART
	v_cvt_f32_f16 v38, v3;
	;;#ASMEND
	global_load_dwordx4 v[2:5], v[14:15], off offset:3072
	s_and_saveexec_b64 s[0:1], vcc
	s_cbranch_execz .LBB100_39
; %bb.47:                               ;   in Loop: Header=BB100_40 Depth=1
	s_waitcnt vmcnt(0)
	v_lshrrev_b32_e32 v14, 16, v5
	v_cmp_gt_i32_e32 vcc, s28, v28
	s_nop 1
	v_cndmask_b32_e32 v14, 0, v14, vcc
	v_cmp_gt_i32_e32 vcc, s27, v27
	s_nop 1
	v_cndmask_b32_e32 v5, 0, v5, vcc
	v_perm_b32 v5, v14, v5, s20
	v_lshrrev_b32_e32 v14, 16, v4
	v_cmp_gt_i32_e32 vcc, s26, v26
	s_nop 1
	v_cndmask_b32_e32 v14, 0, v14, vcc
	v_cmp_gt_i32_e32 vcc, s25, v25
	s_nop 1
	v_cndmask_b32_e32 v4, 0, v4, vcc
	v_perm_b32 v4, v14, v4, s20
	v_lshrrev_b32_e32 v14, 16, v3
	v_cmp_gt_i32_e32 vcc, s24, v24
	s_nop 1
	v_cndmask_b32_e32 v14, 0, v14, vcc
	v_cmp_gt_i32_e32 vcc, s17, v23
	s_nop 1
	v_cndmask_b32_e32 v3, 0, v3, vcc
	v_perm_b32 v3, v14, v3, s20
	v_lshrrev_b32_e32 v14, 16, v2
	v_cmp_gt_i32_e32 vcc, s15, v22
	s_nop 1
	v_cndmask_b32_e32 v14, 0, v14, vcc
	v_cmp_gt_i32_e32 vcc, s33, v20
	s_nop 1
	v_cndmask_b32_e32 v2, 0, v2, vcc
	v_perm_b32 v2, v14, v2, s20
	s_branch .LBB100_39
.LBB100_48:
	s_or_b64 exec, exec, s[6:7]
.LBB100_49:
	s_or_b64 exec, exec, s[2:3]
	ds_bpermute_b32 v2, v17, v6
	ds_bpermute_b32 v3, v17, v7
	;; [unrolled: 1-line block ×4, first 2 shown]
	v_and_b32_e32 v1, 0x3c3, v0
	v_cmp_eq_u32_e32 vcc, 64, v1
	s_waitcnt lgkmcnt(2)
	v_pk_add_f32 v[2:3], v[6:7], v[2:3]
	ds_bpermute_b32 v6, v18, v2
	s_waitcnt lgkmcnt(1)
	v_pk_add_f32 v[8:9], v[8:9], v[4:5]
	ds_bpermute_b32 v7, v18, v3
	ds_bpermute_b32 v10, v18, v8
	;; [unrolled: 1-line block ×3, first 2 shown]
	s_waitcnt lgkmcnt(0)
	s_barrier
	v_pk_add_f32 v[4:5], v[2:3], v[6:7]
	v_pk_add_f32 v[2:3], v[8:9], v[10:11]
	s_and_saveexec_b64 s[0:1], vcc
	s_cbranch_execz .LBB100_51
; %bb.50:
	v_add_u32_e32 v6, 0x90, v16
	ds_write2_b32 v6, v4, v5 offset1:16
	ds_write2_b32 v6, v2, v3 offset0:32 offset1:48
.LBB100_51:
	s_or_b64 exec, exec, s[0:1]
	v_cmp_gt_u32_e32 vcc, 64, v0
	s_waitcnt lgkmcnt(0)
	s_barrier
	s_and_saveexec_b64 s[0:1], vcc
	s_cbranch_execz .LBB100_58
; %bb.52:
	v_cmp_eq_u32_e32 vcc, 0, v19
	v_lshrrev_b32_e32 v6, 2, v0
	s_and_saveexec_b64 s[2:3], vcc
	s_cbranch_execnz .LBB100_61
; %bb.53:
	s_or_b64 exec, exec, s[2:3]
	s_and_saveexec_b64 s[2:3], vcc
	s_cbranch_execnz .LBB100_62
.LBB100_54:
	s_or_b64 exec, exec, s[2:3]
	s_and_saveexec_b64 s[2:3], vcc
	s_cbranch_execnz .LBB100_63
.LBB100_55:
	s_or_b64 exec, exec, s[2:3]
	s_and_saveexec_b64 s[2:3], vcc
	s_cbranch_execz .LBB100_57
.LBB100_56:
	v_mov_b32_e32 v7, 0x90
	v_lshl_add_u32 v6, v6, 2, v7
	ds_read_b32 v6, v6 offset:192
	s_waitcnt lgkmcnt(0)
	v_add_f32_e32 v3, v3, v6
.LBB100_57:
	s_or_b64 exec, exec, s[2:3]
.LBB100_58:
	s_or_b64 exec, exec, s[0:1]
	v_cmp_eq_u32_e32 vcc, 0, v1
	s_barrier
	s_and_saveexec_b64 s[0:1], vcc
	s_cbranch_execz .LBB100_60
; %bb.59:
	s_mul_i32 s0, s10, s11
	s_mul_i32 s0, s0, s5
	s_lshl_b32 s0, s0, 6
	s_ashr_i32 s1, s0, 31
	s_lshl_b64 s[0:1], s[0:1], 1
	s_add_u32 s2, s18, s0
	s_mul_i32 s0, s11, s16
	s_addc_u32 s3, s19, s1
	s_ashr_i32 s1, s0, 31
	s_lshl_b64 s[0:1], s[0:1], 1
	s_add_u32 s2, s2, s0
	s_addc_u32 s3, s3, s1
	s_lshl_b32 s0, s4, 6
	s_ashr_i32 s1, s0, 31
	s_lshl_b64 s[0:1], s[0:1], 1
	s_add_u32 s0, s2, s0
	s_addc_u32 s1, s3, s1
	v_lshrrev_b32_e32 v0, 1, v0
	;;#ASMSTART
	v_cvt_f16_f32 v1, v4;

	;;#ASMEND
	global_store_short v0, v1, s[0:1]
	;;#ASMSTART
	v_cvt_f16_f32 v1, v5;

	;;#ASMEND
	global_store_short v0, v1, s[0:1] offset:32
	;;#ASMSTART
	v_cvt_f16_f32 v1, v2;

	;;#ASMEND
	global_store_short v0, v1, s[0:1] offset:64
	;; [unrolled: 5-line block ×3, first 2 shown]
.LBB100_60:
	s_endpgm
.LBB100_61:
	v_mov_b32_e32 v7, 0x90
	v_lshl_add_u32 v7, v6, 2, v7
	ds_read_b32 v7, v7
	s_waitcnt lgkmcnt(0)
	v_add_f32_e32 v4, v4, v7
	s_or_b64 exec, exec, s[2:3]
	s_and_saveexec_b64 s[2:3], vcc
	s_cbranch_execz .LBB100_54
.LBB100_62:
	v_mov_b32_e32 v7, 0x90
	v_lshl_add_u32 v7, v6, 2, v7
	ds_read_b32 v7, v7 offset:64
	s_waitcnt lgkmcnt(0)
	v_add_f32_e32 v5, v5, v7
	s_or_b64 exec, exec, s[2:3]
	s_and_saveexec_b64 s[2:3], vcc
	s_cbranch_execz .LBB100_55
.LBB100_63:
	v_mov_b32_e32 v7, 0x90
	v_lshl_add_u32 v7, v6, 2, v7
	ds_read_b32 v7, v7 offset:128
	s_waitcnt lgkmcnt(0)
	v_add_f32_e32 v2, v2, v7
	s_or_b64 exec, exec, s[2:3]
	s_and_saveexec_b64 s[2:3], vcc
	s_cbranch_execnz .LBB100_56
	s_branch .LBB100_57
	.section	.rodata,"a",@progbits
	.p2align	6, 0x0
	.amdhsa_kernel _ZN4vllm25paged_attention_v1_kernelIttLi64ELi32ELi128ELNS_18Fp8KVCacheDataTypeE0ELb0EEEvPT_PKS2_PKT0_S8_ifPKiSA_iPKfiiiSC_SC_iiiii
		.amdhsa_group_segment_fixed_size 144
		.amdhsa_private_segment_fixed_size 0
		.amdhsa_kernarg_size 384
		.amdhsa_user_sgpr_count 2
		.amdhsa_user_sgpr_dispatch_ptr 0
		.amdhsa_user_sgpr_queue_ptr 0
		.amdhsa_user_sgpr_kernarg_segment_ptr 1
		.amdhsa_user_sgpr_dispatch_id 0
		.amdhsa_user_sgpr_kernarg_preload_length 0
		.amdhsa_user_sgpr_kernarg_preload_offset 0
		.amdhsa_user_sgpr_private_segment_size 0
		.amdhsa_uses_dynamic_stack 0
		.amdhsa_enable_private_segment 0
		.amdhsa_system_sgpr_workgroup_id_x 1
		.amdhsa_system_sgpr_workgroup_id_y 1
		.amdhsa_system_sgpr_workgroup_id_z 1
		.amdhsa_system_sgpr_workgroup_info 0
		.amdhsa_system_vgpr_workitem_id 0
		.amdhsa_next_free_vgpr 59
		.amdhsa_next_free_sgpr 34
		.amdhsa_accum_offset 60
		.amdhsa_reserve_vcc 1
		.amdhsa_float_round_mode_32 0
		.amdhsa_float_round_mode_16_64 0
		.amdhsa_float_denorm_mode_32 3
		.amdhsa_float_denorm_mode_16_64 3
		.amdhsa_dx10_clamp 1
		.amdhsa_ieee_mode 1
		.amdhsa_fp16_overflow 0
		.amdhsa_tg_split 0
		.amdhsa_exception_fp_ieee_invalid_op 0
		.amdhsa_exception_fp_denorm_src 0
		.amdhsa_exception_fp_ieee_div_zero 0
		.amdhsa_exception_fp_ieee_overflow 0
		.amdhsa_exception_fp_ieee_underflow 0
		.amdhsa_exception_fp_ieee_inexact 0
		.amdhsa_exception_int_div_zero 0
	.end_amdhsa_kernel
	.section	.text._ZN4vllm25paged_attention_v1_kernelIttLi64ELi32ELi128ELNS_18Fp8KVCacheDataTypeE0ELb0EEEvPT_PKS2_PKT0_S8_ifPKiSA_iPKfiiiSC_SC_iiiii,"axG",@progbits,_ZN4vllm25paged_attention_v1_kernelIttLi64ELi32ELi128ELNS_18Fp8KVCacheDataTypeE0ELb0EEEvPT_PKS2_PKT0_S8_ifPKiSA_iPKfiiiSC_SC_iiiii,comdat
.Lfunc_end100:
	.size	_ZN4vllm25paged_attention_v1_kernelIttLi64ELi32ELi128ELNS_18Fp8KVCacheDataTypeE0ELb0EEEvPT_PKS2_PKT0_S8_ifPKiSA_iPKfiiiSC_SC_iiiii, .Lfunc_end100-_ZN4vllm25paged_attention_v1_kernelIttLi64ELi32ELi128ELNS_18Fp8KVCacheDataTypeE0ELb0EEEvPT_PKS2_PKT0_S8_ifPKiSA_iPKfiiiSC_SC_iiiii
                                        ; -- End function
	.section	.AMDGPU.csdata,"",@progbits
; Kernel info:
; codeLenInByte = 5856
; NumSgprs: 40
; NumVgprs: 59
; NumAgprs: 0
; TotalNumVgprs: 59
; ScratchSize: 0
; MemoryBound: 0
; FloatMode: 240
; IeeeMode: 1
; LDSByteSize: 144 bytes/workgroup (compile time only)
; SGPRBlocks: 4
; VGPRBlocks: 7
; NumSGPRsForWavesPerEU: 40
; NumVGPRsForWavesPerEU: 59
; AccumOffset: 60
; Occupancy: 8
; WaveLimiterHint : 1
; COMPUTE_PGM_RSRC2:SCRATCH_EN: 0
; COMPUTE_PGM_RSRC2:USER_SGPR: 2
; COMPUTE_PGM_RSRC2:TRAP_HANDLER: 0
; COMPUTE_PGM_RSRC2:TGID_X_EN: 1
; COMPUTE_PGM_RSRC2:TGID_Y_EN: 1
; COMPUTE_PGM_RSRC2:TGID_Z_EN: 1
; COMPUTE_PGM_RSRC2:TIDIG_COMP_CNT: 0
; COMPUTE_PGM_RSRC3_GFX90A:ACCUM_OFFSET: 14
; COMPUTE_PGM_RSRC3_GFX90A:TG_SPLIT: 0
	.section	.text._ZN4vllm25paged_attention_v1_kernelIttLi80ELi32ELi128ELNS_18Fp8KVCacheDataTypeE0ELb0EEEvPT_PKS2_PKT0_S8_ifPKiSA_iPKfiiiSC_SC_iiiii,"axG",@progbits,_ZN4vllm25paged_attention_v1_kernelIttLi80ELi32ELi128ELNS_18Fp8KVCacheDataTypeE0ELb0EEEvPT_PKS2_PKT0_S8_ifPKiSA_iPKfiiiSC_SC_iiiii,comdat
	.protected	_ZN4vllm25paged_attention_v1_kernelIttLi80ELi32ELi128ELNS_18Fp8KVCacheDataTypeE0ELb0EEEvPT_PKS2_PKT0_S8_ifPKiSA_iPKfiiiSC_SC_iiiii ; -- Begin function _ZN4vllm25paged_attention_v1_kernelIttLi80ELi32ELi128ELNS_18Fp8KVCacheDataTypeE0ELb0EEEvPT_PKS2_PKT0_S8_ifPKiSA_iPKfiiiSC_SC_iiiii
	.globl	_ZN4vllm25paged_attention_v1_kernelIttLi80ELi32ELi128ELNS_18Fp8KVCacheDataTypeE0ELb0EEEvPT_PKS2_PKT0_S8_ifPKiSA_iPKfiiiSC_SC_iiiii
	.p2align	8
	.type	_ZN4vllm25paged_attention_v1_kernelIttLi80ELi32ELi128ELNS_18Fp8KVCacheDataTypeE0ELb0EEEvPT_PKS2_PKT0_S8_ifPKiSA_iPKfiiiSC_SC_iiiii,@function
_ZN4vllm25paged_attention_v1_kernelIttLi80ELi32ELi128ELNS_18Fp8KVCacheDataTypeE0ELb0EEEvPT_PKS2_PKT0_S8_ifPKiSA_iPKfiiiSC_SC_iiiii: ; @_ZN4vllm25paged_attention_v1_kernelIttLi80ELi32ELi128ELNS_18Fp8KVCacheDataTypeE0ELb0EEEvPT_PKS2_PKT0_S8_ifPKiSA_iPKfiiiSC_SC_iiiii
; %bb.0:
	s_load_dword s5, s[0:1], 0x80
	s_load_dwordx2 s[6:7], s[0:1], 0x30
	s_load_dwordx2 s[8:9], s[0:1], 0x20
	s_mov_b32 s10, s3
	s_ashr_i32 s11, s3, 31
	s_lshl_b64 s[12:13], s[10:11], 2
	s_waitcnt lgkmcnt(0)
	s_add_u32 s6, s6, s12
	s_addc_u32 s7, s7, s13
	s_abs_i32 s3, s8
	v_cvt_f32_u32_e32 v1, s3
	s_sub_i32 s12, 0, s3
	s_abs_i32 s11, s5
	s_xor_b32 s8, s5, s8
	v_rcp_iflag_f32_e32 v1, v1
	s_ashr_i32 s8, s8, 31
	v_mul_f32_e32 v1, 0x4f7ffffe, v1
	v_cvt_u32_f32_e32 v1, v1
	s_nop 0
	v_readfirstlane_b32 s13, v1
	s_mul_i32 s12, s12, s13
	s_mul_hi_u32 s12, s13, s12
	s_add_i32 s13, s13, s12
	s_mul_hi_u32 s12, s11, s13
	s_mul_i32 s13, s12, s3
	s_sub_i32 s11, s11, s13
	s_add_i32 s13, s12, 1
	s_sub_i32 s14, s11, s3
	s_cmp_ge_u32 s11, s3
	s_cselect_b32 s12, s13, s12
	s_cselect_b32 s11, s14, s11
	s_add_i32 s13, s12, 1
	s_cmp_ge_u32 s11, s3
	s_cselect_b32 s3, s13, s12
	s_xor_b32 s3, s3, s8
	s_sub_i32 s14, s3, s8
	s_abs_i32 s11, s14
	v_cvt_f32_u32_e32 v1, s11
	s_load_dwordx2 s[12:13], s[0:1], 0x40
	s_sub_i32 s3, 0, s11
	s_abs_i32 s18, s2
	v_rcp_iflag_f32_e32 v1, v1
	s_mov_b32 s8, 0
	v_mul_f32_e32 v1, 0x4f7ffffe, v1
	v_cvt_u32_f32_e32 v1, v1
	s_nop 0
	v_readfirstlane_b32 s15, v1
	s_mul_i32 s3, s3, s15
	s_mul_hi_u32 s3, s15, s3
	s_add_i32 s15, s15, s3
	s_waitcnt lgkmcnt(0)
	s_cmp_eq_u64 s[12:13], 0
	s_mul_hi_u32 s19, s18, s15
	s_cbranch_scc1 .LBB101_2
; %bb.1:
	s_ashr_i32 s3, s2, 31
	s_lshl_b64 s[16:17], s[2:3], 2
	s_add_u32 s12, s12, s16
	s_addc_u32 s13, s13, s17
	s_load_dword s8, s[12:13], 0x0
.LBB101_2:
	s_load_dword s33, s[6:7], 0x0
	s_ashr_i32 s7, s14, 31
	s_load_dwordx4 s[12:15], s[0:1], 0x48
	s_ashr_i32 s6, s2, 31
	v_and_b32_e32 v4, 1, v0
	s_waitcnt lgkmcnt(0)
	s_movk_i32 s15, 0x50
	s_mul_i32 s16, s2, 0x50
	v_cmp_gt_u32_e32 vcc, 20, v0
	v_lshlrev_b32_e32 v18, 3, v0
	s_and_saveexec_b64 s[2:3], vcc
	s_cbranch_execz .LBB101_4
; %bb.3:
	s_load_dwordx2 s[20:21], s[0:1], 0x8
	s_mul_i32 s22, s10, s12
	s_ashr_i32 s23, s22, 31
	s_lshl_b64 s[22:23], s[22:23], 1
	v_lshlrev_b32_e32 v1, 2, v0
	s_waitcnt lgkmcnt(0)
	s_add_u32 s12, s20, s22
	s_addc_u32 s22, s21, s23
	s_ashr_i32 s17, s16, 31
	s_lshl_b64 s[20:21], s[16:17], 1
	s_add_u32 s20, s12, s20
	s_addc_u32 s21, s22, s21
	global_load_dwordx2 v[2:3], v18, s[20:21]
	v_and_b32_e32 v1, 0xff8, v1
	v_mad_u32_u24 v1, v4, s15, v1
	s_waitcnt vmcnt(0)
	ds_write_b64 v1, v[2:3]
.LBB101_4:
	s_or_b64 exec, exec, s[2:3]
	s_add_i32 s3, s33, 31
	s_ashr_i32 s12, s3, 31
	s_lshr_b32 s12, s12, 27
	s_add_i32 s3, s3, s12
	s_ashr_i32 s17, s3, 5
	s_xor_b32 s3, s6, s7
	s_mul_i32 s6, s19, s11
	s_sub_i32 s6, s18, s6
	s_add_i32 s7, s19, 1
	s_sub_i32 s12, s6, s11
	s_load_dwordx2 s[20:21], s[0:1], 0x28
	s_load_dword s2, s[0:1], 0x38
	s_cmp_ge_u32 s6, s11
	s_cselect_b32 s7, s7, s19
	s_cselect_b32 s6, s12, s6
	s_add_i32 s12, s7, 1
	s_cmp_ge_u32 s6, s11
	s_cselect_b32 s6, s12, s7
	v_lshrrev_b32_e32 v1, 6, v0
	s_xor_b32 s6, s6, s3
	s_waitcnt lgkmcnt(0)
	s_mul_i32 s22, s10, s2
	s_sub_i32 s12, s6, s3
	s_ashr_i32 s23, s22, 31
	v_cmp_gt_i32_e64 s[6:7], s17, v1
	v_cmp_le_i32_e32 vcc, s17, v1
	v_mbcnt_lo_u32_b32 v6, -1, 0
	s_barrier
	s_waitcnt lgkmcnt(0)
                                        ; implicit-def: $sgpr15
                                        ; implicit-def: $vgpr23
                                        ; implicit-def: $vgpr22
	s_and_saveexec_b64 s[2:3], vcc
	s_xor_b64 s[2:3], exec, s[2:3]
; %bb.5:
	v_mbcnt_hi_u32_b32 v23, -1, v6
	v_and_b32_e32 v2, 64, v23
	v_add_u32_e32 v22, 64, v2
	s_mov_b32 s15, 0xff7fffff
                                        ; implicit-def: $vgpr4
                                        ; implicit-def: $vgpr6
; %bb.6:
	s_or_saveexec_b64 s[26:27], s[2:3]
	s_load_dwordx2 s[18:19], s[0:1], 0x0
	s_load_dwordx2 s[24:25], s[0:1], 0x18
	s_load_dword s11, s[0:1], 0x88
	v_mov_b32_e32 v20, s15
	s_mul_i32 s14, s12, s14
	v_lshrrev_b32_e32 v19, 4, v0
	s_xor_b64 exec, exec, s[26:27]
	s_cbranch_execz .LBB101_12
; %bb.7:
	s_load_dwordx2 s[0:1], s[0:1], 0x10
	s_ashr_i32 s15, s14, 31
	s_lshl_b64 s[2:3], s[14:15], 1
	v_bfe_u32 v5, v0, 1, 5
	v_lshlrev_b32_e32 v8, 4, v5
	s_waitcnt lgkmcnt(0)
	s_add_u32 s0, s0, s2
	s_addc_u32 s1, s1, s3
	v_mov_b32_e32 v9, 0
	v_lshl_add_u64 v[2:3], s[0:1], 0, v[8:9]
	s_sub_i32 s15, 1, s33
	s_lshl_b64 s[0:1], s[22:23], 2
	v_and_b32_e32 v8, 8, v18
	v_mul_u32_u24_e32 v21, 0x50, v4
	v_cmp_eq_u32_e32 vcc, 0, v4
	v_lshlrev_b32_e32 v4, 2, v5
	s_add_u32 s0, s20, s0
	v_mbcnt_hi_u32_b32 v23, -1, v6
	v_lshl_add_u64 v[2:3], v[2:3], 0, v[8:9]
	v_lshl_or_b32 v4, v1, 7, v4
	v_and_b32_e32 v8, 60, v19
	s_addc_u32 s1, s21, s1
	v_and_b32_e32 v6, 64, v23
	s_mov_b32 s12, s13
	v_cmp_neq_f32_e64 s[2:3], s8, 0
	v_lshl_or_b32 v24, v1, 5, v5
	v_add_u32_e32 v25, 0xb0, v4
	v_lshl_add_u64 v[4:5], s[0:1], 0, v[8:9]
	s_mov_b64 s[28:29], 0
	v_mov_b32_e32 v20, 0xff7fffff
	s_movk_i32 s34, 0x1000
	v_xor_b32_e32 v26, 1, v23
	v_add_u32_e32 v22, 64, v6
	v_mov_b32_e32 v27, v1
	s_branch .LBB101_9
.LBB101_8:                              ;   in Loop: Header=BB101_9 Depth=1
	s_or_b64 exec, exec, s[30:31]
	v_add_u32_e32 v27, 2, v27
	v_cmp_le_i32_e64 s[0:1], s17, v27
	v_add_u32_e32 v24, 64, v24
	v_add_u32_e32 v25, 0x100, v25
	s_or_b64 s[28:29], s[0:1], s[28:29]
	v_lshl_add_u64 v[4:5], v[4:5], 0, 8
	s_andn2_b64 exec, exec, s[28:29]
	s_cbranch_execz .LBB101_11
.LBB101_9:                              ; =>This Inner Loop Header: Depth=1
	global_load_dword v6, v[4:5], off
	s_waitcnt vmcnt(0) lgkmcnt(0)
	v_mad_i64_i32 v[6:7], s[0:1], v6, s12, 0
	v_lshl_add_u64 v[6:7], v[6:7], 1, v[2:3]
	global_load_dwordx2 v[28:29], v[6:7], off
	global_load_dwordx2 v[30:31], v[6:7], off offset:512
	global_load_dwordx2 v[32:33], v[6:7], off offset:1024
	;; [unrolled: 1-line block ×7, first 2 shown]
	v_add_co_u32_e64 v36, s[0:1], s34, v6
	s_waitcnt vmcnt(7)
	v_lshrrev_b32_e32 v40, 16, v28
	v_addc_co_u32_e64 v37, s[0:1], 0, v7, s[0:1]
	global_load_dwordx2 v[8:9], v[36:37], off
	global_load_dwordx2 v[6:7], v[36:37], off offset:512
	ds_read_b64 v[36:37], v21
	v_and_b32_e32 v28, 0xffff, v28
	v_lshrrev_b32_e32 v41, 16, v29
	v_and_b32_e32 v29, 0xffff, v29
	s_waitcnt vmcnt(2)
	v_lshrrev_b32_e32 v54, 16, v10
	s_waitcnt lgkmcnt(0)
	v_lshrrev_b32_e32 v38, 16, v36
	v_and_b32_e32 v36, 0xffff, v36
	v_lshrrev_b32_e32 v39, 16, v37
	v_and_b32_e32 v37, 0xffff, v37
	;;#ASMSTART
	v_cvt_f32_f16 v36, v36;
	;;#ASMEND
	;;#ASMSTART
	v_cvt_f32_f16 v38, v38;
	;;#ASMEND
	v_and_b32_e32 v55, 0xffff, v10
	v_lshrrev_b32_e32 v56, 16, v11
	v_and_b32_e32 v57, 0xffff, v11
	;;#ASMSTART
	v_cvt_f32_f16 v28, v28;
	;;#ASMEND
	;;#ASMSTART
	v_cvt_f32_f16 v40, v40;
	;;#ASMEND
	;; [unrolled: 3-line block ×6, first 2 shown]
	ds_read_b64 v[10:11], v21 offset:8
	v_lshrrev_b32_e32 v42, 16, v30
	v_and_b32_e32 v30, 0xffff, v30
	v_lshrrev_b32_e32 v43, 16, v31
	v_and_b32_e32 v31, 0xffff, v31
	;; [unrolled: 2-line block ×12, first 2 shown]
	v_cmp_lt_i32_e64 s[0:1], v26, v22
	s_waitcnt vmcnt(1)
	v_lshrrev_b32_e32 v58, 16, v8
	v_and_b32_e32 v59, 0xffff, v8
	v_lshrrev_b32_e32 v60, 16, v9
	v_and_b32_e32 v61, 0xffff, v9
	s_waitcnt lgkmcnt(0)
	v_lshrrev_b32_e32 v8, 16, v10
	v_and_b32_e32 v9, 0xffff, v10
	v_lshrrev_b32_e32 v10, 16, v11
	v_and_b32_e32 v11, 0xffff, v11
	;;#ASMSTART
	v_cvt_f32_f16 v63, v9;
	;;#ASMEND
	;;#ASMSTART
	v_cvt_f32_f16 v64, v8;
	;;#ASMEND
	;; [unrolled: 3-line block ×8, first 2 shown]
	ds_read_b64 v[8:9], v21 offset:16
	v_mul_f32_e32 v30, v63, v30
	v_mul_f32_e32 v11, v11, v31
	;; [unrolled: 1-line block ×3, first 2 shown]
	v_fmac_f32_e32 v30, v36, v28
	v_fmac_f32_e32 v11, v37, v29
	s_waitcnt lgkmcnt(0)
	v_lshrrev_b32_e32 v28, 16, v8
	v_and_b32_e32 v8, 0xffff, v8
	v_lshrrev_b32_e32 v29, 16, v9
	v_and_b32_e32 v9, 0xffff, v9
	v_fmac_f32_e32 v42, v38, v40
	;;#ASMSTART
	v_cvt_f32_f16 v31, v8;
	;;#ASMEND
	;;#ASMSTART
	v_cvt_f32_f16 v28, v28;
	;;#ASMEND
	;; [unrolled: 3-line block ×8, first 2 shown]
	ds_read_b64 v[8:9], v21 offset:24
	v_mul_f32_e32 v10, v10, v43
	v_fmac_f32_e32 v10, v39, v41
	v_fmac_f32_e32 v42, v28, v36
	;; [unrolled: 1-line block ×3, first 2 shown]
	s_waitcnt lgkmcnt(0)
	v_lshrrev_b32_e32 v28, 16, v8
	v_and_b32_e32 v8, 0xffff, v8
	v_lshrrev_b32_e32 v29, 16, v9
	v_and_b32_e32 v9, 0xffff, v9
	v_fmac_f32_e32 v30, v31, v32
	v_fmac_f32_e32 v11, v37, v33
	;;#ASMSTART
	v_cvt_f32_f16 v31, v8;
	;;#ASMEND
	;;#ASMSTART
	v_cvt_f32_f16 v28, v28;
	;;#ASMEND
	;;#ASMSTART
	v_cvt_f32_f16 v32, v34;
	;;#ASMEND
	;;#ASMSTART
	v_cvt_f32_f16 v33, v46;
	;;#ASMEND
	;;#ASMSTART
	v_cvt_f32_f16 v34, v9;
	;;#ASMEND
	;;#ASMSTART
	v_cvt_f32_f16 v29, v29;
	;;#ASMEND
	;;#ASMSTART
	v_cvt_f32_f16 v35, v35;
	;;#ASMEND
	;;#ASMSTART
	v_cvt_f32_f16 v36, v47;
	;;#ASMEND
	ds_read_b64 v[8:9], v21 offset:32
	v_fmac_f32_e32 v42, v28, v33
	v_fmac_f32_e32 v10, v29, v36
	v_fmac_f32_e32 v30, v31, v32
	v_fmac_f32_e32 v11, v34, v35
	s_waitcnt lgkmcnt(0)
	v_lshrrev_b32_e32 v28, 16, v8
	v_and_b32_e32 v8, 0xffff, v8
	v_lshrrev_b32_e32 v29, 16, v9
	v_and_b32_e32 v9, 0xffff, v9
	;;#ASMSTART
	v_cvt_f32_f16 v31, v8;
	;;#ASMEND
	;;#ASMSTART
	v_cvt_f32_f16 v28, v28;
	;;#ASMEND
	;;#ASMSTART
	v_cvt_f32_f16 v16, v16;
	;;#ASMEND
	;;#ASMSTART
	v_cvt_f32_f16 v32, v48;
	;;#ASMEND
	;;#ASMSTART
	v_cvt_f32_f16 v33, v9;
	;;#ASMEND
	;;#ASMSTART
	v_cvt_f32_f16 v29, v29;
	;;#ASMEND
	;;#ASMSTART
	v_cvt_f32_f16 v17, v17;
	;;#ASMEND
	;;#ASMSTART
	v_cvt_f32_f16 v34, v49;
	;;#ASMEND
	ds_read_b64 v[8:9], v21 offset:40
	v_fmac_f32_e32 v30, v31, v16
	v_fmac_f32_e32 v11, v33, v17
	v_fmac_f32_e32 v42, v28, v32
	v_fmac_f32_e32 v10, v29, v34
	s_waitcnt lgkmcnt(0)
	v_lshrrev_b32_e32 v16, 16, v8
	v_and_b32_e32 v8, 0xffff, v8
	v_lshrrev_b32_e32 v17, 16, v9
	v_and_b32_e32 v9, 0xffff, v9
	;; [unrolled: 34-line block ×5, first 2 shown]
	;;#ASMSTART
	v_cvt_f32_f16 v14, v8;
	;;#ASMEND
	;;#ASMSTART
	v_cvt_f32_f16 v12, v12;
	;;#ASMEND
	;; [unrolled: 3-line block ×8, first 2 shown]
	ds_read_b64 v[8:9], v21 offset:72
	s_waitcnt vmcnt(0)
	v_lshrrev_b32_e32 v62, 16, v6
	v_and_b32_e32 v6, 0xffff, v6
	v_fmac_f32_e32 v42, v12, v16
	v_fmac_f32_e32 v30, v14, v15
	s_waitcnt lgkmcnt(0)
	v_lshrrev_b32_e32 v12, 16, v8
	v_and_b32_e32 v8, 0xffff, v8
	;;#ASMSTART
	v_cvt_f32_f16 v8, v8;
	;;#ASMEND
	;;#ASMSTART
	v_cvt_f32_f16 v12, v12;
	;;#ASMEND
	;; [unrolled: 3-line block ×3, first 2 shown]
	v_fmac_f32_e32 v11, v17, v28
	v_fmac_f32_e32 v30, v8, v6
	v_and_b32_e32 v6, 0xffff, v9
	v_fmac_f32_e32 v10, v13, v29
	v_lshrrev_b32_e32 v13, 16, v9
	;;#ASMSTART
	v_cvt_f32_f16 v14, v62;
	;;#ASMEND
	;;#ASMSTART
	v_cvt_f32_f16 v6, v6;
	;;#ASMEND
	v_lshrrev_b32_e32 v9, 16, v7
	v_fmac_f32_e32 v42, v12, v14
	v_and_b32_e32 v7, 0xffff, v7
	;;#ASMSTART
	v_cvt_f32_f16 v8, v13;
	;;#ASMEND
	;;#ASMSTART
	v_cvt_f32_f16 v7, v7;
	;;#ASMEND
	;; [unrolled: 3-line block ×3, first 2 shown]
	s_nop 0
	v_fmac_f32_e32 v11, v6, v7
	v_add_f32_e32 v6, v30, v42
	v_fmac_f32_e32 v10, v8, v9
	v_add_f32_e32 v6, v6, v11
	v_cndmask_b32_e64 v7, v23, v26, s[0:1]
	v_add_f32_e32 v6, v10, v6
	v_lshlrev_b32_e32 v7, 2, v7
	ds_bpermute_b32 v7, v7, v6
	s_and_saveexec_b64 s[30:31], vcc
	s_cbranch_execz .LBB101_8
; %bb.10:                               ;   in Loop: Header=BB101_9 Depth=1
	v_add_u32_e32 v8, s15, v24
	v_cvt_f32_i32_e32 v8, v8
	s_waitcnt lgkmcnt(0)
	v_add_f32_e32 v6, v6, v7
	v_cmp_gt_i32_e64 s[0:1], s33, v24
	v_max_f32_e32 v7, v20, v20
	v_mul_f32_e32 v8, s8, v8
	v_cndmask_b32_e64 v8, 0, v8, s[2:3]
	v_fmac_f32_e32 v8, s9, v6
	v_cndmask_b32_e64 v6, 0, v8, s[0:1]
	ds_write_b32 v25, v6
	v_max_f32_e32 v6, v7, v8
	v_cndmask_b32_e64 v20, v20, v6, s[0:1]
	s_branch .LBB101_8
.LBB101_11:
	s_or_b64 exec, exec, s[28:29]
.LBB101_12:
	s_or_b64 exec, exec, s[26:27]
	v_xor_b32_e32 v2, 32, v23
	v_cmp_lt_i32_e32 vcc, v2, v22
	v_xor_b32_e32 v5, 16, v23
	v_max_f32_e32 v4, v20, v20
	v_cndmask_b32_e32 v2, v23, v2, vcc
	v_lshlrev_b32_e32 v2, 2, v2
	ds_bpermute_b32 v3, v2, v20
	v_cmp_lt_i32_e32 vcc, v5, v22
	v_xor_b32_e32 v6, 8, v23
	s_waitcnt lgkmcnt(0)
	v_xor_b32_e32 v7, 4, v23
	v_xor_b32_e32 v8, 2, v23
	v_max_f32_e32 v3, v3, v3
	v_max_f32_e32 v4, v4, v3
	v_cndmask_b32_e32 v3, v23, v5, vcc
	v_lshlrev_b32_e32 v3, 2, v3
	ds_bpermute_b32 v5, v3, v4
	v_cmp_lt_i32_e32 vcc, v6, v22
	v_and_b32_e32 v20, 63, v0
	s_waitcnt lgkmcnt(0)
	v_max_f32_e32 v5, v5, v5
	v_max_f32_e32 v5, v4, v5
	v_cndmask_b32_e32 v4, v23, v6, vcc
	v_lshlrev_b32_e32 v4, 2, v4
	ds_bpermute_b32 v6, v4, v5
	v_cmp_lt_i32_e32 vcc, v7, v22
	s_waitcnt lgkmcnt(0)
	v_max_f32_e32 v6, v6, v6
	v_max_f32_e32 v6, v5, v6
	v_cndmask_b32_e32 v5, v23, v7, vcc
	v_lshlrev_b32_e32 v5, 2, v5
	ds_bpermute_b32 v7, v5, v6
	v_cmp_lt_i32_e32 vcc, v8, v22
	s_waitcnt lgkmcnt(0)
	v_max_f32_e32 v7, v7, v7
	v_max_f32_e32 v7, v6, v7
	v_cndmask_b32_e32 v6, v23, v8, vcc
	v_lshlrev_b32_e32 v21, 2, v6
	ds_bpermute_b32 v8, v21, v7
	v_cmp_eq_u32_e32 vcc, 0, v20
	v_lshlrev_b32_e32 v6, 2, v1
	s_and_saveexec_b64 s[0:1], vcc
	s_cbranch_execz .LBB101_14
; %bb.13:
	s_waitcnt lgkmcnt(0)
	v_max_f32_e32 v8, v8, v8
	v_max_f32_e32 v7, v7, v7
	;; [unrolled: 1-line block ×3, first 2 shown]
	ds_write_b32 v6, v7 offset:160
.LBB101_14:
	s_or_b64 exec, exec, s[0:1]
	v_cmp_gt_u32_e64 s[0:1], 2, v20
	s_waitcnt lgkmcnt(0)
	v_mov_b32_e32 v8, 0xff7fffff
	v_lshlrev_b32_e32 v7, 2, v20
	s_barrier
	s_and_saveexec_b64 s[2:3], s[0:1]
	s_cbranch_execz .LBB101_16
; %bb.15:
	ds_read_b32 v8, v7 offset:160
.LBB101_16:
	s_or_b64 exec, exec, s[2:3]
	v_xor_b32_e32 v9, 1, v23
	v_cmp_lt_i32_e64 s[2:3], v9, v22
	v_lshlrev_b32_e32 v10, 2, v23
	s_nop 0
	v_cndmask_b32_e64 v9, v23, v9, s[2:3]
	v_lshlrev_b32_e32 v22, 2, v9
	s_waitcnt lgkmcnt(0)
	ds_bpermute_b32 v9, v22, v8
	v_max_f32_e32 v8, v8, v8
	s_lshl_b32 s2, s17, 5
	s_min_i32 s12, s2, s33
	v_cmp_gt_i32_e64 s[2:3], s12, v0
	s_waitcnt lgkmcnt(0)
	v_max_f32_e32 v9, v9, v9
	v_max_f32_e32 v9, v8, v9
	v_and_b32_e32 v8, 0xffffff00, v10
	ds_bpermute_b32 v10, v8, v9
	v_mov_b32_e32 v9, 0
	s_and_saveexec_b64 s[26:27], s[2:3]
	s_cbranch_execz .LBB101_20
; %bb.17:
	v_mov_b32_e32 v9, 0xb0
	v_lshl_add_u32 v11, v0, 2, v9
	s_mov_b64 s[28:29], 0
	v_mov_b32_e32 v9, 0
	v_mov_b32_e32 v12, v0
.LBB101_18:                             ; =>This Inner Loop Header: Depth=1
	ds_read_b32 v13, v11
	v_add_u32_e32 v12, 0x80, v12
	v_cmp_le_i32_e64 s[8:9], s12, v12
	s_or_b64 s[28:29], s[8:9], s[28:29]
	s_waitcnt lgkmcnt(0)
	v_sub_f32_e32 v13, v13, v10
	v_mul_f32_e32 v13, 0x3fb8aa3b, v13
	v_exp_f32_e32 v13, v13
	ds_write_b32 v11, v13
	v_add_f32_e32 v9, v9, v13
	v_add_u32_e32 v11, 0x200, v11
	s_andn2_b64 exec, exec, s[28:29]
	s_cbranch_execnz .LBB101_18
; %bb.19:
	s_or_b64 exec, exec, s[28:29]
.LBB101_20:
	s_or_b64 exec, exec, s[26:27]
	ds_bpermute_b32 v2, v2, v9
	s_waitcnt lgkmcnt(0)
	v_add_f32_e32 v2, v9, v2
	ds_bpermute_b32 v3, v3, v2
	s_waitcnt lgkmcnt(0)
	v_add_f32_e32 v2, v2, v3
	ds_bpermute_b32 v3, v4, v2
	s_waitcnt lgkmcnt(0)
	v_add_f32_e32 v2, v2, v3
	ds_bpermute_b32 v3, v5, v2
	s_waitcnt lgkmcnt(0)
	v_add_f32_e32 v2, v2, v3
	ds_bpermute_b32 v3, v21, v2
	s_waitcnt lgkmcnt(0)
	v_add_f32_e32 v2, v2, v3
	ds_bpermute_b32 v3, v22, v2
	s_waitcnt lgkmcnt(0)
	v_add_f32_e32 v2, v2, v3
	s_and_saveexec_b64 s[8:9], vcc
	s_cbranch_execz .LBB101_22
; %bb.21:
	ds_write_b32 v6, v2 offset:168
.LBB101_22:
	s_or_b64 exec, exec, s[8:9]
	s_waitcnt lgkmcnt(0)
	s_barrier
	s_and_saveexec_b64 s[8:9], s[0:1]
	s_cbranch_execz .LBB101_24
; %bb.23:
	ds_read_b32 v2, v7 offset:168
.LBB101_24:
	s_or_b64 exec, exec, s[8:9]
	s_waitcnt lgkmcnt(0)
	ds_bpermute_b32 v3, v22, v2
	s_waitcnt lgkmcnt(0)
	v_add_f32_e32 v2, v2, v3
	ds_bpermute_b32 v2, v8, v2
	s_and_saveexec_b64 s[0:1], s[2:3]
	s_cbranch_execz .LBB101_37
; %bb.25:
	s_waitcnt lgkmcnt(0)
	v_add_f32_e32 v2, 0x358637bd, v2
	v_div_scale_f32 v3, s[2:3], v2, v2, 1.0
	v_rcp_f32_e32 v4, v3
	v_div_scale_f32 v5, vcc, 1.0, v2, 1.0
	s_movk_i32 s2, 0x7f
	v_fma_f32 v6, -v3, v4, 1.0
	v_fmac_f32_e32 v4, v6, v4
	v_mul_f32_e32 v6, v5, v4
	v_fma_f32 v7, -v3, v6, v5
	v_fmac_f32_e32 v6, v7, v4
	v_fma_f32 v3, -v3, v6, v5
	v_div_fmas_f32 v3, v3, v4, v6
	v_xad_u32 v4, v0, -1, s12
	v_div_fixup_f32 v2, v3, v2, 1.0
	v_cmp_lt_u32_e32 vcc, s2, v4
	s_mov_b64 s[8:9], -1
	v_mov_b32_e32 v3, v0
	s_and_saveexec_b64 s[2:3], vcc
	s_cbranch_execz .LBB101_34
; %bb.26:
	v_lshrrev_b32_e32 v4, 7, v4
	v_add_u32_e32 v6, -1, v4
	v_lshrrev_b32_e32 v5, 1, v6
	v_mov_b32_e32 v3, v2
	v_add_u32_e32 v5, 1, v5
	v_cmp_lt_u32_e32 vcc, 13, v6
	v_mov_b32_e32 v8, 0
	s_and_saveexec_b64 s[8:9], vcc
	s_cbranch_execz .LBB101_30
; %bb.27:
	v_mov_b32_e32 v7, 0xb0
	v_and_b32_e32 v6, -8, v5
	v_lshl_add_u32 v7, v0, 2, v7
	s_mov_b32 s15, 0
	s_mov_b64 s[26:27], 0
.LBB101_28:                             ; =>This Inner Loop Header: Depth=1
	ds_read2st64_b32 v[8:9], v7 offset1:2
	ds_read2st64_b32 v[10:11], v7 offset0:4 offset1:6
	ds_read2st64_b32 v[12:13], v7 offset0:8 offset1:10
	;; [unrolled: 1-line block ×3, first 2 shown]
	v_add_u32_e32 v6, -8, v6
	s_waitcnt lgkmcnt(3)
	v_pk_mul_f32 v[8:9], v[2:3], v[8:9]
	s_waitcnt lgkmcnt(2)
	v_pk_mul_f32 v[10:11], v[2:3], v[10:11]
	ds_write2st64_b32 v7, v8, v9 offset1:2
	ds_write2st64_b32 v7, v10, v11 offset0:4 offset1:6
	ds_read2st64_b32 v[10:11], v7 offset0:16 offset1:18
	s_waitcnt lgkmcnt(4)
	v_pk_mul_f32 v[8:9], v[2:3], v[12:13]
	ds_write2st64_b32 v7, v8, v9 offset0:8 offset1:10
	s_waitcnt lgkmcnt(4)
	v_pk_mul_f32 v[8:9], v[2:3], v[14:15]
	ds_write2st64_b32 v7, v8, v9 offset0:12 offset1:14
	ds_read2st64_b32 v[8:9], v7 offset0:20 offset1:22
	s_waitcnt lgkmcnt(3)
	v_pk_mul_f32 v[10:11], v[2:3], v[10:11]
	ds_read2st64_b32 v[12:13], v7 offset0:24 offset1:26
	ds_write2st64_b32 v7, v10, v11 offset0:16 offset1:18
	ds_read2st64_b32 v[10:11], v7 offset0:28 offset1:30
	s_waitcnt lgkmcnt(3)
	v_pk_mul_f32 v[8:9], v[2:3], v[8:9]
	ds_write2st64_b32 v7, v8, v9 offset0:20 offset1:22
	s_waitcnt lgkmcnt(3)
	v_pk_mul_f32 v[8:9], v[2:3], v[12:13]
	ds_write2st64_b32 v7, v8, v9 offset0:24 offset1:26
	s_waitcnt lgkmcnt(2)
	v_pk_mul_f32 v[8:9], v[2:3], v[10:11]
	s_add_i32 s15, s15, 16
	v_cmp_eq_u32_e32 vcc, 0, v6
	ds_write2st64_b32 v7, v8, v9 offset0:28 offset1:30
	v_add_u32_e32 v7, 0x2000, v7
	s_or_b64 s[26:27], vcc, s[26:27]
	v_mov_b32_e32 v8, s15
	s_andn2_b64 exec, exec, s[26:27]
	s_cbranch_execnz .LBB101_28
; %bb.29:
	s_or_b64 exec, exec, s[26:27]
.LBB101_30:
	s_or_b64 exec, exec, s[8:9]
	v_and_b32_e32 v5, 7, v5
	v_cmp_ne_u32_e32 vcc, 0, v5
	s_and_saveexec_b64 s[8:9], vcc
	s_cbranch_execz .LBB101_33
; %bb.31:
	v_lshlrev_b32_e32 v6, 9, v8
	v_lshlrev_b32_e32 v7, 2, v0
	s_movk_i32 s15, 0xb0
	v_add3_u32 v6, v6, v7, s15
	s_mov_b64 s[26:27], 0
.LBB101_32:                             ; =>This Inner Loop Header: Depth=1
	ds_read2st64_b32 v[8:9], v6 offset1:2
	v_add_u32_e32 v5, -1, v5
	v_cmp_eq_u32_e32 vcc, 0, v5
	s_or_b64 s[26:27], vcc, s[26:27]
	s_waitcnt lgkmcnt(0)
	v_pk_mul_f32 v[8:9], v[2:3], v[8:9]
	ds_write2st64_b32 v6, v8, v9 offset1:2
	v_add_u32_e32 v6, 0x400, v6
	s_andn2_b64 exec, exec, s[26:27]
	s_cbranch_execnz .LBB101_32
.LBB101_33:
	s_or_b64 exec, exec, s[8:9]
	v_add_u32_e32 v4, 1, v4
	v_and_b32_e32 v5, 0x3fffffe, v4
	v_cmp_ne_u32_e32 vcc, v4, v5
	v_lshl_add_u32 v3, v5, 7, v0
	s_orn2_b64 s[8:9], vcc, exec
.LBB101_34:
	s_or_b64 exec, exec, s[2:3]
	s_and_b64 exec, exec, s[8:9]
	s_cbranch_execz .LBB101_37
; %bb.35:
	v_mov_b32_e32 v4, 0xb0
	v_lshl_add_u32 v4, v3, 2, v4
	s_mov_b64 s[2:3], 0
.LBB101_36:                             ; =>This Inner Loop Header: Depth=1
	ds_read_b32 v5, v4
	v_add_u32_e32 v3, 0x80, v3
	v_cmp_le_i32_e32 vcc, s12, v3
	s_or_b64 s[2:3], vcc, s[2:3]
	s_waitcnt lgkmcnt(0)
	v_mul_f32_e32 v5, v2, v5
	ds_write_b32 v4, v5
	v_add_u32_e32 v4, 0x200, v4
	s_andn2_b64 exec, exec, s[2:3]
	s_cbranch_execnz .LBB101_36
.LBB101_37:
	s_or_b64 exec, exec, s[0:1]
	v_mov_b32_e32 v24, 0
	v_and_b32_e32 v23, 3, v0
	v_mov_b32_e32 v7, 0
	v_mov_b32_e32 v6, 0
	;; [unrolled: 1-line block ×4, first 2 shown]
	s_waitcnt lgkmcnt(0)
	s_barrier
	s_and_saveexec_b64 s[2:3], s[6:7]
	s_cbranch_execz .LBB101_51
; %bb.38:
	s_ashr_i32 s15, s14, 31
	s_lshl_b64 s[0:1], s[14:15], 1
	s_add_u32 s6, s24, s0
	v_and_b32_e32 v3, 24, v18
	s_addc_u32 s7, s25, s1
	s_add_i32 s14, s17, -1
	s_lshl_b64 s[0:1], s[22:23], 2
	v_and_b32_e32 v2, 0x1f8, v18
	v_lshl_or_b32 v25, v1, 5, v3
	v_lshlrev_b32_e32 v3, 5, v23
	s_add_u32 s0, s20, s0
	v_mov_b32_e32 v11, 0
	v_or_b32_e32 v4, 0x800, v2
	v_lshl_or_b32 v3, v1, 7, v3
	v_and_b32_e32 v10, 60, v19
	s_addc_u32 s1, s21, s1
	s_mov_b32 s26, s13
	s_mov_b32 s15, s33
	;; [unrolled: 1-line block ×8, first 2 shown]
	v_add_u32_e32 v26, 0xb0, v3
	v_lshl_add_u64 v[12:13], s[0:1], 0, v[10:11]
	s_mov_b64 s[8:9], 0
	v_lshlrev_b32_e32 v14, 1, v2
	v_mov_b32_e32 v15, v11
	s_mov_b32 s20, 0x5040100
	v_lshlrev_b32_e32 v10, 1, v4
	v_mov_b32_e32 v8, v11
	v_mov_b32_e32 v9, v11
	;; [unrolled: 1-line block ×5, first 2 shown]
	s_branch .LBB101_40
.LBB101_39:                             ;   in Loop: Header=BB101_40 Depth=1
	s_or_b64 exec, exec, s[0:1]
	s_waitcnt vmcnt(0)
	;;#ASMSTART
	v_pk_mul_f16 v2, v37, v2;

	;;#ASMEND
	;;#ASMSTART
	v_pk_mul_f16 v3, v36, v3;

	;;#ASMEND
	;; [unrolled: 4-line block ×4, first 2 shown]
	v_add_f32_e32 v16, v38, v39
	;;#ASMSTART
	v_pk_add_f16 v2, v2, v3;

	;;#ASMEND
	v_add_f32_e32 v8, v8, v16
	;;#ASMSTART
	v_pk_add_f16 v2, v2, v4;

	;;#ASMEND
	;; [unrolled: 5-line block ×3, first 2 shown]
	v_add_f32_e32 v9, v9, v16
	v_lshrrev_b32_e32 v3, 16, v2
	v_and_b32_e32 v2, 0xffff, v2
	v_add_f32_e32 v16, v42, v43
	;;#ASMSTART
	v_cvt_f32_f16 v2, v2;
	;;#ASMEND
	v_add_u32_e32 v1, 2, v1
	v_add_f32_e32 v6, v6, v16
	v_add_f32_e32 v16, v18, v19
	;;#ASMSTART
	v_cvt_f32_f16 v3, v3;
	;;#ASMEND
	v_cmp_le_i32_e32 vcc, s17, v1
	v_add_f32_e32 v2, v2, v3
	v_add_f32_e32 v7, v7, v16
	;; [unrolled: 1-line block ×3, first 2 shown]
	v_add_u32_e32 v25, 64, v25
	v_add_u32_e32 v26, 0x100, v26
	s_or_b64 s[8:9], vcc, s[8:9]
	v_lshl_add_u64 v[12:13], v[12:13], 0, 8
	s_andn2_b64 exec, exec, s[8:9]
	s_cbranch_execz .LBB101_50
.LBB101_40:                             ; =>This Inner Loop Header: Depth=1
	global_load_dword v27, v[12:13], off
	ds_read2_b64 v[2:5], v26 offset1:1
	ds_read2_b64 v[16:19], v26 offset0:2 offset1:3
	v_cmp_eq_u32_e32 vcc, s14, v1
	v_or_b32_e32 v29, 3, v25
	s_waitcnt lgkmcnt(1)
	;;#ASMSTART
	v_cvt_f16_f32 v34, v2;

	;;#ASMEND
	;;#ASMSTART
	v_cvt_f16_f32 v35, v3;

	;;#ASMEND
	;; [unrolled: 4-line block ×4, first 2 shown]
	s_waitcnt lgkmcnt(0)
	;;#ASMSTART
	v_cvt_f16_f32 v39, v16;

	;;#ASMEND
	;;#ASMSTART
	v_cvt_f16_f32 v40, v17;

	;;#ASMEND
	;; [unrolled: 4-line block ×4, first 2 shown]
	v_or_b32_e32 v28, 2, v25
	v_or_b32_e32 v31, 5, v25
	;; [unrolled: 1-line block ×5, first 2 shown]
	s_waitcnt vmcnt(0)
	v_mad_i64_i32 v[2:3], s[0:1], v27, s26, 0
	v_lshl_add_u64 v[16:17], v[2:3], 1, s[6:7]
	v_lshl_add_u64 v[18:19], v[16:17], 0, v[14:15]
	global_load_dwordx4 v[2:5], v[18:19], off
	v_add_u32_e32 v27, 1, v25
	s_and_saveexec_b64 s[12:13], vcc
	s_cbranch_execz .LBB101_42
; %bb.41:                               ;   in Loop: Header=BB101_40 Depth=1
	s_waitcnt vmcnt(0)
	v_lshrrev_b32_e32 v37, 16, v5
	v_cmp_gt_i32_e64 s[0:1], s30, v33
	s_nop 1
	v_cndmask_b32_e64 v37, 0, v37, s[0:1]
	v_cmp_gt_i32_e64 s[0:1], s29, v32
	s_nop 1
	v_cndmask_b32_e64 v5, 0, v5, s[0:1]
	v_perm_b32 v5, v37, v5, s20
	v_lshrrev_b32_e32 v37, 16, v4
	v_cmp_gt_i32_e64 s[0:1], s28, v31
	s_nop 1
	v_cndmask_b32_e64 v37, 0, v37, s[0:1]
	v_cmp_gt_i32_e64 s[0:1], s27, v30
	s_nop 1
	v_cndmask_b32_e64 v4, 0, v4, s[0:1]
	v_perm_b32 v4, v37, v4, s20
	;; [unrolled: 8-line block ×4, first 2 shown]
.LBB101_42:                             ;   in Loop: Header=BB101_40 Depth=1
	s_or_b64 exec, exec, s[12:13]
	v_and_b32_e32 v34, 0xffff, v34
	v_lshl_or_b32 v37, v35, 16, v34
	v_and_b32_e32 v34, 0xffff, v36
	v_lshl_or_b32 v36, v38, 16, v34
	;; [unrolled: 2-line block ×3, first 2 shown]
	v_and_b32_e32 v34, 0xffff, v41
	s_waitcnt vmcnt(0)
	;;#ASMSTART
	v_pk_mul_f16 v2, v37, v2;

	;;#ASMEND
	v_lshl_or_b32 v34, v42, 16, v34
	;;#ASMSTART
	v_pk_mul_f16 v3, v36, v3;

	;;#ASMEND
	;;#ASMSTART
	v_pk_mul_f16 v4, v35, v4;

	;;#ASMEND
	;; [unrolled: 4-line block ×3, first 2 shown]
	s_nop 0
	;;#ASMSTART
	v_pk_add_f16 v2, v2, v3;

	;;#ASMEND
	s_nop 0
	;;#ASMSTART
	v_pk_add_f16 v2, v2, v4;

	;;#ASMEND
	;; [unrolled: 5-line block ×3, first 2 shown]
	s_nop 0
	v_lshrrev_b32_e32 v3, 16, v2
	v_and_b32_e32 v2, 0xffff, v2
	;;#ASMSTART
	v_cvt_f32_f16 v38, v2;
	;;#ASMEND
	;;#ASMSTART
	v_cvt_f32_f16 v39, v3;
	;;#ASMEND
	global_load_dwordx4 v[2:5], v[18:19], off offset:1024
	s_and_saveexec_b64 s[12:13], vcc
	s_cbranch_execz .LBB101_44
; %bb.43:                               ;   in Loop: Header=BB101_40 Depth=1
	s_waitcnt vmcnt(0)
	v_lshrrev_b32_e32 v40, 16, v5
	v_cmp_gt_i32_e64 s[0:1], s30, v33
	s_nop 1
	v_cndmask_b32_e64 v40, 0, v40, s[0:1]
	v_cmp_gt_i32_e64 s[0:1], s29, v32
	s_nop 1
	v_cndmask_b32_e64 v5, 0, v5, s[0:1]
	v_perm_b32 v5, v40, v5, s20
	v_lshrrev_b32_e32 v40, 16, v4
	v_cmp_gt_i32_e64 s[0:1], s28, v31
	s_nop 1
	v_cndmask_b32_e64 v40, 0, v40, s[0:1]
	v_cmp_gt_i32_e64 s[0:1], s27, v30
	s_nop 1
	v_cndmask_b32_e64 v4, 0, v4, s[0:1]
	v_perm_b32 v4, v40, v4, s20
	;; [unrolled: 8-line block ×4, first 2 shown]
.LBB101_44:                             ;   in Loop: Header=BB101_40 Depth=1
	s_or_b64 exec, exec, s[12:13]
	s_waitcnt vmcnt(0)
	;;#ASMSTART
	v_pk_mul_f16 v2, v37, v2;

	;;#ASMEND
	;;#ASMSTART
	v_pk_mul_f16 v3, v36, v3;

	;;#ASMEND
	;; [unrolled: 4-line block ×4, first 2 shown]
	s_nop 0
	;;#ASMSTART
	v_pk_add_f16 v2, v2, v3;

	;;#ASMEND
	s_nop 0
	;;#ASMSTART
	v_pk_add_f16 v2, v2, v4;

	;;#ASMEND
	;; [unrolled: 5-line block ×3, first 2 shown]
	s_nop 0
	v_lshrrev_b32_e32 v3, 16, v2
	v_and_b32_e32 v2, 0xffff, v2
	;;#ASMSTART
	v_cvt_f32_f16 v40, v2;
	;;#ASMEND
	;;#ASMSTART
	v_cvt_f32_f16 v41, v3;
	;;#ASMEND
	global_load_dwordx4 v[2:5], v[18:19], off offset:2048
	s_and_saveexec_b64 s[12:13], vcc
	s_cbranch_execz .LBB101_46
; %bb.45:                               ;   in Loop: Header=BB101_40 Depth=1
	s_waitcnt vmcnt(0)
	v_lshrrev_b32_e32 v42, 16, v5
	v_cmp_gt_i32_e64 s[0:1], s30, v33
	s_nop 1
	v_cndmask_b32_e64 v42, 0, v42, s[0:1]
	v_cmp_gt_i32_e64 s[0:1], s29, v32
	s_nop 1
	v_cndmask_b32_e64 v5, 0, v5, s[0:1]
	v_perm_b32 v5, v42, v5, s20
	v_lshrrev_b32_e32 v42, 16, v4
	v_cmp_gt_i32_e64 s[0:1], s28, v31
	s_nop 1
	v_cndmask_b32_e64 v42, 0, v42, s[0:1]
	v_cmp_gt_i32_e64 s[0:1], s27, v30
	s_nop 1
	v_cndmask_b32_e64 v4, 0, v4, s[0:1]
	v_perm_b32 v4, v42, v4, s20
	v_lshrrev_b32_e32 v42, 16, v3
	v_cmp_gt_i32_e64 s[0:1], s25, v29
	s_nop 1
	v_cndmask_b32_e64 v42, 0, v42, s[0:1]
	v_cmp_gt_i32_e64 s[0:1], s24, v28
	s_nop 1
	v_cndmask_b32_e64 v3, 0, v3, s[0:1]
	v_perm_b32 v3, v42, v3, s20
	v_lshrrev_b32_e32 v42, 16, v2
	v_cmp_gt_i32_e64 s[0:1], s15, v27
	s_nop 1
	v_cndmask_b32_e64 v42, 0, v42, s[0:1]
	v_cmp_gt_i32_e64 s[0:1], s33, v25
	s_nop 1
	v_cndmask_b32_e64 v2, 0, v2, s[0:1]
	v_perm_b32 v2, v42, v2, s20
.LBB101_46:                             ;   in Loop: Header=BB101_40 Depth=1
	s_or_b64 exec, exec, s[12:13]
	s_waitcnt vmcnt(0)
	;;#ASMSTART
	v_pk_mul_f16 v2, v37, v2;

	;;#ASMEND
	;;#ASMSTART
	v_pk_mul_f16 v3, v36, v3;

	;;#ASMEND
	;; [unrolled: 4-line block ×4, first 2 shown]
	s_nop 0
	;;#ASMSTART
	v_pk_add_f16 v2, v2, v3;

	;;#ASMEND
	s_nop 0
	;;#ASMSTART
	v_pk_add_f16 v2, v2, v4;

	;;#ASMEND
	;; [unrolled: 5-line block ×3, first 2 shown]
	s_nop 0
	v_lshrrev_b32_e32 v3, 16, v2
	v_and_b32_e32 v2, 0xffff, v2
	;;#ASMSTART
	v_cvt_f32_f16 v42, v2;
	;;#ASMEND
	;;#ASMSTART
	v_cvt_f32_f16 v43, v3;
	;;#ASMEND
	global_load_dwordx4 v[2:5], v[18:19], off offset:3072
	s_and_saveexec_b64 s[12:13], vcc
	s_cbranch_execz .LBB101_48
; %bb.47:                               ;   in Loop: Header=BB101_40 Depth=1
	s_waitcnt vmcnt(0)
	v_lshrrev_b32_e32 v18, 16, v5
	v_cmp_gt_i32_e64 s[0:1], s30, v33
	s_nop 1
	v_cndmask_b32_e64 v18, 0, v18, s[0:1]
	v_cmp_gt_i32_e64 s[0:1], s29, v32
	s_nop 1
	v_cndmask_b32_e64 v5, 0, v5, s[0:1]
	v_perm_b32 v5, v18, v5, s20
	v_lshrrev_b32_e32 v18, 16, v4
	v_cmp_gt_i32_e64 s[0:1], s28, v31
	s_nop 1
	v_cndmask_b32_e64 v18, 0, v18, s[0:1]
	v_cmp_gt_i32_e64 s[0:1], s27, v30
	s_nop 1
	v_cndmask_b32_e64 v4, 0, v4, s[0:1]
	v_perm_b32 v4, v18, v4, s20
	;; [unrolled: 8-line block ×4, first 2 shown]
.LBB101_48:                             ;   in Loop: Header=BB101_40 Depth=1
	s_or_b64 exec, exec, s[12:13]
	s_waitcnt vmcnt(0)
	;;#ASMSTART
	v_pk_mul_f16 v2, v37, v2;

	;;#ASMEND
	;;#ASMSTART
	v_pk_mul_f16 v3, v36, v3;

	;;#ASMEND
	;; [unrolled: 4-line block ×4, first 2 shown]
	s_nop 0
	;;#ASMSTART
	v_pk_add_f16 v2, v2, v3;

	;;#ASMEND
	s_nop 0
	;;#ASMSTART
	v_pk_add_f16 v2, v2, v4;

	;;#ASMEND
	;; [unrolled: 5-line block ×3, first 2 shown]
	s_nop 0
	v_lshrrev_b32_e32 v3, 16, v2
	v_and_b32_e32 v2, 0xffff, v2
	;;#ASMSTART
	v_cvt_f32_f16 v18, v2;
	;;#ASMEND
	;;#ASMSTART
	v_cvt_f32_f16 v19, v3;
	;;#ASMEND
	v_lshl_add_u64 v[2:3], v[16:17], 0, v[10:11]
	global_load_dwordx4 v[2:5], v[2:3], off
	s_and_saveexec_b64 s[0:1], vcc
	s_cbranch_execz .LBB101_39
; %bb.49:                               ;   in Loop: Header=BB101_40 Depth=1
	s_waitcnt vmcnt(0)
	v_lshrrev_b32_e32 v16, 16, v5
	v_cmp_gt_i32_e32 vcc, s30, v33
	s_nop 1
	v_cndmask_b32_e32 v16, 0, v16, vcc
	v_cmp_gt_i32_e32 vcc, s29, v32
	s_nop 1
	v_cndmask_b32_e32 v5, 0, v5, vcc
	v_perm_b32 v5, v16, v5, s20
	v_lshrrev_b32_e32 v16, 16, v4
	v_cmp_gt_i32_e32 vcc, s28, v31
	s_nop 1
	v_cndmask_b32_e32 v16, 0, v16, vcc
	v_cmp_gt_i32_e32 vcc, s27, v30
	s_nop 1
	v_cndmask_b32_e32 v4, 0, v4, vcc
	v_perm_b32 v4, v16, v4, s20
	;; [unrolled: 8-line block ×4, first 2 shown]
	s_branch .LBB101_39
.LBB101_50:
	s_or_b64 exec, exec, s[8:9]
.LBB101_51:
	s_or_b64 exec, exec, s[2:3]
	ds_bpermute_b32 v2, v21, v8
	ds_bpermute_b32 v3, v21, v9
	;; [unrolled: 1-line block ×5, first 2 shown]
	s_waitcnt lgkmcnt(0)
	v_pk_add_f32 v[2:3], v[8:9], v[2:3]
	ds_bpermute_b32 v8, v22, v2
	v_pk_add_f32 v[4:5], v[6:7], v[4:5]
	v_add_f32_e32 v1, v24, v1
	ds_bpermute_b32 v9, v22, v3
	ds_bpermute_b32 v10, v22, v4
	;; [unrolled: 1-line block ×4, first 2 shown]
	s_barrier
	s_waitcnt lgkmcnt(3)
	v_pk_add_f32 v[6:7], v[2:3], v[8:9]
	s_waitcnt lgkmcnt(0)
	v_pk_add_f32 v[2:3], v[4:5], v[10:11]
	v_add_f32_e32 v4, v1, v12
	v_and_b32_e32 v1, 0x3c3, v0
	v_cmp_eq_u32_e32 vcc, 64, v1
	s_and_saveexec_b64 s[0:1], vcc
	s_cbranch_execz .LBB101_53
; %bb.52:
	v_add_u32_e32 v5, 0xb0, v20
	ds_write2_b32 v5, v6, v7 offset1:16
	ds_write2_b32 v5, v2, v3 offset0:32 offset1:48
	ds_write_b32 v5, v4 offset:256
.LBB101_53:
	s_or_b64 exec, exec, s[0:1]
	v_cmp_gt_u32_e32 vcc, 64, v0
	s_waitcnt lgkmcnt(0)
	s_barrier
	s_and_saveexec_b64 s[0:1], vcc
	s_cbranch_execz .LBB101_61
; %bb.54:
	v_cmp_eq_u32_e32 vcc, 0, v23
	v_lshrrev_b32_e32 v5, 2, v0
	s_and_saveexec_b64 s[2:3], vcc
	s_cbranch_execnz .LBB101_64
; %bb.55:
	s_or_b64 exec, exec, s[2:3]
	s_and_saveexec_b64 s[2:3], vcc
	s_cbranch_execnz .LBB101_65
.LBB101_56:
	s_or_b64 exec, exec, s[2:3]
	s_and_saveexec_b64 s[2:3], vcc
	s_cbranch_execnz .LBB101_66
.LBB101_57:
	s_or_b64 exec, exec, s[2:3]
	s_and_saveexec_b64 s[2:3], vcc
	s_cbranch_execnz .LBB101_67
.LBB101_58:
	s_or_b64 exec, exec, s[2:3]
	s_and_saveexec_b64 s[2:3], vcc
	s_cbranch_execz .LBB101_60
.LBB101_59:
	v_mov_b32_e32 v8, 0xb0
	v_lshl_add_u32 v5, v5, 2, v8
	ds_read_b32 v5, v5 offset:256
	s_waitcnt lgkmcnt(0)
	v_add_f32_e32 v4, v4, v5
.LBB101_60:
	s_or_b64 exec, exec, s[2:3]
.LBB101_61:
	s_or_b64 exec, exec, s[0:1]
	v_cmp_eq_u32_e32 vcc, 0, v1
	s_barrier
	s_and_saveexec_b64 s[0:1], vcc
	s_cbranch_execz .LBB101_63
; %bb.62:
	s_mul_i32 s0, s10, s11
	s_mul_i32 s0, s0, s5
	s_mulk_i32 s0, 0x50
	s_ashr_i32 s1, s0, 31
	s_lshl_b64 s[0:1], s[0:1], 1
	s_add_u32 s2, s18, s0
	s_mul_i32 s0, s11, s16
	s_addc_u32 s3, s19, s1
	s_ashr_i32 s1, s0, 31
	s_lshl_b64 s[0:1], s[0:1], 1
	s_add_u32 s2, s2, s0
	s_mul_i32 s0, s4, 0x50
	s_addc_u32 s3, s3, s1
	s_ashr_i32 s1, s0, 31
	s_lshl_b64 s[0:1], s[0:1], 1
	s_add_u32 s0, s2, s0
	s_addc_u32 s1, s3, s1
	v_lshrrev_b32_e32 v0, 1, v0
	;;#ASMSTART
	v_cvt_f16_f32 v1, v6;

	;;#ASMEND
	global_store_short v0, v1, s[0:1]
	;;#ASMSTART
	v_cvt_f16_f32 v1, v7;

	;;#ASMEND
	global_store_short v0, v1, s[0:1] offset:32
	;;#ASMSTART
	v_cvt_f16_f32 v1, v2;

	;;#ASMEND
	global_store_short v0, v1, s[0:1] offset:64
	;; [unrolled: 5-line block ×4, first 2 shown]
.LBB101_63:
	s_endpgm
.LBB101_64:
	v_mov_b32_e32 v8, 0xb0
	v_lshl_add_u32 v8, v5, 2, v8
	ds_read_b32 v8, v8
	s_waitcnt lgkmcnt(0)
	v_add_f32_e32 v6, v6, v8
	s_or_b64 exec, exec, s[2:3]
	s_and_saveexec_b64 s[2:3], vcc
	s_cbranch_execz .LBB101_56
.LBB101_65:
	v_mov_b32_e32 v8, 0xb0
	v_lshl_add_u32 v8, v5, 2, v8
	ds_read_b32 v8, v8 offset:64
	s_waitcnt lgkmcnt(0)
	v_add_f32_e32 v7, v7, v8
	s_or_b64 exec, exec, s[2:3]
	s_and_saveexec_b64 s[2:3], vcc
	s_cbranch_execz .LBB101_57
.LBB101_66:
	v_mov_b32_e32 v8, 0xb0
	v_lshl_add_u32 v8, v5, 2, v8
	ds_read_b32 v8, v8 offset:128
	s_waitcnt lgkmcnt(0)
	v_add_f32_e32 v2, v2, v8
	s_or_b64 exec, exec, s[2:3]
	s_and_saveexec_b64 s[2:3], vcc
	s_cbranch_execz .LBB101_58
.LBB101_67:
	v_mov_b32_e32 v8, 0xb0
	v_lshl_add_u32 v8, v5, 2, v8
	ds_read_b32 v8, v8 offset:192
	s_waitcnt lgkmcnt(0)
	v_add_f32_e32 v3, v3, v8
	s_or_b64 exec, exec, s[2:3]
	s_and_saveexec_b64 s[2:3], vcc
	s_cbranch_execnz .LBB101_59
	s_branch .LBB101_60
	.section	.rodata,"a",@progbits
	.p2align	6, 0x0
	.amdhsa_kernel _ZN4vllm25paged_attention_v1_kernelIttLi80ELi32ELi128ELNS_18Fp8KVCacheDataTypeE0ELb0EEEvPT_PKS2_PKT0_S8_ifPKiSA_iPKfiiiSC_SC_iiiii
		.amdhsa_group_segment_fixed_size 176
		.amdhsa_private_segment_fixed_size 0
		.amdhsa_kernarg_size 384
		.amdhsa_user_sgpr_count 2
		.amdhsa_user_sgpr_dispatch_ptr 0
		.amdhsa_user_sgpr_queue_ptr 0
		.amdhsa_user_sgpr_kernarg_segment_ptr 1
		.amdhsa_user_sgpr_dispatch_id 0
		.amdhsa_user_sgpr_kernarg_preload_length 0
		.amdhsa_user_sgpr_kernarg_preload_offset 0
		.amdhsa_user_sgpr_private_segment_size 0
		.amdhsa_uses_dynamic_stack 0
		.amdhsa_enable_private_segment 0
		.amdhsa_system_sgpr_workgroup_id_x 1
		.amdhsa_system_sgpr_workgroup_id_y 1
		.amdhsa_system_sgpr_workgroup_id_z 1
		.amdhsa_system_sgpr_workgroup_info 0
		.amdhsa_system_vgpr_workitem_id 0
		.amdhsa_next_free_vgpr 65
		.amdhsa_next_free_sgpr 35
		.amdhsa_accum_offset 68
		.amdhsa_reserve_vcc 1
		.amdhsa_float_round_mode_32 0
		.amdhsa_float_round_mode_16_64 0
		.amdhsa_float_denorm_mode_32 3
		.amdhsa_float_denorm_mode_16_64 3
		.amdhsa_dx10_clamp 1
		.amdhsa_ieee_mode 1
		.amdhsa_fp16_overflow 0
		.amdhsa_tg_split 0
		.amdhsa_exception_fp_ieee_invalid_op 0
		.amdhsa_exception_fp_denorm_src 0
		.amdhsa_exception_fp_ieee_div_zero 0
		.amdhsa_exception_fp_ieee_overflow 0
		.amdhsa_exception_fp_ieee_underflow 0
		.amdhsa_exception_fp_ieee_inexact 0
		.amdhsa_exception_int_div_zero 0
	.end_amdhsa_kernel
	.section	.text._ZN4vllm25paged_attention_v1_kernelIttLi80ELi32ELi128ELNS_18Fp8KVCacheDataTypeE0ELb0EEEvPT_PKS2_PKT0_S8_ifPKiSA_iPKfiiiSC_SC_iiiii,"axG",@progbits,_ZN4vllm25paged_attention_v1_kernelIttLi80ELi32ELi128ELNS_18Fp8KVCacheDataTypeE0ELb0EEEvPT_PKS2_PKT0_S8_ifPKiSA_iPKfiiiSC_SC_iiiii,comdat
.Lfunc_end101:
	.size	_ZN4vllm25paged_attention_v1_kernelIttLi80ELi32ELi128ELNS_18Fp8KVCacheDataTypeE0ELb0EEEvPT_PKS2_PKT0_S8_ifPKiSA_iPKfiiiSC_SC_iiiii, .Lfunc_end101-_ZN4vllm25paged_attention_v1_kernelIttLi80ELi32ELi128ELNS_18Fp8KVCacheDataTypeE0ELb0EEEvPT_PKS2_PKT0_S8_ifPKiSA_iPKfiiiSC_SC_iiiii
                                        ; -- End function
	.section	.AMDGPU.csdata,"",@progbits
; Kernel info:
; codeLenInByte = 6680
; NumSgprs: 41
; NumVgprs: 65
; NumAgprs: 0
; TotalNumVgprs: 65
; ScratchSize: 0
; MemoryBound: 0
; FloatMode: 240
; IeeeMode: 1
; LDSByteSize: 176 bytes/workgroup (compile time only)
; SGPRBlocks: 5
; VGPRBlocks: 8
; NumSGPRsForWavesPerEU: 41
; NumVGPRsForWavesPerEU: 65
; AccumOffset: 68
; Occupancy: 7
; WaveLimiterHint : 1
; COMPUTE_PGM_RSRC2:SCRATCH_EN: 0
; COMPUTE_PGM_RSRC2:USER_SGPR: 2
; COMPUTE_PGM_RSRC2:TRAP_HANDLER: 0
; COMPUTE_PGM_RSRC2:TGID_X_EN: 1
; COMPUTE_PGM_RSRC2:TGID_Y_EN: 1
; COMPUTE_PGM_RSRC2:TGID_Z_EN: 1
; COMPUTE_PGM_RSRC2:TIDIG_COMP_CNT: 0
; COMPUTE_PGM_RSRC3_GFX90A:ACCUM_OFFSET: 16
; COMPUTE_PGM_RSRC3_GFX90A:TG_SPLIT: 0
	.section	.text._ZN4vllm25paged_attention_v1_kernelIttLi96ELi32ELi128ELNS_18Fp8KVCacheDataTypeE0ELb0EEEvPT_PKS2_PKT0_S8_ifPKiSA_iPKfiiiSC_SC_iiiii,"axG",@progbits,_ZN4vllm25paged_attention_v1_kernelIttLi96ELi32ELi128ELNS_18Fp8KVCacheDataTypeE0ELb0EEEvPT_PKS2_PKT0_S8_ifPKiSA_iPKfiiiSC_SC_iiiii,comdat
	.protected	_ZN4vllm25paged_attention_v1_kernelIttLi96ELi32ELi128ELNS_18Fp8KVCacheDataTypeE0ELb0EEEvPT_PKS2_PKT0_S8_ifPKiSA_iPKfiiiSC_SC_iiiii ; -- Begin function _ZN4vllm25paged_attention_v1_kernelIttLi96ELi32ELi128ELNS_18Fp8KVCacheDataTypeE0ELb0EEEvPT_PKS2_PKT0_S8_ifPKiSA_iPKfiiiSC_SC_iiiii
	.globl	_ZN4vllm25paged_attention_v1_kernelIttLi96ELi32ELi128ELNS_18Fp8KVCacheDataTypeE0ELb0EEEvPT_PKS2_PKT0_S8_ifPKiSA_iPKfiiiSC_SC_iiiii
	.p2align	8
	.type	_ZN4vllm25paged_attention_v1_kernelIttLi96ELi32ELi128ELNS_18Fp8KVCacheDataTypeE0ELb0EEEvPT_PKS2_PKT0_S8_ifPKiSA_iPKfiiiSC_SC_iiiii,@function
_ZN4vllm25paged_attention_v1_kernelIttLi96ELi32ELi128ELNS_18Fp8KVCacheDataTypeE0ELb0EEEvPT_PKS2_PKT0_S8_ifPKiSA_iPKfiiiSC_SC_iiiii: ; @_ZN4vllm25paged_attention_v1_kernelIttLi96ELi32ELi128ELNS_18Fp8KVCacheDataTypeE0ELb0EEEvPT_PKS2_PKT0_S8_ifPKiSA_iPKfiiiSC_SC_iiiii
; %bb.0:
	s_load_dword s5, s[0:1], 0x80
	s_load_dwordx2 s[6:7], s[0:1], 0x30
	s_load_dwordx2 s[8:9], s[0:1], 0x20
	s_mov_b32 s10, s3
	s_ashr_i32 s11, s3, 31
	s_lshl_b64 s[12:13], s[10:11], 2
	s_waitcnt lgkmcnt(0)
	s_add_u32 s6, s6, s12
	s_addc_u32 s7, s7, s13
	s_abs_i32 s3, s8
	v_cvt_f32_u32_e32 v1, s3
	s_sub_i32 s12, 0, s3
	s_abs_i32 s11, s5
	s_xor_b32 s8, s5, s8
	v_rcp_iflag_f32_e32 v1, v1
	s_ashr_i32 s8, s8, 31
	v_mul_f32_e32 v1, 0x4f7ffffe, v1
	v_cvt_u32_f32_e32 v1, v1
	s_nop 0
	v_readfirstlane_b32 s13, v1
	s_mul_i32 s12, s12, s13
	s_mul_hi_u32 s12, s13, s12
	s_add_i32 s13, s13, s12
	s_mul_hi_u32 s12, s11, s13
	s_mul_i32 s13, s12, s3
	s_sub_i32 s11, s11, s13
	s_add_i32 s13, s12, 1
	s_sub_i32 s14, s11, s3
	s_cmp_ge_u32 s11, s3
	s_cselect_b32 s12, s13, s12
	s_cselect_b32 s11, s14, s11
	s_add_i32 s13, s12, 1
	s_cmp_ge_u32 s11, s3
	s_cselect_b32 s3, s13, s12
	s_xor_b32 s3, s3, s8
	s_sub_i32 s14, s3, s8
	s_abs_i32 s11, s14
	v_cvt_f32_u32_e32 v1, s11
	s_load_dwordx2 s[12:13], s[0:1], 0x40
	s_sub_i32 s3, 0, s11
	s_abs_i32 s18, s2
	v_rcp_iflag_f32_e32 v1, v1
	s_mov_b32 s8, 0
	v_mul_f32_e32 v1, 0x4f7ffffe, v1
	v_cvt_u32_f32_e32 v1, v1
	s_nop 0
	v_readfirstlane_b32 s15, v1
	s_mul_i32 s3, s3, s15
	s_mul_hi_u32 s3, s15, s3
	s_add_i32 s15, s15, s3
	s_waitcnt lgkmcnt(0)
	s_cmp_eq_u64 s[12:13], 0
	s_mul_hi_u32 s19, s18, s15
	s_cbranch_scc1 .LBB102_2
; %bb.1:
	s_ashr_i32 s3, s2, 31
	s_lshl_b64 s[16:17], s[2:3], 2
	s_add_u32 s12, s12, s16
	s_addc_u32 s13, s13, s17
	s_load_dword s8, s[12:13], 0x0
.LBB102_2:
	s_load_dword s33, s[6:7], 0x0
	s_ashr_i32 s7, s14, 31
	s_load_dwordx4 s[12:15], s[0:1], 0x48
	s_ashr_i32 s6, s2, 31
	v_and_b32_e32 v4, 1, v0
	s_waitcnt lgkmcnt(0)
	s_movk_i32 s15, 0x60
	s_mul_i32 s16, s2, 0x60
	v_cmp_gt_u32_e32 vcc, 24, v0
	v_lshlrev_b32_e32 v22, 3, v0
	s_and_saveexec_b64 s[2:3], vcc
	s_cbranch_execz .LBB102_4
; %bb.3:
	s_load_dwordx2 s[20:21], s[0:1], 0x8
	s_mul_i32 s22, s10, s12
	s_ashr_i32 s23, s22, 31
	s_lshl_b64 s[22:23], s[22:23], 1
	v_lshlrev_b32_e32 v1, 2, v0
	s_waitcnt lgkmcnt(0)
	s_add_u32 s12, s20, s22
	s_addc_u32 s22, s21, s23
	s_ashr_i32 s17, s16, 31
	s_lshl_b64 s[20:21], s[16:17], 1
	s_add_u32 s20, s12, s20
	s_addc_u32 s21, s22, s21
	global_load_dwordx2 v[2:3], v22, s[20:21]
	v_and_b32_e32 v1, 0xff8, v1
	v_mad_u32_u24 v1, v4, s15, v1
	s_waitcnt vmcnt(0)
	ds_write_b64 v1, v[2:3]
.LBB102_4:
	s_or_b64 exec, exec, s[2:3]
	s_add_i32 s3, s33, 31
	s_ashr_i32 s12, s3, 31
	s_lshr_b32 s12, s12, 27
	s_add_i32 s3, s3, s12
	s_ashr_i32 s17, s3, 5
	s_xor_b32 s3, s6, s7
	s_mul_i32 s6, s19, s11
	s_sub_i32 s6, s18, s6
	s_add_i32 s7, s19, 1
	s_sub_i32 s12, s6, s11
	s_load_dwordx2 s[20:21], s[0:1], 0x28
	s_load_dword s2, s[0:1], 0x38
	s_cmp_ge_u32 s6, s11
	s_cselect_b32 s7, s7, s19
	s_cselect_b32 s6, s12, s6
	s_add_i32 s12, s7, 1
	s_cmp_ge_u32 s6, s11
	s_cselect_b32 s6, s12, s7
	v_lshrrev_b32_e32 v1, 6, v0
	s_xor_b32 s6, s6, s3
	s_waitcnt lgkmcnt(0)
	s_mul_i32 s22, s10, s2
	s_sub_i32 s12, s6, s3
	s_ashr_i32 s23, s22, 31
	v_cmp_gt_i32_e64 s[6:7], s17, v1
	v_cmp_le_i32_e32 vcc, s17, v1
	v_mbcnt_lo_u32_b32 v6, -1, 0
	s_barrier
	s_waitcnt lgkmcnt(0)
                                        ; implicit-def: $sgpr15
                                        ; implicit-def: $vgpr27
                                        ; implicit-def: $vgpr26
	s_and_saveexec_b64 s[2:3], vcc
	s_xor_b64 s[2:3], exec, s[2:3]
; %bb.5:
	v_mbcnt_hi_u32_b32 v27, -1, v6
	v_and_b32_e32 v2, 64, v27
	v_add_u32_e32 v26, 64, v2
	s_mov_b32 s15, 0xff7fffff
                                        ; implicit-def: $vgpr4
                                        ; implicit-def: $vgpr6
; %bb.6:
	s_or_saveexec_b64 s[26:27], s[2:3]
	s_load_dwordx2 s[18:19], s[0:1], 0x0
	s_load_dwordx2 s[24:25], s[0:1], 0x18
	s_load_dword s11, s[0:1], 0x88
	v_mov_b32_e32 v24, s15
	s_mul_i32 s14, s12, s14
	v_lshrrev_b32_e32 v23, 4, v0
	s_xor_b64 exec, exec, s[26:27]
	s_cbranch_execz .LBB102_12
; %bb.7:
	s_load_dwordx2 s[0:1], s[0:1], 0x10
	s_ashr_i32 s15, s14, 31
	s_lshl_b64 s[2:3], s[14:15], 1
	v_bfe_u32 v5, v0, 1, 5
	v_lshlrev_b32_e32 v8, 4, v5
	s_waitcnt lgkmcnt(0)
	s_add_u32 s0, s0, s2
	s_addc_u32 s1, s1, s3
	v_mov_b32_e32 v9, 0
	v_lshl_add_u64 v[2:3], s[0:1], 0, v[8:9]
	s_sub_i32 s15, 1, s33
	s_lshl_b64 s[0:1], s[22:23], 2
	v_and_b32_e32 v8, 8, v22
	v_mul_u32_u24_e32 v25, 0x60, v4
	v_cmp_eq_u32_e32 vcc, 0, v4
	v_lshlrev_b32_e32 v4, 2, v5
	s_add_u32 s0, s20, s0
	v_mbcnt_hi_u32_b32 v27, -1, v6
	v_lshl_add_u64 v[2:3], v[2:3], 0, v[8:9]
	v_lshl_or_b32 v4, v1, 7, v4
	v_and_b32_e32 v8, 60, v23
	s_addc_u32 s1, s21, s1
	v_and_b32_e32 v6, 64, v27
	s_mov_b32 s12, s13
	v_cmp_neq_f32_e64 s[2:3], s8, 0
	v_lshl_or_b32 v28, v1, 5, v5
	v_add_u32_e32 v29, 0xd0, v4
	v_lshl_add_u64 v[4:5], s[0:1], 0, v[8:9]
	s_mov_b64 s[28:29], 0
	v_mov_b32_e32 v24, 0xff7fffff
	s_movk_i32 s34, 0x1000
	v_xor_b32_e32 v30, 1, v27
	v_add_u32_e32 v26, 64, v6
	v_mov_b32_e32 v31, v1
	s_branch .LBB102_9
.LBB102_8:                              ;   in Loop: Header=BB102_9 Depth=1
	s_or_b64 exec, exec, s[30:31]
	v_add_u32_e32 v31, 2, v31
	v_cmp_le_i32_e64 s[0:1], s17, v31
	v_add_u32_e32 v28, 64, v28
	v_add_u32_e32 v29, 0x100, v29
	s_or_b64 s[28:29], s[0:1], s[28:29]
	v_lshl_add_u64 v[4:5], v[4:5], 0, 8
	s_andn2_b64 exec, exec, s[28:29]
	s_cbranch_execz .LBB102_11
.LBB102_9:                              ; =>This Inner Loop Header: Depth=1
	global_load_dword v6, v[4:5], off
	s_waitcnt vmcnt(0) lgkmcnt(0)
	v_mad_i64_i32 v[6:7], s[0:1], v6, s12, 0
	v_lshl_add_u64 v[6:7], v[6:7], 1, v[2:3]
	global_load_dwordx2 v[34:35], v[6:7], off
	global_load_dwordx2 v[36:37], v[6:7], off offset:512
	global_load_dwordx2 v[38:39], v[6:7], off offset:1024
	;; [unrolled: 1-line block ×7, first 2 shown]
	v_add_co_u32_e64 v32, s[0:1], s34, v6
	s_waitcnt vmcnt(6)
	v_lshrrev_b32_e32 v46, 16, v36
	v_addc_co_u32_e64 v33, s[0:1], 0, v7, s[0:1]
	global_load_dwordx2 v[14:15], v[32:33], off
	global_load_dwordx2 v[10:11], v[32:33], off offset:512
	ds_read_b64 v[6:7], v25
	s_waitcnt vmcnt(4)
	v_lshrrev_b32_e32 v54, 16, v18
	v_and_b32_e32 v55, 0xffff, v18
	v_lshrrev_b32_e32 v56, 16, v19
	v_and_b32_e32 v57, 0xffff, v19
	s_waitcnt lgkmcnt(0)
	v_lshrrev_b32_e32 v42, 16, v6
	v_and_b32_e32 v43, 0xffff, v6
	v_lshrrev_b32_e32 v44, 16, v7
	v_and_b32_e32 v45, 0xffff, v7
	global_load_dwordx2 v[8:9], v[32:33], off offset:1024
	global_load_dwordx2 v[6:7], v[32:33], off offset:1536
	;;#ASMSTART
	v_cvt_f32_f16 v33, v43;
	;;#ASMEND
	;;#ASMSTART
	v_cvt_f32_f16 v32, v42;
	;;#ASMEND
	v_lshrrev_b32_e32 v42, 16, v34
	v_and_b32_e32 v34, 0xffff, v34
	v_lshrrev_b32_e32 v43, 16, v35
	v_and_b32_e32 v35, 0xffff, v35
	;;#ASMSTART
	v_cvt_f32_f16 v34, v34;
	;;#ASMEND
	;;#ASMSTART
	v_cvt_f32_f16 v42, v42;
	;;#ASMEND
	;; [unrolled: 3-line block ×6, first 2 shown]
	ds_read_b64 v[18:19], v25 offset:8
	v_and_b32_e32 v36, 0xffff, v36
	s_waitcnt vmcnt(4)
	v_and_b32_e32 v61, 0xffff, v13
	v_lshrrev_b32_e32 v47, 16, v37
	v_and_b32_e32 v37, 0xffff, v37
	s_waitcnt lgkmcnt(0)
	v_and_b32_e32 v60, 0xffff, v18
	v_lshrrev_b32_e32 v18, 16, v18
	;;#ASMSTART
	v_cvt_f32_f16 v60, v60;
	;;#ASMEND
	;;#ASMSTART
	v_cvt_f32_f16 v18, v18;
	;;#ASMEND
	;; [unrolled: 3-line block ×3, first 2 shown]
	v_lshrrev_b32_e32 v48, 16, v38
	v_mul_f32_e32 v36, v60, v36
	v_fmac_f32_e32 v36, v33, v34
	v_lshrrev_b32_e32 v33, 16, v12
	v_and_b32_e32 v34, 0xffff, v12
	v_lshrrev_b32_e32 v60, 16, v13
	v_lshrrev_b32_e32 v12, 16, v19
	v_and_b32_e32 v13, 0xffff, v19
	;;#ASMSTART
	v_cvt_f32_f16 v19, v46;
	;;#ASMEND
	;;#ASMSTART
	v_cvt_f32_f16 v13, v13;
	;;#ASMEND
	v_and_b32_e32 v38, 0xffff, v38
	v_mul_f32_e32 v18, v18, v19
	;;#ASMSTART
	v_cvt_f32_f16 v19, v12;
	;;#ASMEND
	;;#ASMSTART
	v_cvt_f32_f16 v12, v37;
	;;#ASMEND
	;; [unrolled: 3-line block ×3, first 2 shown]
	v_lshrrev_b32_e32 v49, 16, v39
	v_mul_f32_e32 v37, v13, v12
	ds_read_b64 v[12:13], v25 offset:16
	v_and_b32_e32 v39, 0xffff, v39
	v_fmac_f32_e32 v18, v32, v42
	v_mul_f32_e32 v19, v19, v46
	v_fmac_f32_e32 v37, v45, v35
	s_waitcnt lgkmcnt(0)
	v_lshrrev_b32_e32 v35, 16, v12
	v_and_b32_e32 v12, 0xffff, v12
	v_lshrrev_b32_e32 v42, 16, v13
	v_and_b32_e32 v13, 0xffff, v13
	v_fmac_f32_e32 v19, v44, v43
	;;#ASMSTART
	v_cvt_f32_f16 v43, v12;
	;;#ASMEND
	;;#ASMSTART
	v_cvt_f32_f16 v35, v35;
	;;#ASMEND
	;; [unrolled: 3-line block ×8, first 2 shown]
	ds_read_b64 v[12:13], v25 offset:24
	v_lshrrev_b32_e32 v50, 16, v40
	v_and_b32_e32 v40, 0xffff, v40
	v_lshrrev_b32_e32 v51, 16, v41
	v_and_b32_e32 v41, 0xffff, v41
	v_fmac_f32_e32 v36, v43, v38
	v_fmac_f32_e32 v18, v35, v44
	s_waitcnt lgkmcnt(0)
	v_lshrrev_b32_e32 v35, 16, v12
	v_and_b32_e32 v12, 0xffff, v12
	v_lshrrev_b32_e32 v38, 16, v13
	v_and_b32_e32 v13, 0xffff, v13
	v_fmac_f32_e32 v37, v45, v39
	v_fmac_f32_e32 v19, v42, v46
	;;#ASMSTART
	v_cvt_f32_f16 v39, v12;
	;;#ASMEND
	;;#ASMSTART
	v_cvt_f32_f16 v35, v35;
	;;#ASMEND
	;; [unrolled: 3-line block ×8, first 2 shown]
	ds_read_b64 v[12:13], v25 offset:32
	v_lshrrev_b32_e32 v52, 16, v20
	v_and_b32_e32 v20, 0xffff, v20
	v_lshrrev_b32_e32 v53, 16, v21
	v_and_b32_e32 v21, 0xffff, v21
	v_fmac_f32_e32 v18, v35, v42
	v_fmac_f32_e32 v19, v38, v44
	s_waitcnt lgkmcnt(0)
	v_lshrrev_b32_e32 v35, 16, v12
	v_and_b32_e32 v12, 0xffff, v12
	v_lshrrev_b32_e32 v38, 16, v13
	v_and_b32_e32 v13, 0xffff, v13
	v_fmac_f32_e32 v36, v39, v40
	v_fmac_f32_e32 v37, v43, v41
	;;#ASMSTART
	v_cvt_f32_f16 v39, v12;
	;;#ASMEND
	;;#ASMSTART
	v_cvt_f32_f16 v35, v35;
	;;#ASMEND
	;;#ASMSTART
	v_cvt_f32_f16 v20, v20;
	;;#ASMEND
	;;#ASMSTART
	v_cvt_f32_f16 v40, v52;
	;;#ASMEND
	;;#ASMSTART
	v_cvt_f32_f16 v41, v13;
	;;#ASMEND
	;;#ASMSTART
	v_cvt_f32_f16 v38, v38;
	;;#ASMEND
	;;#ASMSTART
	v_cvt_f32_f16 v21, v21;
	;;#ASMEND
	;;#ASMSTART
	v_cvt_f32_f16 v42, v53;
	;;#ASMEND
	ds_read_b64 v[12:13], v25 offset:40
	v_fmac_f32_e32 v36, v39, v20
	v_fmac_f32_e32 v37, v41, v21
	;; [unrolled: 1-line block ×4, first 2 shown]
	s_waitcnt lgkmcnt(0)
	v_lshrrev_b32_e32 v20, 16, v12
	v_and_b32_e32 v12, 0xffff, v12
	v_lshrrev_b32_e32 v21, 16, v13
	v_and_b32_e32 v13, 0xffff, v13
	;;#ASMSTART
	v_cvt_f32_f16 v35, v12;
	;;#ASMEND
	;;#ASMSTART
	v_cvt_f32_f16 v20, v20;
	;;#ASMEND
	;; [unrolled: 3-line block ×8, first 2 shown]
	ds_read_b64 v[12:13], v25 offset:48
	v_lshrrev_b32_e32 v58, 16, v16
	v_and_b32_e32 v16, 0xffff, v16
	v_lshrrev_b32_e32 v59, 16, v17
	v_and_b32_e32 v17, 0xffff, v17
	v_fmac_f32_e32 v18, v20, v39
	v_fmac_f32_e32 v19, v21, v42
	s_waitcnt lgkmcnt(0)
	v_lshrrev_b32_e32 v20, 16, v12
	v_and_b32_e32 v12, 0xffff, v12
	v_lshrrev_b32_e32 v21, 16, v13
	v_and_b32_e32 v13, 0xffff, v13
	v_fmac_f32_e32 v36, v35, v38
	v_fmac_f32_e32 v37, v40, v41
	;;#ASMSTART
	v_cvt_f32_f16 v35, v12;
	;;#ASMEND
	;;#ASMSTART
	v_cvt_f32_f16 v20, v20;
	;;#ASMEND
	;;#ASMSTART
	v_cvt_f32_f16 v16, v16;
	;;#ASMEND
	;;#ASMSTART
	v_cvt_f32_f16 v38, v58;
	;;#ASMEND
	;;#ASMSTART
	v_cvt_f32_f16 v39, v13;
	;;#ASMEND
	;;#ASMSTART
	v_cvt_f32_f16 v21, v21;
	;;#ASMEND
	;;#ASMSTART
	v_cvt_f32_f16 v17, v17;
	;;#ASMEND
	;;#ASMSTART
	v_cvt_f32_f16 v40, v59;
	;;#ASMEND
	ds_read_b64 v[12:13], v25 offset:56
	v_fmac_f32_e32 v36, v35, v16
	v_fmac_f32_e32 v37, v39, v17
	;; [unrolled: 1-line block ×4, first 2 shown]
	s_waitcnt lgkmcnt(0)
	v_lshrrev_b32_e32 v16, 16, v12
	v_and_b32_e32 v12, 0xffff, v12
	v_lshrrev_b32_e32 v17, 16, v13
	v_and_b32_e32 v13, 0xffff, v13
	;;#ASMSTART
	v_cvt_f32_f16 v20, v12;
	;;#ASMEND
	;;#ASMSTART
	v_cvt_f32_f16 v16, v16;
	;;#ASMEND
	;; [unrolled: 3-line block ×8, first 2 shown]
	ds_read_b64 v[12:13], v25 offset:64
	s_waitcnt vmcnt(3)
	v_lshrrev_b32_e32 v62, 16, v14
	v_and_b32_e32 v14, 0xffff, v14
	v_lshrrev_b32_e32 v63, 16, v15
	v_and_b32_e32 v15, 0xffff, v15
	v_fmac_f32_e32 v18, v16, v33
	v_fmac_f32_e32 v19, v17, v38
	s_waitcnt lgkmcnt(0)
	v_lshrrev_b32_e32 v16, 16, v12
	v_and_b32_e32 v12, 0xffff, v12
	v_lshrrev_b32_e32 v17, 16, v13
	v_and_b32_e32 v13, 0xffff, v13
	v_fmac_f32_e32 v36, v20, v21
	v_fmac_f32_e32 v37, v34, v35
	;;#ASMSTART
	v_cvt_f32_f16 v20, v12;
	;;#ASMEND
	;;#ASMSTART
	v_cvt_f32_f16 v16, v16;
	;;#ASMEND
	;; [unrolled: 3-line block ×8, first 2 shown]
	ds_read_b64 v[12:13], v25 offset:72
	s_waitcnt vmcnt(2)
	v_lshrrev_b32_e32 v32, 16, v10
	v_and_b32_e32 v10, 0xffff, v10
	v_fmac_f32_e32 v36, v20, v14
	v_fmac_f32_e32 v37, v33, v15
	s_waitcnt lgkmcnt(0)
	v_lshrrev_b32_e32 v14, 16, v12
	v_and_b32_e32 v12, 0xffff, v12
	;;#ASMSTART
	v_cvt_f32_f16 v12, v12;
	;;#ASMEND
	;;#ASMSTART
	v_cvt_f32_f16 v14, v14;
	;;#ASMEND
	;; [unrolled: 3-line block ×3, first 2 shown]
	v_lshrrev_b32_e32 v10, 16, v13
	v_and_b32_e32 v13, 0xffff, v13
	v_fmac_f32_e32 v18, v16, v21
	v_fmac_f32_e32 v19, v17, v34
	;;#ASMSTART
	v_cvt_f32_f16 v16, v32;
	;;#ASMEND
	;;#ASMSTART
	v_cvt_f32_f16 v13, v13;
	;;#ASMEND
	;; [unrolled: 3-line block ×3, first 2 shown]
	v_lshrrev_b32_e32 v10, 16, v11
	v_and_b32_e32 v11, 0xffff, v11
	;;#ASMSTART
	v_cvt_f32_f16 v20, v11;
	;;#ASMEND
	;;#ASMSTART
	v_cvt_f32_f16 v21, v10;
	;;#ASMEND
	ds_read_b64 v[10:11], v25 offset:80
	v_fmac_f32_e32 v36, v12, v15
	v_fmac_f32_e32 v37, v13, v20
	s_waitcnt vmcnt(1)
	v_lshrrev_b32_e32 v13, 16, v8
	v_and_b32_e32 v8, 0xffff, v8
	s_waitcnt lgkmcnt(0)
	v_lshrrev_b32_e32 v12, 16, v10
	v_and_b32_e32 v10, 0xffff, v10
	v_fmac_f32_e32 v18, v14, v16
	;;#ASMSTART
	v_cvt_f32_f16 v10, v10;
	;;#ASMEND
	;;#ASMSTART
	v_cvt_f32_f16 v12, v12;
	;;#ASMEND
	;; [unrolled: 3-line block ×3, first 2 shown]
	v_lshrrev_b32_e32 v8, 16, v11
	v_and_b32_e32 v11, 0xffff, v11
	;;#ASMSTART
	v_cvt_f32_f16 v13, v13;
	;;#ASMEND
	;;#ASMSTART
	v_cvt_f32_f16 v11, v11;
	;;#ASMEND
	;; [unrolled: 3-line block ×3, first 2 shown]
	v_lshrrev_b32_e32 v8, 16, v9
	v_and_b32_e32 v9, 0xffff, v9
	v_fmac_f32_e32 v19, v17, v21
	;;#ASMSTART
	v_cvt_f32_f16 v16, v9;
	;;#ASMEND
	;;#ASMSTART
	v_cvt_f32_f16 v17, v8;
	;;#ASMEND
	ds_read_b64 v[8:9], v25 offset:88
	v_fmac_f32_e32 v36, v10, v14
	v_fmac_f32_e32 v37, v11, v16
	s_waitcnt vmcnt(0)
	v_lshrrev_b32_e32 v11, 16, v6
	v_and_b32_e32 v6, 0xffff, v6
	s_waitcnt lgkmcnt(0)
	v_lshrrev_b32_e32 v10, 16, v8
	v_and_b32_e32 v8, 0xffff, v8
	;;#ASMSTART
	v_cvt_f32_f16 v8, v8;
	;;#ASMEND
	;;#ASMSTART
	v_cvt_f32_f16 v10, v10;
	;;#ASMEND
	;; [unrolled: 3-line block ×3, first 2 shown]
	v_fmac_f32_e32 v18, v12, v13
	v_fmac_f32_e32 v36, v8, v6
	v_lshrrev_b32_e32 v6, 16, v9
	v_and_b32_e32 v8, 0xffff, v9
	v_fmac_f32_e32 v19, v15, v17
	;;#ASMSTART
	v_cvt_f32_f16 v11, v11;
	;;#ASMEND
	;;#ASMSTART
	v_cvt_f32_f16 v8, v8;
	;;#ASMEND
	;; [unrolled: 3-line block ×3, first 2 shown]
	v_lshrrev_b32_e32 v9, 16, v7
	v_fmac_f32_e32 v18, v10, v11
	v_and_b32_e32 v7, 0xffff, v7
	;;#ASMSTART
	v_cvt_f32_f16 v7, v7;
	;;#ASMEND
	;;#ASMSTART
	v_cvt_f32_f16 v9, v9;
	;;#ASMEND
	v_cmp_lt_i32_e64 s[0:1], v30, v26
	v_fmac_f32_e32 v37, v8, v7
	v_fmac_f32_e32 v19, v6, v9
	v_add_f32_e32 v6, v36, v18
	v_add_f32_e32 v6, v6, v37
	v_cndmask_b32_e64 v7, v27, v30, s[0:1]
	v_add_f32_e32 v6, v19, v6
	v_lshlrev_b32_e32 v7, 2, v7
	ds_bpermute_b32 v7, v7, v6
	s_and_saveexec_b64 s[30:31], vcc
	s_cbranch_execz .LBB102_8
; %bb.10:                               ;   in Loop: Header=BB102_9 Depth=1
	v_add_u32_e32 v8, s15, v28
	v_cvt_f32_i32_e32 v8, v8
	s_waitcnt lgkmcnt(0)
	v_add_f32_e32 v6, v6, v7
	v_cmp_gt_i32_e64 s[0:1], s33, v28
	v_max_f32_e32 v7, v24, v24
	v_mul_f32_e32 v8, s8, v8
	v_cndmask_b32_e64 v8, 0, v8, s[2:3]
	v_fmac_f32_e32 v8, s9, v6
	v_cndmask_b32_e64 v6, 0, v8, s[0:1]
	ds_write_b32 v29, v6
	v_max_f32_e32 v6, v7, v8
	v_cndmask_b32_e64 v24, v24, v6, s[0:1]
	s_branch .LBB102_8
.LBB102_11:
	s_or_b64 exec, exec, s[28:29]
.LBB102_12:
	s_or_b64 exec, exec, s[26:27]
	v_xor_b32_e32 v2, 32, v27
	v_cmp_lt_i32_e32 vcc, v2, v26
	v_xor_b32_e32 v5, 16, v27
	v_max_f32_e32 v4, v24, v24
	v_cndmask_b32_e32 v2, v27, v2, vcc
	v_lshlrev_b32_e32 v2, 2, v2
	ds_bpermute_b32 v3, v2, v24
	v_cmp_lt_i32_e32 vcc, v5, v26
	v_xor_b32_e32 v6, 8, v27
	s_waitcnt lgkmcnt(0)
	v_xor_b32_e32 v7, 4, v27
	v_xor_b32_e32 v8, 2, v27
	v_max_f32_e32 v3, v3, v3
	v_max_f32_e32 v4, v4, v3
	v_cndmask_b32_e32 v3, v27, v5, vcc
	v_lshlrev_b32_e32 v3, 2, v3
	ds_bpermute_b32 v5, v3, v4
	v_cmp_lt_i32_e32 vcc, v6, v26
	v_and_b32_e32 v24, 63, v0
	s_waitcnt lgkmcnt(0)
	v_max_f32_e32 v5, v5, v5
	v_max_f32_e32 v5, v4, v5
	v_cndmask_b32_e32 v4, v27, v6, vcc
	v_lshlrev_b32_e32 v4, 2, v4
	ds_bpermute_b32 v6, v4, v5
	v_cmp_lt_i32_e32 vcc, v7, v26
	s_waitcnt lgkmcnt(0)
	v_max_f32_e32 v6, v6, v6
	v_max_f32_e32 v6, v5, v6
	v_cndmask_b32_e32 v5, v27, v7, vcc
	v_lshlrev_b32_e32 v5, 2, v5
	ds_bpermute_b32 v7, v5, v6
	v_cmp_lt_i32_e32 vcc, v8, v26
	s_waitcnt lgkmcnt(0)
	v_max_f32_e32 v7, v7, v7
	v_max_f32_e32 v7, v6, v7
	v_cndmask_b32_e32 v6, v27, v8, vcc
	v_lshlrev_b32_e32 v25, 2, v6
	ds_bpermute_b32 v8, v25, v7
	v_cmp_eq_u32_e32 vcc, 0, v24
	v_lshlrev_b32_e32 v6, 2, v1
	s_and_saveexec_b64 s[0:1], vcc
	s_cbranch_execz .LBB102_14
; %bb.13:
	s_waitcnt lgkmcnt(0)
	v_max_f32_e32 v8, v8, v8
	v_max_f32_e32 v7, v7, v7
	;; [unrolled: 1-line block ×3, first 2 shown]
	ds_write_b32 v6, v7 offset:192
.LBB102_14:
	s_or_b64 exec, exec, s[0:1]
	v_cmp_gt_u32_e64 s[0:1], 2, v24
	s_waitcnt lgkmcnt(0)
	v_mov_b32_e32 v8, 0xff7fffff
	v_lshlrev_b32_e32 v7, 2, v24
	s_barrier
	s_and_saveexec_b64 s[2:3], s[0:1]
	s_cbranch_execz .LBB102_16
; %bb.15:
	ds_read_b32 v8, v7 offset:192
.LBB102_16:
	s_or_b64 exec, exec, s[2:3]
	v_xor_b32_e32 v9, 1, v27
	v_cmp_lt_i32_e64 s[2:3], v9, v26
	v_lshlrev_b32_e32 v10, 2, v27
	s_nop 0
	v_cndmask_b32_e64 v9, v27, v9, s[2:3]
	v_lshlrev_b32_e32 v26, 2, v9
	s_waitcnt lgkmcnt(0)
	ds_bpermute_b32 v9, v26, v8
	v_max_f32_e32 v8, v8, v8
	s_lshl_b32 s2, s17, 5
	s_min_i32 s12, s2, s33
	v_cmp_gt_i32_e64 s[2:3], s12, v0
	s_waitcnt lgkmcnt(0)
	v_max_f32_e32 v9, v9, v9
	v_max_f32_e32 v9, v8, v9
	v_and_b32_e32 v8, 0xffffff00, v10
	ds_bpermute_b32 v10, v8, v9
	v_mov_b32_e32 v9, 0
	s_and_saveexec_b64 s[26:27], s[2:3]
	s_cbranch_execz .LBB102_20
; %bb.17:
	v_mov_b32_e32 v9, 0xd0
	v_lshl_add_u32 v11, v0, 2, v9
	s_mov_b64 s[28:29], 0
	v_mov_b32_e32 v9, 0
	v_mov_b32_e32 v12, v0
.LBB102_18:                             ; =>This Inner Loop Header: Depth=1
	ds_read_b32 v13, v11
	v_add_u32_e32 v12, 0x80, v12
	v_cmp_le_i32_e64 s[8:9], s12, v12
	s_or_b64 s[28:29], s[8:9], s[28:29]
	s_waitcnt lgkmcnt(0)
	v_sub_f32_e32 v13, v13, v10
	v_mul_f32_e32 v13, 0x3fb8aa3b, v13
	v_exp_f32_e32 v13, v13
	ds_write_b32 v11, v13
	v_add_f32_e32 v9, v9, v13
	v_add_u32_e32 v11, 0x200, v11
	s_andn2_b64 exec, exec, s[28:29]
	s_cbranch_execnz .LBB102_18
; %bb.19:
	s_or_b64 exec, exec, s[28:29]
.LBB102_20:
	s_or_b64 exec, exec, s[26:27]
	ds_bpermute_b32 v2, v2, v9
	s_waitcnt lgkmcnt(0)
	v_add_f32_e32 v2, v9, v2
	ds_bpermute_b32 v3, v3, v2
	s_waitcnt lgkmcnt(0)
	v_add_f32_e32 v2, v2, v3
	ds_bpermute_b32 v3, v4, v2
	s_waitcnt lgkmcnt(0)
	v_add_f32_e32 v2, v2, v3
	ds_bpermute_b32 v3, v5, v2
	s_waitcnt lgkmcnt(0)
	v_add_f32_e32 v2, v2, v3
	ds_bpermute_b32 v3, v25, v2
	s_waitcnt lgkmcnt(0)
	v_add_f32_e32 v2, v2, v3
	ds_bpermute_b32 v3, v26, v2
	s_waitcnt lgkmcnt(0)
	v_add_f32_e32 v2, v2, v3
	s_and_saveexec_b64 s[8:9], vcc
	s_cbranch_execz .LBB102_22
; %bb.21:
	ds_write_b32 v6, v2 offset:200
.LBB102_22:
	s_or_b64 exec, exec, s[8:9]
	s_waitcnt lgkmcnt(0)
	s_barrier
	s_and_saveexec_b64 s[8:9], s[0:1]
	s_cbranch_execz .LBB102_24
; %bb.23:
	ds_read_b32 v2, v7 offset:200
.LBB102_24:
	s_or_b64 exec, exec, s[8:9]
	s_waitcnt lgkmcnt(0)
	ds_bpermute_b32 v3, v26, v2
	s_waitcnt lgkmcnt(0)
	v_add_f32_e32 v2, v2, v3
	ds_bpermute_b32 v2, v8, v2
	s_and_saveexec_b64 s[0:1], s[2:3]
	s_cbranch_execz .LBB102_37
; %bb.25:
	s_waitcnt lgkmcnt(0)
	v_add_f32_e32 v2, 0x358637bd, v2
	v_div_scale_f32 v3, s[2:3], v2, v2, 1.0
	v_rcp_f32_e32 v4, v3
	v_div_scale_f32 v5, vcc, 1.0, v2, 1.0
	s_movk_i32 s2, 0x7f
	v_fma_f32 v6, -v3, v4, 1.0
	v_fmac_f32_e32 v4, v6, v4
	v_mul_f32_e32 v6, v5, v4
	v_fma_f32 v7, -v3, v6, v5
	v_fmac_f32_e32 v6, v7, v4
	v_fma_f32 v3, -v3, v6, v5
	v_div_fmas_f32 v3, v3, v4, v6
	v_xad_u32 v4, v0, -1, s12
	v_div_fixup_f32 v2, v3, v2, 1.0
	v_cmp_lt_u32_e32 vcc, s2, v4
	s_mov_b64 s[8:9], -1
	v_mov_b32_e32 v3, v0
	s_and_saveexec_b64 s[2:3], vcc
	s_cbranch_execz .LBB102_34
; %bb.26:
	v_lshrrev_b32_e32 v4, 7, v4
	v_add_u32_e32 v6, -1, v4
	v_lshrrev_b32_e32 v5, 1, v6
	v_mov_b32_e32 v3, v2
	v_add_u32_e32 v5, 1, v5
	v_cmp_lt_u32_e32 vcc, 13, v6
	v_mov_b32_e32 v8, 0
	s_and_saveexec_b64 s[8:9], vcc
	s_cbranch_execz .LBB102_30
; %bb.27:
	v_mov_b32_e32 v7, 0xd0
	v_and_b32_e32 v6, -8, v5
	v_lshl_add_u32 v7, v0, 2, v7
	s_mov_b32 s15, 0
	s_mov_b64 s[26:27], 0
.LBB102_28:                             ; =>This Inner Loop Header: Depth=1
	ds_read2st64_b32 v[8:9], v7 offset1:2
	ds_read2st64_b32 v[10:11], v7 offset0:4 offset1:6
	ds_read2st64_b32 v[12:13], v7 offset0:8 offset1:10
	;; [unrolled: 1-line block ×3, first 2 shown]
	v_add_u32_e32 v6, -8, v6
	s_waitcnt lgkmcnt(3)
	v_pk_mul_f32 v[8:9], v[2:3], v[8:9]
	s_waitcnt lgkmcnt(2)
	v_pk_mul_f32 v[10:11], v[2:3], v[10:11]
	ds_write2st64_b32 v7, v8, v9 offset1:2
	ds_write2st64_b32 v7, v10, v11 offset0:4 offset1:6
	ds_read2st64_b32 v[10:11], v7 offset0:16 offset1:18
	s_waitcnt lgkmcnt(4)
	v_pk_mul_f32 v[8:9], v[2:3], v[12:13]
	ds_write2st64_b32 v7, v8, v9 offset0:8 offset1:10
	s_waitcnt lgkmcnt(4)
	v_pk_mul_f32 v[8:9], v[2:3], v[14:15]
	ds_write2st64_b32 v7, v8, v9 offset0:12 offset1:14
	ds_read2st64_b32 v[8:9], v7 offset0:20 offset1:22
	s_waitcnt lgkmcnt(3)
	v_pk_mul_f32 v[10:11], v[2:3], v[10:11]
	ds_read2st64_b32 v[12:13], v7 offset0:24 offset1:26
	ds_write2st64_b32 v7, v10, v11 offset0:16 offset1:18
	ds_read2st64_b32 v[10:11], v7 offset0:28 offset1:30
	s_waitcnt lgkmcnt(3)
	v_pk_mul_f32 v[8:9], v[2:3], v[8:9]
	ds_write2st64_b32 v7, v8, v9 offset0:20 offset1:22
	s_waitcnt lgkmcnt(3)
	v_pk_mul_f32 v[8:9], v[2:3], v[12:13]
	ds_write2st64_b32 v7, v8, v9 offset0:24 offset1:26
	s_waitcnt lgkmcnt(2)
	v_pk_mul_f32 v[8:9], v[2:3], v[10:11]
	s_add_i32 s15, s15, 16
	v_cmp_eq_u32_e32 vcc, 0, v6
	ds_write2st64_b32 v7, v8, v9 offset0:28 offset1:30
	v_add_u32_e32 v7, 0x2000, v7
	s_or_b64 s[26:27], vcc, s[26:27]
	v_mov_b32_e32 v8, s15
	s_andn2_b64 exec, exec, s[26:27]
	s_cbranch_execnz .LBB102_28
; %bb.29:
	s_or_b64 exec, exec, s[26:27]
.LBB102_30:
	s_or_b64 exec, exec, s[8:9]
	v_and_b32_e32 v5, 7, v5
	v_cmp_ne_u32_e32 vcc, 0, v5
	s_and_saveexec_b64 s[8:9], vcc
	s_cbranch_execz .LBB102_33
; %bb.31:
	v_lshlrev_b32_e32 v6, 9, v8
	v_lshlrev_b32_e32 v7, 2, v0
	s_movk_i32 s15, 0xd0
	v_add3_u32 v6, v6, v7, s15
	s_mov_b64 s[26:27], 0
.LBB102_32:                             ; =>This Inner Loop Header: Depth=1
	ds_read2st64_b32 v[8:9], v6 offset1:2
	v_add_u32_e32 v5, -1, v5
	v_cmp_eq_u32_e32 vcc, 0, v5
	s_or_b64 s[26:27], vcc, s[26:27]
	s_waitcnt lgkmcnt(0)
	v_pk_mul_f32 v[8:9], v[2:3], v[8:9]
	ds_write2st64_b32 v6, v8, v9 offset1:2
	v_add_u32_e32 v6, 0x400, v6
	s_andn2_b64 exec, exec, s[26:27]
	s_cbranch_execnz .LBB102_32
.LBB102_33:
	s_or_b64 exec, exec, s[8:9]
	v_add_u32_e32 v4, 1, v4
	v_and_b32_e32 v5, 0x3fffffe, v4
	v_cmp_ne_u32_e32 vcc, v4, v5
	v_lshl_add_u32 v3, v5, 7, v0
	s_orn2_b64 s[8:9], vcc, exec
.LBB102_34:
	s_or_b64 exec, exec, s[2:3]
	s_and_b64 exec, exec, s[8:9]
	s_cbranch_execz .LBB102_37
; %bb.35:
	v_mov_b32_e32 v4, 0xd0
	v_lshl_add_u32 v4, v3, 2, v4
	s_mov_b64 s[2:3], 0
.LBB102_36:                             ; =>This Inner Loop Header: Depth=1
	ds_read_b32 v5, v4
	v_add_u32_e32 v3, 0x80, v3
	v_cmp_le_i32_e32 vcc, s12, v3
	s_or_b64 s[2:3], vcc, s[2:3]
	s_waitcnt lgkmcnt(0)
	v_mul_f32_e32 v5, v2, v5
	ds_write_b32 v4, v5
	v_add_u32_e32 v4, 0x200, v4
	s_andn2_b64 exec, exec, s[2:3]
	s_cbranch_execnz .LBB102_36
.LBB102_37:
	s_or_b64 exec, exec, s[0:1]
	v_mov_b32_e32 v7, 0
	v_and_b32_e32 v27, 3, v0
	v_mov_b32_e32 v6, 0
	v_mov_b32_e32 v9, 0
	v_mov_b32_e32 v8, 0
	v_mov_b32_e32 v11, 0
	v_mov_b32_e32 v10, 0
	s_waitcnt lgkmcnt(0)
	s_barrier
	s_and_saveexec_b64 s[2:3], s[6:7]
	s_cbranch_execz .LBB102_53
; %bb.38:
	s_ashr_i32 s15, s14, 31
	s_lshl_b64 s[0:1], s[14:15], 1
	s_add_u32 s6, s24, s0
	v_and_b32_e32 v3, 24, v22
	s_addc_u32 s7, s25, s1
	s_add_i32 s14, s17, -1
	s_lshl_b64 s[0:1], s[22:23], 2
	v_and_b32_e32 v2, 0x1f8, v22
	v_lshl_or_b32 v28, v1, 5, v3
	v_lshlrev_b32_e32 v3, 5, v27
	s_add_u32 s0, s20, s0
	v_mov_b32_e32 v13, 0
	v_or_b32_e32 v4, 0x800, v2
	v_or_b32_e32 v6, 0xa00, v2
	v_lshl_or_b32 v3, v1, 7, v3
	v_and_b32_e32 v12, 60, v23
	s_addc_u32 s1, s21, s1
	s_mov_b32 s26, s13
	s_mov_b32 s15, s33
	;; [unrolled: 1-line block ×8, first 2 shown]
	v_add_u32_e32 v29, 0xd0, v3
	v_lshl_add_u64 v[14:15], s[0:1], 0, v[12:13]
	s_mov_b64 s[8:9], 0
	v_lshlrev_b32_e32 v16, 1, v2
	v_mov_b32_e32 v17, v13
	s_mov_b32 s20, 0x5040100
	v_lshlrev_b32_e32 v12, 1, v4
	v_lshlrev_b32_e32 v18, 1, v6
	v_mov_b32_e32 v10, v13
	v_mov_b32_e32 v11, v13
	;; [unrolled: 1-line block ×6, first 2 shown]
	s_branch .LBB102_40
.LBB102_39:                             ;   in Loop: Header=BB102_40 Depth=1
	s_or_b64 exec, exec, s[0:1]
	s_waitcnt vmcnt(0)
	;;#ASMSTART
	v_pk_mul_f16 v2, v40, v2;

	;;#ASMEND
	;;#ASMSTART
	v_pk_mul_f16 v3, v39, v3;

	;;#ASMEND
	;; [unrolled: 4-line block ×4, first 2 shown]
	v_add_f32_e32 v19, v41, v42
	;;#ASMSTART
	v_pk_add_f16 v2, v2, v3;

	;;#ASMEND
	v_add_f32_e32 v10, v10, v19
	;;#ASMSTART
	v_pk_add_f16 v2, v2, v4;

	;;#ASMEND
	;; [unrolled: 5-line block ×3, first 2 shown]
	v_add_f32_e32 v11, v11, v19
	v_add_f32_e32 v19, v45, v46
	v_lshrrev_b32_e32 v3, 16, v2
	v_and_b32_e32 v2, 0xffff, v2
	v_add_f32_e32 v8, v8, v19
	v_add_f32_e32 v19, v22, v23
	;;#ASMSTART
	v_cvt_f32_f16 v2, v2;
	;;#ASMEND
	v_add_u32_e32 v1, 2, v1
	v_add_f32_e32 v9, v9, v19
	v_add_f32_e32 v19, v47, v48
	;;#ASMSTART
	v_cvt_f32_f16 v3, v3;
	;;#ASMEND
	v_cmp_le_i32_e32 vcc, s17, v1
	v_add_f32_e32 v2, v2, v3
	v_add_f32_e32 v6, v6, v19
	;; [unrolled: 1-line block ×3, first 2 shown]
	v_add_u32_e32 v28, 64, v28
	v_add_u32_e32 v29, 0x100, v29
	s_or_b64 s[8:9], vcc, s[8:9]
	v_lshl_add_u64 v[14:15], v[14:15], 0, 8
	s_andn2_b64 exec, exec, s[8:9]
	s_cbranch_execz .LBB102_52
.LBB102_40:                             ; =>This Inner Loop Header: Depth=1
	global_load_dword v30, v[14:15], off
	ds_read2_b64 v[2:5], v29 offset1:1
	ds_read2_b64 v[20:23], v29 offset0:2 offset1:3
	v_cmp_eq_u32_e32 vcc, s14, v1
	v_or_b32_e32 v32, 3, v28
	s_waitcnt lgkmcnt(1)
	;;#ASMSTART
	v_cvt_f16_f32 v19, v2;

	;;#ASMEND
	;;#ASMSTART
	v_cvt_f16_f32 v35, v3;

	;;#ASMEND
	;; [unrolled: 4-line block ×4, first 2 shown]
	s_waitcnt lgkmcnt(0)
	;;#ASMSTART
	v_cvt_f16_f32 v41, v20;

	;;#ASMEND
	;;#ASMSTART
	v_cvt_f16_f32 v42, v21;

	;;#ASMEND
	;; [unrolled: 4-line block ×4, first 2 shown]
	v_or_b32_e32 v31, 2, v28
	v_or_b32_e32 v34, 5, v28
	v_or_b32_e32 v33, 4, v28
	v_or_b32_e32 v38, 7, v28
	v_or_b32_e32 v36, 6, v28
	s_waitcnt vmcnt(0)
	v_mad_i64_i32 v[2:3], s[0:1], v30, s26, 0
	v_lshl_add_u64 v[20:21], v[2:3], 1, s[6:7]
	v_lshl_add_u64 v[22:23], v[20:21], 0, v[16:17]
	global_load_dwordx4 v[2:5], v[22:23], off
	v_add_u32_e32 v30, 1, v28
	s_and_saveexec_b64 s[12:13], vcc
	s_cbranch_execz .LBB102_42
; %bb.41:                               ;   in Loop: Header=BB102_40 Depth=1
	s_waitcnt vmcnt(0)
	v_lshrrev_b32_e32 v40, 16, v5
	v_cmp_gt_i32_e64 s[0:1], s30, v38
	s_nop 1
	v_cndmask_b32_e64 v40, 0, v40, s[0:1]
	v_cmp_gt_i32_e64 s[0:1], s29, v36
	s_nop 1
	v_cndmask_b32_e64 v5, 0, v5, s[0:1]
	v_perm_b32 v5, v40, v5, s20
	v_lshrrev_b32_e32 v40, 16, v4
	v_cmp_gt_i32_e64 s[0:1], s28, v34
	s_nop 1
	v_cndmask_b32_e64 v40, 0, v40, s[0:1]
	v_cmp_gt_i32_e64 s[0:1], s27, v33
	s_nop 1
	v_cndmask_b32_e64 v4, 0, v4, s[0:1]
	v_perm_b32 v4, v40, v4, s20
	;; [unrolled: 8-line block ×4, first 2 shown]
.LBB102_42:                             ;   in Loop: Header=BB102_40 Depth=1
	s_or_b64 exec, exec, s[12:13]
	v_and_b32_e32 v19, 0xffff, v19
	v_lshl_or_b32 v40, v35, 16, v19
	v_and_b32_e32 v19, 0xffff, v37
	v_lshl_or_b32 v39, v39, 16, v19
	;; [unrolled: 2-line block ×3, first 2 shown]
	v_and_b32_e32 v19, 0xffff, v43
	s_waitcnt vmcnt(0)
	;;#ASMSTART
	v_pk_mul_f16 v2, v40, v2;

	;;#ASMEND
	v_lshl_or_b32 v35, v44, 16, v19
	;;#ASMSTART
	v_pk_mul_f16 v3, v39, v3;

	;;#ASMEND
	;;#ASMSTART
	v_pk_mul_f16 v4, v37, v4;

	;;#ASMEND
	;;#ASMSTART
	v_pk_mul_f16 v5, v35, v5;

	;;#ASMEND
	s_nop 0
	;;#ASMSTART
	v_pk_add_f16 v2, v2, v3;

	;;#ASMEND
	s_nop 0
	;;#ASMSTART
	v_pk_add_f16 v2, v2, v4;

	;;#ASMEND
	;; [unrolled: 5-line block ×3, first 2 shown]
	s_nop 0
	v_lshrrev_b32_e32 v3, 16, v2
	v_and_b32_e32 v2, 0xffff, v2
	;;#ASMSTART
	v_cvt_f32_f16 v41, v2;
	;;#ASMEND
	;;#ASMSTART
	v_cvt_f32_f16 v42, v3;
	;;#ASMEND
	global_load_dwordx4 v[2:5], v[22:23], off offset:1024
	s_and_saveexec_b64 s[12:13], vcc
	s_cbranch_execz .LBB102_44
; %bb.43:                               ;   in Loop: Header=BB102_40 Depth=1
	s_waitcnt vmcnt(0)
	v_lshrrev_b32_e32 v19, 16, v5
	v_cmp_gt_i32_e64 s[0:1], s30, v38
	s_nop 1
	v_cndmask_b32_e64 v19, 0, v19, s[0:1]
	v_cmp_gt_i32_e64 s[0:1], s29, v36
	s_nop 1
	v_cndmask_b32_e64 v5, 0, v5, s[0:1]
	v_perm_b32 v5, v19, v5, s20
	v_lshrrev_b32_e32 v19, 16, v4
	v_cmp_gt_i32_e64 s[0:1], s28, v34
	s_nop 1
	v_cndmask_b32_e64 v19, 0, v19, s[0:1]
	v_cmp_gt_i32_e64 s[0:1], s27, v33
	s_nop 1
	v_cndmask_b32_e64 v4, 0, v4, s[0:1]
	v_perm_b32 v4, v19, v4, s20
	;; [unrolled: 8-line block ×4, first 2 shown]
.LBB102_44:                             ;   in Loop: Header=BB102_40 Depth=1
	s_or_b64 exec, exec, s[12:13]
	s_waitcnt vmcnt(0)
	;;#ASMSTART
	v_pk_mul_f16 v2, v40, v2;

	;;#ASMEND
	;;#ASMSTART
	v_pk_mul_f16 v3, v39, v3;

	;;#ASMEND
	;; [unrolled: 4-line block ×4, first 2 shown]
	s_nop 0
	;;#ASMSTART
	v_pk_add_f16 v2, v2, v3;

	;;#ASMEND
	s_nop 0
	;;#ASMSTART
	v_pk_add_f16 v2, v2, v4;

	;;#ASMEND
	;; [unrolled: 5-line block ×3, first 2 shown]
	s_nop 0
	v_lshrrev_b32_e32 v3, 16, v2
	v_and_b32_e32 v2, 0xffff, v2
	;;#ASMSTART
	v_cvt_f32_f16 v43, v2;
	;;#ASMEND
	;;#ASMSTART
	v_cvt_f32_f16 v44, v3;
	;;#ASMEND
	global_load_dwordx4 v[2:5], v[22:23], off offset:2048
	s_and_saveexec_b64 s[12:13], vcc
	s_cbranch_execz .LBB102_46
; %bb.45:                               ;   in Loop: Header=BB102_40 Depth=1
	s_waitcnt vmcnt(0)
	v_lshrrev_b32_e32 v19, 16, v5
	v_cmp_gt_i32_e64 s[0:1], s30, v38
	s_nop 1
	v_cndmask_b32_e64 v19, 0, v19, s[0:1]
	v_cmp_gt_i32_e64 s[0:1], s29, v36
	s_nop 1
	v_cndmask_b32_e64 v5, 0, v5, s[0:1]
	v_perm_b32 v5, v19, v5, s20
	v_lshrrev_b32_e32 v19, 16, v4
	v_cmp_gt_i32_e64 s[0:1], s28, v34
	s_nop 1
	v_cndmask_b32_e64 v19, 0, v19, s[0:1]
	v_cmp_gt_i32_e64 s[0:1], s27, v33
	s_nop 1
	v_cndmask_b32_e64 v4, 0, v4, s[0:1]
	v_perm_b32 v4, v19, v4, s20
	;; [unrolled: 8-line block ×4, first 2 shown]
.LBB102_46:                             ;   in Loop: Header=BB102_40 Depth=1
	s_or_b64 exec, exec, s[12:13]
	s_waitcnt vmcnt(0)
	;;#ASMSTART
	v_pk_mul_f16 v2, v40, v2;

	;;#ASMEND
	;;#ASMSTART
	v_pk_mul_f16 v3, v39, v3;

	;;#ASMEND
	;; [unrolled: 4-line block ×4, first 2 shown]
	s_nop 0
	;;#ASMSTART
	v_pk_add_f16 v2, v2, v3;

	;;#ASMEND
	s_nop 0
	;;#ASMSTART
	v_pk_add_f16 v2, v2, v4;

	;;#ASMEND
	;; [unrolled: 5-line block ×3, first 2 shown]
	s_nop 0
	v_lshrrev_b32_e32 v3, 16, v2
	v_and_b32_e32 v2, 0xffff, v2
	;;#ASMSTART
	v_cvt_f32_f16 v45, v2;
	;;#ASMEND
	;;#ASMSTART
	v_cvt_f32_f16 v46, v3;
	;;#ASMEND
	global_load_dwordx4 v[2:5], v[22:23], off offset:3072
	s_and_saveexec_b64 s[12:13], vcc
	s_cbranch_execz .LBB102_48
; %bb.47:                               ;   in Loop: Header=BB102_40 Depth=1
	s_waitcnt vmcnt(0)
	v_lshrrev_b32_e32 v19, 16, v5
	v_cmp_gt_i32_e64 s[0:1], s30, v38
	s_nop 1
	v_cndmask_b32_e64 v19, 0, v19, s[0:1]
	v_cmp_gt_i32_e64 s[0:1], s29, v36
	s_nop 1
	v_cndmask_b32_e64 v5, 0, v5, s[0:1]
	v_perm_b32 v5, v19, v5, s20
	v_lshrrev_b32_e32 v19, 16, v4
	v_cmp_gt_i32_e64 s[0:1], s28, v34
	s_nop 1
	v_cndmask_b32_e64 v19, 0, v19, s[0:1]
	v_cmp_gt_i32_e64 s[0:1], s27, v33
	s_nop 1
	v_cndmask_b32_e64 v4, 0, v4, s[0:1]
	v_perm_b32 v4, v19, v4, s20
	;; [unrolled: 8-line block ×4, first 2 shown]
.LBB102_48:                             ;   in Loop: Header=BB102_40 Depth=1
	s_or_b64 exec, exec, s[12:13]
	s_waitcnt vmcnt(0)
	;;#ASMSTART
	v_pk_mul_f16 v2, v40, v2;

	;;#ASMEND
	;;#ASMSTART
	v_pk_mul_f16 v3, v39, v3;

	;;#ASMEND
	;; [unrolled: 4-line block ×4, first 2 shown]
	s_nop 0
	;;#ASMSTART
	v_pk_add_f16 v2, v2, v3;

	;;#ASMEND
	s_nop 0
	;;#ASMSTART
	v_pk_add_f16 v2, v2, v4;

	;;#ASMEND
	;; [unrolled: 5-line block ×3, first 2 shown]
	s_nop 0
	v_lshrrev_b32_e32 v3, 16, v2
	v_and_b32_e32 v2, 0xffff, v2
	;;#ASMSTART
	v_cvt_f32_f16 v22, v2;
	;;#ASMEND
	;;#ASMSTART
	v_cvt_f32_f16 v23, v3;
	;;#ASMEND
	v_lshl_add_u64 v[2:3], v[20:21], 0, v[12:13]
	global_load_dwordx4 v[2:5], v[2:3], off
	s_and_saveexec_b64 s[12:13], vcc
	s_cbranch_execz .LBB102_50
; %bb.49:                               ;   in Loop: Header=BB102_40 Depth=1
	s_waitcnt vmcnt(0)
	v_lshrrev_b32_e32 v19, 16, v5
	v_cmp_gt_i32_e64 s[0:1], s30, v38
	s_nop 1
	v_cndmask_b32_e64 v19, 0, v19, s[0:1]
	v_cmp_gt_i32_e64 s[0:1], s29, v36
	s_nop 1
	v_cndmask_b32_e64 v5, 0, v5, s[0:1]
	v_perm_b32 v5, v19, v5, s20
	v_lshrrev_b32_e32 v19, 16, v4
	v_cmp_gt_i32_e64 s[0:1], s28, v34
	s_nop 1
	v_cndmask_b32_e64 v19, 0, v19, s[0:1]
	v_cmp_gt_i32_e64 s[0:1], s27, v33
	s_nop 1
	v_cndmask_b32_e64 v4, 0, v4, s[0:1]
	v_perm_b32 v4, v19, v4, s20
	;; [unrolled: 8-line block ×4, first 2 shown]
.LBB102_50:                             ;   in Loop: Header=BB102_40 Depth=1
	s_or_b64 exec, exec, s[12:13]
	s_waitcnt vmcnt(0)
	;;#ASMSTART
	v_pk_mul_f16 v2, v40, v2;

	;;#ASMEND
	;;#ASMSTART
	v_pk_mul_f16 v3, v39, v3;

	;;#ASMEND
	;; [unrolled: 4-line block ×4, first 2 shown]
	v_mov_b32_e32 v19, v13
	;;#ASMSTART
	v_pk_add_f16 v2, v2, v3;

	;;#ASMEND
	s_nop 0
	;;#ASMSTART
	v_pk_add_f16 v2, v2, v4;

	;;#ASMEND
	s_nop 0
	;;#ASMSTART
	v_pk_add_f16 v2, v2, v5;

	;;#ASMEND
	s_nop 0
	v_lshrrev_b32_e32 v3, 16, v2
	v_and_b32_e32 v2, 0xffff, v2
	;;#ASMSTART
	v_cvt_f32_f16 v47, v2;
	;;#ASMEND
	;;#ASMSTART
	v_cvt_f32_f16 v48, v3;
	;;#ASMEND
	v_lshl_add_u64 v[2:3], v[20:21], 0, v[18:19]
	global_load_dwordx4 v[2:5], v[2:3], off
	s_and_saveexec_b64 s[0:1], vcc
	s_cbranch_execz .LBB102_39
; %bb.51:                               ;   in Loop: Header=BB102_40 Depth=1
	s_waitcnt vmcnt(0)
	v_lshrrev_b32_e32 v19, 16, v5
	v_cmp_gt_i32_e32 vcc, s30, v38
	s_nop 1
	v_cndmask_b32_e32 v19, 0, v19, vcc
	v_cmp_gt_i32_e32 vcc, s29, v36
	s_nop 1
	v_cndmask_b32_e32 v5, 0, v5, vcc
	v_perm_b32 v5, v19, v5, s20
	v_lshrrev_b32_e32 v19, 16, v4
	v_cmp_gt_i32_e32 vcc, s28, v34
	s_nop 1
	v_cndmask_b32_e32 v19, 0, v19, vcc
	v_cmp_gt_i32_e32 vcc, s27, v33
	s_nop 1
	v_cndmask_b32_e32 v4, 0, v4, vcc
	v_perm_b32 v4, v19, v4, s20
	;; [unrolled: 8-line block ×4, first 2 shown]
	s_branch .LBB102_39
.LBB102_52:
	s_or_b64 exec, exec, s[8:9]
.LBB102_53:
	s_or_b64 exec, exec, s[2:3]
	ds_bpermute_b32 v2, v25, v10
	ds_bpermute_b32 v3, v25, v11
	;; [unrolled: 1-line block ×6, first 2 shown]
	s_waitcnt lgkmcnt(4)
	v_pk_add_f32 v[2:3], v[10:11], v[2:3]
	ds_bpermute_b32 v10, v26, v2
	s_waitcnt lgkmcnt(3)
	v_pk_add_f32 v[4:5], v[8:9], v[4:5]
	ds_bpermute_b32 v11, v26, v3
	;; [unrolled: 3-line block ×3, first 2 shown]
	ds_bpermute_b32 v9, v26, v5
	ds_bpermute_b32 v14, v26, v12
	;; [unrolled: 1-line block ×3, first 2 shown]
	v_and_b32_e32 v1, 0x3c3, v0
	s_waitcnt lgkmcnt(4)
	v_pk_add_f32 v[6:7], v[2:3], v[10:11]
	s_waitcnt lgkmcnt(2)
	v_pk_add_f32 v[4:5], v[4:5], v[8:9]
	v_cmp_eq_u32_e32 vcc, 64, v1
	s_waitcnt lgkmcnt(0)
	v_pk_add_f32 v[2:3], v[12:13], v[14:15]
	s_barrier
	s_and_saveexec_b64 s[0:1], vcc
	s_cbranch_execz .LBB102_55
; %bb.54:
	v_add_u32_e32 v8, 0xd0, v24
	ds_write2_b32 v8, v6, v7 offset1:16
	ds_write2_b32 v8, v4, v5 offset0:32 offset1:48
	ds_write2_b32 v8, v2, v3 offset0:64 offset1:80
.LBB102_55:
	s_or_b64 exec, exec, s[0:1]
	v_cmp_gt_u32_e32 vcc, 64, v0
	s_waitcnt lgkmcnt(0)
	s_barrier
	s_and_saveexec_b64 s[0:1], vcc
	s_cbranch_execz .LBB102_64
; %bb.56:
	v_cmp_eq_u32_e32 vcc, 0, v27
	v_lshrrev_b32_e32 v8, 2, v0
	s_and_saveexec_b64 s[2:3], vcc
	s_cbranch_execnz .LBB102_67
; %bb.57:
	s_or_b64 exec, exec, s[2:3]
	s_and_saveexec_b64 s[2:3], vcc
	s_cbranch_execnz .LBB102_68
.LBB102_58:
	s_or_b64 exec, exec, s[2:3]
	s_and_saveexec_b64 s[2:3], vcc
	s_cbranch_execnz .LBB102_69
.LBB102_59:
	s_or_b64 exec, exec, s[2:3]
	s_and_saveexec_b64 s[2:3], vcc
	s_cbranch_execnz .LBB102_70
.LBB102_60:
	s_or_b64 exec, exec, s[2:3]
	s_and_saveexec_b64 s[2:3], vcc
	s_cbranch_execnz .LBB102_71
.LBB102_61:
	s_or_b64 exec, exec, s[2:3]
	s_and_saveexec_b64 s[2:3], vcc
	s_cbranch_execz .LBB102_63
.LBB102_62:
	v_mov_b32_e32 v9, 0xd0
	v_lshl_add_u32 v8, v8, 2, v9
	ds_read_b32 v8, v8 offset:320
	s_waitcnt lgkmcnt(0)
	v_add_f32_e32 v3, v3, v8
.LBB102_63:
	s_or_b64 exec, exec, s[2:3]
.LBB102_64:
	s_or_b64 exec, exec, s[0:1]
	v_cmp_eq_u32_e32 vcc, 0, v1
	s_barrier
	s_and_saveexec_b64 s[0:1], vcc
	s_cbranch_execz .LBB102_66
; %bb.65:
	s_mul_i32 s0, s10, s11
	s_mul_i32 s0, s0, s5
	s_mulk_i32 s0, 0x60
	s_ashr_i32 s1, s0, 31
	s_lshl_b64 s[0:1], s[0:1], 1
	s_add_u32 s2, s18, s0
	s_mul_i32 s0, s11, s16
	s_addc_u32 s3, s19, s1
	s_ashr_i32 s1, s0, 31
	s_lshl_b64 s[0:1], s[0:1], 1
	s_add_u32 s2, s2, s0
	s_mul_i32 s0, s4, 0x60
	s_addc_u32 s3, s3, s1
	s_ashr_i32 s1, s0, 31
	s_lshl_b64 s[0:1], s[0:1], 1
	s_add_u32 s0, s2, s0
	s_addc_u32 s1, s3, s1
	v_lshrrev_b32_e32 v0, 1, v0
	;;#ASMSTART
	v_cvt_f16_f32 v1, v6;

	;;#ASMEND
	global_store_short v0, v1, s[0:1]
	;;#ASMSTART
	v_cvt_f16_f32 v1, v7;

	;;#ASMEND
	global_store_short v0, v1, s[0:1] offset:32
	;;#ASMSTART
	v_cvt_f16_f32 v1, v4;

	;;#ASMEND
	global_store_short v0, v1, s[0:1] offset:64
	;; [unrolled: 5-line block ×5, first 2 shown]
.LBB102_66:
	s_endpgm
.LBB102_67:
	v_mov_b32_e32 v9, 0xd0
	v_lshl_add_u32 v9, v8, 2, v9
	ds_read_b32 v9, v9
	s_waitcnt lgkmcnt(0)
	v_add_f32_e32 v6, v6, v9
	s_or_b64 exec, exec, s[2:3]
	s_and_saveexec_b64 s[2:3], vcc
	s_cbranch_execz .LBB102_58
.LBB102_68:
	v_mov_b32_e32 v9, 0xd0
	v_lshl_add_u32 v9, v8, 2, v9
	ds_read_b32 v9, v9 offset:64
	s_waitcnt lgkmcnt(0)
	v_add_f32_e32 v7, v7, v9
	s_or_b64 exec, exec, s[2:3]
	s_and_saveexec_b64 s[2:3], vcc
	s_cbranch_execz .LBB102_59
.LBB102_69:
	v_mov_b32_e32 v9, 0xd0
	v_lshl_add_u32 v9, v8, 2, v9
	ds_read_b32 v9, v9 offset:128
	s_waitcnt lgkmcnt(0)
	v_add_f32_e32 v4, v4, v9
	s_or_b64 exec, exec, s[2:3]
	s_and_saveexec_b64 s[2:3], vcc
	s_cbranch_execz .LBB102_60
.LBB102_70:
	v_mov_b32_e32 v9, 0xd0
	v_lshl_add_u32 v9, v8, 2, v9
	ds_read_b32 v9, v9 offset:192
	s_waitcnt lgkmcnt(0)
	v_add_f32_e32 v5, v5, v9
	s_or_b64 exec, exec, s[2:3]
	s_and_saveexec_b64 s[2:3], vcc
	s_cbranch_execz .LBB102_61
.LBB102_71:
	v_mov_b32_e32 v9, 0xd0
	v_lshl_add_u32 v9, v8, 2, v9
	ds_read_b32 v9, v9 offset:256
	s_waitcnt lgkmcnt(0)
	v_add_f32_e32 v2, v2, v9
	s_or_b64 exec, exec, s[2:3]
	s_and_saveexec_b64 s[2:3], vcc
	s_cbranch_execnz .LBB102_62
	s_branch .LBB102_63
	.section	.rodata,"a",@progbits
	.p2align	6, 0x0
	.amdhsa_kernel _ZN4vllm25paged_attention_v1_kernelIttLi96ELi32ELi128ELNS_18Fp8KVCacheDataTypeE0ELb0EEEvPT_PKS2_PKT0_S8_ifPKiSA_iPKfiiiSC_SC_iiiii
		.amdhsa_group_segment_fixed_size 208
		.amdhsa_private_segment_fixed_size 0
		.amdhsa_kernarg_size 384
		.amdhsa_user_sgpr_count 2
		.amdhsa_user_sgpr_dispatch_ptr 0
		.amdhsa_user_sgpr_queue_ptr 0
		.amdhsa_user_sgpr_kernarg_segment_ptr 1
		.amdhsa_user_sgpr_dispatch_id 0
		.amdhsa_user_sgpr_kernarg_preload_length 0
		.amdhsa_user_sgpr_kernarg_preload_offset 0
		.amdhsa_user_sgpr_private_segment_size 0
		.amdhsa_uses_dynamic_stack 0
		.amdhsa_enable_private_segment 0
		.amdhsa_system_sgpr_workgroup_id_x 1
		.amdhsa_system_sgpr_workgroup_id_y 1
		.amdhsa_system_sgpr_workgroup_id_z 1
		.amdhsa_system_sgpr_workgroup_info 0
		.amdhsa_system_vgpr_workitem_id 0
		.amdhsa_next_free_vgpr 64
		.amdhsa_next_free_sgpr 35
		.amdhsa_accum_offset 64
		.amdhsa_reserve_vcc 1
		.amdhsa_float_round_mode_32 0
		.amdhsa_float_round_mode_16_64 0
		.amdhsa_float_denorm_mode_32 3
		.amdhsa_float_denorm_mode_16_64 3
		.amdhsa_dx10_clamp 1
		.amdhsa_ieee_mode 1
		.amdhsa_fp16_overflow 0
		.amdhsa_tg_split 0
		.amdhsa_exception_fp_ieee_invalid_op 0
		.amdhsa_exception_fp_denorm_src 0
		.amdhsa_exception_fp_ieee_div_zero 0
		.amdhsa_exception_fp_ieee_overflow 0
		.amdhsa_exception_fp_ieee_underflow 0
		.amdhsa_exception_fp_ieee_inexact 0
		.amdhsa_exception_int_div_zero 0
	.end_amdhsa_kernel
	.section	.text._ZN4vllm25paged_attention_v1_kernelIttLi96ELi32ELi128ELNS_18Fp8KVCacheDataTypeE0ELb0EEEvPT_PKS2_PKT0_S8_ifPKiSA_iPKfiiiSC_SC_iiiii,"axG",@progbits,_ZN4vllm25paged_attention_v1_kernelIttLi96ELi32ELi128ELNS_18Fp8KVCacheDataTypeE0ELb0EEEvPT_PKS2_PKT0_S8_ifPKiSA_iPKfiiiSC_SC_iiiii,comdat
.Lfunc_end102:
	.size	_ZN4vllm25paged_attention_v1_kernelIttLi96ELi32ELi128ELNS_18Fp8KVCacheDataTypeE0ELb0EEEvPT_PKS2_PKT0_S8_ifPKiSA_iPKfiiiSC_SC_iiiii, .Lfunc_end102-_ZN4vllm25paged_attention_v1_kernelIttLi96ELi32ELi128ELNS_18Fp8KVCacheDataTypeE0ELb0EEEvPT_PKS2_PKT0_S8_ifPKiSA_iPKfiiiSC_SC_iiiii
                                        ; -- End function
	.section	.AMDGPU.csdata,"",@progbits
; Kernel info:
; codeLenInByte = 7464
; NumSgprs: 41
; NumVgprs: 64
; NumAgprs: 0
; TotalNumVgprs: 64
; ScratchSize: 0
; MemoryBound: 0
; FloatMode: 240
; IeeeMode: 1
; LDSByteSize: 208 bytes/workgroup (compile time only)
; SGPRBlocks: 5
; VGPRBlocks: 7
; NumSGPRsForWavesPerEU: 41
; NumVGPRsForWavesPerEU: 64
; AccumOffset: 64
; Occupancy: 8
; WaveLimiterHint : 1
; COMPUTE_PGM_RSRC2:SCRATCH_EN: 0
; COMPUTE_PGM_RSRC2:USER_SGPR: 2
; COMPUTE_PGM_RSRC2:TRAP_HANDLER: 0
; COMPUTE_PGM_RSRC2:TGID_X_EN: 1
; COMPUTE_PGM_RSRC2:TGID_Y_EN: 1
; COMPUTE_PGM_RSRC2:TGID_Z_EN: 1
; COMPUTE_PGM_RSRC2:TIDIG_COMP_CNT: 0
; COMPUTE_PGM_RSRC3_GFX90A:ACCUM_OFFSET: 15
; COMPUTE_PGM_RSRC3_GFX90A:TG_SPLIT: 0
	.section	.text._ZN4vllm25paged_attention_v1_kernelIttLi112ELi32ELi128ELNS_18Fp8KVCacheDataTypeE0ELb0EEEvPT_PKS2_PKT0_S8_ifPKiSA_iPKfiiiSC_SC_iiiii,"axG",@progbits,_ZN4vllm25paged_attention_v1_kernelIttLi112ELi32ELi128ELNS_18Fp8KVCacheDataTypeE0ELb0EEEvPT_PKS2_PKT0_S8_ifPKiSA_iPKfiiiSC_SC_iiiii,comdat
	.protected	_ZN4vllm25paged_attention_v1_kernelIttLi112ELi32ELi128ELNS_18Fp8KVCacheDataTypeE0ELb0EEEvPT_PKS2_PKT0_S8_ifPKiSA_iPKfiiiSC_SC_iiiii ; -- Begin function _ZN4vllm25paged_attention_v1_kernelIttLi112ELi32ELi128ELNS_18Fp8KVCacheDataTypeE0ELb0EEEvPT_PKS2_PKT0_S8_ifPKiSA_iPKfiiiSC_SC_iiiii
	.globl	_ZN4vllm25paged_attention_v1_kernelIttLi112ELi32ELi128ELNS_18Fp8KVCacheDataTypeE0ELb0EEEvPT_PKS2_PKT0_S8_ifPKiSA_iPKfiiiSC_SC_iiiii
	.p2align	8
	.type	_ZN4vllm25paged_attention_v1_kernelIttLi112ELi32ELi128ELNS_18Fp8KVCacheDataTypeE0ELb0EEEvPT_PKS2_PKT0_S8_ifPKiSA_iPKfiiiSC_SC_iiiii,@function
_ZN4vllm25paged_attention_v1_kernelIttLi112ELi32ELi128ELNS_18Fp8KVCacheDataTypeE0ELb0EEEvPT_PKS2_PKT0_S8_ifPKiSA_iPKfiiiSC_SC_iiiii: ; @_ZN4vllm25paged_attention_v1_kernelIttLi112ELi32ELi128ELNS_18Fp8KVCacheDataTypeE0ELb0EEEvPT_PKS2_PKT0_S8_ifPKiSA_iPKfiiiSC_SC_iiiii
; %bb.0:
	s_load_dword s5, s[0:1], 0x80
	s_load_dwordx2 s[6:7], s[0:1], 0x30
	s_load_dwordx2 s[8:9], s[0:1], 0x20
	s_mov_b32 s10, s3
	s_ashr_i32 s11, s3, 31
	s_lshl_b64 s[12:13], s[10:11], 2
	s_waitcnt lgkmcnt(0)
	s_add_u32 s6, s6, s12
	s_addc_u32 s7, s7, s13
	s_abs_i32 s3, s8
	v_cvt_f32_u32_e32 v1, s3
	s_sub_i32 s12, 0, s3
	s_abs_i32 s11, s5
	s_xor_b32 s8, s5, s8
	v_rcp_iflag_f32_e32 v1, v1
	s_ashr_i32 s8, s8, 31
	v_mul_f32_e32 v1, 0x4f7ffffe, v1
	v_cvt_u32_f32_e32 v1, v1
	s_nop 0
	v_readfirstlane_b32 s13, v1
	s_mul_i32 s12, s12, s13
	s_mul_hi_u32 s12, s13, s12
	s_add_i32 s13, s13, s12
	s_mul_hi_u32 s12, s11, s13
	s_mul_i32 s13, s12, s3
	s_sub_i32 s11, s11, s13
	s_add_i32 s13, s12, 1
	s_sub_i32 s14, s11, s3
	s_cmp_ge_u32 s11, s3
	s_cselect_b32 s12, s13, s12
	s_cselect_b32 s11, s14, s11
	s_add_i32 s13, s12, 1
	s_cmp_ge_u32 s11, s3
	s_cselect_b32 s3, s13, s12
	s_xor_b32 s3, s3, s8
	s_sub_i32 s14, s3, s8
	s_abs_i32 s11, s14
	v_cvt_f32_u32_e32 v1, s11
	s_load_dwordx2 s[12:13], s[0:1], 0x40
	s_sub_i32 s3, 0, s11
	s_abs_i32 s18, s2
	v_rcp_iflag_f32_e32 v1, v1
	s_mov_b32 s8, 0
	v_mul_f32_e32 v1, 0x4f7ffffe, v1
	v_cvt_u32_f32_e32 v1, v1
	s_nop 0
	v_readfirstlane_b32 s15, v1
	s_mul_i32 s3, s3, s15
	s_mul_hi_u32 s3, s15, s3
	s_add_i32 s15, s15, s3
	s_waitcnt lgkmcnt(0)
	s_cmp_eq_u64 s[12:13], 0
	s_mul_hi_u32 s19, s18, s15
	s_cbranch_scc1 .LBB103_2
; %bb.1:
	s_ashr_i32 s3, s2, 31
	s_lshl_b64 s[16:17], s[2:3], 2
	s_add_u32 s12, s12, s16
	s_addc_u32 s13, s13, s17
	s_load_dword s8, s[12:13], 0x0
.LBB103_2:
	s_load_dword s33, s[6:7], 0x0
	s_ashr_i32 s7, s14, 31
	s_load_dwordx4 s[12:15], s[0:1], 0x48
	s_ashr_i32 s6, s2, 31
	v_and_b32_e32 v4, 1, v0
	s_waitcnt lgkmcnt(0)
	s_movk_i32 s15, 0x70
	s_mul_i32 s16, s2, 0x70
	v_cmp_gt_u32_e32 vcc, 28, v0
	v_lshlrev_b32_e32 v26, 3, v0
	s_and_saveexec_b64 s[2:3], vcc
	s_cbranch_execz .LBB103_4
; %bb.3:
	s_load_dwordx2 s[20:21], s[0:1], 0x8
	s_mul_i32 s22, s10, s12
	s_ashr_i32 s23, s22, 31
	s_lshl_b64 s[22:23], s[22:23], 1
	v_lshlrev_b32_e32 v1, 2, v0
	s_waitcnt lgkmcnt(0)
	s_add_u32 s12, s20, s22
	s_addc_u32 s22, s21, s23
	s_ashr_i32 s17, s16, 31
	s_lshl_b64 s[20:21], s[16:17], 1
	s_add_u32 s20, s12, s20
	s_addc_u32 s21, s22, s21
	global_load_dwordx2 v[2:3], v26, s[20:21]
	v_and_b32_e32 v1, 0xff8, v1
	v_mad_u32_u24 v1, v4, s15, v1
	s_waitcnt vmcnt(0)
	ds_write_b64 v1, v[2:3]
.LBB103_4:
	s_or_b64 exec, exec, s[2:3]
	s_add_i32 s3, s33, 31
	s_ashr_i32 s12, s3, 31
	s_lshr_b32 s12, s12, 27
	s_add_i32 s3, s3, s12
	s_ashr_i32 s17, s3, 5
	s_xor_b32 s3, s6, s7
	s_mul_i32 s6, s19, s11
	s_sub_i32 s6, s18, s6
	s_add_i32 s7, s19, 1
	s_sub_i32 s12, s6, s11
	s_load_dwordx2 s[20:21], s[0:1], 0x28
	s_load_dword s2, s[0:1], 0x38
	s_cmp_ge_u32 s6, s11
	s_cselect_b32 s7, s7, s19
	s_cselect_b32 s6, s12, s6
	s_add_i32 s12, s7, 1
	s_cmp_ge_u32 s6, s11
	s_cselect_b32 s6, s12, s7
	v_lshrrev_b32_e32 v1, 6, v0
	s_xor_b32 s6, s6, s3
	s_waitcnt lgkmcnt(0)
	s_mul_i32 s22, s10, s2
	s_sub_i32 s12, s6, s3
	s_ashr_i32 s23, s22, 31
	v_cmp_gt_i32_e64 s[6:7], s17, v1
	v_cmp_le_i32_e32 vcc, s17, v1
	v_mbcnt_lo_u32_b32 v6, -1, 0
	s_barrier
	s_waitcnt lgkmcnt(0)
                                        ; implicit-def: $sgpr15
                                        ; implicit-def: $vgpr31
                                        ; implicit-def: $vgpr30
	s_and_saveexec_b64 s[2:3], vcc
	s_xor_b64 s[2:3], exec, s[2:3]
; %bb.5:
	v_mbcnt_hi_u32_b32 v31, -1, v6
	v_and_b32_e32 v2, 64, v31
	v_add_u32_e32 v30, 64, v2
	s_mov_b32 s15, 0xff7fffff
                                        ; implicit-def: $vgpr4
                                        ; implicit-def: $vgpr6
; %bb.6:
	s_or_saveexec_b64 s[26:27], s[2:3]
	s_load_dwordx2 s[18:19], s[0:1], 0x0
	s_load_dwordx2 s[24:25], s[0:1], 0x18
	s_load_dword s11, s[0:1], 0x88
	v_mov_b32_e32 v28, s15
	s_mul_i32 s14, s12, s14
	v_lshrrev_b32_e32 v27, 4, v0
	s_xor_b64 exec, exec, s[26:27]
	s_cbranch_execz .LBB103_12
; %bb.7:
	s_load_dwordx2 s[0:1], s[0:1], 0x10
	s_ashr_i32 s15, s14, 31
	s_lshl_b64 s[2:3], s[14:15], 1
	v_bfe_u32 v5, v0, 1, 5
	v_lshlrev_b32_e32 v8, 4, v5
	s_waitcnt lgkmcnt(0)
	s_add_u32 s0, s0, s2
	s_addc_u32 s1, s1, s3
	v_mov_b32_e32 v9, 0
	v_lshl_add_u64 v[2:3], s[0:1], 0, v[8:9]
	s_sub_i32 s15, 1, s33
	s_lshl_b64 s[0:1], s[22:23], 2
	v_and_b32_e32 v8, 8, v26
	v_mul_u32_u24_e32 v29, 0x70, v4
	v_cmp_eq_u32_e32 vcc, 0, v4
	v_lshlrev_b32_e32 v4, 2, v5
	s_add_u32 s0, s20, s0
	v_mbcnt_hi_u32_b32 v31, -1, v6
	v_lshl_add_u64 v[2:3], v[2:3], 0, v[8:9]
	v_lshl_or_b32 v4, v1, 7, v4
	v_and_b32_e32 v8, 60, v27
	s_addc_u32 s1, s21, s1
	v_and_b32_e32 v6, 64, v31
	s_mov_b32 s12, s13
	v_cmp_neq_f32_e64 s[2:3], s8, 0
	v_lshl_or_b32 v32, v1, 5, v5
	v_add_u32_e32 v33, 0xf0, v4
	v_lshl_add_u64 v[4:5], s[0:1], 0, v[8:9]
	s_mov_b64 s[28:29], 0
	v_mov_b32_e32 v28, 0xff7fffff
	s_movk_i32 s34, 0x1000
	v_xor_b32_e32 v34, 1, v31
	v_add_u32_e32 v30, 64, v6
	v_mov_b32_e32 v35, v1
	s_branch .LBB103_9
.LBB103_8:                              ;   in Loop: Header=BB103_9 Depth=1
	s_or_b64 exec, exec, s[30:31]
	v_add_u32_e32 v35, 2, v35
	v_cmp_le_i32_e64 s[0:1], s17, v35
	v_add_u32_e32 v32, 64, v32
	v_add_u32_e32 v33, 0x100, v33
	s_or_b64 s[28:29], s[0:1], s[28:29]
	v_lshl_add_u64 v[4:5], v[4:5], 0, 8
	s_andn2_b64 exec, exec, s[28:29]
	s_cbranch_execz .LBB103_11
.LBB103_9:                              ; =>This Inner Loop Header: Depth=1
	global_load_dword v6, v[4:5], off
	s_waitcnt vmcnt(0) lgkmcnt(0)
	v_mad_i64_i32 v[6:7], s[0:1], v6, s12, 0
	v_lshl_add_u64 v[6:7], v[6:7], 1, v[2:3]
	global_load_dwordx2 v[38:39], v[6:7], off
	global_load_dwordx2 v[40:41], v[6:7], off offset:512
	global_load_dwordx2 v[42:43], v[6:7], off offset:1024
	;; [unrolled: 1-line block ×7, first 2 shown]
	v_add_co_u32_e64 v36, s[0:1], s34, v6
	s_waitcnt vmcnt(6)
	v_lshrrev_b32_e32 v50, 16, v40
	v_addc_co_u32_e64 v37, s[0:1], 0, v7, s[0:1]
	global_load_dwordx2 v[16:17], v[36:37], off
	ds_read_b64 v[6:7], v29
	s_waitcnt vmcnt(4)
	v_lshrrev_b32_e32 v58, 16, v24
	v_and_b32_e32 v59, 0xffff, v24
	v_and_b32_e32 v40, 0xffff, v40
	s_waitcnt vmcnt(1)
	v_lshrrev_b32_e32 v61, 16, v18
	s_waitcnt lgkmcnt(0)
	v_lshrrev_b32_e32 v46, 16, v6
	v_and_b32_e32 v47, 0xffff, v6
	v_lshrrev_b32_e32 v48, 16, v7
	v_and_b32_e32 v49, 0xffff, v7
	global_load_dwordx2 v[14:15], v[36:37], off offset:512
	global_load_dwordx2 v[12:13], v[36:37], off offset:1024
	;; [unrolled: 1-line block ×5, first 2 shown]
	;;#ASMSTART
	v_cvt_f32_f16 v37, v47;
	;;#ASMEND
	;;#ASMSTART
	v_cvt_f32_f16 v36, v46;
	;;#ASMEND
	v_lshrrev_b32_e32 v46, 16, v38
	v_and_b32_e32 v38, 0xffff, v38
	v_lshrrev_b32_e32 v47, 16, v39
	v_and_b32_e32 v39, 0xffff, v39
	;;#ASMSTART
	v_cvt_f32_f16 v56, v38;
	;;#ASMEND
	;;#ASMSTART
	v_cvt_f32_f16 v46, v46;
	;;#ASMEND
	;; [unrolled: 3-line block ×6, first 2 shown]
	ds_read_b64 v[38:39], v29 offset:8
	v_and_b32_e32 v62, 0xffff, v18
	v_lshrrev_b32_e32 v63, 16, v19
	v_and_b32_e32 v64, 0xffff, v19
	v_lshrrev_b32_e32 v51, 16, v41
	s_waitcnt lgkmcnt(0)
	v_and_b32_e32 v24, 0xffff, v38
	;;#ASMSTART
	v_cvt_f32_f16 v24, v24;
	;;#ASMEND
	v_lshrrev_b32_e32 v38, 16, v38
	;;#ASMSTART
	v_cvt_f32_f16 v38, v38;
	;;#ASMEND
	;;#ASMSTART
	v_cvt_f32_f16 v40, v40;
	;;#ASMEND
	v_lshrrev_b32_e32 v18, 16, v39
	v_mul_f32_e32 v24, v24, v40
	v_fmac_f32_e32 v24, v37, v56
	v_lshrrev_b32_e32 v37, 16, v22
	v_and_b32_e32 v40, 0xffff, v22
	;;#ASMSTART
	v_cvt_f32_f16 v22, v50;
	;;#ASMEND
	v_and_b32_e32 v19, 0xffff, v39
	v_and_b32_e32 v41, 0xffff, v41
	v_mul_f32_e32 v22, v38, v22
	;;#ASMSTART
	v_cvt_f32_f16 v19, v19;
	;;#ASMEND
	;;#ASMSTART
	v_cvt_f32_f16 v39, v18;
	;;#ASMEND
	;; [unrolled: 3-line block ×3, first 2 shown]
	v_lshrrev_b32_e32 v38, 16, v20
	v_fmac_f32_e32 v22, v36, v46
	v_and_b32_e32 v36, 0xffff, v20
	v_lshrrev_b32_e32 v46, 16, v21
	v_and_b32_e32 v50, 0xffff, v21
	v_mul_f32_e32 v18, v19, v18
	;;#ASMSTART
	v_cvt_f32_f16 v19, v51;
	;;#ASMEND
	ds_read_b64 v[20:21], v29 offset:16
	v_lshrrev_b32_e32 v52, 16, v42
	v_and_b32_e32 v42, 0xffff, v42
	v_lshrrev_b32_e32 v53, 16, v43
	v_and_b32_e32 v43, 0xffff, v43
	s_waitcnt lgkmcnt(0)
	v_lshrrev_b32_e32 v41, 16, v20
	v_and_b32_e32 v20, 0xffff, v20
	;;#ASMSTART
	v_cvt_f32_f16 v20, v20;
	;;#ASMEND
	;;#ASMSTART
	v_cvt_f32_f16 v41, v41;
	;;#ASMEND
	;; [unrolled: 3-line block ×3, first 2 shown]
	v_mul_f32_e32 v19, v39, v19
	v_fmac_f32_e32 v24, v20, v42
	v_and_b32_e32 v20, 0xffff, v21
	v_fmac_f32_e32 v18, v49, v57
	v_fmac_f32_e32 v19, v48, v47
	v_lshrrev_b32_e32 v54, 16, v44
	v_and_b32_e32 v44, 0xffff, v44
	v_lshrrev_b32_e32 v55, 16, v45
	v_and_b32_e32 v45, 0xffff, v45
	;; [unrolled: 2-line block ×4, first 2 shown]
	v_cmp_lt_i32_e64 s[0:1], v34, v30
	s_waitcnt vmcnt(5)
	v_lshrrev_b32_e32 v39, 16, v16
	v_and_b32_e32 v42, 0xffff, v16
	v_lshrrev_b32_e32 v16, 16, v21
	;;#ASMSTART
	v_cvt_f32_f16 v21, v52;
	;;#ASMEND
	;;#ASMSTART
	v_cvt_f32_f16 v48, v20;
	;;#ASMEND
	;; [unrolled: 3-line block ×5, first 2 shown]
	v_lshrrev_b32_e32 v47, 16, v17
	v_fmac_f32_e32 v22, v41, v21
	ds_read_b64 v[20:21], v29 offset:24
	v_and_b32_e32 v41, 0xffff, v17
	v_fmac_f32_e32 v19, v16, v49
	v_fmac_f32_e32 v18, v48, v43
	s_waitcnt vmcnt(4)
	v_lshrrev_b32_e32 v51, 16, v14
	s_waitcnt lgkmcnt(0)
	v_lshrrev_b32_e32 v16, 16, v20
	v_and_b32_e32 v17, 0xffff, v20
	v_lshrrev_b32_e32 v20, 16, v21
	v_and_b32_e32 v21, 0xffff, v21
	;;#ASMSTART
	v_cvt_f32_f16 v43, v17;
	;;#ASMEND
	;;#ASMSTART
	v_cvt_f32_f16 v48, v16;
	;;#ASMEND
	;;#ASMSTART
	v_cvt_f32_f16 v44, v44;
	;;#ASMEND
	;;#ASMSTART
	v_cvt_f32_f16 v49, v54;
	;;#ASMEND
	;;#ASMSTART
	v_cvt_f32_f16 v21, v21;
	;;#ASMEND
	;;#ASMSTART
	v_cvt_f32_f16 v20, v20;
	;;#ASMEND
	;;#ASMSTART
	v_cvt_f32_f16 v45, v45;
	;;#ASMEND
	;;#ASMSTART
	v_cvt_f32_f16 v52, v55;
	;;#ASMEND
	ds_read_b64 v[16:17], v29 offset:32
	v_fmac_f32_e32 v18, v21, v45
	v_fmac_f32_e32 v19, v20, v52
	v_fmac_f32_e32 v24, v43, v44
	v_fmac_f32_e32 v22, v48, v49
	s_waitcnt lgkmcnt(0)
	v_lshrrev_b32_e32 v20, 16, v16
	v_and_b32_e32 v16, 0xffff, v16
	v_lshrrev_b32_e32 v21, 16, v17
	v_and_b32_e32 v17, 0xffff, v17
	;;#ASMSTART
	v_cvt_f32_f16 v43, v16;
	;;#ASMEND
	;;#ASMSTART
	v_cvt_f32_f16 v20, v20;
	;;#ASMEND
	;;#ASMSTART
	v_cvt_f32_f16 v44, v59;
	;;#ASMEND
	;;#ASMSTART
	v_cvt_f32_f16 v45, v58;
	;;#ASMEND
	;;#ASMSTART
	v_cvt_f32_f16 v48, v17;
	;;#ASMEND
	;;#ASMSTART
	v_cvt_f32_f16 v21, v21;
	;;#ASMEND
	;;#ASMSTART
	v_cvt_f32_f16 v25, v25;
	;;#ASMEND
	;;#ASMSTART
	v_cvt_f32_f16 v49, v60;
	;;#ASMEND
	ds_read_b64 v[16:17], v29 offset:40
	v_fmac_f32_e32 v22, v20, v45
	v_fmac_f32_e32 v19, v21, v49
	v_fmac_f32_e32 v24, v43, v44
	v_fmac_f32_e32 v18, v48, v25
	;; [unrolled: 34-line block ×5, first 2 shown]
	s_waitcnt lgkmcnt(0)
	v_lshrrev_b32_e32 v20, 16, v16
	v_and_b32_e32 v16, 0xffff, v16
	v_lshrrev_b32_e32 v21, 16, v17
	v_and_b32_e32 v17, 0xffff, v17
	;;#ASMSTART
	v_cvt_f32_f16 v23, v16;
	;;#ASMEND
	;;#ASMSTART
	v_cvt_f32_f16 v20, v20;
	;;#ASMEND
	;; [unrolled: 3-line block ×8, first 2 shown]
	ds_read_b64 v[16:17], v29 offset:72
	v_and_b32_e32 v14, 0xffff, v14
	v_fmac_f32_e32 v22, v20, v36
	v_fmac_f32_e32 v19, v21, v39
	;; [unrolled: 1-line block ×3, first 2 shown]
	s_waitcnt lgkmcnt(0)
	v_lshrrev_b32_e32 v20, 16, v16
	v_and_b32_e32 v16, 0xffff, v16
	;;#ASMSTART
	v_cvt_f32_f16 v16, v16;
	;;#ASMEND
	;;#ASMSTART
	v_cvt_f32_f16 v20, v20;
	;;#ASMEND
	;;#ASMSTART
	v_cvt_f32_f16 v21, v14;
	;;#ASMEND
	v_lshrrev_b32_e32 v14, 16, v17
	v_and_b32_e32 v17, 0xffff, v17
	;;#ASMSTART
	v_cvt_f32_f16 v23, v51;
	;;#ASMEND
	;;#ASMSTART
	v_cvt_f32_f16 v17, v17;
	;;#ASMEND
	;;#ASMSTART
	v_cvt_f32_f16 v25, v14;
	;;#ASMEND
	v_lshrrev_b32_e32 v14, 16, v15
	v_and_b32_e32 v15, 0xffff, v15
	v_fmac_f32_e32 v18, v37, v38
	;;#ASMSTART
	v_cvt_f32_f16 v36, v15;
	;;#ASMEND
	;;#ASMSTART
	v_cvt_f32_f16 v37, v14;
	;;#ASMEND
	ds_read_b64 v[14:15], v29 offset:80
	v_fmac_f32_e32 v24, v16, v21
	v_fmac_f32_e32 v18, v17, v36
	s_waitcnt vmcnt(3)
	v_lshrrev_b32_e32 v17, 16, v12
	v_and_b32_e32 v12, 0xffff, v12
	s_waitcnt lgkmcnt(0)
	v_lshrrev_b32_e32 v16, 16, v14
	v_and_b32_e32 v14, 0xffff, v14
	v_fmac_f32_e32 v22, v20, v23
	;;#ASMSTART
	v_cvt_f32_f16 v14, v14;
	;;#ASMEND
	;;#ASMSTART
	v_cvt_f32_f16 v16, v16;
	;;#ASMEND
	;;#ASMSTART
	v_cvt_f32_f16 v20, v12;
	;;#ASMEND
	v_lshrrev_b32_e32 v12, 16, v15
	v_and_b32_e32 v15, 0xffff, v15
	;;#ASMSTART
	v_cvt_f32_f16 v17, v17;
	;;#ASMEND
	;;#ASMSTART
	v_cvt_f32_f16 v15, v15;
	;;#ASMEND
	;;#ASMSTART
	v_cvt_f32_f16 v21, v12;
	;;#ASMEND
	v_lshrrev_b32_e32 v12, 16, v13
	v_and_b32_e32 v13, 0xffff, v13
	v_fmac_f32_e32 v19, v25, v37
	;;#ASMSTART
	v_cvt_f32_f16 v23, v13;
	;;#ASMEND
	;;#ASMSTART
	v_cvt_f32_f16 v25, v12;
	;;#ASMEND
	ds_read_b64 v[12:13], v29 offset:88
	v_fmac_f32_e32 v24, v14, v20
	v_fmac_f32_e32 v18, v15, v23
	s_waitcnt vmcnt(2)
	v_lshrrev_b32_e32 v15, 16, v10
	v_and_b32_e32 v10, 0xffff, v10
	s_waitcnt lgkmcnt(0)
	v_lshrrev_b32_e32 v14, 16, v12
	v_and_b32_e32 v12, 0xffff, v12
	v_fmac_f32_e32 v22, v16, v17
	;; [unrolled: 39-line block ×3, first 2 shown]
	;;#ASMSTART
	v_cvt_f32_f16 v10, v10;
	;;#ASMEND
	;;#ASMSTART
	v_cvt_f32_f16 v12, v12;
	;;#ASMEND
	;; [unrolled: 3-line block ×3, first 2 shown]
	v_lshrrev_b32_e32 v8, 16, v11
	v_and_b32_e32 v11, 0xffff, v11
	;;#ASMSTART
	v_cvt_f32_f16 v13, v13;
	;;#ASMEND
	;;#ASMSTART
	v_cvt_f32_f16 v11, v11;
	;;#ASMEND
	;; [unrolled: 3-line block ×3, first 2 shown]
	v_lshrrev_b32_e32 v8, 16, v9
	v_and_b32_e32 v9, 0xffff, v9
	v_fmac_f32_e32 v19, v17, v21
	;;#ASMSTART
	v_cvt_f32_f16 v16, v9;
	;;#ASMEND
	;;#ASMSTART
	v_cvt_f32_f16 v17, v8;
	;;#ASMEND
	ds_read_b64 v[8:9], v29 offset:104
	v_fmac_f32_e32 v24, v10, v14
	v_fmac_f32_e32 v18, v11, v16
	s_waitcnt vmcnt(0)
	v_lshrrev_b32_e32 v11, 16, v6
	v_and_b32_e32 v6, 0xffff, v6
	s_waitcnt lgkmcnt(0)
	v_lshrrev_b32_e32 v10, 16, v8
	v_and_b32_e32 v8, 0xffff, v8
	;;#ASMSTART
	v_cvt_f32_f16 v8, v8;
	;;#ASMEND
	;;#ASMSTART
	v_cvt_f32_f16 v10, v10;
	;;#ASMEND
	;; [unrolled: 3-line block ×3, first 2 shown]
	v_fmac_f32_e32 v22, v12, v13
	v_fmac_f32_e32 v24, v8, v6
	v_lshrrev_b32_e32 v6, 16, v9
	v_and_b32_e32 v8, 0xffff, v9
	v_fmac_f32_e32 v19, v15, v17
	;;#ASMSTART
	v_cvt_f32_f16 v11, v11;
	;;#ASMEND
	;;#ASMSTART
	v_cvt_f32_f16 v8, v8;
	;;#ASMEND
	;; [unrolled: 3-line block ×3, first 2 shown]
	v_lshrrev_b32_e32 v9, 16, v7
	v_fmac_f32_e32 v22, v10, v11
	v_and_b32_e32 v7, 0xffff, v7
	;;#ASMSTART
	v_cvt_f32_f16 v7, v7;
	;;#ASMEND
	;;#ASMSTART
	v_cvt_f32_f16 v9, v9;
	;;#ASMEND
	s_nop 0
	v_fmac_f32_e32 v18, v8, v7
	v_fmac_f32_e32 v19, v6, v9
	v_add_f32_e32 v6, v24, v22
	v_add_f32_e32 v6, v6, v18
	v_cndmask_b32_e64 v7, v31, v34, s[0:1]
	v_add_f32_e32 v6, v19, v6
	v_lshlrev_b32_e32 v7, 2, v7
	ds_bpermute_b32 v7, v7, v6
	s_and_saveexec_b64 s[30:31], vcc
	s_cbranch_execz .LBB103_8
; %bb.10:                               ;   in Loop: Header=BB103_9 Depth=1
	v_add_u32_e32 v8, s15, v32
	v_cvt_f32_i32_e32 v8, v8
	s_waitcnt lgkmcnt(0)
	v_add_f32_e32 v6, v6, v7
	v_cmp_gt_i32_e64 s[0:1], s33, v32
	v_max_f32_e32 v7, v28, v28
	v_mul_f32_e32 v8, s8, v8
	v_cndmask_b32_e64 v8, 0, v8, s[2:3]
	v_fmac_f32_e32 v8, s9, v6
	v_cndmask_b32_e64 v6, 0, v8, s[0:1]
	ds_write_b32 v33, v6
	v_max_f32_e32 v6, v7, v8
	v_cndmask_b32_e64 v28, v28, v6, s[0:1]
	s_branch .LBB103_8
.LBB103_11:
	s_or_b64 exec, exec, s[28:29]
.LBB103_12:
	s_or_b64 exec, exec, s[26:27]
	v_xor_b32_e32 v2, 32, v31
	v_cmp_lt_i32_e32 vcc, v2, v30
	v_xor_b32_e32 v5, 16, v31
	v_max_f32_e32 v4, v28, v28
	v_cndmask_b32_e32 v2, v31, v2, vcc
	v_lshlrev_b32_e32 v2, 2, v2
	ds_bpermute_b32 v3, v2, v28
	v_cmp_lt_i32_e32 vcc, v5, v30
	v_xor_b32_e32 v6, 8, v31
	s_waitcnt lgkmcnt(0)
	v_xor_b32_e32 v7, 4, v31
	v_xor_b32_e32 v8, 2, v31
	v_max_f32_e32 v3, v3, v3
	v_max_f32_e32 v4, v4, v3
	v_cndmask_b32_e32 v3, v31, v5, vcc
	v_lshlrev_b32_e32 v3, 2, v3
	ds_bpermute_b32 v5, v3, v4
	v_cmp_lt_i32_e32 vcc, v6, v30
	v_and_b32_e32 v28, 63, v0
	s_waitcnt lgkmcnt(0)
	v_max_f32_e32 v5, v5, v5
	v_max_f32_e32 v5, v4, v5
	v_cndmask_b32_e32 v4, v31, v6, vcc
	v_lshlrev_b32_e32 v4, 2, v4
	ds_bpermute_b32 v6, v4, v5
	v_cmp_lt_i32_e32 vcc, v7, v30
	s_waitcnt lgkmcnt(0)
	v_max_f32_e32 v6, v6, v6
	v_max_f32_e32 v6, v5, v6
	v_cndmask_b32_e32 v5, v31, v7, vcc
	v_lshlrev_b32_e32 v5, 2, v5
	ds_bpermute_b32 v7, v5, v6
	v_cmp_lt_i32_e32 vcc, v8, v30
	s_waitcnt lgkmcnt(0)
	v_max_f32_e32 v7, v7, v7
	v_max_f32_e32 v7, v6, v7
	v_cndmask_b32_e32 v6, v31, v8, vcc
	v_lshlrev_b32_e32 v29, 2, v6
	ds_bpermute_b32 v8, v29, v7
	v_cmp_eq_u32_e32 vcc, 0, v28
	v_lshlrev_b32_e32 v6, 2, v1
	s_and_saveexec_b64 s[0:1], vcc
	s_cbranch_execz .LBB103_14
; %bb.13:
	s_waitcnt lgkmcnt(0)
	v_max_f32_e32 v8, v8, v8
	v_max_f32_e32 v7, v7, v7
	;; [unrolled: 1-line block ×3, first 2 shown]
	ds_write_b32 v6, v7 offset:224
.LBB103_14:
	s_or_b64 exec, exec, s[0:1]
	v_cmp_gt_u32_e64 s[0:1], 2, v28
	s_waitcnt lgkmcnt(0)
	v_mov_b32_e32 v8, 0xff7fffff
	v_lshlrev_b32_e32 v7, 2, v28
	s_barrier
	s_and_saveexec_b64 s[2:3], s[0:1]
	s_cbranch_execz .LBB103_16
; %bb.15:
	ds_read_b32 v8, v7 offset:224
.LBB103_16:
	s_or_b64 exec, exec, s[2:3]
	v_xor_b32_e32 v9, 1, v31
	v_cmp_lt_i32_e64 s[2:3], v9, v30
	v_lshlrev_b32_e32 v10, 2, v31
	s_nop 0
	v_cndmask_b32_e64 v9, v31, v9, s[2:3]
	v_lshlrev_b32_e32 v30, 2, v9
	s_waitcnt lgkmcnt(0)
	ds_bpermute_b32 v9, v30, v8
	v_max_f32_e32 v8, v8, v8
	s_lshl_b32 s2, s17, 5
	s_min_i32 s12, s2, s33
	v_cmp_gt_i32_e64 s[2:3], s12, v0
	s_waitcnt lgkmcnt(0)
	v_max_f32_e32 v9, v9, v9
	v_max_f32_e32 v9, v8, v9
	v_and_b32_e32 v8, 0xffffff00, v10
	ds_bpermute_b32 v10, v8, v9
	v_mov_b32_e32 v9, 0
	s_and_saveexec_b64 s[26:27], s[2:3]
	s_cbranch_execz .LBB103_20
; %bb.17:
	v_mov_b32_e32 v9, 0xf0
	v_lshl_add_u32 v11, v0, 2, v9
	s_mov_b64 s[28:29], 0
	v_mov_b32_e32 v9, 0
	v_mov_b32_e32 v12, v0
.LBB103_18:                             ; =>This Inner Loop Header: Depth=1
	ds_read_b32 v13, v11
	v_add_u32_e32 v12, 0x80, v12
	v_cmp_le_i32_e64 s[8:9], s12, v12
	s_or_b64 s[28:29], s[8:9], s[28:29]
	s_waitcnt lgkmcnt(0)
	v_sub_f32_e32 v13, v13, v10
	v_mul_f32_e32 v13, 0x3fb8aa3b, v13
	v_exp_f32_e32 v13, v13
	ds_write_b32 v11, v13
	v_add_f32_e32 v9, v9, v13
	v_add_u32_e32 v11, 0x200, v11
	s_andn2_b64 exec, exec, s[28:29]
	s_cbranch_execnz .LBB103_18
; %bb.19:
	s_or_b64 exec, exec, s[28:29]
.LBB103_20:
	s_or_b64 exec, exec, s[26:27]
	ds_bpermute_b32 v2, v2, v9
	s_waitcnt lgkmcnt(0)
	v_add_f32_e32 v2, v9, v2
	ds_bpermute_b32 v3, v3, v2
	s_waitcnt lgkmcnt(0)
	v_add_f32_e32 v2, v2, v3
	;; [unrolled: 3-line block ×6, first 2 shown]
	s_and_saveexec_b64 s[8:9], vcc
	s_cbranch_execz .LBB103_22
; %bb.21:
	ds_write_b32 v6, v2 offset:232
.LBB103_22:
	s_or_b64 exec, exec, s[8:9]
	s_waitcnt lgkmcnt(0)
	s_barrier
	s_and_saveexec_b64 s[8:9], s[0:1]
	s_cbranch_execz .LBB103_24
; %bb.23:
	ds_read_b32 v2, v7 offset:232
.LBB103_24:
	s_or_b64 exec, exec, s[8:9]
	s_waitcnt lgkmcnt(0)
	ds_bpermute_b32 v3, v30, v2
	s_waitcnt lgkmcnt(0)
	v_add_f32_e32 v2, v2, v3
	ds_bpermute_b32 v2, v8, v2
	s_and_saveexec_b64 s[0:1], s[2:3]
	s_cbranch_execz .LBB103_37
; %bb.25:
	s_waitcnt lgkmcnt(0)
	v_add_f32_e32 v2, 0x358637bd, v2
	v_div_scale_f32 v3, s[2:3], v2, v2, 1.0
	v_rcp_f32_e32 v4, v3
	v_div_scale_f32 v5, vcc, 1.0, v2, 1.0
	s_movk_i32 s2, 0x7f
	v_fma_f32 v6, -v3, v4, 1.0
	v_fmac_f32_e32 v4, v6, v4
	v_mul_f32_e32 v6, v5, v4
	v_fma_f32 v7, -v3, v6, v5
	v_fmac_f32_e32 v6, v7, v4
	v_fma_f32 v3, -v3, v6, v5
	v_div_fmas_f32 v3, v3, v4, v6
	v_xad_u32 v4, v0, -1, s12
	v_div_fixup_f32 v2, v3, v2, 1.0
	v_cmp_lt_u32_e32 vcc, s2, v4
	s_mov_b64 s[8:9], -1
	v_mov_b32_e32 v3, v0
	s_and_saveexec_b64 s[2:3], vcc
	s_cbranch_execz .LBB103_34
; %bb.26:
	v_lshrrev_b32_e32 v4, 7, v4
	v_add_u32_e32 v6, -1, v4
	v_lshrrev_b32_e32 v5, 1, v6
	v_mov_b32_e32 v3, v2
	v_add_u32_e32 v5, 1, v5
	v_cmp_lt_u32_e32 vcc, 13, v6
	v_mov_b32_e32 v8, 0
	s_and_saveexec_b64 s[8:9], vcc
	s_cbranch_execz .LBB103_30
; %bb.27:
	v_mov_b32_e32 v7, 0xf0
	v_and_b32_e32 v6, -8, v5
	v_lshl_add_u32 v7, v0, 2, v7
	s_mov_b32 s15, 0
	s_mov_b64 s[26:27], 0
.LBB103_28:                             ; =>This Inner Loop Header: Depth=1
	ds_read2st64_b32 v[8:9], v7 offset1:2
	ds_read2st64_b32 v[10:11], v7 offset0:4 offset1:6
	ds_read2st64_b32 v[12:13], v7 offset0:8 offset1:10
	ds_read2st64_b32 v[14:15], v7 offset0:12 offset1:14
	v_add_u32_e32 v6, -8, v6
	s_waitcnt lgkmcnt(3)
	v_pk_mul_f32 v[8:9], v[2:3], v[8:9]
	s_waitcnt lgkmcnt(2)
	v_pk_mul_f32 v[10:11], v[2:3], v[10:11]
	ds_write2st64_b32 v7, v8, v9 offset1:2
	ds_write2st64_b32 v7, v10, v11 offset0:4 offset1:6
	ds_read2st64_b32 v[10:11], v7 offset0:16 offset1:18
	s_waitcnt lgkmcnt(4)
	v_pk_mul_f32 v[8:9], v[2:3], v[12:13]
	ds_write2st64_b32 v7, v8, v9 offset0:8 offset1:10
	s_waitcnt lgkmcnt(4)
	v_pk_mul_f32 v[8:9], v[2:3], v[14:15]
	ds_write2st64_b32 v7, v8, v9 offset0:12 offset1:14
	ds_read2st64_b32 v[8:9], v7 offset0:20 offset1:22
	s_waitcnt lgkmcnt(3)
	v_pk_mul_f32 v[10:11], v[2:3], v[10:11]
	ds_read2st64_b32 v[12:13], v7 offset0:24 offset1:26
	ds_write2st64_b32 v7, v10, v11 offset0:16 offset1:18
	ds_read2st64_b32 v[10:11], v7 offset0:28 offset1:30
	s_waitcnt lgkmcnt(3)
	v_pk_mul_f32 v[8:9], v[2:3], v[8:9]
	ds_write2st64_b32 v7, v8, v9 offset0:20 offset1:22
	s_waitcnt lgkmcnt(3)
	v_pk_mul_f32 v[8:9], v[2:3], v[12:13]
	ds_write2st64_b32 v7, v8, v9 offset0:24 offset1:26
	s_waitcnt lgkmcnt(2)
	v_pk_mul_f32 v[8:9], v[2:3], v[10:11]
	s_add_i32 s15, s15, 16
	v_cmp_eq_u32_e32 vcc, 0, v6
	ds_write2st64_b32 v7, v8, v9 offset0:28 offset1:30
	v_add_u32_e32 v7, 0x2000, v7
	s_or_b64 s[26:27], vcc, s[26:27]
	v_mov_b32_e32 v8, s15
	s_andn2_b64 exec, exec, s[26:27]
	s_cbranch_execnz .LBB103_28
; %bb.29:
	s_or_b64 exec, exec, s[26:27]
.LBB103_30:
	s_or_b64 exec, exec, s[8:9]
	v_and_b32_e32 v5, 7, v5
	v_cmp_ne_u32_e32 vcc, 0, v5
	s_and_saveexec_b64 s[8:9], vcc
	s_cbranch_execz .LBB103_33
; %bb.31:
	v_lshlrev_b32_e32 v6, 9, v8
	v_lshlrev_b32_e32 v7, 2, v0
	s_movk_i32 s15, 0xf0
	v_add3_u32 v6, v6, v7, s15
	s_mov_b64 s[26:27], 0
.LBB103_32:                             ; =>This Inner Loop Header: Depth=1
	ds_read2st64_b32 v[8:9], v6 offset1:2
	v_add_u32_e32 v5, -1, v5
	v_cmp_eq_u32_e32 vcc, 0, v5
	s_or_b64 s[26:27], vcc, s[26:27]
	s_waitcnt lgkmcnt(0)
	v_pk_mul_f32 v[8:9], v[2:3], v[8:9]
	ds_write2st64_b32 v6, v8, v9 offset1:2
	v_add_u32_e32 v6, 0x400, v6
	s_andn2_b64 exec, exec, s[26:27]
	s_cbranch_execnz .LBB103_32
.LBB103_33:
	s_or_b64 exec, exec, s[8:9]
	v_add_u32_e32 v4, 1, v4
	v_and_b32_e32 v5, 0x3fffffe, v4
	v_cmp_ne_u32_e32 vcc, v4, v5
	v_lshl_add_u32 v3, v5, 7, v0
	s_orn2_b64 s[8:9], vcc, exec
.LBB103_34:
	s_or_b64 exec, exec, s[2:3]
	s_and_b64 exec, exec, s[8:9]
	s_cbranch_execz .LBB103_37
; %bb.35:
	v_mov_b32_e32 v4, 0xf0
	v_lshl_add_u32 v4, v3, 2, v4
	s_mov_b64 s[2:3], 0
.LBB103_36:                             ; =>This Inner Loop Header: Depth=1
	ds_read_b32 v5, v4
	v_add_u32_e32 v3, 0x80, v3
	v_cmp_le_i32_e32 vcc, s12, v3
	s_or_b64 s[2:3], vcc, s[2:3]
	s_waitcnt lgkmcnt(0)
	v_mul_f32_e32 v5, v2, v5
	ds_write_b32 v4, v5
	v_add_u32_e32 v4, 0x200, v4
	s_andn2_b64 exec, exec, s[2:3]
	s_cbranch_execnz .LBB103_36
.LBB103_37:
	s_or_b64 exec, exec, s[0:1]
	v_mov_b32_e32 v32, 0
	v_and_b32_e32 v31, 3, v0
	v_mov_b32_e32 v7, 0
	v_mov_b32_e32 v6, 0
	;; [unrolled: 1-line block ×6, first 2 shown]
	s_waitcnt lgkmcnt(0)
	s_barrier
	s_and_saveexec_b64 s[2:3], s[6:7]
	s_cbranch_execz .LBB103_55
; %bb.38:
	s_ashr_i32 s15, s14, 31
	s_lshl_b64 s[0:1], s[14:15], 1
	s_add_u32 s6, s24, s0
	v_and_b32_e32 v3, 24, v26
	s_addc_u32 s7, s25, s1
	s_add_i32 s14, s17, -1
	s_lshl_b64 s[0:1], s[22:23], 2
	v_and_b32_e32 v2, 0x1f8, v26
	v_lshl_or_b32 v26, v1, 5, v3
	v_lshlrev_b32_e32 v3, 5, v31
	s_add_u32 s0, s20, s0
	v_mov_b32_e32 v13, 0
	v_or_b32_e32 v4, 0x800, v2
	v_or_b32_e32 v6, 0xa00, v2
	;; [unrolled: 1-line block ×3, first 2 shown]
	v_lshl_or_b32 v3, v1, 7, v3
	v_and_b32_e32 v12, 60, v27
	s_addc_u32 s1, s21, s1
	s_mov_b32 s26, s13
	s_mov_b32 s15, s33
	;; [unrolled: 1-line block ×8, first 2 shown]
	v_add_u32_e32 v33, 0xf0, v3
	v_lshl_add_u64 v[14:15], s[0:1], 0, v[12:13]
	s_mov_b64 s[8:9], 0
	v_lshlrev_b32_e32 v16, 1, v2
	v_mov_b32_e32 v17, v13
	s_mov_b32 s20, 0x5040100
	v_lshlrev_b32_e32 v12, 1, v4
	v_lshlrev_b32_e32 v18, 1, v6
	;; [unrolled: 1-line block ×3, first 2 shown]
	v_mov_b32_e32 v10, v13
	v_mov_b32_e32 v11, v13
	;; [unrolled: 1-line block ×7, first 2 shown]
	s_branch .LBB103_40
.LBB103_39:                             ;   in Loop: Header=BB103_40 Depth=1
	s_or_b64 exec, exec, s[0:1]
	s_waitcnt vmcnt(0)
	;;#ASMSTART
	v_pk_mul_f16 v2, v41, v2;

	;;#ASMEND
	;;#ASMSTART
	v_pk_mul_f16 v3, v40, v3;

	;;#ASMEND
	;; [unrolled: 4-line block ×4, first 2 shown]
	v_add_f32_e32 v21, v44, v45
	;;#ASMSTART
	v_pk_add_f16 v2, v2, v3;

	;;#ASMEND
	v_add_f32_e32 v10, v10, v21
	;;#ASMSTART
	v_pk_add_f16 v2, v2, v4;

	;;#ASMEND
	;; [unrolled: 5-line block ×3, first 2 shown]
	v_add_f32_e32 v11, v11, v21
	v_add_f32_e32 v21, v48, v49
	v_lshrrev_b32_e32 v3, 16, v2
	v_and_b32_e32 v2, 0xffff, v2
	v_add_f32_e32 v8, v8, v21
	v_add_f32_e32 v21, v24, v25
	;;#ASMSTART
	v_cvt_f32_f16 v2, v2;
	;;#ASMEND
	v_add_u32_e32 v1, 2, v1
	v_add_f32_e32 v9, v9, v21
	v_add_f32_e32 v21, v50, v51
	;; [unrolled: 1-line block ×3, first 2 shown]
	;;#ASMSTART
	v_cvt_f32_f16 v3, v3;
	;;#ASMEND
	v_cmp_le_i32_e32 vcc, s17, v1
	v_add_f32_e32 v2, v2, v3
	v_add_f32_e32 v6, v6, v21
	;; [unrolled: 1-line block ×4, first 2 shown]
	v_add_u32_e32 v26, 64, v26
	v_add_u32_e32 v33, 0x100, v33
	s_or_b64 s[8:9], vcc, s[8:9]
	v_lshl_add_u64 v[14:15], v[14:15], 0, 8
	s_andn2_b64 exec, exec, s[8:9]
	s_cbranch_execz .LBB103_54
.LBB103_40:                             ; =>This Inner Loop Header: Depth=1
	global_load_dword v27, v[14:15], off
	ds_read2_b64 v[2:5], v33 offset1:1
	ds_read2_b64 v[22:25], v33 offset0:2 offset1:3
	v_cmp_eq_u32_e32 vcc, s14, v1
	v_or_b32_e32 v35, 3, v26
	s_waitcnt lgkmcnt(1)
	;;#ASMSTART
	v_cvt_f16_f32 v19, v2;

	;;#ASMEND
	;;#ASMSTART
	v_cvt_f16_f32 v21, v3;

	;;#ASMEND
	;; [unrolled: 4-line block ×4, first 2 shown]
	s_waitcnt lgkmcnt(0)
	;;#ASMSTART
	v_cvt_f16_f32 v44, v22;

	;;#ASMEND
	;;#ASMSTART
	v_cvt_f16_f32 v45, v23;

	;;#ASMEND
	;; [unrolled: 4-line block ×4, first 2 shown]
	v_or_b32_e32 v34, 2, v26
	v_or_b32_e32 v37, 5, v26
	;; [unrolled: 1-line block ×5, first 2 shown]
	s_waitcnt vmcnt(0)
	v_mad_i64_i32 v[2:3], s[0:1], v27, s26, 0
	v_lshl_add_u64 v[22:23], v[2:3], 1, s[6:7]
	v_lshl_add_u64 v[24:25], v[22:23], 0, v[16:17]
	global_load_dwordx4 v[2:5], v[24:25], off
	v_add_u32_e32 v27, 1, v26
	s_and_saveexec_b64 s[12:13], vcc
	s_cbranch_execz .LBB103_42
; %bb.41:                               ;   in Loop: Header=BB103_40 Depth=1
	s_waitcnt vmcnt(0)
	v_lshrrev_b32_e32 v40, 16, v5
	v_cmp_gt_i32_e64 s[0:1], s30, v43
	s_nop 1
	v_cndmask_b32_e64 v40, 0, v40, s[0:1]
	v_cmp_gt_i32_e64 s[0:1], s29, v42
	s_nop 1
	v_cndmask_b32_e64 v5, 0, v5, s[0:1]
	v_perm_b32 v5, v40, v5, s20
	v_lshrrev_b32_e32 v40, 16, v4
	v_cmp_gt_i32_e64 s[0:1], s28, v37
	s_nop 1
	v_cndmask_b32_e64 v40, 0, v40, s[0:1]
	v_cmp_gt_i32_e64 s[0:1], s27, v36
	s_nop 1
	v_cndmask_b32_e64 v4, 0, v4, s[0:1]
	v_perm_b32 v4, v40, v4, s20
	v_lshrrev_b32_e32 v40, 16, v3
	v_cmp_gt_i32_e64 s[0:1], s25, v35
	s_nop 1
	v_cndmask_b32_e64 v40, 0, v40, s[0:1]
	v_cmp_gt_i32_e64 s[0:1], s24, v34
	s_nop 1
	v_cndmask_b32_e64 v3, 0, v3, s[0:1]
	v_perm_b32 v3, v40, v3, s20
	v_lshrrev_b32_e32 v40, 16, v2
	v_cmp_gt_i32_e64 s[0:1], s15, v27
	s_nop 1
	v_cndmask_b32_e64 v40, 0, v40, s[0:1]
	v_cmp_gt_i32_e64 s[0:1], s33, v26
	s_nop 1
	v_cndmask_b32_e64 v2, 0, v2, s[0:1]
	v_perm_b32 v2, v40, v2, s20
.LBB103_42:                             ;   in Loop: Header=BB103_40 Depth=1
	s_or_b64 exec, exec, s[12:13]
	v_and_b32_e32 v19, 0xffff, v19
	v_lshl_or_b32 v41, v21, 16, v19
	v_and_b32_e32 v19, 0xffff, v38
	v_lshl_or_b32 v40, v39, 16, v19
	;; [unrolled: 2-line block ×3, first 2 shown]
	v_and_b32_e32 v19, 0xffff, v46
	s_waitcnt vmcnt(0)
	;;#ASMSTART
	v_pk_mul_f16 v2, v41, v2;

	;;#ASMEND
	v_lshl_or_b32 v38, v47, 16, v19
	;;#ASMSTART
	v_pk_mul_f16 v3, v40, v3;

	;;#ASMEND
	;;#ASMSTART
	v_pk_mul_f16 v4, v39, v4;

	;;#ASMEND
	;; [unrolled: 4-line block ×3, first 2 shown]
	s_nop 0
	;;#ASMSTART
	v_pk_add_f16 v2, v2, v3;

	;;#ASMEND
	s_nop 0
	;;#ASMSTART
	v_pk_add_f16 v2, v2, v4;

	;;#ASMEND
	;; [unrolled: 5-line block ×3, first 2 shown]
	s_nop 0
	v_lshrrev_b32_e32 v3, 16, v2
	v_and_b32_e32 v2, 0xffff, v2
	;;#ASMSTART
	v_cvt_f32_f16 v44, v2;
	;;#ASMEND
	;;#ASMSTART
	v_cvt_f32_f16 v45, v3;
	;;#ASMEND
	global_load_dwordx4 v[2:5], v[24:25], off offset:1024
	s_and_saveexec_b64 s[12:13], vcc
	s_cbranch_execz .LBB103_44
; %bb.43:                               ;   in Loop: Header=BB103_40 Depth=1
	s_waitcnt vmcnt(0)
	v_lshrrev_b32_e32 v19, 16, v5
	v_cmp_gt_i32_e64 s[0:1], s30, v43
	s_nop 1
	v_cndmask_b32_e64 v19, 0, v19, s[0:1]
	v_cmp_gt_i32_e64 s[0:1], s29, v42
	s_nop 1
	v_cndmask_b32_e64 v5, 0, v5, s[0:1]
	v_perm_b32 v5, v19, v5, s20
	v_lshrrev_b32_e32 v19, 16, v4
	v_cmp_gt_i32_e64 s[0:1], s28, v37
	s_nop 1
	v_cndmask_b32_e64 v19, 0, v19, s[0:1]
	v_cmp_gt_i32_e64 s[0:1], s27, v36
	s_nop 1
	v_cndmask_b32_e64 v4, 0, v4, s[0:1]
	v_perm_b32 v4, v19, v4, s20
	;; [unrolled: 8-line block ×4, first 2 shown]
.LBB103_44:                             ;   in Loop: Header=BB103_40 Depth=1
	s_or_b64 exec, exec, s[12:13]
	s_waitcnt vmcnt(0)
	;;#ASMSTART
	v_pk_mul_f16 v2, v41, v2;

	;;#ASMEND
	;;#ASMSTART
	v_pk_mul_f16 v3, v40, v3;

	;;#ASMEND
	;; [unrolled: 4-line block ×4, first 2 shown]
	s_nop 0
	;;#ASMSTART
	v_pk_add_f16 v2, v2, v3;

	;;#ASMEND
	s_nop 0
	;;#ASMSTART
	v_pk_add_f16 v2, v2, v4;

	;;#ASMEND
	;; [unrolled: 5-line block ×3, first 2 shown]
	s_nop 0
	v_lshrrev_b32_e32 v3, 16, v2
	v_and_b32_e32 v2, 0xffff, v2
	;;#ASMSTART
	v_cvt_f32_f16 v46, v2;
	;;#ASMEND
	;;#ASMSTART
	v_cvt_f32_f16 v47, v3;
	;;#ASMEND
	global_load_dwordx4 v[2:5], v[24:25], off offset:2048
	s_and_saveexec_b64 s[12:13], vcc
	s_cbranch_execz .LBB103_46
; %bb.45:                               ;   in Loop: Header=BB103_40 Depth=1
	s_waitcnt vmcnt(0)
	v_lshrrev_b32_e32 v19, 16, v5
	v_cmp_gt_i32_e64 s[0:1], s30, v43
	s_nop 1
	v_cndmask_b32_e64 v19, 0, v19, s[0:1]
	v_cmp_gt_i32_e64 s[0:1], s29, v42
	s_nop 1
	v_cndmask_b32_e64 v5, 0, v5, s[0:1]
	v_perm_b32 v5, v19, v5, s20
	v_lshrrev_b32_e32 v19, 16, v4
	v_cmp_gt_i32_e64 s[0:1], s28, v37
	s_nop 1
	v_cndmask_b32_e64 v19, 0, v19, s[0:1]
	v_cmp_gt_i32_e64 s[0:1], s27, v36
	s_nop 1
	v_cndmask_b32_e64 v4, 0, v4, s[0:1]
	v_perm_b32 v4, v19, v4, s20
	v_lshrrev_b32_e32 v19, 16, v3
	v_cmp_gt_i32_e64 s[0:1], s25, v35
	s_nop 1
	v_cndmask_b32_e64 v19, 0, v19, s[0:1]
	v_cmp_gt_i32_e64 s[0:1], s24, v34
	s_nop 1
	v_cndmask_b32_e64 v3, 0, v3, s[0:1]
	v_perm_b32 v3, v19, v3, s20
	v_lshrrev_b32_e32 v19, 16, v2
	v_cmp_gt_i32_e64 s[0:1], s15, v27
	s_nop 1
	v_cndmask_b32_e64 v19, 0, v19, s[0:1]
	v_cmp_gt_i32_e64 s[0:1], s33, v26
	s_nop 1
	v_cndmask_b32_e64 v2, 0, v2, s[0:1]
	v_perm_b32 v2, v19, v2, s20
.LBB103_46:                             ;   in Loop: Header=BB103_40 Depth=1
	s_or_b64 exec, exec, s[12:13]
	s_waitcnt vmcnt(0)
	;;#ASMSTART
	v_pk_mul_f16 v2, v41, v2;

	;;#ASMEND
	;;#ASMSTART
	v_pk_mul_f16 v3, v40, v3;

	;;#ASMEND
	;; [unrolled: 4-line block ×4, first 2 shown]
	s_nop 0
	;;#ASMSTART
	v_pk_add_f16 v2, v2, v3;

	;;#ASMEND
	s_nop 0
	;;#ASMSTART
	v_pk_add_f16 v2, v2, v4;

	;;#ASMEND
	;; [unrolled: 5-line block ×3, first 2 shown]
	s_nop 0
	v_lshrrev_b32_e32 v3, 16, v2
	v_and_b32_e32 v2, 0xffff, v2
	;;#ASMSTART
	v_cvt_f32_f16 v48, v2;
	;;#ASMEND
	;;#ASMSTART
	v_cvt_f32_f16 v49, v3;
	;;#ASMEND
	global_load_dwordx4 v[2:5], v[24:25], off offset:3072
	s_and_saveexec_b64 s[12:13], vcc
	s_cbranch_execz .LBB103_48
; %bb.47:                               ;   in Loop: Header=BB103_40 Depth=1
	s_waitcnt vmcnt(0)
	v_lshrrev_b32_e32 v19, 16, v5
	v_cmp_gt_i32_e64 s[0:1], s30, v43
	s_nop 1
	v_cndmask_b32_e64 v19, 0, v19, s[0:1]
	v_cmp_gt_i32_e64 s[0:1], s29, v42
	s_nop 1
	v_cndmask_b32_e64 v5, 0, v5, s[0:1]
	v_perm_b32 v5, v19, v5, s20
	v_lshrrev_b32_e32 v19, 16, v4
	v_cmp_gt_i32_e64 s[0:1], s28, v37
	s_nop 1
	v_cndmask_b32_e64 v19, 0, v19, s[0:1]
	v_cmp_gt_i32_e64 s[0:1], s27, v36
	s_nop 1
	v_cndmask_b32_e64 v4, 0, v4, s[0:1]
	v_perm_b32 v4, v19, v4, s20
	;; [unrolled: 8-line block ×4, first 2 shown]
.LBB103_48:                             ;   in Loop: Header=BB103_40 Depth=1
	s_or_b64 exec, exec, s[12:13]
	s_waitcnt vmcnt(0)
	;;#ASMSTART
	v_pk_mul_f16 v2, v41, v2;

	;;#ASMEND
	;;#ASMSTART
	v_pk_mul_f16 v3, v40, v3;

	;;#ASMEND
	;; [unrolled: 4-line block ×4, first 2 shown]
	s_nop 0
	;;#ASMSTART
	v_pk_add_f16 v2, v2, v3;

	;;#ASMEND
	s_nop 0
	;;#ASMSTART
	v_pk_add_f16 v2, v2, v4;

	;;#ASMEND
	;; [unrolled: 5-line block ×3, first 2 shown]
	s_nop 0
	v_lshrrev_b32_e32 v3, 16, v2
	v_and_b32_e32 v2, 0xffff, v2
	;;#ASMSTART
	v_cvt_f32_f16 v24, v2;
	;;#ASMEND
	;;#ASMSTART
	v_cvt_f32_f16 v25, v3;
	;;#ASMEND
	v_lshl_add_u64 v[2:3], v[22:23], 0, v[12:13]
	global_load_dwordx4 v[2:5], v[2:3], off
	s_and_saveexec_b64 s[12:13], vcc
	s_cbranch_execz .LBB103_50
; %bb.49:                               ;   in Loop: Header=BB103_40 Depth=1
	s_waitcnt vmcnt(0)
	v_lshrrev_b32_e32 v19, 16, v5
	v_cmp_gt_i32_e64 s[0:1], s30, v43
	s_nop 1
	v_cndmask_b32_e64 v19, 0, v19, s[0:1]
	v_cmp_gt_i32_e64 s[0:1], s29, v42
	s_nop 1
	v_cndmask_b32_e64 v5, 0, v5, s[0:1]
	v_perm_b32 v5, v19, v5, s20
	v_lshrrev_b32_e32 v19, 16, v4
	v_cmp_gt_i32_e64 s[0:1], s28, v37
	s_nop 1
	v_cndmask_b32_e64 v19, 0, v19, s[0:1]
	v_cmp_gt_i32_e64 s[0:1], s27, v36
	s_nop 1
	v_cndmask_b32_e64 v4, 0, v4, s[0:1]
	v_perm_b32 v4, v19, v4, s20
	;; [unrolled: 8-line block ×4, first 2 shown]
.LBB103_50:                             ;   in Loop: Header=BB103_40 Depth=1
	s_or_b64 exec, exec, s[12:13]
	s_waitcnt vmcnt(0)
	;;#ASMSTART
	v_pk_mul_f16 v2, v41, v2;

	;;#ASMEND
	;;#ASMSTART
	v_pk_mul_f16 v3, v40, v3;

	;;#ASMEND
	;; [unrolled: 4-line block ×4, first 2 shown]
	v_mov_b32_e32 v19, v13
	;;#ASMSTART
	v_pk_add_f16 v2, v2, v3;

	;;#ASMEND
	s_nop 0
	;;#ASMSTART
	v_pk_add_f16 v2, v2, v4;

	;;#ASMEND
	s_nop 0
	;; [unrolled: 5-line block ×3, first 2 shown]
	v_lshrrev_b32_e32 v3, 16, v2
	v_and_b32_e32 v2, 0xffff, v2
	;;#ASMSTART
	v_cvt_f32_f16 v50, v2;
	;;#ASMEND
	;;#ASMSTART
	v_cvt_f32_f16 v51, v3;
	;;#ASMEND
	v_lshl_add_u64 v[2:3], v[22:23], 0, v[18:19]
	global_load_dwordx4 v[2:5], v[2:3], off
	s_and_saveexec_b64 s[12:13], vcc
	s_cbranch_execz .LBB103_52
; %bb.51:                               ;   in Loop: Header=BB103_40 Depth=1
	s_waitcnt vmcnt(0)
	v_lshrrev_b32_e32 v19, 16, v5
	v_cmp_gt_i32_e64 s[0:1], s30, v43
	s_nop 1
	v_cndmask_b32_e64 v19, 0, v19, s[0:1]
	v_cmp_gt_i32_e64 s[0:1], s29, v42
	s_nop 1
	v_cndmask_b32_e64 v5, 0, v5, s[0:1]
	v_perm_b32 v5, v19, v5, s20
	v_lshrrev_b32_e32 v19, 16, v4
	v_cmp_gt_i32_e64 s[0:1], s28, v37
	s_nop 1
	v_cndmask_b32_e64 v19, 0, v19, s[0:1]
	v_cmp_gt_i32_e64 s[0:1], s27, v36
	s_nop 1
	v_cndmask_b32_e64 v4, 0, v4, s[0:1]
	v_perm_b32 v4, v19, v4, s20
	;; [unrolled: 8-line block ×4, first 2 shown]
.LBB103_52:                             ;   in Loop: Header=BB103_40 Depth=1
	s_or_b64 exec, exec, s[12:13]
	s_waitcnt vmcnt(0)
	;;#ASMSTART
	v_pk_mul_f16 v2, v41, v2;

	;;#ASMEND
	;;#ASMSTART
	v_pk_mul_f16 v3, v40, v3;

	;;#ASMEND
	;; [unrolled: 4-line block ×4, first 2 shown]
	v_mov_b32_e32 v21, v13
	;;#ASMSTART
	v_pk_add_f16 v2, v2, v3;

	;;#ASMEND
	s_nop 0
	;;#ASMSTART
	v_pk_add_f16 v2, v2, v4;

	;;#ASMEND
	s_nop 0
	;; [unrolled: 5-line block ×3, first 2 shown]
	v_lshrrev_b32_e32 v3, 16, v2
	v_and_b32_e32 v2, 0xffff, v2
	;;#ASMSTART
	v_cvt_f32_f16 v19, v2;
	;;#ASMEND
	;;#ASMSTART
	v_cvt_f32_f16 v52, v3;
	;;#ASMEND
	v_lshl_add_u64 v[2:3], v[22:23], 0, v[20:21]
	global_load_dwordx4 v[2:5], v[2:3], off
	s_and_saveexec_b64 s[0:1], vcc
	s_cbranch_execz .LBB103_39
; %bb.53:                               ;   in Loop: Header=BB103_40 Depth=1
	s_waitcnt vmcnt(0)
	v_lshrrev_b32_e32 v21, 16, v5
	v_cmp_gt_i32_e32 vcc, s30, v43
	s_nop 1
	v_cndmask_b32_e32 v21, 0, v21, vcc
	v_cmp_gt_i32_e32 vcc, s29, v42
	s_nop 1
	v_cndmask_b32_e32 v5, 0, v5, vcc
	v_perm_b32 v5, v21, v5, s20
	v_lshrrev_b32_e32 v21, 16, v4
	v_cmp_gt_i32_e32 vcc, s28, v37
	s_nop 1
	v_cndmask_b32_e32 v21, 0, v21, vcc
	v_cmp_gt_i32_e32 vcc, s27, v36
	s_nop 1
	v_cndmask_b32_e32 v4, 0, v4, vcc
	v_perm_b32 v4, v21, v4, s20
	;; [unrolled: 8-line block ×4, first 2 shown]
	s_branch .LBB103_39
.LBB103_54:
	s_or_b64 exec, exec, s[8:9]
.LBB103_55:
	s_or_b64 exec, exec, s[2:3]
	ds_bpermute_b32 v2, v29, v10
	ds_bpermute_b32 v3, v29, v11
	;; [unrolled: 1-line block ×7, first 2 shown]
	s_waitcnt lgkmcnt(5)
	v_pk_add_f32 v[2:3], v[10:11], v[2:3]
	s_waitcnt lgkmcnt(3)
	v_pk_add_f32 v[6:7], v[6:7], v[12:13]
	s_waitcnt lgkmcnt(2)
	v_add_f32_e32 v1, v32, v1
	ds_bpermute_b32 v10, v30, v2
	ds_bpermute_b32 v11, v30, v3
	s_waitcnt lgkmcnt(2)
	v_pk_add_f32 v[4:5], v[8:9], v[4:5]
	ds_bpermute_b32 v12, v30, v6
	ds_bpermute_b32 v13, v30, v7
	;; [unrolled: 1-line block ×5, first 2 shown]
	s_waitcnt lgkmcnt(5)
	v_pk_add_f32 v[8:9], v[2:3], v[10:11]
	s_waitcnt lgkmcnt(3)
	v_pk_add_f32 v[2:3], v[6:7], v[12:13]
	s_waitcnt lgkmcnt(2)
	v_add_f32_e32 v6, v1, v16
	v_and_b32_e32 v1, 0x3c3, v0
	s_waitcnt lgkmcnt(0)
	v_pk_add_f32 v[4:5], v[4:5], v[14:15]
	v_cmp_eq_u32_e32 vcc, 64, v1
	s_barrier
	s_and_saveexec_b64 s[0:1], vcc
	s_cbranch_execz .LBB103_57
; %bb.56:
	v_add_u32_e32 v7, 0xf0, v28
	ds_write2_b32 v7, v8, v9 offset1:16
	ds_write2_b32 v7, v4, v5 offset0:32 offset1:48
	ds_write2_b32 v7, v2, v3 offset0:64 offset1:80
	ds_write_b32 v7, v6 offset:384
.LBB103_57:
	s_or_b64 exec, exec, s[0:1]
	v_cmp_gt_u32_e32 vcc, 64, v0
	s_waitcnt lgkmcnt(0)
	s_barrier
	s_and_saveexec_b64 s[0:1], vcc
	s_cbranch_execz .LBB103_67
; %bb.58:
	v_cmp_eq_u32_e32 vcc, 0, v31
	v_lshrrev_b32_e32 v7, 2, v0
	s_and_saveexec_b64 s[2:3], vcc
	s_cbranch_execnz .LBB103_70
; %bb.59:
	s_or_b64 exec, exec, s[2:3]
	s_and_saveexec_b64 s[2:3], vcc
	s_cbranch_execnz .LBB103_71
.LBB103_60:
	s_or_b64 exec, exec, s[2:3]
	s_and_saveexec_b64 s[2:3], vcc
	s_cbranch_execnz .LBB103_72
.LBB103_61:
	s_or_b64 exec, exec, s[2:3]
	s_and_saveexec_b64 s[2:3], vcc
	s_cbranch_execnz .LBB103_73
.LBB103_62:
	s_or_b64 exec, exec, s[2:3]
	s_and_saveexec_b64 s[2:3], vcc
	s_cbranch_execnz .LBB103_74
.LBB103_63:
	s_or_b64 exec, exec, s[2:3]
	s_and_saveexec_b64 s[2:3], vcc
	s_cbranch_execnz .LBB103_75
.LBB103_64:
	s_or_b64 exec, exec, s[2:3]
	s_and_saveexec_b64 s[2:3], vcc
	s_cbranch_execz .LBB103_66
.LBB103_65:
	v_mov_b32_e32 v10, 0xf0
	v_lshl_add_u32 v7, v7, 2, v10
	ds_read_b32 v7, v7 offset:384
	s_waitcnt lgkmcnt(0)
	v_add_f32_e32 v6, v6, v7
.LBB103_66:
	s_or_b64 exec, exec, s[2:3]
.LBB103_67:
	s_or_b64 exec, exec, s[0:1]
	v_cmp_eq_u32_e32 vcc, 0, v1
	s_barrier
	s_and_saveexec_b64 s[0:1], vcc
	s_cbranch_execz .LBB103_69
; %bb.68:
	s_mul_i32 s0, s10, s11
	s_mul_i32 s0, s0, s5
	s_mulk_i32 s0, 0x70
	s_ashr_i32 s1, s0, 31
	s_lshl_b64 s[0:1], s[0:1], 1
	s_add_u32 s2, s18, s0
	s_mul_i32 s0, s11, s16
	s_addc_u32 s3, s19, s1
	s_ashr_i32 s1, s0, 31
	s_lshl_b64 s[0:1], s[0:1], 1
	s_add_u32 s2, s2, s0
	s_mul_i32 s0, s4, 0x70
	s_addc_u32 s3, s3, s1
	s_ashr_i32 s1, s0, 31
	s_lshl_b64 s[0:1], s[0:1], 1
	s_add_u32 s0, s2, s0
	s_addc_u32 s1, s3, s1
	v_lshrrev_b32_e32 v0, 1, v0
	;;#ASMSTART
	v_cvt_f16_f32 v1, v8;

	;;#ASMEND
	global_store_short v0, v1, s[0:1]
	;;#ASMSTART
	v_cvt_f16_f32 v1, v9;

	;;#ASMEND
	global_store_short v0, v1, s[0:1] offset:32
	;;#ASMSTART
	v_cvt_f16_f32 v1, v4;

	;;#ASMEND
	global_store_short v0, v1, s[0:1] offset:64
	;; [unrolled: 5-line block ×6, first 2 shown]
.LBB103_69:
	s_endpgm
.LBB103_70:
	v_mov_b32_e32 v10, 0xf0
	v_lshl_add_u32 v10, v7, 2, v10
	ds_read_b32 v10, v10
	s_waitcnt lgkmcnt(0)
	v_add_f32_e32 v8, v8, v10
	s_or_b64 exec, exec, s[2:3]
	s_and_saveexec_b64 s[2:3], vcc
	s_cbranch_execz .LBB103_60
.LBB103_71:
	v_mov_b32_e32 v10, 0xf0
	v_lshl_add_u32 v10, v7, 2, v10
	ds_read_b32 v10, v10 offset:64
	s_waitcnt lgkmcnt(0)
	v_add_f32_e32 v9, v9, v10
	s_or_b64 exec, exec, s[2:3]
	s_and_saveexec_b64 s[2:3], vcc
	s_cbranch_execz .LBB103_61
.LBB103_72:
	v_mov_b32_e32 v10, 0xf0
	v_lshl_add_u32 v10, v7, 2, v10
	ds_read_b32 v10, v10 offset:128
	s_waitcnt lgkmcnt(0)
	v_add_f32_e32 v4, v4, v10
	s_or_b64 exec, exec, s[2:3]
	s_and_saveexec_b64 s[2:3], vcc
	s_cbranch_execz .LBB103_62
.LBB103_73:
	v_mov_b32_e32 v10, 0xf0
	v_lshl_add_u32 v10, v7, 2, v10
	ds_read_b32 v10, v10 offset:192
	s_waitcnt lgkmcnt(0)
	v_add_f32_e32 v5, v5, v10
	s_or_b64 exec, exec, s[2:3]
	s_and_saveexec_b64 s[2:3], vcc
	s_cbranch_execz .LBB103_63
.LBB103_74:
	v_mov_b32_e32 v10, 0xf0
	v_lshl_add_u32 v10, v7, 2, v10
	ds_read_b32 v10, v10 offset:256
	s_waitcnt lgkmcnt(0)
	v_add_f32_e32 v2, v2, v10
	s_or_b64 exec, exec, s[2:3]
	s_and_saveexec_b64 s[2:3], vcc
	s_cbranch_execz .LBB103_64
.LBB103_75:
	v_mov_b32_e32 v10, 0xf0
	v_lshl_add_u32 v10, v7, 2, v10
	ds_read_b32 v10, v10 offset:320
	s_waitcnt lgkmcnt(0)
	v_add_f32_e32 v3, v3, v10
	s_or_b64 exec, exec, s[2:3]
	s_and_saveexec_b64 s[2:3], vcc
	s_cbranch_execnz .LBB103_65
	s_branch .LBB103_66
	.section	.rodata,"a",@progbits
	.p2align	6, 0x0
	.amdhsa_kernel _ZN4vllm25paged_attention_v1_kernelIttLi112ELi32ELi128ELNS_18Fp8KVCacheDataTypeE0ELb0EEEvPT_PKS2_PKT0_S8_ifPKiSA_iPKfiiiSC_SC_iiiii
		.amdhsa_group_segment_fixed_size 240
		.amdhsa_private_segment_fixed_size 0
		.amdhsa_kernarg_size 384
		.amdhsa_user_sgpr_count 2
		.amdhsa_user_sgpr_dispatch_ptr 0
		.amdhsa_user_sgpr_queue_ptr 0
		.amdhsa_user_sgpr_kernarg_segment_ptr 1
		.amdhsa_user_sgpr_dispatch_id 0
		.amdhsa_user_sgpr_kernarg_preload_length 0
		.amdhsa_user_sgpr_kernarg_preload_offset 0
		.amdhsa_user_sgpr_private_segment_size 0
		.amdhsa_uses_dynamic_stack 0
		.amdhsa_enable_private_segment 0
		.amdhsa_system_sgpr_workgroup_id_x 1
		.amdhsa_system_sgpr_workgroup_id_y 1
		.amdhsa_system_sgpr_workgroup_id_z 1
		.amdhsa_system_sgpr_workgroup_info 0
		.amdhsa_system_vgpr_workitem_id 0
		.amdhsa_next_free_vgpr 65
		.amdhsa_next_free_sgpr 35
		.amdhsa_accum_offset 68
		.amdhsa_reserve_vcc 1
		.amdhsa_float_round_mode_32 0
		.amdhsa_float_round_mode_16_64 0
		.amdhsa_float_denorm_mode_32 3
		.amdhsa_float_denorm_mode_16_64 3
		.amdhsa_dx10_clamp 1
		.amdhsa_ieee_mode 1
		.amdhsa_fp16_overflow 0
		.amdhsa_tg_split 0
		.amdhsa_exception_fp_ieee_invalid_op 0
		.amdhsa_exception_fp_denorm_src 0
		.amdhsa_exception_fp_ieee_div_zero 0
		.amdhsa_exception_fp_ieee_overflow 0
		.amdhsa_exception_fp_ieee_underflow 0
		.amdhsa_exception_fp_ieee_inexact 0
		.amdhsa_exception_int_div_zero 0
	.end_amdhsa_kernel
	.section	.text._ZN4vllm25paged_attention_v1_kernelIttLi112ELi32ELi128ELNS_18Fp8KVCacheDataTypeE0ELb0EEEvPT_PKS2_PKT0_S8_ifPKiSA_iPKfiiiSC_SC_iiiii,"axG",@progbits,_ZN4vllm25paged_attention_v1_kernelIttLi112ELi32ELi128ELNS_18Fp8KVCacheDataTypeE0ELb0EEEvPT_PKS2_PKT0_S8_ifPKiSA_iPKfiiiSC_SC_iiiii,comdat
.Lfunc_end103:
	.size	_ZN4vllm25paged_attention_v1_kernelIttLi112ELi32ELi128ELNS_18Fp8KVCacheDataTypeE0ELb0EEEvPT_PKS2_PKT0_S8_ifPKiSA_iPKfiiiSC_SC_iiiii, .Lfunc_end103-_ZN4vllm25paged_attention_v1_kernelIttLi112ELi32ELi128ELNS_18Fp8KVCacheDataTypeE0ELb0EEEvPT_PKS2_PKT0_S8_ifPKiSA_iPKfiiiSC_SC_iiiii
                                        ; -- End function
	.section	.AMDGPU.csdata,"",@progbits
; Kernel info:
; codeLenInByte = 8256
; NumSgprs: 41
; NumVgprs: 65
; NumAgprs: 0
; TotalNumVgprs: 65
; ScratchSize: 0
; MemoryBound: 0
; FloatMode: 240
; IeeeMode: 1
; LDSByteSize: 240 bytes/workgroup (compile time only)
; SGPRBlocks: 5
; VGPRBlocks: 8
; NumSGPRsForWavesPerEU: 41
; NumVGPRsForWavesPerEU: 65
; AccumOffset: 68
; Occupancy: 7
; WaveLimiterHint : 1
; COMPUTE_PGM_RSRC2:SCRATCH_EN: 0
; COMPUTE_PGM_RSRC2:USER_SGPR: 2
; COMPUTE_PGM_RSRC2:TRAP_HANDLER: 0
; COMPUTE_PGM_RSRC2:TGID_X_EN: 1
; COMPUTE_PGM_RSRC2:TGID_Y_EN: 1
; COMPUTE_PGM_RSRC2:TGID_Z_EN: 1
; COMPUTE_PGM_RSRC2:TIDIG_COMP_CNT: 0
; COMPUTE_PGM_RSRC3_GFX90A:ACCUM_OFFSET: 16
; COMPUTE_PGM_RSRC3_GFX90A:TG_SPLIT: 0
	.section	.text._ZN4vllm25paged_attention_v1_kernelIttLi120ELi32ELi128ELNS_18Fp8KVCacheDataTypeE0ELb0EEEvPT_PKS2_PKT0_S8_ifPKiSA_iPKfiiiSC_SC_iiiii,"axG",@progbits,_ZN4vllm25paged_attention_v1_kernelIttLi120ELi32ELi128ELNS_18Fp8KVCacheDataTypeE0ELb0EEEvPT_PKS2_PKT0_S8_ifPKiSA_iPKfiiiSC_SC_iiiii,comdat
	.protected	_ZN4vllm25paged_attention_v1_kernelIttLi120ELi32ELi128ELNS_18Fp8KVCacheDataTypeE0ELb0EEEvPT_PKS2_PKT0_S8_ifPKiSA_iPKfiiiSC_SC_iiiii ; -- Begin function _ZN4vllm25paged_attention_v1_kernelIttLi120ELi32ELi128ELNS_18Fp8KVCacheDataTypeE0ELb0EEEvPT_PKS2_PKT0_S8_ifPKiSA_iPKfiiiSC_SC_iiiii
	.globl	_ZN4vllm25paged_attention_v1_kernelIttLi120ELi32ELi128ELNS_18Fp8KVCacheDataTypeE0ELb0EEEvPT_PKS2_PKT0_S8_ifPKiSA_iPKfiiiSC_SC_iiiii
	.p2align	8
	.type	_ZN4vllm25paged_attention_v1_kernelIttLi120ELi32ELi128ELNS_18Fp8KVCacheDataTypeE0ELb0EEEvPT_PKS2_PKT0_S8_ifPKiSA_iPKfiiiSC_SC_iiiii,@function
_ZN4vllm25paged_attention_v1_kernelIttLi120ELi32ELi128ELNS_18Fp8KVCacheDataTypeE0ELb0EEEvPT_PKS2_PKT0_S8_ifPKiSA_iPKfiiiSC_SC_iiiii: ; @_ZN4vllm25paged_attention_v1_kernelIttLi120ELi32ELi128ELNS_18Fp8KVCacheDataTypeE0ELb0EEEvPT_PKS2_PKT0_S8_ifPKiSA_iPKfiiiSC_SC_iiiii
; %bb.0:
	s_load_dword s5, s[0:1], 0x80
	s_load_dwordx2 s[6:7], s[0:1], 0x30
	s_load_dwordx2 s[8:9], s[0:1], 0x20
	s_mov_b32 s10, s3
	s_ashr_i32 s11, s3, 31
	s_lshl_b64 s[12:13], s[10:11], 2
	s_waitcnt lgkmcnt(0)
	s_add_u32 s6, s6, s12
	s_addc_u32 s7, s7, s13
	s_abs_i32 s3, s8
	v_cvt_f32_u32_e32 v1, s3
	s_sub_i32 s12, 0, s3
	s_abs_i32 s11, s5
	s_xor_b32 s8, s5, s8
	v_rcp_iflag_f32_e32 v1, v1
	s_ashr_i32 s8, s8, 31
	v_mul_f32_e32 v1, 0x4f7ffffe, v1
	v_cvt_u32_f32_e32 v1, v1
	s_nop 0
	v_readfirstlane_b32 s13, v1
	s_mul_i32 s12, s12, s13
	s_mul_hi_u32 s12, s13, s12
	s_add_i32 s13, s13, s12
	s_mul_hi_u32 s12, s11, s13
	s_mul_i32 s13, s12, s3
	s_sub_i32 s11, s11, s13
	s_add_i32 s13, s12, 1
	s_sub_i32 s14, s11, s3
	s_cmp_ge_u32 s11, s3
	s_cselect_b32 s12, s13, s12
	s_cselect_b32 s11, s14, s11
	s_add_i32 s13, s12, 1
	s_cmp_ge_u32 s11, s3
	s_cselect_b32 s3, s13, s12
	s_xor_b32 s3, s3, s8
	s_sub_i32 s14, s3, s8
	s_abs_i32 s11, s14
	v_cvt_f32_u32_e32 v1, s11
	s_load_dwordx2 s[12:13], s[0:1], 0x40
	s_sub_i32 s3, 0, s11
	s_abs_i32 s18, s2
	v_rcp_iflag_f32_e32 v1, v1
	s_mov_b32 s8, 0
	v_mul_f32_e32 v1, 0x4f7ffffe, v1
	v_cvt_u32_f32_e32 v1, v1
	s_nop 0
	v_readfirstlane_b32 s15, v1
	s_mul_i32 s3, s3, s15
	s_mul_hi_u32 s3, s15, s3
	s_add_i32 s15, s15, s3
	s_waitcnt lgkmcnt(0)
	s_cmp_eq_u64 s[12:13], 0
	s_mul_hi_u32 s19, s18, s15
	s_cbranch_scc1 .LBB104_2
; %bb.1:
	s_ashr_i32 s3, s2, 31
	s_lshl_b64 s[16:17], s[2:3], 2
	s_add_u32 s12, s12, s16
	s_addc_u32 s13, s13, s17
	s_load_dword s8, s[12:13], 0x0
.LBB104_2:
	s_load_dword s33, s[6:7], 0x0
	s_ashr_i32 s7, s14, 31
	s_load_dwordx4 s[12:15], s[0:1], 0x48
	s_ashr_i32 s6, s2, 31
	v_and_b32_e32 v4, 1, v0
	s_waitcnt lgkmcnt(0)
	s_movk_i32 s15, 0x78
	s_mul_i32 s16, s2, 0x78
	v_cmp_gt_u32_e32 vcc, 30, v0
	v_lshlrev_b32_e32 v30, 3, v0
	s_and_saveexec_b64 s[2:3], vcc
	s_cbranch_execz .LBB104_4
; %bb.3:
	s_load_dwordx2 s[20:21], s[0:1], 0x8
	s_mul_i32 s22, s10, s12
	s_ashr_i32 s23, s22, 31
	s_lshl_b64 s[22:23], s[22:23], 1
	v_lshlrev_b32_e32 v1, 2, v0
	s_waitcnt lgkmcnt(0)
	s_add_u32 s12, s20, s22
	s_addc_u32 s22, s21, s23
	s_ashr_i32 s17, s16, 31
	s_lshl_b64 s[20:21], s[16:17], 1
	s_add_u32 s20, s12, s20
	s_addc_u32 s21, s22, s21
	global_load_dwordx2 v[2:3], v30, s[20:21]
	v_and_b32_e32 v1, 0xff8, v1
	v_mad_u32_u24 v1, v4, s15, v1
	s_waitcnt vmcnt(0)
	ds_write_b64 v1, v[2:3]
.LBB104_4:
	s_or_b64 exec, exec, s[2:3]
	s_add_i32 s3, s33, 31
	s_ashr_i32 s12, s3, 31
	s_lshr_b32 s12, s12, 27
	s_add_i32 s3, s3, s12
	s_ashr_i32 s17, s3, 5
	s_xor_b32 s3, s6, s7
	s_mul_i32 s6, s19, s11
	s_sub_i32 s6, s18, s6
	s_add_i32 s7, s19, 1
	s_sub_i32 s12, s6, s11
	s_load_dwordx2 s[20:21], s[0:1], 0x28
	s_load_dword s2, s[0:1], 0x38
	s_cmp_ge_u32 s6, s11
	s_cselect_b32 s7, s7, s19
	s_cselect_b32 s6, s12, s6
	s_add_i32 s12, s7, 1
	s_cmp_ge_u32 s6, s11
	s_cselect_b32 s6, s12, s7
	v_lshrrev_b32_e32 v1, 6, v0
	s_xor_b32 s6, s6, s3
	s_waitcnt lgkmcnt(0)
	s_mul_i32 s22, s10, s2
	s_sub_i32 s12, s6, s3
	s_ashr_i32 s23, s22, 31
	v_cmp_gt_i32_e64 s[6:7], s17, v1
	v_cmp_le_i32_e32 vcc, s17, v1
	v_mbcnt_lo_u32_b32 v6, -1, 0
	s_barrier
	s_waitcnt lgkmcnt(0)
                                        ; implicit-def: $sgpr15
                                        ; implicit-def: $vgpr34
                                        ; implicit-def: $vgpr32
	s_and_saveexec_b64 s[2:3], vcc
	s_xor_b64 s[2:3], exec, s[2:3]
; %bb.5:
	v_mbcnt_hi_u32_b32 v34, -1, v6
	v_and_b32_e32 v2, 64, v34
	v_add_u32_e32 v32, 64, v2
	s_mov_b32 s15, 0xff7fffff
                                        ; implicit-def: $vgpr4
                                        ; implicit-def: $vgpr6
; %bb.6:
	s_or_saveexec_b64 s[26:27], s[2:3]
	s_load_dwordx2 s[18:19], s[0:1], 0x0
	s_load_dwordx2 s[24:25], s[0:1], 0x18
	s_load_dword s11, s[0:1], 0x88
	v_mov_b32_e32 v31, s15
	s_mul_i32 s14, s12, s14
	v_lshrrev_b32_e32 v33, 4, v0
	s_xor_b64 exec, exec, s[26:27]
	s_cbranch_execz .LBB104_12
; %bb.7:
	s_load_dwordx2 s[0:1], s[0:1], 0x10
	s_ashr_i32 s15, s14, 31
	s_lshl_b64 s[2:3], s[14:15], 1
	v_bfe_u32 v5, v0, 1, 5
	v_lshlrev_b32_e32 v8, 4, v5
	s_waitcnt lgkmcnt(0)
	s_add_u32 s0, s0, s2
	s_addc_u32 s1, s1, s3
	v_mov_b32_e32 v9, 0
	v_lshl_add_u64 v[2:3], s[0:1], 0, v[8:9]
	s_sub_i32 s15, 1, s33
	s_lshl_b64 s[0:1], s[22:23], 2
	v_and_b32_e32 v8, 8, v30
	v_mul_u32_u24_e32 v35, 0x78, v4
	v_cmp_eq_u32_e32 vcc, 0, v4
	v_lshlrev_b32_e32 v4, 2, v5
	s_add_u32 s0, s20, s0
	v_mbcnt_hi_u32_b32 v34, -1, v6
	v_lshl_add_u64 v[2:3], v[2:3], 0, v[8:9]
	v_lshl_or_b32 v4, v1, 7, v4
	v_and_b32_e32 v8, 60, v33
	s_addc_u32 s1, s21, s1
	v_and_b32_e32 v6, 64, v34
	s_mov_b32 s12, s13
	v_cmp_neq_f32_e64 s[2:3], s8, 0
	v_lshl_or_b32 v36, v1, 5, v5
	v_add_u32_e32 v37, 0x100, v4
	v_lshl_add_u64 v[4:5], s[0:1], 0, v[8:9]
	s_mov_b64 s[28:29], 0
	v_mov_b32_e32 v31, 0xff7fffff
	s_movk_i32 s34, 0x1000
	v_xor_b32_e32 v38, 1, v34
	v_add_u32_e32 v32, 64, v6
	v_mov_b32_e32 v39, v1
	s_branch .LBB104_9
.LBB104_8:                              ;   in Loop: Header=BB104_9 Depth=1
	s_or_b64 exec, exec, s[30:31]
	v_add_u32_e32 v39, 2, v39
	v_cmp_le_i32_e64 s[0:1], s17, v39
	v_add_u32_e32 v36, 64, v36
	v_add_u32_e32 v37, 0x100, v37
	s_or_b64 s[28:29], s[0:1], s[28:29]
	v_lshl_add_u64 v[4:5], v[4:5], 0, 8
	s_andn2_b64 exec, exec, s[28:29]
	s_cbranch_execz .LBB104_11
.LBB104_9:                              ; =>This Inner Loop Header: Depth=1
	global_load_dword v6, v[4:5], off
	s_waitcnt vmcnt(0) lgkmcnt(0)
	v_mad_i64_i32 v[6:7], s[0:1], v6, s12, 0
	v_lshl_add_u64 v[6:7], v[6:7], 1, v[2:3]
	global_load_dwordx2 v[40:41], v[6:7], off
	global_load_dwordx2 v[42:43], v[6:7], off offset:512
	global_load_dwordx2 v[44:45], v[6:7], off offset:1024
	;; [unrolled: 1-line block ×7, first 2 shown]
	v_add_co_u32_e64 v46, s[0:1], s34, v6
	ds_read_b64 v[8:9], v35
	s_nop 0
	v_addc_co_u32_e64 v47, s[0:1], 0, v7, s[0:1]
	global_load_dwordx2 v[20:21], v[46:47], off
	v_cmp_lt_i32_e64 s[0:1], v38, v32
	s_waitcnt lgkmcnt(0)
	v_lshrrev_b32_e32 v48, 16, v8
	v_and_b32_e32 v49, 0xffff, v8
	v_lshrrev_b32_e32 v50, 16, v9
	v_and_b32_e32 v51, 0xffff, v9
	global_load_dwordx2 v[16:17], v[46:47], off offset:512
	global_load_dwordx2 v[14:15], v[46:47], off offset:1024
	global_load_dwordx2 v[12:13], v[46:47], off offset:1536
	global_load_dwordx2 v[10:11], v[46:47], off offset:2048
	global_load_dwordx2 v[8:9], v[46:47], off offset:2560
	global_load_dwordx2 v[6:7], v[46:47], off offset:3072
	;;#ASMSTART
	v_cvt_f32_f16 v46, v49;
	;;#ASMEND
	;;#ASMSTART
	v_cvt_f32_f16 v47, v48;
	;;#ASMEND
	s_waitcnt vmcnt(14)
	v_lshrrev_b32_e32 v48, 16, v40
	v_and_b32_e32 v40, 0xffff, v40
	v_lshrrev_b32_e32 v49, 16, v41
	v_and_b32_e32 v41, 0xffff, v41
	;;#ASMSTART
	v_cvt_f32_f16 v56, v40;
	;;#ASMEND
	;;#ASMSTART
	v_cvt_f32_f16 v48, v48;
	;;#ASMEND
	;; [unrolled: 3-line block ×6, first 2 shown]
	ds_read_b64 v[40:41], v35 offset:8
	s_waitcnt vmcnt(11)
	v_lshrrev_b32_e32 v58, 16, v28
	v_and_b32_e32 v59, 0xffff, v28
	v_lshrrev_b32_e32 v52, 16, v42
	v_and_b32_e32 v42, 0xffff, v42
	s_waitcnt lgkmcnt(0)
	v_and_b32_e32 v28, 0xffff, v40
	;;#ASMSTART
	v_cvt_f32_f16 v28, v28;
	;;#ASMEND
	v_lshrrev_b32_e32 v40, 16, v40
	;;#ASMSTART
	v_cvt_f32_f16 v40, v40;
	;;#ASMEND
	;;#ASMSTART
	v_cvt_f32_f16 v42, v42;
	;;#ASMEND
	s_waitcnt vmcnt(8)
	v_lshrrev_b32_e32 v61, 16, v22
	v_mul_f32_e32 v28, v28, v42
	v_fmac_f32_e32 v28, v46, v56
	v_lshrrev_b32_e32 v42, 16, v26
	v_and_b32_e32 v46, 0xffff, v26
	;;#ASMSTART
	v_cvt_f32_f16 v26, v52;
	;;#ASMEND
	v_and_b32_e32 v62, 0xffff, v22
	v_lshrrev_b32_e32 v63, 16, v23
	v_and_b32_e32 v64, 0xffff, v23
	v_lshrrev_b32_e32 v22, 16, v41
	;; [unrolled: 2-line block ×3, first 2 shown]
	v_and_b32_e32 v43, 0xffff, v43
	v_mul_f32_e32 v26, v40, v26
	;;#ASMSTART
	v_cvt_f32_f16 v23, v23;
	;;#ASMEND
	;;#ASMSTART
	v_cvt_f32_f16 v41, v22;
	;;#ASMEND
	;; [unrolled: 3-line block ×3, first 2 shown]
	v_lshrrev_b32_e32 v40, 16, v24
	v_fmac_f32_e32 v26, v47, v48
	v_and_b32_e32 v47, 0xffff, v24
	v_lshrrev_b32_e32 v48, 16, v25
	v_and_b32_e32 v52, 0xffff, v25
	v_mul_f32_e32 v22, v23, v22
	;;#ASMSTART
	v_cvt_f32_f16 v23, v53;
	;;#ASMEND
	ds_read_b64 v[24:25], v35 offset:16
	v_lshrrev_b32_e32 v54, 16, v44
	v_and_b32_e32 v44, 0xffff, v44
	v_mul_f32_e32 v23, v41, v23
	v_lshrrev_b32_e32 v55, 16, v45
	s_waitcnt lgkmcnt(0)
	v_lshrrev_b32_e32 v43, 16, v24
	v_and_b32_e32 v24, 0xffff, v24
	;;#ASMSTART
	v_cvt_f32_f16 v24, v24;
	;;#ASMEND
	;;#ASMSTART
	v_cvt_f32_f16 v43, v43;
	;;#ASMEND
	;; [unrolled: 3-line block ×3, first 2 shown]
	v_and_b32_e32 v45, 0xffff, v45
	s_waitcnt vmcnt(7)
	v_lshrrev_b32_e32 v41, 16, v18
	v_fmac_f32_e32 v23, v50, v49
	v_fmac_f32_e32 v28, v24, v44
	v_and_b32_e32 v24, 0xffff, v18
	v_lshrrev_b32_e32 v44, 16, v19
	v_and_b32_e32 v49, 0xffff, v19
	v_lshrrev_b32_e32 v18, 16, v25
	v_and_b32_e32 v19, 0xffff, v25
	v_fmac_f32_e32 v22, v51, v57
	;;#ASMSTART
	v_cvt_f32_f16 v50, v54;
	;;#ASMEND
	;;#ASMSTART
	v_cvt_f32_f16 v51, v19;
	;;#ASMEND
	;; [unrolled: 3-line block ×5, first 2 shown]
	ds_read_b64 v[18:19], v35 offset:24
	v_fmac_f32_e32 v22, v51, v45
	v_lshrrev_b32_e32 v60, 16, v29
	v_and_b32_e32 v29, 0xffff, v29
	v_fmac_f32_e32 v26, v43, v50
	s_waitcnt lgkmcnt(0)
	v_lshrrev_b32_e32 v45, 16, v18
	v_and_b32_e32 v18, 0xffff, v18
	v_lshrrev_b32_e32 v50, 16, v19
	v_and_b32_e32 v19, 0xffff, v19
	;;#ASMSTART
	v_cvt_f32_f16 v18, v18;
	;;#ASMEND
	v_fmac_f32_e32 v23, v53, v54
	;;#ASMSTART
	v_cvt_f32_f16 v45, v45;
	;;#ASMEND
	;;#ASMSTART
	v_cvt_f32_f16 v51, v59;
	;;#ASMEND
	;; [unrolled: 3-line block ×7, first 2 shown]
	s_nop 0
	v_fmac_f32_e32 v28, v18, v51
	ds_read_b64 v[18:19], v35 offset:32
	v_lshrrev_b32_e32 v56, 16, v27
	v_and_b32_e32 v27, 0xffff, v27
	v_fmac_f32_e32 v26, v45, v53
	v_fmac_f32_e32 v22, v54, v29
	s_waitcnt lgkmcnt(0)
	v_lshrrev_b32_e32 v29, 16, v18
	v_and_b32_e32 v18, 0xffff, v18
	v_lshrrev_b32_e32 v45, 16, v19
	v_and_b32_e32 v19, 0xffff, v19
	v_fmac_f32_e32 v23, v50, v55
	;;#ASMSTART
	v_cvt_f32_f16 v50, v18;
	;;#ASMEND
	;;#ASMSTART
	v_cvt_f32_f16 v29, v29;
	;;#ASMEND
	;; [unrolled: 3-line block ×8, first 2 shown]
	ds_read_b64 v[18:19], v35 offset:40
	v_fmac_f32_e32 v26, v29, v42
	v_fmac_f32_e32 v22, v53, v27
	v_fmac_f32_e32 v28, v50, v46
	v_fmac_f32_e32 v23, v45, v54
	s_waitcnt lgkmcnt(0)
	v_lshrrev_b32_e32 v27, 16, v18
	v_and_b32_e32 v18, 0xffff, v18
	v_lshrrev_b32_e32 v29, 16, v19
	v_and_b32_e32 v19, 0xffff, v19
	;;#ASMSTART
	v_cvt_f32_f16 v42, v18;
	;;#ASMEND
	;;#ASMSTART
	v_cvt_f32_f16 v27, v27;
	;;#ASMEND
	;; [unrolled: 3-line block ×8, first 2 shown]
	ds_read_b64 v[18:19], v35 offset:48
	v_fmac_f32_e32 v26, v27, v40
	v_fmac_f32_e32 v23, v29, v48
	;; [unrolled: 1-line block ×4, first 2 shown]
	s_waitcnt lgkmcnt(0)
	v_lshrrev_b32_e32 v27, 16, v18
	v_and_b32_e32 v18, 0xffff, v18
	v_lshrrev_b32_e32 v29, 16, v19
	v_and_b32_e32 v19, 0xffff, v19
	;;#ASMSTART
	v_cvt_f32_f16 v40, v18;
	;;#ASMEND
	;;#ASMSTART
	v_cvt_f32_f16 v27, v27;
	;;#ASMEND
	;; [unrolled: 3-line block ×8, first 2 shown]
	ds_read_b64 v[18:19], v35 offset:56
	v_fmac_f32_e32 v26, v27, v45
	v_fmac_f32_e32 v23, v29, v48
	;; [unrolled: 1-line block ×3, first 2 shown]
	s_waitcnt vmcnt(6)
	v_lshrrev_b32_e32 v25, 16, v20
	s_waitcnt lgkmcnt(0)
	v_lshrrev_b32_e32 v27, 16, v18
	v_and_b32_e32 v18, 0xffff, v18
	v_lshrrev_b32_e32 v29, 16, v19
	v_and_b32_e32 v19, 0xffff, v19
	;;#ASMSTART
	v_cvt_f32_f16 v40, v18;
	;;#ASMEND
	;;#ASMSTART
	v_cvt_f32_f16 v27, v27;
	;;#ASMEND
	;; [unrolled: 3-line block ×8, first 2 shown]
	ds_read_b64 v[18:19], v35 offset:64
	v_and_b32_e32 v20, 0xffff, v20
	v_lshrrev_b32_e32 v43, 16, v21
	v_and_b32_e32 v21, 0xffff, v21
	v_fmac_f32_e32 v28, v40, v24
	v_fmac_f32_e32 v26, v27, v41
	s_waitcnt lgkmcnt(0)
	v_lshrrev_b32_e32 v24, 16, v18
	v_and_b32_e32 v18, 0xffff, v18
	v_lshrrev_b32_e32 v27, 16, v19
	v_and_b32_e32 v19, 0xffff, v19
	v_fmac_f32_e32 v23, v29, v44
	;;#ASMSTART
	v_cvt_f32_f16 v29, v18;
	;;#ASMEND
	;;#ASMSTART
	v_cvt_f32_f16 v24, v24;
	;;#ASMEND
	;;#ASMSTART
	v_cvt_f32_f16 v20, v20;
	;;#ASMEND
	;;#ASMSTART
	v_cvt_f32_f16 v25, v25;
	;;#ASMEND
	;;#ASMSTART
	v_cvt_f32_f16 v40, v19;
	;;#ASMEND
	;;#ASMSTART
	v_cvt_f32_f16 v27, v27;
	;;#ASMEND
	;;#ASMSTART
	v_cvt_f32_f16 v21, v21;
	;;#ASMEND
	;;#ASMSTART
	v_cvt_f32_f16 v41, v43;
	;;#ASMEND
	ds_read_b64 v[18:19], v35 offset:72
	v_fmac_f32_e32 v22, v46, v47
	s_waitcnt vmcnt(5)
	v_lshrrev_b32_e32 v51, 16, v16
	v_fmac_f32_e32 v22, v42, v45
	v_fmac_f32_e32 v28, v29, v20
	s_waitcnt lgkmcnt(0)
	v_lshrrev_b32_e32 v20, 16, v18
	v_and_b32_e32 v18, 0xffff, v18
	v_and_b32_e32 v16, 0xffff, v16
	v_fmac_f32_e32 v22, v40, v21
	;;#ASMSTART
	v_cvt_f32_f16 v18, v18;
	;;#ASMEND
	;;#ASMSTART
	v_cvt_f32_f16 v20, v20;
	;;#ASMEND
	;; [unrolled: 3-line block ×3, first 2 shown]
	v_lshrrev_b32_e32 v16, 16, v19
	v_and_b32_e32 v19, 0xffff, v19
	v_fmac_f32_e32 v26, v24, v25
	;;#ASMSTART
	v_cvt_f32_f16 v24, v51;
	;;#ASMEND
	;;#ASMSTART
	v_cvt_f32_f16 v19, v19;
	;;#ASMEND
	;;#ASMSTART
	v_cvt_f32_f16 v25, v16;
	;;#ASMEND
	v_lshrrev_b32_e32 v16, 16, v17
	v_and_b32_e32 v17, 0xffff, v17
	v_fmac_f32_e32 v23, v27, v41
	;;#ASMSTART
	v_cvt_f32_f16 v27, v17;
	;;#ASMEND
	;;#ASMSTART
	v_cvt_f32_f16 v29, v16;
	;;#ASMEND
	ds_read_b64 v[16:17], v35 offset:80
	v_fmac_f32_e32 v28, v18, v21
	v_fmac_f32_e32 v22, v19, v27
	s_waitcnt vmcnt(4)
	v_lshrrev_b32_e32 v19, 16, v14
	v_and_b32_e32 v14, 0xffff, v14
	s_waitcnt lgkmcnt(0)
	v_lshrrev_b32_e32 v18, 16, v16
	v_and_b32_e32 v16, 0xffff, v16
	v_fmac_f32_e32 v26, v20, v24
	;;#ASMSTART
	v_cvt_f32_f16 v16, v16;
	;;#ASMEND
	;;#ASMSTART
	v_cvt_f32_f16 v18, v18;
	;;#ASMEND
	;;#ASMSTART
	v_cvt_f32_f16 v20, v14;
	;;#ASMEND
	v_lshrrev_b32_e32 v14, 16, v17
	v_and_b32_e32 v17, 0xffff, v17
	;;#ASMSTART
	v_cvt_f32_f16 v19, v19;
	;;#ASMEND
	;;#ASMSTART
	v_cvt_f32_f16 v17, v17;
	;;#ASMEND
	;;#ASMSTART
	v_cvt_f32_f16 v21, v14;
	;;#ASMEND
	v_lshrrev_b32_e32 v14, 16, v15
	v_and_b32_e32 v15, 0xffff, v15
	v_fmac_f32_e32 v23, v25, v29
	;;#ASMSTART
	v_cvt_f32_f16 v24, v15;
	;;#ASMEND
	;;#ASMSTART
	v_cvt_f32_f16 v25, v14;
	;;#ASMEND
	ds_read_b64 v[14:15], v35 offset:88
	v_fmac_f32_e32 v28, v16, v20
	v_fmac_f32_e32 v22, v17, v24
	s_waitcnt vmcnt(3)
	v_lshrrev_b32_e32 v17, 16, v12
	v_and_b32_e32 v12, 0xffff, v12
	s_waitcnt lgkmcnt(0)
	v_lshrrev_b32_e32 v16, 16, v14
	v_and_b32_e32 v14, 0xffff, v14
	v_fmac_f32_e32 v26, v18, v19
	;;#ASMSTART
	v_cvt_f32_f16 v14, v14;
	;;#ASMEND
	;;#ASMSTART
	v_cvt_f32_f16 v16, v16;
	;;#ASMEND
	;;#ASMSTART
	v_cvt_f32_f16 v18, v12;
	;;#ASMEND
	v_lshrrev_b32_e32 v12, 16, v15
	v_and_b32_e32 v15, 0xffff, v15
	;; [unrolled: 39-line block ×4, first 2 shown]
	;;#ASMSTART
	v_cvt_f32_f16 v13, v13;
	;;#ASMEND
	;;#ASMSTART
	v_cvt_f32_f16 v11, v11;
	;;#ASMEND
	;; [unrolled: 3-line block ×3, first 2 shown]
	v_lshrrev_b32_e32 v8, 16, v9
	v_and_b32_e32 v9, 0xffff, v9
	v_fmac_f32_e32 v23, v17, v19
	;;#ASMSTART
	v_cvt_f32_f16 v16, v9;
	;;#ASMEND
	;;#ASMSTART
	v_cvt_f32_f16 v17, v8;
	;;#ASMEND
	ds_read_b64 v[8:9], v35 offset:112
	v_fmac_f32_e32 v28, v10, v14
	v_fmac_f32_e32 v22, v11, v16
	s_waitcnt vmcnt(0)
	v_lshrrev_b32_e32 v11, 16, v6
	v_and_b32_e32 v6, 0xffff, v6
	s_waitcnt lgkmcnt(0)
	v_lshrrev_b32_e32 v10, 16, v8
	v_and_b32_e32 v8, 0xffff, v8
	;;#ASMSTART
	v_cvt_f32_f16 v8, v8;
	;;#ASMEND
	;;#ASMSTART
	v_cvt_f32_f16 v10, v10;
	;;#ASMEND
	;; [unrolled: 3-line block ×3, first 2 shown]
	v_fmac_f32_e32 v26, v12, v13
	v_fmac_f32_e32 v28, v8, v6
	v_lshrrev_b32_e32 v6, 16, v9
	v_and_b32_e32 v8, 0xffff, v9
	v_fmac_f32_e32 v23, v15, v17
	;;#ASMSTART
	v_cvt_f32_f16 v11, v11;
	;;#ASMEND
	;;#ASMSTART
	v_cvt_f32_f16 v8, v8;
	;;#ASMEND
	;; [unrolled: 3-line block ×3, first 2 shown]
	v_lshrrev_b32_e32 v9, 16, v7
	v_fmac_f32_e32 v26, v10, v11
	v_and_b32_e32 v7, 0xffff, v7
	;;#ASMSTART
	v_cvt_f32_f16 v7, v7;
	;;#ASMEND
	;;#ASMSTART
	v_cvt_f32_f16 v9, v9;
	;;#ASMEND
	s_nop 0
	v_fmac_f32_e32 v22, v8, v7
	v_fmac_f32_e32 v23, v6, v9
	v_add_f32_e32 v6, v28, v26
	v_add_f32_e32 v6, v6, v22
	v_cndmask_b32_e64 v7, v34, v38, s[0:1]
	v_add_f32_e32 v6, v23, v6
	v_lshlrev_b32_e32 v7, 2, v7
	ds_bpermute_b32 v7, v7, v6
	s_and_saveexec_b64 s[30:31], vcc
	s_cbranch_execz .LBB104_8
; %bb.10:                               ;   in Loop: Header=BB104_9 Depth=1
	v_add_u32_e32 v8, s15, v36
	v_cvt_f32_i32_e32 v8, v8
	s_waitcnt lgkmcnt(0)
	v_add_f32_e32 v6, v6, v7
	v_cmp_gt_i32_e64 s[0:1], s33, v36
	v_max_f32_e32 v7, v31, v31
	v_mul_f32_e32 v8, s8, v8
	v_cndmask_b32_e64 v8, 0, v8, s[2:3]
	v_fmac_f32_e32 v8, s9, v6
	v_cndmask_b32_e64 v6, 0, v8, s[0:1]
	ds_write_b32 v37, v6
	v_max_f32_e32 v6, v7, v8
	v_cndmask_b32_e64 v31, v31, v6, s[0:1]
	s_branch .LBB104_8
.LBB104_11:
	s_or_b64 exec, exec, s[28:29]
.LBB104_12:
	s_or_b64 exec, exec, s[26:27]
	v_xor_b32_e32 v2, 32, v34
	v_cmp_lt_i32_e32 vcc, v2, v32
	v_xor_b32_e32 v5, 16, v34
	v_max_f32_e32 v4, v31, v31
	v_cndmask_b32_e32 v2, v34, v2, vcc
	v_lshlrev_b32_e32 v2, 2, v2
	ds_bpermute_b32 v3, v2, v31
	v_cmp_lt_i32_e32 vcc, v5, v32
	v_xor_b32_e32 v6, 8, v34
	s_waitcnt lgkmcnt(0)
	v_xor_b32_e32 v7, 4, v34
	v_xor_b32_e32 v9, 2, v34
	v_max_f32_e32 v3, v3, v3
	v_max_f32_e32 v4, v4, v3
	v_cndmask_b32_e32 v3, v34, v5, vcc
	v_lshlrev_b32_e32 v3, 2, v3
	ds_bpermute_b32 v5, v3, v4
	v_cmp_lt_i32_e32 vcc, v6, v32
	s_waitcnt lgkmcnt(0)
	v_max_f32_e32 v5, v5, v5
	v_max_f32_e32 v4, v4, v5
	v_cndmask_b32_e32 v5, v34, v6, vcc
	v_lshlrev_b32_e32 v5, 2, v5
	ds_bpermute_b32 v6, v5, v4
	v_cmp_lt_i32_e32 vcc, v7, v32
	s_waitcnt lgkmcnt(0)
	;; [unrolled: 7-line block ×3, first 2 shown]
	v_max_f32_e32 v7, v7, v7
	v_max_f32_e32 v8, v4, v7
	v_cndmask_b32_e32 v4, v34, v9, vcc
	v_lshlrev_b32_e32 v31, 2, v4
	ds_bpermute_b32 v9, v31, v8
	v_and_b32_e32 v4, 63, v0
	v_cmp_eq_u32_e32 vcc, 0, v4
	v_lshlrev_b32_e32 v7, 2, v1
	s_and_saveexec_b64 s[0:1], vcc
	s_cbranch_execz .LBB104_14
; %bb.13:
	s_waitcnt lgkmcnt(0)
	v_max_f32_e32 v9, v9, v9
	v_max_f32_e32 v8, v8, v8
	;; [unrolled: 1-line block ×3, first 2 shown]
	ds_write_b32 v7, v8 offset:240
.LBB104_14:
	s_or_b64 exec, exec, s[0:1]
	v_cmp_gt_u32_e64 s[0:1], 2, v4
	s_waitcnt lgkmcnt(0)
	v_mov_b32_e32 v9, 0xff7fffff
	v_lshlrev_b32_e32 v8, 2, v4
	s_barrier
	s_and_saveexec_b64 s[2:3], s[0:1]
	s_cbranch_execz .LBB104_16
; %bb.15:
	ds_read_b32 v9, v8 offset:240
.LBB104_16:
	s_or_b64 exec, exec, s[2:3]
	v_xor_b32_e32 v10, 1, v34
	v_cmp_lt_i32_e64 s[2:3], v10, v32
	v_lshlrev_b32_e32 v11, 2, v34
	s_nop 0
	v_cndmask_b32_e64 v10, v34, v10, s[2:3]
	v_lshlrev_b32_e32 v32, 2, v10
	s_waitcnt lgkmcnt(0)
	ds_bpermute_b32 v10, v32, v9
	v_max_f32_e32 v9, v9, v9
	s_lshl_b32 s2, s17, 5
	s_min_i32 s12, s2, s33
	v_cmp_gt_i32_e64 s[2:3], s12, v0
	s_waitcnt lgkmcnt(0)
	v_max_f32_e32 v10, v10, v10
	v_max_f32_e32 v10, v9, v10
	v_and_b32_e32 v9, 0xffffff00, v11
	ds_bpermute_b32 v11, v9, v10
	v_mov_b32_e32 v10, 0
	s_and_saveexec_b64 s[26:27], s[2:3]
	s_cbranch_execz .LBB104_20
; %bb.17:
	v_mov_b32_e32 v10, 0x100
	v_lshl_add_u32 v12, v0, 2, v10
	s_mov_b64 s[28:29], 0
	v_mov_b32_e32 v10, 0
	v_mov_b32_e32 v13, v0
.LBB104_18:                             ; =>This Inner Loop Header: Depth=1
	ds_read_b32 v14, v12
	v_add_u32_e32 v13, 0x80, v13
	v_cmp_le_i32_e64 s[8:9], s12, v13
	s_or_b64 s[28:29], s[8:9], s[28:29]
	s_waitcnt lgkmcnt(0)
	v_sub_f32_e32 v14, v14, v11
	v_mul_f32_e32 v14, 0x3fb8aa3b, v14
	v_exp_f32_e32 v14, v14
	ds_write_b32 v12, v14
	v_add_f32_e32 v10, v10, v14
	v_add_u32_e32 v12, 0x200, v12
	s_andn2_b64 exec, exec, s[28:29]
	s_cbranch_execnz .LBB104_18
; %bb.19:
	s_or_b64 exec, exec, s[28:29]
.LBB104_20:
	s_or_b64 exec, exec, s[26:27]
	ds_bpermute_b32 v2, v2, v10
	s_waitcnt lgkmcnt(0)
	v_add_f32_e32 v2, v10, v2
	ds_bpermute_b32 v3, v3, v2
	s_waitcnt lgkmcnt(0)
	v_add_f32_e32 v2, v2, v3
	;; [unrolled: 3-line block ×6, first 2 shown]
	s_and_saveexec_b64 s[8:9], vcc
	s_cbranch_execz .LBB104_22
; %bb.21:
	ds_write_b32 v7, v2 offset:248
.LBB104_22:
	s_or_b64 exec, exec, s[8:9]
	s_waitcnt lgkmcnt(0)
	s_barrier
	s_and_saveexec_b64 s[8:9], s[0:1]
	s_cbranch_execz .LBB104_24
; %bb.23:
	ds_read_b32 v2, v8 offset:248
.LBB104_24:
	s_or_b64 exec, exec, s[8:9]
	s_waitcnt lgkmcnt(0)
	ds_bpermute_b32 v3, v32, v2
	s_waitcnt lgkmcnt(0)
	v_add_f32_e32 v2, v2, v3
	ds_bpermute_b32 v2, v9, v2
	s_and_saveexec_b64 s[0:1], s[2:3]
	s_cbranch_execz .LBB104_37
; %bb.25:
	s_waitcnt lgkmcnt(0)
	v_add_f32_e32 v2, 0x358637bd, v2
	v_div_scale_f32 v3, s[2:3], v2, v2, 1.0
	v_rcp_f32_e32 v5, v3
	v_div_scale_f32 v6, vcc, 1.0, v2, 1.0
	s_movk_i32 s2, 0x7f
	v_fma_f32 v7, -v3, v5, 1.0
	v_fmac_f32_e32 v5, v7, v5
	v_mul_f32_e32 v7, v6, v5
	v_fma_f32 v8, -v3, v7, v6
	v_fmac_f32_e32 v7, v8, v5
	v_fma_f32 v3, -v3, v7, v6
	v_div_fmas_f32 v3, v3, v5, v7
	v_xad_u32 v5, v0, -1, s12
	v_div_fixup_f32 v2, v3, v2, 1.0
	v_cmp_lt_u32_e32 vcc, s2, v5
	s_mov_b64 s[8:9], -1
	v_mov_b32_e32 v3, v0
	s_and_saveexec_b64 s[2:3], vcc
	s_cbranch_execz .LBB104_34
; %bb.26:
	v_lshrrev_b32_e32 v5, 7, v5
	v_add_u32_e32 v7, -1, v5
	v_lshrrev_b32_e32 v6, 1, v7
	v_mov_b32_e32 v3, v2
	v_add_u32_e32 v6, 1, v6
	v_cmp_lt_u32_e32 vcc, 13, v7
	v_mov_b32_e32 v9, 0
	s_and_saveexec_b64 s[8:9], vcc
	s_cbranch_execz .LBB104_30
; %bb.27:
	v_mov_b32_e32 v8, 0x100
	v_and_b32_e32 v7, -8, v6
	v_lshl_add_u32 v8, v0, 2, v8
	s_mov_b32 s15, 0
	s_mov_b64 s[26:27], 0
.LBB104_28:                             ; =>This Inner Loop Header: Depth=1
	ds_read2st64_b32 v[10:11], v8 offset1:2
	ds_read2st64_b32 v[12:13], v8 offset0:4 offset1:6
	ds_read2st64_b32 v[14:15], v8 offset0:8 offset1:10
	;; [unrolled: 1-line block ×3, first 2 shown]
	v_add_u32_e32 v7, -8, v7
	s_waitcnt lgkmcnt(3)
	v_pk_mul_f32 v[10:11], v[2:3], v[10:11]
	s_waitcnt lgkmcnt(2)
	v_pk_mul_f32 v[12:13], v[2:3], v[12:13]
	ds_write2st64_b32 v8, v10, v11 offset1:2
	ds_write2st64_b32 v8, v12, v13 offset0:4 offset1:6
	ds_read2st64_b32 v[12:13], v8 offset0:16 offset1:18
	s_waitcnt lgkmcnt(4)
	v_pk_mul_f32 v[10:11], v[2:3], v[14:15]
	ds_write2st64_b32 v8, v10, v11 offset0:8 offset1:10
	s_waitcnt lgkmcnt(4)
	v_pk_mul_f32 v[10:11], v[2:3], v[16:17]
	ds_write2st64_b32 v8, v10, v11 offset0:12 offset1:14
	ds_read2st64_b32 v[10:11], v8 offset0:20 offset1:22
	s_waitcnt lgkmcnt(3)
	v_pk_mul_f32 v[12:13], v[2:3], v[12:13]
	ds_read2st64_b32 v[14:15], v8 offset0:24 offset1:26
	ds_write2st64_b32 v8, v12, v13 offset0:16 offset1:18
	ds_read2st64_b32 v[12:13], v8 offset0:28 offset1:30
	s_waitcnt lgkmcnt(3)
	v_pk_mul_f32 v[10:11], v[2:3], v[10:11]
	ds_write2st64_b32 v8, v10, v11 offset0:20 offset1:22
	s_waitcnt lgkmcnt(3)
	v_pk_mul_f32 v[10:11], v[2:3], v[14:15]
	ds_write2st64_b32 v8, v10, v11 offset0:24 offset1:26
	s_waitcnt lgkmcnt(2)
	v_pk_mul_f32 v[10:11], v[2:3], v[12:13]
	s_add_i32 s15, s15, 16
	v_cmp_eq_u32_e32 vcc, 0, v7
	ds_write2st64_b32 v8, v10, v11 offset0:28 offset1:30
	v_add_u32_e32 v8, 0x2000, v8
	s_or_b64 s[26:27], vcc, s[26:27]
	v_mov_b32_e32 v9, s15
	s_andn2_b64 exec, exec, s[26:27]
	s_cbranch_execnz .LBB104_28
; %bb.29:
	s_or_b64 exec, exec, s[26:27]
.LBB104_30:
	s_or_b64 exec, exec, s[8:9]
	v_and_b32_e32 v6, 7, v6
	v_cmp_ne_u32_e32 vcc, 0, v6
	s_and_saveexec_b64 s[8:9], vcc
	s_cbranch_execz .LBB104_33
; %bb.31:
	v_lshlrev_b32_e32 v7, 9, v9
	v_lshlrev_b32_e32 v8, 2, v0
	s_movk_i32 s15, 0x100
	v_add3_u32 v7, v7, v8, s15
	s_mov_b64 s[26:27], 0
.LBB104_32:                             ; =>This Inner Loop Header: Depth=1
	ds_read2st64_b32 v[8:9], v7 offset1:2
	v_add_u32_e32 v6, -1, v6
	v_cmp_eq_u32_e32 vcc, 0, v6
	s_or_b64 s[26:27], vcc, s[26:27]
	s_waitcnt lgkmcnt(0)
	v_pk_mul_f32 v[8:9], v[2:3], v[8:9]
	ds_write2st64_b32 v7, v8, v9 offset1:2
	v_add_u32_e32 v7, 0x400, v7
	s_andn2_b64 exec, exec, s[26:27]
	s_cbranch_execnz .LBB104_32
.LBB104_33:
	s_or_b64 exec, exec, s[8:9]
	v_add_u32_e32 v5, 1, v5
	v_and_b32_e32 v6, 0x3fffffe, v5
	v_cmp_ne_u32_e32 vcc, v5, v6
	v_lshl_add_u32 v3, v6, 7, v0
	s_orn2_b64 s[8:9], vcc, exec
.LBB104_34:
	s_or_b64 exec, exec, s[2:3]
	s_and_b64 exec, exec, s[8:9]
	s_cbranch_execz .LBB104_37
; %bb.35:
	v_mov_b32_e32 v5, 0x100
	v_lshl_add_u32 v5, v3, 2, v5
	s_mov_b64 s[2:3], 0
.LBB104_36:                             ; =>This Inner Loop Header: Depth=1
	ds_read_b32 v6, v5
	v_add_u32_e32 v3, 0x80, v3
	v_cmp_le_i32_e32 vcc, s12, v3
	s_or_b64 s[2:3], vcc, s[2:3]
	s_waitcnt lgkmcnt(0)
	v_mul_f32_e32 v6, v2, v6
	ds_write_b32 v5, v6
	v_add_u32_e32 v5, 0x200, v5
	s_andn2_b64 exec, exec, s[2:3]
	s_cbranch_execnz .LBB104_36
.LBB104_37:
	s_or_b64 exec, exec, s[0:1]
	v_mov_b32_e32 v7, 0
	v_lshrrev_b32_e32 v35, 2, v4
	v_and_b32_e32 v34, 3, v0
	v_mov_b32_e32 v6, v7
	v_mov_b32_e32 v9, v7
	;; [unrolled: 1-line block ×7, first 2 shown]
	s_waitcnt lgkmcnt(0)
	s_barrier
	s_and_saveexec_b64 s[8:9], s[6:7]
	s_cbranch_execz .LBB104_59
; %bb.38:
	s_ashr_i32 s15, s14, 31
	s_lshl_b64 s[0:1], s[14:15], 1
	s_add_u32 s6, s24, s0
	v_or_b32_e32 v5, 0x70, v35
	s_movk_i32 s0, 0x78
	v_and_b32_e32 v3, 24, v30
	s_addc_u32 s7, s25, s1
	s_add_i32 s24, s17, -1
	v_cmp_gt_u32_e32 vcc, s0, v5
	s_lshl_b64 s[0:1], s[22:23], 2
	v_lshl_or_b32 v2, v35, 5, v3
	v_lshl_or_b32 v10, v5, 5, v3
	;; [unrolled: 1-line block ×3, first 2 shown]
	v_lshlrev_b32_e32 v3, 5, v34
	s_add_u32 s0, s20, s0
	v_mov_b32_e32 v13, 0
	v_or_b32_e32 v4, 0x800, v2
	v_or_b32_e32 v6, 0xa00, v2
	;; [unrolled: 1-line block ×3, first 2 shown]
	v_lshl_or_b32 v3, v1, 7, v3
	v_and_b32_e32 v12, 60, v33
	s_addc_u32 s1, s21, s1
	s_mov_b32 s26, s13
	s_mov_b32 s25, s33
	;; [unrolled: 1-line block ×8, first 2 shown]
	v_add_u32_e32 v36, 0x100, v3
	v_lshl_add_u64 v[16:17], s[0:1], 0, v[12:13]
	s_mov_b64 s[12:13], 0
	v_lshlrev_b32_e32 v18, 1, v2
	v_mov_b32_e32 v19, v13
	s_mov_b32 s20, 0x5040100
	v_lshlrev_b32_e32 v12, 1, v4
	v_lshlrev_b32_e32 v20, 1, v6
	;; [unrolled: 1-line block ×4, first 2 shown]
	v_mov_b32_e32 v14, v13
	v_mov_b32_e32 v15, v13
	;; [unrolled: 1-line block ×8, first 2 shown]
	s_branch .LBB104_41
.LBB104_39:                             ;   in Loop: Header=BB104_41 Depth=1
	s_or_b64 exec, exec, s[14:15]
	s_waitcnt vmcnt(0)
	;;#ASMSTART
	v_pk_mul_f16 v2, v39, v2;

	;;#ASMEND
	;;#ASMSTART
	v_pk_mul_f16 v3, v38, v3;

	;;#ASMEND
	;; [unrolled: 4-line block ×4, first 2 shown]
	s_nop 0
	;;#ASMSTART
	v_pk_add_f16 v2, v2, v3;

	;;#ASMEND
	s_nop 0
	;;#ASMSTART
	v_pk_add_f16 v2, v2, v4;

	;;#ASMEND
	;; [unrolled: 5-line block ×3, first 2 shown]
	s_nop 0
	v_lshrrev_b32_e32 v3, 16, v2
	v_and_b32_e32 v2, 0xffff, v2
	;;#ASMSTART
	v_cvt_f32_f16 v2, v2;
	;;#ASMEND
	;;#ASMSTART
	v_cvt_f32_f16 v3, v3;
	;;#ASMEND
	s_nop 0
	v_add_f32_e32 v2, v2, v3
	v_add_f32_e32 v7, v7, v2
.LBB104_40:                             ;   in Loop: Header=BB104_41 Depth=1
	s_or_b64 exec, exec, s[2:3]
	v_add_u32_e32 v1, 2, v1
	v_cmp_le_i32_e64 s[0:1], s17, v1
	v_add_u32_e32 v30, 64, v30
	v_add_u32_e32 v36, 0x100, v36
	s_or_b64 s[12:13], s[0:1], s[12:13]
	v_lshl_add_u64 v[16:17], v[16:17], 0, 8
	s_andn2_b64 exec, exec, s[12:13]
	s_cbranch_execz .LBB104_58
.LBB104_41:                             ; =>This Inner Loop Header: Depth=1
	global_load_dword v38, v[16:17], off
	ds_read2_b64 v[2:5], v36 offset1:1
	ds_read2_b64 v[26:29], v36 offset0:2 offset1:3
	s_waitcnt lgkmcnt(1)
	;;#ASMSTART
	v_cvt_f16_f32 v21, v2;

	;;#ASMEND
	;;#ASMSTART
	v_cvt_f16_f32 v23, v3;

	;;#ASMEND
	;; [unrolled: 4-line block ×4, first 2 shown]
	s_waitcnt lgkmcnt(0)
	;;#ASMSTART
	v_cvt_f16_f32 v37, v26;

	;;#ASMEND
	;;#ASMSTART
	v_cvt_f16_f32 v40, v27;

	;;#ASMEND
	;; [unrolled: 4-line block ×4, first 2 shown]
	s_waitcnt vmcnt(0)
	v_mad_i64_i32 v[2:3], s[0:1], v38, s26, 0
	v_lshl_add_u64 v[26:27], v[2:3], 1, s[6:7]
	v_lshl_add_u64 v[28:29], v[26:27], 0, v[18:19]
	global_load_dwordx4 v[2:5], v[28:29], off
	v_cmp_eq_u32_e64 s[0:1], s24, v1
	s_and_saveexec_b64 s[14:15], s[0:1]
	s_cbranch_execz .LBB104_43
; %bb.42:                               ;   in Loop: Header=BB104_41 Depth=1
	v_or_b32_e32 v46, 7, v30
	v_or_b32_e32 v47, 6, v30
	s_waitcnt vmcnt(0)
	v_lshrrev_b32_e32 v48, 16, v5
	v_cmp_gt_i32_e64 s[2:3], s34, v46
	v_or_b32_e32 v44, 5, v30
	v_or_b32_e32 v45, 4, v30
	v_cndmask_b32_e64 v46, 0, v48, s[2:3]
	v_cmp_gt_i32_e64 s[2:3], s31, v47
	v_or_b32_e32 v39, 3, v30
	v_or_b32_e32 v43, 2, v30
	v_cndmask_b32_e64 v5, 0, v5, s[2:3]
	v_perm_b32 v5, v46, v5, s20
	v_lshrrev_b32_e32 v46, 16, v4
	v_cmp_gt_i32_e64 s[2:3], s30, v44
	v_add_u32_e32 v38, 1, v30
	s_nop 0
	v_cndmask_b32_e64 v44, 0, v46, s[2:3]
	v_cmp_gt_i32_e64 s[2:3], s29, v45
	s_nop 1
	v_cndmask_b32_e64 v4, 0, v4, s[2:3]
	v_perm_b32 v4, v44, v4, s20
	v_lshrrev_b32_e32 v44, 16, v3
	v_cmp_gt_i32_e64 s[2:3], s28, v39
	s_nop 1
	v_cndmask_b32_e64 v39, 0, v44, s[2:3]
	v_cmp_gt_i32_e64 s[2:3], s27, v43
	s_nop 1
	v_cndmask_b32_e64 v3, 0, v3, s[2:3]
	v_perm_b32 v3, v39, v3, s20
	v_lshrrev_b32_e32 v39, 16, v2
	v_cmp_gt_i32_e64 s[2:3], s25, v38
	s_nop 1
	v_cndmask_b32_e64 v38, 0, v39, s[2:3]
	v_cmp_gt_i32_e64 s[2:3], s33, v30
	s_nop 1
	v_cndmask_b32_e64 v2, 0, v2, s[2:3]
	v_perm_b32 v2, v38, v2, s20
.LBB104_43:                             ;   in Loop: Header=BB104_41 Depth=1
	s_or_b64 exec, exec, s[14:15]
	v_and_b32_e32 v21, 0xffff, v21
	v_lshl_or_b32 v39, v23, 16, v21
	v_and_b32_e32 v21, 0xffff, v25
	v_lshl_or_b32 v38, v33, 16, v21
	;; [unrolled: 2-line block ×3, first 2 shown]
	v_and_b32_e32 v21, 0xffff, v41
	s_waitcnt vmcnt(0)
	;;#ASMSTART
	v_pk_mul_f16 v2, v39, v2;

	;;#ASMEND
	v_lshl_or_b32 v33, v42, 16, v21
	;;#ASMSTART
	v_pk_mul_f16 v3, v38, v3;

	;;#ASMEND
	;;#ASMSTART
	v_pk_mul_f16 v4, v37, v4;

	;;#ASMEND
	;; [unrolled: 4-line block ×3, first 2 shown]
	s_nop 0
	;;#ASMSTART
	v_pk_add_f16 v2, v2, v3;

	;;#ASMEND
	s_nop 0
	;;#ASMSTART
	v_pk_add_f16 v2, v2, v4;

	;;#ASMEND
	;; [unrolled: 5-line block ×3, first 2 shown]
	s_nop 0
	v_lshrrev_b32_e32 v3, 16, v2
	v_and_b32_e32 v2, 0xffff, v2
	;;#ASMSTART
	v_cvt_f32_f16 v25, v2;
	;;#ASMEND
	;;#ASMSTART
	v_cvt_f32_f16 v40, v3;
	;;#ASMEND
	global_load_dwordx4 v[2:5], v[28:29], off offset:1024
	s_and_saveexec_b64 s[14:15], s[0:1]
	s_cbranch_execz .LBB104_45
; %bb.44:                               ;   in Loop: Header=BB104_41 Depth=1
	v_or_b32_e32 v44, 7, v30
	v_or_b32_e32 v45, 6, v30
	s_waitcnt vmcnt(0)
	v_lshrrev_b32_e32 v46, 16, v5
	v_cmp_gt_i32_e64 s[2:3], s34, v44
	v_or_b32_e32 v42, 5, v30
	v_or_b32_e32 v43, 4, v30
	v_cndmask_b32_e64 v44, 0, v46, s[2:3]
	v_cmp_gt_i32_e64 s[2:3], s31, v45
	v_or_b32_e32 v23, 3, v30
	v_or_b32_e32 v41, 2, v30
	v_cndmask_b32_e64 v5, 0, v5, s[2:3]
	v_perm_b32 v5, v44, v5, s20
	v_lshrrev_b32_e32 v44, 16, v4
	v_cmp_gt_i32_e64 s[2:3], s30, v42
	v_add_u32_e32 v21, 1, v30
	s_nop 0
	v_cndmask_b32_e64 v42, 0, v44, s[2:3]
	v_cmp_gt_i32_e64 s[2:3], s29, v43
	s_nop 1
	v_cndmask_b32_e64 v4, 0, v4, s[2:3]
	v_perm_b32 v4, v42, v4, s20
	v_lshrrev_b32_e32 v42, 16, v3
	v_cmp_gt_i32_e64 s[2:3], s28, v23
	s_nop 1
	v_cndmask_b32_e64 v23, 0, v42, s[2:3]
	v_cmp_gt_i32_e64 s[2:3], s27, v41
	s_nop 1
	v_cndmask_b32_e64 v3, 0, v3, s[2:3]
	v_perm_b32 v3, v23, v3, s20
	v_lshrrev_b32_e32 v23, 16, v2
	v_cmp_gt_i32_e64 s[2:3], s25, v21
	s_nop 1
	v_cndmask_b32_e64 v21, 0, v23, s[2:3]
	v_cmp_gt_i32_e64 s[2:3], s33, v30
	s_nop 1
	v_cndmask_b32_e64 v2, 0, v2, s[2:3]
	v_perm_b32 v2, v21, v2, s20
.LBB104_45:                             ;   in Loop: Header=BB104_41 Depth=1
	s_or_b64 exec, exec, s[14:15]
	s_waitcnt vmcnt(0)
	;;#ASMSTART
	v_pk_mul_f16 v2, v39, v2;

	;;#ASMEND
	;;#ASMSTART
	v_pk_mul_f16 v3, v38, v3;

	;;#ASMEND
	;; [unrolled: 4-line block ×4, first 2 shown]
	s_nop 0
	;;#ASMSTART
	v_pk_add_f16 v2, v2, v3;

	;;#ASMEND
	s_nop 0
	;;#ASMSTART
	v_pk_add_f16 v2, v2, v4;

	;;#ASMEND
	;; [unrolled: 5-line block ×3, first 2 shown]
	s_nop 0
	v_lshrrev_b32_e32 v3, 16, v2
	v_and_b32_e32 v2, 0xffff, v2
	;;#ASMSTART
	v_cvt_f32_f16 v41, v2;
	;;#ASMEND
	;;#ASMSTART
	v_cvt_f32_f16 v42, v3;
	;;#ASMEND
	global_load_dwordx4 v[2:5], v[28:29], off offset:2048
	s_and_saveexec_b64 s[14:15], s[0:1]
	s_cbranch_execz .LBB104_47
; %bb.46:                               ;   in Loop: Header=BB104_41 Depth=1
	v_or_b32_e32 v46, 7, v30
	v_or_b32_e32 v47, 6, v30
	s_waitcnt vmcnt(0)
	v_lshrrev_b32_e32 v48, 16, v5
	v_cmp_gt_i32_e64 s[2:3], s34, v46
	v_or_b32_e32 v44, 5, v30
	v_or_b32_e32 v45, 4, v30
	v_cndmask_b32_e64 v46, 0, v48, s[2:3]
	v_cmp_gt_i32_e64 s[2:3], s31, v47
	v_or_b32_e32 v23, 3, v30
	v_or_b32_e32 v43, 2, v30
	v_cndmask_b32_e64 v5, 0, v5, s[2:3]
	v_perm_b32 v5, v46, v5, s20
	v_lshrrev_b32_e32 v46, 16, v4
	v_cmp_gt_i32_e64 s[2:3], s30, v44
	v_add_u32_e32 v21, 1, v30
	s_nop 0
	v_cndmask_b32_e64 v44, 0, v46, s[2:3]
	v_cmp_gt_i32_e64 s[2:3], s29, v45
	s_nop 1
	v_cndmask_b32_e64 v4, 0, v4, s[2:3]
	v_perm_b32 v4, v44, v4, s20
	v_lshrrev_b32_e32 v44, 16, v3
	v_cmp_gt_i32_e64 s[2:3], s28, v23
	s_nop 1
	v_cndmask_b32_e64 v23, 0, v44, s[2:3]
	v_cmp_gt_i32_e64 s[2:3], s27, v43
	s_nop 1
	v_cndmask_b32_e64 v3, 0, v3, s[2:3]
	v_perm_b32 v3, v23, v3, s20
	v_lshrrev_b32_e32 v23, 16, v2
	v_cmp_gt_i32_e64 s[2:3], s25, v21
	s_nop 1
	v_cndmask_b32_e64 v21, 0, v23, s[2:3]
	v_cmp_gt_i32_e64 s[2:3], s33, v30
	s_nop 1
	v_cndmask_b32_e64 v2, 0, v2, s[2:3]
	v_perm_b32 v2, v21, v2, s20
.LBB104_47:                             ;   in Loop: Header=BB104_41 Depth=1
	s_or_b64 exec, exec, s[14:15]
	s_waitcnt vmcnt(0)
	;;#ASMSTART
	v_pk_mul_f16 v2, v39, v2;

	;;#ASMEND
	;;#ASMSTART
	v_pk_mul_f16 v3, v38, v3;

	;;#ASMEND
	;; [unrolled: 4-line block ×4, first 2 shown]
	s_nop 0
	;;#ASMSTART
	v_pk_add_f16 v2, v2, v3;

	;;#ASMEND
	s_nop 0
	;;#ASMSTART
	v_pk_add_f16 v2, v2, v4;

	;;#ASMEND
	;; [unrolled: 5-line block ×3, first 2 shown]
	s_nop 0
	v_lshrrev_b32_e32 v3, 16, v2
	v_and_b32_e32 v2, 0xffff, v2
	;;#ASMSTART
	v_cvt_f32_f16 v43, v2;
	;;#ASMEND
	;;#ASMSTART
	v_cvt_f32_f16 v44, v3;
	;;#ASMEND
	global_load_dwordx4 v[2:5], v[28:29], off offset:3072
	s_and_saveexec_b64 s[14:15], s[0:1]
	s_cbranch_execz .LBB104_49
; %bb.48:                               ;   in Loop: Header=BB104_41 Depth=1
	v_or_b32_e32 v46, 7, v30
	v_or_b32_e32 v47, 6, v30
	s_waitcnt vmcnt(0)
	v_lshrrev_b32_e32 v48, 16, v5
	v_cmp_gt_i32_e64 s[2:3], s34, v46
	v_or_b32_e32 v29, 5, v30
	v_or_b32_e32 v45, 4, v30
	v_cndmask_b32_e64 v46, 0, v48, s[2:3]
	v_cmp_gt_i32_e64 s[2:3], s31, v47
	v_or_b32_e32 v23, 3, v30
	v_or_b32_e32 v28, 2, v30
	v_cndmask_b32_e64 v5, 0, v5, s[2:3]
	v_perm_b32 v5, v46, v5, s20
	v_lshrrev_b32_e32 v46, 16, v4
	v_cmp_gt_i32_e64 s[2:3], s30, v29
	v_add_u32_e32 v21, 1, v30
	s_nop 0
	v_cndmask_b32_e64 v29, 0, v46, s[2:3]
	v_cmp_gt_i32_e64 s[2:3], s29, v45
	s_nop 1
	v_cndmask_b32_e64 v4, 0, v4, s[2:3]
	v_perm_b32 v4, v29, v4, s20
	v_lshrrev_b32_e32 v29, 16, v3
	v_cmp_gt_i32_e64 s[2:3], s28, v23
	s_nop 1
	v_cndmask_b32_e64 v23, 0, v29, s[2:3]
	v_cmp_gt_i32_e64 s[2:3], s27, v28
	s_nop 1
	v_cndmask_b32_e64 v3, 0, v3, s[2:3]
	v_perm_b32 v3, v23, v3, s20
	v_lshrrev_b32_e32 v23, 16, v2
	v_cmp_gt_i32_e64 s[2:3], s25, v21
	s_nop 1
	v_cndmask_b32_e64 v21, 0, v23, s[2:3]
	v_cmp_gt_i32_e64 s[2:3], s33, v30
	s_nop 1
	v_cndmask_b32_e64 v2, 0, v2, s[2:3]
	v_perm_b32 v2, v21, v2, s20
.LBB104_49:                             ;   in Loop: Header=BB104_41 Depth=1
	s_or_b64 exec, exec, s[14:15]
	s_waitcnt vmcnt(0)
	;;#ASMSTART
	v_pk_mul_f16 v2, v39, v2;

	;;#ASMEND
	;;#ASMSTART
	v_pk_mul_f16 v3, v38, v3;

	;;#ASMEND
	;;#ASMSTART
	v_pk_mul_f16 v4, v37, v4;

	;;#ASMEND
	;;#ASMSTART
	v_pk_mul_f16 v5, v33, v5;

	;;#ASMEND
	s_nop 0
	;;#ASMSTART
	v_pk_add_f16 v2, v2, v3;

	;;#ASMEND
	s_nop 0
	;;#ASMSTART
	v_pk_add_f16 v2, v2, v4;

	;;#ASMEND
	;; [unrolled: 5-line block ×3, first 2 shown]
	s_nop 0
	v_lshrrev_b32_e32 v3, 16, v2
	v_and_b32_e32 v2, 0xffff, v2
	;;#ASMSTART
	v_cvt_f32_f16 v28, v2;
	;;#ASMEND
	;;#ASMSTART
	v_cvt_f32_f16 v29, v3;
	;;#ASMEND
	v_lshl_add_u64 v[2:3], v[26:27], 0, v[12:13]
	global_load_dwordx4 v[2:5], v[2:3], off
	s_and_saveexec_b64 s[14:15], s[0:1]
	s_cbranch_execz .LBB104_51
; %bb.50:                               ;   in Loop: Header=BB104_41 Depth=1
	v_or_b32_e32 v48, 7, v30
	v_or_b32_e32 v49, 6, v30
	s_waitcnt vmcnt(0)
	v_lshrrev_b32_e32 v50, 16, v5
	v_cmp_gt_i32_e64 s[2:3], s34, v48
	v_or_b32_e32 v46, 5, v30
	v_or_b32_e32 v47, 4, v30
	v_cndmask_b32_e64 v48, 0, v50, s[2:3]
	v_cmp_gt_i32_e64 s[2:3], s31, v49
	v_or_b32_e32 v23, 3, v30
	v_or_b32_e32 v45, 2, v30
	v_cndmask_b32_e64 v5, 0, v5, s[2:3]
	v_perm_b32 v5, v48, v5, s20
	v_lshrrev_b32_e32 v48, 16, v4
	v_cmp_gt_i32_e64 s[2:3], s30, v46
	v_add_u32_e32 v21, 1, v30
	s_nop 0
	v_cndmask_b32_e64 v46, 0, v48, s[2:3]
	v_cmp_gt_i32_e64 s[2:3], s29, v47
	s_nop 1
	v_cndmask_b32_e64 v4, 0, v4, s[2:3]
	v_perm_b32 v4, v46, v4, s20
	v_lshrrev_b32_e32 v46, 16, v3
	v_cmp_gt_i32_e64 s[2:3], s28, v23
	s_nop 1
	v_cndmask_b32_e64 v23, 0, v46, s[2:3]
	v_cmp_gt_i32_e64 s[2:3], s27, v45
	s_nop 1
	v_cndmask_b32_e64 v3, 0, v3, s[2:3]
	v_perm_b32 v3, v23, v3, s20
	v_lshrrev_b32_e32 v23, 16, v2
	v_cmp_gt_i32_e64 s[2:3], s25, v21
	s_nop 1
	v_cndmask_b32_e64 v21, 0, v23, s[2:3]
	v_cmp_gt_i32_e64 s[2:3], s33, v30
	s_nop 1
	v_cndmask_b32_e64 v2, 0, v2, s[2:3]
	v_perm_b32 v2, v21, v2, s20
.LBB104_51:                             ;   in Loop: Header=BB104_41 Depth=1
	s_or_b64 exec, exec, s[14:15]
	s_waitcnt vmcnt(0)
	;;#ASMSTART
	v_pk_mul_f16 v2, v39, v2;

	;;#ASMEND
	;;#ASMSTART
	v_pk_mul_f16 v3, v38, v3;

	;;#ASMEND
	;; [unrolled: 4-line block ×4, first 2 shown]
	v_mov_b32_e32 v21, v13
	;;#ASMSTART
	v_pk_add_f16 v2, v2, v3;

	;;#ASMEND
	s_nop 0
	;;#ASMSTART
	v_pk_add_f16 v2, v2, v4;

	;;#ASMEND
	s_nop 0
	;;#ASMSTART
	v_pk_add_f16 v2, v2, v5;

	;;#ASMEND
	s_nop 0
	v_lshrrev_b32_e32 v3, 16, v2
	v_and_b32_e32 v2, 0xffff, v2
	;;#ASMSTART
	v_cvt_f32_f16 v45, v2;
	;;#ASMEND
	;;#ASMSTART
	v_cvt_f32_f16 v46, v3;
	;;#ASMEND
	v_lshl_add_u64 v[2:3], v[26:27], 0, v[20:21]
	global_load_dwordx4 v[2:5], v[2:3], off
	s_and_saveexec_b64 s[14:15], s[0:1]
	s_cbranch_execz .LBB104_53
; %bb.52:                               ;   in Loop: Header=BB104_41 Depth=1
	v_or_b32_e32 v50, 7, v30
	v_or_b32_e32 v51, 6, v30
	s_waitcnt vmcnt(0)
	v_lshrrev_b32_e32 v52, 16, v5
	v_cmp_gt_i32_e64 s[2:3], s34, v50
	v_or_b32_e32 v48, 5, v30
	v_or_b32_e32 v49, 4, v30
	v_cndmask_b32_e64 v50, 0, v52, s[2:3]
	v_cmp_gt_i32_e64 s[2:3], s31, v51
	v_or_b32_e32 v23, 3, v30
	v_or_b32_e32 v47, 2, v30
	v_cndmask_b32_e64 v5, 0, v5, s[2:3]
	v_perm_b32 v5, v50, v5, s20
	v_lshrrev_b32_e32 v50, 16, v4
	v_cmp_gt_i32_e64 s[2:3], s30, v48
	v_add_u32_e32 v21, 1, v30
	s_nop 0
	v_cndmask_b32_e64 v48, 0, v50, s[2:3]
	v_cmp_gt_i32_e64 s[2:3], s29, v49
	s_nop 1
	v_cndmask_b32_e64 v4, 0, v4, s[2:3]
	v_perm_b32 v4, v48, v4, s20
	v_lshrrev_b32_e32 v48, 16, v3
	v_cmp_gt_i32_e64 s[2:3], s28, v23
	s_nop 1
	v_cndmask_b32_e64 v23, 0, v48, s[2:3]
	v_cmp_gt_i32_e64 s[2:3], s27, v47
	s_nop 1
	v_cndmask_b32_e64 v3, 0, v3, s[2:3]
	v_perm_b32 v3, v23, v3, s20
	v_lshrrev_b32_e32 v23, 16, v2
	v_cmp_gt_i32_e64 s[2:3], s25, v21
	s_nop 1
	v_cndmask_b32_e64 v21, 0, v23, s[2:3]
	v_cmp_gt_i32_e64 s[2:3], s33, v30
	s_nop 1
	v_cndmask_b32_e64 v2, 0, v2, s[2:3]
	v_perm_b32 v2, v21, v2, s20
.LBB104_53:                             ;   in Loop: Header=BB104_41 Depth=1
	s_or_b64 exec, exec, s[14:15]
	s_waitcnt vmcnt(0)
	;;#ASMSTART
	v_pk_mul_f16 v2, v39, v2;

	;;#ASMEND
	;;#ASMSTART
	v_pk_mul_f16 v3, v38, v3;

	;;#ASMEND
	;; [unrolled: 4-line block ×4, first 2 shown]
	v_mov_b32_e32 v23, v13
	;;#ASMSTART
	v_pk_add_f16 v2, v2, v3;

	;;#ASMEND
	s_nop 0
	;;#ASMSTART
	v_pk_add_f16 v2, v2, v4;

	;;#ASMEND
	s_nop 0
	;; [unrolled: 5-line block ×3, first 2 shown]
	v_lshrrev_b32_e32 v3, 16, v2
	v_and_b32_e32 v2, 0xffff, v2
	;;#ASMSTART
	v_cvt_f32_f16 v21, v2;
	;;#ASMEND
	;;#ASMSTART
	v_cvt_f32_f16 v47, v3;
	;;#ASMEND
	v_lshl_add_u64 v[2:3], v[26:27], 0, v[22:23]
	global_load_dwordx4 v[2:5], v[2:3], off
	s_and_saveexec_b64 s[14:15], s[0:1]
	s_cbranch_execz .LBB104_55
; %bb.54:                               ;   in Loop: Header=BB104_41 Depth=1
	v_or_b32_e32 v52, 7, v30
	v_or_b32_e32 v53, 6, v30
	s_waitcnt vmcnt(0)
	v_lshrrev_b32_e32 v54, 16, v5
	v_cmp_gt_i32_e64 s[2:3], s34, v52
	v_or_b32_e32 v50, 5, v30
	v_or_b32_e32 v51, 4, v30
	v_cndmask_b32_e64 v52, 0, v54, s[2:3]
	v_cmp_gt_i32_e64 s[2:3], s31, v53
	v_or_b32_e32 v48, 3, v30
	v_or_b32_e32 v49, 2, v30
	v_cndmask_b32_e64 v5, 0, v5, s[2:3]
	v_perm_b32 v5, v52, v5, s20
	v_lshrrev_b32_e32 v52, 16, v4
	v_cmp_gt_i32_e64 s[2:3], s30, v50
	v_add_u32_e32 v23, 1, v30
	s_nop 0
	v_cndmask_b32_e64 v50, 0, v52, s[2:3]
	v_cmp_gt_i32_e64 s[2:3], s29, v51
	s_nop 1
	v_cndmask_b32_e64 v4, 0, v4, s[2:3]
	v_perm_b32 v4, v50, v4, s20
	v_lshrrev_b32_e32 v50, 16, v3
	v_cmp_gt_i32_e64 s[2:3], s28, v48
	s_nop 1
	v_cndmask_b32_e64 v48, 0, v50, s[2:3]
	v_cmp_gt_i32_e64 s[2:3], s27, v49
	s_nop 1
	v_cndmask_b32_e64 v3, 0, v3, s[2:3]
	v_perm_b32 v3, v48, v3, s20
	v_lshrrev_b32_e32 v48, 16, v2
	v_cmp_gt_i32_e64 s[2:3], s25, v23
	s_nop 1
	v_cndmask_b32_e64 v23, 0, v48, s[2:3]
	v_cmp_gt_i32_e64 s[2:3], s33, v30
	s_nop 1
	v_cndmask_b32_e64 v2, 0, v2, s[2:3]
	v_perm_b32 v2, v23, v2, s20
.LBB104_55:                             ;   in Loop: Header=BB104_41 Depth=1
	s_or_b64 exec, exec, s[14:15]
	s_waitcnt vmcnt(0)
	;;#ASMSTART
	v_pk_mul_f16 v2, v39, v2;

	;;#ASMEND
	;;#ASMSTART
	v_pk_mul_f16 v3, v38, v3;

	;;#ASMEND
	;; [unrolled: 4-line block ×4, first 2 shown]
	v_add_f32_e32 v23, v25, v40
	;;#ASMSTART
	v_pk_add_f16 v2, v2, v3;

	;;#ASMEND
	v_add_f32_e32 v14, v14, v23
	;;#ASMSTART
	v_pk_add_f16 v2, v2, v4;

	;;#ASMEND
	;; [unrolled: 5-line block ×3, first 2 shown]
	v_add_f32_e32 v15, v15, v23
	v_add_f32_e32 v23, v43, v44
	v_lshrrev_b32_e32 v3, 16, v2
	v_and_b32_e32 v2, 0xffff, v2
	v_add_f32_e32 v10, v10, v23
	v_add_f32_e32 v23, v28, v29
	;;#ASMSTART
	v_cvt_f32_f16 v2, v2;
	;;#ASMEND
	v_add_f32_e32 v11, v11, v23
	v_add_f32_e32 v23, v45, v46
	;; [unrolled: 1-line block ×3, first 2 shown]
	;;#ASMSTART
	v_cvt_f32_f16 v3, v3;
	;;#ASMEND
	v_add_f32_e32 v8, v8, v23
	v_add_f32_e32 v2, v2, v3
	;; [unrolled: 1-line block ×4, first 2 shown]
	s_and_saveexec_b64 s[2:3], vcc
	s_cbranch_execz .LBB104_40
; %bb.56:                               ;   in Loop: Header=BB104_41 Depth=1
	v_mov_b32_e32 v25, v13
	v_lshl_add_u64 v[2:3], v[26:27], 0, v[24:25]
	global_load_dwordx4 v[2:5], v[2:3], off
	s_and_saveexec_b64 s[14:15], s[0:1]
	s_cbranch_execz .LBB104_39
; %bb.57:                               ;   in Loop: Header=BB104_41 Depth=1
	v_or_b32_e32 v28, 7, v30
	v_or_b32_e32 v29, 6, v30
	s_waitcnt vmcnt(0)
	v_lshrrev_b32_e32 v40, 16, v5
	v_cmp_gt_i32_e64 s[0:1], s34, v28
	v_or_b32_e32 v26, 5, v30
	v_or_b32_e32 v27, 4, v30
	v_cndmask_b32_e64 v28, 0, v40, s[0:1]
	v_cmp_gt_i32_e64 s[0:1], s31, v29
	v_or_b32_e32 v23, 3, v30
	v_or_b32_e32 v25, 2, v30
	v_cndmask_b32_e64 v5, 0, v5, s[0:1]
	v_perm_b32 v5, v28, v5, s20
	v_lshrrev_b32_e32 v28, 16, v4
	v_cmp_gt_i32_e64 s[0:1], s30, v26
	v_add_u32_e32 v21, 1, v30
	s_nop 0
	v_cndmask_b32_e64 v26, 0, v28, s[0:1]
	v_cmp_gt_i32_e64 s[0:1], s29, v27
	s_nop 1
	v_cndmask_b32_e64 v4, 0, v4, s[0:1]
	v_perm_b32 v4, v26, v4, s20
	v_lshrrev_b32_e32 v26, 16, v3
	v_cmp_gt_i32_e64 s[0:1], s28, v23
	s_nop 1
	v_cndmask_b32_e64 v23, 0, v26, s[0:1]
	v_cmp_gt_i32_e64 s[0:1], s27, v25
	s_nop 1
	v_cndmask_b32_e64 v3, 0, v3, s[0:1]
	v_perm_b32 v3, v23, v3, s20
	v_lshrrev_b32_e32 v23, 16, v2
	v_cmp_gt_i32_e64 s[0:1], s25, v21
	s_nop 1
	v_cndmask_b32_e64 v21, 0, v23, s[0:1]
	v_cmp_gt_i32_e64 s[0:1], s33, v30
	s_nop 1
	v_cndmask_b32_e64 v2, 0, v2, s[0:1]
	v_perm_b32 v2, v21, v2, s20
	s_branch .LBB104_39
.LBB104_58:
	s_or_b64 exec, exec, s[12:13]
.LBB104_59:
	s_or_b64 exec, exec, s[8:9]
	ds_bpermute_b32 v4, v31, v10
	ds_bpermute_b32 v5, v31, v11
	;; [unrolled: 1-line block ×6, first 2 shown]
	s_waitcnt lgkmcnt(4)
	v_pk_add_f32 v[4:5], v[10:11], v[4:5]
	ds_bpermute_b32 v10, v31, v8
	ds_bpermute_b32 v11, v31, v9
	s_waitcnt lgkmcnt(4)
	v_pk_add_f32 v[2:3], v[14:15], v[2:3]
	s_waitcnt lgkmcnt(2)
	v_pk_add_f32 v[16:17], v[6:7], v[16:17]
	ds_bpermute_b32 v12, v32, v2
	ds_bpermute_b32 v13, v32, v3
	s_waitcnt lgkmcnt(2)
	v_pk_add_f32 v[10:11], v[8:9], v[10:11]
	ds_bpermute_b32 v14, v32, v4
	ds_bpermute_b32 v15, v32, v5
	;; [unrolled: 1-line block ×6, first 2 shown]
	v_and_b32_e32 v1, 0x3c0, v0
	s_waitcnt lgkmcnt(6)
	v_pk_add_f32 v[8:9], v[2:3], v[12:13]
	s_waitcnt lgkmcnt(4)
	v_pk_add_f32 v[6:7], v[4:5], v[14:15]
	;; [unrolled: 2-line block ×4, first 2 shown]
	v_cmp_eq_u32_e32 vcc, 64, v1
	s_barrier
	s_and_saveexec_b64 s[2:3], vcc
	s_cbranch_execz .LBB104_64
; %bb.60:
	v_cmp_eq_u32_e32 vcc, 0, v34
	s_and_saveexec_b64 s[0:1], vcc
	s_cbranch_execz .LBB104_62
; %bb.61:
	v_mov_b32_e32 v1, 0x100
	v_lshl_add_u32 v1, v35, 2, v1
	ds_write2_b32 v1, v8, v9 offset1:16
	ds_write2_b32 v1, v6, v7 offset0:32 offset1:48
	ds_write2_b32 v1, v4, v5 offset0:64 offset1:80
	ds_write_b32 v1, v2 offset:384
.LBB104_62:
	s_or_b64 exec, exec, s[0:1]
	v_or_b32_e32 v1, 0x70, v35
	s_movk_i32 s0, 0x78
	v_cmp_gt_u32_e64 s[0:1], s0, v1
	s_and_b64 s[0:1], vcc, s[0:1]
	s_and_b64 exec, exec, s[0:1]
	s_cbranch_execz .LBB104_64
; %bb.63:
	v_mov_b32_e32 v1, 0x100
	v_lshl_add_u32 v1, v35, 2, v1
	ds_write_b32 v1, v3 offset:448
.LBB104_64:
	s_or_b64 exec, exec, s[2:3]
	v_cmp_gt_u32_e32 vcc, 64, v0
	v_lshrrev_b32_e32 v0, 2, v0
	s_waitcnt lgkmcnt(0)
	s_barrier
	s_and_saveexec_b64 s[6:7], vcc
	s_cbranch_execz .LBB104_76
; %bb.65:
	v_cmp_eq_u32_e64 s[0:1], 0, v34
	s_and_saveexec_b64 s[2:3], s[0:1]
	s_cbranch_execnz .LBB104_82
; %bb.66:
	s_or_b64 exec, exec, s[2:3]
	s_and_saveexec_b64 s[2:3], s[0:1]
	s_cbranch_execnz .LBB104_83
.LBB104_67:
	s_or_b64 exec, exec, s[2:3]
	s_and_saveexec_b64 s[2:3], s[0:1]
	s_cbranch_execnz .LBB104_84
.LBB104_68:
	s_or_b64 exec, exec, s[2:3]
	s_and_saveexec_b64 s[2:3], s[0:1]
	s_cbranch_execnz .LBB104_85
.LBB104_69:
	s_or_b64 exec, exec, s[2:3]
	s_and_saveexec_b64 s[2:3], s[0:1]
	s_cbranch_execnz .LBB104_86
.LBB104_70:
	s_or_b64 exec, exec, s[2:3]
	s_and_saveexec_b64 s[2:3], s[0:1]
	s_cbranch_execnz .LBB104_87
.LBB104_71:
	s_or_b64 exec, exec, s[2:3]
	s_and_saveexec_b64 s[2:3], s[0:1]
	s_cbranch_execz .LBB104_73
.LBB104_72:
	v_mov_b32_e32 v1, 0x100
	v_lshl_add_u32 v1, v0, 2, v1
	ds_read_b32 v1, v1 offset:384
	s_waitcnt lgkmcnt(0)
	v_add_f32_e32 v2, v2, v1
.LBB104_73:
	s_or_b64 exec, exec, s[2:3]
	v_or_b32_e32 v1, 0x70, v0
	s_movk_i32 s2, 0x78
	v_cmp_gt_u32_e64 s[2:3], s2, v1
	s_and_b64 s[2:3], s[0:1], s[2:3]
	s_and_saveexec_b64 s[0:1], s[2:3]
	s_cbranch_execz .LBB104_75
; %bb.74:
	v_mov_b32_e32 v1, 0x100
	v_lshl_add_u32 v1, v0, 2, v1
	ds_read_b32 v1, v1 offset:448
	s_waitcnt lgkmcnt(0)
	v_add_f32_e32 v3, v3, v1
.LBB104_75:
	s_or_b64 exec, exec, s[0:1]
.LBB104_76:
	s_or_b64 exec, exec, s[6:7]
	s_barrier
	s_and_saveexec_b64 s[0:1], vcc
	s_cbranch_execz .LBB104_81
; %bb.77:
	s_mul_i32 s0, s10, s11
	s_mul_i32 s0, s0, s5
	s_mulk_i32 s0, 0x78
	s_ashr_i32 s1, s0, 31
	s_lshl_b64 s[0:1], s[0:1], 1
	s_add_u32 s2, s18, s0
	s_mul_i32 s0, s11, s16
	s_addc_u32 s3, s19, s1
	s_ashr_i32 s1, s0, 31
	s_lshl_b64 s[0:1], s[0:1], 1
	s_add_u32 s2, s2, s0
	s_mul_i32 s0, s4, 0x78
	s_addc_u32 s3, s3, s1
	s_ashr_i32 s1, s0, 31
	s_lshl_b64 s[0:1], s[0:1], 1
	s_add_u32 s2, s2, s0
	s_movk_i32 s5, 0x78
	s_addc_u32 s3, s3, s1
	v_cmp_eq_u32_e32 vcc, 0, v34
	v_lshlrev_b32_e32 v1, 1, v0
	s_and_saveexec_b64 s[0:1], vcc
	s_cbranch_execz .LBB104_79
; %bb.78:
	;;#ASMSTART
	v_cvt_f16_f32 v8, v8;

	;;#ASMEND
	global_store_short v1, v8, s[2:3]
	;;#ASMSTART
	v_cvt_f16_f32 v8, v9;

	;;#ASMEND
	global_store_short v1, v8, s[2:3] offset:32
	;;#ASMSTART
	v_cvt_f16_f32 v6, v6;

	;;#ASMEND
	global_store_short v1, v6, s[2:3] offset:64
	;; [unrolled: 5-line block ×6, first 2 shown]
.LBB104_79:
	s_or_b64 exec, exec, s[0:1]
	v_or_b32_e32 v0, 0x70, v0
	v_cmp_gt_u32_e64 s[0:1], s5, v0
	s_and_b64 s[0:1], vcc, s[0:1]
	s_and_b64 exec, exec, s[0:1]
	s_cbranch_execz .LBB104_81
; %bb.80:
	;;#ASMSTART
	v_cvt_f16_f32 v0, v3;

	;;#ASMEND
	global_store_short v1, v0, s[2:3] offset:224
.LBB104_81:
	s_endpgm
.LBB104_82:
	v_mov_b32_e32 v1, 0x100
	v_lshl_add_u32 v1, v0, 2, v1
	ds_read_b32 v1, v1
	s_waitcnt lgkmcnt(0)
	v_add_f32_e32 v8, v8, v1
	s_or_b64 exec, exec, s[2:3]
	s_and_saveexec_b64 s[2:3], s[0:1]
	s_cbranch_execz .LBB104_67
.LBB104_83:
	v_mov_b32_e32 v1, 0x100
	v_lshl_add_u32 v1, v0, 2, v1
	ds_read_b32 v1, v1 offset:64
	s_waitcnt lgkmcnt(0)
	v_add_f32_e32 v9, v9, v1
	s_or_b64 exec, exec, s[2:3]
	s_and_saveexec_b64 s[2:3], s[0:1]
	s_cbranch_execz .LBB104_68
.LBB104_84:
	v_mov_b32_e32 v1, 0x100
	v_lshl_add_u32 v1, v0, 2, v1
	ds_read_b32 v1, v1 offset:128
	s_waitcnt lgkmcnt(0)
	v_add_f32_e32 v6, v6, v1
	s_or_b64 exec, exec, s[2:3]
	s_and_saveexec_b64 s[2:3], s[0:1]
	s_cbranch_execz .LBB104_69
.LBB104_85:
	v_mov_b32_e32 v1, 0x100
	v_lshl_add_u32 v1, v0, 2, v1
	ds_read_b32 v1, v1 offset:192
	s_waitcnt lgkmcnt(0)
	v_add_f32_e32 v7, v7, v1
	s_or_b64 exec, exec, s[2:3]
	s_and_saveexec_b64 s[2:3], s[0:1]
	s_cbranch_execz .LBB104_70
.LBB104_86:
	v_mov_b32_e32 v1, 0x100
	v_lshl_add_u32 v1, v0, 2, v1
	ds_read_b32 v1, v1 offset:256
	s_waitcnt lgkmcnt(0)
	v_add_f32_e32 v4, v4, v1
	s_or_b64 exec, exec, s[2:3]
	s_and_saveexec_b64 s[2:3], s[0:1]
	s_cbranch_execz .LBB104_71
.LBB104_87:
	v_mov_b32_e32 v1, 0x100
	v_lshl_add_u32 v1, v0, 2, v1
	ds_read_b32 v1, v1 offset:320
	s_waitcnt lgkmcnt(0)
	v_add_f32_e32 v5, v5, v1
	s_or_b64 exec, exec, s[2:3]
	s_and_saveexec_b64 s[2:3], s[0:1]
	s_cbranch_execnz .LBB104_72
	s_branch .LBB104_73
	.section	.rodata,"a",@progbits
	.p2align	6, 0x0
	.amdhsa_kernel _ZN4vllm25paged_attention_v1_kernelIttLi120ELi32ELi128ELNS_18Fp8KVCacheDataTypeE0ELb0EEEvPT_PKS2_PKT0_S8_ifPKiSA_iPKfiiiSC_SC_iiiii
		.amdhsa_group_segment_fixed_size 256
		.amdhsa_private_segment_fixed_size 0
		.amdhsa_kernarg_size 384
		.amdhsa_user_sgpr_count 2
		.amdhsa_user_sgpr_dispatch_ptr 0
		.amdhsa_user_sgpr_queue_ptr 0
		.amdhsa_user_sgpr_kernarg_segment_ptr 1
		.amdhsa_user_sgpr_dispatch_id 0
		.amdhsa_user_sgpr_kernarg_preload_length 0
		.amdhsa_user_sgpr_kernarg_preload_offset 0
		.amdhsa_user_sgpr_private_segment_size 0
		.amdhsa_uses_dynamic_stack 0
		.amdhsa_enable_private_segment 0
		.amdhsa_system_sgpr_workgroup_id_x 1
		.amdhsa_system_sgpr_workgroup_id_y 1
		.amdhsa_system_sgpr_workgroup_id_z 1
		.amdhsa_system_sgpr_workgroup_info 0
		.amdhsa_system_vgpr_workitem_id 0
		.amdhsa_next_free_vgpr 65
		.amdhsa_next_free_sgpr 35
		.amdhsa_accum_offset 68
		.amdhsa_reserve_vcc 1
		.amdhsa_float_round_mode_32 0
		.amdhsa_float_round_mode_16_64 0
		.amdhsa_float_denorm_mode_32 3
		.amdhsa_float_denorm_mode_16_64 3
		.amdhsa_dx10_clamp 1
		.amdhsa_ieee_mode 1
		.amdhsa_fp16_overflow 0
		.amdhsa_tg_split 0
		.amdhsa_exception_fp_ieee_invalid_op 0
		.amdhsa_exception_fp_denorm_src 0
		.amdhsa_exception_fp_ieee_div_zero 0
		.amdhsa_exception_fp_ieee_overflow 0
		.amdhsa_exception_fp_ieee_underflow 0
		.amdhsa_exception_fp_ieee_inexact 0
		.amdhsa_exception_int_div_zero 0
	.end_amdhsa_kernel
	.section	.text._ZN4vllm25paged_attention_v1_kernelIttLi120ELi32ELi128ELNS_18Fp8KVCacheDataTypeE0ELb0EEEvPT_PKS2_PKT0_S8_ifPKiSA_iPKfiiiSC_SC_iiiii,"axG",@progbits,_ZN4vllm25paged_attention_v1_kernelIttLi120ELi32ELi128ELNS_18Fp8KVCacheDataTypeE0ELb0EEEvPT_PKS2_PKT0_S8_ifPKiSA_iPKfiiiSC_SC_iiiii,comdat
.Lfunc_end104:
	.size	_ZN4vllm25paged_attention_v1_kernelIttLi120ELi32ELi128ELNS_18Fp8KVCacheDataTypeE0ELb0EEEvPT_PKS2_PKT0_S8_ifPKiSA_iPKfiiiSC_SC_iiiii, .Lfunc_end104-_ZN4vllm25paged_attention_v1_kernelIttLi120ELi32ELi128ELNS_18Fp8KVCacheDataTypeE0ELb0EEEvPT_PKS2_PKT0_S8_ifPKiSA_iPKfiiiSC_SC_iiiii
                                        ; -- End function
	.section	.AMDGPU.csdata,"",@progbits
; Kernel info:
; codeLenInByte = 9272
; NumSgprs: 41
; NumVgprs: 65
; NumAgprs: 0
; TotalNumVgprs: 65
; ScratchSize: 0
; MemoryBound: 0
; FloatMode: 240
; IeeeMode: 1
; LDSByteSize: 256 bytes/workgroup (compile time only)
; SGPRBlocks: 5
; VGPRBlocks: 8
; NumSGPRsForWavesPerEU: 41
; NumVGPRsForWavesPerEU: 65
; AccumOffset: 68
; Occupancy: 7
; WaveLimiterHint : 1
; COMPUTE_PGM_RSRC2:SCRATCH_EN: 0
; COMPUTE_PGM_RSRC2:USER_SGPR: 2
; COMPUTE_PGM_RSRC2:TRAP_HANDLER: 0
; COMPUTE_PGM_RSRC2:TGID_X_EN: 1
; COMPUTE_PGM_RSRC2:TGID_Y_EN: 1
; COMPUTE_PGM_RSRC2:TGID_Z_EN: 1
; COMPUTE_PGM_RSRC2:TIDIG_COMP_CNT: 0
; COMPUTE_PGM_RSRC3_GFX90A:ACCUM_OFFSET: 16
; COMPUTE_PGM_RSRC3_GFX90A:TG_SPLIT: 0
	.section	.text._ZN4vllm25paged_attention_v1_kernelIttLi128ELi32ELi128ELNS_18Fp8KVCacheDataTypeE0ELb0EEEvPT_PKS2_PKT0_S8_ifPKiSA_iPKfiiiSC_SC_iiiii,"axG",@progbits,_ZN4vllm25paged_attention_v1_kernelIttLi128ELi32ELi128ELNS_18Fp8KVCacheDataTypeE0ELb0EEEvPT_PKS2_PKT0_S8_ifPKiSA_iPKfiiiSC_SC_iiiii,comdat
	.protected	_ZN4vllm25paged_attention_v1_kernelIttLi128ELi32ELi128ELNS_18Fp8KVCacheDataTypeE0ELb0EEEvPT_PKS2_PKT0_S8_ifPKiSA_iPKfiiiSC_SC_iiiii ; -- Begin function _ZN4vllm25paged_attention_v1_kernelIttLi128ELi32ELi128ELNS_18Fp8KVCacheDataTypeE0ELb0EEEvPT_PKS2_PKT0_S8_ifPKiSA_iPKfiiiSC_SC_iiiii
	.globl	_ZN4vllm25paged_attention_v1_kernelIttLi128ELi32ELi128ELNS_18Fp8KVCacheDataTypeE0ELb0EEEvPT_PKS2_PKT0_S8_ifPKiSA_iPKfiiiSC_SC_iiiii
	.p2align	8
	.type	_ZN4vllm25paged_attention_v1_kernelIttLi128ELi32ELi128ELNS_18Fp8KVCacheDataTypeE0ELb0EEEvPT_PKS2_PKT0_S8_ifPKiSA_iPKfiiiSC_SC_iiiii,@function
_ZN4vllm25paged_attention_v1_kernelIttLi128ELi32ELi128ELNS_18Fp8KVCacheDataTypeE0ELb0EEEvPT_PKS2_PKT0_S8_ifPKiSA_iPKfiiiSC_SC_iiiii: ; @_ZN4vllm25paged_attention_v1_kernelIttLi128ELi32ELi128ELNS_18Fp8KVCacheDataTypeE0ELb0EEEvPT_PKS2_PKT0_S8_ifPKiSA_iPKfiiiSC_SC_iiiii
; %bb.0:
	s_load_dword s5, s[0:1], 0x80
	s_load_dwordx2 s[6:7], s[0:1], 0x30
	s_load_dwordx2 s[8:9], s[0:1], 0x20
	s_mov_b32 s10, s3
	s_ashr_i32 s11, s3, 31
	s_lshl_b64 s[12:13], s[10:11], 2
	s_waitcnt lgkmcnt(0)
	s_add_u32 s6, s6, s12
	s_addc_u32 s7, s7, s13
	s_abs_i32 s3, s8
	v_cvt_f32_u32_e32 v1, s3
	s_sub_i32 s12, 0, s3
	s_abs_i32 s11, s5
	s_xor_b32 s8, s5, s8
	v_rcp_iflag_f32_e32 v1, v1
	s_ashr_i32 s8, s8, 31
	v_mul_f32_e32 v1, 0x4f7ffffe, v1
	v_cvt_u32_f32_e32 v1, v1
	s_nop 0
	v_readfirstlane_b32 s13, v1
	s_mul_i32 s12, s12, s13
	s_mul_hi_u32 s12, s13, s12
	s_add_i32 s13, s13, s12
	s_mul_hi_u32 s12, s11, s13
	s_mul_i32 s13, s12, s3
	s_sub_i32 s11, s11, s13
	s_add_i32 s13, s12, 1
	s_sub_i32 s14, s11, s3
	s_cmp_ge_u32 s11, s3
	s_cselect_b32 s12, s13, s12
	s_cselect_b32 s11, s14, s11
	s_add_i32 s13, s12, 1
	s_cmp_ge_u32 s11, s3
	s_cselect_b32 s3, s13, s12
	s_xor_b32 s3, s3, s8
	s_sub_i32 s14, s3, s8
	s_abs_i32 s11, s14
	v_cvt_f32_u32_e32 v1, s11
	s_load_dwordx2 s[12:13], s[0:1], 0x40
	s_sub_i32 s3, 0, s11
	s_abs_i32 s18, s2
	v_rcp_iflag_f32_e32 v1, v1
	s_mov_b32 s8, 0
	v_mul_f32_e32 v1, 0x4f7ffffe, v1
	v_cvt_u32_f32_e32 v1, v1
	s_nop 0
	v_readfirstlane_b32 s15, v1
	s_mul_i32 s3, s3, s15
	s_mul_hi_u32 s3, s15, s3
	s_add_i32 s15, s15, s3
	s_waitcnt lgkmcnt(0)
	s_cmp_eq_u64 s[12:13], 0
	s_mul_hi_u32 s19, s18, s15
	s_cbranch_scc1 .LBB105_2
; %bb.1:
	s_ashr_i32 s3, s2, 31
	s_lshl_b64 s[16:17], s[2:3], 2
	s_add_u32 s12, s12, s16
	s_addc_u32 s13, s13, s17
	s_load_dword s8, s[12:13], 0x0
.LBB105_2:
	s_load_dword s33, s[6:7], 0x0
	s_ashr_i32 s7, s14, 31
	s_load_dwordx4 s[12:15], s[0:1], 0x48
	s_ashr_i32 s6, s2, 31
	v_and_b32_e32 v4, 1, v0
	s_lshl_b32 s16, s2, 7
	v_cmp_gt_u32_e32 vcc, 32, v0
	v_lshlrev_b32_e32 v36, 3, v0
	s_and_saveexec_b64 s[2:3], vcc
	s_cbranch_execz .LBB105_4
; %bb.3:
	s_load_dwordx2 s[20:21], s[0:1], 0x8
	s_waitcnt lgkmcnt(0)
	s_mul_i32 s22, s10, s12
	s_ashr_i32 s23, s22, 31
	s_lshl_b64 s[22:23], s[22:23], 1
	v_lshlrev_b32_e32 v1, 2, v0
	s_add_u32 s12, s20, s22
	s_addc_u32 s15, s21, s23
	s_ashr_i32 s17, s16, 31
	s_lshl_b64 s[20:21], s[16:17], 1
	s_add_u32 s20, s12, s20
	s_addc_u32 s21, s15, s21
	global_load_dwordx2 v[2:3], v36, s[20:21]
	v_and_b32_e32 v1, 0xff8, v1
	v_lshl_add_u32 v1, v4, 7, v1
	s_waitcnt vmcnt(0)
	ds_write_b64 v1, v[2:3]
.LBB105_4:
	s_or_b64 exec, exec, s[2:3]
	s_waitcnt lgkmcnt(0)
	s_add_i32 s3, s33, 31
	s_ashr_i32 s12, s3, 31
	s_lshr_b32 s12, s12, 27
	s_add_i32 s3, s3, s12
	s_ashr_i32 s17, s3, 5
	s_xor_b32 s3, s6, s7
	s_mul_i32 s6, s19, s11
	s_sub_i32 s6, s18, s6
	s_add_i32 s7, s19, 1
	s_sub_i32 s12, s6, s11
	s_load_dwordx2 s[20:21], s[0:1], 0x28
	s_load_dword s2, s[0:1], 0x38
	s_cmp_ge_u32 s6, s11
	s_cselect_b32 s7, s7, s19
	s_cselect_b32 s6, s12, s6
	s_add_i32 s12, s7, 1
	s_cmp_ge_u32 s6, s11
	s_cselect_b32 s6, s12, s7
	v_lshrrev_b32_e32 v1, 6, v0
	s_xor_b32 s6, s6, s3
	s_waitcnt lgkmcnt(0)
	s_mul_i32 s22, s10, s2
	s_sub_i32 s12, s6, s3
	s_ashr_i32 s23, s22, 31
	v_cmp_gt_i32_e64 s[6:7], s17, v1
	v_cmp_le_i32_e32 vcc, s17, v1
	v_mbcnt_lo_u32_b32 v6, -1, 0
	s_barrier
	s_waitcnt lgkmcnt(0)
                                        ; implicit-def: $sgpr15
                                        ; implicit-def: $vgpr38
                                        ; implicit-def: $vgpr39
	s_and_saveexec_b64 s[2:3], vcc
	s_xor_b64 s[2:3], exec, s[2:3]
; %bb.5:
	v_mbcnt_hi_u32_b32 v38, -1, v6
	v_and_b32_e32 v2, 64, v38
	v_add_u32_e32 v39, 64, v2
	s_mov_b32 s15, 0xff7fffff
                                        ; implicit-def: $vgpr4
                                        ; implicit-def: $vgpr6
; %bb.6:
	s_or_saveexec_b64 s[26:27], s[2:3]
	s_load_dwordx2 s[18:19], s[0:1], 0x0
	s_load_dwordx2 s[24:25], s[0:1], 0x18
	s_load_dword s11, s[0:1], 0x88
	v_mov_b32_e32 v40, s15
	s_mul_i32 s14, s12, s14
	v_lshrrev_b32_e32 v37, 4, v0
	s_xor_b64 exec, exec, s[26:27]
	s_cbranch_execz .LBB105_12
; %bb.7:
	s_load_dwordx2 s[0:1], s[0:1], 0x10
	s_ashr_i32 s15, s14, 31
	s_lshl_b64 s[2:3], s[14:15], 1
	v_bfe_u32 v5, v0, 1, 5
	v_lshlrev_b32_e32 v8, 4, v5
	s_waitcnt lgkmcnt(0)
	s_add_u32 s0, s0, s2
	s_addc_u32 s1, s1, s3
	v_mov_b32_e32 v9, 0
	v_lshl_add_u64 v[2:3], s[0:1], 0, v[8:9]
	s_sub_i32 s15, 1, s33
	s_lshl_b64 s[0:1], s[22:23], 2
	v_and_b32_e32 v8, 8, v36
	v_lshlrev_b32_e32 v41, 7, v4
	v_cmp_eq_u32_e32 vcc, 0, v4
	v_lshlrev_b32_e32 v4, 2, v5
	s_add_u32 s0, s20, s0
	v_mbcnt_hi_u32_b32 v38, -1, v6
	v_lshl_add_u64 v[2:3], v[2:3], 0, v[8:9]
	v_lshl_or_b32 v4, v1, 7, v4
	v_and_b32_e32 v8, 60, v37
	s_addc_u32 s1, s21, s1
	v_and_b32_e32 v6, 64, v38
	s_mov_b32 s12, s13
	v_cmp_neq_f32_e64 s[2:3], s8, 0
	v_lshl_or_b32 v42, v1, 5, v5
	v_add_u32_e32 v43, 0x110, v4
	v_lshl_add_u64 v[4:5], s[0:1], 0, v[8:9]
	s_mov_b64 s[28:29], 0
	v_mov_b32_e32 v40, 0xff7fffff
	s_movk_i32 s34, 0x1000
	v_xor_b32_e32 v44, 1, v38
	v_add_u32_e32 v39, 64, v6
	v_mov_b32_e32 v45, v1
	s_branch .LBB105_9
.LBB105_8:                              ;   in Loop: Header=BB105_9 Depth=1
	s_or_b64 exec, exec, s[30:31]
	v_add_u32_e32 v45, 2, v45
	v_cmp_le_i32_e64 s[0:1], s17, v45
	v_add_u32_e32 v42, 64, v42
	v_add_u32_e32 v43, 0x100, v43
	s_or_b64 s[28:29], s[0:1], s[28:29]
	v_lshl_add_u64 v[4:5], v[4:5], 0, 8
	s_andn2_b64 exec, exec, s[28:29]
	s_cbranch_execz .LBB105_11
.LBB105_9:                              ; =>This Inner Loop Header: Depth=1
	global_load_dword v6, v[4:5], off
	s_waitcnt vmcnt(0) lgkmcnt(0)
	v_mad_i64_i32 v[6:7], s[0:1], v6, s12, 0
	v_lshl_add_u64 v[6:7], v[6:7], 1, v[2:3]
	global_load_dwordx2 v[34:35], v[6:7], off
	global_load_dwordx2 v[46:47], v[6:7], off offset:512
	global_load_dwordx2 v[32:33], v[6:7], off offset:1024
	;; [unrolled: 1-line block ×6, first 2 shown]
	ds_read_b64 v[8:9], v41
	v_add_co_u32_e64 v48, s[0:1], s34, v6
	global_load_dwordx2 v[24:25], v[6:7], off offset:3584
	s_nop 0
	v_addc_co_u32_e64 v49, s[0:1], 0, v7, s[0:1]
	s_waitcnt lgkmcnt(0)
	v_lshrrev_b32_e32 v50, 16, v8
	v_and_b32_e32 v51, 0xffff, v8
	v_lshrrev_b32_e32 v52, 16, v9
	v_and_b32_e32 v53, 0xffff, v9
	global_load_dwordx2 v[20:21], v[48:49], off
	global_load_dwordx2 v[18:19], v[48:49], off offset:512
	global_load_dwordx2 v[16:17], v[48:49], off offset:1024
	;; [unrolled: 1-line block ×7, first 2 shown]
	;;#ASMSTART
	v_cvt_f32_f16 v48, v51;
	;;#ASMEND
	;;#ASMSTART
	v_cvt_f32_f16 v49, v50;
	;;#ASMEND
	v_cmp_lt_i32_e64 s[0:1], v44, v39
	s_waitcnt vmcnt(15)
	v_lshrrev_b32_e32 v50, 16, v34
	v_and_b32_e32 v34, 0xffff, v34
	v_lshrrev_b32_e32 v51, 16, v35
	v_and_b32_e32 v35, 0xffff, v35
	;;#ASMSTART
	v_cvt_f32_f16 v56, v34;
	;;#ASMEND
	;;#ASMSTART
	v_cvt_f32_f16 v50, v50;
	;;#ASMEND
	;; [unrolled: 3-line block ×6, first 2 shown]
	ds_read_b64 v[34:35], v41 offset:8
	s_waitcnt vmcnt(13)
	v_lshrrev_b32_e32 v58, 16, v32
	v_and_b32_e32 v59, 0xffff, v32
	v_lshrrev_b32_e32 v54, 16, v46
	v_and_b32_e32 v46, 0xffff, v46
	s_waitcnt lgkmcnt(0)
	v_and_b32_e32 v32, 0xffff, v34
	;;#ASMSTART
	v_cvt_f32_f16 v32, v32;
	;;#ASMEND
	v_lshrrev_b32_e32 v34, 16, v34
	;;#ASMSTART
	v_cvt_f32_f16 v34, v34;
	;;#ASMEND
	;;#ASMSTART
	v_cvt_f32_f16 v46, v46;
	;;#ASMEND
	s_waitcnt vmcnt(10)
	v_lshrrev_b32_e32 v61, 16, v26
	v_mul_f32_e32 v32, v32, v46
	v_fmac_f32_e32 v32, v48, v56
	v_lshrrev_b32_e32 v46, 16, v30
	v_and_b32_e32 v48, 0xffff, v30
	;;#ASMSTART
	v_cvt_f32_f16 v30, v54;
	;;#ASMEND
	v_and_b32_e32 v62, 0xffff, v26
	v_lshrrev_b32_e32 v63, 16, v27
	v_and_b32_e32 v64, 0xffff, v27
	v_lshrrev_b32_e32 v26, 16, v35
	;; [unrolled: 2-line block ×3, first 2 shown]
	v_and_b32_e32 v47, 0xffff, v47
	v_mul_f32_e32 v30, v34, v30
	;;#ASMSTART
	v_cvt_f32_f16 v27, v27;
	;;#ASMEND
	;;#ASMSTART
	v_cvt_f32_f16 v35, v26;
	;;#ASMEND
	;; [unrolled: 3-line block ×3, first 2 shown]
	v_lshrrev_b32_e32 v34, 16, v28
	v_fmac_f32_e32 v30, v49, v50
	v_and_b32_e32 v49, 0xffff, v28
	v_lshrrev_b32_e32 v50, 16, v29
	v_and_b32_e32 v54, 0xffff, v29
	v_mul_f32_e32 v26, v27, v26
	;;#ASMSTART
	v_cvt_f32_f16 v27, v55;
	;;#ASMEND
	ds_read_b64 v[28:29], v41 offset:16
	v_mul_f32_e32 v27, v35, v27
	s_waitcnt vmcnt(9)
	v_lshrrev_b32_e32 v35, 16, v22
	v_fmac_f32_e32 v27, v52, v51
	v_and_b32_e32 v52, 0xffff, v23
	s_waitcnt lgkmcnt(0)
	v_lshrrev_b32_e32 v47, 16, v28
	v_and_b32_e32 v28, 0xffff, v28
	;;#ASMSTART
	v_cvt_f32_f16 v28, v28;
	;;#ASMEND
	;;#ASMSTART
	v_cvt_f32_f16 v47, v47;
	;;#ASMEND
	;; [unrolled: 3-line block ×3, first 2 shown]
	v_lshrrev_b32_e32 v60, 16, v33
	v_fmac_f32_e32 v32, v28, v51
	v_and_b32_e32 v28, 0xffff, v22
	;;#ASMSTART
	v_cvt_f32_f16 v22, v58;
	;;#ASMEND
	v_lshrrev_b32_e32 v51, 16, v23
	v_fmac_f32_e32 v30, v47, v22
	v_lshrrev_b32_e32 v22, 16, v29
	v_and_b32_e32 v23, 0xffff, v29
	v_and_b32_e32 v33, 0xffff, v33
	v_fmac_f32_e32 v26, v53, v57
	;;#ASMSTART
	v_cvt_f32_f16 v23, v23;
	;;#ASMEND
	;;#ASMSTART
	v_cvt_f32_f16 v29, v22;
	;;#ASMEND
	;; [unrolled: 3-line block ×4, first 2 shown]
	v_lshrrev_b32_e32 v56, 16, v31
	v_fmac_f32_e32 v26, v23, v22
	ds_read_b64 v[22:23], v41 offset:24
	v_fmac_f32_e32 v27, v29, v33
	v_and_b32_e32 v31, 0xffff, v31
	s_waitcnt vmcnt(7)
	v_lshrrev_b32_e32 v55, 16, v20
	v_lshrrev_b32_e32 v53, 16, v24
	s_waitcnt lgkmcnt(0)
	v_lshrrev_b32_e32 v29, 16, v22
	v_and_b32_e32 v22, 0xffff, v22
	;;#ASMSTART
	v_cvt_f32_f16 v22, v22;
	;;#ASMEND
	;;#ASMSTART
	v_cvt_f32_f16 v29, v29;
	;;#ASMEND
	;; [unrolled: 3-line block ×3, first 2 shown]
	v_and_b32_e32 v24, 0xffff, v24
	v_fmac_f32_e32 v32, v22, v33
	v_and_b32_e32 v33, 0xffff, v20
	v_lshrrev_b32_e32 v20, 16, v23
	v_and_b32_e32 v22, 0xffff, v23
	;;#ASMSTART
	v_cvt_f32_f16 v23, v46;
	;;#ASMEND
	;;#ASMSTART
	v_cvt_f32_f16 v46, v22;
	;;#ASMEND
	;; [unrolled: 3-line block ×5, first 2 shown]
	v_and_b32_e32 v56, 0xffff, v21
	v_fmac_f32_e32 v30, v29, v23
	ds_read_b64 v[22:23], v41 offset:32
	v_lshrrev_b32_e32 v29, 16, v21
	v_fmac_f32_e32 v27, v20, v48
	v_fmac_f32_e32 v26, v46, v31
	v_lshrrev_b32_e32 v47, 16, v25
	s_waitcnt lgkmcnt(0)
	v_lshrrev_b32_e32 v20, 16, v22
	v_and_b32_e32 v21, 0xffff, v22
	v_lshrrev_b32_e32 v22, 16, v23
	v_and_b32_e32 v23, 0xffff, v23
	;;#ASMSTART
	v_cvt_f32_f16 v31, v21;
	;;#ASMEND
	;;#ASMSTART
	v_cvt_f32_f16 v46, v20;
	;;#ASMEND
	;; [unrolled: 3-line block ×8, first 2 shown]
	ds_read_b64 v[20:21], v41 offset:40
	v_fmac_f32_e32 v26, v23, v49
	v_fmac_f32_e32 v27, v22, v50
	;; [unrolled: 1-line block ×4, first 2 shown]
	s_waitcnt lgkmcnt(0)
	v_lshrrev_b32_e32 v22, 16, v20
	v_and_b32_e32 v20, 0xffff, v20
	v_lshrrev_b32_e32 v23, 16, v21
	v_and_b32_e32 v21, 0xffff, v21
	;;#ASMSTART
	v_cvt_f32_f16 v31, v20;
	;;#ASMEND
	;;#ASMSTART
	v_cvt_f32_f16 v22, v22;
	;;#ASMEND
	;; [unrolled: 3-line block ×8, first 2 shown]
	ds_read_b64 v[20:21], v41 offset:48
	v_fmac_f32_e32 v30, v22, v46
	v_fmac_f32_e32 v27, v23, v50
	;; [unrolled: 1-line block ×4, first 2 shown]
	s_waitcnt lgkmcnt(0)
	v_lshrrev_b32_e32 v22, 16, v20
	v_and_b32_e32 v20, 0xffff, v20
	v_lshrrev_b32_e32 v23, 16, v21
	v_and_b32_e32 v21, 0xffff, v21
	;;#ASMSTART
	v_cvt_f32_f16 v31, v20;
	;;#ASMEND
	;;#ASMSTART
	v_cvt_f32_f16 v22, v22;
	;;#ASMEND
	;; [unrolled: 3-line block ×8, first 2 shown]
	ds_read_b64 v[20:21], v41 offset:56
	v_and_b32_e32 v25, 0xffff, v25
	v_fmac_f32_e32 v30, v22, v34
	v_fmac_f32_e32 v27, v23, v48
	;; [unrolled: 1-line block ×3, first 2 shown]
	s_waitcnt lgkmcnt(0)
	v_lshrrev_b32_e32 v22, 16, v20
	v_and_b32_e32 v20, 0xffff, v20
	v_lshrrev_b32_e32 v23, 16, v21
	v_and_b32_e32 v21, 0xffff, v21
	v_fmac_f32_e32 v26, v35, v46
	;;#ASMSTART
	v_cvt_f32_f16 v28, v20;
	;;#ASMEND
	;;#ASMSTART
	v_cvt_f32_f16 v22, v22;
	;;#ASMEND
	;;#ASMSTART
	v_cvt_f32_f16 v24, v24;
	;;#ASMEND
	;;#ASMSTART
	v_cvt_f32_f16 v31, v53;
	;;#ASMEND
	;;#ASMSTART
	v_cvt_f32_f16 v34, v21;
	;;#ASMEND
	;;#ASMSTART
	v_cvt_f32_f16 v23, v23;
	;;#ASMEND
	;;#ASMSTART
	v_cvt_f32_f16 v25, v25;
	;;#ASMEND
	;;#ASMSTART
	v_cvt_f32_f16 v35, v47;
	;;#ASMEND
	ds_read_b64 v[20:21], v41 offset:64
	v_fmac_f32_e32 v30, v22, v31
	v_fmac_f32_e32 v27, v23, v35
	;; [unrolled: 1-line block ×4, first 2 shown]
	s_waitcnt lgkmcnt(0)
	v_lshrrev_b32_e32 v22, 16, v20
	v_and_b32_e32 v20, 0xffff, v20
	v_lshrrev_b32_e32 v23, 16, v21
	v_and_b32_e32 v21, 0xffff, v21
	;;#ASMSTART
	v_cvt_f32_f16 v24, v20;
	;;#ASMEND
	;;#ASMSTART
	v_cvt_f32_f16 v22, v22;
	;;#ASMEND
	;; [unrolled: 3-line block ×8, first 2 shown]
	ds_read_b64 v[20:21], v41 offset:72
	v_fmac_f32_e32 v30, v22, v28
	v_fmac_f32_e32 v27, v23, v29
	s_waitcnt vmcnt(6)
	v_lshrrev_b32_e32 v23, 16, v18
	v_and_b32_e32 v18, 0xffff, v18
	s_waitcnt lgkmcnt(0)
	v_lshrrev_b32_e32 v22, 16, v20
	v_and_b32_e32 v20, 0xffff, v20
	v_fmac_f32_e32 v32, v24, v25
	;;#ASMSTART
	v_cvt_f32_f16 v20, v20;
	;;#ASMEND
	;;#ASMSTART
	v_cvt_f32_f16 v22, v22;
	;;#ASMEND
	;;#ASMSTART
	v_cvt_f32_f16 v24, v18;
	;;#ASMEND
	v_lshrrev_b32_e32 v18, 16, v21
	v_and_b32_e32 v21, 0xffff, v21
	;;#ASMSTART
	v_cvt_f32_f16 v23, v23;
	;;#ASMEND
	;;#ASMSTART
	v_cvt_f32_f16 v21, v21;
	;;#ASMEND
	;; [unrolled: 3-line block ×3, first 2 shown]
	v_lshrrev_b32_e32 v18, 16, v19
	v_and_b32_e32 v19, 0xffff, v19
	;;#ASMSTART
	v_cvt_f32_f16 v28, v19;
	;;#ASMEND
	;;#ASMSTART
	v_cvt_f32_f16 v29, v18;
	;;#ASMEND
	ds_read_b64 v[18:19], v41 offset:80
	v_fmac_f32_e32 v26, v31, v33
	v_fmac_f32_e32 v32, v20, v24
	;; [unrolled: 1-line block ×3, first 2 shown]
	s_waitcnt vmcnt(5)
	v_lshrrev_b32_e32 v21, 16, v16
	s_waitcnt lgkmcnt(0)
	v_lshrrev_b32_e32 v20, 16, v18
	v_and_b32_e32 v18, 0xffff, v18
	v_and_b32_e32 v16, 0xffff, v16
	v_fmac_f32_e32 v30, v22, v23
	;;#ASMSTART
	v_cvt_f32_f16 v18, v18;
	;;#ASMEND
	;;#ASMSTART
	v_cvt_f32_f16 v20, v20;
	;;#ASMEND
	;;#ASMSTART
	v_cvt_f32_f16 v22, v16;
	;;#ASMEND
	v_lshrrev_b32_e32 v16, 16, v19
	v_and_b32_e32 v19, 0xffff, v19
	;;#ASMSTART
	v_cvt_f32_f16 v21, v21;
	;;#ASMEND
	;;#ASMSTART
	v_cvt_f32_f16 v19, v19;
	;;#ASMEND
	;;#ASMSTART
	v_cvt_f32_f16 v23, v16;
	;;#ASMEND
	v_lshrrev_b32_e32 v16, 16, v17
	v_and_b32_e32 v17, 0xffff, v17
	v_fmac_f32_e32 v27, v25, v29
	;;#ASMSTART
	v_cvt_f32_f16 v24, v17;
	;;#ASMEND
	;;#ASMSTART
	v_cvt_f32_f16 v25, v16;
	;;#ASMEND
	ds_read_b64 v[16:17], v41 offset:88
	v_fmac_f32_e32 v32, v18, v22
	v_fmac_f32_e32 v26, v19, v24
	s_waitcnt vmcnt(4)
	v_lshrrev_b32_e32 v19, 16, v14
	v_and_b32_e32 v14, 0xffff, v14
	s_waitcnt lgkmcnt(0)
	v_lshrrev_b32_e32 v18, 16, v16
	v_and_b32_e32 v16, 0xffff, v16
	v_fmac_f32_e32 v30, v20, v21
	;;#ASMSTART
	v_cvt_f32_f16 v16, v16;
	;;#ASMEND
	;;#ASMSTART
	v_cvt_f32_f16 v18, v18;
	;;#ASMEND
	;;#ASMSTART
	v_cvt_f32_f16 v20, v14;
	;;#ASMEND
	v_lshrrev_b32_e32 v14, 16, v17
	v_and_b32_e32 v17, 0xffff, v17
	;;#ASMSTART
	v_cvt_f32_f16 v19, v19;
	;;#ASMEND
	;;#ASMSTART
	v_cvt_f32_f16 v17, v17;
	;;#ASMEND
	;;#ASMSTART
	v_cvt_f32_f16 v21, v14;
	;;#ASMEND
	v_lshrrev_b32_e32 v14, 16, v15
	v_and_b32_e32 v15, 0xffff, v15
	v_fmac_f32_e32 v27, v23, v25
	;;#ASMSTART
	v_cvt_f32_f16 v22, v15;
	;;#ASMEND
	;;#ASMSTART
	v_cvt_f32_f16 v23, v14;
	;;#ASMEND
	ds_read_b64 v[14:15], v41 offset:96
	v_fmac_f32_e32 v32, v16, v20
	v_fmac_f32_e32 v26, v17, v22
	s_waitcnt vmcnt(3)
	v_lshrrev_b32_e32 v17, 16, v12
	v_and_b32_e32 v12, 0xffff, v12
	s_waitcnt lgkmcnt(0)
	v_lshrrev_b32_e32 v16, 16, v14
	;; [unrolled: 39-line block ×5, first 2 shown]
	v_and_b32_e32 v8, 0xffff, v8
	;;#ASMSTART
	v_cvt_f32_f16 v8, v8;
	;;#ASMEND
	;;#ASMSTART
	v_cvt_f32_f16 v10, v10;
	;;#ASMEND
	;; [unrolled: 3-line block ×3, first 2 shown]
	v_fmac_f32_e32 v30, v12, v13
	v_fmac_f32_e32 v32, v8, v6
	v_lshrrev_b32_e32 v6, 16, v9
	v_and_b32_e32 v8, 0xffff, v9
	v_fmac_f32_e32 v27, v15, v17
	;;#ASMSTART
	v_cvt_f32_f16 v11, v11;
	;;#ASMEND
	;;#ASMSTART
	v_cvt_f32_f16 v8, v8;
	;;#ASMEND
	;; [unrolled: 3-line block ×3, first 2 shown]
	v_lshrrev_b32_e32 v9, 16, v7
	v_fmac_f32_e32 v30, v10, v11
	v_and_b32_e32 v7, 0xffff, v7
	;;#ASMSTART
	v_cvt_f32_f16 v7, v7;
	;;#ASMEND
	;;#ASMSTART
	v_cvt_f32_f16 v9, v9;
	;;#ASMEND
	s_nop 0
	v_fmac_f32_e32 v26, v8, v7
	v_fmac_f32_e32 v27, v6, v9
	v_add_f32_e32 v6, v32, v30
	v_add_f32_e32 v6, v6, v26
	v_cndmask_b32_e64 v7, v38, v44, s[0:1]
	v_add_f32_e32 v6, v27, v6
	v_lshlrev_b32_e32 v7, 2, v7
	ds_bpermute_b32 v7, v7, v6
	s_and_saveexec_b64 s[30:31], vcc
	s_cbranch_execz .LBB105_8
; %bb.10:                               ;   in Loop: Header=BB105_9 Depth=1
	v_add_u32_e32 v8, s15, v42
	v_cvt_f32_i32_e32 v8, v8
	s_waitcnt lgkmcnt(0)
	v_add_f32_e32 v6, v6, v7
	v_cmp_gt_i32_e64 s[0:1], s33, v42
	v_max_f32_e32 v7, v40, v40
	v_mul_f32_e32 v8, s8, v8
	v_cndmask_b32_e64 v8, 0, v8, s[2:3]
	v_fmac_f32_e32 v8, s9, v6
	v_cndmask_b32_e64 v6, 0, v8, s[0:1]
	ds_write_b32 v43, v6
	v_max_f32_e32 v6, v7, v8
	v_cndmask_b32_e64 v40, v40, v6, s[0:1]
	s_branch .LBB105_8
.LBB105_11:
	s_or_b64 exec, exec, s[28:29]
.LBB105_12:
	s_or_b64 exec, exec, s[26:27]
	v_xor_b32_e32 v2, 32, v38
	v_cmp_lt_i32_e32 vcc, v2, v39
	v_xor_b32_e32 v5, 16, v38
	v_max_f32_e32 v4, v40, v40
	v_cndmask_b32_e32 v2, v38, v2, vcc
	v_lshlrev_b32_e32 v2, 2, v2
	ds_bpermute_b32 v3, v2, v40
	v_cmp_lt_i32_e32 vcc, v5, v39
	v_xor_b32_e32 v6, 8, v38
	s_waitcnt lgkmcnt(0)
	v_xor_b32_e32 v7, 4, v38
	v_xor_b32_e32 v8, 2, v38
	v_max_f32_e32 v3, v3, v3
	v_max_f32_e32 v4, v4, v3
	v_cndmask_b32_e32 v3, v38, v5, vcc
	v_lshlrev_b32_e32 v3, 2, v3
	ds_bpermute_b32 v5, v3, v4
	v_cmp_lt_i32_e32 vcc, v6, v39
	v_and_b32_e32 v30, 63, v0
	s_waitcnt lgkmcnt(0)
	v_max_f32_e32 v5, v5, v5
	v_max_f32_e32 v5, v4, v5
	v_cndmask_b32_e32 v4, v38, v6, vcc
	v_lshlrev_b32_e32 v4, 2, v4
	ds_bpermute_b32 v6, v4, v5
	v_cmp_lt_i32_e32 vcc, v7, v39
	s_waitcnt lgkmcnt(0)
	v_max_f32_e32 v6, v6, v6
	v_max_f32_e32 v6, v5, v6
	v_cndmask_b32_e32 v5, v38, v7, vcc
	v_lshlrev_b32_e32 v5, 2, v5
	ds_bpermute_b32 v7, v5, v6
	v_cmp_lt_i32_e32 vcc, v8, v39
	s_waitcnt lgkmcnt(0)
	v_max_f32_e32 v7, v7, v7
	v_max_f32_e32 v7, v6, v7
	v_cndmask_b32_e32 v6, v38, v8, vcc
	v_lshlrev_b32_e32 v31, 2, v6
	ds_bpermute_b32 v8, v31, v7
	v_cmp_eq_u32_e32 vcc, 0, v30
	v_lshlrev_b32_e32 v6, 2, v1
	s_and_saveexec_b64 s[0:1], vcc
	s_cbranch_execz .LBB105_14
; %bb.13:
	s_waitcnt lgkmcnt(0)
	v_max_f32_e32 v8, v8, v8
	v_max_f32_e32 v7, v7, v7
	;; [unrolled: 1-line block ×3, first 2 shown]
	ds_write_b32 v6, v7 offset:256
.LBB105_14:
	s_or_b64 exec, exec, s[0:1]
	v_cmp_gt_u32_e64 s[0:1], 2, v30
	s_waitcnt lgkmcnt(0)
	v_mov_b32_e32 v8, 0xff7fffff
	v_lshlrev_b32_e32 v7, 2, v30
	s_barrier
	s_and_saveexec_b64 s[2:3], s[0:1]
	s_cbranch_execz .LBB105_16
; %bb.15:
	ds_read_b32 v8, v7 offset:256
.LBB105_16:
	s_or_b64 exec, exec, s[2:3]
	v_xor_b32_e32 v9, 1, v38
	v_cmp_lt_i32_e64 s[2:3], v9, v39
	v_lshlrev_b32_e32 v10, 2, v38
	s_nop 0
	v_cndmask_b32_e64 v9, v38, v9, s[2:3]
	v_lshlrev_b32_e32 v32, 2, v9
	s_waitcnt lgkmcnt(0)
	ds_bpermute_b32 v9, v32, v8
	v_max_f32_e32 v8, v8, v8
	s_lshl_b32 s2, s17, 5
	s_min_i32 s12, s2, s33
	v_cmp_gt_i32_e64 s[2:3], s12, v0
	s_waitcnt lgkmcnt(0)
	v_max_f32_e32 v9, v9, v9
	v_max_f32_e32 v9, v8, v9
	v_and_b32_e32 v8, 0xffffff00, v10
	ds_bpermute_b32 v10, v8, v9
	v_mov_b32_e32 v9, 0
	s_and_saveexec_b64 s[26:27], s[2:3]
	s_cbranch_execz .LBB105_20
; %bb.17:
	v_mov_b32_e32 v9, 0x110
	v_lshl_add_u32 v11, v0, 2, v9
	s_mov_b64 s[28:29], 0
	v_mov_b32_e32 v9, 0
	v_mov_b32_e32 v12, v0
.LBB105_18:                             ; =>This Inner Loop Header: Depth=1
	ds_read_b32 v13, v11
	v_add_u32_e32 v12, 0x80, v12
	v_cmp_le_i32_e64 s[8:9], s12, v12
	s_or_b64 s[28:29], s[8:9], s[28:29]
	s_waitcnt lgkmcnt(0)
	v_sub_f32_e32 v13, v13, v10
	v_mul_f32_e32 v13, 0x3fb8aa3b, v13
	v_exp_f32_e32 v13, v13
	ds_write_b32 v11, v13
	v_add_f32_e32 v9, v9, v13
	v_add_u32_e32 v11, 0x200, v11
	s_andn2_b64 exec, exec, s[28:29]
	s_cbranch_execnz .LBB105_18
; %bb.19:
	s_or_b64 exec, exec, s[28:29]
.LBB105_20:
	s_or_b64 exec, exec, s[26:27]
	ds_bpermute_b32 v2, v2, v9
	s_waitcnt lgkmcnt(0)
	v_add_f32_e32 v2, v9, v2
	ds_bpermute_b32 v3, v3, v2
	s_waitcnt lgkmcnt(0)
	v_add_f32_e32 v2, v2, v3
	;; [unrolled: 3-line block ×6, first 2 shown]
	s_and_saveexec_b64 s[8:9], vcc
	s_cbranch_execz .LBB105_22
; %bb.21:
	ds_write_b32 v6, v2 offset:264
.LBB105_22:
	s_or_b64 exec, exec, s[8:9]
	s_waitcnt lgkmcnt(0)
	s_barrier
	s_and_saveexec_b64 s[8:9], s[0:1]
	s_cbranch_execz .LBB105_24
; %bb.23:
	ds_read_b32 v2, v7 offset:264
.LBB105_24:
	s_or_b64 exec, exec, s[8:9]
	s_waitcnt lgkmcnt(0)
	ds_bpermute_b32 v3, v32, v2
	s_waitcnt lgkmcnt(0)
	v_add_f32_e32 v2, v2, v3
	ds_bpermute_b32 v2, v8, v2
	s_and_saveexec_b64 s[0:1], s[2:3]
	s_cbranch_execz .LBB105_37
; %bb.25:
	s_waitcnt lgkmcnt(0)
	v_add_f32_e32 v2, 0x358637bd, v2
	v_div_scale_f32 v3, s[2:3], v2, v2, 1.0
	v_rcp_f32_e32 v4, v3
	v_div_scale_f32 v5, vcc, 1.0, v2, 1.0
	s_movk_i32 s2, 0x7f
	v_fma_f32 v6, -v3, v4, 1.0
	v_fmac_f32_e32 v4, v6, v4
	v_mul_f32_e32 v6, v5, v4
	v_fma_f32 v7, -v3, v6, v5
	v_fmac_f32_e32 v6, v7, v4
	v_fma_f32 v3, -v3, v6, v5
	v_div_fmas_f32 v3, v3, v4, v6
	v_xad_u32 v4, v0, -1, s12
	v_div_fixup_f32 v2, v3, v2, 1.0
	v_cmp_lt_u32_e32 vcc, s2, v4
	s_mov_b64 s[8:9], -1
	v_mov_b32_e32 v3, v0
	s_and_saveexec_b64 s[2:3], vcc
	s_cbranch_execz .LBB105_34
; %bb.26:
	v_lshrrev_b32_e32 v4, 7, v4
	v_add_u32_e32 v6, -1, v4
	v_lshrrev_b32_e32 v5, 1, v6
	v_mov_b32_e32 v3, v2
	v_add_u32_e32 v5, 1, v5
	v_cmp_lt_u32_e32 vcc, 13, v6
	v_mov_b32_e32 v8, 0
	s_and_saveexec_b64 s[8:9], vcc
	s_cbranch_execz .LBB105_30
; %bb.27:
	v_mov_b32_e32 v7, 0x110
	v_and_b32_e32 v6, -8, v5
	v_lshl_add_u32 v7, v0, 2, v7
	s_mov_b32 s15, 0
	s_mov_b64 s[26:27], 0
.LBB105_28:                             ; =>This Inner Loop Header: Depth=1
	ds_read2st64_b32 v[8:9], v7 offset1:2
	ds_read2st64_b32 v[10:11], v7 offset0:4 offset1:6
	ds_read2st64_b32 v[12:13], v7 offset0:8 offset1:10
	;; [unrolled: 1-line block ×3, first 2 shown]
	v_add_u32_e32 v6, -8, v6
	s_waitcnt lgkmcnt(3)
	v_pk_mul_f32 v[8:9], v[2:3], v[8:9]
	s_waitcnt lgkmcnt(2)
	v_pk_mul_f32 v[10:11], v[2:3], v[10:11]
	ds_write2st64_b32 v7, v8, v9 offset1:2
	ds_write2st64_b32 v7, v10, v11 offset0:4 offset1:6
	ds_read2st64_b32 v[10:11], v7 offset0:16 offset1:18
	s_waitcnt lgkmcnt(4)
	v_pk_mul_f32 v[8:9], v[2:3], v[12:13]
	ds_write2st64_b32 v7, v8, v9 offset0:8 offset1:10
	s_waitcnt lgkmcnt(4)
	v_pk_mul_f32 v[8:9], v[2:3], v[14:15]
	ds_write2st64_b32 v7, v8, v9 offset0:12 offset1:14
	ds_read2st64_b32 v[8:9], v7 offset0:20 offset1:22
	s_waitcnt lgkmcnt(3)
	v_pk_mul_f32 v[10:11], v[2:3], v[10:11]
	ds_read2st64_b32 v[12:13], v7 offset0:24 offset1:26
	ds_write2st64_b32 v7, v10, v11 offset0:16 offset1:18
	ds_read2st64_b32 v[10:11], v7 offset0:28 offset1:30
	s_waitcnt lgkmcnt(3)
	v_pk_mul_f32 v[8:9], v[2:3], v[8:9]
	ds_write2st64_b32 v7, v8, v9 offset0:20 offset1:22
	s_waitcnt lgkmcnt(3)
	v_pk_mul_f32 v[8:9], v[2:3], v[12:13]
	ds_write2st64_b32 v7, v8, v9 offset0:24 offset1:26
	s_waitcnt lgkmcnt(2)
	v_pk_mul_f32 v[8:9], v[2:3], v[10:11]
	s_add_i32 s15, s15, 16
	v_cmp_eq_u32_e32 vcc, 0, v6
	ds_write2st64_b32 v7, v8, v9 offset0:28 offset1:30
	v_add_u32_e32 v7, 0x2000, v7
	s_or_b64 s[26:27], vcc, s[26:27]
	v_mov_b32_e32 v8, s15
	s_andn2_b64 exec, exec, s[26:27]
	s_cbranch_execnz .LBB105_28
; %bb.29:
	s_or_b64 exec, exec, s[26:27]
.LBB105_30:
	s_or_b64 exec, exec, s[8:9]
	v_and_b32_e32 v5, 7, v5
	v_cmp_ne_u32_e32 vcc, 0, v5
	s_and_saveexec_b64 s[8:9], vcc
	s_cbranch_execz .LBB105_33
; %bb.31:
	v_lshlrev_b32_e32 v6, 9, v8
	v_lshlrev_b32_e32 v7, 2, v0
	s_movk_i32 s15, 0x110
	v_add3_u32 v6, v6, v7, s15
	s_mov_b64 s[26:27], 0
.LBB105_32:                             ; =>This Inner Loop Header: Depth=1
	ds_read2st64_b32 v[8:9], v6 offset1:2
	v_add_u32_e32 v5, -1, v5
	v_cmp_eq_u32_e32 vcc, 0, v5
	s_or_b64 s[26:27], vcc, s[26:27]
	s_waitcnt lgkmcnt(0)
	v_pk_mul_f32 v[8:9], v[2:3], v[8:9]
	ds_write2st64_b32 v6, v8, v9 offset1:2
	v_add_u32_e32 v6, 0x400, v6
	s_andn2_b64 exec, exec, s[26:27]
	s_cbranch_execnz .LBB105_32
.LBB105_33:
	s_or_b64 exec, exec, s[8:9]
	v_add_u32_e32 v4, 1, v4
	v_and_b32_e32 v5, 0x3fffffe, v4
	v_cmp_ne_u32_e32 vcc, v4, v5
	v_lshl_add_u32 v3, v5, 7, v0
	s_orn2_b64 s[8:9], vcc, exec
.LBB105_34:
	s_or_b64 exec, exec, s[2:3]
	s_and_b64 exec, exec, s[8:9]
	s_cbranch_execz .LBB105_37
; %bb.35:
	v_mov_b32_e32 v4, 0x110
	v_lshl_add_u32 v4, v3, 2, v4
	s_mov_b64 s[2:3], 0
.LBB105_36:                             ; =>This Inner Loop Header: Depth=1
	ds_read_b32 v5, v4
	v_add_u32_e32 v3, 0x80, v3
	v_cmp_le_i32_e32 vcc, s12, v3
	s_or_b64 s[2:3], vcc, s[2:3]
	s_waitcnt lgkmcnt(0)
	v_mul_f32_e32 v5, v2, v5
	ds_write_b32 v4, v5
	v_add_u32_e32 v4, 0x200, v4
	s_andn2_b64 exec, exec, s[2:3]
	s_cbranch_execnz .LBB105_36
.LBB105_37:
	s_or_b64 exec, exec, s[0:1]
	v_mov_b32_e32 v7, 0
	v_and_b32_e32 v33, 3, v0
	v_mov_b32_e32 v6, 0
	v_mov_b32_e32 v9, 0
	;; [unrolled: 1-line block ×7, first 2 shown]
	s_waitcnt lgkmcnt(0)
	s_barrier
	s_and_saveexec_b64 s[2:3], s[6:7]
	s_cbranch_execz .LBB105_57
; %bb.38:
	s_ashr_i32 s15, s14, 31
	s_lshl_b64 s[0:1], s[14:15], 1
	s_add_u32 s6, s24, s0
	v_and_b32_e32 v3, 24, v36
	s_addc_u32 s7, s25, s1
	s_add_i32 s14, s17, -1
	s_lshl_b64 s[0:1], s[22:23], 2
	v_and_b32_e32 v2, 0x1f8, v36
	v_lshl_or_b32 v34, v1, 5, v3
	v_lshlrev_b32_e32 v3, 5, v33
	s_add_u32 s0, s20, s0
	v_mov_b32_e32 v13, 0
	v_or_b32_e32 v4, 0x800, v2
	v_or_b32_e32 v6, 0xa00, v2
	;; [unrolled: 1-line block ×4, first 2 shown]
	v_lshl_or_b32 v3, v1, 7, v3
	v_and_b32_e32 v12, 60, v37
	s_addc_u32 s1, s21, s1
	s_mov_b32 s26, s13
	s_mov_b32 s15, s33
	;; [unrolled: 1-line block ×8, first 2 shown]
	v_add_u32_e32 v35, 0x110, v3
	v_lshl_add_u64 v[16:17], s[0:1], 0, v[12:13]
	s_mov_b64 s[8:9], 0
	v_lshlrev_b32_e32 v18, 1, v2
	v_mov_b32_e32 v19, v13
	s_mov_b32 s20, 0x5040100
	v_lshlrev_b32_e32 v12, 1, v4
	v_lshlrev_b32_e32 v20, 1, v6
	;; [unrolled: 1-line block ×4, first 2 shown]
	v_mov_b32_e32 v14, v13
	v_mov_b32_e32 v15, v13
	;; [unrolled: 1-line block ×8, first 2 shown]
	s_branch .LBB105_40
.LBB105_39:                             ;   in Loop: Header=BB105_40 Depth=1
	s_or_b64 exec, exec, s[0:1]
	s_waitcnt vmcnt(0)
	;;#ASMSTART
	v_pk_mul_f16 v2, v44, v2;

	;;#ASMEND
	;;#ASMSTART
	v_pk_mul_f16 v3, v43, v3;

	;;#ASMEND
	;; [unrolled: 4-line block ×4, first 2 shown]
	v_add_f32_e32 v25, v47, v48
	;;#ASMSTART
	v_pk_add_f16 v2, v2, v3;

	;;#ASMEND
	v_add_f32_e32 v14, v14, v25
	;;#ASMSTART
	v_pk_add_f16 v2, v2, v4;

	;;#ASMEND
	;; [unrolled: 5-line block ×3, first 2 shown]
	v_add_f32_e32 v15, v15, v25
	v_add_f32_e32 v25, v51, v52
	v_lshrrev_b32_e32 v3, 16, v2
	v_and_b32_e32 v2, 0xffff, v2
	v_add_f32_e32 v10, v10, v25
	v_add_f32_e32 v25, v28, v29
	;; [unrolled: 1-line block ×3, first 2 shown]
	;;#ASMSTART
	v_cvt_f32_f16 v2, v2;
	;;#ASMEND
	v_add_u32_e32 v1, 2, v1
	v_add_f32_e32 v11, v11, v25
	v_add_f32_e32 v25, v53, v54
	;; [unrolled: 1-line block ×4, first 2 shown]
	;;#ASMSTART
	v_cvt_f32_f16 v3, v3;
	;;#ASMEND
	v_cmp_le_i32_e32 vcc, s17, v1
	v_add_f32_e32 v2, v2, v3
	v_add_f32_e32 v8, v8, v25
	;; [unrolled: 1-line block ×4, first 2 shown]
	v_add_u32_e32 v34, 64, v34
	v_add_u32_e32 v35, 0x100, v35
	s_or_b64 s[8:9], vcc, s[8:9]
	v_lshl_add_u64 v[16:17], v[16:17], 0, 8
	s_andn2_b64 exec, exec, s[8:9]
	s_cbranch_execz .LBB105_56
.LBB105_40:                             ; =>This Inner Loop Header: Depth=1
	global_load_dword v36, v[16:17], off
	ds_read2_b64 v[2:5], v35 offset1:1
	ds_read2_b64 v[26:29], v35 offset0:2 offset1:3
	v_cmp_eq_u32_e32 vcc, s14, v1
	v_or_b32_e32 v38, 3, v34
	s_waitcnt lgkmcnt(1)
	;;#ASMSTART
	v_cvt_f16_f32 v21, v2;

	;;#ASMEND
	;;#ASMSTART
	v_cvt_f16_f32 v23, v3;

	;;#ASMEND
	;; [unrolled: 4-line block ×4, first 2 shown]
	s_waitcnt lgkmcnt(0)
	;;#ASMSTART
	v_cvt_f16_f32 v42, v26;

	;;#ASMEND
	;;#ASMSTART
	v_cvt_f16_f32 v47, v27;

	;;#ASMEND
	;; [unrolled: 4-line block ×4, first 2 shown]
	v_or_b32_e32 v37, 2, v34
	v_or_b32_e32 v40, 5, v34
	;; [unrolled: 1-line block ×5, first 2 shown]
	s_waitcnt vmcnt(0)
	v_mad_i64_i32 v[2:3], s[0:1], v36, s26, 0
	v_lshl_add_u64 v[26:27], v[2:3], 1, s[6:7]
	v_lshl_add_u64 v[28:29], v[26:27], 0, v[18:19]
	global_load_dwordx4 v[2:5], v[28:29], off
	v_add_u32_e32 v36, 1, v34
	s_and_saveexec_b64 s[12:13], vcc
	s_cbranch_execz .LBB105_42
; %bb.41:                               ;   in Loop: Header=BB105_40 Depth=1
	s_waitcnt vmcnt(0)
	v_lshrrev_b32_e32 v43, 16, v5
	v_cmp_gt_i32_e64 s[0:1], s30, v46
	s_nop 1
	v_cndmask_b32_e64 v43, 0, v43, s[0:1]
	v_cmp_gt_i32_e64 s[0:1], s29, v45
	s_nop 1
	v_cndmask_b32_e64 v5, 0, v5, s[0:1]
	v_perm_b32 v5, v43, v5, s20
	v_lshrrev_b32_e32 v43, 16, v4
	v_cmp_gt_i32_e64 s[0:1], s28, v40
	s_nop 1
	v_cndmask_b32_e64 v43, 0, v43, s[0:1]
	v_cmp_gt_i32_e64 s[0:1], s27, v39
	s_nop 1
	v_cndmask_b32_e64 v4, 0, v4, s[0:1]
	v_perm_b32 v4, v43, v4, s20
	;; [unrolled: 8-line block ×4, first 2 shown]
.LBB105_42:                             ;   in Loop: Header=BB105_40 Depth=1
	s_or_b64 exec, exec, s[12:13]
	v_and_b32_e32 v21, 0xffff, v21
	v_lshl_or_b32 v44, v23, 16, v21
	v_and_b32_e32 v21, 0xffff, v25
	v_lshl_or_b32 v43, v41, 16, v21
	v_and_b32_e32 v21, 0xffff, v42
	v_lshl_or_b32 v42, v47, 16, v21
	v_and_b32_e32 v21, 0xffff, v48
	s_waitcnt vmcnt(0)
	;;#ASMSTART
	v_pk_mul_f16 v2, v44, v2;

	;;#ASMEND
	v_lshl_or_b32 v41, v49, 16, v21
	;;#ASMSTART
	v_pk_mul_f16 v3, v43, v3;

	;;#ASMEND
	;;#ASMSTART
	v_pk_mul_f16 v4, v42, v4;

	;;#ASMEND
	;; [unrolled: 4-line block ×3, first 2 shown]
	s_nop 0
	;;#ASMSTART
	v_pk_add_f16 v2, v2, v3;

	;;#ASMEND
	s_nop 0
	;;#ASMSTART
	v_pk_add_f16 v2, v2, v4;

	;;#ASMEND
	;; [unrolled: 5-line block ×3, first 2 shown]
	s_nop 0
	v_lshrrev_b32_e32 v3, 16, v2
	v_and_b32_e32 v2, 0xffff, v2
	;;#ASMSTART
	v_cvt_f32_f16 v47, v2;
	;;#ASMEND
	;;#ASMSTART
	v_cvt_f32_f16 v48, v3;
	;;#ASMEND
	global_load_dwordx4 v[2:5], v[28:29], off offset:1024
	s_and_saveexec_b64 s[12:13], vcc
	s_cbranch_execz .LBB105_44
; %bb.43:                               ;   in Loop: Header=BB105_40 Depth=1
	s_waitcnt vmcnt(0)
	v_lshrrev_b32_e32 v21, 16, v5
	v_cmp_gt_i32_e64 s[0:1], s30, v46
	s_nop 1
	v_cndmask_b32_e64 v21, 0, v21, s[0:1]
	v_cmp_gt_i32_e64 s[0:1], s29, v45
	s_nop 1
	v_cndmask_b32_e64 v5, 0, v5, s[0:1]
	v_perm_b32 v5, v21, v5, s20
	v_lshrrev_b32_e32 v21, 16, v4
	v_cmp_gt_i32_e64 s[0:1], s28, v40
	s_nop 1
	v_cndmask_b32_e64 v21, 0, v21, s[0:1]
	v_cmp_gt_i32_e64 s[0:1], s27, v39
	s_nop 1
	v_cndmask_b32_e64 v4, 0, v4, s[0:1]
	v_perm_b32 v4, v21, v4, s20
	;; [unrolled: 8-line block ×4, first 2 shown]
.LBB105_44:                             ;   in Loop: Header=BB105_40 Depth=1
	s_or_b64 exec, exec, s[12:13]
	s_waitcnt vmcnt(0)
	;;#ASMSTART
	v_pk_mul_f16 v2, v44, v2;

	;;#ASMEND
	;;#ASMSTART
	v_pk_mul_f16 v3, v43, v3;

	;;#ASMEND
	;; [unrolled: 4-line block ×4, first 2 shown]
	s_nop 0
	;;#ASMSTART
	v_pk_add_f16 v2, v2, v3;

	;;#ASMEND
	s_nop 0
	;;#ASMSTART
	v_pk_add_f16 v2, v2, v4;

	;;#ASMEND
	;; [unrolled: 5-line block ×3, first 2 shown]
	s_nop 0
	v_lshrrev_b32_e32 v3, 16, v2
	v_and_b32_e32 v2, 0xffff, v2
	;;#ASMSTART
	v_cvt_f32_f16 v49, v2;
	;;#ASMEND
	;;#ASMSTART
	v_cvt_f32_f16 v50, v3;
	;;#ASMEND
	global_load_dwordx4 v[2:5], v[28:29], off offset:2048
	s_and_saveexec_b64 s[12:13], vcc
	s_cbranch_execz .LBB105_46
; %bb.45:                               ;   in Loop: Header=BB105_40 Depth=1
	s_waitcnt vmcnt(0)
	v_lshrrev_b32_e32 v21, 16, v5
	v_cmp_gt_i32_e64 s[0:1], s30, v46
	s_nop 1
	v_cndmask_b32_e64 v21, 0, v21, s[0:1]
	v_cmp_gt_i32_e64 s[0:1], s29, v45
	s_nop 1
	v_cndmask_b32_e64 v5, 0, v5, s[0:1]
	v_perm_b32 v5, v21, v5, s20
	v_lshrrev_b32_e32 v21, 16, v4
	v_cmp_gt_i32_e64 s[0:1], s28, v40
	s_nop 1
	v_cndmask_b32_e64 v21, 0, v21, s[0:1]
	v_cmp_gt_i32_e64 s[0:1], s27, v39
	s_nop 1
	v_cndmask_b32_e64 v4, 0, v4, s[0:1]
	v_perm_b32 v4, v21, v4, s20
	;; [unrolled: 8-line block ×4, first 2 shown]
.LBB105_46:                             ;   in Loop: Header=BB105_40 Depth=1
	s_or_b64 exec, exec, s[12:13]
	s_waitcnt vmcnt(0)
	;;#ASMSTART
	v_pk_mul_f16 v2, v44, v2;

	;;#ASMEND
	;;#ASMSTART
	v_pk_mul_f16 v3, v43, v3;

	;;#ASMEND
	;; [unrolled: 4-line block ×4, first 2 shown]
	s_nop 0
	;;#ASMSTART
	v_pk_add_f16 v2, v2, v3;

	;;#ASMEND
	s_nop 0
	;;#ASMSTART
	v_pk_add_f16 v2, v2, v4;

	;;#ASMEND
	;; [unrolled: 5-line block ×3, first 2 shown]
	s_nop 0
	v_lshrrev_b32_e32 v3, 16, v2
	v_and_b32_e32 v2, 0xffff, v2
	;;#ASMSTART
	v_cvt_f32_f16 v51, v2;
	;;#ASMEND
	;;#ASMSTART
	v_cvt_f32_f16 v52, v3;
	;;#ASMEND
	global_load_dwordx4 v[2:5], v[28:29], off offset:3072
	s_and_saveexec_b64 s[12:13], vcc
	s_cbranch_execz .LBB105_48
; %bb.47:                               ;   in Loop: Header=BB105_40 Depth=1
	s_waitcnt vmcnt(0)
	v_lshrrev_b32_e32 v21, 16, v5
	v_cmp_gt_i32_e64 s[0:1], s30, v46
	s_nop 1
	v_cndmask_b32_e64 v21, 0, v21, s[0:1]
	v_cmp_gt_i32_e64 s[0:1], s29, v45
	s_nop 1
	v_cndmask_b32_e64 v5, 0, v5, s[0:1]
	v_perm_b32 v5, v21, v5, s20
	v_lshrrev_b32_e32 v21, 16, v4
	v_cmp_gt_i32_e64 s[0:1], s28, v40
	s_nop 1
	v_cndmask_b32_e64 v21, 0, v21, s[0:1]
	v_cmp_gt_i32_e64 s[0:1], s27, v39
	s_nop 1
	v_cndmask_b32_e64 v4, 0, v4, s[0:1]
	v_perm_b32 v4, v21, v4, s20
	;; [unrolled: 8-line block ×4, first 2 shown]
.LBB105_48:                             ;   in Loop: Header=BB105_40 Depth=1
	s_or_b64 exec, exec, s[12:13]
	s_waitcnt vmcnt(0)
	;;#ASMSTART
	v_pk_mul_f16 v2, v44, v2;

	;;#ASMEND
	;;#ASMSTART
	v_pk_mul_f16 v3, v43, v3;

	;;#ASMEND
	;; [unrolled: 4-line block ×4, first 2 shown]
	s_nop 0
	;;#ASMSTART
	v_pk_add_f16 v2, v2, v3;

	;;#ASMEND
	s_nop 0
	;;#ASMSTART
	v_pk_add_f16 v2, v2, v4;

	;;#ASMEND
	;; [unrolled: 5-line block ×3, first 2 shown]
	s_nop 0
	v_lshrrev_b32_e32 v3, 16, v2
	v_and_b32_e32 v2, 0xffff, v2
	;;#ASMSTART
	v_cvt_f32_f16 v28, v2;
	;;#ASMEND
	;;#ASMSTART
	v_cvt_f32_f16 v29, v3;
	;;#ASMEND
	v_lshl_add_u64 v[2:3], v[26:27], 0, v[12:13]
	global_load_dwordx4 v[2:5], v[2:3], off
	s_and_saveexec_b64 s[12:13], vcc
	s_cbranch_execz .LBB105_50
; %bb.49:                               ;   in Loop: Header=BB105_40 Depth=1
	s_waitcnt vmcnt(0)
	v_lshrrev_b32_e32 v21, 16, v5
	v_cmp_gt_i32_e64 s[0:1], s30, v46
	s_nop 1
	v_cndmask_b32_e64 v21, 0, v21, s[0:1]
	v_cmp_gt_i32_e64 s[0:1], s29, v45
	s_nop 1
	v_cndmask_b32_e64 v5, 0, v5, s[0:1]
	v_perm_b32 v5, v21, v5, s20
	v_lshrrev_b32_e32 v21, 16, v4
	v_cmp_gt_i32_e64 s[0:1], s28, v40
	s_nop 1
	v_cndmask_b32_e64 v21, 0, v21, s[0:1]
	v_cmp_gt_i32_e64 s[0:1], s27, v39
	s_nop 1
	v_cndmask_b32_e64 v4, 0, v4, s[0:1]
	v_perm_b32 v4, v21, v4, s20
	;; [unrolled: 8-line block ×4, first 2 shown]
.LBB105_50:                             ;   in Loop: Header=BB105_40 Depth=1
	s_or_b64 exec, exec, s[12:13]
	s_waitcnt vmcnt(0)
	;;#ASMSTART
	v_pk_mul_f16 v2, v44, v2;

	;;#ASMEND
	;;#ASMSTART
	v_pk_mul_f16 v3, v43, v3;

	;;#ASMEND
	;; [unrolled: 4-line block ×4, first 2 shown]
	v_mov_b32_e32 v21, v13
	;;#ASMSTART
	v_pk_add_f16 v2, v2, v3;

	;;#ASMEND
	s_nop 0
	;;#ASMSTART
	v_pk_add_f16 v2, v2, v4;

	;;#ASMEND
	s_nop 0
	;; [unrolled: 5-line block ×3, first 2 shown]
	v_lshrrev_b32_e32 v3, 16, v2
	v_and_b32_e32 v2, 0xffff, v2
	;;#ASMSTART
	v_cvt_f32_f16 v53, v2;
	;;#ASMEND
	;;#ASMSTART
	v_cvt_f32_f16 v54, v3;
	;;#ASMEND
	v_lshl_add_u64 v[2:3], v[26:27], 0, v[20:21]
	global_load_dwordx4 v[2:5], v[2:3], off
	s_and_saveexec_b64 s[12:13], vcc
	s_cbranch_execz .LBB105_52
; %bb.51:                               ;   in Loop: Header=BB105_40 Depth=1
	s_waitcnt vmcnt(0)
	v_lshrrev_b32_e32 v21, 16, v5
	v_cmp_gt_i32_e64 s[0:1], s30, v46
	s_nop 1
	v_cndmask_b32_e64 v21, 0, v21, s[0:1]
	v_cmp_gt_i32_e64 s[0:1], s29, v45
	s_nop 1
	v_cndmask_b32_e64 v5, 0, v5, s[0:1]
	v_perm_b32 v5, v21, v5, s20
	v_lshrrev_b32_e32 v21, 16, v4
	v_cmp_gt_i32_e64 s[0:1], s28, v40
	s_nop 1
	v_cndmask_b32_e64 v21, 0, v21, s[0:1]
	v_cmp_gt_i32_e64 s[0:1], s27, v39
	s_nop 1
	v_cndmask_b32_e64 v4, 0, v4, s[0:1]
	v_perm_b32 v4, v21, v4, s20
	;; [unrolled: 8-line block ×4, first 2 shown]
.LBB105_52:                             ;   in Loop: Header=BB105_40 Depth=1
	s_or_b64 exec, exec, s[12:13]
	s_waitcnt vmcnt(0)
	;;#ASMSTART
	v_pk_mul_f16 v2, v44, v2;

	;;#ASMEND
	;;#ASMSTART
	v_pk_mul_f16 v3, v43, v3;

	;;#ASMEND
	;; [unrolled: 4-line block ×4, first 2 shown]
	v_mov_b32_e32 v23, v13
	;;#ASMSTART
	v_pk_add_f16 v2, v2, v3;

	;;#ASMEND
	s_nop 0
	;;#ASMSTART
	v_pk_add_f16 v2, v2, v4;

	;;#ASMEND
	s_nop 0
	;;#ASMSTART
	v_pk_add_f16 v2, v2, v5;

	;;#ASMEND
	s_nop 0
	v_lshrrev_b32_e32 v3, 16, v2
	v_and_b32_e32 v2, 0xffff, v2
	;;#ASMSTART
	v_cvt_f32_f16 v21, v2;
	;;#ASMEND
	;;#ASMSTART
	v_cvt_f32_f16 v55, v3;
	;;#ASMEND
	v_lshl_add_u64 v[2:3], v[26:27], 0, v[22:23]
	global_load_dwordx4 v[2:5], v[2:3], off
	s_and_saveexec_b64 s[12:13], vcc
	s_cbranch_execz .LBB105_54
; %bb.53:                               ;   in Loop: Header=BB105_40 Depth=1
	s_waitcnt vmcnt(0)
	v_lshrrev_b32_e32 v23, 16, v5
	v_cmp_gt_i32_e64 s[0:1], s30, v46
	s_nop 1
	v_cndmask_b32_e64 v23, 0, v23, s[0:1]
	v_cmp_gt_i32_e64 s[0:1], s29, v45
	s_nop 1
	v_cndmask_b32_e64 v5, 0, v5, s[0:1]
	v_perm_b32 v5, v23, v5, s20
	v_lshrrev_b32_e32 v23, 16, v4
	v_cmp_gt_i32_e64 s[0:1], s28, v40
	s_nop 1
	v_cndmask_b32_e64 v23, 0, v23, s[0:1]
	v_cmp_gt_i32_e64 s[0:1], s27, v39
	s_nop 1
	v_cndmask_b32_e64 v4, 0, v4, s[0:1]
	v_perm_b32 v4, v23, v4, s20
	;; [unrolled: 8-line block ×4, first 2 shown]
.LBB105_54:                             ;   in Loop: Header=BB105_40 Depth=1
	s_or_b64 exec, exec, s[12:13]
	s_waitcnt vmcnt(0)
	;;#ASMSTART
	v_pk_mul_f16 v2, v44, v2;

	;;#ASMEND
	;;#ASMSTART
	v_pk_mul_f16 v3, v43, v3;

	;;#ASMEND
	;; [unrolled: 4-line block ×4, first 2 shown]
	v_mov_b32_e32 v25, v13
	;;#ASMSTART
	v_pk_add_f16 v2, v2, v3;

	;;#ASMEND
	s_nop 0
	;;#ASMSTART
	v_pk_add_f16 v2, v2, v4;

	;;#ASMEND
	s_nop 0
	;; [unrolled: 5-line block ×3, first 2 shown]
	v_lshrrev_b32_e32 v3, 16, v2
	v_and_b32_e32 v2, 0xffff, v2
	;;#ASMSTART
	v_cvt_f32_f16 v23, v2;
	;;#ASMEND
	;;#ASMSTART
	v_cvt_f32_f16 v56, v3;
	;;#ASMEND
	v_lshl_add_u64 v[2:3], v[26:27], 0, v[24:25]
	global_load_dwordx4 v[2:5], v[2:3], off
	s_and_saveexec_b64 s[0:1], vcc
	s_cbranch_execz .LBB105_39
; %bb.55:                               ;   in Loop: Header=BB105_40 Depth=1
	s_waitcnt vmcnt(0)
	v_lshrrev_b32_e32 v25, 16, v5
	v_cmp_gt_i32_e32 vcc, s30, v46
	s_nop 1
	v_cndmask_b32_e32 v25, 0, v25, vcc
	v_cmp_gt_i32_e32 vcc, s29, v45
	s_nop 1
	v_cndmask_b32_e32 v5, 0, v5, vcc
	v_perm_b32 v5, v25, v5, s20
	v_lshrrev_b32_e32 v25, 16, v4
	v_cmp_gt_i32_e32 vcc, s28, v40
	s_nop 1
	v_cndmask_b32_e32 v25, 0, v25, vcc
	v_cmp_gt_i32_e32 vcc, s27, v39
	s_nop 1
	v_cndmask_b32_e32 v4, 0, v4, vcc
	v_perm_b32 v4, v25, v4, s20
	;; [unrolled: 8-line block ×4, first 2 shown]
	s_branch .LBB105_39
.LBB105_56:
	s_or_b64 exec, exec, s[8:9]
.LBB105_57:
	s_or_b64 exec, exec, s[2:3]
	ds_bpermute_b32 v4, v31, v10
	ds_bpermute_b32 v5, v31, v11
	;; [unrolled: 1-line block ×6, first 2 shown]
	s_waitcnt lgkmcnt(4)
	v_pk_add_f32 v[4:5], v[10:11], v[4:5]
	ds_bpermute_b32 v10, v31, v8
	ds_bpermute_b32 v11, v31, v9
	s_waitcnt lgkmcnt(4)
	v_pk_add_f32 v[2:3], v[14:15], v[2:3]
	s_waitcnt lgkmcnt(2)
	v_pk_add_f32 v[16:17], v[6:7], v[16:17]
	ds_bpermute_b32 v12, v32, v2
	ds_bpermute_b32 v13, v32, v3
	s_waitcnt lgkmcnt(2)
	v_pk_add_f32 v[10:11], v[8:9], v[10:11]
	ds_bpermute_b32 v14, v32, v4
	ds_bpermute_b32 v15, v32, v5
	;; [unrolled: 1-line block ×6, first 2 shown]
	v_and_b32_e32 v1, 0x3c3, v0
	s_waitcnt lgkmcnt(6)
	v_pk_add_f32 v[8:9], v[2:3], v[12:13]
	s_waitcnt lgkmcnt(4)
	v_pk_add_f32 v[6:7], v[4:5], v[14:15]
	;; [unrolled: 2-line block ×4, first 2 shown]
	v_cmp_eq_u32_e32 vcc, 64, v1
	s_barrier
	s_and_saveexec_b64 s[0:1], vcc
	s_cbranch_execz .LBB105_59
; %bb.58:
	v_add_u32_e32 v10, 0x110, v30
	ds_write2_b32 v10, v8, v9 offset1:16
	ds_write2_b32 v10, v6, v7 offset0:32 offset1:48
	ds_write2_b32 v10, v4, v5 offset0:64 offset1:80
	;; [unrolled: 1-line block ×3, first 2 shown]
.LBB105_59:
	s_or_b64 exec, exec, s[0:1]
	v_cmp_gt_u32_e32 vcc, 64, v0
	s_waitcnt lgkmcnt(0)
	s_barrier
	s_and_saveexec_b64 s[0:1], vcc
	s_cbranch_execz .LBB105_70
; %bb.60:
	v_cmp_eq_u32_e32 vcc, 0, v33
	v_lshrrev_b32_e32 v10, 2, v0
	s_and_saveexec_b64 s[2:3], vcc
	s_cbranch_execnz .LBB105_73
; %bb.61:
	s_or_b64 exec, exec, s[2:3]
	s_and_saveexec_b64 s[2:3], vcc
	s_cbranch_execnz .LBB105_74
.LBB105_62:
	s_or_b64 exec, exec, s[2:3]
	s_and_saveexec_b64 s[2:3], vcc
	s_cbranch_execnz .LBB105_75
.LBB105_63:
	s_or_b64 exec, exec, s[2:3]
	s_and_saveexec_b64 s[2:3], vcc
	s_cbranch_execnz .LBB105_76
.LBB105_64:
	s_or_b64 exec, exec, s[2:3]
	s_and_saveexec_b64 s[2:3], vcc
	s_cbranch_execnz .LBB105_77
.LBB105_65:
	s_or_b64 exec, exec, s[2:3]
	s_and_saveexec_b64 s[2:3], vcc
	s_cbranch_execnz .LBB105_78
.LBB105_66:
	s_or_b64 exec, exec, s[2:3]
	s_and_saveexec_b64 s[2:3], vcc
	s_cbranch_execnz .LBB105_79
.LBB105_67:
	s_or_b64 exec, exec, s[2:3]
	s_and_saveexec_b64 s[2:3], vcc
	s_cbranch_execz .LBB105_69
.LBB105_68:
	v_mov_b32_e32 v11, 0x110
	v_lshl_add_u32 v10, v10, 2, v11
	ds_read_b32 v10, v10 offset:448
	s_waitcnt lgkmcnt(0)
	v_add_f32_e32 v3, v3, v10
.LBB105_69:
	s_or_b64 exec, exec, s[2:3]
.LBB105_70:
	s_or_b64 exec, exec, s[0:1]
	v_cmp_eq_u32_e32 vcc, 0, v1
	s_barrier
	s_and_saveexec_b64 s[0:1], vcc
	s_cbranch_execz .LBB105_72
; %bb.71:
	s_mul_i32 s0, s10, s11
	s_mul_i32 s0, s0, s5
	s_lshl_b32 s0, s0, 7
	s_ashr_i32 s1, s0, 31
	s_lshl_b64 s[0:1], s[0:1], 1
	s_add_u32 s2, s18, s0
	s_mul_i32 s0, s11, s16
	s_addc_u32 s3, s19, s1
	s_ashr_i32 s1, s0, 31
	s_lshl_b64 s[0:1], s[0:1], 1
	s_add_u32 s2, s2, s0
	s_addc_u32 s3, s3, s1
	s_lshl_b32 s0, s4, 7
	s_ashr_i32 s1, s0, 31
	s_lshl_b64 s[0:1], s[0:1], 1
	s_add_u32 s0, s2, s0
	s_addc_u32 s1, s3, s1
	v_lshrrev_b32_e32 v0, 1, v0
	;;#ASMSTART
	v_cvt_f16_f32 v1, v8;

	;;#ASMEND
	global_store_short v0, v1, s[0:1]
	;;#ASMSTART
	v_cvt_f16_f32 v1, v9;

	;;#ASMEND
	global_store_short v0, v1, s[0:1] offset:32
	;;#ASMSTART
	v_cvt_f16_f32 v1, v6;

	;;#ASMEND
	global_store_short v0, v1, s[0:1] offset:64
	;; [unrolled: 5-line block ×7, first 2 shown]
.LBB105_72:
	s_endpgm
.LBB105_73:
	v_mov_b32_e32 v11, 0x110
	v_lshl_add_u32 v11, v10, 2, v11
	ds_read_b32 v11, v11
	s_waitcnt lgkmcnt(0)
	v_add_f32_e32 v8, v8, v11
	s_or_b64 exec, exec, s[2:3]
	s_and_saveexec_b64 s[2:3], vcc
	s_cbranch_execz .LBB105_62
.LBB105_74:
	v_mov_b32_e32 v11, 0x110
	v_lshl_add_u32 v11, v10, 2, v11
	ds_read_b32 v11, v11 offset:64
	s_waitcnt lgkmcnt(0)
	v_add_f32_e32 v9, v9, v11
	s_or_b64 exec, exec, s[2:3]
	s_and_saveexec_b64 s[2:3], vcc
	s_cbranch_execz .LBB105_63
.LBB105_75:
	v_mov_b32_e32 v11, 0x110
	v_lshl_add_u32 v11, v10, 2, v11
	ds_read_b32 v11, v11 offset:128
	s_waitcnt lgkmcnt(0)
	v_add_f32_e32 v6, v6, v11
	s_or_b64 exec, exec, s[2:3]
	s_and_saveexec_b64 s[2:3], vcc
	s_cbranch_execz .LBB105_64
.LBB105_76:
	v_mov_b32_e32 v11, 0x110
	v_lshl_add_u32 v11, v10, 2, v11
	ds_read_b32 v11, v11 offset:192
	s_waitcnt lgkmcnt(0)
	v_add_f32_e32 v7, v7, v11
	s_or_b64 exec, exec, s[2:3]
	s_and_saveexec_b64 s[2:3], vcc
	s_cbranch_execz .LBB105_65
.LBB105_77:
	v_mov_b32_e32 v11, 0x110
	v_lshl_add_u32 v11, v10, 2, v11
	ds_read_b32 v11, v11 offset:256
	s_waitcnt lgkmcnt(0)
	v_add_f32_e32 v4, v4, v11
	s_or_b64 exec, exec, s[2:3]
	s_and_saveexec_b64 s[2:3], vcc
	s_cbranch_execz .LBB105_66
.LBB105_78:
	v_mov_b32_e32 v11, 0x110
	v_lshl_add_u32 v11, v10, 2, v11
	ds_read_b32 v11, v11 offset:320
	s_waitcnt lgkmcnt(0)
	v_add_f32_e32 v5, v5, v11
	s_or_b64 exec, exec, s[2:3]
	s_and_saveexec_b64 s[2:3], vcc
	s_cbranch_execz .LBB105_67
.LBB105_79:
	v_mov_b32_e32 v11, 0x110
	v_lshl_add_u32 v11, v10, 2, v11
	ds_read_b32 v11, v11 offset:384
	s_waitcnt lgkmcnt(0)
	v_add_f32_e32 v2, v2, v11
	s_or_b64 exec, exec, s[2:3]
	s_and_saveexec_b64 s[2:3], vcc
	s_cbranch_execnz .LBB105_68
	s_branch .LBB105_69
	.section	.rodata,"a",@progbits
	.p2align	6, 0x0
	.amdhsa_kernel _ZN4vllm25paged_attention_v1_kernelIttLi128ELi32ELi128ELNS_18Fp8KVCacheDataTypeE0ELb0EEEvPT_PKS2_PKT0_S8_ifPKiSA_iPKfiiiSC_SC_iiiii
		.amdhsa_group_segment_fixed_size 272
		.amdhsa_private_segment_fixed_size 0
		.amdhsa_kernarg_size 384
		.amdhsa_user_sgpr_count 2
		.amdhsa_user_sgpr_dispatch_ptr 0
		.amdhsa_user_sgpr_queue_ptr 0
		.amdhsa_user_sgpr_kernarg_segment_ptr 1
		.amdhsa_user_sgpr_dispatch_id 0
		.amdhsa_user_sgpr_kernarg_preload_length 0
		.amdhsa_user_sgpr_kernarg_preload_offset 0
		.amdhsa_user_sgpr_private_segment_size 0
		.amdhsa_uses_dynamic_stack 0
		.amdhsa_enable_private_segment 0
		.amdhsa_system_sgpr_workgroup_id_x 1
		.amdhsa_system_sgpr_workgroup_id_y 1
		.amdhsa_system_sgpr_workgroup_id_z 1
		.amdhsa_system_sgpr_workgroup_info 0
		.amdhsa_system_vgpr_workitem_id 0
		.amdhsa_next_free_vgpr 65
		.amdhsa_next_free_sgpr 35
		.amdhsa_accum_offset 68
		.amdhsa_reserve_vcc 1
		.amdhsa_float_round_mode_32 0
		.amdhsa_float_round_mode_16_64 0
		.amdhsa_float_denorm_mode_32 3
		.amdhsa_float_denorm_mode_16_64 3
		.amdhsa_dx10_clamp 1
		.amdhsa_ieee_mode 1
		.amdhsa_fp16_overflow 0
		.amdhsa_tg_split 0
		.amdhsa_exception_fp_ieee_invalid_op 0
		.amdhsa_exception_fp_denorm_src 0
		.amdhsa_exception_fp_ieee_div_zero 0
		.amdhsa_exception_fp_ieee_overflow 0
		.amdhsa_exception_fp_ieee_underflow 0
		.amdhsa_exception_fp_ieee_inexact 0
		.amdhsa_exception_int_div_zero 0
	.end_amdhsa_kernel
	.section	.text._ZN4vllm25paged_attention_v1_kernelIttLi128ELi32ELi128ELNS_18Fp8KVCacheDataTypeE0ELb0EEEvPT_PKS2_PKT0_S8_ifPKiSA_iPKfiiiSC_SC_iiiii,"axG",@progbits,_ZN4vllm25paged_attention_v1_kernelIttLi128ELi32ELi128ELNS_18Fp8KVCacheDataTypeE0ELb0EEEvPT_PKS2_PKT0_S8_ifPKiSA_iPKfiiiSC_SC_iiiii,comdat
.Lfunc_end105:
	.size	_ZN4vllm25paged_attention_v1_kernelIttLi128ELi32ELi128ELNS_18Fp8KVCacheDataTypeE0ELb0EEEvPT_PKS2_PKT0_S8_ifPKiSA_iPKfiiiSC_SC_iiiii, .Lfunc_end105-_ZN4vllm25paged_attention_v1_kernelIttLi128ELi32ELi128ELNS_18Fp8KVCacheDataTypeE0ELb0EEEvPT_PKS2_PKT0_S8_ifPKiSA_iPKfiiiSC_SC_iiiii
                                        ; -- End function
	.section	.AMDGPU.csdata,"",@progbits
; Kernel info:
; codeLenInByte = 9020
; NumSgprs: 41
; NumVgprs: 65
; NumAgprs: 0
; TotalNumVgprs: 65
; ScratchSize: 0
; MemoryBound: 0
; FloatMode: 240
; IeeeMode: 1
; LDSByteSize: 272 bytes/workgroup (compile time only)
; SGPRBlocks: 5
; VGPRBlocks: 8
; NumSGPRsForWavesPerEU: 41
; NumVGPRsForWavesPerEU: 65
; AccumOffset: 68
; Occupancy: 7
; WaveLimiterHint : 1
; COMPUTE_PGM_RSRC2:SCRATCH_EN: 0
; COMPUTE_PGM_RSRC2:USER_SGPR: 2
; COMPUTE_PGM_RSRC2:TRAP_HANDLER: 0
; COMPUTE_PGM_RSRC2:TGID_X_EN: 1
; COMPUTE_PGM_RSRC2:TGID_Y_EN: 1
; COMPUTE_PGM_RSRC2:TGID_Z_EN: 1
; COMPUTE_PGM_RSRC2:TIDIG_COMP_CNT: 0
; COMPUTE_PGM_RSRC3_GFX90A:ACCUM_OFFSET: 16
; COMPUTE_PGM_RSRC3_GFX90A:TG_SPLIT: 0
	.section	.text._ZN4vllm25paged_attention_v1_kernelIttLi192ELi32ELi128ELNS_18Fp8KVCacheDataTypeE0ELb0EEEvPT_PKS2_PKT0_S8_ifPKiSA_iPKfiiiSC_SC_iiiii,"axG",@progbits,_ZN4vllm25paged_attention_v1_kernelIttLi192ELi32ELi128ELNS_18Fp8KVCacheDataTypeE0ELb0EEEvPT_PKS2_PKT0_S8_ifPKiSA_iPKfiiiSC_SC_iiiii,comdat
	.protected	_ZN4vllm25paged_attention_v1_kernelIttLi192ELi32ELi128ELNS_18Fp8KVCacheDataTypeE0ELb0EEEvPT_PKS2_PKT0_S8_ifPKiSA_iPKfiiiSC_SC_iiiii ; -- Begin function _ZN4vllm25paged_attention_v1_kernelIttLi192ELi32ELi128ELNS_18Fp8KVCacheDataTypeE0ELb0EEEvPT_PKS2_PKT0_S8_ifPKiSA_iPKfiiiSC_SC_iiiii
	.globl	_ZN4vllm25paged_attention_v1_kernelIttLi192ELi32ELi128ELNS_18Fp8KVCacheDataTypeE0ELb0EEEvPT_PKS2_PKT0_S8_ifPKiSA_iPKfiiiSC_SC_iiiii
	.p2align	8
	.type	_ZN4vllm25paged_attention_v1_kernelIttLi192ELi32ELi128ELNS_18Fp8KVCacheDataTypeE0ELb0EEEvPT_PKS2_PKT0_S8_ifPKiSA_iPKfiiiSC_SC_iiiii,@function
_ZN4vllm25paged_attention_v1_kernelIttLi192ELi32ELi128ELNS_18Fp8KVCacheDataTypeE0ELb0EEEvPT_PKS2_PKT0_S8_ifPKiSA_iPKfiiiSC_SC_iiiii: ; @_ZN4vllm25paged_attention_v1_kernelIttLi192ELi32ELi128ELNS_18Fp8KVCacheDataTypeE0ELb0EEEvPT_PKS2_PKT0_S8_ifPKiSA_iPKfiiiSC_SC_iiiii
; %bb.0:
	s_load_dword s5, s[0:1], 0x80
	s_load_dwordx2 s[6:7], s[0:1], 0x30
	s_load_dwordx2 s[8:9], s[0:1], 0x20
	s_mov_b32 s10, s3
	s_ashr_i32 s11, s3, 31
	s_lshl_b64 s[12:13], s[10:11], 2
	s_waitcnt lgkmcnt(0)
	s_add_u32 s6, s6, s12
	s_addc_u32 s7, s7, s13
	s_abs_i32 s3, s8
	v_cvt_f32_u32_e32 v1, s3
	s_sub_i32 s12, 0, s3
	s_abs_i32 s11, s5
	s_xor_b32 s8, s5, s8
	v_rcp_iflag_f32_e32 v1, v1
	s_ashr_i32 s8, s8, 31
	v_mul_f32_e32 v1, 0x4f7ffffe, v1
	v_cvt_u32_f32_e32 v1, v1
	s_nop 0
	v_readfirstlane_b32 s13, v1
	s_mul_i32 s12, s12, s13
	s_mul_hi_u32 s12, s13, s12
	s_add_i32 s13, s13, s12
	s_mul_hi_u32 s12, s11, s13
	s_mul_i32 s13, s12, s3
	s_sub_i32 s11, s11, s13
	s_add_i32 s13, s12, 1
	s_sub_i32 s14, s11, s3
	s_cmp_ge_u32 s11, s3
	s_cselect_b32 s12, s13, s12
	s_cselect_b32 s11, s14, s11
	s_add_i32 s13, s12, 1
	s_cmp_ge_u32 s11, s3
	s_cselect_b32 s3, s13, s12
	s_xor_b32 s3, s3, s8
	s_sub_i32 s14, s3, s8
	s_abs_i32 s11, s14
	v_cvt_f32_u32_e32 v1, s11
	s_load_dwordx2 s[12:13], s[0:1], 0x40
	s_sub_i32 s3, 0, s11
	s_abs_i32 s18, s2
	v_rcp_iflag_f32_e32 v1, v1
	s_mov_b32 s8, 0
	v_mul_f32_e32 v1, 0x4f7ffffe, v1
	v_cvt_u32_f32_e32 v1, v1
	s_nop 0
	v_readfirstlane_b32 s15, v1
	s_mul_i32 s3, s3, s15
	s_mul_hi_u32 s3, s15, s3
	s_add_i32 s15, s15, s3
	s_waitcnt lgkmcnt(0)
	s_cmp_eq_u64 s[12:13], 0
	s_mul_hi_u32 s19, s18, s15
	s_cbranch_scc1 .LBB106_2
; %bb.1:
	s_ashr_i32 s3, s2, 31
	s_lshl_b64 s[16:17], s[2:3], 2
	s_add_u32 s12, s12, s16
	s_addc_u32 s13, s13, s17
	s_load_dword s8, s[12:13], 0x0
.LBB106_2:
	s_load_dword s33, s[6:7], 0x0
	s_ashr_i32 s7, s14, 31
	s_load_dwordx4 s[12:15], s[0:1], 0x48
	s_ashr_i32 s6, s2, 31
	v_and_b32_e32 v4, 1, v0
	s_waitcnt lgkmcnt(0)
	s_movk_i32 s15, 0xc0
	s_mul_i32 s16, s2, 0xc0
	v_cmp_gt_u32_e32 vcc, 48, v0
	v_lshlrev_b32_e32 v52, 3, v0
	s_and_saveexec_b64 s[2:3], vcc
	s_cbranch_execz .LBB106_4
; %bb.3:
	s_load_dwordx2 s[20:21], s[0:1], 0x8
	s_mul_i32 s22, s10, s12
	s_ashr_i32 s23, s22, 31
	s_lshl_b64 s[22:23], s[22:23], 1
	v_lshlrev_b32_e32 v1, 2, v0
	s_waitcnt lgkmcnt(0)
	s_add_u32 s12, s20, s22
	s_addc_u32 s22, s21, s23
	s_ashr_i32 s17, s16, 31
	s_lshl_b64 s[20:21], s[16:17], 1
	s_add_u32 s20, s12, s20
	s_addc_u32 s21, s22, s21
	global_load_dwordx2 v[2:3], v52, s[20:21]
	v_and_b32_e32 v1, 0xff8, v1
	v_mad_u32_u24 v1, v4, s15, v1
	s_waitcnt vmcnt(0)
	ds_write_b64 v1, v[2:3]
.LBB106_4:
	s_or_b64 exec, exec, s[2:3]
	s_add_i32 s3, s33, 31
	s_ashr_i32 s12, s3, 31
	s_lshr_b32 s12, s12, 27
	s_add_i32 s3, s3, s12
	s_ashr_i32 s17, s3, 5
	s_xor_b32 s3, s6, s7
	s_mul_i32 s6, s19, s11
	s_sub_i32 s6, s18, s6
	s_add_i32 s7, s19, 1
	s_sub_i32 s12, s6, s11
	s_load_dwordx2 s[20:21], s[0:1], 0x28
	s_load_dword s2, s[0:1], 0x38
	s_cmp_ge_u32 s6, s11
	s_cselect_b32 s7, s7, s19
	s_cselect_b32 s6, s12, s6
	s_add_i32 s12, s7, 1
	s_cmp_ge_u32 s6, s11
	s_cselect_b32 s6, s12, s7
	v_lshrrev_b32_e32 v1, 6, v0
	s_xor_b32 s6, s6, s3
	s_waitcnt lgkmcnt(0)
	s_mul_i32 s22, s10, s2
	s_sub_i32 s12, s6, s3
	s_ashr_i32 s23, s22, 31
	v_cmp_gt_i32_e64 s[6:7], s17, v1
	v_cmp_le_i32_e32 vcc, s17, v1
	v_mbcnt_lo_u32_b32 v6, -1, 0
	s_barrier
	s_waitcnt lgkmcnt(0)
                                        ; implicit-def: $sgpr15
                                        ; implicit-def: $vgpr54
                                        ; implicit-def: $vgpr55
	s_and_saveexec_b64 s[2:3], vcc
	s_xor_b64 s[2:3], exec, s[2:3]
; %bb.5:
	v_mbcnt_hi_u32_b32 v54, -1, v6
	v_and_b32_e32 v2, 64, v54
	v_add_u32_e32 v55, 64, v2
	s_mov_b32 s15, 0xff7fffff
                                        ; implicit-def: $vgpr4
                                        ; implicit-def: $vgpr6
; %bb.6:
	s_or_saveexec_b64 s[26:27], s[2:3]
	s_load_dwordx2 s[18:19], s[0:1], 0x0
	s_load_dwordx2 s[24:25], s[0:1], 0x18
	s_load_dword s11, s[0:1], 0x88
	v_mov_b32_e32 v56, s15
	s_mul_i32 s14, s12, s14
	v_lshrrev_b32_e32 v53, 4, v0
	s_xor_b64 exec, exec, s[26:27]
	s_cbranch_execz .LBB106_12
; %bb.7:
	s_load_dwordx2 s[0:1], s[0:1], 0x10
	s_ashr_i32 s15, s14, 31
	s_lshl_b64 s[2:3], s[14:15], 1
	v_bfe_u32 v5, v0, 1, 5
	v_lshlrev_b32_e32 v8, 4, v5
	s_waitcnt lgkmcnt(0)
	s_add_u32 s0, s0, s2
	s_addc_u32 s1, s1, s3
	v_mov_b32_e32 v9, 0
	v_lshl_add_u64 v[2:3], s[0:1], 0, v[8:9]
	s_sub_i32 s15, 1, s33
	s_lshl_b64 s[0:1], s[22:23], 2
	v_and_b32_e32 v8, 8, v52
	v_mul_u32_u24_e32 v57, 0xc0, v4
	v_cmp_eq_u32_e32 vcc, 0, v4
	v_lshlrev_b32_e32 v4, 2, v5
	s_add_u32 s0, s20, s0
	v_mbcnt_hi_u32_b32 v54, -1, v6
	v_lshl_add_u64 v[2:3], v[2:3], 0, v[8:9]
	v_lshl_or_b32 v4, v1, 7, v4
	v_and_b32_e32 v8, 60, v53
	s_addc_u32 s1, s21, s1
	v_and_b32_e32 v6, 64, v54
	s_mov_b32 s12, s13
	v_cmp_neq_f32_e64 s[2:3], s8, 0
	v_lshl_or_b32 v58, v1, 5, v5
	v_add_u32_e32 v59, 0x190, v4
	v_lshl_add_u64 v[4:5], s[0:1], 0, v[8:9]
	s_mov_b64 s[28:29], 0
	v_mov_b32_e32 v56, 0xff7fffff
	s_movk_i32 s34, 0x1000
	s_movk_i32 s35, 0x2000
	v_xor_b32_e32 v60, 1, v54
	v_add_u32_e32 v55, 64, v6
	v_mov_b32_e32 v61, v1
	s_branch .LBB106_9
.LBB106_8:                              ;   in Loop: Header=BB106_9 Depth=1
	s_or_b64 exec, exec, s[30:31]
	v_add_u32_e32 v61, 2, v61
	v_cmp_le_i32_e64 s[0:1], s17, v61
	v_add_u32_e32 v58, 64, v58
	v_add_u32_e32 v59, 0x100, v59
	s_or_b64 s[28:29], s[0:1], s[28:29]
	v_lshl_add_u64 v[4:5], v[4:5], 0, 8
	s_andn2_b64 exec, exec, s[28:29]
	s_cbranch_execz .LBB106_11
.LBB106_9:                              ; =>This Inner Loop Header: Depth=1
	global_load_dword v6, v[4:5], off
	s_waitcnt vmcnt(0) lgkmcnt(0)
	v_mad_i64_i32 v[6:7], s[0:1], v6, s12, 0
	v_lshl_add_u64 v[6:7], v[6:7], 1, v[2:3]
	global_load_dwordx2 v[64:65], v[6:7], off
	global_load_dwordx2 v[48:49], v[6:7], off offset:512
	global_load_dwordx2 v[50:51], v[6:7], off offset:1024
	;; [unrolled: 1-line block ×7, first 2 shown]
	v_add_co_u32_e64 v62, s[0:1], s35, v6
	ds_read_b64 v[8:9], v57
	s_nop 0
	v_addc_co_u32_e64 v63, s[0:1], 0, v7, s[0:1]
	global_load_dwordx2 v[36:37], v[62:63], off offset:-4096
	v_add_co_u32_e64 v6, s[0:1], s34, v6
	s_waitcnt lgkmcnt(0)
	v_lshrrev_b32_e32 v66, 16, v8
	v_addc_co_u32_e64 v7, s[0:1], 0, v7, s[0:1]
	v_and_b32_e32 v67, 0xffff, v8
	v_lshrrev_b32_e32 v68, 16, v9
	v_and_b32_e32 v69, 0xffff, v9
	global_load_dwordx2 v[34:35], v[6:7], off offset:512
	global_load_dwordx2 v[32:33], v[6:7], off offset:1024
	;; [unrolled: 1-line block ×7, first 2 shown]
	global_load_dwordx2 v[20:21], v[62:63], off
	global_load_dwordx2 v[18:19], v[62:63], off offset:512
	global_load_dwordx2 v[16:17], v[62:63], off offset:1024
	;; [unrolled: 1-line block ×3, first 2 shown]
                                        ; kill: killed $vgpr6 killed $vgpr7
	global_load_dwordx2 v[12:13], v[62:63], off offset:2048
	global_load_dwordx2 v[10:11], v[62:63], off offset:2560
	;; [unrolled: 1-line block ×4, first 2 shown]
	;;#ASMSTART
	v_cvt_f32_f16 v70, v67;
	;;#ASMEND
	;;#ASMSTART
	v_cvt_f32_f16 v62, v66;
	;;#ASMEND
	v_cmp_lt_i32_e64 s[0:1], v60, v55
	s_waitcnt vmcnt(23)
	v_lshrrev_b32_e32 v71, 16, v64
	v_and_b32_e32 v72, 0xffff, v64
	v_lshrrev_b32_e32 v73, 16, v65
	v_and_b32_e32 v74, 0xffff, v65
	s_waitcnt vmcnt(19)
	v_lshrrev_b32_e32 v76, 16, v44
	v_and_b32_e32 v77, 0xffff, v44
	v_lshrrev_b32_e32 v78, 16, v45
	v_and_b32_e32 v79, 0xffff, v45
	;;#ASMSTART
	v_cvt_f32_f16 v72, v72;
	;;#ASMEND
	;;#ASMSTART
	v_cvt_f32_f16 v71, v71;
	;;#ASMEND
	;; [unrolled: 3-line block ×6, first 2 shown]
	ds_read_b64 v[44:45], v57 offset:8
	s_waitcnt vmcnt(18)
	v_lshrrev_b32_e32 v80, 16, v42
	v_and_b32_e32 v81, 0xffff, v42
	v_and_b32_e32 v75, 0xffff, v48
	v_lshrrev_b32_e32 v65, 16, v48
	s_waitcnt lgkmcnt(0)
	v_and_b32_e32 v42, 0xffff, v44
	v_lshrrev_b32_e32 v44, 16, v44
	;;#ASMSTART
	v_cvt_f32_f16 v42, v42;
	;;#ASMEND
	;;#ASMSTART
	v_cvt_f32_f16 v44, v44;
	;;#ASMEND
	;;#ASMSTART
	v_cvt_f32_f16 v75, v75;
	;;#ASMEND
	s_waitcnt vmcnt(16)
	v_lshrrev_b32_e32 v85, 16, v39
	v_mul_f32_e32 v42, v42, v75
	v_lshrrev_b32_e32 v75, 16, v40
	v_fmac_f32_e32 v42, v70, v72
	v_and_b32_e32 v70, 0xffff, v40
	v_and_b32_e32 v86, 0xffff, v39
	v_lshrrev_b32_e32 v39, 16, v45
	v_and_b32_e32 v40, 0xffff, v45
	v_and_b32_e32 v66, 0xffff, v49
	v_lshrrev_b32_e32 v83, 16, v38
	v_and_b32_e32 v84, 0xffff, v38
	;;#ASMSTART
	v_cvt_f32_f16 v38, v65;
	;;#ASMEND
	;;#ASMSTART
	v_cvt_f32_f16 v40, v40;
	;;#ASMEND
	;; [unrolled: 3-line block ×4, first 2 shown]
	v_lshrrev_b32_e32 v48, 16, v49
	v_mul_f32_e32 v38, v44, v38
	v_mul_f32_e32 v39, v40, v39
	;;#ASMSTART
	v_cvt_f32_f16 v40, v48;
	;;#ASMEND
	ds_read_b64 v[44:45], v57 offset:16
	v_and_b32_e32 v49, 0xffff, v50
	v_lshrrev_b32_e32 v50, 16, v50
	v_lshrrev_b32_e32 v63, 16, v51
	v_and_b32_e32 v51, 0xffff, v51
	v_fmac_f32_e32 v38, v62, v71
	v_mul_f32_e32 v40, v65, v40
	s_waitcnt lgkmcnt(0)
	v_lshrrev_b32_e32 v48, 16, v44
	v_and_b32_e32 v44, 0xffff, v44
	v_lshrrev_b32_e32 v62, 16, v45
	v_and_b32_e32 v45, 0xffff, v45
	v_fmac_f32_e32 v40, v68, v73
	;;#ASMSTART
	v_cvt_f32_f16 v65, v44;
	;;#ASMEND
	;;#ASMSTART
	v_cvt_f32_f16 v48, v48;
	;;#ASMEND
	;; [unrolled: 3-line block ×8, first 2 shown]
	ds_read_b64 v[44:45], v57 offset:24
	v_lshrrev_b32_e32 v64, 16, v46
	v_and_b32_e32 v46, 0xffff, v46
	v_lshrrev_b32_e32 v67, 16, v47
	v_and_b32_e32 v47, 0xffff, v47
	v_fmac_f32_e32 v39, v69, v74
	v_fmac_f32_e32 v42, v65, v49
	;; [unrolled: 1-line block ×3, first 2 shown]
	s_waitcnt lgkmcnt(0)
	v_lshrrev_b32_e32 v48, 16, v44
	v_and_b32_e32 v44, 0xffff, v44
	v_lshrrev_b32_e32 v49, 16, v45
	v_and_b32_e32 v45, 0xffff, v45
	v_fmac_f32_e32 v39, v68, v51
	v_fmac_f32_e32 v40, v62, v63
	;;#ASMSTART
	v_cvt_f32_f16 v50, v44;
	;;#ASMEND
	;;#ASMSTART
	v_cvt_f32_f16 v48, v48;
	;;#ASMEND
	;; [unrolled: 3-line block ×8, first 2 shown]
	ds_read_b64 v[44:45], v57 offset:32
	v_fmac_f32_e32 v42, v50, v46
	v_fmac_f32_e32 v39, v62, v47
	;; [unrolled: 1-line block ×4, first 2 shown]
	s_waitcnt lgkmcnt(0)
	v_lshrrev_b32_e32 v46, 16, v44
	v_and_b32_e32 v44, 0xffff, v44
	v_lshrrev_b32_e32 v47, 16, v45
	v_and_b32_e32 v45, 0xffff, v45
	;;#ASMSTART
	v_cvt_f32_f16 v48, v44;
	;;#ASMEND
	;;#ASMSTART
	v_cvt_f32_f16 v46, v46;
	;;#ASMEND
	;; [unrolled: 3-line block ×8, first 2 shown]
	ds_read_b64 v[44:45], v57 offset:40
	v_lshrrev_b32_e32 v82, 16, v43
	v_and_b32_e32 v43, 0xffff, v43
	v_fmac_f32_e32 v38, v46, v50
	v_fmac_f32_e32 v40, v47, v63
	s_waitcnt lgkmcnt(0)
	v_lshrrev_b32_e32 v46, 16, v44
	v_and_b32_e32 v44, 0xffff, v44
	v_lshrrev_b32_e32 v47, 16, v45
	v_and_b32_e32 v45, 0xffff, v45
	v_fmac_f32_e32 v42, v48, v49
	v_fmac_f32_e32 v39, v51, v62
	;;#ASMSTART
	v_cvt_f32_f16 v48, v44;
	;;#ASMEND
	;;#ASMSTART
	v_cvt_f32_f16 v46, v46;
	;;#ASMEND
	;; [unrolled: 3-line block ×8, first 2 shown]
	ds_read_b64 v[44:45], v57 offset:48
	v_lshrrev_b32_e32 v72, 16, v41
	v_and_b32_e32 v41, 0xffff, v41
	v_fmac_f32_e32 v38, v46, v50
	v_fmac_f32_e32 v39, v51, v43
	s_waitcnt lgkmcnt(0)
	v_lshrrev_b32_e32 v43, 16, v44
	v_and_b32_e32 v44, 0xffff, v44
	v_lshrrev_b32_e32 v46, 16, v45
	v_and_b32_e32 v45, 0xffff, v45
	v_fmac_f32_e32 v42, v48, v49
	v_fmac_f32_e32 v40, v47, v62
	;;#ASMSTART
	v_cvt_f32_f16 v47, v44;
	;;#ASMEND
	;;#ASMSTART
	v_cvt_f32_f16 v43, v43;
	;;#ASMEND
	;; [unrolled: 3-line block ×8, first 2 shown]
	ds_read_b64 v[44:45], v57 offset:56
	v_fmac_f32_e32 v38, v43, v49
	v_fmac_f32_e32 v39, v50, v41
	;; [unrolled: 1-line block ×4, first 2 shown]
	s_waitcnt lgkmcnt(0)
	v_lshrrev_b32_e32 v41, 16, v44
	v_and_b32_e32 v43, 0xffff, v44
	v_lshrrev_b32_e32 v44, 16, v45
	v_and_b32_e32 v45, 0xffff, v45
	;;#ASMSTART
	v_cvt_f32_f16 v43, v43;
	;;#ASMEND
	;;#ASMSTART
	v_cvt_f32_f16 v41, v41;
	;;#ASMEND
	;; [unrolled: 3-line block ×8, first 2 shown]
	ds_read_b64 v[44:45], v57 offset:64
	s_waitcnt vmcnt(15)
	v_lshrrev_b32_e32 v66, 16, v36
	v_and_b32_e32 v36, 0xffff, v36
	v_fmac_f32_e32 v42, v43, v46
	v_fmac_f32_e32 v38, v41, v47
	s_waitcnt lgkmcnt(0)
	v_lshrrev_b32_e32 v41, 16, v44
	v_and_b32_e32 v43, 0xffff, v44
	;;#ASMSTART
	v_cvt_f32_f16 v43, v43;
	;;#ASMEND
	;;#ASMSTART
	v_cvt_f32_f16 v41, v41;
	;;#ASMEND
	;; [unrolled: 3-line block ×3, first 2 shown]
	v_lshrrev_b32_e32 v36, 16, v45
	v_and_b32_e32 v45, 0xffff, v45
	;;#ASMSTART
	v_cvt_f32_f16 v46, v66;
	;;#ASMEND
	;;#ASMSTART
	v_cvt_f32_f16 v45, v45;
	;;#ASMEND
	;; [unrolled: 3-line block ×3, first 2 shown]
	v_lshrrev_b32_e32 v36, 16, v37
	v_and_b32_e32 v37, 0xffff, v37
	v_fmac_f32_e32 v39, v48, v50
	v_fmac_f32_e32 v40, v49, v51
	;;#ASMSTART
	v_cvt_f32_f16 v48, v37;
	;;#ASMEND
	;;#ASMSTART
	v_cvt_f32_f16 v49, v36;
	;;#ASMEND
	ds_read_b64 v[36:37], v57 offset:72
	v_fmac_f32_e32 v42, v43, v44
	v_fmac_f32_e32 v38, v41, v46
	s_waitcnt vmcnt(14)
	v_lshrrev_b32_e32 v43, 16, v34
	v_and_b32_e32 v34, 0xffff, v34
	s_waitcnt lgkmcnt(0)
	v_lshrrev_b32_e32 v41, 16, v36
	v_and_b32_e32 v36, 0xffff, v36
	;;#ASMSTART
	v_cvt_f32_f16 v36, v36;
	;;#ASMEND
	;;#ASMSTART
	v_cvt_f32_f16 v41, v41;
	;;#ASMEND
	;; [unrolled: 3-line block ×3, first 2 shown]
	v_lshrrev_b32_e32 v34, 16, v37
	v_and_b32_e32 v37, 0xffff, v37
	v_fmac_f32_e32 v39, v45, v48
	;;#ASMSTART
	v_cvt_f32_f16 v43, v43;
	;;#ASMEND
	;;#ASMSTART
	v_cvt_f32_f16 v37, v37;
	;;#ASMEND
	;;#ASMSTART
	v_cvt_f32_f16 v45, v34;
	;;#ASMEND
	v_lshrrev_b32_e32 v34, 16, v35
	v_and_b32_e32 v35, 0xffff, v35
	v_fmac_f32_e32 v40, v47, v49
	;;#ASMSTART
	v_cvt_f32_f16 v46, v35;
	;;#ASMEND
	;;#ASMSTART
	v_cvt_f32_f16 v47, v34;
	;;#ASMEND
	ds_read_b64 v[34:35], v57 offset:80
	v_fmac_f32_e32 v42, v36, v44
	v_fmac_f32_e32 v39, v37, v46
	s_waitcnt vmcnt(13)
	v_lshrrev_b32_e32 v37, 16, v32
	v_and_b32_e32 v32, 0xffff, v32
	s_waitcnt lgkmcnt(0)
	v_lshrrev_b32_e32 v36, 16, v34
	v_and_b32_e32 v34, 0xffff, v34
	v_fmac_f32_e32 v38, v41, v43
	;;#ASMSTART
	v_cvt_f32_f16 v34, v34;
	;;#ASMEND
	;;#ASMSTART
	v_cvt_f32_f16 v36, v36;
	;;#ASMEND
	;;#ASMSTART
	v_cvt_f32_f16 v41, v32;
	;;#ASMEND
	v_lshrrev_b32_e32 v32, 16, v35
	v_and_b32_e32 v35, 0xffff, v35
	;;#ASMSTART
	v_cvt_f32_f16 v37, v37;
	;;#ASMEND
	;;#ASMSTART
	v_cvt_f32_f16 v35, v35;
	;;#ASMEND
	;;#ASMSTART
	v_cvt_f32_f16 v43, v32;
	;;#ASMEND
	v_lshrrev_b32_e32 v32, 16, v33
	v_and_b32_e32 v33, 0xffff, v33
	v_fmac_f32_e32 v40, v45, v47
	;;#ASMSTART
	v_cvt_f32_f16 v44, v33;
	;;#ASMEND
	;;#ASMSTART
	v_cvt_f32_f16 v45, v32;
	;;#ASMEND
	ds_read_b64 v[32:33], v57 offset:88
	v_fmac_f32_e32 v42, v34, v41
	v_fmac_f32_e32 v39, v35, v44
	s_waitcnt vmcnt(12)
	v_lshrrev_b32_e32 v35, 16, v30
	v_and_b32_e32 v30, 0xffff, v30
	s_waitcnt lgkmcnt(0)
	v_lshrrev_b32_e32 v34, 16, v32
	v_and_b32_e32 v32, 0xffff, v32
	v_fmac_f32_e32 v38, v36, v37
	;;#ASMSTART
	v_cvt_f32_f16 v32, v32;
	;;#ASMEND
	;;#ASMSTART
	v_cvt_f32_f16 v34, v34;
	;;#ASMEND
	;;#ASMSTART
	v_cvt_f32_f16 v36, v30;
	;;#ASMEND
	v_lshrrev_b32_e32 v30, 16, v33
	v_and_b32_e32 v33, 0xffff, v33
	;; [unrolled: 39-line block ×13, first 2 shown]
	;;#ASMSTART
	v_cvt_f32_f16 v13, v13;
	;;#ASMEND
	;;#ASMSTART
	v_cvt_f32_f16 v11, v11;
	;;#ASMEND
	;; [unrolled: 3-line block ×3, first 2 shown]
	v_lshrrev_b32_e32 v8, 16, v9
	v_and_b32_e32 v9, 0xffff, v9
	v_fmac_f32_e32 v40, v17, v19
	;;#ASMSTART
	v_cvt_f32_f16 v16, v9;
	;;#ASMEND
	;;#ASMSTART
	v_cvt_f32_f16 v17, v8;
	;;#ASMEND
	ds_read_b64 v[8:9], v57 offset:184
	v_fmac_f32_e32 v42, v10, v14
	v_fmac_f32_e32 v39, v11, v16
	s_waitcnt vmcnt(0)
	v_lshrrev_b32_e32 v11, 16, v6
	v_and_b32_e32 v6, 0xffff, v6
	s_waitcnt lgkmcnt(0)
	v_lshrrev_b32_e32 v10, 16, v8
	v_and_b32_e32 v8, 0xffff, v8
	;;#ASMSTART
	v_cvt_f32_f16 v8, v8;
	;;#ASMEND
	;;#ASMSTART
	v_cvt_f32_f16 v10, v10;
	;;#ASMEND
	;; [unrolled: 3-line block ×3, first 2 shown]
	v_fmac_f32_e32 v38, v12, v13
	v_fmac_f32_e32 v42, v8, v6
	v_lshrrev_b32_e32 v6, 16, v9
	v_and_b32_e32 v8, 0xffff, v9
	v_fmac_f32_e32 v40, v15, v17
	;;#ASMSTART
	v_cvt_f32_f16 v11, v11;
	;;#ASMEND
	;;#ASMSTART
	v_cvt_f32_f16 v8, v8;
	;;#ASMEND
	;; [unrolled: 3-line block ×3, first 2 shown]
	v_lshrrev_b32_e32 v9, 16, v7
	v_fmac_f32_e32 v38, v10, v11
	v_and_b32_e32 v7, 0xffff, v7
	;;#ASMSTART
	v_cvt_f32_f16 v7, v7;
	;;#ASMEND
	;;#ASMSTART
	v_cvt_f32_f16 v9, v9;
	;;#ASMEND
	s_nop 0
	v_fmac_f32_e32 v39, v8, v7
	v_fmac_f32_e32 v40, v6, v9
	v_add_f32_e32 v6, v42, v38
	v_add_f32_e32 v6, v6, v39
	v_cndmask_b32_e64 v7, v54, v60, s[0:1]
	v_add_f32_e32 v6, v40, v6
	v_lshlrev_b32_e32 v7, 2, v7
	ds_bpermute_b32 v7, v7, v6
	s_and_saveexec_b64 s[30:31], vcc
	s_cbranch_execz .LBB106_8
; %bb.10:                               ;   in Loop: Header=BB106_9 Depth=1
	v_add_u32_e32 v8, s15, v58
	v_cvt_f32_i32_e32 v8, v8
	s_waitcnt lgkmcnt(0)
	v_add_f32_e32 v6, v6, v7
	v_cmp_gt_i32_e64 s[0:1], s33, v58
	v_max_f32_e32 v7, v56, v56
	v_mul_f32_e32 v8, s8, v8
	v_cndmask_b32_e64 v8, 0, v8, s[2:3]
	v_fmac_f32_e32 v8, s9, v6
	v_cndmask_b32_e64 v6, 0, v8, s[0:1]
	ds_write_b32 v59, v6
	v_max_f32_e32 v6, v7, v8
	v_cndmask_b32_e64 v56, v56, v6, s[0:1]
	s_branch .LBB106_8
.LBB106_11:
	s_or_b64 exec, exec, s[28:29]
.LBB106_12:
	s_or_b64 exec, exec, s[26:27]
	v_xor_b32_e32 v2, 32, v54
	v_cmp_lt_i32_e32 vcc, v2, v55
	v_xor_b32_e32 v5, 16, v54
	v_max_f32_e32 v4, v56, v56
	v_cndmask_b32_e32 v2, v54, v2, vcc
	v_lshlrev_b32_e32 v2, 2, v2
	ds_bpermute_b32 v3, v2, v56
	v_cmp_lt_i32_e32 vcc, v5, v55
	v_xor_b32_e32 v6, 8, v54
	s_waitcnt lgkmcnt(0)
	v_xor_b32_e32 v7, 4, v54
	v_xor_b32_e32 v8, 2, v54
	v_max_f32_e32 v3, v3, v3
	v_max_f32_e32 v4, v4, v3
	v_cndmask_b32_e32 v3, v54, v5, vcc
	v_lshlrev_b32_e32 v3, 2, v3
	ds_bpermute_b32 v5, v3, v4
	v_cmp_lt_i32_e32 vcc, v6, v55
	v_and_b32_e32 v42, 63, v0
	s_waitcnt lgkmcnt(0)
	v_max_f32_e32 v5, v5, v5
	v_max_f32_e32 v5, v4, v5
	v_cndmask_b32_e32 v4, v54, v6, vcc
	v_lshlrev_b32_e32 v4, 2, v4
	ds_bpermute_b32 v6, v4, v5
	v_cmp_lt_i32_e32 vcc, v7, v55
	s_waitcnt lgkmcnt(0)
	v_max_f32_e32 v6, v6, v6
	v_max_f32_e32 v6, v5, v6
	v_cndmask_b32_e32 v5, v54, v7, vcc
	v_lshlrev_b32_e32 v5, 2, v5
	ds_bpermute_b32 v7, v5, v6
	v_cmp_lt_i32_e32 vcc, v8, v55
	s_waitcnt lgkmcnt(0)
	v_max_f32_e32 v7, v7, v7
	v_max_f32_e32 v7, v6, v7
	v_cndmask_b32_e32 v6, v54, v8, vcc
	v_lshlrev_b32_e32 v43, 2, v6
	ds_bpermute_b32 v8, v43, v7
	v_cmp_eq_u32_e32 vcc, 0, v42
	v_lshlrev_b32_e32 v6, 2, v1
	s_and_saveexec_b64 s[0:1], vcc
	s_cbranch_execz .LBB106_14
; %bb.13:
	s_waitcnt lgkmcnt(0)
	v_max_f32_e32 v8, v8, v8
	v_max_f32_e32 v7, v7, v7
	v_max_f32_e32 v7, v7, v8
	ds_write_b32 v6, v7 offset:384
.LBB106_14:
	s_or_b64 exec, exec, s[0:1]
	v_cmp_gt_u32_e64 s[0:1], 2, v42
	s_waitcnt lgkmcnt(0)
	v_mov_b32_e32 v8, 0xff7fffff
	v_lshlrev_b32_e32 v7, 2, v42
	s_barrier
	s_and_saveexec_b64 s[2:3], s[0:1]
	s_cbranch_execz .LBB106_16
; %bb.15:
	ds_read_b32 v8, v7 offset:384
.LBB106_16:
	s_or_b64 exec, exec, s[2:3]
	v_xor_b32_e32 v9, 1, v54
	v_cmp_lt_i32_e64 s[2:3], v9, v55
	v_lshlrev_b32_e32 v10, 2, v54
	s_nop 0
	v_cndmask_b32_e64 v9, v54, v9, s[2:3]
	v_lshlrev_b32_e32 v44, 2, v9
	s_waitcnt lgkmcnt(0)
	ds_bpermute_b32 v9, v44, v8
	v_max_f32_e32 v8, v8, v8
	s_lshl_b32 s2, s17, 5
	s_min_i32 s12, s2, s33
	v_cmp_gt_i32_e64 s[2:3], s12, v0
	s_waitcnt lgkmcnt(0)
	v_max_f32_e32 v9, v9, v9
	v_max_f32_e32 v9, v8, v9
	v_and_b32_e32 v8, 0xffffff00, v10
	ds_bpermute_b32 v10, v8, v9
	v_mov_b32_e32 v9, 0
	s_and_saveexec_b64 s[26:27], s[2:3]
	s_cbranch_execz .LBB106_20
; %bb.17:
	v_mov_b32_e32 v9, 0x190
	v_lshl_add_u32 v11, v0, 2, v9
	s_mov_b64 s[28:29], 0
	v_mov_b32_e32 v9, 0
	v_mov_b32_e32 v12, v0
.LBB106_18:                             ; =>This Inner Loop Header: Depth=1
	ds_read_b32 v13, v11
	v_add_u32_e32 v12, 0x80, v12
	v_cmp_le_i32_e64 s[8:9], s12, v12
	s_or_b64 s[28:29], s[8:9], s[28:29]
	s_waitcnt lgkmcnt(0)
	v_sub_f32_e32 v13, v13, v10
	v_mul_f32_e32 v13, 0x3fb8aa3b, v13
	v_exp_f32_e32 v13, v13
	ds_write_b32 v11, v13
	v_add_f32_e32 v9, v9, v13
	v_add_u32_e32 v11, 0x200, v11
	s_andn2_b64 exec, exec, s[28:29]
	s_cbranch_execnz .LBB106_18
; %bb.19:
	s_or_b64 exec, exec, s[28:29]
.LBB106_20:
	s_or_b64 exec, exec, s[26:27]
	ds_bpermute_b32 v2, v2, v9
	s_waitcnt lgkmcnt(0)
	v_add_f32_e32 v2, v9, v2
	ds_bpermute_b32 v3, v3, v2
	s_waitcnt lgkmcnt(0)
	v_add_f32_e32 v2, v2, v3
	;; [unrolled: 3-line block ×6, first 2 shown]
	s_and_saveexec_b64 s[8:9], vcc
	s_cbranch_execz .LBB106_22
; %bb.21:
	ds_write_b32 v6, v2 offset:392
.LBB106_22:
	s_or_b64 exec, exec, s[8:9]
	s_waitcnt lgkmcnt(0)
	s_barrier
	s_and_saveexec_b64 s[8:9], s[0:1]
	s_cbranch_execz .LBB106_24
; %bb.23:
	ds_read_b32 v2, v7 offset:392
.LBB106_24:
	s_or_b64 exec, exec, s[8:9]
	s_waitcnt lgkmcnt(0)
	ds_bpermute_b32 v3, v44, v2
	s_waitcnt lgkmcnt(0)
	v_add_f32_e32 v2, v2, v3
	ds_bpermute_b32 v2, v8, v2
	s_and_saveexec_b64 s[0:1], s[2:3]
	s_cbranch_execz .LBB106_37
; %bb.25:
	s_waitcnt lgkmcnt(0)
	v_add_f32_e32 v2, 0x358637bd, v2
	v_div_scale_f32 v3, s[2:3], v2, v2, 1.0
	v_rcp_f32_e32 v4, v3
	v_div_scale_f32 v5, vcc, 1.0, v2, 1.0
	s_movk_i32 s2, 0x7f
	v_fma_f32 v6, -v3, v4, 1.0
	v_fmac_f32_e32 v4, v6, v4
	v_mul_f32_e32 v6, v5, v4
	v_fma_f32 v7, -v3, v6, v5
	v_fmac_f32_e32 v6, v7, v4
	v_fma_f32 v3, -v3, v6, v5
	v_div_fmas_f32 v3, v3, v4, v6
	v_xad_u32 v4, v0, -1, s12
	v_div_fixup_f32 v2, v3, v2, 1.0
	v_cmp_lt_u32_e32 vcc, s2, v4
	s_mov_b64 s[8:9], -1
	v_mov_b32_e32 v3, v0
	s_and_saveexec_b64 s[2:3], vcc
	s_cbranch_execz .LBB106_34
; %bb.26:
	v_lshrrev_b32_e32 v4, 7, v4
	v_add_u32_e32 v6, -1, v4
	v_lshrrev_b32_e32 v5, 1, v6
	v_mov_b32_e32 v3, v2
	v_add_u32_e32 v5, 1, v5
	v_cmp_lt_u32_e32 vcc, 13, v6
	v_mov_b32_e32 v8, 0
	s_and_saveexec_b64 s[8:9], vcc
	s_cbranch_execz .LBB106_30
; %bb.27:
	v_mov_b32_e32 v7, 0x190
	v_and_b32_e32 v6, -8, v5
	v_lshl_add_u32 v7, v0, 2, v7
	s_mov_b32 s15, 0
	s_mov_b64 s[26:27], 0
.LBB106_28:                             ; =>This Inner Loop Header: Depth=1
	ds_read2st64_b32 v[8:9], v7 offset1:2
	ds_read2st64_b32 v[10:11], v7 offset0:4 offset1:6
	ds_read2st64_b32 v[12:13], v7 offset0:8 offset1:10
	;; [unrolled: 1-line block ×3, first 2 shown]
	v_add_u32_e32 v6, -8, v6
	s_waitcnt lgkmcnt(3)
	v_pk_mul_f32 v[8:9], v[2:3], v[8:9]
	s_waitcnt lgkmcnt(2)
	v_pk_mul_f32 v[10:11], v[2:3], v[10:11]
	ds_write2st64_b32 v7, v8, v9 offset1:2
	ds_write2st64_b32 v7, v10, v11 offset0:4 offset1:6
	ds_read2st64_b32 v[10:11], v7 offset0:16 offset1:18
	s_waitcnt lgkmcnt(4)
	v_pk_mul_f32 v[8:9], v[2:3], v[12:13]
	ds_write2st64_b32 v7, v8, v9 offset0:8 offset1:10
	s_waitcnt lgkmcnt(4)
	v_pk_mul_f32 v[8:9], v[2:3], v[14:15]
	ds_write2st64_b32 v7, v8, v9 offset0:12 offset1:14
	ds_read2st64_b32 v[8:9], v7 offset0:20 offset1:22
	s_waitcnt lgkmcnt(3)
	v_pk_mul_f32 v[10:11], v[2:3], v[10:11]
	ds_read2st64_b32 v[12:13], v7 offset0:24 offset1:26
	ds_write2st64_b32 v7, v10, v11 offset0:16 offset1:18
	ds_read2st64_b32 v[10:11], v7 offset0:28 offset1:30
	s_waitcnt lgkmcnt(3)
	v_pk_mul_f32 v[8:9], v[2:3], v[8:9]
	ds_write2st64_b32 v7, v8, v9 offset0:20 offset1:22
	s_waitcnt lgkmcnt(3)
	v_pk_mul_f32 v[8:9], v[2:3], v[12:13]
	ds_write2st64_b32 v7, v8, v9 offset0:24 offset1:26
	s_waitcnt lgkmcnt(2)
	v_pk_mul_f32 v[8:9], v[2:3], v[10:11]
	s_add_i32 s15, s15, 16
	v_cmp_eq_u32_e32 vcc, 0, v6
	ds_write2st64_b32 v7, v8, v9 offset0:28 offset1:30
	v_add_u32_e32 v7, 0x2000, v7
	s_or_b64 s[26:27], vcc, s[26:27]
	v_mov_b32_e32 v8, s15
	s_andn2_b64 exec, exec, s[26:27]
	s_cbranch_execnz .LBB106_28
; %bb.29:
	s_or_b64 exec, exec, s[26:27]
.LBB106_30:
	s_or_b64 exec, exec, s[8:9]
	v_and_b32_e32 v5, 7, v5
	v_cmp_ne_u32_e32 vcc, 0, v5
	s_and_saveexec_b64 s[8:9], vcc
	s_cbranch_execz .LBB106_33
; %bb.31:
	v_lshlrev_b32_e32 v6, 9, v8
	v_lshlrev_b32_e32 v7, 2, v0
	s_movk_i32 s15, 0x190
	v_add3_u32 v6, v6, v7, s15
	s_mov_b64 s[26:27], 0
.LBB106_32:                             ; =>This Inner Loop Header: Depth=1
	ds_read2st64_b32 v[8:9], v6 offset1:2
	v_add_u32_e32 v5, -1, v5
	v_cmp_eq_u32_e32 vcc, 0, v5
	s_or_b64 s[26:27], vcc, s[26:27]
	s_waitcnt lgkmcnt(0)
	v_pk_mul_f32 v[8:9], v[2:3], v[8:9]
	ds_write2st64_b32 v6, v8, v9 offset1:2
	v_add_u32_e32 v6, 0x400, v6
	s_andn2_b64 exec, exec, s[26:27]
	s_cbranch_execnz .LBB106_32
.LBB106_33:
	s_or_b64 exec, exec, s[8:9]
	v_add_u32_e32 v4, 1, v4
	v_and_b32_e32 v5, 0x3fffffe, v4
	v_cmp_ne_u32_e32 vcc, v4, v5
	v_lshl_add_u32 v3, v5, 7, v0
	s_orn2_b64 s[8:9], vcc, exec
.LBB106_34:
	s_or_b64 exec, exec, s[2:3]
	s_and_b64 exec, exec, s[8:9]
	s_cbranch_execz .LBB106_37
; %bb.35:
	v_mov_b32_e32 v4, 0x190
	v_lshl_add_u32 v4, v3, 2, v4
	s_mov_b64 s[2:3], 0
.LBB106_36:                             ; =>This Inner Loop Header: Depth=1
	ds_read_b32 v5, v4
	v_add_u32_e32 v3, 0x80, v3
	v_cmp_le_i32_e32 vcc, s12, v3
	s_or_b64 s[2:3], vcc, s[2:3]
	s_waitcnt lgkmcnt(0)
	v_mul_f32_e32 v5, v2, v5
	ds_write_b32 v4, v5
	v_add_u32_e32 v4, 0x200, v4
	s_andn2_b64 exec, exec, s[2:3]
	s_cbranch_execnz .LBB106_36
.LBB106_37:
	s_or_b64 exec, exec, s[0:1]
	v_mov_b32_e32 v7, 0
	v_and_b32_e32 v45, 3, v0
	v_mov_b32_e32 v6, 0
	v_mov_b32_e32 v9, 0
	;; [unrolled: 1-line block ×11, first 2 shown]
	s_waitcnt lgkmcnt(0)
	s_barrier
	s_and_saveexec_b64 s[2:3], s[6:7]
	s_cbranch_execz .LBB106_65
; %bb.38:
	s_ashr_i32 s15, s14, 31
	s_lshl_b64 s[0:1], s[14:15], 1
	s_add_u32 s6, s24, s0
	v_and_b32_e32 v3, 24, v52
	s_addc_u32 s7, s25, s1
	s_add_i32 s14, s17, -1
	s_lshl_b64 s[0:1], s[22:23], 2
	v_and_b32_e32 v2, 0x1f8, v52
	v_lshl_or_b32 v46, v1, 5, v3
	v_lshlrev_b32_e32 v3, 5, v45
	s_add_u32 s0, s20, s0
	v_mov_b32_e32 v17, 0
	v_or_b32_e32 v4, 0x800, v2
	v_or_b32_e32 v6, 0xa00, v2
	v_or_b32_e32 v8, 0xc00, v2
	v_or_b32_e32 v10, 0xe00, v2
	v_or_b32_e32 v12, 0x1000, v2
	v_or_b32_e32 v14, 0x1200, v2
	v_or_b32_e32 v18, 0x1400, v2
	v_or_b32_e32 v36, 0x1600, v2
	v_lshl_or_b32 v3, v1, 7, v3
	v_and_b32_e32 v16, 60, v53
	s_addc_u32 s1, s21, s1
	s_mov_b32 s26, s13
	s_mov_b32 s15, s33
	;; [unrolled: 1-line block ×8, first 2 shown]
	v_add_u32_e32 v47, 0x190, v3
	v_lshl_add_u64 v[20:21], s[0:1], 0, v[16:17]
	s_mov_b64 s[8:9], 0
	v_lshlrev_b32_e32 v22, 1, v2
	v_mov_b32_e32 v23, v17
	s_mov_b32 s20, 0x5040100
	v_lshlrev_b32_e32 v16, 1, v4
	v_lshlrev_b32_e32 v24, 1, v6
	;; [unrolled: 1-line block ×8, first 2 shown]
	v_mov_b32_e32 v7, v17
	v_mov_b32_e32 v6, v17
	;; [unrolled: 1-line block ×12, first 2 shown]
	s_branch .LBB106_40
.LBB106_39:                             ;   in Loop: Header=BB106_40 Depth=1
	s_or_b64 exec, exec, s[0:1]
	s_waitcnt vmcnt(0)
	;;#ASMSTART
	v_pk_mul_f16 v2, v56, v2;

	;;#ASMEND
	v_add_f32_e32 v25, v25, v67
	;;#ASMSTART
	v_pk_mul_f16 v3, v55, v3;

	;;#ASMEND
	;;#ASMSTART
	v_pk_mul_f16 v4, v54, v4;

	;;#ASMEND
	;; [unrolled: 4-line block ×3, first 2 shown]
	v_add_f32_e32 v13, v13, v25
	;;#ASMSTART
	v_pk_add_f16 v2, v2, v3;

	;;#ASMEND
	v_add_f32_e32 v25, v65, v66
	;;#ASMSTART
	v_pk_add_f16 v2, v2, v4;

	;;#ASMEND
	v_add_f32_e32 v12, v12, v25
	v_add_f32_e32 v25, v40, v41
	;;#ASMSTART
	v_pk_add_f16 v2, v2, v5;

	;;#ASMEND
	v_add_f32_e32 v15, v15, v25
	v_add_f32_e32 v25, v63, v64
	v_lshrrev_b32_e32 v3, 16, v2
	v_and_b32_e32 v2, 0xffff, v2
	v_add_f32_e32 v14, v14, v25
	v_add_f32_e32 v25, v61, v62
	;;#ASMSTART
	v_cvt_f32_f16 v2, v2;
	;;#ASMEND
	v_add_u32_e32 v1, 2, v1
	v_add_f32_e32 v35, v35, v72
	v_add_f32_e32 v33, v33, v71
	;; [unrolled: 1-line block ×7, first 2 shown]
	;;#ASMSTART
	v_cvt_f32_f16 v3, v3;
	;;#ASMEND
	v_cmp_le_i32_e32 vcc, s17, v1
	v_add_f32_e32 v2, v2, v3
	v_add_f32_e32 v6, v6, v35
	;; [unrolled: 1-line block ×8, first 2 shown]
	v_add_u32_e32 v46, 64, v46
	v_add_u32_e32 v47, 0x100, v47
	s_or_b64 s[8:9], vcc, s[8:9]
	v_lshl_add_u64 v[20:21], v[20:21], 0, 8
	s_andn2_b64 exec, exec, s[8:9]
	s_cbranch_execz .LBB106_64
.LBB106_40:                             ; =>This Inner Loop Header: Depth=1
	global_load_dword v48, v[20:21], off
	ds_read2_b64 v[2:5], v47 offset1:1
	ds_read2_b64 v[38:41], v47 offset0:2 offset1:3
	v_cmp_eq_u32_e32 vcc, s14, v1
	v_or_b32_e32 v50, 3, v46
	s_waitcnt lgkmcnt(1)
	;;#ASMSTART
	v_cvt_f16_f32 v25, v2;

	;;#ASMEND
	;;#ASMSTART
	v_cvt_f16_f32 v27, v3;

	;;#ASMEND
	;; [unrolled: 4-line block ×4, first 2 shown]
	s_waitcnt lgkmcnt(0)
	;;#ASMSTART
	v_cvt_f16_f32 v33, v38;

	;;#ASMEND
	;;#ASMSTART
	v_cvt_f16_f32 v35, v39;

	;;#ASMEND
	;; [unrolled: 4-line block ×4, first 2 shown]
	v_or_b32_e32 v49, 2, v46
	v_or_b32_e32 v53, 5, v46
	;; [unrolled: 1-line block ×5, first 2 shown]
	s_waitcnt vmcnt(0)
	v_mad_i64_i32 v[2:3], s[0:1], v48, s26, 0
	v_lshl_add_u64 v[38:39], v[2:3], 1, s[6:7]
	v_lshl_add_u64 v[40:41], v[38:39], 0, v[22:23]
	global_load_dwordx4 v[2:5], v[40:41], off
	v_add_u32_e32 v48, 1, v46
	s_and_saveexec_b64 s[12:13], vcc
	s_cbranch_execz .LBB106_42
; %bb.41:                               ;   in Loop: Header=BB106_40 Depth=1
	s_waitcnt vmcnt(0)
	v_lshrrev_b32_e32 v54, 16, v5
	v_cmp_gt_i32_e64 s[0:1], s30, v58
	s_nop 1
	v_cndmask_b32_e64 v54, 0, v54, s[0:1]
	v_cmp_gt_i32_e64 s[0:1], s29, v57
	s_nop 1
	v_cndmask_b32_e64 v5, 0, v5, s[0:1]
	v_perm_b32 v5, v54, v5, s20
	v_lshrrev_b32_e32 v54, 16, v4
	v_cmp_gt_i32_e64 s[0:1], s28, v53
	s_nop 1
	v_cndmask_b32_e64 v54, 0, v54, s[0:1]
	v_cmp_gt_i32_e64 s[0:1], s27, v51
	s_nop 1
	v_cndmask_b32_e64 v4, 0, v4, s[0:1]
	v_perm_b32 v4, v54, v4, s20
	;; [unrolled: 8-line block ×4, first 2 shown]
.LBB106_42:                             ;   in Loop: Header=BB106_40 Depth=1
	s_or_b64 exec, exec, s[12:13]
	v_and_b32_e32 v25, 0xffff, v25
	v_lshl_or_b32 v56, v27, 16, v25
	v_and_b32_e32 v25, 0xffff, v29
	v_lshl_or_b32 v55, v31, 16, v25
	;; [unrolled: 2-line block ×3, first 2 shown]
	v_and_b32_e32 v25, 0xffff, v37
	s_waitcnt vmcnt(0)
	;;#ASMSTART
	v_pk_mul_f16 v2, v56, v2;

	;;#ASMEND
	v_lshl_or_b32 v52, v52, 16, v25
	;;#ASMSTART
	v_pk_mul_f16 v3, v55, v3;

	;;#ASMEND
	;;#ASMSTART
	v_pk_mul_f16 v4, v54, v4;

	;;#ASMEND
	;; [unrolled: 4-line block ×3, first 2 shown]
	s_nop 0
	;;#ASMSTART
	v_pk_add_f16 v2, v2, v3;

	;;#ASMEND
	s_nop 0
	;;#ASMSTART
	v_pk_add_f16 v2, v2, v4;

	;;#ASMEND
	;; [unrolled: 5-line block ×3, first 2 shown]
	s_nop 0
	v_lshrrev_b32_e32 v3, 16, v2
	v_and_b32_e32 v2, 0xffff, v2
	;;#ASMSTART
	v_cvt_f32_f16 v59, v2;
	;;#ASMEND
	;;#ASMSTART
	v_cvt_f32_f16 v60, v3;
	;;#ASMEND
	global_load_dwordx4 v[2:5], v[40:41], off offset:1024
	s_and_saveexec_b64 s[12:13], vcc
	s_cbranch_execz .LBB106_44
; %bb.43:                               ;   in Loop: Header=BB106_40 Depth=1
	s_waitcnt vmcnt(0)
	v_lshrrev_b32_e32 v25, 16, v5
	v_cmp_gt_i32_e64 s[0:1], s30, v58
	s_nop 1
	v_cndmask_b32_e64 v25, 0, v25, s[0:1]
	v_cmp_gt_i32_e64 s[0:1], s29, v57
	s_nop 1
	v_cndmask_b32_e64 v5, 0, v5, s[0:1]
	v_perm_b32 v5, v25, v5, s20
	v_lshrrev_b32_e32 v25, 16, v4
	v_cmp_gt_i32_e64 s[0:1], s28, v53
	s_nop 1
	v_cndmask_b32_e64 v25, 0, v25, s[0:1]
	v_cmp_gt_i32_e64 s[0:1], s27, v51
	s_nop 1
	v_cndmask_b32_e64 v4, 0, v4, s[0:1]
	v_perm_b32 v4, v25, v4, s20
	;; [unrolled: 8-line block ×4, first 2 shown]
.LBB106_44:                             ;   in Loop: Header=BB106_40 Depth=1
	s_or_b64 exec, exec, s[12:13]
	s_waitcnt vmcnt(0)
	;;#ASMSTART
	v_pk_mul_f16 v2, v56, v2;

	;;#ASMEND
	;;#ASMSTART
	v_pk_mul_f16 v3, v55, v3;

	;;#ASMEND
	;; [unrolled: 4-line block ×4, first 2 shown]
	s_nop 0
	;;#ASMSTART
	v_pk_add_f16 v2, v2, v3;

	;;#ASMEND
	s_nop 0
	;;#ASMSTART
	v_pk_add_f16 v2, v2, v4;

	;;#ASMEND
	;; [unrolled: 5-line block ×3, first 2 shown]
	s_nop 0
	v_lshrrev_b32_e32 v3, 16, v2
	v_and_b32_e32 v2, 0xffff, v2
	;;#ASMSTART
	v_cvt_f32_f16 v61, v2;
	;;#ASMEND
	;;#ASMSTART
	v_cvt_f32_f16 v62, v3;
	;;#ASMEND
	global_load_dwordx4 v[2:5], v[40:41], off offset:2048
	s_and_saveexec_b64 s[12:13], vcc
	s_cbranch_execz .LBB106_46
; %bb.45:                               ;   in Loop: Header=BB106_40 Depth=1
	s_waitcnt vmcnt(0)
	v_lshrrev_b32_e32 v25, 16, v5
	v_cmp_gt_i32_e64 s[0:1], s30, v58
	s_nop 1
	v_cndmask_b32_e64 v25, 0, v25, s[0:1]
	v_cmp_gt_i32_e64 s[0:1], s29, v57
	s_nop 1
	v_cndmask_b32_e64 v5, 0, v5, s[0:1]
	v_perm_b32 v5, v25, v5, s20
	v_lshrrev_b32_e32 v25, 16, v4
	v_cmp_gt_i32_e64 s[0:1], s28, v53
	s_nop 1
	v_cndmask_b32_e64 v25, 0, v25, s[0:1]
	v_cmp_gt_i32_e64 s[0:1], s27, v51
	s_nop 1
	v_cndmask_b32_e64 v4, 0, v4, s[0:1]
	v_perm_b32 v4, v25, v4, s20
	;; [unrolled: 8-line block ×4, first 2 shown]
.LBB106_46:                             ;   in Loop: Header=BB106_40 Depth=1
	s_or_b64 exec, exec, s[12:13]
	s_waitcnt vmcnt(0)
	;;#ASMSTART
	v_pk_mul_f16 v2, v56, v2;

	;;#ASMEND
	;;#ASMSTART
	v_pk_mul_f16 v3, v55, v3;

	;;#ASMEND
	;; [unrolled: 4-line block ×4, first 2 shown]
	s_nop 0
	;;#ASMSTART
	v_pk_add_f16 v2, v2, v3;

	;;#ASMEND
	s_nop 0
	;;#ASMSTART
	v_pk_add_f16 v2, v2, v4;

	;;#ASMEND
	s_nop 0
	;;#ASMSTART
	v_pk_add_f16 v2, v2, v5;

	;;#ASMEND
	s_nop 0
	v_lshrrev_b32_e32 v3, 16, v2
	v_and_b32_e32 v2, 0xffff, v2
	;;#ASMSTART
	v_cvt_f32_f16 v63, v2;
	;;#ASMEND
	;;#ASMSTART
	v_cvt_f32_f16 v64, v3;
	;;#ASMEND
	global_load_dwordx4 v[2:5], v[40:41], off offset:3072
	s_and_saveexec_b64 s[12:13], vcc
	s_cbranch_execz .LBB106_48
; %bb.47:                               ;   in Loop: Header=BB106_40 Depth=1
	s_waitcnt vmcnt(0)
	v_lshrrev_b32_e32 v25, 16, v5
	v_cmp_gt_i32_e64 s[0:1], s30, v58
	s_nop 1
	v_cndmask_b32_e64 v25, 0, v25, s[0:1]
	v_cmp_gt_i32_e64 s[0:1], s29, v57
	s_nop 1
	v_cndmask_b32_e64 v5, 0, v5, s[0:1]
	v_perm_b32 v5, v25, v5, s20
	v_lshrrev_b32_e32 v25, 16, v4
	v_cmp_gt_i32_e64 s[0:1], s28, v53
	s_nop 1
	v_cndmask_b32_e64 v25, 0, v25, s[0:1]
	v_cmp_gt_i32_e64 s[0:1], s27, v51
	s_nop 1
	v_cndmask_b32_e64 v4, 0, v4, s[0:1]
	v_perm_b32 v4, v25, v4, s20
	;; [unrolled: 8-line block ×4, first 2 shown]
.LBB106_48:                             ;   in Loop: Header=BB106_40 Depth=1
	s_or_b64 exec, exec, s[12:13]
	s_waitcnt vmcnt(0)
	;;#ASMSTART
	v_pk_mul_f16 v2, v56, v2;

	;;#ASMEND
	;;#ASMSTART
	v_pk_mul_f16 v3, v55, v3;

	;;#ASMEND
	;; [unrolled: 4-line block ×4, first 2 shown]
	s_nop 0
	;;#ASMSTART
	v_pk_add_f16 v2, v2, v3;

	;;#ASMEND
	s_nop 0
	;;#ASMSTART
	v_pk_add_f16 v2, v2, v4;

	;;#ASMEND
	;; [unrolled: 5-line block ×3, first 2 shown]
	s_nop 0
	v_lshrrev_b32_e32 v3, 16, v2
	v_and_b32_e32 v2, 0xffff, v2
	;;#ASMSTART
	v_cvt_f32_f16 v40, v2;
	;;#ASMEND
	;;#ASMSTART
	v_cvt_f32_f16 v41, v3;
	;;#ASMEND
	v_lshl_add_u64 v[2:3], v[38:39], 0, v[16:17]
	global_load_dwordx4 v[2:5], v[2:3], off
	s_and_saveexec_b64 s[12:13], vcc
	s_cbranch_execz .LBB106_50
; %bb.49:                               ;   in Loop: Header=BB106_40 Depth=1
	s_waitcnt vmcnt(0)
	v_lshrrev_b32_e32 v25, 16, v5
	v_cmp_gt_i32_e64 s[0:1], s30, v58
	s_nop 1
	v_cndmask_b32_e64 v25, 0, v25, s[0:1]
	v_cmp_gt_i32_e64 s[0:1], s29, v57
	s_nop 1
	v_cndmask_b32_e64 v5, 0, v5, s[0:1]
	v_perm_b32 v5, v25, v5, s20
	v_lshrrev_b32_e32 v25, 16, v4
	v_cmp_gt_i32_e64 s[0:1], s28, v53
	s_nop 1
	v_cndmask_b32_e64 v25, 0, v25, s[0:1]
	v_cmp_gt_i32_e64 s[0:1], s27, v51
	s_nop 1
	v_cndmask_b32_e64 v4, 0, v4, s[0:1]
	v_perm_b32 v4, v25, v4, s20
	;; [unrolled: 8-line block ×4, first 2 shown]
.LBB106_50:                             ;   in Loop: Header=BB106_40 Depth=1
	s_or_b64 exec, exec, s[12:13]
	s_waitcnt vmcnt(0)
	;;#ASMSTART
	v_pk_mul_f16 v2, v56, v2;

	;;#ASMEND
	;;#ASMSTART
	v_pk_mul_f16 v3, v55, v3;

	;;#ASMEND
	;; [unrolled: 4-line block ×4, first 2 shown]
	v_mov_b32_e32 v25, v17
	;;#ASMSTART
	v_pk_add_f16 v2, v2, v3;

	;;#ASMEND
	s_nop 0
	;;#ASMSTART
	v_pk_add_f16 v2, v2, v4;

	;;#ASMEND
	s_nop 0
	;; [unrolled: 5-line block ×3, first 2 shown]
	v_lshrrev_b32_e32 v3, 16, v2
	v_and_b32_e32 v2, 0xffff, v2
	;;#ASMSTART
	v_cvt_f32_f16 v65, v2;
	;;#ASMEND
	;;#ASMSTART
	v_cvt_f32_f16 v66, v3;
	;;#ASMEND
	v_lshl_add_u64 v[2:3], v[38:39], 0, v[24:25]
	global_load_dwordx4 v[2:5], v[2:3], off
	s_and_saveexec_b64 s[12:13], vcc
	s_cbranch_execz .LBB106_52
; %bb.51:                               ;   in Loop: Header=BB106_40 Depth=1
	s_waitcnt vmcnt(0)
	v_lshrrev_b32_e32 v25, 16, v5
	v_cmp_gt_i32_e64 s[0:1], s30, v58
	s_nop 1
	v_cndmask_b32_e64 v25, 0, v25, s[0:1]
	v_cmp_gt_i32_e64 s[0:1], s29, v57
	s_nop 1
	v_cndmask_b32_e64 v5, 0, v5, s[0:1]
	v_perm_b32 v5, v25, v5, s20
	v_lshrrev_b32_e32 v25, 16, v4
	v_cmp_gt_i32_e64 s[0:1], s28, v53
	s_nop 1
	v_cndmask_b32_e64 v25, 0, v25, s[0:1]
	v_cmp_gt_i32_e64 s[0:1], s27, v51
	s_nop 1
	v_cndmask_b32_e64 v4, 0, v4, s[0:1]
	v_perm_b32 v4, v25, v4, s20
	;; [unrolled: 8-line block ×4, first 2 shown]
.LBB106_52:                             ;   in Loop: Header=BB106_40 Depth=1
	s_or_b64 exec, exec, s[12:13]
	s_waitcnt vmcnt(0)
	;;#ASMSTART
	v_pk_mul_f16 v2, v56, v2;

	;;#ASMEND
	;;#ASMSTART
	v_pk_mul_f16 v3, v55, v3;

	;;#ASMEND
	;; [unrolled: 4-line block ×4, first 2 shown]
	v_mov_b32_e32 v27, v17
	;;#ASMSTART
	v_pk_add_f16 v2, v2, v3;

	;;#ASMEND
	s_nop 0
	;;#ASMSTART
	v_pk_add_f16 v2, v2, v4;

	;;#ASMEND
	s_nop 0
	;;#ASMSTART
	v_pk_add_f16 v2, v2, v5;

	;;#ASMEND
	s_nop 0
	v_lshrrev_b32_e32 v3, 16, v2
	v_and_b32_e32 v2, 0xffff, v2
	;;#ASMSTART
	v_cvt_f32_f16 v25, v2;
	;;#ASMEND
	;;#ASMSTART
	v_cvt_f32_f16 v67, v3;
	;;#ASMEND
	v_lshl_add_u64 v[2:3], v[38:39], 0, v[26:27]
	global_load_dwordx4 v[2:5], v[2:3], off
	s_and_saveexec_b64 s[12:13], vcc
	s_cbranch_execz .LBB106_54
; %bb.53:                               ;   in Loop: Header=BB106_40 Depth=1
	s_waitcnt vmcnt(0)
	v_lshrrev_b32_e32 v27, 16, v5
	v_cmp_gt_i32_e64 s[0:1], s30, v58
	s_nop 1
	v_cndmask_b32_e64 v27, 0, v27, s[0:1]
	v_cmp_gt_i32_e64 s[0:1], s29, v57
	s_nop 1
	v_cndmask_b32_e64 v5, 0, v5, s[0:1]
	v_perm_b32 v5, v27, v5, s20
	v_lshrrev_b32_e32 v27, 16, v4
	v_cmp_gt_i32_e64 s[0:1], s28, v53
	s_nop 1
	v_cndmask_b32_e64 v27, 0, v27, s[0:1]
	v_cmp_gt_i32_e64 s[0:1], s27, v51
	s_nop 1
	v_cndmask_b32_e64 v4, 0, v4, s[0:1]
	v_perm_b32 v4, v27, v4, s20
	;; [unrolled: 8-line block ×4, first 2 shown]
.LBB106_54:                             ;   in Loop: Header=BB106_40 Depth=1
	s_or_b64 exec, exec, s[12:13]
	s_waitcnt vmcnt(0)
	;;#ASMSTART
	v_pk_mul_f16 v2, v56, v2;

	;;#ASMEND
	;;#ASMSTART
	v_pk_mul_f16 v3, v55, v3;

	;;#ASMEND
	;; [unrolled: 4-line block ×4, first 2 shown]
	v_mov_b32_e32 v29, v17
	;;#ASMSTART
	v_pk_add_f16 v2, v2, v3;

	;;#ASMEND
	s_nop 0
	;;#ASMSTART
	v_pk_add_f16 v2, v2, v4;

	;;#ASMEND
	s_nop 0
	;; [unrolled: 5-line block ×3, first 2 shown]
	v_lshrrev_b32_e32 v3, 16, v2
	v_and_b32_e32 v2, 0xffff, v2
	;;#ASMSTART
	v_cvt_f32_f16 v27, v2;
	;;#ASMEND
	;;#ASMSTART
	v_cvt_f32_f16 v68, v3;
	;;#ASMEND
	v_lshl_add_u64 v[2:3], v[38:39], 0, v[28:29]
	global_load_dwordx4 v[2:5], v[2:3], off
	s_and_saveexec_b64 s[12:13], vcc
	s_cbranch_execz .LBB106_56
; %bb.55:                               ;   in Loop: Header=BB106_40 Depth=1
	s_waitcnt vmcnt(0)
	v_lshrrev_b32_e32 v29, 16, v5
	v_cmp_gt_i32_e64 s[0:1], s30, v58
	s_nop 1
	v_cndmask_b32_e64 v29, 0, v29, s[0:1]
	v_cmp_gt_i32_e64 s[0:1], s29, v57
	s_nop 1
	v_cndmask_b32_e64 v5, 0, v5, s[0:1]
	v_perm_b32 v5, v29, v5, s20
	v_lshrrev_b32_e32 v29, 16, v4
	v_cmp_gt_i32_e64 s[0:1], s28, v53
	s_nop 1
	v_cndmask_b32_e64 v29, 0, v29, s[0:1]
	v_cmp_gt_i32_e64 s[0:1], s27, v51
	s_nop 1
	v_cndmask_b32_e64 v4, 0, v4, s[0:1]
	v_perm_b32 v4, v29, v4, s20
	v_lshrrev_b32_e32 v29, 16, v3
	v_cmp_gt_i32_e64 s[0:1], s25, v50
	s_nop 1
	v_cndmask_b32_e64 v29, 0, v29, s[0:1]
	v_cmp_gt_i32_e64 s[0:1], s24, v49
	s_nop 1
	v_cndmask_b32_e64 v3, 0, v3, s[0:1]
	v_perm_b32 v3, v29, v3, s20
	v_lshrrev_b32_e32 v29, 16, v2
	v_cmp_gt_i32_e64 s[0:1], s15, v48
	s_nop 1
	v_cndmask_b32_e64 v29, 0, v29, s[0:1]
	v_cmp_gt_i32_e64 s[0:1], s33, v46
	s_nop 1
	v_cndmask_b32_e64 v2, 0, v2, s[0:1]
	v_perm_b32 v2, v29, v2, s20
.LBB106_56:                             ;   in Loop: Header=BB106_40 Depth=1
	s_or_b64 exec, exec, s[12:13]
	s_waitcnt vmcnt(0)
	;;#ASMSTART
	v_pk_mul_f16 v2, v56, v2;

	;;#ASMEND
	;;#ASMSTART
	v_pk_mul_f16 v3, v55, v3;

	;;#ASMEND
	;; [unrolled: 4-line block ×4, first 2 shown]
	v_mov_b32_e32 v31, v17
	;;#ASMSTART
	v_pk_add_f16 v2, v2, v3;

	;;#ASMEND
	s_nop 0
	;;#ASMSTART
	v_pk_add_f16 v2, v2, v4;

	;;#ASMEND
	s_nop 0
	;; [unrolled: 5-line block ×3, first 2 shown]
	v_lshrrev_b32_e32 v3, 16, v2
	v_and_b32_e32 v2, 0xffff, v2
	;;#ASMSTART
	v_cvt_f32_f16 v29, v2;
	;;#ASMEND
	;;#ASMSTART
	v_cvt_f32_f16 v69, v3;
	;;#ASMEND
	v_lshl_add_u64 v[2:3], v[38:39], 0, v[30:31]
	global_load_dwordx4 v[2:5], v[2:3], off
	s_and_saveexec_b64 s[12:13], vcc
	s_cbranch_execz .LBB106_58
; %bb.57:                               ;   in Loop: Header=BB106_40 Depth=1
	s_waitcnt vmcnt(0)
	v_lshrrev_b32_e32 v31, 16, v5
	v_cmp_gt_i32_e64 s[0:1], s30, v58
	s_nop 1
	v_cndmask_b32_e64 v31, 0, v31, s[0:1]
	v_cmp_gt_i32_e64 s[0:1], s29, v57
	s_nop 1
	v_cndmask_b32_e64 v5, 0, v5, s[0:1]
	v_perm_b32 v5, v31, v5, s20
	v_lshrrev_b32_e32 v31, 16, v4
	v_cmp_gt_i32_e64 s[0:1], s28, v53
	s_nop 1
	v_cndmask_b32_e64 v31, 0, v31, s[0:1]
	v_cmp_gt_i32_e64 s[0:1], s27, v51
	s_nop 1
	v_cndmask_b32_e64 v4, 0, v4, s[0:1]
	v_perm_b32 v4, v31, v4, s20
	;; [unrolled: 8-line block ×4, first 2 shown]
.LBB106_58:                             ;   in Loop: Header=BB106_40 Depth=1
	s_or_b64 exec, exec, s[12:13]
	s_waitcnt vmcnt(0)
	;;#ASMSTART
	v_pk_mul_f16 v2, v56, v2;

	;;#ASMEND
	;;#ASMSTART
	v_pk_mul_f16 v3, v55, v3;

	;;#ASMEND
	;; [unrolled: 4-line block ×4, first 2 shown]
	v_mov_b32_e32 v33, v17
	;;#ASMSTART
	v_pk_add_f16 v2, v2, v3;

	;;#ASMEND
	s_nop 0
	;;#ASMSTART
	v_pk_add_f16 v2, v2, v4;

	;;#ASMEND
	s_nop 0
	;; [unrolled: 5-line block ×3, first 2 shown]
	v_lshrrev_b32_e32 v3, 16, v2
	v_and_b32_e32 v2, 0xffff, v2
	;;#ASMSTART
	v_cvt_f32_f16 v31, v2;
	;;#ASMEND
	;;#ASMSTART
	v_cvt_f32_f16 v70, v3;
	;;#ASMEND
	v_lshl_add_u64 v[2:3], v[38:39], 0, v[32:33]
	global_load_dwordx4 v[2:5], v[2:3], off
	s_and_saveexec_b64 s[12:13], vcc
	s_cbranch_execz .LBB106_60
; %bb.59:                               ;   in Loop: Header=BB106_40 Depth=1
	s_waitcnt vmcnt(0)
	v_lshrrev_b32_e32 v33, 16, v5
	v_cmp_gt_i32_e64 s[0:1], s30, v58
	s_nop 1
	v_cndmask_b32_e64 v33, 0, v33, s[0:1]
	v_cmp_gt_i32_e64 s[0:1], s29, v57
	s_nop 1
	v_cndmask_b32_e64 v5, 0, v5, s[0:1]
	v_perm_b32 v5, v33, v5, s20
	v_lshrrev_b32_e32 v33, 16, v4
	v_cmp_gt_i32_e64 s[0:1], s28, v53
	s_nop 1
	v_cndmask_b32_e64 v33, 0, v33, s[0:1]
	v_cmp_gt_i32_e64 s[0:1], s27, v51
	s_nop 1
	v_cndmask_b32_e64 v4, 0, v4, s[0:1]
	v_perm_b32 v4, v33, v4, s20
	;; [unrolled: 8-line block ×4, first 2 shown]
.LBB106_60:                             ;   in Loop: Header=BB106_40 Depth=1
	s_or_b64 exec, exec, s[12:13]
	s_waitcnt vmcnt(0)
	;;#ASMSTART
	v_pk_mul_f16 v2, v56, v2;

	;;#ASMEND
	;;#ASMSTART
	v_pk_mul_f16 v3, v55, v3;

	;;#ASMEND
	;; [unrolled: 4-line block ×4, first 2 shown]
	v_mov_b32_e32 v35, v17
	;;#ASMSTART
	v_pk_add_f16 v2, v2, v3;

	;;#ASMEND
	s_nop 0
	;;#ASMSTART
	v_pk_add_f16 v2, v2, v4;

	;;#ASMEND
	s_nop 0
	;; [unrolled: 5-line block ×3, first 2 shown]
	v_lshrrev_b32_e32 v3, 16, v2
	v_and_b32_e32 v2, 0xffff, v2
	;;#ASMSTART
	v_cvt_f32_f16 v33, v2;
	;;#ASMEND
	;;#ASMSTART
	v_cvt_f32_f16 v71, v3;
	;;#ASMEND
	v_lshl_add_u64 v[2:3], v[38:39], 0, v[34:35]
	global_load_dwordx4 v[2:5], v[2:3], off
	s_and_saveexec_b64 s[12:13], vcc
	s_cbranch_execz .LBB106_62
; %bb.61:                               ;   in Loop: Header=BB106_40 Depth=1
	s_waitcnt vmcnt(0)
	v_lshrrev_b32_e32 v35, 16, v5
	v_cmp_gt_i32_e64 s[0:1], s30, v58
	s_nop 1
	v_cndmask_b32_e64 v35, 0, v35, s[0:1]
	v_cmp_gt_i32_e64 s[0:1], s29, v57
	s_nop 1
	v_cndmask_b32_e64 v5, 0, v5, s[0:1]
	v_perm_b32 v5, v35, v5, s20
	v_lshrrev_b32_e32 v35, 16, v4
	v_cmp_gt_i32_e64 s[0:1], s28, v53
	s_nop 1
	v_cndmask_b32_e64 v35, 0, v35, s[0:1]
	v_cmp_gt_i32_e64 s[0:1], s27, v51
	s_nop 1
	v_cndmask_b32_e64 v4, 0, v4, s[0:1]
	v_perm_b32 v4, v35, v4, s20
	;; [unrolled: 8-line block ×4, first 2 shown]
.LBB106_62:                             ;   in Loop: Header=BB106_40 Depth=1
	s_or_b64 exec, exec, s[12:13]
	s_waitcnt vmcnt(0)
	;;#ASMSTART
	v_pk_mul_f16 v2, v56, v2;

	;;#ASMEND
	;;#ASMSTART
	v_pk_mul_f16 v3, v55, v3;

	;;#ASMEND
	;; [unrolled: 4-line block ×4, first 2 shown]
	v_mov_b32_e32 v37, v17
	;;#ASMSTART
	v_pk_add_f16 v2, v2, v3;

	;;#ASMEND
	s_nop 0
	;;#ASMSTART
	v_pk_add_f16 v2, v2, v4;

	;;#ASMEND
	s_nop 0
	;; [unrolled: 5-line block ×3, first 2 shown]
	v_lshrrev_b32_e32 v3, 16, v2
	v_and_b32_e32 v2, 0xffff, v2
	;;#ASMSTART
	v_cvt_f32_f16 v35, v2;
	;;#ASMEND
	;;#ASMSTART
	v_cvt_f32_f16 v72, v3;
	;;#ASMEND
	v_lshl_add_u64 v[2:3], v[38:39], 0, v[36:37]
	global_load_dwordx4 v[2:5], v[2:3], off
	s_and_saveexec_b64 s[0:1], vcc
	s_cbranch_execz .LBB106_39
; %bb.63:                               ;   in Loop: Header=BB106_40 Depth=1
	s_waitcnt vmcnt(0)
	v_lshrrev_b32_e32 v37, 16, v5
	v_cmp_gt_i32_e32 vcc, s30, v58
	s_nop 1
	v_cndmask_b32_e32 v37, 0, v37, vcc
	v_cmp_gt_i32_e32 vcc, s29, v57
	s_nop 1
	v_cndmask_b32_e32 v5, 0, v5, vcc
	v_perm_b32 v5, v37, v5, s20
	v_lshrrev_b32_e32 v37, 16, v4
	v_cmp_gt_i32_e32 vcc, s28, v53
	s_nop 1
	v_cndmask_b32_e32 v37, 0, v37, vcc
	v_cmp_gt_i32_e32 vcc, s27, v51
	s_nop 1
	v_cndmask_b32_e32 v4, 0, v4, vcc
	v_perm_b32 v4, v37, v4, s20
	;; [unrolled: 8-line block ×4, first 2 shown]
	s_branch .LBB106_39
.LBB106_64:
	s_or_b64 exec, exec, s[8:9]
.LBB106_65:
	s_or_b64 exec, exec, s[2:3]
	ds_bpermute_b32 v2, v43, v18
	ds_bpermute_b32 v3, v43, v19
	;; [unrolled: 1-line block ×6, first 2 shown]
	s_waitcnt lgkmcnt(4)
	v_pk_add_f32 v[2:3], v[18:19], v[2:3]
	ds_bpermute_b32 v16, v44, v2
	ds_bpermute_b32 v17, v44, v3
	;; [unrolled: 1-line block ×4, first 2 shown]
	s_waitcnt lgkmcnt(6)
	v_pk_add_f32 v[4:5], v[14:15], v[4:5]
	ds_bpermute_b32 v28, v43, v6
	s_waitcnt lgkmcnt(3)
	v_pk_add_f32 v[2:3], v[2:3], v[16:17]
	ds_bpermute_b32 v29, v43, v7
	;; [unrolled: 3-line block ×3, first 2 shown]
	ds_bpermute_b32 v13, v43, v11
	ds_bpermute_b32 v14, v44, v4
	;; [unrolled: 1-line block ×3, first 2 shown]
	v_pk_add_f32 v[20:21], v[8:9], v[20:21]
	ds_bpermute_b32 v18, v44, v16
	s_waitcnt lgkmcnt(3)
	v_pk_add_f32 v[22:23], v[10:11], v[12:13]
	ds_bpermute_b32 v19, v44, v17
	ds_bpermute_b32 v24, v44, v22
	;; [unrolled: 1-line block ×5, first 2 shown]
	v_pk_add_f32 v[6:7], v[6:7], v[28:29]
	s_waitcnt lgkmcnt(6)
	v_pk_add_f32 v[12:13], v[4:5], v[14:15]
	ds_bpermute_b32 v14, v44, v6
	ds_bpermute_b32 v15, v44, v7
	v_and_b32_e32 v1, 0x3c3, v0
	s_waitcnt lgkmcnt(6)
	v_pk_add_f32 v[10:11], v[16:17], v[18:19]
	s_waitcnt lgkmcnt(4)
	v_pk_add_f32 v[8:9], v[22:23], v[24:25]
	;; [unrolled: 2-line block ×3, first 2 shown]
	v_cmp_ne_u32_e32 vcc, 64, v1
	s_waitcnt lgkmcnt(0)
	s_barrier
	s_and_saveexec_b64 s[0:1], vcc
	s_xor_b64 s[0:1], exec, s[0:1]
; %bb.66:
                                        ; implicit-def: $vgpr42
; %bb.67:
	s_or_saveexec_b64 s[0:1], s[0:1]
	v_pk_add_f32 v[6:7], v[6:7], v[14:15]
	s_xor_b64 exec, exec, s[0:1]
	s_cbranch_execz .LBB106_69
; %bb.68:
	v_add_u32_e32 v14, 0x190, v42
	ds_write2_b32 v14, v2, v3 offset1:16
	ds_write2_b32 v14, v12, v13 offset0:32 offset1:48
	ds_write2_b32 v14, v10, v11 offset0:64 offset1:80
	;; [unrolled: 1-line block ×5, first 2 shown]
.LBB106_69:
	s_or_b64 exec, exec, s[0:1]
	v_cmp_gt_u32_e32 vcc, 64, v0
	s_waitcnt lgkmcnt(0)
	s_barrier
	s_and_saveexec_b64 s[0:1], vcc
	s_cbranch_execz .LBB106_84
; %bb.70:
	v_cmp_eq_u32_e32 vcc, 0, v45
	v_lshrrev_b32_e32 v14, 2, v0
	s_and_saveexec_b64 s[2:3], vcc
	s_cbranch_execnz .LBB106_87
; %bb.71:
	s_or_b64 exec, exec, s[2:3]
	s_and_saveexec_b64 s[2:3], vcc
	s_cbranch_execnz .LBB106_88
.LBB106_72:
	s_or_b64 exec, exec, s[2:3]
	s_and_saveexec_b64 s[2:3], vcc
	s_cbranch_execnz .LBB106_89
.LBB106_73:
	s_or_b64 exec, exec, s[2:3]
	s_and_saveexec_b64 s[2:3], vcc
	s_cbranch_execnz .LBB106_90
.LBB106_74:
	s_or_b64 exec, exec, s[2:3]
	s_and_saveexec_b64 s[2:3], vcc
	s_cbranch_execnz .LBB106_91
.LBB106_75:
	s_or_b64 exec, exec, s[2:3]
	s_and_saveexec_b64 s[2:3], vcc
	s_cbranch_execnz .LBB106_92
.LBB106_76:
	s_or_b64 exec, exec, s[2:3]
	s_and_saveexec_b64 s[2:3], vcc
	s_cbranch_execnz .LBB106_93
.LBB106_77:
	s_or_b64 exec, exec, s[2:3]
	s_and_saveexec_b64 s[2:3], vcc
	s_cbranch_execnz .LBB106_94
.LBB106_78:
	s_or_b64 exec, exec, s[2:3]
	s_and_saveexec_b64 s[2:3], vcc
	s_cbranch_execnz .LBB106_95
.LBB106_79:
	s_or_b64 exec, exec, s[2:3]
	s_and_saveexec_b64 s[2:3], vcc
	s_cbranch_execnz .LBB106_96
.LBB106_80:
	s_or_b64 exec, exec, s[2:3]
	s_and_saveexec_b64 s[2:3], vcc
	s_cbranch_execnz .LBB106_97
.LBB106_81:
	s_or_b64 exec, exec, s[2:3]
	s_and_saveexec_b64 s[2:3], vcc
	s_cbranch_execz .LBB106_83
.LBB106_82:
	v_mov_b32_e32 v15, 0x190
	v_lshl_add_u32 v14, v14, 2, v15
	ds_read_b32 v14, v14 offset:704
	s_waitcnt lgkmcnt(0)
	v_add_f32_e32 v7, v7, v14
.LBB106_83:
	s_or_b64 exec, exec, s[2:3]
.LBB106_84:
	s_or_b64 exec, exec, s[0:1]
	v_cmp_eq_u32_e32 vcc, 0, v1
	s_barrier
	s_and_saveexec_b64 s[0:1], vcc
	s_cbranch_execz .LBB106_86
; %bb.85:
	s_mul_i32 s0, s10, s11
	s_mul_i32 s0, s0, s5
	s_mulk_i32 s0, 0xc0
	s_ashr_i32 s1, s0, 31
	s_lshl_b64 s[0:1], s[0:1], 1
	s_add_u32 s2, s18, s0
	s_mul_i32 s0, s11, s16
	s_addc_u32 s3, s19, s1
	s_ashr_i32 s1, s0, 31
	s_lshl_b64 s[0:1], s[0:1], 1
	s_add_u32 s2, s2, s0
	s_mul_i32 s0, s4, 0xc0
	s_addc_u32 s3, s3, s1
	s_ashr_i32 s1, s0, 31
	s_lshl_b64 s[0:1], s[0:1], 1
	s_add_u32 s0, s2, s0
	s_addc_u32 s1, s3, s1
	v_lshrrev_b32_e32 v0, 1, v0
	;;#ASMSTART
	v_cvt_f16_f32 v1, v2;

	;;#ASMEND
	global_store_short v0, v1, s[0:1]
	;;#ASMSTART
	v_cvt_f16_f32 v1, v3;

	;;#ASMEND
	global_store_short v0, v1, s[0:1] offset:32
	;;#ASMSTART
	v_cvt_f16_f32 v1, v12;

	;;#ASMEND
	global_store_short v0, v1, s[0:1] offset:64
	;; [unrolled: 5-line block ×11, first 2 shown]
.LBB106_86:
	s_endpgm
.LBB106_87:
	v_mov_b32_e32 v15, 0x190
	v_lshl_add_u32 v15, v14, 2, v15
	ds_read_b32 v15, v15
	s_waitcnt lgkmcnt(0)
	v_add_f32_e32 v2, v2, v15
	s_or_b64 exec, exec, s[2:3]
	s_and_saveexec_b64 s[2:3], vcc
	s_cbranch_execz .LBB106_72
.LBB106_88:
	v_mov_b32_e32 v15, 0x190
	v_lshl_add_u32 v15, v14, 2, v15
	ds_read_b32 v15, v15 offset:64
	s_waitcnt lgkmcnt(0)
	v_add_f32_e32 v3, v3, v15
	s_or_b64 exec, exec, s[2:3]
	s_and_saveexec_b64 s[2:3], vcc
	s_cbranch_execz .LBB106_73
.LBB106_89:
	v_mov_b32_e32 v15, 0x190
	v_lshl_add_u32 v15, v14, 2, v15
	ds_read_b32 v15, v15 offset:128
	s_waitcnt lgkmcnt(0)
	v_add_f32_e32 v12, v12, v15
	s_or_b64 exec, exec, s[2:3]
	s_and_saveexec_b64 s[2:3], vcc
	s_cbranch_execz .LBB106_74
.LBB106_90:
	v_mov_b32_e32 v15, 0x190
	v_lshl_add_u32 v15, v14, 2, v15
	ds_read_b32 v15, v15 offset:192
	s_waitcnt lgkmcnt(0)
	v_add_f32_e32 v13, v13, v15
	s_or_b64 exec, exec, s[2:3]
	s_and_saveexec_b64 s[2:3], vcc
	s_cbranch_execz .LBB106_75
.LBB106_91:
	v_mov_b32_e32 v15, 0x190
	v_lshl_add_u32 v15, v14, 2, v15
	ds_read_b32 v15, v15 offset:256
	s_waitcnt lgkmcnt(0)
	v_add_f32_e32 v10, v10, v15
	s_or_b64 exec, exec, s[2:3]
	s_and_saveexec_b64 s[2:3], vcc
	s_cbranch_execz .LBB106_76
.LBB106_92:
	v_mov_b32_e32 v15, 0x190
	v_lshl_add_u32 v15, v14, 2, v15
	ds_read_b32 v15, v15 offset:320
	s_waitcnt lgkmcnt(0)
	v_add_f32_e32 v11, v11, v15
	s_or_b64 exec, exec, s[2:3]
	s_and_saveexec_b64 s[2:3], vcc
	s_cbranch_execz .LBB106_77
.LBB106_93:
	v_mov_b32_e32 v15, 0x190
	v_lshl_add_u32 v15, v14, 2, v15
	ds_read_b32 v15, v15 offset:384
	s_waitcnt lgkmcnt(0)
	v_add_f32_e32 v8, v8, v15
	s_or_b64 exec, exec, s[2:3]
	s_and_saveexec_b64 s[2:3], vcc
	s_cbranch_execz .LBB106_78
.LBB106_94:
	v_mov_b32_e32 v15, 0x190
	v_lshl_add_u32 v15, v14, 2, v15
	ds_read_b32 v15, v15 offset:448
	s_waitcnt lgkmcnt(0)
	v_add_f32_e32 v9, v9, v15
	s_or_b64 exec, exec, s[2:3]
	s_and_saveexec_b64 s[2:3], vcc
	s_cbranch_execz .LBB106_79
.LBB106_95:
	v_mov_b32_e32 v15, 0x190
	v_lshl_add_u32 v15, v14, 2, v15
	ds_read_b32 v15, v15 offset:512
	s_waitcnt lgkmcnt(0)
	v_add_f32_e32 v4, v4, v15
	s_or_b64 exec, exec, s[2:3]
	s_and_saveexec_b64 s[2:3], vcc
	s_cbranch_execz .LBB106_80
.LBB106_96:
	v_mov_b32_e32 v15, 0x190
	v_lshl_add_u32 v15, v14, 2, v15
	ds_read_b32 v15, v15 offset:576
	s_waitcnt lgkmcnt(0)
	v_add_f32_e32 v5, v5, v15
	s_or_b64 exec, exec, s[2:3]
	s_and_saveexec_b64 s[2:3], vcc
	s_cbranch_execz .LBB106_81
.LBB106_97:
	v_mov_b32_e32 v15, 0x190
	v_lshl_add_u32 v15, v14, 2, v15
	ds_read_b32 v15, v15 offset:640
	s_waitcnt lgkmcnt(0)
	v_add_f32_e32 v6, v6, v15
	s_or_b64 exec, exec, s[2:3]
	s_and_saveexec_b64 s[2:3], vcc
	s_cbranch_execnz .LBB106_82
	s_branch .LBB106_83
	.section	.rodata,"a",@progbits
	.p2align	6, 0x0
	.amdhsa_kernel _ZN4vllm25paged_attention_v1_kernelIttLi192ELi32ELi128ELNS_18Fp8KVCacheDataTypeE0ELb0EEEvPT_PKS2_PKT0_S8_ifPKiSA_iPKfiiiSC_SC_iiiii
		.amdhsa_group_segment_fixed_size 400
		.amdhsa_private_segment_fixed_size 0
		.amdhsa_kernarg_size 384
		.amdhsa_user_sgpr_count 2
		.amdhsa_user_sgpr_dispatch_ptr 0
		.amdhsa_user_sgpr_queue_ptr 0
		.amdhsa_user_sgpr_kernarg_segment_ptr 1
		.amdhsa_user_sgpr_dispatch_id 0
		.amdhsa_user_sgpr_kernarg_preload_length 0
		.amdhsa_user_sgpr_kernarg_preload_offset 0
		.amdhsa_user_sgpr_private_segment_size 0
		.amdhsa_uses_dynamic_stack 0
		.amdhsa_enable_private_segment 0
		.amdhsa_system_sgpr_workgroup_id_x 1
		.amdhsa_system_sgpr_workgroup_id_y 1
		.amdhsa_system_sgpr_workgroup_id_z 1
		.amdhsa_system_sgpr_workgroup_info 0
		.amdhsa_system_vgpr_workitem_id 0
		.amdhsa_next_free_vgpr 87
		.amdhsa_next_free_sgpr 36
		.amdhsa_accum_offset 88
		.amdhsa_reserve_vcc 1
		.amdhsa_float_round_mode_32 0
		.amdhsa_float_round_mode_16_64 0
		.amdhsa_float_denorm_mode_32 3
		.amdhsa_float_denorm_mode_16_64 3
		.amdhsa_dx10_clamp 1
		.amdhsa_ieee_mode 1
		.amdhsa_fp16_overflow 0
		.amdhsa_tg_split 0
		.amdhsa_exception_fp_ieee_invalid_op 0
		.amdhsa_exception_fp_denorm_src 0
		.amdhsa_exception_fp_ieee_div_zero 0
		.amdhsa_exception_fp_ieee_overflow 0
		.amdhsa_exception_fp_ieee_underflow 0
		.amdhsa_exception_fp_ieee_inexact 0
		.amdhsa_exception_int_div_zero 0
	.end_amdhsa_kernel
	.section	.text._ZN4vllm25paged_attention_v1_kernelIttLi192ELi32ELi128ELNS_18Fp8KVCacheDataTypeE0ELb0EEEvPT_PKS2_PKT0_S8_ifPKiSA_iPKfiiiSC_SC_iiiii,"axG",@progbits,_ZN4vllm25paged_attention_v1_kernelIttLi192ELi32ELi128ELNS_18Fp8KVCacheDataTypeE0ELb0EEEvPT_PKS2_PKT0_S8_ifPKiSA_iPKfiiiSC_SC_iiiii,comdat
.Lfunc_end106:
	.size	_ZN4vllm25paged_attention_v1_kernelIttLi192ELi32ELi128ELNS_18Fp8KVCacheDataTypeE0ELb0EEEvPT_PKS2_PKT0_S8_ifPKiSA_iPKfiiiSC_SC_iiiii, .Lfunc_end106-_ZN4vllm25paged_attention_v1_kernelIttLi192ELi32ELi128ELNS_18Fp8KVCacheDataTypeE0ELb0EEEvPT_PKS2_PKT0_S8_ifPKiSA_iPKfiiiSC_SC_iiiii
                                        ; -- End function
	.section	.AMDGPU.csdata,"",@progbits
; Kernel info:
; codeLenInByte = 12180
; NumSgprs: 42
; NumVgprs: 87
; NumAgprs: 0
; TotalNumVgprs: 87
; ScratchSize: 0
; MemoryBound: 0
; FloatMode: 240
; IeeeMode: 1
; LDSByteSize: 400 bytes/workgroup (compile time only)
; SGPRBlocks: 5
; VGPRBlocks: 10
; NumSGPRsForWavesPerEU: 42
; NumVGPRsForWavesPerEU: 87
; AccumOffset: 88
; Occupancy: 5
; WaveLimiterHint : 1
; COMPUTE_PGM_RSRC2:SCRATCH_EN: 0
; COMPUTE_PGM_RSRC2:USER_SGPR: 2
; COMPUTE_PGM_RSRC2:TRAP_HANDLER: 0
; COMPUTE_PGM_RSRC2:TGID_X_EN: 1
; COMPUTE_PGM_RSRC2:TGID_Y_EN: 1
; COMPUTE_PGM_RSRC2:TGID_Z_EN: 1
; COMPUTE_PGM_RSRC2:TIDIG_COMP_CNT: 0
; COMPUTE_PGM_RSRC3_GFX90A:ACCUM_OFFSET: 21
; COMPUTE_PGM_RSRC3_GFX90A:TG_SPLIT: 0
	.section	.text._ZN4vllm25paged_attention_v1_kernelIttLi256ELi32ELi128ELNS_18Fp8KVCacheDataTypeE0ELb0EEEvPT_PKS2_PKT0_S8_ifPKiSA_iPKfiiiSC_SC_iiiii,"axG",@progbits,_ZN4vllm25paged_attention_v1_kernelIttLi256ELi32ELi128ELNS_18Fp8KVCacheDataTypeE0ELb0EEEvPT_PKS2_PKT0_S8_ifPKiSA_iPKfiiiSC_SC_iiiii,comdat
	.protected	_ZN4vllm25paged_attention_v1_kernelIttLi256ELi32ELi128ELNS_18Fp8KVCacheDataTypeE0ELb0EEEvPT_PKS2_PKT0_S8_ifPKiSA_iPKfiiiSC_SC_iiiii ; -- Begin function _ZN4vllm25paged_attention_v1_kernelIttLi256ELi32ELi128ELNS_18Fp8KVCacheDataTypeE0ELb0EEEvPT_PKS2_PKT0_S8_ifPKiSA_iPKfiiiSC_SC_iiiii
	.globl	_ZN4vllm25paged_attention_v1_kernelIttLi256ELi32ELi128ELNS_18Fp8KVCacheDataTypeE0ELb0EEEvPT_PKS2_PKT0_S8_ifPKiSA_iPKfiiiSC_SC_iiiii
	.p2align	8
	.type	_ZN4vllm25paged_attention_v1_kernelIttLi256ELi32ELi128ELNS_18Fp8KVCacheDataTypeE0ELb0EEEvPT_PKS2_PKT0_S8_ifPKiSA_iPKfiiiSC_SC_iiiii,@function
_ZN4vllm25paged_attention_v1_kernelIttLi256ELi32ELi128ELNS_18Fp8KVCacheDataTypeE0ELb0EEEvPT_PKS2_PKT0_S8_ifPKiSA_iPKfiiiSC_SC_iiiii: ; @_ZN4vllm25paged_attention_v1_kernelIttLi256ELi32ELi128ELNS_18Fp8KVCacheDataTypeE0ELb0EEEvPT_PKS2_PKT0_S8_ifPKiSA_iPKfiiiSC_SC_iiiii
; %bb.0:
	s_load_dword s5, s[0:1], 0x80
	s_load_dwordx2 s[6:7], s[0:1], 0x30
	s_load_dwordx2 s[10:11], s[0:1], 0x20
	s_mov_b32 s16, s3
	s_ashr_i32 s17, s3, 31
	s_lshl_b64 s[8:9], s[16:17], 2
	s_waitcnt lgkmcnt(0)
	s_add_u32 s6, s6, s8
	s_addc_u32 s7, s7, s9
	s_abs_i32 s3, s10
	v_cvt_f32_u32_e32 v1, s3
	s_xor_b32 s8, s5, s10
	s_sub_i32 s10, 0, s3
	s_abs_i32 s9, s5
	v_rcp_iflag_f32_e32 v1, v1
	s_ashr_i32 s8, s8, 31
	v_mul_f32_e32 v1, 0x4f7ffffe, v1
	v_cvt_u32_f32_e32 v1, v1
	s_nop 0
	v_readfirstlane_b32 s12, v1
	s_mul_i32 s10, s10, s12
	s_mul_hi_u32 s10, s12, s10
	s_add_i32 s12, s12, s10
	s_mul_hi_u32 s10, s9, s12
	s_mul_i32 s12, s10, s3
	s_sub_i32 s9, s9, s12
	s_add_i32 s12, s10, 1
	s_sub_i32 s13, s9, s3
	s_cmp_ge_u32 s9, s3
	s_cselect_b32 s10, s12, s10
	s_cselect_b32 s9, s13, s9
	s_add_i32 s12, s10, 1
	s_cmp_ge_u32 s9, s3
	s_cselect_b32 s3, s12, s10
	s_xor_b32 s3, s3, s8
	s_sub_i32 s12, s3, s8
	s_abs_i32 s17, s12
	v_cvt_f32_u32_e32 v1, s17
	s_load_dwordx2 s[8:9], s[0:1], 0x40
	s_sub_i32 s3, 0, s17
	s_abs_i32 s20, s2
	v_rcp_iflag_f32_e32 v1, v1
	s_mov_b32 s10, 0
	v_mul_f32_e32 v1, 0x4f7ffffe, v1
	v_cvt_u32_f32_e32 v1, v1
	s_nop 0
	v_readfirstlane_b32 s13, v1
	s_mul_i32 s3, s3, s13
	s_mul_hi_u32 s3, s13, s3
	s_add_i32 s13, s13, s3
	s_waitcnt lgkmcnt(0)
	s_cmp_eq_u64 s[8:9], 0
	s_mul_hi_u32 s21, s20, s13
	s_cbranch_scc1 .LBB107_2
; %bb.1:
	s_ashr_i32 s3, s2, 31
	s_lshl_b64 s[14:15], s[2:3], 2
	s_add_u32 s8, s8, s14
	s_addc_u32 s9, s9, s15
	s_load_dword s10, s[8:9], 0x0
.LBB107_2:
	s_load_dword s33, s[6:7], 0x0
	s_ashr_i32 s9, s12, 31
	s_load_dwordx4 s[12:15], s[0:1], 0x48
	s_ashr_i32 s8, s2, 31
	v_and_b32_e32 v4, 1, v0
	s_lshl_b32 s18, s2, 8
	v_cmp_gt_u32_e64 s[6:7], 64, v0
	v_lshlrev_b32_e32 v66, 3, v0
	s_and_saveexec_b64 s[2:3], s[6:7]
	s_cbranch_execz .LBB107_4
; %bb.3:
	s_load_dwordx2 s[22:23], s[0:1], 0x8
	s_waitcnt lgkmcnt(0)
	s_mul_i32 s24, s16, s12
	s_ashr_i32 s25, s24, 31
	s_lshl_b64 s[24:25], s[24:25], 1
	v_lshlrev_b32_e32 v1, 2, v0
	s_add_u32 s12, s22, s24
	s_addc_u32 s15, s23, s25
	s_ashr_i32 s19, s18, 31
	s_lshl_b64 s[22:23], s[18:19], 1
	s_add_u32 s22, s12, s22
	s_addc_u32 s23, s15, s23
	global_load_dwordx2 v[2:3], v66, s[22:23]
	v_and_b32_e32 v1, 0xff8, v1
	v_lshl_add_u32 v1, v4, 8, v1
	s_waitcnt vmcnt(0)
	ds_write_b64 v1, v[2:3]
.LBB107_4:
	s_or_b64 exec, exec, s[2:3]
	s_waitcnt lgkmcnt(0)
	s_add_i32 s3, s33, 31
	s_ashr_i32 s12, s3, 31
	s_lshr_b32 s12, s12, 27
	s_add_i32 s3, s3, s12
	s_ashr_i32 s19, s3, 5
	s_xor_b32 s3, s8, s9
	s_mul_i32 s8, s21, s17
	s_sub_i32 s8, s20, s8
	s_add_i32 s9, s21, 1
	s_sub_i32 s12, s8, s17
	s_load_dwordx2 s[22:23], s[0:1], 0x28
	s_load_dword s2, s[0:1], 0x38
	s_cmp_ge_u32 s8, s17
	s_cselect_b32 s9, s9, s21
	s_cselect_b32 s8, s12, s8
	s_add_i32 s12, s9, 1
	s_cmp_ge_u32 s8, s17
	s_cselect_b32 s8, s12, s9
	v_lshrrev_b32_e32 v1, 6, v0
	s_xor_b32 s8, s8, s3
	s_waitcnt lgkmcnt(0)
	s_mul_i32 s24, s16, s2
	s_sub_i32 s12, s8, s3
	s_ashr_i32 s25, s24, 31
	v_cmp_gt_i32_e64 s[2:3], s19, v1
	v_cmp_le_i32_e32 vcc, s19, v1
	v_mbcnt_lo_u32_b32 v6, -1, 0
	s_barrier
	s_waitcnt lgkmcnt(0)
                                        ; implicit-def: $sgpr15
                                        ; implicit-def: $vgpr68
                                        ; implicit-def: $vgpr69
	s_and_saveexec_b64 s[8:9], vcc
	s_xor_b64 s[8:9], exec, s[8:9]
; %bb.5:
	v_mbcnt_hi_u32_b32 v68, -1, v6
	v_and_b32_e32 v2, 64, v68
	v_add_u32_e32 v69, 64, v2
	s_mov_b32 s15, 0xff7fffff
                                        ; implicit-def: $vgpr4
                                        ; implicit-def: $vgpr6
; %bb.6:
	s_or_saveexec_b64 s[28:29], s[8:9]
	s_load_dwordx2 s[20:21], s[0:1], 0x0
	s_load_dwordx2 s[26:27], s[0:1], 0x18
	s_load_dword s17, s[0:1], 0x88
	v_mov_b32_e32 v70, s15
	s_mul_i32 s14, s12, s14
	v_lshrrev_b32_e32 v67, 4, v0
	s_xor_b64 exec, exec, s[28:29]
	s_cbranch_execz .LBB107_12
; %bb.7:
	s_load_dwordx2 s[0:1], s[0:1], 0x10
	s_ashr_i32 s15, s14, 31
	s_lshl_b64 s[8:9], s[14:15], 1
	v_bfe_u32 v5, v0, 1, 5
	v_lshlrev_b32_e32 v8, 4, v5
	s_waitcnt lgkmcnt(0)
	s_add_u32 s0, s0, s8
	s_addc_u32 s1, s1, s9
	v_mov_b32_e32 v9, 0
	s_sub_i32 s15, 1, s33
	s_lshl_b64 s[8:9], s[24:25], 2
	v_lshl_add_u64 v[2:3], s[0:1], 0, v[8:9]
	v_and_b32_e32 v8, 8, v66
	v_lshlrev_b32_e32 v71, 8, v4
	v_cmp_eq_u32_e32 vcc, 0, v4
	v_lshlrev_b32_e32 v4, 2, v5
	s_add_u32 s8, s22, s8
	v_mbcnt_hi_u32_b32 v68, -1, v6
	v_lshl_add_u64 v[2:3], v[2:3], 0, v[8:9]
	v_lshl_or_b32 v4, v1, 7, v4
	v_and_b32_e32 v8, 60, v67
	s_addc_u32 s9, s23, s9
	v_and_b32_e32 v6, 64, v68
	s_mov_b32 s12, s13
	v_cmp_neq_f32_e64 s[0:1], s10, 0
	v_lshl_or_b32 v72, v1, 5, v5
	v_add_u32_e32 v73, 0x210, v4
	v_lshl_add_u64 v[4:5], s[8:9], 0, v[8:9]
	s_mov_b64 s[30:31], 0
	v_mov_b32_e32 v70, 0xff7fffff
	s_movk_i32 s36, 0x1000
	s_movk_i32 s37, 0x2000
	;; [unrolled: 1-line block ×3, first 2 shown]
	v_xor_b32_e32 v74, 1, v68
	v_add_u32_e32 v69, 64, v6
	v_mov_b32_e32 v75, v1
	s_branch .LBB107_9
.LBB107_8:                              ;   in Loop: Header=BB107_9 Depth=1
	s_or_b64 exec, exec, s[34:35]
	v_add_u32_e32 v75, 2, v75
	v_cmp_le_i32_e64 s[8:9], s19, v75
	v_add_u32_e32 v72, 64, v72
	v_add_u32_e32 v73, 0x100, v73
	s_or_b64 s[30:31], s[8:9], s[30:31]
	v_lshl_add_u64 v[4:5], v[4:5], 0, 8
	s_andn2_b64 exec, exec, s[30:31]
	s_cbranch_execz .LBB107_11
.LBB107_9:                              ; =>This Inner Loop Header: Depth=1
	global_load_dword v6, v[4:5], off
	s_waitcnt vmcnt(0) lgkmcnt(0)
	v_mad_i64_i32 v[6:7], s[8:9], v6, s12, 0
	v_lshl_add_u64 v[6:7], v[6:7], 1, v[2:3]
	global_load_dwordx2 v[76:77], v[6:7], off
	global_load_dwordx2 v[64:65], v[6:7], off offset:512
	global_load_dwordx2 v[78:79], v[6:7], off offset:1024
	;; [unrolled: 1-line block ×6, first 2 shown]
	ds_read_b64 v[8:9], v71
	global_load_dwordx2 v[52:53], v[6:7], off offset:3584
	s_waitcnt lgkmcnt(0)
	v_lshrrev_b32_e32 v80, 16, v8
	v_and_b32_e32 v81, 0xffff, v8
	v_add_co_u32_e64 v8, s[8:9], s36, v6
	v_lshrrev_b32_e32 v82, 16, v9
	v_and_b32_e32 v83, 0xffff, v9
	v_addc_co_u32_e64 v9, s[8:9], 0, v7, s[8:9]
	v_add_co_u32_e64 v54, s[8:9], s37, v6
	s_waitcnt vmcnt(7)
	v_lshrrev_b32_e32 v84, 16, v76
	v_addc_co_u32_e64 v55, s[8:9], 0, v7, s[8:9]
	v_add_co_u32_e64 v6, s[8:9], s38, v6
	v_and_b32_e32 v76, 0xffff, v76
	s_nop 0
	v_addc_co_u32_e64 v7, s[8:9], 0, v7, s[8:9]
	global_load_dwordx2 v[50:51], v[8:9], off offset:512
	global_load_dwordx2 v[48:49], v[8:9], off offset:1024
	global_load_dwordx2 v[46:47], v[8:9], off offset:1536
	global_load_dwordx2 v[44:45], v[8:9], off offset:2048
	global_load_dwordx2 v[36:37], v[54:55], off
	global_load_dwordx2 v[34:35], v[54:55], off offset:512
	global_load_dwordx2 v[32:33], v[54:55], off offset:1024
	;; [unrolled: 1-line block ×10, first 2 shown]
	global_load_dwordx2 v[20:21], v[6:7], off
	global_load_dwordx2 v[18:19], v[6:7], off offset:512
	global_load_dwordx2 v[16:17], v[6:7], off offset:1024
	global_load_dwordx2 v[14:15], v[6:7], off offset:1536
	global_load_dwordx2 v[12:13], v[6:7], off offset:2048
	global_load_dwordx2 v[10:11], v[6:7], off offset:2560
	global_load_dwordx2 v[8:9], v[6:7], off offset:3072
	s_nop 0
	global_load_dwordx2 v[54:55], v[54:55], off offset:-4096
	s_nop 0
	global_load_dwordx2 v[6:7], v[6:7], off offset:3584
	v_lshrrev_b32_e32 v85, 16, v77
	v_and_b32_e32 v77, 0xffff, v77
	;;#ASMSTART
	v_cvt_f32_f16 v81, v81;
	;;#ASMEND
	;;#ASMSTART
	v_cvt_f32_f16 v80, v80;
	;;#ASMEND
	s_waitcnt vmcnt(26)
	v_and_b32_e32 v98, 0xffff, v59
	v_lshrrev_b32_e32 v99, 16, v59
	s_waitcnt vmcnt(25)
	v_and_b32_e32 v100, 0xffff, v56
	v_lshrrev_b32_e32 v101, 16, v56
	v_and_b32_e32 v102, 0xffff, v57
	v_lshrrev_b32_e32 v103, 16, v57
	;;#ASMSTART
	v_cvt_f32_f16 v59, v76;
	;;#ASMEND
	;;#ASMSTART
	v_cvt_f32_f16 v76, v84;
	;;#ASMEND
	;; [unrolled: 3-line block ×6, first 2 shown]
	ds_read_b64 v[56:57], v71 offset:8
	v_and_b32_e32 v96, 0xffff, v58
	v_lshrrev_b32_e32 v97, 16, v58
	v_and_b32_e32 v86, 0xffff, v64
	v_and_b32_e32 v92, 0xffff, v60
	s_waitcnt lgkmcnt(0)
	v_and_b32_e32 v58, 0xffff, v56
	v_lshrrev_b32_e32 v56, 16, v56
	v_lshrrev_b32_e32 v93, 16, v60
	v_and_b32_e32 v94, 0xffff, v61
	v_lshrrev_b32_e32 v95, 16, v61
	v_lshrrev_b32_e32 v60, 16, v57
	v_and_b32_e32 v61, 0xffff, v57
	;;#ASMSTART
	v_cvt_f32_f16 v57, v58;
	;;#ASMEND
	;;#ASMSTART
	v_cvt_f32_f16 v58, v56;
	;;#ASMEND
	;; [unrolled: 3-line block ×3, first 2 shown]
	v_lshrrev_b32_e32 v64, 16, v64
	v_mul_f32_e32 v56, v57, v56
	;;#ASMSTART
	v_cvt_f32_f16 v57, v64;
	;;#ASMEND
	v_and_b32_e32 v87, 0xffff, v65
	v_lshrrev_b32_e32 v65, 16, v65
	v_mul_f32_e32 v57, v58, v57
	;;#ASMSTART
	v_cvt_f32_f16 v58, v61;
	;;#ASMEND
	;;#ASMSTART
	v_cvt_f32_f16 v64, v60;
	;;#ASMEND
	;;#ASMSTART
	v_cvt_f32_f16 v60, v87;
	;;#ASMEND
	;;#ASMSTART
	v_cvt_f32_f16 v65, v65;
	;;#ASMEND
	v_and_b32_e32 v88, 0xffff, v78
	v_mul_f32_e32 v58, v58, v60
	ds_read_b64 v[60:61], v71 offset:16
	v_lshrrev_b32_e32 v78, 16, v78
	v_and_b32_e32 v89, 0xffff, v79
	v_lshrrev_b32_e32 v79, 16, v79
	v_fmac_f32_e32 v56, v81, v59
	v_mul_f32_e32 v59, v64, v65
	s_waitcnt lgkmcnt(0)
	v_and_b32_e32 v64, 0xffff, v60
	v_lshrrev_b32_e32 v60, 16, v60
	v_lshrrev_b32_e32 v65, 16, v61
	v_and_b32_e32 v61, 0xffff, v61
	v_fmac_f32_e32 v57, v80, v76
	v_fmac_f32_e32 v58, v83, v77
	;;#ASMSTART
	v_cvt_f32_f16 v64, v64;
	;;#ASMEND
	;;#ASMSTART
	v_cvt_f32_f16 v76, v60;
	;;#ASMEND
	;; [unrolled: 3-line block ×8, first 2 shown]
	ds_read_b64 v[60:61], v71 offset:24
	v_fmac_f32_e32 v59, v82, v84
	v_and_b32_e32 v90, 0xffff, v62
	v_lshrrev_b32_e32 v62, 16, v62
	v_and_b32_e32 v91, 0xffff, v63
	v_lshrrev_b32_e32 v63, 16, v63
	v_fmac_f32_e32 v56, v64, v77
	v_fmac_f32_e32 v59, v65, v79
	s_waitcnt lgkmcnt(0)
	v_and_b32_e32 v64, 0xffff, v60
	v_lshrrev_b32_e32 v60, 16, v60
	v_lshrrev_b32_e32 v65, 16, v61
	v_and_b32_e32 v61, 0xffff, v61
	v_fmac_f32_e32 v57, v76, v78
	;;#ASMSTART
	v_cvt_f32_f16 v64, v64;
	;;#ASMEND
	;;#ASMSTART
	v_cvt_f32_f16 v76, v60;
	;;#ASMEND
	;; [unrolled: 3-line block ×8, first 2 shown]
	ds_read_b64 v[60:61], v71 offset:32
	v_fmac_f32_e32 v58, v80, v81
	v_fmac_f32_e32 v57, v76, v62
	;; [unrolled: 1-line block ×4, first 2 shown]
	s_waitcnt lgkmcnt(0)
	v_and_b32_e32 v62, 0xffff, v60
	v_lshrrev_b32_e32 v60, 16, v60
	v_lshrrev_b32_e32 v63, 16, v61
	v_and_b32_e32 v61, 0xffff, v61
	v_fmac_f32_e32 v58, v78, v79
	;;#ASMSTART
	v_cvt_f32_f16 v62, v62;
	;;#ASMEND
	;;#ASMSTART
	v_cvt_f32_f16 v64, v60;
	;;#ASMEND
	;; [unrolled: 3-line block ×8, first 2 shown]
	ds_read_b64 v[60:61], v71 offset:40
	v_fmac_f32_e32 v56, v62, v65
	v_fmac_f32_e32 v59, v63, v79
	;; [unrolled: 1-line block ×4, first 2 shown]
	s_waitcnt lgkmcnt(0)
	v_and_b32_e32 v62, 0xffff, v60
	v_lshrrev_b32_e32 v60, 16, v60
	v_lshrrev_b32_e32 v63, 16, v61
	v_and_b32_e32 v61, 0xffff, v61
	;;#ASMSTART
	v_cvt_f32_f16 v62, v62;
	;;#ASMEND
	;;#ASMSTART
	v_cvt_f32_f16 v64, v60;
	;;#ASMEND
	;;#ASMSTART
	v_cvt_f32_f16 v65, v96;
	;;#ASMEND
	;;#ASMSTART
	v_cvt_f32_f16 v76, v97;
	;;#ASMEND
	;;#ASMSTART
	v_cvt_f32_f16 v77, v61;
	;;#ASMEND
	;;#ASMSTART
	v_cvt_f32_f16 v63, v63;
	;;#ASMEND
	;;#ASMSTART
	v_cvt_f32_f16 v78, v98;
	;;#ASMEND
	;;#ASMSTART
	v_cvt_f32_f16 v79, v99;
	;;#ASMEND
	ds_read_b64 v[60:61], v71 offset:48
	v_fmac_f32_e32 v56, v62, v65
	v_fmac_f32_e32 v59, v63, v79
	;; [unrolled: 1-line block ×4, first 2 shown]
	s_waitcnt lgkmcnt(0)
	v_and_b32_e32 v62, 0xffff, v60
	v_lshrrev_b32_e32 v60, 16, v60
	v_lshrrev_b32_e32 v63, 16, v61
	v_and_b32_e32 v61, 0xffff, v61
	;;#ASMSTART
	v_cvt_f32_f16 v62, v62;
	;;#ASMEND
	;;#ASMSTART
	v_cvt_f32_f16 v64, v60;
	;;#ASMEND
	;; [unrolled: 3-line block ×8, first 2 shown]
	ds_read_b64 v[60:61], v71 offset:56
	s_waitcnt vmcnt(24)
	v_and_b32_e32 v85, 0xffff, v52
	v_lshrrev_b32_e32 v52, 16, v52
	v_fmac_f32_e32 v56, v62, v65
	v_fmac_f32_e32 v57, v64, v76
	s_waitcnt lgkmcnt(0)
	v_and_b32_e32 v62, 0xffff, v60
	v_lshrrev_b32_e32 v60, 16, v60
	v_fmac_f32_e32 v59, v63, v79
	v_lshrrev_b32_e32 v63, 16, v61
	v_and_b32_e32 v61, 0xffff, v61
	;;#ASMSTART
	v_cvt_f32_f16 v62, v62;
	;;#ASMEND
	;;#ASMSTART
	v_cvt_f32_f16 v60, v60;
	;;#ASMEND
	;; [unrolled: 3-line block ×4, first 2 shown]
	v_and_b32_e32 v52, 0xffff, v53
	;;#ASMSTART
	v_cvt_f32_f16 v61, v61;
	;;#ASMEND
	;;#ASMSTART
	v_cvt_f32_f16 v63, v63;
	;;#ASMEND
	;; [unrolled: 3-line block ×3, first 2 shown]
	v_lshrrev_b32_e32 v52, 16, v53
	v_fmac_f32_e32 v58, v77, v78
	;;#ASMSTART
	v_cvt_f32_f16 v77, v52;
	;;#ASMEND
	ds_read_b64 v[52:53], v71 offset:64
	v_fmac_f32_e32 v57, v60, v65
	v_fmac_f32_e32 v58, v61, v76
	;; [unrolled: 1-line block ×4, first 2 shown]
	s_waitcnt lgkmcnt(0)
	v_and_b32_e32 v60, 0xffff, v52
	v_lshrrev_b32_e32 v52, 16, v52
	;;#ASMSTART
	v_cvt_f32_f16 v60, v60;
	;;#ASMEND
	;;#ASMSTART
	v_cvt_f32_f16 v61, v52;
	;;#ASMEND
	s_waitcnt vmcnt(1)
	v_and_b32_e32 v52, 0xffff, v54
	;;#ASMSTART
	v_cvt_f32_f16 v62, v52;
	;;#ASMEND
	v_lshrrev_b32_e32 v52, 16, v54
	;;#ASMSTART
	v_cvt_f32_f16 v54, v52;
	;;#ASMEND
	v_lshrrev_b32_e32 v52, 16, v53
	v_and_b32_e32 v53, 0xffff, v53
	;;#ASMSTART
	v_cvt_f32_f16 v63, v53;
	;;#ASMEND
	;;#ASMSTART
	v_cvt_f32_f16 v64, v52;
	;;#ASMEND
	v_and_b32_e32 v52, 0xffff, v55
	;;#ASMSTART
	v_cvt_f32_f16 v65, v52;
	;;#ASMEND
	v_lshrrev_b32_e32 v52, 16, v55
	;;#ASMSTART
	v_cvt_f32_f16 v55, v52;
	;;#ASMEND
	ds_read_b64 v[52:53], v71 offset:72
	v_fmac_f32_e32 v57, v61, v54
	v_fmac_f32_e32 v59, v64, v55
	v_and_b32_e32 v55, 0xffff, v50
	v_lshrrev_b32_e32 v50, 16, v50
	s_waitcnt lgkmcnt(0)
	v_and_b32_e32 v54, 0xffff, v52
	v_lshrrev_b32_e32 v52, 16, v52
	v_fmac_f32_e32 v56, v60, v62
	;;#ASMSTART
	v_cvt_f32_f16 v54, v54;
	;;#ASMEND
	;;#ASMSTART
	v_cvt_f32_f16 v52, v52;
	;;#ASMEND
	;; [unrolled: 3-line block ×4, first 2 shown]
	v_lshrrev_b32_e32 v50, 16, v53
	v_and_b32_e32 v53, 0xffff, v53
	v_lshrrev_b32_e32 v61, 16, v51
	v_and_b32_e32 v51, 0xffff, v51
	v_fmac_f32_e32 v58, v63, v65
	;;#ASMSTART
	v_cvt_f32_f16 v53, v53;
	;;#ASMEND
	;;#ASMSTART
	v_cvt_f32_f16 v62, v50;
	;;#ASMEND
	;; [unrolled: 3-line block ×4, first 2 shown]
	ds_read_b64 v[50:51], v71 offset:80
	v_fmac_f32_e32 v57, v52, v60
	v_fmac_f32_e32 v58, v53, v63
	v_and_b32_e32 v53, 0xffff, v48
	v_lshrrev_b32_e32 v48, 16, v48
	s_waitcnt lgkmcnt(0)
	v_lshrrev_b32_e32 v52, 16, v50
	v_and_b32_e32 v50, 0xffff, v50
	v_fmac_f32_e32 v56, v54, v55
	;;#ASMSTART
	v_cvt_f32_f16 v50, v50;
	;;#ASMEND
	;;#ASMSTART
	v_cvt_f32_f16 v52, v52;
	;;#ASMEND
	;; [unrolled: 3-line block ×4, first 2 shown]
	v_lshrrev_b32_e32 v48, 16, v51
	v_and_b32_e32 v51, 0xffff, v51
	;;#ASMSTART
	v_cvt_f32_f16 v51, v51;
	;;#ASMEND
	;;#ASMSTART
	v_cvt_f32_f16 v55, v48;
	;;#ASMEND
	v_lshrrev_b32_e32 v48, 16, v49
	v_and_b32_e32 v49, 0xffff, v49
	v_fmac_f32_e32 v59, v62, v61
	;;#ASMSTART
	v_cvt_f32_f16 v60, v49;
	;;#ASMEND
	;;#ASMSTART
	v_cvt_f32_f16 v61, v48;
	;;#ASMEND
	ds_read_b64 v[48:49], v71 offset:88
	v_fmac_f32_e32 v56, v50, v53
	v_fmac_f32_e32 v58, v51, v60
	v_lshrrev_b32_e32 v51, 16, v46
	v_and_b32_e32 v46, 0xffff, v46
	s_waitcnt lgkmcnt(0)
	v_lshrrev_b32_e32 v50, 16, v48
	v_and_b32_e32 v48, 0xffff, v48
	v_fmac_f32_e32 v57, v52, v54
	;;#ASMSTART
	v_cvt_f32_f16 v48, v48;
	;;#ASMEND
	;;#ASMSTART
	v_cvt_f32_f16 v50, v50;
	;;#ASMEND
	;;#ASMSTART
	v_cvt_f32_f16 v52, v46;
	;;#ASMEND
	v_lshrrev_b32_e32 v46, 16, v49
	v_and_b32_e32 v49, 0xffff, v49
	;;#ASMSTART
	v_cvt_f32_f16 v51, v51;
	;;#ASMEND
	;;#ASMSTART
	v_cvt_f32_f16 v49, v49;
	;;#ASMEND
	;;#ASMSTART
	v_cvt_f32_f16 v53, v46;
	;;#ASMEND
	v_lshrrev_b32_e32 v46, 16, v47
	v_and_b32_e32 v47, 0xffff, v47
	v_fmac_f32_e32 v59, v55, v61
	;;#ASMSTART
	v_cvt_f32_f16 v54, v47;
	;;#ASMEND
	;;#ASMSTART
	v_cvt_f32_f16 v55, v46;
	;;#ASMEND
	ds_read_b64 v[46:47], v71 offset:96
	v_fmac_f32_e32 v56, v48, v52
	v_fmac_f32_e32 v58, v49, v54
	v_lshrrev_b32_e32 v49, 16, v44
	v_and_b32_e32 v44, 0xffff, v44
	s_waitcnt lgkmcnt(0)
	v_lshrrev_b32_e32 v48, 16, v46
	v_and_b32_e32 v46, 0xffff, v46
	v_fmac_f32_e32 v57, v50, v51
	;;#ASMSTART
	v_cvt_f32_f16 v46, v46;
	;;#ASMEND
	;;#ASMSTART
	v_cvt_f32_f16 v48, v48;
	;;#ASMEND
	;;#ASMSTART
	v_cvt_f32_f16 v50, v44;
	;;#ASMEND
	v_lshrrev_b32_e32 v44, 16, v47
	v_and_b32_e32 v47, 0xffff, v47
	;;#ASMSTART
	v_cvt_f32_f16 v49, v49;
	;;#ASMEND
	;; [unrolled: 38-line block ×20, first 2 shown]
	;;#ASMSTART
	v_cvt_f32_f16 v11, v11;
	;;#ASMEND
	;;#ASMSTART
	v_cvt_f32_f16 v15, v8;
	;;#ASMEND
	v_lshrrev_b32_e32 v8, 16, v9
	v_and_b32_e32 v9, 0xffff, v9
	v_fmac_f32_e32 v59, v17, v19
	;;#ASMSTART
	v_cvt_f32_f16 v16, v9;
	;;#ASMEND
	;;#ASMSTART
	v_cvt_f32_f16 v17, v8;
	;;#ASMEND
	ds_read_b64 v[8:9], v71 offset:248
	v_fmac_f32_e32 v56, v10, v14
	v_fmac_f32_e32 v58, v11, v16
	s_waitcnt vmcnt(0)
	v_lshrrev_b32_e32 v11, 16, v6
	v_and_b32_e32 v6, 0xffff, v6
	s_waitcnt lgkmcnt(0)
	v_lshrrev_b32_e32 v10, 16, v8
	v_and_b32_e32 v8, 0xffff, v8
	;;#ASMSTART
	v_cvt_f32_f16 v8, v8;
	;;#ASMEND
	;;#ASMSTART
	v_cvt_f32_f16 v10, v10;
	;;#ASMEND
	;; [unrolled: 3-line block ×3, first 2 shown]
	v_fmac_f32_e32 v57, v12, v13
	v_fmac_f32_e32 v56, v8, v6
	v_lshrrev_b32_e32 v6, 16, v9
	v_and_b32_e32 v8, 0xffff, v9
	v_fmac_f32_e32 v59, v15, v17
	;;#ASMSTART
	v_cvt_f32_f16 v11, v11;
	;;#ASMEND
	;;#ASMSTART
	v_cvt_f32_f16 v8, v8;
	;;#ASMEND
	;; [unrolled: 3-line block ×3, first 2 shown]
	v_lshrrev_b32_e32 v9, 16, v7
	v_fmac_f32_e32 v57, v10, v11
	v_and_b32_e32 v7, 0xffff, v7
	;;#ASMSTART
	v_cvt_f32_f16 v7, v7;
	;;#ASMEND
	;;#ASMSTART
	v_cvt_f32_f16 v9, v9;
	;;#ASMEND
	v_cmp_lt_i32_e64 s[8:9], v74, v69
	v_fmac_f32_e32 v58, v8, v7
	v_fmac_f32_e32 v59, v6, v9
	v_add_f32_e32 v6, v56, v57
	v_add_f32_e32 v6, v6, v58
	v_cndmask_b32_e64 v7, v68, v74, s[8:9]
	v_add_f32_e32 v6, v59, v6
	v_lshlrev_b32_e32 v7, 2, v7
	ds_bpermute_b32 v7, v7, v6
	s_and_saveexec_b64 s[34:35], vcc
	s_cbranch_execz .LBB107_8
; %bb.10:                               ;   in Loop: Header=BB107_9 Depth=1
	v_add_u32_e32 v8, s15, v72
	v_cvt_f32_i32_e32 v8, v8
	s_waitcnt lgkmcnt(0)
	v_add_f32_e32 v6, v6, v7
	v_cmp_gt_i32_e64 s[8:9], s33, v72
	v_max_f32_e32 v7, v70, v70
	v_mul_f32_e32 v8, s10, v8
	v_cndmask_b32_e64 v8, 0, v8, s[0:1]
	v_fmac_f32_e32 v8, s11, v6
	v_cndmask_b32_e64 v6, 0, v8, s[8:9]
	ds_write_b32 v73, v6
	v_max_f32_e32 v6, v7, v8
	v_cndmask_b32_e64 v70, v70, v6, s[8:9]
	s_branch .LBB107_8
.LBB107_11:
	s_or_b64 exec, exec, s[30:31]
.LBB107_12:
	s_or_b64 exec, exec, s[28:29]
	v_xor_b32_e32 v2, 32, v68
	v_cmp_lt_i32_e32 vcc, v2, v69
	v_xor_b32_e32 v5, 16, v68
	v_max_f32_e32 v4, v70, v70
	v_cndmask_b32_e32 v2, v68, v2, vcc
	v_lshlrev_b32_e32 v2, 2, v2
	ds_bpermute_b32 v3, v2, v70
	v_cmp_lt_i32_e32 vcc, v5, v69
	v_xor_b32_e32 v6, 8, v68
	s_waitcnt lgkmcnt(0)
	v_xor_b32_e32 v7, 4, v68
	v_xor_b32_e32 v8, 2, v68
	v_max_f32_e32 v3, v3, v3
	v_max_f32_e32 v4, v4, v3
	v_cndmask_b32_e32 v3, v68, v5, vcc
	v_lshlrev_b32_e32 v3, 2, v3
	ds_bpermute_b32 v5, v3, v4
	v_cmp_lt_i32_e32 vcc, v6, v69
	v_and_b32_e32 v54, 63, v0
	s_waitcnt lgkmcnt(0)
	v_max_f32_e32 v5, v5, v5
	v_max_f32_e32 v5, v4, v5
	v_cndmask_b32_e32 v4, v68, v6, vcc
	v_lshlrev_b32_e32 v4, 2, v4
	ds_bpermute_b32 v6, v4, v5
	v_cmp_lt_i32_e32 vcc, v7, v69
	s_waitcnt lgkmcnt(0)
	v_max_f32_e32 v6, v6, v6
	v_max_f32_e32 v6, v5, v6
	v_cndmask_b32_e32 v5, v68, v7, vcc
	v_lshlrev_b32_e32 v5, 2, v5
	ds_bpermute_b32 v7, v5, v6
	v_cmp_lt_i32_e32 vcc, v8, v69
	s_waitcnt lgkmcnt(0)
	v_max_f32_e32 v7, v7, v7
	v_max_f32_e32 v7, v6, v7
	v_cndmask_b32_e32 v6, v68, v8, vcc
	v_lshlrev_b32_e32 v55, 2, v6
	ds_bpermute_b32 v8, v55, v7
	v_cmp_eq_u32_e32 vcc, 0, v54
	v_lshlrev_b32_e32 v6, 2, v1
	s_and_saveexec_b64 s[0:1], vcc
	s_cbranch_execz .LBB107_14
; %bb.13:
	s_waitcnt lgkmcnt(0)
	v_max_f32_e32 v8, v8, v8
	v_max_f32_e32 v7, v7, v7
	;; [unrolled: 1-line block ×3, first 2 shown]
	ds_write_b32 v6, v7 offset:512
.LBB107_14:
	s_or_b64 exec, exec, s[0:1]
	v_cmp_gt_u32_e64 s[0:1], 2, v54
	s_waitcnt lgkmcnt(0)
	v_mov_b32_e32 v8, 0xff7fffff
	v_lshlrev_b32_e32 v7, 2, v54
	s_barrier
	s_and_saveexec_b64 s[8:9], s[0:1]
	s_cbranch_execz .LBB107_16
; %bb.15:
	ds_read_b32 v8, v7 offset:512
.LBB107_16:
	s_or_b64 exec, exec, s[8:9]
	v_xor_b32_e32 v9, 1, v68
	v_cmp_lt_i32_e64 s[8:9], v9, v69
	v_lshlrev_b32_e32 v10, 2, v68
	s_nop 0
	v_cndmask_b32_e64 v9, v68, v9, s[8:9]
	v_lshlrev_b32_e32 v56, 2, v9
	s_waitcnt lgkmcnt(0)
	ds_bpermute_b32 v9, v56, v8
	v_max_f32_e32 v8, v8, v8
	s_lshl_b32 s8, s19, 5
	s_min_i32 s12, s8, s33
	v_cmp_gt_i32_e64 s[8:9], s12, v0
	s_waitcnt lgkmcnt(0)
	v_max_f32_e32 v9, v9, v9
	v_max_f32_e32 v9, v8, v9
	v_and_b32_e32 v8, 0xffffff00, v10
	ds_bpermute_b32 v10, v8, v9
	v_mov_b32_e32 v9, 0
	s_and_saveexec_b64 s[28:29], s[8:9]
	s_cbranch_execz .LBB107_20
; %bb.17:
	v_mov_b32_e32 v9, 0x210
	v_lshl_add_u32 v11, v0, 2, v9
	s_mov_b64 s[30:31], 0
	v_mov_b32_e32 v9, 0
	v_mov_b32_e32 v12, v0
.LBB107_18:                             ; =>This Inner Loop Header: Depth=1
	ds_read_b32 v13, v11
	v_add_u32_e32 v12, 0x80, v12
	v_cmp_le_i32_e64 s[10:11], s12, v12
	s_or_b64 s[30:31], s[10:11], s[30:31]
	s_waitcnt lgkmcnt(0)
	v_sub_f32_e32 v13, v13, v10
	v_mul_f32_e32 v13, 0x3fb8aa3b, v13
	v_exp_f32_e32 v13, v13
	ds_write_b32 v11, v13
	v_add_f32_e32 v9, v9, v13
	v_add_u32_e32 v11, 0x200, v11
	s_andn2_b64 exec, exec, s[30:31]
	s_cbranch_execnz .LBB107_18
; %bb.19:
	s_or_b64 exec, exec, s[30:31]
.LBB107_20:
	s_or_b64 exec, exec, s[28:29]
	ds_bpermute_b32 v2, v2, v9
	s_waitcnt lgkmcnt(0)
	v_add_f32_e32 v2, v9, v2
	ds_bpermute_b32 v3, v3, v2
	s_waitcnt lgkmcnt(0)
	v_add_f32_e32 v2, v2, v3
	;; [unrolled: 3-line block ×6, first 2 shown]
	s_and_saveexec_b64 s[10:11], vcc
	s_cbranch_execz .LBB107_22
; %bb.21:
	ds_write_b32 v6, v2 offset:520
.LBB107_22:
	s_or_b64 exec, exec, s[10:11]
	s_waitcnt lgkmcnt(0)
	s_barrier
	s_and_saveexec_b64 s[10:11], s[0:1]
	s_cbranch_execz .LBB107_24
; %bb.23:
	ds_read_b32 v2, v7 offset:520
.LBB107_24:
	s_or_b64 exec, exec, s[10:11]
	s_waitcnt lgkmcnt(0)
	ds_bpermute_b32 v3, v56, v2
	s_waitcnt lgkmcnt(0)
	v_add_f32_e32 v2, v2, v3
	ds_bpermute_b32 v2, v8, v2
	s_and_saveexec_b64 s[0:1], s[8:9]
	s_cbranch_execz .LBB107_37
; %bb.25:
	s_waitcnt lgkmcnt(0)
	v_add_f32_e32 v2, 0x358637bd, v2
	v_div_scale_f32 v3, s[8:9], v2, v2, 1.0
	v_rcp_f32_e32 v4, v3
	v_div_scale_f32 v5, vcc, 1.0, v2, 1.0
	s_movk_i32 s8, 0x7f
	v_fma_f32 v6, -v3, v4, 1.0
	v_fmac_f32_e32 v4, v6, v4
	v_mul_f32_e32 v6, v5, v4
	v_fma_f32 v7, -v3, v6, v5
	v_fmac_f32_e32 v6, v7, v4
	v_fma_f32 v3, -v3, v6, v5
	v_div_fmas_f32 v3, v3, v4, v6
	v_xad_u32 v4, v0, -1, s12
	v_div_fixup_f32 v2, v3, v2, 1.0
	v_cmp_lt_u32_e32 vcc, s8, v4
	s_mov_b64 s[10:11], -1
	v_mov_b32_e32 v3, v0
	s_and_saveexec_b64 s[8:9], vcc
	s_cbranch_execz .LBB107_34
; %bb.26:
	v_lshrrev_b32_e32 v4, 7, v4
	v_add_u32_e32 v6, -1, v4
	v_lshrrev_b32_e32 v5, 1, v6
	v_mov_b32_e32 v3, v2
	v_add_u32_e32 v5, 1, v5
	v_cmp_lt_u32_e32 vcc, 13, v6
	v_mov_b32_e32 v8, 0
	s_and_saveexec_b64 s[10:11], vcc
	s_cbranch_execz .LBB107_30
; %bb.27:
	v_mov_b32_e32 v7, 0x210
	v_and_b32_e32 v6, -8, v5
	v_lshl_add_u32 v7, v0, 2, v7
	s_mov_b32 s15, 0
	s_mov_b64 s[28:29], 0
.LBB107_28:                             ; =>This Inner Loop Header: Depth=1
	ds_read2st64_b32 v[8:9], v7 offset1:2
	ds_read2st64_b32 v[10:11], v7 offset0:4 offset1:6
	ds_read2st64_b32 v[12:13], v7 offset0:8 offset1:10
	ds_read2st64_b32 v[14:15], v7 offset0:12 offset1:14
	v_add_u32_e32 v6, -8, v6
	s_waitcnt lgkmcnt(3)
	v_pk_mul_f32 v[8:9], v[2:3], v[8:9]
	s_waitcnt lgkmcnt(2)
	v_pk_mul_f32 v[10:11], v[2:3], v[10:11]
	ds_write2st64_b32 v7, v8, v9 offset1:2
	ds_write2st64_b32 v7, v10, v11 offset0:4 offset1:6
	ds_read2st64_b32 v[10:11], v7 offset0:16 offset1:18
	s_waitcnt lgkmcnt(4)
	v_pk_mul_f32 v[8:9], v[2:3], v[12:13]
	ds_write2st64_b32 v7, v8, v9 offset0:8 offset1:10
	s_waitcnt lgkmcnt(4)
	v_pk_mul_f32 v[8:9], v[2:3], v[14:15]
	ds_write2st64_b32 v7, v8, v9 offset0:12 offset1:14
	ds_read2st64_b32 v[8:9], v7 offset0:20 offset1:22
	s_waitcnt lgkmcnt(3)
	v_pk_mul_f32 v[10:11], v[2:3], v[10:11]
	ds_read2st64_b32 v[12:13], v7 offset0:24 offset1:26
	ds_write2st64_b32 v7, v10, v11 offset0:16 offset1:18
	ds_read2st64_b32 v[10:11], v7 offset0:28 offset1:30
	s_waitcnt lgkmcnt(3)
	v_pk_mul_f32 v[8:9], v[2:3], v[8:9]
	ds_write2st64_b32 v7, v8, v9 offset0:20 offset1:22
	s_waitcnt lgkmcnt(3)
	v_pk_mul_f32 v[8:9], v[2:3], v[12:13]
	ds_write2st64_b32 v7, v8, v9 offset0:24 offset1:26
	s_waitcnt lgkmcnt(2)
	v_pk_mul_f32 v[8:9], v[2:3], v[10:11]
	s_add_i32 s15, s15, 16
	v_cmp_eq_u32_e32 vcc, 0, v6
	ds_write2st64_b32 v7, v8, v9 offset0:28 offset1:30
	v_add_u32_e32 v7, 0x2000, v7
	s_or_b64 s[28:29], vcc, s[28:29]
	v_mov_b32_e32 v8, s15
	s_andn2_b64 exec, exec, s[28:29]
	s_cbranch_execnz .LBB107_28
; %bb.29:
	s_or_b64 exec, exec, s[28:29]
.LBB107_30:
	s_or_b64 exec, exec, s[10:11]
	v_and_b32_e32 v5, 7, v5
	v_cmp_ne_u32_e32 vcc, 0, v5
	s_and_saveexec_b64 s[10:11], vcc
	s_cbranch_execz .LBB107_33
; %bb.31:
	v_lshlrev_b32_e32 v6, 9, v8
	v_lshlrev_b32_e32 v7, 2, v0
	s_movk_i32 s15, 0x210
	v_add3_u32 v6, v6, v7, s15
	s_mov_b64 s[28:29], 0
.LBB107_32:                             ; =>This Inner Loop Header: Depth=1
	ds_read2st64_b32 v[8:9], v6 offset1:2
	v_add_u32_e32 v5, -1, v5
	v_cmp_eq_u32_e32 vcc, 0, v5
	s_or_b64 s[28:29], vcc, s[28:29]
	s_waitcnt lgkmcnt(0)
	v_pk_mul_f32 v[8:9], v[2:3], v[8:9]
	ds_write2st64_b32 v6, v8, v9 offset1:2
	v_add_u32_e32 v6, 0x400, v6
	s_andn2_b64 exec, exec, s[28:29]
	s_cbranch_execnz .LBB107_32
.LBB107_33:
	s_or_b64 exec, exec, s[10:11]
	v_add_u32_e32 v4, 1, v4
	v_and_b32_e32 v5, 0x3fffffe, v4
	v_cmp_ne_u32_e32 vcc, v4, v5
	v_lshl_add_u32 v3, v5, 7, v0
	s_orn2_b64 s[10:11], vcc, exec
.LBB107_34:
	s_or_b64 exec, exec, s[8:9]
	s_and_b64 exec, exec, s[10:11]
	s_cbranch_execz .LBB107_37
; %bb.35:
	v_mov_b32_e32 v4, 0x210
	v_lshl_add_u32 v4, v3, 2, v4
	s_mov_b64 s[8:9], 0
.LBB107_36:                             ; =>This Inner Loop Header: Depth=1
	ds_read_b32 v5, v4
	v_add_u32_e32 v3, 0x80, v3
	v_cmp_le_i32_e32 vcc, s12, v3
	s_or_b64 s[8:9], vcc, s[8:9]
	s_waitcnt lgkmcnt(0)
	v_mul_f32_e32 v5, v2, v5
	ds_write_b32 v4, v5
	v_add_u32_e32 v4, 0x200, v4
	s_andn2_b64 exec, exec, s[8:9]
	s_cbranch_execnz .LBB107_36
.LBB107_37:
	s_or_b64 exec, exec, s[0:1]
	v_mov_b32_e32 v22, 0
	v_and_b32_e32 v57, 3, v0
	v_mov_b32_e32 v23, 0
	v_mov_b32_e32 v18, 0
	;; [unrolled: 1-line block ×15, first 2 shown]
	s_waitcnt lgkmcnt(0)
	s_barrier
	s_and_saveexec_b64 s[8:9], s[2:3]
	s_cbranch_execz .LBB107_73
; %bb.38:
	s_ashr_i32 s15, s14, 31
	s_lshl_b64 s[0:1], s[14:15], 1
	s_add_u32 s2, s26, s0
	v_and_b32_e32 v3, 24, v66
	s_addc_u32 s3, s27, s1
	s_add_i32 s14, s19, -1
	s_lshl_b64 s[0:1], s[24:25], 2
	v_and_b32_e32 v2, 0x1f8, v66
	v_lshl_or_b32 v58, v1, 5, v3
	v_lshlrev_b32_e32 v3, 5, v57
	s_add_u32 s0, s22, s0
	v_mov_b32_e32 v21, 0
	v_or_b32_e32 v4, 0x800, v2
	v_or_b32_e32 v6, 0xa00, v2
	;; [unrolled: 1-line block ×12, first 2 shown]
	v_lshl_or_b32 v3, v1, 7, v3
	v_and_b32_e32 v20, 60, v67
	s_addc_u32 s1, s23, s1
	s_mov_b32 s28, s13
	s_mov_b32 s15, s33
	;; [unrolled: 1-line block ×8, first 2 shown]
	v_add_u32_e32 v59, 0x210, v3
	v_lshl_add_u64 v[24:25], s[0:1], 0, v[20:21]
	s_mov_b64 s[10:11], 0
	v_lshlrev_b32_e32 v26, 1, v2
	s_mov_b32 s22, 0x5040100
	v_lshlrev_b32_e32 v20, 1, v4
	v_lshlrev_b32_e32 v28, 1, v6
	;; [unrolled: 1-line block ×12, first 2 shown]
	v_mov_b32_e32 v27, v21
	v_mov_b32_e32 v7, v21
	v_mov_b32_e32 v6, v21
	v_mov_b32_e32 v9, v21
	v_mov_b32_e32 v8, v21
	v_mov_b32_e32 v11, v21
	v_mov_b32_e32 v10, v21
	v_mov_b32_e32 v13, v21
	v_mov_b32_e32 v12, v21
	v_mov_b32_e32 v15, v21
	v_mov_b32_e32 v14, v21
	v_mov_b32_e32 v17, v21
	v_mov_b32_e32 v16, v21
	v_mov_b32_e32 v19, v21
	v_mov_b32_e32 v18, v21
	v_mov_b32_e32 v23, v21
	v_mov_b32_e32 v22, v21
	s_branch .LBB107_40
.LBB107_39:                             ;   in Loop: Header=BB107_40 Depth=1
	s_or_b64 exec, exec, s[0:1]
	s_waitcnt vmcnt(0)
	;;#ASMSTART
	v_pk_mul_f16 v2, v66, v2;

	;;#ASMEND
	v_add_f32_e32 v29, v29, v79
	;;#ASMSTART
	v_pk_mul_f16 v3, v65, v3;

	;;#ASMEND
	;;#ASMSTART
	v_pk_mul_f16 v4, v64, v4;

	;;#ASMEND
	;; [unrolled: 4-line block ×3, first 2 shown]
	v_add_f32_e32 v17, v17, v29
	;;#ASMSTART
	v_pk_add_f16 v2, v2, v3;

	;;#ASMEND
	v_add_f32_e32 v29, v77, v78
	;;#ASMSTART
	v_pk_add_f16 v2, v2, v4;

	;;#ASMEND
	v_add_f32_e32 v16, v16, v29
	v_add_f32_e32 v29, v52, v53
	;;#ASMSTART
	v_pk_add_f16 v2, v2, v5;

	;;#ASMEND
	v_add_f32_e32 v19, v19, v29
	v_add_f32_e32 v29, v75, v76
	v_lshrrev_b32_e32 v3, 16, v2
	v_and_b32_e32 v2, 0xffff, v2
	v_add_f32_e32 v18, v18, v29
	v_add_f32_e32 v29, v73, v74
	;;#ASMSTART
	v_cvt_f32_f16 v2, v2;
	;;#ASMEND
	v_add_u32_e32 v1, 2, v1
	v_add_f32_e32 v47, v47, v88
	v_add_f32_e32 v45, v45, v87
	;; [unrolled: 1-line block ×11, first 2 shown]
	;;#ASMSTART
	v_cvt_f32_f16 v3, v3;
	;;#ASMEND
	v_cmp_le_i32_e32 vcc, s19, v1
	v_add_f32_e32 v2, v2, v3
	v_add_f32_e32 v6, v6, v47
	;; [unrolled: 1-line block ×12, first 2 shown]
	v_add_u32_e32 v58, 64, v58
	v_add_u32_e32 v59, 0x100, v59
	s_or_b64 s[10:11], vcc, s[10:11]
	v_lshl_add_u64 v[24:25], v[24:25], 0, 8
	s_andn2_b64 exec, exec, s[10:11]
	s_cbranch_execz .LBB107_72
.LBB107_40:                             ; =>This Inner Loop Header: Depth=1
	global_load_dword v45, v[24:25], off
	ds_read2_b64 v[2:5], v59 offset1:1
	ds_read2_b64 v[50:53], v59 offset0:2 offset1:3
	v_cmp_eq_u32_e32 vcc, s14, v1
	v_add_u32_e32 v60, 1, v58
	s_waitcnt lgkmcnt(1)
	;;#ASMSTART
	v_cvt_f16_f32 v29, v2;

	;;#ASMEND
	;;#ASMSTART
	v_cvt_f16_f32 v31, v3;

	;;#ASMEND
	;; [unrolled: 4-line block ×4, first 2 shown]
	s_waitcnt lgkmcnt(0)
	;;#ASMSTART
	v_cvt_f16_f32 v37, v50;

	;;#ASMEND
	;;#ASMSTART
	v_cvt_f16_f32 v39, v51;

	;;#ASMEND
	;; [unrolled: 4-line block ×4, first 2 shown]
	v_or_b32_e32 v63, 3, v58
	v_or_b32_e32 v61, 2, v58
	;; [unrolled: 1-line block ×6, first 2 shown]
	s_waitcnt vmcnt(0)
	v_mad_i64_i32 v[2:3], s[0:1], v45, s28, 0
	v_lshl_add_u64 v[50:51], v[2:3], 1, s[2:3]
	v_lshl_add_u64 v[52:53], v[50:51], 0, v[26:27]
	global_load_dwordx4 v[2:5], v[52:53], off
	s_and_saveexec_b64 s[12:13], vcc
	s_cbranch_execz .LBB107_42
; %bb.41:                               ;   in Loop: Header=BB107_40 Depth=1
	s_waitcnt vmcnt(0)
	v_lshrrev_b32_e32 v45, 16, v5
	v_cmp_gt_i32_e64 s[0:1], s34, v70
	s_nop 1
	v_cndmask_b32_e64 v45, 0, v45, s[0:1]
	v_cmp_gt_i32_e64 s[0:1], s31, v69
	s_nop 1
	v_cndmask_b32_e64 v5, 0, v5, s[0:1]
	v_perm_b32 v5, v45, v5, s22
	v_lshrrev_b32_e32 v45, 16, v4
	v_cmp_gt_i32_e64 s[0:1], s30, v68
	s_nop 1
	v_cndmask_b32_e64 v45, 0, v45, s[0:1]
	v_cmp_gt_i32_e64 s[0:1], s29, v67
	s_nop 1
	v_cndmask_b32_e64 v4, 0, v4, s[0:1]
	v_perm_b32 v4, v45, v4, s22
	;; [unrolled: 8-line block ×4, first 2 shown]
.LBB107_42:                             ;   in Loop: Header=BB107_40 Depth=1
	s_or_b64 exec, exec, s[12:13]
	v_and_b32_e32 v29, 0xffff, v29
	v_lshl_or_b32 v66, v31, 16, v29
	v_and_b32_e32 v29, 0xffff, v33
	v_lshl_or_b32 v65, v35, 16, v29
	;; [unrolled: 2-line block ×3, first 2 shown]
	v_and_b32_e32 v29, 0xffff, v41
	s_waitcnt vmcnt(0)
	;;#ASMSTART
	v_pk_mul_f16 v2, v66, v2;

	;;#ASMEND
	v_lshl_or_b32 v62, v43, 16, v29
	;;#ASMSTART
	v_pk_mul_f16 v3, v65, v3;

	;;#ASMEND
	;;#ASMSTART
	v_pk_mul_f16 v4, v64, v4;

	;;#ASMEND
	;; [unrolled: 4-line block ×3, first 2 shown]
	s_nop 0
	;;#ASMSTART
	v_pk_add_f16 v2, v2, v3;

	;;#ASMEND
	s_nop 0
	;;#ASMSTART
	v_pk_add_f16 v2, v2, v4;

	;;#ASMEND
	;; [unrolled: 5-line block ×3, first 2 shown]
	s_nop 0
	v_lshrrev_b32_e32 v3, 16, v2
	v_and_b32_e32 v2, 0xffff, v2
	;;#ASMSTART
	v_cvt_f32_f16 v71, v2;
	;;#ASMEND
	;;#ASMSTART
	v_cvt_f32_f16 v72, v3;
	;;#ASMEND
	global_load_dwordx4 v[2:5], v[52:53], off offset:1024
	s_and_saveexec_b64 s[12:13], vcc
	s_cbranch_execz .LBB107_44
; %bb.43:                               ;   in Loop: Header=BB107_40 Depth=1
	s_waitcnt vmcnt(0)
	v_lshrrev_b32_e32 v29, 16, v5
	v_cmp_gt_i32_e64 s[0:1], s34, v70
	s_nop 1
	v_cndmask_b32_e64 v29, 0, v29, s[0:1]
	v_cmp_gt_i32_e64 s[0:1], s31, v69
	s_nop 1
	v_cndmask_b32_e64 v5, 0, v5, s[0:1]
	v_perm_b32 v5, v29, v5, s22
	v_lshrrev_b32_e32 v29, 16, v4
	v_cmp_gt_i32_e64 s[0:1], s30, v68
	s_nop 1
	v_cndmask_b32_e64 v29, 0, v29, s[0:1]
	v_cmp_gt_i32_e64 s[0:1], s29, v67
	s_nop 1
	v_cndmask_b32_e64 v4, 0, v4, s[0:1]
	v_perm_b32 v4, v29, v4, s22
	;; [unrolled: 8-line block ×4, first 2 shown]
.LBB107_44:                             ;   in Loop: Header=BB107_40 Depth=1
	s_or_b64 exec, exec, s[12:13]
	s_waitcnt vmcnt(0)
	;;#ASMSTART
	v_pk_mul_f16 v2, v66, v2;

	;;#ASMEND
	;;#ASMSTART
	v_pk_mul_f16 v3, v65, v3;

	;;#ASMEND
	;; [unrolled: 4-line block ×4, first 2 shown]
	s_nop 0
	;;#ASMSTART
	v_pk_add_f16 v2, v2, v3;

	;;#ASMEND
	s_nop 0
	;;#ASMSTART
	v_pk_add_f16 v2, v2, v4;

	;;#ASMEND
	s_nop 0
	;;#ASMSTART
	v_pk_add_f16 v2, v2, v5;

	;;#ASMEND
	s_nop 0
	v_lshrrev_b32_e32 v3, 16, v2
	v_and_b32_e32 v2, 0xffff, v2
	;;#ASMSTART
	v_cvt_f32_f16 v73, v2;
	;;#ASMEND
	;;#ASMSTART
	v_cvt_f32_f16 v74, v3;
	;;#ASMEND
	global_load_dwordx4 v[2:5], v[52:53], off offset:2048
	s_and_saveexec_b64 s[12:13], vcc
	s_cbranch_execz .LBB107_46
; %bb.45:                               ;   in Loop: Header=BB107_40 Depth=1
	s_waitcnt vmcnt(0)
	v_lshrrev_b32_e32 v29, 16, v5
	v_cmp_gt_i32_e64 s[0:1], s34, v70
	s_nop 1
	v_cndmask_b32_e64 v29, 0, v29, s[0:1]
	v_cmp_gt_i32_e64 s[0:1], s31, v69
	s_nop 1
	v_cndmask_b32_e64 v5, 0, v5, s[0:1]
	v_perm_b32 v5, v29, v5, s22
	v_lshrrev_b32_e32 v29, 16, v4
	v_cmp_gt_i32_e64 s[0:1], s30, v68
	s_nop 1
	v_cndmask_b32_e64 v29, 0, v29, s[0:1]
	v_cmp_gt_i32_e64 s[0:1], s29, v67
	s_nop 1
	v_cndmask_b32_e64 v4, 0, v4, s[0:1]
	v_perm_b32 v4, v29, v4, s22
	v_lshrrev_b32_e32 v29, 16, v3
	v_cmp_gt_i32_e64 s[0:1], s27, v63
	s_nop 1
	v_cndmask_b32_e64 v29, 0, v29, s[0:1]
	v_cmp_gt_i32_e64 s[0:1], s26, v61
	s_nop 1
	v_cndmask_b32_e64 v3, 0, v3, s[0:1]
	v_perm_b32 v3, v29, v3, s22
	v_lshrrev_b32_e32 v29, 16, v2
	v_cmp_gt_i32_e64 s[0:1], s15, v60
	s_nop 1
	v_cndmask_b32_e64 v29, 0, v29, s[0:1]
	v_cmp_gt_i32_e64 s[0:1], s33, v58
	s_nop 1
	v_cndmask_b32_e64 v2, 0, v2, s[0:1]
	v_perm_b32 v2, v29, v2, s22
.LBB107_46:                             ;   in Loop: Header=BB107_40 Depth=1
	s_or_b64 exec, exec, s[12:13]
	s_waitcnt vmcnt(0)
	;;#ASMSTART
	v_pk_mul_f16 v2, v66, v2;

	;;#ASMEND
	;;#ASMSTART
	v_pk_mul_f16 v3, v65, v3;

	;;#ASMEND
	;; [unrolled: 4-line block ×4, first 2 shown]
	s_nop 0
	;;#ASMSTART
	v_pk_add_f16 v2, v2, v3;

	;;#ASMEND
	s_nop 0
	;;#ASMSTART
	v_pk_add_f16 v2, v2, v4;

	;;#ASMEND
	;; [unrolled: 5-line block ×3, first 2 shown]
	s_nop 0
	v_lshrrev_b32_e32 v3, 16, v2
	v_and_b32_e32 v2, 0xffff, v2
	;;#ASMSTART
	v_cvt_f32_f16 v75, v2;
	;;#ASMEND
	;;#ASMSTART
	v_cvt_f32_f16 v76, v3;
	;;#ASMEND
	global_load_dwordx4 v[2:5], v[52:53], off offset:3072
	s_and_saveexec_b64 s[12:13], vcc
	s_cbranch_execz .LBB107_48
; %bb.47:                               ;   in Loop: Header=BB107_40 Depth=1
	s_waitcnt vmcnt(0)
	v_lshrrev_b32_e32 v29, 16, v5
	v_cmp_gt_i32_e64 s[0:1], s34, v70
	s_nop 1
	v_cndmask_b32_e64 v29, 0, v29, s[0:1]
	v_cmp_gt_i32_e64 s[0:1], s31, v69
	s_nop 1
	v_cndmask_b32_e64 v5, 0, v5, s[0:1]
	v_perm_b32 v5, v29, v5, s22
	v_lshrrev_b32_e32 v29, 16, v4
	v_cmp_gt_i32_e64 s[0:1], s30, v68
	s_nop 1
	v_cndmask_b32_e64 v29, 0, v29, s[0:1]
	v_cmp_gt_i32_e64 s[0:1], s29, v67
	s_nop 1
	v_cndmask_b32_e64 v4, 0, v4, s[0:1]
	v_perm_b32 v4, v29, v4, s22
	;; [unrolled: 8-line block ×4, first 2 shown]
.LBB107_48:                             ;   in Loop: Header=BB107_40 Depth=1
	s_or_b64 exec, exec, s[12:13]
	s_waitcnt vmcnt(0)
	;;#ASMSTART
	v_pk_mul_f16 v2, v66, v2;

	;;#ASMEND
	;;#ASMSTART
	v_pk_mul_f16 v3, v65, v3;

	;;#ASMEND
	;; [unrolled: 4-line block ×4, first 2 shown]
	s_nop 0
	;;#ASMSTART
	v_pk_add_f16 v2, v2, v3;

	;;#ASMEND
	s_nop 0
	;;#ASMSTART
	v_pk_add_f16 v2, v2, v4;

	;;#ASMEND
	;; [unrolled: 5-line block ×3, first 2 shown]
	s_nop 0
	v_lshrrev_b32_e32 v3, 16, v2
	v_and_b32_e32 v2, 0xffff, v2
	;;#ASMSTART
	v_cvt_f32_f16 v52, v2;
	;;#ASMEND
	;;#ASMSTART
	v_cvt_f32_f16 v53, v3;
	;;#ASMEND
	v_lshl_add_u64 v[2:3], v[50:51], 0, v[20:21]
	global_load_dwordx4 v[2:5], v[2:3], off
	s_and_saveexec_b64 s[12:13], vcc
	s_cbranch_execz .LBB107_50
; %bb.49:                               ;   in Loop: Header=BB107_40 Depth=1
	s_waitcnt vmcnt(0)
	v_lshrrev_b32_e32 v29, 16, v5
	v_cmp_gt_i32_e64 s[0:1], s34, v70
	s_nop 1
	v_cndmask_b32_e64 v29, 0, v29, s[0:1]
	v_cmp_gt_i32_e64 s[0:1], s31, v69
	s_nop 1
	v_cndmask_b32_e64 v5, 0, v5, s[0:1]
	v_perm_b32 v5, v29, v5, s22
	v_lshrrev_b32_e32 v29, 16, v4
	v_cmp_gt_i32_e64 s[0:1], s30, v68
	s_nop 1
	v_cndmask_b32_e64 v29, 0, v29, s[0:1]
	v_cmp_gt_i32_e64 s[0:1], s29, v67
	s_nop 1
	v_cndmask_b32_e64 v4, 0, v4, s[0:1]
	v_perm_b32 v4, v29, v4, s22
	;; [unrolled: 8-line block ×4, first 2 shown]
.LBB107_50:                             ;   in Loop: Header=BB107_40 Depth=1
	s_or_b64 exec, exec, s[12:13]
	s_waitcnt vmcnt(0)
	;;#ASMSTART
	v_pk_mul_f16 v2, v66, v2;

	;;#ASMEND
	;;#ASMSTART
	v_pk_mul_f16 v3, v65, v3;

	;;#ASMEND
	;; [unrolled: 4-line block ×4, first 2 shown]
	v_mov_b32_e32 v29, v21
	;;#ASMSTART
	v_pk_add_f16 v2, v2, v3;

	;;#ASMEND
	s_nop 0
	;;#ASMSTART
	v_pk_add_f16 v2, v2, v4;

	;;#ASMEND
	s_nop 0
	;; [unrolled: 5-line block ×3, first 2 shown]
	v_lshrrev_b32_e32 v3, 16, v2
	v_and_b32_e32 v2, 0xffff, v2
	;;#ASMSTART
	v_cvt_f32_f16 v77, v2;
	;;#ASMEND
	;;#ASMSTART
	v_cvt_f32_f16 v78, v3;
	;;#ASMEND
	v_lshl_add_u64 v[2:3], v[50:51], 0, v[28:29]
	global_load_dwordx4 v[2:5], v[2:3], off
	s_and_saveexec_b64 s[12:13], vcc
	s_cbranch_execz .LBB107_52
; %bb.51:                               ;   in Loop: Header=BB107_40 Depth=1
	s_waitcnt vmcnt(0)
	v_lshrrev_b32_e32 v29, 16, v5
	v_cmp_gt_i32_e64 s[0:1], s34, v70
	s_nop 1
	v_cndmask_b32_e64 v29, 0, v29, s[0:1]
	v_cmp_gt_i32_e64 s[0:1], s31, v69
	s_nop 1
	v_cndmask_b32_e64 v5, 0, v5, s[0:1]
	v_perm_b32 v5, v29, v5, s22
	v_lshrrev_b32_e32 v29, 16, v4
	v_cmp_gt_i32_e64 s[0:1], s30, v68
	s_nop 1
	v_cndmask_b32_e64 v29, 0, v29, s[0:1]
	v_cmp_gt_i32_e64 s[0:1], s29, v67
	s_nop 1
	v_cndmask_b32_e64 v4, 0, v4, s[0:1]
	v_perm_b32 v4, v29, v4, s22
	v_lshrrev_b32_e32 v29, 16, v3
	v_cmp_gt_i32_e64 s[0:1], s27, v63
	s_nop 1
	v_cndmask_b32_e64 v29, 0, v29, s[0:1]
	v_cmp_gt_i32_e64 s[0:1], s26, v61
	s_nop 1
	v_cndmask_b32_e64 v3, 0, v3, s[0:1]
	v_perm_b32 v3, v29, v3, s22
	v_lshrrev_b32_e32 v29, 16, v2
	v_cmp_gt_i32_e64 s[0:1], s15, v60
	s_nop 1
	v_cndmask_b32_e64 v29, 0, v29, s[0:1]
	v_cmp_gt_i32_e64 s[0:1], s33, v58
	s_nop 1
	v_cndmask_b32_e64 v2, 0, v2, s[0:1]
	v_perm_b32 v2, v29, v2, s22
.LBB107_52:                             ;   in Loop: Header=BB107_40 Depth=1
	s_or_b64 exec, exec, s[12:13]
	s_waitcnt vmcnt(0)
	;;#ASMSTART
	v_pk_mul_f16 v2, v66, v2;

	;;#ASMEND
	;;#ASMSTART
	v_pk_mul_f16 v3, v65, v3;

	;;#ASMEND
	;; [unrolled: 4-line block ×4, first 2 shown]
	v_mov_b32_e32 v31, v21
	;;#ASMSTART
	v_pk_add_f16 v2, v2, v3;

	;;#ASMEND
	s_nop 0
	;;#ASMSTART
	v_pk_add_f16 v2, v2, v4;

	;;#ASMEND
	s_nop 0
	;; [unrolled: 5-line block ×3, first 2 shown]
	v_lshrrev_b32_e32 v3, 16, v2
	v_and_b32_e32 v2, 0xffff, v2
	;;#ASMSTART
	v_cvt_f32_f16 v29, v2;
	;;#ASMEND
	;;#ASMSTART
	v_cvt_f32_f16 v79, v3;
	;;#ASMEND
	v_lshl_add_u64 v[2:3], v[50:51], 0, v[30:31]
	global_load_dwordx4 v[2:5], v[2:3], off
	s_and_saveexec_b64 s[12:13], vcc
	s_cbranch_execz .LBB107_54
; %bb.53:                               ;   in Loop: Header=BB107_40 Depth=1
	s_waitcnt vmcnt(0)
	v_lshrrev_b32_e32 v31, 16, v5
	v_cmp_gt_i32_e64 s[0:1], s34, v70
	s_nop 1
	v_cndmask_b32_e64 v31, 0, v31, s[0:1]
	v_cmp_gt_i32_e64 s[0:1], s31, v69
	s_nop 1
	v_cndmask_b32_e64 v5, 0, v5, s[0:1]
	v_perm_b32 v5, v31, v5, s22
	v_lshrrev_b32_e32 v31, 16, v4
	v_cmp_gt_i32_e64 s[0:1], s30, v68
	s_nop 1
	v_cndmask_b32_e64 v31, 0, v31, s[0:1]
	v_cmp_gt_i32_e64 s[0:1], s29, v67
	s_nop 1
	v_cndmask_b32_e64 v4, 0, v4, s[0:1]
	v_perm_b32 v4, v31, v4, s22
	;; [unrolled: 8-line block ×4, first 2 shown]
.LBB107_54:                             ;   in Loop: Header=BB107_40 Depth=1
	s_or_b64 exec, exec, s[12:13]
	s_waitcnt vmcnt(0)
	;;#ASMSTART
	v_pk_mul_f16 v2, v66, v2;

	;;#ASMEND
	;;#ASMSTART
	v_pk_mul_f16 v3, v65, v3;

	;;#ASMEND
	;; [unrolled: 4-line block ×4, first 2 shown]
	v_mov_b32_e32 v33, v21
	;;#ASMSTART
	v_pk_add_f16 v2, v2, v3;

	;;#ASMEND
	s_nop 0
	;;#ASMSTART
	v_pk_add_f16 v2, v2, v4;

	;;#ASMEND
	s_nop 0
	;; [unrolled: 5-line block ×3, first 2 shown]
	v_lshrrev_b32_e32 v3, 16, v2
	v_and_b32_e32 v2, 0xffff, v2
	;;#ASMSTART
	v_cvt_f32_f16 v31, v2;
	;;#ASMEND
	;;#ASMSTART
	v_cvt_f32_f16 v80, v3;
	;;#ASMEND
	v_lshl_add_u64 v[2:3], v[50:51], 0, v[32:33]
	global_load_dwordx4 v[2:5], v[2:3], off
	s_and_saveexec_b64 s[12:13], vcc
	s_cbranch_execz .LBB107_56
; %bb.55:                               ;   in Loop: Header=BB107_40 Depth=1
	s_waitcnt vmcnt(0)
	v_lshrrev_b32_e32 v33, 16, v5
	v_cmp_gt_i32_e64 s[0:1], s34, v70
	s_nop 1
	v_cndmask_b32_e64 v33, 0, v33, s[0:1]
	v_cmp_gt_i32_e64 s[0:1], s31, v69
	s_nop 1
	v_cndmask_b32_e64 v5, 0, v5, s[0:1]
	v_perm_b32 v5, v33, v5, s22
	v_lshrrev_b32_e32 v33, 16, v4
	v_cmp_gt_i32_e64 s[0:1], s30, v68
	s_nop 1
	v_cndmask_b32_e64 v33, 0, v33, s[0:1]
	v_cmp_gt_i32_e64 s[0:1], s29, v67
	s_nop 1
	v_cndmask_b32_e64 v4, 0, v4, s[0:1]
	v_perm_b32 v4, v33, v4, s22
	;; [unrolled: 8-line block ×4, first 2 shown]
.LBB107_56:                             ;   in Loop: Header=BB107_40 Depth=1
	s_or_b64 exec, exec, s[12:13]
	s_waitcnt vmcnt(0)
	;;#ASMSTART
	v_pk_mul_f16 v2, v66, v2;

	;;#ASMEND
	;;#ASMSTART
	v_pk_mul_f16 v3, v65, v3;

	;;#ASMEND
	;;#ASMSTART
	v_pk_mul_f16 v4, v64, v4;

	;;#ASMEND
	;;#ASMSTART
	v_pk_mul_f16 v5, v62, v5;

	;;#ASMEND
	v_mov_b32_e32 v35, v21
	;;#ASMSTART
	v_pk_add_f16 v2, v2, v3;

	;;#ASMEND
	s_nop 0
	;;#ASMSTART
	v_pk_add_f16 v2, v2, v4;

	;;#ASMEND
	s_nop 0
	;; [unrolled: 5-line block ×3, first 2 shown]
	v_lshrrev_b32_e32 v3, 16, v2
	v_and_b32_e32 v2, 0xffff, v2
	;;#ASMSTART
	v_cvt_f32_f16 v33, v2;
	;;#ASMEND
	;;#ASMSTART
	v_cvt_f32_f16 v81, v3;
	;;#ASMEND
	v_lshl_add_u64 v[2:3], v[50:51], 0, v[34:35]
	global_load_dwordx4 v[2:5], v[2:3], off
	s_and_saveexec_b64 s[12:13], vcc
	s_cbranch_execz .LBB107_58
; %bb.57:                               ;   in Loop: Header=BB107_40 Depth=1
	s_waitcnt vmcnt(0)
	v_lshrrev_b32_e32 v35, 16, v5
	v_cmp_gt_i32_e64 s[0:1], s34, v70
	s_nop 1
	v_cndmask_b32_e64 v35, 0, v35, s[0:1]
	v_cmp_gt_i32_e64 s[0:1], s31, v69
	s_nop 1
	v_cndmask_b32_e64 v5, 0, v5, s[0:1]
	v_perm_b32 v5, v35, v5, s22
	v_lshrrev_b32_e32 v35, 16, v4
	v_cmp_gt_i32_e64 s[0:1], s30, v68
	s_nop 1
	v_cndmask_b32_e64 v35, 0, v35, s[0:1]
	v_cmp_gt_i32_e64 s[0:1], s29, v67
	s_nop 1
	v_cndmask_b32_e64 v4, 0, v4, s[0:1]
	v_perm_b32 v4, v35, v4, s22
	;; [unrolled: 8-line block ×4, first 2 shown]
.LBB107_58:                             ;   in Loop: Header=BB107_40 Depth=1
	s_or_b64 exec, exec, s[12:13]
	s_waitcnt vmcnt(0)
	;;#ASMSTART
	v_pk_mul_f16 v2, v66, v2;

	;;#ASMEND
	;;#ASMSTART
	v_pk_mul_f16 v3, v65, v3;

	;;#ASMEND
	;; [unrolled: 4-line block ×4, first 2 shown]
	v_mov_b32_e32 v37, v21
	;;#ASMSTART
	v_pk_add_f16 v2, v2, v3;

	;;#ASMEND
	s_nop 0
	;;#ASMSTART
	v_pk_add_f16 v2, v2, v4;

	;;#ASMEND
	s_nop 0
	;; [unrolled: 5-line block ×3, first 2 shown]
	v_lshrrev_b32_e32 v3, 16, v2
	v_and_b32_e32 v2, 0xffff, v2
	;;#ASMSTART
	v_cvt_f32_f16 v35, v2;
	;;#ASMEND
	;;#ASMSTART
	v_cvt_f32_f16 v82, v3;
	;;#ASMEND
	v_lshl_add_u64 v[2:3], v[50:51], 0, v[36:37]
	global_load_dwordx4 v[2:5], v[2:3], off
	s_and_saveexec_b64 s[12:13], vcc
	s_cbranch_execz .LBB107_60
; %bb.59:                               ;   in Loop: Header=BB107_40 Depth=1
	s_waitcnt vmcnt(0)
	v_lshrrev_b32_e32 v37, 16, v5
	v_cmp_gt_i32_e64 s[0:1], s34, v70
	s_nop 1
	v_cndmask_b32_e64 v37, 0, v37, s[0:1]
	v_cmp_gt_i32_e64 s[0:1], s31, v69
	s_nop 1
	v_cndmask_b32_e64 v5, 0, v5, s[0:1]
	v_perm_b32 v5, v37, v5, s22
	v_lshrrev_b32_e32 v37, 16, v4
	v_cmp_gt_i32_e64 s[0:1], s30, v68
	s_nop 1
	v_cndmask_b32_e64 v37, 0, v37, s[0:1]
	v_cmp_gt_i32_e64 s[0:1], s29, v67
	s_nop 1
	v_cndmask_b32_e64 v4, 0, v4, s[0:1]
	v_perm_b32 v4, v37, v4, s22
	;; [unrolled: 8-line block ×4, first 2 shown]
.LBB107_60:                             ;   in Loop: Header=BB107_40 Depth=1
	s_or_b64 exec, exec, s[12:13]
	s_waitcnt vmcnt(0)
	;;#ASMSTART
	v_pk_mul_f16 v2, v66, v2;

	;;#ASMEND
	;;#ASMSTART
	v_pk_mul_f16 v3, v65, v3;

	;;#ASMEND
	;; [unrolled: 4-line block ×4, first 2 shown]
	v_mov_b32_e32 v39, v21
	;;#ASMSTART
	v_pk_add_f16 v2, v2, v3;

	;;#ASMEND
	s_nop 0
	;;#ASMSTART
	v_pk_add_f16 v2, v2, v4;

	;;#ASMEND
	s_nop 0
	;; [unrolled: 5-line block ×3, first 2 shown]
	v_lshrrev_b32_e32 v3, 16, v2
	v_and_b32_e32 v2, 0xffff, v2
	;;#ASMSTART
	v_cvt_f32_f16 v37, v2;
	;;#ASMEND
	;;#ASMSTART
	v_cvt_f32_f16 v83, v3;
	;;#ASMEND
	v_lshl_add_u64 v[2:3], v[50:51], 0, v[38:39]
	global_load_dwordx4 v[2:5], v[2:3], off
	s_and_saveexec_b64 s[12:13], vcc
	s_cbranch_execz .LBB107_62
; %bb.61:                               ;   in Loop: Header=BB107_40 Depth=1
	s_waitcnt vmcnt(0)
	v_lshrrev_b32_e32 v39, 16, v5
	v_cmp_gt_i32_e64 s[0:1], s34, v70
	s_nop 1
	v_cndmask_b32_e64 v39, 0, v39, s[0:1]
	v_cmp_gt_i32_e64 s[0:1], s31, v69
	s_nop 1
	v_cndmask_b32_e64 v5, 0, v5, s[0:1]
	v_perm_b32 v5, v39, v5, s22
	v_lshrrev_b32_e32 v39, 16, v4
	v_cmp_gt_i32_e64 s[0:1], s30, v68
	s_nop 1
	v_cndmask_b32_e64 v39, 0, v39, s[0:1]
	v_cmp_gt_i32_e64 s[0:1], s29, v67
	s_nop 1
	v_cndmask_b32_e64 v4, 0, v4, s[0:1]
	v_perm_b32 v4, v39, v4, s22
	;; [unrolled: 8-line block ×4, first 2 shown]
.LBB107_62:                             ;   in Loop: Header=BB107_40 Depth=1
	s_or_b64 exec, exec, s[12:13]
	s_waitcnt vmcnt(0)
	;;#ASMSTART
	v_pk_mul_f16 v2, v66, v2;

	;;#ASMEND
	;;#ASMSTART
	v_pk_mul_f16 v3, v65, v3;

	;;#ASMEND
	;; [unrolled: 4-line block ×4, first 2 shown]
	v_mov_b32_e32 v41, v21
	;;#ASMSTART
	v_pk_add_f16 v2, v2, v3;

	;;#ASMEND
	s_nop 0
	;;#ASMSTART
	v_pk_add_f16 v2, v2, v4;

	;;#ASMEND
	s_nop 0
	;; [unrolled: 5-line block ×3, first 2 shown]
	v_lshrrev_b32_e32 v3, 16, v2
	v_and_b32_e32 v2, 0xffff, v2
	;;#ASMSTART
	v_cvt_f32_f16 v39, v2;
	;;#ASMEND
	;;#ASMSTART
	v_cvt_f32_f16 v84, v3;
	;;#ASMEND
	v_lshl_add_u64 v[2:3], v[50:51], 0, v[40:41]
	global_load_dwordx4 v[2:5], v[2:3], off
	s_and_saveexec_b64 s[12:13], vcc
	s_cbranch_execz .LBB107_64
; %bb.63:                               ;   in Loop: Header=BB107_40 Depth=1
	s_waitcnt vmcnt(0)
	v_lshrrev_b32_e32 v41, 16, v5
	v_cmp_gt_i32_e64 s[0:1], s34, v70
	s_nop 1
	v_cndmask_b32_e64 v41, 0, v41, s[0:1]
	v_cmp_gt_i32_e64 s[0:1], s31, v69
	s_nop 1
	v_cndmask_b32_e64 v5, 0, v5, s[0:1]
	v_perm_b32 v5, v41, v5, s22
	v_lshrrev_b32_e32 v41, 16, v4
	v_cmp_gt_i32_e64 s[0:1], s30, v68
	s_nop 1
	v_cndmask_b32_e64 v41, 0, v41, s[0:1]
	v_cmp_gt_i32_e64 s[0:1], s29, v67
	s_nop 1
	v_cndmask_b32_e64 v4, 0, v4, s[0:1]
	v_perm_b32 v4, v41, v4, s22
	;; [unrolled: 8-line block ×4, first 2 shown]
.LBB107_64:                             ;   in Loop: Header=BB107_40 Depth=1
	s_or_b64 exec, exec, s[12:13]
	s_waitcnt vmcnt(0)
	;;#ASMSTART
	v_pk_mul_f16 v2, v66, v2;

	;;#ASMEND
	;;#ASMSTART
	v_pk_mul_f16 v3, v65, v3;

	;;#ASMEND
	;; [unrolled: 4-line block ×4, first 2 shown]
	v_mov_b32_e32 v43, v21
	;;#ASMSTART
	v_pk_add_f16 v2, v2, v3;

	;;#ASMEND
	s_nop 0
	;;#ASMSTART
	v_pk_add_f16 v2, v2, v4;

	;;#ASMEND
	s_nop 0
	;; [unrolled: 5-line block ×3, first 2 shown]
	v_lshrrev_b32_e32 v3, 16, v2
	v_and_b32_e32 v2, 0xffff, v2
	;;#ASMSTART
	v_cvt_f32_f16 v41, v2;
	;;#ASMEND
	;;#ASMSTART
	v_cvt_f32_f16 v85, v3;
	;;#ASMEND
	v_lshl_add_u64 v[2:3], v[50:51], 0, v[42:43]
	global_load_dwordx4 v[2:5], v[2:3], off
	s_and_saveexec_b64 s[12:13], vcc
	s_cbranch_execz .LBB107_66
; %bb.65:                               ;   in Loop: Header=BB107_40 Depth=1
	s_waitcnt vmcnt(0)
	v_lshrrev_b32_e32 v43, 16, v5
	v_cmp_gt_i32_e64 s[0:1], s34, v70
	s_nop 1
	v_cndmask_b32_e64 v43, 0, v43, s[0:1]
	v_cmp_gt_i32_e64 s[0:1], s31, v69
	s_nop 1
	v_cndmask_b32_e64 v5, 0, v5, s[0:1]
	v_perm_b32 v5, v43, v5, s22
	v_lshrrev_b32_e32 v43, 16, v4
	v_cmp_gt_i32_e64 s[0:1], s30, v68
	s_nop 1
	v_cndmask_b32_e64 v43, 0, v43, s[0:1]
	v_cmp_gt_i32_e64 s[0:1], s29, v67
	s_nop 1
	v_cndmask_b32_e64 v4, 0, v4, s[0:1]
	v_perm_b32 v4, v43, v4, s22
	;; [unrolled: 8-line block ×4, first 2 shown]
.LBB107_66:                             ;   in Loop: Header=BB107_40 Depth=1
	s_or_b64 exec, exec, s[12:13]
	s_waitcnt vmcnt(0)
	;;#ASMSTART
	v_pk_mul_f16 v2, v66, v2;

	;;#ASMEND
	;;#ASMSTART
	v_pk_mul_f16 v3, v65, v3;

	;;#ASMEND
	;; [unrolled: 4-line block ×4, first 2 shown]
	v_mov_b32_e32 v45, v21
	;;#ASMSTART
	v_pk_add_f16 v2, v2, v3;

	;;#ASMEND
	s_nop 0
	;;#ASMSTART
	v_pk_add_f16 v2, v2, v4;

	;;#ASMEND
	s_nop 0
	;; [unrolled: 5-line block ×3, first 2 shown]
	v_lshrrev_b32_e32 v3, 16, v2
	v_and_b32_e32 v2, 0xffff, v2
	;;#ASMSTART
	v_cvt_f32_f16 v43, v2;
	;;#ASMEND
	;;#ASMSTART
	v_cvt_f32_f16 v86, v3;
	;;#ASMEND
	v_lshl_add_u64 v[2:3], v[50:51], 0, v[44:45]
	global_load_dwordx4 v[2:5], v[2:3], off
	s_and_saveexec_b64 s[12:13], vcc
	s_cbranch_execz .LBB107_68
; %bb.67:                               ;   in Loop: Header=BB107_40 Depth=1
	s_waitcnt vmcnt(0)
	v_lshrrev_b32_e32 v45, 16, v5
	v_cmp_gt_i32_e64 s[0:1], s34, v70
	s_nop 1
	v_cndmask_b32_e64 v45, 0, v45, s[0:1]
	v_cmp_gt_i32_e64 s[0:1], s31, v69
	s_nop 1
	v_cndmask_b32_e64 v5, 0, v5, s[0:1]
	v_perm_b32 v5, v45, v5, s22
	v_lshrrev_b32_e32 v45, 16, v4
	v_cmp_gt_i32_e64 s[0:1], s30, v68
	s_nop 1
	v_cndmask_b32_e64 v45, 0, v45, s[0:1]
	v_cmp_gt_i32_e64 s[0:1], s29, v67
	s_nop 1
	v_cndmask_b32_e64 v4, 0, v4, s[0:1]
	v_perm_b32 v4, v45, v4, s22
	;; [unrolled: 8-line block ×4, first 2 shown]
.LBB107_68:                             ;   in Loop: Header=BB107_40 Depth=1
	s_or_b64 exec, exec, s[12:13]
	s_waitcnt vmcnt(0)
	;;#ASMSTART
	v_pk_mul_f16 v2, v66, v2;

	;;#ASMEND
	;;#ASMSTART
	v_pk_mul_f16 v3, v65, v3;

	;;#ASMEND
	;; [unrolled: 4-line block ×4, first 2 shown]
	v_mov_b32_e32 v47, v21
	;;#ASMSTART
	v_pk_add_f16 v2, v2, v3;

	;;#ASMEND
	s_nop 0
	;;#ASMSTART
	v_pk_add_f16 v2, v2, v4;

	;;#ASMEND
	s_nop 0
	;; [unrolled: 5-line block ×3, first 2 shown]
	v_lshrrev_b32_e32 v3, 16, v2
	v_and_b32_e32 v2, 0xffff, v2
	;;#ASMSTART
	v_cvt_f32_f16 v45, v2;
	;;#ASMEND
	;;#ASMSTART
	v_cvt_f32_f16 v87, v3;
	;;#ASMEND
	v_lshl_add_u64 v[2:3], v[50:51], 0, v[46:47]
	global_load_dwordx4 v[2:5], v[2:3], off
	s_and_saveexec_b64 s[12:13], vcc
	s_cbranch_execz .LBB107_70
; %bb.69:                               ;   in Loop: Header=BB107_40 Depth=1
	s_waitcnt vmcnt(0)
	v_lshrrev_b32_e32 v47, 16, v5
	v_cmp_gt_i32_e64 s[0:1], s34, v70
	s_nop 1
	v_cndmask_b32_e64 v47, 0, v47, s[0:1]
	v_cmp_gt_i32_e64 s[0:1], s31, v69
	s_nop 1
	v_cndmask_b32_e64 v5, 0, v5, s[0:1]
	v_perm_b32 v5, v47, v5, s22
	v_lshrrev_b32_e32 v47, 16, v4
	v_cmp_gt_i32_e64 s[0:1], s30, v68
	s_nop 1
	v_cndmask_b32_e64 v47, 0, v47, s[0:1]
	v_cmp_gt_i32_e64 s[0:1], s29, v67
	s_nop 1
	v_cndmask_b32_e64 v4, 0, v4, s[0:1]
	v_perm_b32 v4, v47, v4, s22
	;; [unrolled: 8-line block ×4, first 2 shown]
.LBB107_70:                             ;   in Loop: Header=BB107_40 Depth=1
	s_or_b64 exec, exec, s[12:13]
	s_waitcnt vmcnt(0)
	;;#ASMSTART
	v_pk_mul_f16 v2, v66, v2;

	;;#ASMEND
	;;#ASMSTART
	v_pk_mul_f16 v3, v65, v3;

	;;#ASMEND
	;; [unrolled: 4-line block ×4, first 2 shown]
	v_mov_b32_e32 v49, v21
	;;#ASMSTART
	v_pk_add_f16 v2, v2, v3;

	;;#ASMEND
	s_nop 0
	;;#ASMSTART
	v_pk_add_f16 v2, v2, v4;

	;;#ASMEND
	s_nop 0
	;; [unrolled: 5-line block ×3, first 2 shown]
	v_lshrrev_b32_e32 v3, 16, v2
	v_and_b32_e32 v2, 0xffff, v2
	;;#ASMSTART
	v_cvt_f32_f16 v47, v2;
	;;#ASMEND
	;;#ASMSTART
	v_cvt_f32_f16 v88, v3;
	;;#ASMEND
	v_lshl_add_u64 v[2:3], v[50:51], 0, v[48:49]
	global_load_dwordx4 v[2:5], v[2:3], off
	s_and_saveexec_b64 s[0:1], vcc
	s_cbranch_execz .LBB107_39
; %bb.71:                               ;   in Loop: Header=BB107_40 Depth=1
	s_waitcnt vmcnt(0)
	v_lshrrev_b32_e32 v49, 16, v5
	v_cmp_gt_i32_e32 vcc, s34, v70
	s_nop 1
	v_cndmask_b32_e32 v49, 0, v49, vcc
	v_cmp_gt_i32_e32 vcc, s31, v69
	s_nop 1
	v_cndmask_b32_e32 v5, 0, v5, vcc
	v_perm_b32 v5, v49, v5, s22
	v_lshrrev_b32_e32 v49, 16, v4
	v_cmp_gt_i32_e32 vcc, s30, v68
	s_nop 1
	v_cndmask_b32_e32 v49, 0, v49, vcc
	v_cmp_gt_i32_e32 vcc, s29, v67
	s_nop 1
	v_cndmask_b32_e32 v4, 0, v4, vcc
	v_perm_b32 v4, v49, v4, s22
	;; [unrolled: 8-line block ×4, first 2 shown]
	s_branch .LBB107_39
.LBB107_72:
	s_or_b64 exec, exec, s[10:11]
.LBB107_73:
	s_or_b64 exec, exec, s[8:9]
	ds_bpermute_b32 v4, v55, v18
	ds_bpermute_b32 v5, v55, v19
	;; [unrolled: 1-line block ×6, first 2 shown]
	s_waitcnt lgkmcnt(4)
	v_pk_add_f32 v[4:5], v[18:19], v[4:5]
	ds_bpermute_b32 v18, v56, v4
	ds_bpermute_b32 v19, v56, v5
	s_waitcnt lgkmcnt(4)
	v_pk_add_f32 v[2:3], v[22:23], v[2:3]
	ds_bpermute_b32 v22, v55, v16
	ds_bpermute_b32 v23, v55, v17
	ds_bpermute_b32 v20, v56, v2
	s_waitcnt lgkmcnt(3)
	v_pk_add_f32 v[4:5], v[4:5], v[18:19]
	ds_bpermute_b32 v18, v55, v12
	;; [unrolled: 5-line block ×3, first 2 shown]
	ds_bpermute_b32 v23, v55, v15
	s_waitcnt lgkmcnt(3)
	v_pk_add_f32 v[12:13], v[12:13], v[18:19]
	ds_bpermute_b32 v18, v55, v10
	ds_bpermute_b32 v19, v55, v11
	s_waitcnt lgkmcnt(4)
	v_pk_add_f32 v[2:3], v[2:3], v[20:21]
	ds_bpermute_b32 v20, v56, v16
	ds_bpermute_b32 v21, v56, v17
	;; [unrolled: 1-line block ×3, first 2 shown]
	s_waitcnt lgkmcnt(3)
	v_pk_add_f32 v[10:11], v[10:11], v[18:19]
	ds_bpermute_b32 v27, v55, v7
	ds_bpermute_b32 v18, v56, v10
	;; [unrolled: 1-line block ×3, first 2 shown]
	v_pk_add_f32 v[14:15], v[14:15], v[22:23]
	v_pk_add_f32 v[8:9], v[8:9], v[24:25]
	s_waitcnt lgkmcnt(4)
	v_pk_add_f32 v[16:17], v[16:17], v[20:21]
	ds_bpermute_b32 v20, v56, v14
	ds_bpermute_b32 v21, v56, v15
	;; [unrolled: 1-line block ×6, first 2 shown]
	s_waitcnt lgkmcnt(8)
	v_pk_add_f32 v[6:7], v[6:7], v[26:27]
	s_waitcnt lgkmcnt(6)
	v_pk_add_f32 v[10:11], v[10:11], v[18:19]
	ds_bpermute_b32 v18, v56, v6
	ds_bpermute_b32 v19, v56, v7
	v_and_b32_e32 v1, 0x3c3, v0
	s_waitcnt lgkmcnt(6)
	v_pk_add_f32 v[14:15], v[14:15], v[20:21]
	s_waitcnt lgkmcnt(4)
	v_pk_add_f32 v[12:13], v[12:13], v[22:23]
	;; [unrolled: 2-line block ×3, first 2 shown]
	v_cmp_ne_u32_e32 vcc, 64, v1
	s_waitcnt lgkmcnt(0)
	s_barrier
	s_and_saveexec_b64 s[0:1], vcc
	s_xor_b64 s[0:1], exec, s[0:1]
; %bb.74:
                                        ; implicit-def: $vgpr54
; %bb.75:
	s_or_saveexec_b64 s[0:1], s[0:1]
	v_pk_add_f32 v[6:7], v[6:7], v[18:19]
	s_xor_b64 exec, exec, s[0:1]
	s_cbranch_execz .LBB107_77
; %bb.76:
	v_add_u32_e32 v18, 0x210, v54
	ds_write2_b32 v18, v2, v3 offset1:16
	ds_write2_b32 v18, v4, v5 offset0:32 offset1:48
	ds_write2_b32 v18, v16, v17 offset0:64 offset1:80
	;; [unrolled: 1-line block ×7, first 2 shown]
.LBB107_77:
	s_or_b64 exec, exec, s[0:1]
	s_waitcnt lgkmcnt(0)
	s_barrier
	s_and_saveexec_b64 s[0:1], s[6:7]
	s_cbranch_execz .LBB107_96
; %bb.78:
	v_cmp_eq_u32_e32 vcc, 0, v57
	v_lshrrev_b32_e32 v18, 2, v0
	s_and_saveexec_b64 s[2:3], vcc
	s_cbranch_execnz .LBB107_99
; %bb.79:
	s_or_b64 exec, exec, s[2:3]
	s_and_saveexec_b64 s[2:3], vcc
	s_cbranch_execnz .LBB107_100
.LBB107_80:
	s_or_b64 exec, exec, s[2:3]
	s_and_saveexec_b64 s[2:3], vcc
	s_cbranch_execnz .LBB107_101
.LBB107_81:
	s_or_b64 exec, exec, s[2:3]
	s_and_saveexec_b64 s[2:3], vcc
	s_cbranch_execnz .LBB107_102
.LBB107_82:
	s_or_b64 exec, exec, s[2:3]
	s_and_saveexec_b64 s[2:3], vcc
	s_cbranch_execnz .LBB107_103
.LBB107_83:
	s_or_b64 exec, exec, s[2:3]
	s_and_saveexec_b64 s[2:3], vcc
	s_cbranch_execnz .LBB107_104
.LBB107_84:
	s_or_b64 exec, exec, s[2:3]
	s_and_saveexec_b64 s[2:3], vcc
	s_cbranch_execnz .LBB107_105
.LBB107_85:
	s_or_b64 exec, exec, s[2:3]
	s_and_saveexec_b64 s[2:3], vcc
	s_cbranch_execnz .LBB107_106
.LBB107_86:
	s_or_b64 exec, exec, s[2:3]
	s_and_saveexec_b64 s[2:3], vcc
	s_cbranch_execnz .LBB107_107
.LBB107_87:
	s_or_b64 exec, exec, s[2:3]
	s_and_saveexec_b64 s[2:3], vcc
	s_cbranch_execnz .LBB107_108
.LBB107_88:
	s_or_b64 exec, exec, s[2:3]
	s_and_saveexec_b64 s[2:3], vcc
	s_cbranch_execnz .LBB107_109
.LBB107_89:
	s_or_b64 exec, exec, s[2:3]
	s_and_saveexec_b64 s[2:3], vcc
	s_cbranch_execnz .LBB107_110
.LBB107_90:
	s_or_b64 exec, exec, s[2:3]
	s_and_saveexec_b64 s[2:3], vcc
	s_cbranch_execnz .LBB107_111
.LBB107_91:
	s_or_b64 exec, exec, s[2:3]
	s_and_saveexec_b64 s[2:3], vcc
	s_cbranch_execnz .LBB107_112
.LBB107_92:
	s_or_b64 exec, exec, s[2:3]
	s_and_saveexec_b64 s[2:3], vcc
	s_cbranch_execnz .LBB107_113
.LBB107_93:
	s_or_b64 exec, exec, s[2:3]
	s_and_saveexec_b64 s[2:3], vcc
	s_cbranch_execz .LBB107_95
.LBB107_94:
	v_mov_b32_e32 v19, 0x210
	v_lshl_add_u32 v18, v18, 2, v19
	ds_read_b32 v18, v18 offset:960
	s_waitcnt lgkmcnt(0)
	v_add_f32_e32 v7, v7, v18
.LBB107_95:
	s_or_b64 exec, exec, s[2:3]
.LBB107_96:
	s_or_b64 exec, exec, s[0:1]
	v_cmp_eq_u32_e32 vcc, 0, v1
	s_barrier
	s_and_saveexec_b64 s[0:1], vcc
	s_cbranch_execz .LBB107_98
; %bb.97:
	s_mul_i32 s0, s16, s17
	s_mul_i32 s0, s0, s5
	s_lshl_b32 s0, s0, 8
	s_ashr_i32 s1, s0, 31
	s_lshl_b64 s[0:1], s[0:1], 1
	s_add_u32 s2, s20, s0
	s_mul_i32 s0, s17, s18
	s_addc_u32 s3, s21, s1
	s_ashr_i32 s1, s0, 31
	s_lshl_b64 s[0:1], s[0:1], 1
	s_add_u32 s2, s2, s0
	s_addc_u32 s3, s3, s1
	s_lshl_b32 s0, s4, 8
	s_ashr_i32 s1, s0, 31
	s_lshl_b64 s[0:1], s[0:1], 1
	s_add_u32 s0, s2, s0
	s_addc_u32 s1, s3, s1
	v_lshrrev_b32_e32 v0, 1, v0
	;;#ASMSTART
	v_cvt_f16_f32 v1, v2;

	;;#ASMEND
	global_store_short v0, v1, s[0:1]
	;;#ASMSTART
	v_cvt_f16_f32 v1, v3;

	;;#ASMEND
	global_store_short v0, v1, s[0:1] offset:32
	;;#ASMSTART
	v_cvt_f16_f32 v1, v4;

	;;#ASMEND
	global_store_short v0, v1, s[0:1] offset:64
	;; [unrolled: 5-line block ×15, first 2 shown]
.LBB107_98:
	s_endpgm
.LBB107_99:
	v_mov_b32_e32 v19, 0x210
	v_lshl_add_u32 v19, v18, 2, v19
	ds_read_b32 v19, v19
	s_waitcnt lgkmcnt(0)
	v_add_f32_e32 v2, v2, v19
	s_or_b64 exec, exec, s[2:3]
	s_and_saveexec_b64 s[2:3], vcc
	s_cbranch_execz .LBB107_80
.LBB107_100:
	v_mov_b32_e32 v19, 0x210
	v_lshl_add_u32 v19, v18, 2, v19
	ds_read_b32 v19, v19 offset:64
	s_waitcnt lgkmcnt(0)
	v_add_f32_e32 v3, v3, v19
	s_or_b64 exec, exec, s[2:3]
	s_and_saveexec_b64 s[2:3], vcc
	s_cbranch_execz .LBB107_81
.LBB107_101:
	v_mov_b32_e32 v19, 0x210
	v_lshl_add_u32 v19, v18, 2, v19
	ds_read_b32 v19, v19 offset:128
	s_waitcnt lgkmcnt(0)
	v_add_f32_e32 v4, v4, v19
	s_or_b64 exec, exec, s[2:3]
	s_and_saveexec_b64 s[2:3], vcc
	s_cbranch_execz .LBB107_82
.LBB107_102:
	v_mov_b32_e32 v19, 0x210
	v_lshl_add_u32 v19, v18, 2, v19
	ds_read_b32 v19, v19 offset:192
	s_waitcnt lgkmcnt(0)
	v_add_f32_e32 v5, v5, v19
	s_or_b64 exec, exec, s[2:3]
	s_and_saveexec_b64 s[2:3], vcc
	s_cbranch_execz .LBB107_83
.LBB107_103:
	v_mov_b32_e32 v19, 0x210
	v_lshl_add_u32 v19, v18, 2, v19
	ds_read_b32 v19, v19 offset:256
	s_waitcnt lgkmcnt(0)
	v_add_f32_e32 v16, v16, v19
	s_or_b64 exec, exec, s[2:3]
	s_and_saveexec_b64 s[2:3], vcc
	s_cbranch_execz .LBB107_84
.LBB107_104:
	v_mov_b32_e32 v19, 0x210
	v_lshl_add_u32 v19, v18, 2, v19
	ds_read_b32 v19, v19 offset:320
	s_waitcnt lgkmcnt(0)
	v_add_f32_e32 v17, v17, v19
	s_or_b64 exec, exec, s[2:3]
	s_and_saveexec_b64 s[2:3], vcc
	s_cbranch_execz .LBB107_85
.LBB107_105:
	v_mov_b32_e32 v19, 0x210
	v_lshl_add_u32 v19, v18, 2, v19
	ds_read_b32 v19, v19 offset:384
	s_waitcnt lgkmcnt(0)
	v_add_f32_e32 v14, v14, v19
	s_or_b64 exec, exec, s[2:3]
	s_and_saveexec_b64 s[2:3], vcc
	s_cbranch_execz .LBB107_86
.LBB107_106:
	v_mov_b32_e32 v19, 0x210
	v_lshl_add_u32 v19, v18, 2, v19
	ds_read_b32 v19, v19 offset:448
	s_waitcnt lgkmcnt(0)
	v_add_f32_e32 v15, v15, v19
	s_or_b64 exec, exec, s[2:3]
	s_and_saveexec_b64 s[2:3], vcc
	s_cbranch_execz .LBB107_87
.LBB107_107:
	v_mov_b32_e32 v19, 0x210
	v_lshl_add_u32 v19, v18, 2, v19
	ds_read_b32 v19, v19 offset:512
	s_waitcnt lgkmcnt(0)
	v_add_f32_e32 v12, v12, v19
	s_or_b64 exec, exec, s[2:3]
	s_and_saveexec_b64 s[2:3], vcc
	s_cbranch_execz .LBB107_88
.LBB107_108:
	v_mov_b32_e32 v19, 0x210
	v_lshl_add_u32 v19, v18, 2, v19
	ds_read_b32 v19, v19 offset:576
	s_waitcnt lgkmcnt(0)
	v_add_f32_e32 v13, v13, v19
	s_or_b64 exec, exec, s[2:3]
	s_and_saveexec_b64 s[2:3], vcc
	s_cbranch_execz .LBB107_89
.LBB107_109:
	v_mov_b32_e32 v19, 0x210
	v_lshl_add_u32 v19, v18, 2, v19
	ds_read_b32 v19, v19 offset:640
	s_waitcnt lgkmcnt(0)
	v_add_f32_e32 v10, v10, v19
	s_or_b64 exec, exec, s[2:3]
	s_and_saveexec_b64 s[2:3], vcc
	s_cbranch_execz .LBB107_90
.LBB107_110:
	v_mov_b32_e32 v19, 0x210
	v_lshl_add_u32 v19, v18, 2, v19
	ds_read_b32 v19, v19 offset:704
	s_waitcnt lgkmcnt(0)
	v_add_f32_e32 v11, v11, v19
	s_or_b64 exec, exec, s[2:3]
	s_and_saveexec_b64 s[2:3], vcc
	s_cbranch_execz .LBB107_91
.LBB107_111:
	v_mov_b32_e32 v19, 0x210
	v_lshl_add_u32 v19, v18, 2, v19
	ds_read_b32 v19, v19 offset:768
	s_waitcnt lgkmcnt(0)
	v_add_f32_e32 v8, v8, v19
	s_or_b64 exec, exec, s[2:3]
	s_and_saveexec_b64 s[2:3], vcc
	s_cbranch_execz .LBB107_92
.LBB107_112:
	v_mov_b32_e32 v19, 0x210
	v_lshl_add_u32 v19, v18, 2, v19
	ds_read_b32 v19, v19 offset:832
	s_waitcnt lgkmcnt(0)
	v_add_f32_e32 v9, v9, v19
	s_or_b64 exec, exec, s[2:3]
	s_and_saveexec_b64 s[2:3], vcc
	s_cbranch_execz .LBB107_93
.LBB107_113:
	v_mov_b32_e32 v19, 0x210
	v_lshl_add_u32 v19, v18, 2, v19
	ds_read_b32 v19, v19 offset:896
	s_waitcnt lgkmcnt(0)
	v_add_f32_e32 v6, v6, v19
	s_or_b64 exec, exec, s[2:3]
	s_and_saveexec_b64 s[2:3], vcc
	s_cbranch_execnz .LBB107_94
	s_branch .LBB107_95
	.section	.rodata,"a",@progbits
	.p2align	6, 0x0
	.amdhsa_kernel _ZN4vllm25paged_attention_v1_kernelIttLi256ELi32ELi128ELNS_18Fp8KVCacheDataTypeE0ELb0EEEvPT_PKS2_PKT0_S8_ifPKiSA_iPKfiiiSC_SC_iiiii
		.amdhsa_group_segment_fixed_size 528
		.amdhsa_private_segment_fixed_size 0
		.amdhsa_kernarg_size 384
		.amdhsa_user_sgpr_count 2
		.amdhsa_user_sgpr_dispatch_ptr 0
		.amdhsa_user_sgpr_queue_ptr 0
		.amdhsa_user_sgpr_kernarg_segment_ptr 1
		.amdhsa_user_sgpr_dispatch_id 0
		.amdhsa_user_sgpr_kernarg_preload_length 0
		.amdhsa_user_sgpr_kernarg_preload_offset 0
		.amdhsa_user_sgpr_private_segment_size 0
		.amdhsa_uses_dynamic_stack 0
		.amdhsa_enable_private_segment 0
		.amdhsa_system_sgpr_workgroup_id_x 1
		.amdhsa_system_sgpr_workgroup_id_y 1
		.amdhsa_system_sgpr_workgroup_id_z 1
		.amdhsa_system_sgpr_workgroup_info 0
		.amdhsa_system_vgpr_workitem_id 0
		.amdhsa_next_free_vgpr 104
		.amdhsa_next_free_sgpr 39
		.amdhsa_accum_offset 104
		.amdhsa_reserve_vcc 1
		.amdhsa_float_round_mode_32 0
		.amdhsa_float_round_mode_16_64 0
		.amdhsa_float_denorm_mode_32 3
		.amdhsa_float_denorm_mode_16_64 3
		.amdhsa_dx10_clamp 1
		.amdhsa_ieee_mode 1
		.amdhsa_fp16_overflow 0
		.amdhsa_tg_split 0
		.amdhsa_exception_fp_ieee_invalid_op 0
		.amdhsa_exception_fp_denorm_src 0
		.amdhsa_exception_fp_ieee_div_zero 0
		.amdhsa_exception_fp_ieee_overflow 0
		.amdhsa_exception_fp_ieee_underflow 0
		.amdhsa_exception_fp_ieee_inexact 0
		.amdhsa_exception_int_div_zero 0
	.end_amdhsa_kernel
	.section	.text._ZN4vllm25paged_attention_v1_kernelIttLi256ELi32ELi128ELNS_18Fp8KVCacheDataTypeE0ELb0EEEvPT_PKS2_PKT0_S8_ifPKiSA_iPKfiiiSC_SC_iiiii,"axG",@progbits,_ZN4vllm25paged_attention_v1_kernelIttLi256ELi32ELi128ELNS_18Fp8KVCacheDataTypeE0ELb0EEEvPT_PKS2_PKT0_S8_ifPKiSA_iPKfiiiSC_SC_iiiii,comdat
.Lfunc_end107:
	.size	_ZN4vllm25paged_attention_v1_kernelIttLi256ELi32ELi128ELNS_18Fp8KVCacheDataTypeE0ELb0EEEvPT_PKS2_PKT0_S8_ifPKiSA_iPKfiiiSC_SC_iiiii, .Lfunc_end107-_ZN4vllm25paged_attention_v1_kernelIttLi256ELi32ELi128ELNS_18Fp8KVCacheDataTypeE0ELb0EEEvPT_PKS2_PKT0_S8_ifPKiSA_iPKfiiiSC_SC_iiiii
                                        ; -- End function
	.section	.AMDGPU.csdata,"",@progbits
; Kernel info:
; codeLenInByte = 15220
; NumSgprs: 45
; NumVgprs: 104
; NumAgprs: 0
; TotalNumVgprs: 104
; ScratchSize: 0
; MemoryBound: 0
; FloatMode: 240
; IeeeMode: 1
; LDSByteSize: 528 bytes/workgroup (compile time only)
; SGPRBlocks: 5
; VGPRBlocks: 12
; NumSGPRsForWavesPerEU: 45
; NumVGPRsForWavesPerEU: 104
; AccumOffset: 104
; Occupancy: 4
; WaveLimiterHint : 1
; COMPUTE_PGM_RSRC2:SCRATCH_EN: 0
; COMPUTE_PGM_RSRC2:USER_SGPR: 2
; COMPUTE_PGM_RSRC2:TRAP_HANDLER: 0
; COMPUTE_PGM_RSRC2:TGID_X_EN: 1
; COMPUTE_PGM_RSRC2:TGID_Y_EN: 1
; COMPUTE_PGM_RSRC2:TGID_Z_EN: 1
; COMPUTE_PGM_RSRC2:TIDIG_COMP_CNT: 0
; COMPUTE_PGM_RSRC3_GFX90A:ACCUM_OFFSET: 25
; COMPUTE_PGM_RSRC3_GFX90A:TG_SPLIT: 0
	.section	.text._ZN4vllm25paged_attention_v1_kernelI14__hip_bfloat16S1_Li32ELi8ELi128ELNS_18Fp8KVCacheDataTypeE0ELb1EEEvPT_PKS3_PKT0_S9_ifPKiSB_iPKfiiiSD_SD_iiiii,"axG",@progbits,_ZN4vllm25paged_attention_v1_kernelI14__hip_bfloat16S1_Li32ELi8ELi128ELNS_18Fp8KVCacheDataTypeE0ELb1EEEvPT_PKS3_PKT0_S9_ifPKiSB_iPKfiiiSD_SD_iiiii,comdat
	.protected	_ZN4vllm25paged_attention_v1_kernelI14__hip_bfloat16S1_Li32ELi8ELi128ELNS_18Fp8KVCacheDataTypeE0ELb1EEEvPT_PKS3_PKT0_S9_ifPKiSB_iPKfiiiSD_SD_iiiii ; -- Begin function _ZN4vllm25paged_attention_v1_kernelI14__hip_bfloat16S1_Li32ELi8ELi128ELNS_18Fp8KVCacheDataTypeE0ELb1EEEvPT_PKS3_PKT0_S9_ifPKiSB_iPKfiiiSD_SD_iiiii
	.globl	_ZN4vllm25paged_attention_v1_kernelI14__hip_bfloat16S1_Li32ELi8ELi128ELNS_18Fp8KVCacheDataTypeE0ELb1EEEvPT_PKS3_PKT0_S9_ifPKiSB_iPKfiiiSD_SD_iiiii
	.p2align	8
	.type	_ZN4vllm25paged_attention_v1_kernelI14__hip_bfloat16S1_Li32ELi8ELi128ELNS_18Fp8KVCacheDataTypeE0ELb1EEEvPT_PKS3_PKT0_S9_ifPKiSB_iPKfiiiSD_SD_iiiii,@function
_ZN4vllm25paged_attention_v1_kernelI14__hip_bfloat16S1_Li32ELi8ELi128ELNS_18Fp8KVCacheDataTypeE0ELb1EEEvPT_PKS3_PKT0_S9_ifPKiSB_iPKfiiiSD_SD_iiiii: ; @_ZN4vllm25paged_attention_v1_kernelI14__hip_bfloat16S1_Li32ELi8ELi128ELNS_18Fp8KVCacheDataTypeE0ELb1EEEvPT_PKS3_PKT0_S9_ifPKiSB_iPKfiiiSD_SD_iiiii
; %bb.0:
	s_load_dword s5, s[0:1], 0x80
	s_load_dwordx2 s[6:7], s[0:1], 0x30
	s_load_dwordx2 s[30:31], s[0:1], 0x20
	s_mov_b32 s10, s3
	s_ashr_i32 s11, s3, 31
	s_lshl_b64 s[8:9], s[10:11], 2
	s_waitcnt lgkmcnt(0)
	s_add_u32 s6, s6, s8
	s_addc_u32 s7, s7, s9
	s_abs_i32 s3, s30
	v_cvt_f32_u32_e32 v1, s3
	s_sub_i32 s11, 0, s3
	s_abs_i32 s9, s5
	s_xor_b32 s8, s5, s30
	v_rcp_iflag_f32_e32 v1, v1
	s_ashr_i32 s8, s8, 31
	s_mov_b32 s42, 0
	v_mul_f32_e32 v1, 0x4f7ffffe, v1
	v_cvt_u32_f32_e32 v1, v1
	s_nop 0
	v_readfirstlane_b32 s12, v1
	s_mul_i32 s11, s11, s12
	s_mul_hi_u32 s11, s12, s11
	s_add_i32 s12, s12, s11
	s_mul_hi_u32 s11, s9, s12
	s_mul_i32 s12, s11, s3
	s_sub_i32 s9, s9, s12
	s_add_i32 s12, s11, 1
	s_sub_i32 s13, s9, s3
	s_cmp_ge_u32 s9, s3
	s_cselect_b32 s11, s12, s11
	s_cselect_b32 s9, s13, s9
	s_add_i32 s12, s11, 1
	s_cmp_ge_u32 s9, s3
	s_cselect_b32 s3, s12, s11
	s_xor_b32 s3, s3, s8
	s_sub_i32 s16, s3, s8
	s_abs_i32 s22, s16
	v_cvt_f32_u32_e32 v1, s22
	s_load_dwordx2 s[8:9], s[0:1], 0x40
	s_sub_i32 s3, 0, s22
	s_abs_i32 s23, s2
	v_rcp_iflag_f32_e32 v1, v1
	s_nop 0
	v_mul_f32_e32 v1, 0x4f7ffffe, v1
	v_cvt_u32_f32_e32 v1, v1
	s_nop 0
	v_readfirstlane_b32 s11, v1
	s_mul_i32 s3, s3, s11
	s_mul_hi_u32 s3, s11, s3
	s_add_i32 s11, s11, s3
	s_waitcnt lgkmcnt(0)
	s_cmp_eq_u64 s[8:9], 0
	s_mul_hi_u32 s24, s23, s11
	s_cbranch_scc1 .LBB108_2
; %bb.1:
	s_ashr_i32 s3, s2, 31
	s_lshl_b64 s[12:13], s[2:3], 2
	s_add_u32 s8, s8, s12
	s_addc_u32 s9, s9, s13
	s_load_dword s42, s[8:9], 0x0
.LBB108_2:
	s_load_dword s11, s[6:7], 0x0
	s_load_dwordx4 s[12:15], s[0:1], 0x48
	s_ashr_i32 s8, s2, 31
	s_ashr_i32 s9, s16, 31
	v_and_b32_e32 v4, 7, v0
	s_lshl_b32 s20, s2, 5
	v_cmp_gt_u32_e32 vcc, 32, v0
	s_and_saveexec_b64 s[6:7], vcc
	s_cbranch_execz .LBB108_4
; %bb.3:
	s_load_dwordx2 s[16:17], s[0:1], 0x8
	s_waitcnt lgkmcnt(0)
	s_mul_i32 s18, s10, s12
	s_ashr_i32 s19, s18, 31
	s_lshl_b64 s[18:19], s[18:19], 1
	v_lshlrev_b32_e32 v1, 1, v0
	s_add_u32 s3, s16, s18
	s_addc_u32 s12, s17, s19
	s_ashr_i32 s21, s20, 31
	s_lshl_b64 s[16:17], s[20:21], 1
	s_add_u32 s16, s3, s16
	s_addc_u32 s17, s12, s17
	global_load_ushort v1, v1, s[16:17]
	v_lshrrev_b32_e32 v2, 2, v0
	v_and_b32_e32 v2, 0xfe, v2
	v_lshl_add_u32 v2, v4, 3, v2
	s_waitcnt vmcnt(0)
	ds_write_b16 v2, v1
.LBB108_4:
	s_or_b64 exec, exec, s[6:7]
	s_mul_i32 s7, s24, s22
	s_sub_i32 s7, s23, s7
	s_xor_b32 s6, s8, s9
	s_add_i32 s8, s24, 1
	s_sub_i32 s9, s7, s22
	s_load_dwordx4 s[16:19], s[0:1], 0x68
	s_load_dword s3, s[0:1], 0x78
	s_cmp_ge_u32 s7, s22
	s_cselect_b32 s8, s8, s24
	s_cselect_b32 s7, s9, s7
	s_add_i32 s9, s8, 1
	s_cmp_ge_u32 s7, s22
	s_cselect_b32 s7, s9, s8
	s_waitcnt lgkmcnt(0)
	s_abs_i32 s21, s19
	v_cvt_f32_u32_e32 v1, s21
	s_xor_b32 s7, s7, s6
	s_sub_i32 s8, s7, s6
	s_sub_i32 s6, 0, s21
	v_rcp_iflag_f32_e32 v1, v1
	s_add_i32 s15, s11, -1
	s_abs_i32 s9, s15
	v_mul_f32_e32 v1, 0x4f7ffffe, v1
	v_cvt_u32_f32_e32 v1, v1
	s_barrier
	v_readfirstlane_b32 s33, v1
	s_mul_i32 s6, s6, s33
	s_mul_hi_u32 s6, s33, s6
	s_add_i32 s33, s33, s6
	s_cmp_lt_i32 s3, 0
	s_mul_hi_u32 s12, s9, s33
	s_cbranch_scc0 .LBB108_6
; %bb.5:
	s_mul_i32 s6, s16, s30
	s_add_i32 s6, s8, s6
	s_mul_i32 s6, s6, s3
	s_sub_i32 s40, 1, s6
	s_mov_b64 s[6:7], 0
	s_branch .LBB108_7
.LBB108_6:
	s_mov_b64 s[6:7], -1
                                        ; implicit-def: $sgpr40
.LBB108_7:
	s_load_dwordx2 s[24:25], s[0:1], 0x28
	s_ashr_i32 s15, s15, 31
	s_andn2_b64 vcc, exec, s[6:7]
	s_ashr_i32 s19, s19, 31
	s_cbranch_vccnz .LBB108_9
; %bb.8:
	s_mul_i32 s6, s5, s16
	s_add_i32 s2, s6, s2
	s_mul_i32 s2, s2, s3
	s_add_i32 s40, s2, 1
.LBB108_9:
	s_load_dword s2, s[0:1], 0x38
	s_load_dwordx2 s[22:23], s[0:1], 0x0
	s_load_dwordx2 s[28:29], s[0:1], 0x18
	s_load_dword s16, s[0:1], 0x88
	s_xor_b32 s3, s15, s19
	s_waitcnt lgkmcnt(0)
	s_mul_i32 s26, s10, s2
	s_mul_i32 s2, s12, s21
	s_sub_i32 s2, s9, s2
	s_ashr_i32 s27, s26, 31
	s_add_i32 s6, s12, 1
	s_sub_i32 s7, s2, s21
	s_cmp_ge_u32 s2, s21
	s_cselect_b32 s6, s6, s12
	s_cselect_b32 s2, s7, s2
	s_add_i32 s7, s6, 1
	s_cmp_ge_u32 s2, s21
	s_cselect_b32 s2, s7, s6
	s_xor_b32 s2, s2, s3
	s_sub_i32 s12, s2, s3
	s_add_i32 s2, s11, 7
	s_ashr_i32 s3, s2, 31
	s_lshr_b32 s3, s3, 29
	s_add_i32 s2, s2, s3
	s_ashr_i32 s41, s2, 3
	v_lshrrev_b32_e32 v1, 6, v0
	v_cmp_gt_i32_e64 s[2:3], s41, v1
	v_mov_b32_e32 v10, 0xff7fffff
	s_mul_i32 s14, s8, s14
	v_lshrrev_b32_e32 v6, 4, v0
	v_lshlrev_b32_e32 v16, 3, v1
	v_mbcnt_lo_u32_b32 v7, -1, 0
	s_and_saveexec_b64 s[34:35], s[2:3]
	s_cbranch_execz .LBB108_19
; %bb.10:
	s_load_dwordx2 s[0:1], s[0:1], 0x10
	s_ashr_i32 s15, s14, 31
	s_sub_i32 s30, s12, s17
	s_lshl_b64 s[6:7], s[14:15], 1
	v_bfe_u32 v8, v0, 3, 3
	s_waitcnt lgkmcnt(0)
	s_add_u32 s0, s0, s6
	s_addc_u32 s1, s1, s7
	s_abs_i32 s15, s18
	v_cvt_f32_u32_e32 v2, s15
	v_lshlrev_b32_e32 v12, 4, v8
	v_mov_b32_e32 v13, 0
	s_sub_i32 s6, 0, s15
	v_rcp_iflag_f32_e32 v5, v2
	v_cmp_eq_u32_e32 vcc, 0, v4
	v_lshl_add_u64 v[2:3], s[0:1], 0, v[12:13]
	v_lshlrev_b32_e32 v12, 1, v4
	v_mul_f32_e32 v5, 0x4f7ffffe, v5
	v_cvt_u32_f32_e32 v5, v5
	v_lshlrev_b32_e32 v9, 3, v4
	v_lshlrev_b32_e32 v10, 2, v8
	v_lshl_add_u64 v[2:3], v[2:3], 0, v[12:13]
	v_mul_lo_u32 v4, s6, v5
	s_lshl_b64 s[6:7], s[26:27], 2
	s_add_u32 s6, s24, s6
	v_mul_hi_u32 v4, v5, v4
	v_and_b32_e32 v12, 60, v6
	s_addc_u32 s7, s25, s7
	v_lshl_or_b32 v10, v1, 5, v10
	v_add_u32_e32 v11, v5, v4
	v_lshl_add_u64 v[4:5], s[6:7], 0, v[12:13]
	v_add_u32_e32 v13, 0x50, v10
	v_subrev_u32_e32 v10, s11, v8
	v_mbcnt_hi_u32_b32 v17, -1, v7
	v_add_u32_e32 v14, 1, v10
	v_and_b32_e32 v10, 64, v17
	s_mov_b32 s43, s13
	v_cmp_neq_f32_e64 s[0:1], s42, 0
	v_lshlrev_b32_e32 v12, 3, v1
	s_mov_b64 s[36:37], 0
	v_mov_b32_e32 v15, 0xff7fffff
	v_add_u32_e32 v18, 64, v10
	v_xor_b32_e32 v19, 4, v17
	v_xor_b32_e32 v20, 2, v17
	;; [unrolled: 1-line block ×3, first 2 shown]
	v_mov_b32_e32 v10, 0xff7fffff
	v_mov_b32_e32 v22, v1
	s_branch .LBB108_13
.LBB108_11:                             ;   in Loop: Header=BB108_13 Depth=1
	s_or_b64 exec, exec, s[38:39]
.LBB108_12:                             ;   in Loop: Header=BB108_13 Depth=1
	s_or_b64 exec, exec, s[8:9]
	v_add_u32_e32 v22, 2, v22
	v_cmp_le_i32_e64 s[6:7], s41, v22
	v_lshl_add_u64 v[4:5], v[4:5], 0, 8
	v_add_u32_e32 v12, 16, v12
	s_or_b64 s[36:37], s[6:7], s[36:37]
	v_add_u32_e32 v13, 64, v13
	s_andn2_b64 exec, exec, s[36:37]
	s_cbranch_execz .LBB108_18
.LBB108_13:                             ; =>This Inner Loop Header: Depth=1
	v_mul_hi_u32 v23, v12, s33
	s_waitcnt lgkmcnt(0)
	v_mul_lo_u32 v24, v23, s21
	v_sub_u32_e32 v24, v12, v24
	v_add_u32_e32 v25, 1, v23
	v_cmp_le_u32_e64 s[6:7], s21, v24
	s_nop 1
	v_cndmask_b32_e64 v23, v23, v25, s[6:7]
	v_subrev_u32_e32 v25, s21, v24
	v_cndmask_b32_e64 v24, v24, v25, s[6:7]
	v_add_u32_e32 v25, 1, v23
	v_cmp_le_u32_e64 s[6:7], s21, v24
	s_nop 1
	v_cndmask_b32_e64 v23, v23, v25, s[6:7]
	v_xor_b32_e32 v23, s19, v23
	v_subrev_u32_e32 v23, s19, v23
	v_add_u32_e32 v24, s40, v23
	v_sub_u32_e32 v26, 0, v24
	v_ashrrev_i32_e32 v25, 31, v24
	v_max_i32_e32 v24, v24, v26
	v_mul_hi_u32 v26, v24, v11
	v_mul_lo_u32 v26, v26, s15
	v_sub_u32_e32 v24, v24, v26
	v_subrev_u32_e32 v26, s15, v24
	v_cmp_le_u32_e64 s[6:7], s15, v24
	v_cmp_ge_i32_e64 s[8:9], s30, v23
	s_nop 0
	v_cndmask_b32_e64 v24, v24, v26, s[6:7]
	v_subrev_u32_e32 v26, s15, v24
	v_cmp_le_u32_e64 s[6:7], s15, v24
	s_nop 1
	v_cndmask_b32_e64 v24, v24, v26, s[6:7]
	v_xor_b32_e32 v24, v24, v25
	v_sub_u32_e32 v24, v24, v25
	v_cmp_ne_u32_e64 s[6:7], 0, v24
	s_and_b64 s[6:7], s[6:7], s[8:9]
	s_and_b64 s[38:39], vcc, s[6:7]
	s_and_saveexec_b64 s[8:9], s[38:39]
	s_cbranch_execz .LBB108_15
; %bb.14:                               ;   in Loop: Header=BB108_13 Depth=1
	ds_write_b32 v13, v15
.LBB108_15:                             ;   in Loop: Header=BB108_13 Depth=1
	s_or_b64 exec, exec, s[8:9]
	s_xor_b64 s[6:7], s[6:7], -1
	s_and_saveexec_b64 s[8:9], s[6:7]
	s_cbranch_execz .LBB108_12
; %bb.16:                               ;   in Loop: Header=BB108_13 Depth=1
	global_load_dword v23, v[4:5], off
	s_waitcnt vmcnt(0)
	v_mad_i64_i32 v[24:25], s[6:7], v23, s43, 0
	v_lshl_add_u64 v[24:25], v[24:25], 1, v[2:3]
	global_load_ushort v23, v[24:25], off
	global_load_ushort v26, v[24:25], off offset:128
	global_load_ushort v27, v[24:25], off offset:256
	global_load_ushort v28, v[24:25], off offset:384
	ds_read_b64 v[24:25], v9
	v_cmp_lt_i32_e64 s[6:7], v19, v18
	s_waitcnt lgkmcnt(0)
	v_lshlrev_b32_e32 v30, 16, v24
	v_and_b32_e32 v24, 0xffff0000, v24
	v_lshlrev_b32_e32 v31, 16, v25
	v_cndmask_b32_e64 v29, v17, v19, s[6:7]
	v_and_b32_e32 v25, 0xffff0000, v25
	v_lshlrev_b32_e32 v29, 2, v29
	v_cmp_lt_i32_e64 s[6:7], v20, v18
	s_waitcnt vmcnt(3)
	v_lshlrev_b32_e32 v23, 16, v23
	s_waitcnt vmcnt(2)
	v_lshlrev_b32_e32 v26, 16, v26
	v_mul_f32_e32 v24, v24, v26
	s_waitcnt vmcnt(1)
	v_lshlrev_b32_e32 v27, 16, v27
	v_fmac_f32_e32 v24, v30, v23
	v_fmac_f32_e32 v24, v31, v27
	s_waitcnt vmcnt(0)
	v_lshlrev_b32_e32 v23, 16, v28
	v_fmac_f32_e32 v24, v25, v23
	ds_bpermute_b32 v23, v29, v24
	v_cndmask_b32_e64 v25, v17, v20, s[6:7]
	v_lshlrev_b32_e32 v25, 2, v25
	v_cmp_lt_i32_e64 s[6:7], v21, v18
	s_waitcnt lgkmcnt(0)
	v_add_f32_e32 v23, v24, v23
	ds_bpermute_b32 v24, v25, v23
	v_cndmask_b32_e64 v25, v17, v21, s[6:7]
	v_lshlrev_b32_e32 v25, 2, v25
	s_waitcnt lgkmcnt(0)
	v_add_f32_e32 v23, v23, v24
	ds_bpermute_b32 v24, v25, v23
	s_and_saveexec_b64 s[38:39], vcc
	s_cbranch_execz .LBB108_11
; %bb.17:                               ;   in Loop: Header=BB108_13 Depth=1
	v_add_u32_e32 v25, v14, v12
	v_cvt_f32_i32_e32 v25, v25
	s_waitcnt lgkmcnt(0)
	v_add_f32_e32 v23, v23, v24
	v_add_u32_e32 v26, v8, v12
	v_cmp_gt_i32_e64 s[6:7], s11, v26
	v_mul_f32_e32 v24, s42, v25
	v_cndmask_b32_e64 v24, 0, v24, s[0:1]
	v_fmac_f32_e32 v24, s31, v23
	v_cndmask_b32_e64 v23, 0, v24, s[6:7]
	ds_write_b32 v13, v23
	v_max_f32_e32 v23, v10, v10
	v_max_f32_e32 v23, v23, v24
	v_cndmask_b32_e64 v10, v10, v23, s[6:7]
	s_branch .LBB108_11
.LBB108_18:
	s_or_b64 exec, exec, s[36:37]
.LBB108_19:
	s_or_b64 exec, exec, s[34:35]
	v_mbcnt_hi_u32_b32 v2, -1, v7
	v_and_b32_e32 v3, 64, v2
	v_add_u32_e32 v3, 64, v3
	v_xor_b32_e32 v4, 32, v2
	v_cmp_lt_i32_e32 vcc, v4, v3
	v_xor_b32_e32 v8, 16, v2
	v_max_f32_e32 v7, v10, v10
	v_cndmask_b32_e32 v4, v2, v4, vcc
	v_lshlrev_b32_e32 v5, 2, v4
	ds_bpermute_b32 v4, v5, v10
	v_cmp_lt_i32_e32 vcc, v8, v3
	v_xor_b32_e32 v9, 8, v2
	v_and_b32_e32 v17, 63, v0
	s_waitcnt lgkmcnt(0)
	v_max_f32_e32 v4, v4, v4
	v_max_f32_e32 v4, v7, v4
	v_cndmask_b32_e32 v7, v2, v8, vcc
	v_lshlrev_b32_e32 v8, 2, v7
	ds_bpermute_b32 v7, v8, v4
	v_cmp_lt_i32_e32 vcc, v9, v3
	s_waitcnt lgkmcnt(0)
	v_max_f32_e32 v7, v7, v7
	v_max_f32_e32 v7, v4, v7
	v_cndmask_b32_e32 v4, v2, v9, vcc
	v_lshlrev_b32_e32 v10, 2, v4
	ds_bpermute_b32 v9, v10, v7
	v_cmp_eq_u32_e32 vcc, 0, v17
	v_lshlrev_b32_e32 v4, 2, v1
	s_and_saveexec_b64 s[0:1], vcc
	s_cbranch_execz .LBB108_21
; %bb.20:
	s_waitcnt lgkmcnt(0)
	v_max_f32_e32 v9, v9, v9
	v_max_f32_e32 v7, v7, v7
	;; [unrolled: 1-line block ×3, first 2 shown]
	ds_write_b32 v4, v7 offset:64
.LBB108_21:
	s_or_b64 exec, exec, s[0:1]
	v_cmp_gt_u32_e64 s[0:1], 2, v17
	v_mov_b32_e32 v11, 0xff7fffff
	v_lshlrev_b32_e32 v7, 2, v17
	s_waitcnt lgkmcnt(0)
	s_barrier
	s_and_saveexec_b64 s[6:7], s[0:1]
	s_cbranch_execz .LBB108_23
; %bb.22:
	ds_read_b32 v11, v7 offset:64
.LBB108_23:
	s_or_b64 exec, exec, s[6:7]
	v_xor_b32_e32 v9, 1, v2
	v_cmp_lt_i32_e64 s[6:7], v9, v3
	v_lshlrev_b32_e32 v13, 2, v2
	s_nop 0
	v_cndmask_b32_e64 v9, v2, v9, s[6:7]
	v_lshlrev_b32_e32 v9, 2, v9
	s_waitcnt lgkmcnt(0)
	ds_bpermute_b32 v12, v9, v11
	v_max_f32_e32 v11, v11, v11
	s_lshl_b32 s6, s41, 3
	s_min_i32 s15, s6, s11
	v_cmp_gt_i32_e64 s[6:7], s15, v0
	s_waitcnt lgkmcnt(0)
	v_max_f32_e32 v12, v12, v12
	v_max_f32_e32 v12, v11, v12
	v_and_b32_e32 v11, 0x100, v13
	ds_bpermute_b32 v13, v11, v12
	v_mov_b32_e32 v12, 0
	s_and_saveexec_b64 s[30:31], s[6:7]
	s_cbranch_execz .LBB108_27
; %bb.24:
	v_mov_b32_e32 v12, 0x50
	v_lshl_add_u32 v14, v0, 2, v12
	s_mov_b64 s[34:35], 0
	v_mov_b32_e32 v12, 0
	v_mov_b32_e32 v15, v0
.LBB108_25:                             ; =>This Inner Loop Header: Depth=1
	ds_read_b32 v18, v14
	v_add_u32_e32 v15, 0x80, v15
	v_cmp_le_i32_e64 s[8:9], s15, v15
	s_or_b64 s[34:35], s[8:9], s[34:35]
	s_waitcnt lgkmcnt(0)
	v_sub_f32_e32 v18, v18, v13
	v_mul_f32_e32 v18, 0x3fb8aa3b, v18
	v_exp_f32_e32 v18, v18
	ds_write_b32 v14, v18
	v_add_f32_e32 v12, v12, v18
	v_add_u32_e32 v14, 0x200, v14
	s_andn2_b64 exec, exec, s[34:35]
	s_cbranch_execnz .LBB108_25
; %bb.26:
	s_or_b64 exec, exec, s[34:35]
.LBB108_27:
	s_or_b64 exec, exec, s[30:31]
	ds_bpermute_b32 v5, v5, v12
	s_waitcnt lgkmcnt(0)
	v_add_f32_e32 v5, v12, v5
	ds_bpermute_b32 v8, v8, v5
	s_waitcnt lgkmcnt(0)
	v_add_f32_e32 v5, v5, v8
	ds_bpermute_b32 v8, v10, v5
	v_xor_b32_e32 v10, 4, v2
	v_cmp_lt_i32_e64 s[8:9], v10, v3
	s_waitcnt lgkmcnt(0)
	v_add_f32_e32 v5, v5, v8
	v_cndmask_b32_e64 v10, v2, v10, s[8:9]
	v_lshlrev_b32_e32 v10, 2, v10
	ds_bpermute_b32 v8, v10, v5
	v_xor_b32_e32 v10, 2, v2
	v_cmp_lt_i32_e64 s[8:9], v10, v3
	s_waitcnt lgkmcnt(0)
	v_add_f32_e32 v3, v5, v8
	v_cndmask_b32_e64 v2, v2, v10, s[8:9]
	v_lshlrev_b32_e32 v2, 2, v2
	ds_bpermute_b32 v2, v2, v3
	s_waitcnt lgkmcnt(0)
	v_add_f32_e32 v2, v3, v2
	ds_bpermute_b32 v3, v9, v2
	s_waitcnt lgkmcnt(0)
	v_add_f32_e32 v2, v2, v3
	s_and_saveexec_b64 s[8:9], vcc
	s_cbranch_execz .LBB108_29
; %bb.28:
	ds_write_b32 v4, v2 offset:72
.LBB108_29:
	s_or_b64 exec, exec, s[8:9]
	s_waitcnt lgkmcnt(0)
	s_barrier
	s_and_saveexec_b64 s[8:9], s[0:1]
	s_cbranch_execz .LBB108_31
; %bb.30:
	ds_read_b32 v2, v7 offset:72
.LBB108_31:
	s_or_b64 exec, exec, s[8:9]
	s_waitcnt lgkmcnt(0)
	ds_bpermute_b32 v3, v9, v2
	s_waitcnt lgkmcnt(0)
	v_add_f32_e32 v2, v2, v3
	ds_bpermute_b32 v2, v11, v2
	s_and_saveexec_b64 s[0:1], s[6:7]
	s_cbranch_execz .LBB108_44
; %bb.32:
	s_waitcnt lgkmcnt(0)
	v_add_f32_e32 v2, 0x358637bd, v2
	v_div_scale_f32 v3, s[6:7], v2, v2, 1.0
	v_rcp_f32_e32 v4, v3
	v_div_scale_f32 v5, vcc, 1.0, v2, 1.0
	s_movk_i32 s6, 0x7f
	v_fma_f32 v7, -v3, v4, 1.0
	v_fmac_f32_e32 v4, v7, v4
	v_mul_f32_e32 v7, v5, v4
	v_fma_f32 v8, -v3, v7, v5
	v_fmac_f32_e32 v7, v8, v4
	v_fma_f32 v3, -v3, v7, v5
	v_div_fmas_f32 v3, v3, v4, v7
	v_xad_u32 v4, v0, -1, s15
	v_div_fixup_f32 v2, v3, v2, 1.0
	v_cmp_lt_u32_e32 vcc, s6, v4
	s_mov_b64 s[8:9], -1
	v_mov_b32_e32 v3, v0
	s_and_saveexec_b64 s[6:7], vcc
	s_cbranch_execz .LBB108_41
; %bb.33:
	v_lshrrev_b32_e32 v4, 7, v4
	v_add_u32_e32 v7, -1, v4
	v_lshrrev_b32_e32 v5, 1, v7
	v_mov_b32_e32 v3, v2
	v_add_u32_e32 v5, 1, v5
	v_cmp_lt_u32_e32 vcc, 13, v7
	v_mov_b32_e32 v9, 0
	s_and_saveexec_b64 s[8:9], vcc
	s_cbranch_execz .LBB108_37
; %bb.34:
	v_mov_b32_e32 v8, 0x50
	v_and_b32_e32 v7, -8, v5
	v_lshl_add_u32 v8, v0, 2, v8
	s_mov_b32 s34, 0
	s_mov_b64 s[30:31], 0
.LBB108_35:                             ; =>This Inner Loop Header: Depth=1
	ds_read2st64_b32 v[10:11], v8 offset1:2
	ds_read2st64_b32 v[12:13], v8 offset0:4 offset1:6
	ds_read2st64_b32 v[14:15], v8 offset0:8 offset1:10
	;; [unrolled: 1-line block ×3, first 2 shown]
	v_add_u32_e32 v7, -8, v7
	s_waitcnt lgkmcnt(3)
	v_pk_mul_f32 v[10:11], v[2:3], v[10:11]
	s_waitcnt lgkmcnt(2)
	v_pk_mul_f32 v[12:13], v[2:3], v[12:13]
	ds_write2st64_b32 v8, v10, v11 offset1:2
	ds_write2st64_b32 v8, v12, v13 offset0:4 offset1:6
	ds_read2st64_b32 v[12:13], v8 offset0:16 offset1:18
	s_waitcnt lgkmcnt(4)
	v_pk_mul_f32 v[10:11], v[2:3], v[14:15]
	ds_write2st64_b32 v8, v10, v11 offset0:8 offset1:10
	s_waitcnt lgkmcnt(4)
	v_pk_mul_f32 v[10:11], v[2:3], v[18:19]
	ds_write2st64_b32 v8, v10, v11 offset0:12 offset1:14
	ds_read2st64_b32 v[10:11], v8 offset0:20 offset1:22
	s_waitcnt lgkmcnt(3)
	v_pk_mul_f32 v[12:13], v[2:3], v[12:13]
	ds_read2st64_b32 v[14:15], v8 offset0:24 offset1:26
	ds_write2st64_b32 v8, v12, v13 offset0:16 offset1:18
	ds_read2st64_b32 v[12:13], v8 offset0:28 offset1:30
	s_waitcnt lgkmcnt(3)
	v_pk_mul_f32 v[10:11], v[2:3], v[10:11]
	ds_write2st64_b32 v8, v10, v11 offset0:20 offset1:22
	s_waitcnt lgkmcnt(3)
	v_pk_mul_f32 v[10:11], v[2:3], v[14:15]
	ds_write2st64_b32 v8, v10, v11 offset0:24 offset1:26
	s_waitcnt lgkmcnt(2)
	v_pk_mul_f32 v[10:11], v[2:3], v[12:13]
	s_add_i32 s34, s34, 16
	v_cmp_eq_u32_e32 vcc, 0, v7
	ds_write2st64_b32 v8, v10, v11 offset0:28 offset1:30
	v_add_u32_e32 v8, 0x2000, v8
	s_or_b64 s[30:31], vcc, s[30:31]
	v_mov_b32_e32 v9, s34
	s_andn2_b64 exec, exec, s[30:31]
	s_cbranch_execnz .LBB108_35
; %bb.36:
	s_or_b64 exec, exec, s[30:31]
.LBB108_37:
	s_or_b64 exec, exec, s[8:9]
	v_and_b32_e32 v5, 7, v5
	v_cmp_ne_u32_e32 vcc, 0, v5
	s_and_saveexec_b64 s[8:9], vcc
	s_cbranch_execz .LBB108_40
; %bb.38:
	v_lshlrev_b32_e32 v7, 9, v9
	v_lshlrev_b32_e32 v8, 2, v0
	s_movk_i32 s30, 0x50
	v_add3_u32 v7, v7, v8, s30
	s_mov_b64 s[30:31], 0
.LBB108_39:                             ; =>This Inner Loop Header: Depth=1
	ds_read2st64_b32 v[8:9], v7 offset1:2
	v_add_u32_e32 v5, -1, v5
	v_cmp_eq_u32_e32 vcc, 0, v5
	s_or_b64 s[30:31], vcc, s[30:31]
	s_waitcnt lgkmcnt(0)
	v_pk_mul_f32 v[8:9], v[2:3], v[8:9]
	ds_write2st64_b32 v7, v8, v9 offset1:2
	v_add_u32_e32 v7, 0x400, v7
	s_andn2_b64 exec, exec, s[30:31]
	s_cbranch_execnz .LBB108_39
.LBB108_40:
	s_or_b64 exec, exec, s[8:9]
	v_add_u32_e32 v4, 1, v4
	v_and_b32_e32 v5, 0x3fffffe, v4
	v_cmp_ne_u32_e32 vcc, v4, v5
	v_lshl_add_u32 v3, v5, 7, v0
	s_orn2_b64 s[8:9], vcc, exec
.LBB108_41:
	s_or_b64 exec, exec, s[6:7]
	s_and_b64 exec, exec, s[8:9]
	s_cbranch_execz .LBB108_44
; %bb.42:
	v_mov_b32_e32 v4, 0x50
	v_lshl_add_u32 v4, v3, 2, v4
	s_mov_b64 s[6:7], 0
.LBB108_43:                             ; =>This Inner Loop Header: Depth=1
	ds_read_b32 v5, v4
	v_add_u32_e32 v3, 0x80, v3
	v_cmp_le_i32_e32 vcc, s15, v3
	s_or_b64 s[6:7], vcc, s[6:7]
	s_waitcnt lgkmcnt(0)
	v_mul_f32_e32 v5, v2, v5
	ds_write_b32 v4, v5
	v_add_u32_e32 v4, 0x200, v4
	s_andn2_b64 exec, exec, s[6:7]
	s_cbranch_execnz .LBB108_43
.LBB108_44:
	s_or_b64 exec, exec, s[0:1]
	v_mov_b32_e32 v10, 0
	s_waitcnt lgkmcnt(0)
	s_barrier
	s_and_saveexec_b64 s[6:7], s[2:3]
	s_cbranch_execz .LBB108_118
; %bb.45:
	s_ashr_i32 s15, s14, 31
	s_sub_i32 s17, s12, s17
	s_lshl_b64 s[0:1], s[14:15], 1
	s_add_u32 s0, s28, s0
	s_addc_u32 s1, s29, s1
	s_abs_i32 s18, s18
	v_cvt_f32_u32_e32 v2, s18
	v_lshlrev_b32_e32 v10, 4, v17
	v_mov_b32_e32 v11, 0
	v_lshl_add_u64 v[12:13], s[0:1], 0, v[10:11]
	v_rcp_iflag_f32_e32 v2, v2
	s_sub_i32 s0, 0, s18
	s_add_i32 s29, s41, -1
	v_and_b32_e32 v10, 60, v6
	v_mul_f32_e32 v2, 0x4f7ffffe, v2
	v_cvt_u32_f32_e32 v2, v2
	v_cmp_gt_u32_e32 vcc, 32, v17
	s_mov_b32 s28, s13
	s_mov_b64 s[8:9], 0
	v_mul_lo_u32 v3, s0, v2
	s_lshl_b64 s[0:1], s[26:27], 2
	v_mul_hi_u32 v3, v2, v3
	s_add_u32 s0, s24, s0
	v_add_u32_e32 v18, v2, v3
	s_addc_u32 s1, s25, s1
	v_mov_b32_e32 v2, 0x50
	v_lshl_add_u64 v[14:15], s[0:1], 0, v[10:11]
	v_lshl_add_u32 v19, v1, 5, v2
	s_mov_b32 s24, 0x7f800000
	s_movk_i32 s25, 0x7fff
	v_mov_b32_e32 v10, 0
	s_branch .LBB108_49
.LBB108_46:                             ;   in Loop: Header=BB108_49 Depth=1
	s_or_b64 exec, exec, s[14:15]
	v_and_b32_e32 v6, 0xffff0000, v8
	v_and_b32_e32 v9, 0xffff0000, v20
	;; [unrolled: 1-line block ×8, first 2 shown]
	v_pk_add_f32 v[2:3], v[2:3], v[8:9]
	v_pk_add_f32 v[4:5], v[4:5], v[6:7]
	v_add_f32_e32 v2, v2, v3
	v_add_f32_e32 v2, v2, v4
	;; [unrolled: 1-line block ×4, first 2 shown]
.LBB108_47:                             ;   in Loop: Header=BB108_49 Depth=1
	s_or_b64 exec, exec, s[12:13]
.LBB108_48:                             ;   in Loop: Header=BB108_49 Depth=1
	s_or_b64 exec, exec, s[2:3]
	v_add_u32_e32 v1, 2, v1
	v_cmp_le_i32_e64 s[0:1], s41, v1
	v_lshl_add_u64 v[14:15], v[14:15], 0, 8
	v_add_u32_e32 v16, 16, v16
	s_or_b64 s[8:9], s[0:1], s[8:9]
	v_add_u32_e32 v19, 64, v19
	s_andn2_b64 exec, exec, s[8:9]
	s_cbranch_execz .LBB108_117
.LBB108_49:                             ; =>This Inner Loop Header: Depth=1
	v_mul_hi_u32 v2, v16, s33
	v_mul_lo_u32 v3, v2, s21
	v_sub_u32_e32 v3, v16, v3
	v_add_u32_e32 v4, 1, v2
	v_cmp_le_u32_e64 s[0:1], s21, v3
	s_nop 1
	v_cndmask_b32_e64 v2, v2, v4, s[0:1]
	v_subrev_u32_e32 v4, s21, v3
	v_cndmask_b32_e64 v3, v3, v4, s[0:1]
	v_add_u32_e32 v4, 1, v2
	v_cmp_le_u32_e64 s[0:1], s21, v3
	s_nop 1
	v_cndmask_b32_e64 v2, v2, v4, s[0:1]
	v_xor_b32_e32 v2, s19, v2
	v_subrev_u32_e32 v2, s19, v2
	v_add_u32_e32 v3, s40, v2
	v_sub_u32_e32 v5, 0, v3
	v_ashrrev_i32_e32 v4, 31, v3
	v_max_i32_e32 v3, v3, v5
	v_mul_hi_u32 v5, v3, v18
	v_mul_lo_u32 v5, v5, s18
	v_sub_u32_e32 v3, v3, v5
	v_subrev_u32_e32 v5, s18, v3
	v_cmp_le_u32_e64 s[0:1], s18, v3
	v_cmp_lt_i32_e64 s[2:3], s17, v2
	s_nop 0
	v_cndmask_b32_e64 v3, v3, v5, s[0:1]
	v_subrev_u32_e32 v5, s18, v3
	v_cmp_le_u32_e64 s[0:1], s18, v3
	s_nop 1
	v_cndmask_b32_e64 v3, v3, v5, s[0:1]
	v_xor_b32_e32 v3, v3, v4
	v_sub_u32_e32 v3, v3, v4
	v_cmp_eq_u32_e64 s[0:1], 0, v3
	s_or_b64 s[0:1], s[0:1], s[2:3]
	s_and_saveexec_b64 s[2:3], s[0:1]
	s_cbranch_execz .LBB108_48
; %bb.50:                               ;   in Loop: Header=BB108_49 Depth=1
	global_load_dword v24, v[14:15], off
	ds_read2_b64 v[6:9], v19 offset1:1
	ds_read2_b64 v[2:5], v19 offset0:2 offset1:3
                                        ; implicit-def: $vgpr23
	s_waitcnt lgkmcnt(1)
	v_and_b32_e32 v20, 0x7f800000, v6
	v_cmp_ne_u32_e64 s[0:1], s24, v20
	s_and_saveexec_b64 s[12:13], s[0:1]
	s_xor_b64 s[0:1], exec, s[12:13]
; %bb.51:                               ;   in Loop: Header=BB108_49 Depth=1
	v_bfe_u32 v20, v6, 16, 1
	v_add3_u32 v23, v6, v20, s25
; %bb.52:                               ;   in Loop: Header=BB108_49 Depth=1
	s_andn2_saveexec_b64 s[12:13], s[0:1]
; %bb.53:                               ;   in Loop: Header=BB108_49 Depth=1
	v_or_b32_e32 v20, 0x10000, v6
	v_cmp_eq_u32_sdwa s[0:1], v6, v11 src0_sel:WORD_0 src1_sel:DWORD
	s_nop 1
	v_cndmask_b32_e64 v23, v20, v6, s[0:1]
; %bb.54:                               ;   in Loop: Header=BB108_49 Depth=1
	s_or_b64 exec, exec, s[12:13]
	v_and_b32_e32 v6, 0x7f800000, v7
	v_cmp_ne_u32_e64 s[0:1], s24, v6
                                        ; implicit-def: $vgpr22
	s_and_saveexec_b64 s[12:13], s[0:1]
	s_xor_b64 s[0:1], exec, s[12:13]
; %bb.55:                               ;   in Loop: Header=BB108_49 Depth=1
	v_bfe_u32 v6, v7, 16, 1
	v_add3_u32 v22, v7, v6, s25
; %bb.56:                               ;   in Loop: Header=BB108_49 Depth=1
	s_andn2_saveexec_b64 s[12:13], s[0:1]
; %bb.57:                               ;   in Loop: Header=BB108_49 Depth=1
	v_or_b32_e32 v6, 0x10000, v7
	v_cmp_eq_u32_sdwa s[0:1], v7, v11 src0_sel:WORD_0 src1_sel:DWORD
	s_nop 1
	v_cndmask_b32_e64 v22, v6, v7, s[0:1]
; %bb.58:                               ;   in Loop: Header=BB108_49 Depth=1
	s_or_b64 exec, exec, s[12:13]
	v_and_b32_e32 v6, 0x7f800000, v8
	v_cmp_ne_u32_e64 s[0:1], s24, v6
                                        ; implicit-def: $vgpr21
	s_and_saveexec_b64 s[12:13], s[0:1]
	s_xor_b64 s[0:1], exec, s[12:13]
; %bb.59:                               ;   in Loop: Header=BB108_49 Depth=1
	v_bfe_u32 v6, v8, 16, 1
	v_add3_u32 v21, v8, v6, s25
; %bb.60:                               ;   in Loop: Header=BB108_49 Depth=1
	s_andn2_saveexec_b64 s[12:13], s[0:1]
; %bb.61:                               ;   in Loop: Header=BB108_49 Depth=1
	v_or_b32_e32 v6, 0x10000, v8
	v_cmp_eq_u32_sdwa s[0:1], v8, v11 src0_sel:WORD_0 src1_sel:DWORD
	s_nop 1
	v_cndmask_b32_e64 v21, v6, v8, s[0:1]
; %bb.62:                               ;   in Loop: Header=BB108_49 Depth=1
	s_or_b64 exec, exec, s[12:13]
	v_and_b32_e32 v6, 0x7f800000, v9
	v_cmp_ne_u32_e64 s[0:1], s24, v6
                                        ; implicit-def: $vgpr20
	s_and_saveexec_b64 s[12:13], s[0:1]
	s_xor_b64 s[0:1], exec, s[12:13]
; %bb.63:                               ;   in Loop: Header=BB108_49 Depth=1
	v_bfe_u32 v6, v9, 16, 1
	v_add3_u32 v20, v9, v6, s25
                                        ; implicit-def: $vgpr6_vgpr7_vgpr8_vgpr9
; %bb.64:                               ;   in Loop: Header=BB108_49 Depth=1
	s_andn2_saveexec_b64 s[12:13], s[0:1]
; %bb.65:                               ;   in Loop: Header=BB108_49 Depth=1
	v_or_b32_e32 v6, 0x10000, v9
	v_cmp_eq_u32_sdwa s[0:1], v9, v11 src0_sel:WORD_0 src1_sel:DWORD
	s_nop 1
	v_cndmask_b32_e64 v20, v6, v9, s[0:1]
; %bb.66:                               ;   in Loop: Header=BB108_49 Depth=1
	s_or_b64 exec, exec, s[12:13]
	s_waitcnt lgkmcnt(0)
	v_and_b32_e32 v6, 0x7f800000, v2
	v_cmp_ne_u32_e64 s[0:1], s24, v6
                                        ; implicit-def: $vgpr9
	s_and_saveexec_b64 s[12:13], s[0:1]
	s_xor_b64 s[0:1], exec, s[12:13]
; %bb.67:                               ;   in Loop: Header=BB108_49 Depth=1
	v_bfe_u32 v6, v2, 16, 1
	v_add3_u32 v9, v2, v6, s25
; %bb.68:                               ;   in Loop: Header=BB108_49 Depth=1
	s_andn2_saveexec_b64 s[12:13], s[0:1]
; %bb.69:                               ;   in Loop: Header=BB108_49 Depth=1
	v_or_b32_e32 v6, 0x10000, v2
	v_cmp_eq_u32_sdwa s[0:1], v2, v11 src0_sel:WORD_0 src1_sel:DWORD
	s_nop 1
	v_cndmask_b32_e64 v9, v6, v2, s[0:1]
; %bb.70:                               ;   in Loop: Header=BB108_49 Depth=1
	s_or_b64 exec, exec, s[12:13]
	v_and_b32_e32 v2, 0x7f800000, v3
	v_cmp_ne_u32_e64 s[0:1], s24, v2
                                        ; implicit-def: $vgpr8
	s_and_saveexec_b64 s[12:13], s[0:1]
	s_xor_b64 s[0:1], exec, s[12:13]
; %bb.71:                               ;   in Loop: Header=BB108_49 Depth=1
	v_bfe_u32 v2, v3, 16, 1
	v_add3_u32 v8, v3, v2, s25
; %bb.72:                               ;   in Loop: Header=BB108_49 Depth=1
	s_andn2_saveexec_b64 s[12:13], s[0:1]
; %bb.73:                               ;   in Loop: Header=BB108_49 Depth=1
	v_or_b32_e32 v2, 0x10000, v3
	v_cmp_eq_u32_sdwa s[0:1], v3, v11 src0_sel:WORD_0 src1_sel:DWORD
	s_nop 1
	v_cndmask_b32_e64 v8, v2, v3, s[0:1]
; %bb.74:                               ;   in Loop: Header=BB108_49 Depth=1
	s_or_b64 exec, exec, s[12:13]
	v_and_b32_e32 v2, 0x7f800000, v4
	v_cmp_ne_u32_e64 s[0:1], s24, v2
                                        ; implicit-def: $vgpr7
	s_and_saveexec_b64 s[12:13], s[0:1]
	s_xor_b64 s[0:1], exec, s[12:13]
; %bb.75:                               ;   in Loop: Header=BB108_49 Depth=1
	v_bfe_u32 v2, v4, 16, 1
	v_add3_u32 v7, v4, v2, s25
; %bb.76:                               ;   in Loop: Header=BB108_49 Depth=1
	s_andn2_saveexec_b64 s[12:13], s[0:1]
; %bb.77:                               ;   in Loop: Header=BB108_49 Depth=1
	v_or_b32_e32 v2, 0x10000, v4
	v_cmp_eq_u32_sdwa s[0:1], v4, v11 src0_sel:WORD_0 src1_sel:DWORD
	s_nop 1
	v_cndmask_b32_e64 v7, v2, v4, s[0:1]
; %bb.78:                               ;   in Loop: Header=BB108_49 Depth=1
	s_or_b64 exec, exec, s[12:13]
	v_and_b32_e32 v2, 0x7f800000, v5
	v_cmp_ne_u32_e64 s[0:1], s24, v2
                                        ; implicit-def: $vgpr6
	s_and_saveexec_b64 s[12:13], s[0:1]
	s_xor_b64 s[0:1], exec, s[12:13]
	s_cbranch_execnz .LBB108_81
; %bb.79:                               ;   in Loop: Header=BB108_49 Depth=1
	s_andn2_saveexec_b64 s[12:13], s[0:1]
	s_cbranch_execnz .LBB108_82
.LBB108_80:                             ;   in Loop: Header=BB108_49 Depth=1
	s_or_b64 exec, exec, s[12:13]
	s_and_saveexec_b64 s[12:13], vcc
	s_cbranch_execz .LBB108_47
	s_branch .LBB108_83
.LBB108_81:                             ;   in Loop: Header=BB108_49 Depth=1
	v_bfe_u32 v2, v5, 16, 1
	v_add3_u32 v6, v5, v2, s25
                                        ; implicit-def: $vgpr2_vgpr3_vgpr4_vgpr5
	s_andn2_saveexec_b64 s[12:13], s[0:1]
	s_cbranch_execz .LBB108_80
.LBB108_82:                             ;   in Loop: Header=BB108_49 Depth=1
	v_or_b32_e32 v2, 0x10000, v5
	v_cmp_eq_u32_sdwa s[0:1], v5, v11 src0_sel:WORD_0 src1_sel:DWORD
	s_nop 1
	v_cndmask_b32_e64 v6, v2, v5, s[0:1]
	s_or_b64 exec, exec, s[12:13]
	s_and_saveexec_b64 s[12:13], vcc
	s_cbranch_execz .LBB108_47
.LBB108_83:                             ;   in Loop: Header=BB108_49 Depth=1
	s_waitcnt vmcnt(0)
	v_mad_i64_i32 v[2:3], s[0:1], v24, s28, 0
	v_lshl_add_u64 v[2:3], v[2:3], 1, v[12:13]
	global_load_dwordx4 v[2:5], v[2:3], off
	v_cmp_eq_u32_e64 s[0:1], s29, v1
	s_waitcnt vmcnt(0)
	v_lshrrev_b32_e32 v27, 16, v2
	v_lshrrev_b32_e32 v26, 16, v3
	;; [unrolled: 1-line block ×4, first 2 shown]
	s_and_saveexec_b64 s[14:15], s[0:1]
	s_cbranch_execz .LBB108_85
; %bb.84:                               ;   in Loop: Header=BB108_49 Depth=1
	v_cmp_gt_i32_e64 s[0:1], s11, v16
	v_add_u32_e32 v28, 1, v16
	s_nop 0
	v_cndmask_b32_e64 v2, 0, v2, s[0:1]
	v_cmp_gt_i32_e64 s[0:1], s11, v28
	v_add_u32_e32 v28, 2, v16
	s_nop 0
	v_cndmask_b32_e64 v27, 0, v27, s[0:1]
	;; [unrolled: 4-line block ×7, first 2 shown]
	v_cmp_gt_i32_e64 s[0:1], s11, v28
	s_nop 1
	v_cndmask_b32_e64 v24, 0, v24, s[0:1]
.LBB108_85:                             ;   in Loop: Header=BB108_49 Depth=1
	s_or_b64 exec, exec, s[14:15]
	v_and_b32_e32 v23, 0xffff0000, v23
	v_lshlrev_b32_e32 v2, 16, v2
	v_mul_f32_e32 v23, v23, v2
	v_and_b32_e32 v2, 0x7f800000, v23
	v_cmp_ne_u32_e64 s[0:1], s24, v2
                                        ; implicit-def: $vgpr2
	s_and_saveexec_b64 s[14:15], s[0:1]
	s_xor_b64 s[0:1], exec, s[14:15]
; %bb.86:                               ;   in Loop: Header=BB108_49 Depth=1
	v_bfe_u32 v2, v23, 16, 1
	v_add3_u32 v2, v23, v2, s25
                                        ; implicit-def: $vgpr23
; %bb.87:                               ;   in Loop: Header=BB108_49 Depth=1
	s_andn2_saveexec_b64 s[14:15], s[0:1]
; %bb.88:                               ;   in Loop: Header=BB108_49 Depth=1
	v_or_b32_e32 v2, 0x10000, v23
	v_cmp_eq_u32_sdwa s[0:1], v23, v11 src0_sel:WORD_0 src1_sel:DWORD
	s_nop 1
	v_cndmask_b32_e64 v2, v2, v23, s[0:1]
; %bb.89:                               ;   in Loop: Header=BB108_49 Depth=1
	s_or_b64 exec, exec, s[14:15]
	v_and_b32_e32 v22, 0xffff0000, v22
	v_lshlrev_b32_e32 v23, 16, v27
	v_mul_f32_e32 v23, v22, v23
	v_and_b32_e32 v22, 0x7f800000, v23
	v_cmp_ne_u32_e64 s[0:1], s24, v22
                                        ; implicit-def: $vgpr22
	s_and_saveexec_b64 s[14:15], s[0:1]
	s_xor_b64 s[0:1], exec, s[14:15]
; %bb.90:                               ;   in Loop: Header=BB108_49 Depth=1
	v_bfe_u32 v22, v23, 16, 1
	v_add3_u32 v22, v23, v22, s25
                                        ; implicit-def: $vgpr23
; %bb.91:                               ;   in Loop: Header=BB108_49 Depth=1
	s_andn2_saveexec_b64 s[14:15], s[0:1]
; %bb.92:                               ;   in Loop: Header=BB108_49 Depth=1
	v_or_b32_e32 v22, 0x10000, v23
	v_cmp_eq_u32_sdwa s[0:1], v23, v11 src0_sel:WORD_0 src1_sel:DWORD
	s_nop 1
	v_cndmask_b32_e64 v22, v22, v23, s[0:1]
; %bb.93:                               ;   in Loop: Header=BB108_49 Depth=1
	s_or_b64 exec, exec, s[14:15]
	v_and_b32_e32 v21, 0xffff0000, v21
	v_lshlrev_b32_e32 v3, 16, v3
	v_mul_f32_e32 v21, v21, v3
	v_and_b32_e32 v3, 0x7f800000, v21
	v_cmp_ne_u32_e64 s[0:1], s24, v3
                                        ; implicit-def: $vgpr3
	s_and_saveexec_b64 s[14:15], s[0:1]
	s_xor_b64 s[0:1], exec, s[14:15]
; %bb.94:                               ;   in Loop: Header=BB108_49 Depth=1
	v_bfe_u32 v3, v21, 16, 1
	v_add3_u32 v3, v21, v3, s25
                                        ; implicit-def: $vgpr21
; %bb.95:                               ;   in Loop: Header=BB108_49 Depth=1
	s_andn2_saveexec_b64 s[14:15], s[0:1]
; %bb.96:                               ;   in Loop: Header=BB108_49 Depth=1
	v_or_b32_e32 v3, 0x10000, v21
	v_cmp_eq_u32_sdwa s[0:1], v21, v11 src0_sel:WORD_0 src1_sel:DWORD
	s_nop 1
	v_cndmask_b32_e64 v3, v3, v21, s[0:1]
; %bb.97:                               ;   in Loop: Header=BB108_49 Depth=1
	s_or_b64 exec, exec, s[14:15]
	v_and_b32_e32 v20, 0xffff0000, v20
	v_lshlrev_b32_e32 v21, 16, v26
	v_mul_f32_e32 v21, v20, v21
	v_and_b32_e32 v20, 0x7f800000, v21
	v_cmp_ne_u32_e64 s[0:1], s24, v20
                                        ; implicit-def: $vgpr20
	s_and_saveexec_b64 s[14:15], s[0:1]
	s_xor_b64 s[0:1], exec, s[14:15]
; %bb.98:                               ;   in Loop: Header=BB108_49 Depth=1
	v_bfe_u32 v20, v21, 16, 1
	v_add3_u32 v20, v21, v20, s25
                                        ; implicit-def: $vgpr21
; %bb.99:                               ;   in Loop: Header=BB108_49 Depth=1
	s_andn2_saveexec_b64 s[14:15], s[0:1]
; %bb.100:                              ;   in Loop: Header=BB108_49 Depth=1
	v_or_b32_e32 v20, 0x10000, v21
	v_cmp_eq_u32_sdwa s[0:1], v21, v11 src0_sel:WORD_0 src1_sel:DWORD
	s_nop 1
	v_cndmask_b32_e64 v20, v20, v21, s[0:1]
; %bb.101:                              ;   in Loop: Header=BB108_49 Depth=1
	s_or_b64 exec, exec, s[14:15]
	v_and_b32_e32 v9, 0xffff0000, v9
	v_lshlrev_b32_e32 v4, 16, v4
	v_mul_f32_e32 v9, v9, v4
	v_and_b32_e32 v4, 0x7f800000, v9
	v_cmp_ne_u32_e64 s[0:1], s24, v4
                                        ; implicit-def: $vgpr4
	s_and_saveexec_b64 s[14:15], s[0:1]
	s_xor_b64 s[0:1], exec, s[14:15]
; %bb.102:                              ;   in Loop: Header=BB108_49 Depth=1
	v_bfe_u32 v4, v9, 16, 1
	v_add3_u32 v4, v9, v4, s25
                                        ; implicit-def: $vgpr9
; %bb.103:                              ;   in Loop: Header=BB108_49 Depth=1
	s_andn2_saveexec_b64 s[14:15], s[0:1]
; %bb.104:                              ;   in Loop: Header=BB108_49 Depth=1
	v_or_b32_e32 v4, 0x10000, v9
	v_cmp_eq_u32_sdwa s[0:1], v9, v11 src0_sel:WORD_0 src1_sel:DWORD
	s_nop 1
	v_cndmask_b32_e64 v4, v4, v9, s[0:1]
; %bb.105:                              ;   in Loop: Header=BB108_49 Depth=1
	s_or_b64 exec, exec, s[14:15]
	v_and_b32_e32 v8, 0xffff0000, v8
	v_lshlrev_b32_e32 v9, 16, v25
	v_mul_f32_e32 v9, v8, v9
	v_and_b32_e32 v8, 0x7f800000, v9
	v_cmp_ne_u32_e64 s[0:1], s24, v8
                                        ; implicit-def: $vgpr8
	s_and_saveexec_b64 s[14:15], s[0:1]
	s_xor_b64 s[0:1], exec, s[14:15]
; %bb.106:                              ;   in Loop: Header=BB108_49 Depth=1
	v_bfe_u32 v8, v9, 16, 1
	v_add3_u32 v8, v9, v8, s25
                                        ; implicit-def: $vgpr9
; %bb.107:                              ;   in Loop: Header=BB108_49 Depth=1
	s_andn2_saveexec_b64 s[14:15], s[0:1]
; %bb.108:                              ;   in Loop: Header=BB108_49 Depth=1
	v_or_b32_e32 v8, 0x10000, v9
	v_cmp_eq_u32_sdwa s[0:1], v9, v11 src0_sel:WORD_0 src1_sel:DWORD
	s_nop 1
	v_cndmask_b32_e64 v8, v8, v9, s[0:1]
; %bb.109:                              ;   in Loop: Header=BB108_49 Depth=1
	s_or_b64 exec, exec, s[14:15]
	v_and_b32_e32 v7, 0xffff0000, v7
	v_lshlrev_b32_e32 v5, 16, v5
	v_mul_f32_e32 v7, v7, v5
	v_and_b32_e32 v5, 0x7f800000, v7
	v_cmp_ne_u32_e64 s[0:1], s24, v5
                                        ; implicit-def: $vgpr5
	s_and_saveexec_b64 s[14:15], s[0:1]
	s_xor_b64 s[0:1], exec, s[14:15]
; %bb.110:                              ;   in Loop: Header=BB108_49 Depth=1
	v_bfe_u32 v5, v7, 16, 1
	v_add3_u32 v5, v7, v5, s25
                                        ; implicit-def: $vgpr7
; %bb.111:                              ;   in Loop: Header=BB108_49 Depth=1
	s_andn2_saveexec_b64 s[14:15], s[0:1]
; %bb.112:                              ;   in Loop: Header=BB108_49 Depth=1
	v_or_b32_e32 v5, 0x10000, v7
	v_cmp_eq_u32_sdwa s[0:1], v7, v11 src0_sel:WORD_0 src1_sel:DWORD
	s_nop 1
	v_cndmask_b32_e64 v5, v5, v7, s[0:1]
; %bb.113:                              ;   in Loop: Header=BB108_49 Depth=1
	s_or_b64 exec, exec, s[14:15]
	v_and_b32_e32 v6, 0xffff0000, v6
	v_lshlrev_b32_e32 v7, 16, v24
	v_mul_f32_e32 v6, v6, v7
	v_and_b32_e32 v7, 0x7f800000, v6
	v_cmp_ne_u32_e64 s[0:1], s24, v7
                                        ; implicit-def: $vgpr7
	s_and_saveexec_b64 s[14:15], s[0:1]
	s_xor_b64 s[0:1], exec, s[14:15]
; %bb.114:                              ;   in Loop: Header=BB108_49 Depth=1
	v_bfe_u32 v7, v6, 16, 1
	v_add3_u32 v7, v6, v7, s25
                                        ; implicit-def: $vgpr6
; %bb.115:                              ;   in Loop: Header=BB108_49 Depth=1
	s_andn2_saveexec_b64 s[14:15], s[0:1]
	s_cbranch_execz .LBB108_46
; %bb.116:                              ;   in Loop: Header=BB108_49 Depth=1
	v_or_b32_e32 v7, 0x10000, v6
	v_cmp_eq_u32_sdwa s[0:1], v6, v11 src0_sel:WORD_0 src1_sel:DWORD
	s_nop 1
	v_cndmask_b32_e64 v7, v7, v6, s[0:1]
	s_branch .LBB108_46
.LBB108_117:
	s_or_b64 exec, exec, s[8:9]
.LBB108_118:
	s_or_b64 exec, exec, s[6:7]
	v_and_b32_e32 v1, 0x3c0, v0
	v_cmp_eq_u32_e64 s[0:1], 64, v1
	v_cmp_gt_u32_e32 vcc, 32, v17
	s_and_b64 s[2:3], s[0:1], vcc
	s_barrier
	s_and_saveexec_b64 s[0:1], s[2:3]
	s_cbranch_execz .LBB108_120
; %bb.119:
	v_mov_b32_e32 v1, 0x50
	v_lshl_add_u32 v1, v17, 2, v1
	ds_write_b32 v1, v10
.LBB108_120:
	s_or_b64 exec, exec, s[0:1]
	v_cmp_gt_u32_e64 s[0:1], 64, v0
	s_and_b64 s[0:1], s[0:1], vcc
	s_waitcnt lgkmcnt(0)
	s_barrier
	s_and_saveexec_b64 s[2:3], s[0:1]
	s_cbranch_execz .LBB108_122
; %bb.121:
	v_mov_b32_e32 v0, 0x50
	v_lshl_add_u32 v0, v17, 2, v0
	ds_read_b32 v0, v0
	s_waitcnt lgkmcnt(0)
	v_add_f32_e32 v10, v10, v0
.LBB108_122:
	s_or_b64 exec, exec, s[2:3]
	s_barrier
	s_and_saveexec_b64 s[2:3], s[0:1]
	s_cbranch_execz .LBB108_128
; %bb.123:
	s_mov_b32 s0, 0x7f800000
	v_and_b32_e32 v0, 0x7f800000, v10
	v_cmp_ne_u32_e32 vcc, s0, v0
                                        ; implicit-def: $vgpr0
	s_and_saveexec_b64 s[0:1], vcc
	s_xor_b64 s[0:1], exec, s[0:1]
; %bb.124:
	v_bfe_u32 v0, v10, 16, 1
	s_movk_i32 s2, 0x7fff
	v_add3_u32 v0, v10, v0, s2
                                        ; implicit-def: $vgpr10
; %bb.125:
	s_andn2_saveexec_b64 s[0:1], s[0:1]
; %bb.126:
	v_mov_b32_e32 v0, 0
	v_or_b32_e32 v1, 0x10000, v10
	v_cmp_eq_u32_sdwa vcc, v10, v0 src0_sel:WORD_0 src1_sel:DWORD
	s_nop 1
	v_cndmask_b32_e32 v0, v1, v10, vcc
; %bb.127:
	s_or_b64 exec, exec, s[0:1]
	s_mul_i32 s0, s10, s16
	s_mul_i32 s0, s0, s5
	s_lshl_b32 s0, s0, 5
	s_ashr_i32 s1, s0, 31
	s_lshl_b64 s[0:1], s[0:1], 1
	s_add_u32 s2, s22, s0
	s_mul_i32 s0, s16, s20
	s_addc_u32 s3, s23, s1
	s_ashr_i32 s1, s0, 31
	s_lshl_b64 s[0:1], s[0:1], 1
	s_add_u32 s2, s2, s0
	s_addc_u32 s3, s3, s1
	s_lshl_b32 s0, s4, 5
	s_ashr_i32 s1, s0, 31
	s_lshl_b64 s[0:1], s[0:1], 1
	s_add_u32 s0, s2, s0
	s_addc_u32 s1, s3, s1
	v_lshlrev_b32_e32 v1, 1, v17
	global_store_short_d16_hi v1, v0, s[0:1]
.LBB108_128:
	s_endpgm
	.section	.rodata,"a",@progbits
	.p2align	6, 0x0
	.amdhsa_kernel _ZN4vllm25paged_attention_v1_kernelI14__hip_bfloat16S1_Li32ELi8ELi128ELNS_18Fp8KVCacheDataTypeE0ELb1EEEvPT_PKS3_PKT0_S9_ifPKiSB_iPKfiiiSD_SD_iiiii
		.amdhsa_group_segment_fixed_size 80
		.amdhsa_private_segment_fixed_size 0
		.amdhsa_kernarg_size 384
		.amdhsa_user_sgpr_count 2
		.amdhsa_user_sgpr_dispatch_ptr 0
		.amdhsa_user_sgpr_queue_ptr 0
		.amdhsa_user_sgpr_kernarg_segment_ptr 1
		.amdhsa_user_sgpr_dispatch_id 0
		.amdhsa_user_sgpr_kernarg_preload_length 0
		.amdhsa_user_sgpr_kernarg_preload_offset 0
		.amdhsa_user_sgpr_private_segment_size 0
		.amdhsa_uses_dynamic_stack 0
		.amdhsa_enable_private_segment 0
		.amdhsa_system_sgpr_workgroup_id_x 1
		.amdhsa_system_sgpr_workgroup_id_y 1
		.amdhsa_system_sgpr_workgroup_id_z 1
		.amdhsa_system_sgpr_workgroup_info 0
		.amdhsa_system_vgpr_workitem_id 0
		.amdhsa_next_free_vgpr 32
		.amdhsa_next_free_sgpr 44
		.amdhsa_accum_offset 32
		.amdhsa_reserve_vcc 1
		.amdhsa_float_round_mode_32 0
		.amdhsa_float_round_mode_16_64 0
		.amdhsa_float_denorm_mode_32 3
		.amdhsa_float_denorm_mode_16_64 3
		.amdhsa_dx10_clamp 1
		.amdhsa_ieee_mode 1
		.amdhsa_fp16_overflow 0
		.amdhsa_tg_split 0
		.amdhsa_exception_fp_ieee_invalid_op 0
		.amdhsa_exception_fp_denorm_src 0
		.amdhsa_exception_fp_ieee_div_zero 0
		.amdhsa_exception_fp_ieee_overflow 0
		.amdhsa_exception_fp_ieee_underflow 0
		.amdhsa_exception_fp_ieee_inexact 0
		.amdhsa_exception_int_div_zero 0
	.end_amdhsa_kernel
	.section	.text._ZN4vllm25paged_attention_v1_kernelI14__hip_bfloat16S1_Li32ELi8ELi128ELNS_18Fp8KVCacheDataTypeE0ELb1EEEvPT_PKS3_PKT0_S9_ifPKiSB_iPKfiiiSD_SD_iiiii,"axG",@progbits,_ZN4vllm25paged_attention_v1_kernelI14__hip_bfloat16S1_Li32ELi8ELi128ELNS_18Fp8KVCacheDataTypeE0ELb1EEEvPT_PKS3_PKT0_S9_ifPKiSB_iPKfiiiSD_SD_iiiii,comdat
.Lfunc_end108:
	.size	_ZN4vllm25paged_attention_v1_kernelI14__hip_bfloat16S1_Li32ELi8ELi128ELNS_18Fp8KVCacheDataTypeE0ELb1EEEvPT_PKS3_PKT0_S9_ifPKiSB_iPKfiiiSD_SD_iiiii, .Lfunc_end108-_ZN4vllm25paged_attention_v1_kernelI14__hip_bfloat16S1_Li32ELi8ELi128ELNS_18Fp8KVCacheDataTypeE0ELb1EEEvPT_PKS3_PKT0_S9_ifPKiSB_iPKfiiiSD_SD_iiiii
                                        ; -- End function
	.section	.AMDGPU.csdata,"",@progbits
; Kernel info:
; codeLenInByte = 5508
; NumSgprs: 50
; NumVgprs: 32
; NumAgprs: 0
; TotalNumVgprs: 32
; ScratchSize: 0
; MemoryBound: 0
; FloatMode: 240
; IeeeMode: 1
; LDSByteSize: 80 bytes/workgroup (compile time only)
; SGPRBlocks: 6
; VGPRBlocks: 3
; NumSGPRsForWavesPerEU: 50
; NumVGPRsForWavesPerEU: 32
; AccumOffset: 32
; Occupancy: 8
; WaveLimiterHint : 1
; COMPUTE_PGM_RSRC2:SCRATCH_EN: 0
; COMPUTE_PGM_RSRC2:USER_SGPR: 2
; COMPUTE_PGM_RSRC2:TRAP_HANDLER: 0
; COMPUTE_PGM_RSRC2:TGID_X_EN: 1
; COMPUTE_PGM_RSRC2:TGID_Y_EN: 1
; COMPUTE_PGM_RSRC2:TGID_Z_EN: 1
; COMPUTE_PGM_RSRC2:TIDIG_COMP_CNT: 0
; COMPUTE_PGM_RSRC3_GFX90A:ACCUM_OFFSET: 7
; COMPUTE_PGM_RSRC3_GFX90A:TG_SPLIT: 0
	.section	.text._ZN4vllm25paged_attention_v1_kernelI14__hip_bfloat16S1_Li64ELi8ELi128ELNS_18Fp8KVCacheDataTypeE0ELb1EEEvPT_PKS3_PKT0_S9_ifPKiSB_iPKfiiiSD_SD_iiiii,"axG",@progbits,_ZN4vllm25paged_attention_v1_kernelI14__hip_bfloat16S1_Li64ELi8ELi128ELNS_18Fp8KVCacheDataTypeE0ELb1EEEvPT_PKS3_PKT0_S9_ifPKiSB_iPKfiiiSD_SD_iiiii,comdat
	.protected	_ZN4vllm25paged_attention_v1_kernelI14__hip_bfloat16S1_Li64ELi8ELi128ELNS_18Fp8KVCacheDataTypeE0ELb1EEEvPT_PKS3_PKT0_S9_ifPKiSB_iPKfiiiSD_SD_iiiii ; -- Begin function _ZN4vllm25paged_attention_v1_kernelI14__hip_bfloat16S1_Li64ELi8ELi128ELNS_18Fp8KVCacheDataTypeE0ELb1EEEvPT_PKS3_PKT0_S9_ifPKiSB_iPKfiiiSD_SD_iiiii
	.globl	_ZN4vllm25paged_attention_v1_kernelI14__hip_bfloat16S1_Li64ELi8ELi128ELNS_18Fp8KVCacheDataTypeE0ELb1EEEvPT_PKS3_PKT0_S9_ifPKiSB_iPKfiiiSD_SD_iiiii
	.p2align	8
	.type	_ZN4vllm25paged_attention_v1_kernelI14__hip_bfloat16S1_Li64ELi8ELi128ELNS_18Fp8KVCacheDataTypeE0ELb1EEEvPT_PKS3_PKT0_S9_ifPKiSB_iPKfiiiSD_SD_iiiii,@function
_ZN4vllm25paged_attention_v1_kernelI14__hip_bfloat16S1_Li64ELi8ELi128ELNS_18Fp8KVCacheDataTypeE0ELb1EEEvPT_PKS3_PKT0_S9_ifPKiSB_iPKfiiiSD_SD_iiiii: ; @_ZN4vllm25paged_attention_v1_kernelI14__hip_bfloat16S1_Li64ELi8ELi128ELNS_18Fp8KVCacheDataTypeE0ELb1EEEvPT_PKS3_PKT0_S9_ifPKiSB_iPKfiiiSD_SD_iiiii
; %bb.0:
	s_load_dword s5, s[0:1], 0x80
	s_load_dwordx2 s[6:7], s[0:1], 0x30
	s_load_dwordx2 s[34:35], s[0:1], 0x20
	s_mov_b32 s20, s3
	s_ashr_i32 s21, s3, 31
	s_lshl_b64 s[8:9], s[20:21], 2
	s_waitcnt lgkmcnt(0)
	s_add_u32 s6, s6, s8
	s_addc_u32 s7, s7, s9
	s_abs_i32 s3, s34
	v_cvt_f32_u32_e32 v1, s3
	s_sub_i32 s10, 0, s3
	s_abs_i32 s9, s5
	s_xor_b32 s8, s5, s34
	v_rcp_iflag_f32_e32 v1, v1
	s_ashr_i32 s8, s8, 31
	s_mov_b32 s44, 0
	v_mul_f32_e32 v1, 0x4f7ffffe, v1
	v_cvt_u32_f32_e32 v1, v1
	s_nop 0
	v_readfirstlane_b32 s11, v1
	s_mul_i32 s10, s10, s11
	s_mul_hi_u32 s10, s11, s10
	s_add_i32 s11, s11, s10
	s_mul_hi_u32 s10, s9, s11
	s_mul_i32 s11, s10, s3
	s_sub_i32 s9, s9, s11
	s_add_i32 s11, s10, 1
	s_sub_i32 s12, s9, s3
	s_cmp_ge_u32 s9, s3
	s_cselect_b32 s10, s11, s10
	s_cselect_b32 s9, s12, s9
	s_add_i32 s11, s10, 1
	s_cmp_ge_u32 s9, s3
	s_cselect_b32 s3, s11, s10
	s_xor_b32 s3, s3, s8
	s_sub_i32 s16, s3, s8
	s_abs_i32 s10, s16
	v_cvt_f32_u32_e32 v1, s10
	s_load_dwordx2 s[8:9], s[0:1], 0x40
	s_sub_i32 s3, 0, s10
	s_abs_i32 s11, s2
	v_rcp_iflag_f32_e32 v1, v1
	s_nop 0
	v_mul_f32_e32 v1, 0x4f7ffffe, v1
	v_cvt_u32_f32_e32 v1, v1
	s_nop 0
	v_readfirstlane_b32 s12, v1
	s_mul_i32 s3, s3, s12
	s_mul_hi_u32 s3, s12, s3
	s_add_i32 s12, s12, s3
	s_waitcnt lgkmcnt(0)
	s_cmp_eq_u64 s[8:9], 0
	s_mul_hi_u32 s24, s11, s12
	s_cbranch_scc1 .LBB109_2
; %bb.1:
	s_ashr_i32 s3, s2, 31
	s_lshl_b64 s[12:13], s[2:3], 2
	s_add_u32 s8, s8, s12
	s_addc_u32 s9, s9, s13
	s_load_dword s44, s[8:9], 0x0
.LBB109_2:
	s_load_dword s21, s[6:7], 0x0
	s_load_dwordx4 s[12:15], s[0:1], 0x48
	s_ashr_i32 s25, s2, 31
	s_waitcnt lgkmcnt(0)
	s_ashr_i32 s15, s16, 31
	v_and_b32_e32 v4, 7, v0
	s_lshl_b32 s22, s2, 6
	v_cmp_gt_u32_e64 s[8:9], 64, v0
	s_and_saveexec_b64 s[6:7], s[8:9]
	s_cbranch_execz .LBB109_4
; %bb.3:
	s_load_dwordx2 s[16:17], s[0:1], 0x8
	s_mul_i32 s18, s20, s12
	s_ashr_i32 s19, s18, 31
	s_lshl_b64 s[18:19], s[18:19], 1
	v_lshlrev_b32_e32 v1, 1, v0
	s_waitcnt lgkmcnt(0)
	s_add_u32 s3, s16, s18
	s_addc_u32 s12, s17, s19
	s_ashr_i32 s23, s22, 31
	s_lshl_b64 s[16:17], s[22:23], 1
	s_add_u32 s16, s3, s16
	s_addc_u32 s17, s12, s17
	global_load_ushort v1, v1, s[16:17]
	v_lshrrev_b32_e32 v2, 2, v0
	v_and_b32_e32 v2, 0xfe, v2
	v_lshl_add_u32 v2, v4, 4, v2
	s_waitcnt vmcnt(0)
	ds_write_b16 v2, v1
.LBB109_4:
	s_or_b64 exec, exec, s[6:7]
	s_mul_i32 s7, s24, s10
	s_sub_i32 s7, s11, s7
	s_xor_b32 s6, s25, s15
	s_add_i32 s11, s24, 1
	s_sub_i32 s12, s7, s10
	s_load_dwordx4 s[16:19], s[0:1], 0x68
	s_load_dword s3, s[0:1], 0x78
	s_cmp_ge_u32 s7, s10
	s_cselect_b32 s11, s11, s24
	s_cselect_b32 s7, s12, s7
	s_add_i32 s12, s11, 1
	s_cmp_ge_u32 s7, s10
	s_cselect_b32 s7, s12, s11
	s_waitcnt lgkmcnt(0)
	s_abs_i32 s23, s19
	v_cvt_f32_u32_e32 v1, s23
	s_xor_b32 s7, s7, s6
	s_sub_i32 s10, s7, s6
	s_sub_i32 s6, 0, s23
	v_rcp_iflag_f32_e32 v1, v1
	s_add_i32 s12, s21, -1
	s_abs_i32 s11, s12
	v_mul_f32_e32 v1, 0x4f7ffffe, v1
	v_cvt_u32_f32_e32 v1, v1
	s_barrier
	v_readfirstlane_b32 s33, v1
	s_mul_i32 s6, s6, s33
	s_mul_hi_u32 s6, s33, s6
	s_add_i32 s33, s33, s6
	s_cmp_lt_i32 s3, 0
	s_mul_hi_u32 s15, s11, s33
	s_cbranch_scc0 .LBB109_6
; %bb.5:
	s_mul_i32 s6, s16, s34
	s_add_i32 s6, s10, s6
	s_mul_i32 s6, s6, s3
	s_sub_i32 s42, 1, s6
	s_mov_b64 s[6:7], 0
	s_branch .LBB109_7
.LBB109_6:
	s_mov_b64 s[6:7], -1
                                        ; implicit-def: $sgpr42
.LBB109_7:
	s_load_dwordx2 s[26:27], s[0:1], 0x28
	s_ashr_i32 s28, s12, 31
	s_andn2_b64 vcc, exec, s[6:7]
	s_ashr_i32 s19, s19, 31
	s_cbranch_vccnz .LBB109_9
; %bb.8:
	s_mul_i32 s6, s5, s16
	s_add_i32 s2, s6, s2
	s_mul_i32 s2, s2, s3
	s_add_i32 s42, s2, 1
.LBB109_9:
	s_load_dword s2, s[0:1], 0x38
	s_load_dwordx2 s[24:25], s[0:1], 0x0
	s_load_dwordx2 s[30:31], s[0:1], 0x18
	s_load_dword s12, s[0:1], 0x88
	s_xor_b32 s3, s28, s19
	s_waitcnt lgkmcnt(0)
	s_mul_i32 s28, s20, s2
	s_mul_i32 s2, s15, s23
	s_sub_i32 s2, s11, s2
	s_ashr_i32 s29, s28, 31
	s_add_i32 s6, s15, 1
	s_sub_i32 s7, s2, s23
	s_cmp_ge_u32 s2, s23
	s_cselect_b32 s6, s6, s15
	s_cselect_b32 s2, s7, s2
	s_add_i32 s7, s6, 1
	s_cmp_ge_u32 s2, s23
	s_cselect_b32 s2, s7, s6
	s_xor_b32 s2, s2, s3
	s_sub_i32 s43, s2, s3
	s_add_i32 s2, s21, 7
	s_ashr_i32 s3, s2, 31
	s_lshr_b32 s3, s3, 29
	s_add_i32 s2, s2, s3
	s_ashr_i32 s16, s2, 3
	v_lshrrev_b32_e32 v1, 6, v0
	v_cmp_gt_i32_e64 s[2:3], s16, v1
	v_mov_b32_e32 v10, 0xff7fffff
	s_mul_i32 s14, s10, s14
	v_lshrrev_b32_e32 v6, 4, v0
	v_lshlrev_b32_e32 v16, 3, v1
	v_mbcnt_lo_u32_b32 v7, -1, 0
	s_and_saveexec_b64 s[36:37], s[2:3]
	s_cbranch_execz .LBB109_19
; %bb.10:
	s_load_dwordx2 s[0:1], s[0:1], 0x10
	s_ashr_i32 s15, s14, 31
	s_sub_i32 s34, s43, s17
	s_lshl_b64 s[6:7], s[14:15], 1
	v_bfe_u32 v8, v0, 3, 3
	s_waitcnt lgkmcnt(0)
	s_add_u32 s0, s0, s6
	s_addc_u32 s1, s1, s7
	s_abs_i32 s15, s18
	v_cvt_f32_u32_e32 v2, s15
	v_lshlrev_b32_e32 v12, 4, v8
	v_mov_b32_e32 v13, 0
	s_sub_i32 s6, 0, s15
	v_rcp_iflag_f32_e32 v5, v2
	v_cmp_eq_u32_e32 vcc, 0, v4
	v_lshl_add_u64 v[2:3], s[0:1], 0, v[12:13]
	v_lshlrev_b32_e32 v12, 1, v4
	v_mul_f32_e32 v5, 0x4f7ffffe, v5
	v_cvt_u32_f32_e32 v5, v5
	v_lshlrev_b32_e32 v9, 4, v4
	v_lshlrev_b32_e32 v10, 2, v8
	v_lshl_add_u64 v[2:3], v[2:3], 0, v[12:13]
	v_mul_lo_u32 v4, s6, v5
	s_lshl_b64 s[6:7], s[28:29], 2
	s_add_u32 s6, s26, s6
	v_mul_hi_u32 v4, v5, v4
	v_and_b32_e32 v12, 60, v6
	s_addc_u32 s7, s27, s7
	v_lshl_or_b32 v10, v1, 5, v10
	v_add_u32_e32 v11, v5, v4
	v_lshl_add_u64 v[4:5], s[6:7], 0, v[12:13]
	v_add_u32_e32 v13, 0x90, v10
	v_subrev_u32_e32 v10, s21, v8
	v_mbcnt_hi_u32_b32 v17, -1, v7
	v_add_u32_e32 v14, 1, v10
	v_and_b32_e32 v10, 64, v17
	s_mov_b32 s45, s13
	v_cmp_neq_f32_e64 s[0:1], s44, 0
	v_lshlrev_b32_e32 v12, 3, v1
	s_mov_b64 s[38:39], 0
	v_mov_b32_e32 v15, 0xff7fffff
	v_add_u32_e32 v18, 64, v10
	v_xor_b32_e32 v19, 4, v17
	v_xor_b32_e32 v20, 2, v17
	;; [unrolled: 1-line block ×3, first 2 shown]
	v_mov_b32_e32 v10, 0xff7fffff
	v_mov_b32_e32 v22, v1
	s_branch .LBB109_13
.LBB109_11:                             ;   in Loop: Header=BB109_13 Depth=1
	s_or_b64 exec, exec, s[40:41]
.LBB109_12:                             ;   in Loop: Header=BB109_13 Depth=1
	s_or_b64 exec, exec, s[10:11]
	v_add_u32_e32 v22, 2, v22
	v_cmp_le_i32_e64 s[6:7], s16, v22
	v_lshl_add_u64 v[4:5], v[4:5], 0, 8
	v_add_u32_e32 v12, 16, v12
	s_or_b64 s[38:39], s[6:7], s[38:39]
	v_add_u32_e32 v13, 64, v13
	s_andn2_b64 exec, exec, s[38:39]
	s_cbranch_execz .LBB109_18
.LBB109_13:                             ; =>This Inner Loop Header: Depth=1
	v_mul_hi_u32 v23, v12, s33
	s_waitcnt lgkmcnt(0)
	v_mul_lo_u32 v24, v23, s23
	v_sub_u32_e32 v24, v12, v24
	v_add_u32_e32 v25, 1, v23
	v_cmp_le_u32_e64 s[6:7], s23, v24
	s_nop 1
	v_cndmask_b32_e64 v23, v23, v25, s[6:7]
	v_subrev_u32_e32 v25, s23, v24
	v_cndmask_b32_e64 v24, v24, v25, s[6:7]
	v_add_u32_e32 v25, 1, v23
	v_cmp_le_u32_e64 s[6:7], s23, v24
	s_nop 1
	v_cndmask_b32_e64 v23, v23, v25, s[6:7]
	v_xor_b32_e32 v23, s19, v23
	v_subrev_u32_e32 v23, s19, v23
	v_add_u32_e32 v24, s42, v23
	v_sub_u32_e32 v26, 0, v24
	v_ashrrev_i32_e32 v25, 31, v24
	v_max_i32_e32 v24, v24, v26
	v_mul_hi_u32 v26, v24, v11
	v_mul_lo_u32 v26, v26, s15
	v_sub_u32_e32 v24, v24, v26
	v_subrev_u32_e32 v26, s15, v24
	v_cmp_le_u32_e64 s[6:7], s15, v24
	v_cmp_ge_i32_e64 s[10:11], s34, v23
	s_nop 0
	v_cndmask_b32_e64 v24, v24, v26, s[6:7]
	v_subrev_u32_e32 v26, s15, v24
	v_cmp_le_u32_e64 s[6:7], s15, v24
	s_nop 1
	v_cndmask_b32_e64 v24, v24, v26, s[6:7]
	v_xor_b32_e32 v24, v24, v25
	v_sub_u32_e32 v24, v24, v25
	v_cmp_ne_u32_e64 s[6:7], 0, v24
	s_and_b64 s[6:7], s[6:7], s[10:11]
	s_and_b64 s[40:41], vcc, s[6:7]
	s_and_saveexec_b64 s[10:11], s[40:41]
	s_cbranch_execz .LBB109_15
; %bb.14:                               ;   in Loop: Header=BB109_13 Depth=1
	ds_write_b32 v13, v15
.LBB109_15:                             ;   in Loop: Header=BB109_13 Depth=1
	s_or_b64 exec, exec, s[10:11]
	s_xor_b64 s[6:7], s[6:7], -1
	s_and_saveexec_b64 s[10:11], s[6:7]
	s_cbranch_execz .LBB109_12
; %bb.16:                               ;   in Loop: Header=BB109_13 Depth=1
	global_load_dword v23, v[4:5], off
	s_waitcnt vmcnt(0)
	v_mad_i64_i32 v[24:25], s[6:7], v23, s45, 0
	v_lshl_add_u64 v[24:25], v[24:25], 1, v[2:3]
	global_load_ushort v23, v[24:25], off
	global_load_ushort v28, v[24:25], off offset:128
	global_load_ushort v29, v[24:25], off offset:256
	;; [unrolled: 1-line block ×7, first 2 shown]
	ds_read_b128 v[24:27], v9
	v_cmp_lt_i32_e64 s[6:7], v19, v18
	s_waitcnt lgkmcnt(0)
	v_lshlrev_b32_e32 v36, 16, v24
	v_and_b32_e32 v24, 0xffff0000, v24
	v_lshlrev_b32_e32 v37, 16, v25
	v_and_b32_e32 v25, 0xffff0000, v25
	;; [unrolled: 2-line block ×3, first 2 shown]
	v_lshlrev_b32_e32 v39, 16, v27
	v_cndmask_b32_e64 v35, v17, v19, s[6:7]
	v_and_b32_e32 v27, 0xffff0000, v27
	v_lshlrev_b32_e32 v35, 2, v35
	v_cmp_lt_i32_e64 s[6:7], v20, v18
	s_waitcnt vmcnt(7)
	v_lshlrev_b32_e32 v23, 16, v23
	s_waitcnt vmcnt(6)
	v_lshlrev_b32_e32 v28, 16, v28
	v_mul_f32_e32 v24, v24, v28
	s_waitcnt vmcnt(5)
	v_lshlrev_b32_e32 v29, 16, v29
	v_fmac_f32_e32 v24, v36, v23
	s_waitcnt vmcnt(4)
	v_lshlrev_b32_e32 v30, 16, v30
	v_fmac_f32_e32 v24, v37, v29
	;; [unrolled: 3-line block ×5, first 2 shown]
	v_fmac_f32_e32 v24, v39, v33
	s_waitcnt vmcnt(0)
	v_lshlrev_b32_e32 v23, 16, v34
	v_fmac_f32_e32 v24, v27, v23
	ds_bpermute_b32 v23, v35, v24
	v_cndmask_b32_e64 v25, v17, v20, s[6:7]
	v_lshlrev_b32_e32 v25, 2, v25
	v_cmp_lt_i32_e64 s[6:7], v21, v18
	s_waitcnt lgkmcnt(0)
	v_add_f32_e32 v23, v24, v23
	ds_bpermute_b32 v24, v25, v23
	v_cndmask_b32_e64 v25, v17, v21, s[6:7]
	v_lshlrev_b32_e32 v25, 2, v25
	s_waitcnt lgkmcnt(0)
	v_add_f32_e32 v23, v23, v24
	ds_bpermute_b32 v24, v25, v23
	s_and_saveexec_b64 s[40:41], vcc
	s_cbranch_execz .LBB109_11
; %bb.17:                               ;   in Loop: Header=BB109_13 Depth=1
	v_add_u32_e32 v25, v14, v12
	v_cvt_f32_i32_e32 v25, v25
	s_waitcnt lgkmcnt(0)
	v_add_f32_e32 v23, v23, v24
	v_add_u32_e32 v26, v8, v12
	v_cmp_gt_i32_e64 s[6:7], s21, v26
	v_mul_f32_e32 v24, s44, v25
	v_cndmask_b32_e64 v24, 0, v24, s[0:1]
	v_fmac_f32_e32 v24, s35, v23
	v_cndmask_b32_e64 v23, 0, v24, s[6:7]
	ds_write_b32 v13, v23
	v_max_f32_e32 v23, v10, v10
	v_max_f32_e32 v23, v23, v24
	v_cndmask_b32_e64 v10, v10, v23, s[6:7]
	s_branch .LBB109_11
.LBB109_18:
	s_or_b64 exec, exec, s[38:39]
.LBB109_19:
	s_or_b64 exec, exec, s[36:37]
	v_mbcnt_hi_u32_b32 v2, -1, v7
	v_and_b32_e32 v3, 64, v2
	v_add_u32_e32 v3, 64, v3
	v_xor_b32_e32 v4, 32, v2
	v_cmp_lt_i32_e32 vcc, v4, v3
	v_xor_b32_e32 v8, 16, v2
	v_max_f32_e32 v7, v10, v10
	v_cndmask_b32_e32 v4, v2, v4, vcc
	v_lshlrev_b32_e32 v5, 2, v4
	ds_bpermute_b32 v4, v5, v10
	v_cmp_lt_i32_e32 vcc, v8, v3
	v_xor_b32_e32 v9, 8, v2
	v_and_b32_e32 v17, 63, v0
	s_waitcnt lgkmcnt(0)
	v_max_f32_e32 v4, v4, v4
	v_max_f32_e32 v4, v7, v4
	v_cndmask_b32_e32 v7, v2, v8, vcc
	v_lshlrev_b32_e32 v8, 2, v7
	ds_bpermute_b32 v7, v8, v4
	v_cmp_lt_i32_e32 vcc, v9, v3
	s_waitcnt lgkmcnt(0)
	v_max_f32_e32 v7, v7, v7
	v_max_f32_e32 v7, v4, v7
	v_cndmask_b32_e32 v4, v2, v9, vcc
	v_lshlrev_b32_e32 v10, 2, v4
	ds_bpermute_b32 v9, v10, v7
	v_cmp_eq_u32_e32 vcc, 0, v17
	v_lshlrev_b32_e32 v4, 2, v1
	s_and_saveexec_b64 s[0:1], vcc
	s_cbranch_execz .LBB109_21
; %bb.20:
	s_waitcnt lgkmcnt(0)
	v_max_f32_e32 v9, v9, v9
	v_max_f32_e32 v7, v7, v7
	;; [unrolled: 1-line block ×3, first 2 shown]
	ds_write_b32 v4, v7 offset:128
.LBB109_21:
	s_or_b64 exec, exec, s[0:1]
	v_cmp_gt_u32_e64 s[0:1], 2, v17
	v_mov_b32_e32 v11, 0xff7fffff
	v_lshlrev_b32_e32 v7, 2, v17
	s_waitcnt lgkmcnt(0)
	s_barrier
	s_and_saveexec_b64 s[6:7], s[0:1]
	s_cbranch_execz .LBB109_23
; %bb.22:
	ds_read_b32 v11, v7 offset:128
.LBB109_23:
	s_or_b64 exec, exec, s[6:7]
	v_xor_b32_e32 v9, 1, v2
	v_cmp_lt_i32_e64 s[6:7], v9, v3
	v_lshlrev_b32_e32 v13, 2, v2
	s_nop 0
	v_cndmask_b32_e64 v9, v2, v9, s[6:7]
	v_lshlrev_b32_e32 v9, 2, v9
	s_waitcnt lgkmcnt(0)
	ds_bpermute_b32 v12, v9, v11
	v_max_f32_e32 v11, v11, v11
	s_lshl_b32 s6, s16, 3
	s_min_i32 s15, s6, s21
	v_cmp_gt_i32_e64 s[6:7], s15, v0
	s_waitcnt lgkmcnt(0)
	v_max_f32_e32 v12, v12, v12
	v_max_f32_e32 v12, v11, v12
	v_and_b32_e32 v11, 0x100, v13
	ds_bpermute_b32 v13, v11, v12
	v_mov_b32_e32 v12, 0
	s_and_saveexec_b64 s[34:35], s[6:7]
	s_cbranch_execz .LBB109_27
; %bb.24:
	v_mov_b32_e32 v12, 0x90
	v_lshl_add_u32 v14, v0, 2, v12
	s_mov_b64 s[36:37], 0
	v_mov_b32_e32 v12, 0
	v_mov_b32_e32 v15, v0
.LBB109_25:                             ; =>This Inner Loop Header: Depth=1
	ds_read_b32 v18, v14
	v_add_u32_e32 v15, 0x80, v15
	v_cmp_le_i32_e64 s[10:11], s15, v15
	s_or_b64 s[36:37], s[10:11], s[36:37]
	s_waitcnt lgkmcnt(0)
	v_sub_f32_e32 v18, v18, v13
	v_mul_f32_e32 v18, 0x3fb8aa3b, v18
	v_exp_f32_e32 v18, v18
	ds_write_b32 v14, v18
	v_add_f32_e32 v12, v12, v18
	v_add_u32_e32 v14, 0x200, v14
	s_andn2_b64 exec, exec, s[36:37]
	s_cbranch_execnz .LBB109_25
; %bb.26:
	s_or_b64 exec, exec, s[36:37]
.LBB109_27:
	s_or_b64 exec, exec, s[34:35]
	ds_bpermute_b32 v5, v5, v12
	s_waitcnt lgkmcnt(0)
	v_add_f32_e32 v5, v12, v5
	ds_bpermute_b32 v8, v8, v5
	s_waitcnt lgkmcnt(0)
	v_add_f32_e32 v5, v5, v8
	ds_bpermute_b32 v8, v10, v5
	v_xor_b32_e32 v10, 4, v2
	v_cmp_lt_i32_e64 s[10:11], v10, v3
	s_waitcnt lgkmcnt(0)
	v_add_f32_e32 v5, v5, v8
	v_cndmask_b32_e64 v10, v2, v10, s[10:11]
	v_lshlrev_b32_e32 v10, 2, v10
	ds_bpermute_b32 v8, v10, v5
	v_xor_b32_e32 v10, 2, v2
	v_cmp_lt_i32_e64 s[10:11], v10, v3
	s_waitcnt lgkmcnt(0)
	v_add_f32_e32 v3, v5, v8
	v_cndmask_b32_e64 v2, v2, v10, s[10:11]
	v_lshlrev_b32_e32 v2, 2, v2
	ds_bpermute_b32 v2, v2, v3
	s_waitcnt lgkmcnt(0)
	v_add_f32_e32 v2, v3, v2
	ds_bpermute_b32 v3, v9, v2
	s_waitcnt lgkmcnt(0)
	v_add_f32_e32 v2, v2, v3
	s_and_saveexec_b64 s[10:11], vcc
	s_cbranch_execz .LBB109_29
; %bb.28:
	ds_write_b32 v4, v2 offset:136
.LBB109_29:
	s_or_b64 exec, exec, s[10:11]
	s_waitcnt lgkmcnt(0)
	s_barrier
	s_and_saveexec_b64 s[10:11], s[0:1]
	s_cbranch_execz .LBB109_31
; %bb.30:
	ds_read_b32 v2, v7 offset:136
.LBB109_31:
	s_or_b64 exec, exec, s[10:11]
	s_waitcnt lgkmcnt(0)
	ds_bpermute_b32 v3, v9, v2
	s_waitcnt lgkmcnt(0)
	v_add_f32_e32 v2, v2, v3
	ds_bpermute_b32 v2, v11, v2
	s_and_saveexec_b64 s[0:1], s[6:7]
	s_cbranch_execz .LBB109_44
; %bb.32:
	s_waitcnt lgkmcnt(0)
	v_add_f32_e32 v2, 0x358637bd, v2
	v_div_scale_f32 v3, s[6:7], v2, v2, 1.0
	v_rcp_f32_e32 v4, v3
	v_div_scale_f32 v5, vcc, 1.0, v2, 1.0
	s_movk_i32 s6, 0x7f
	v_fma_f32 v7, -v3, v4, 1.0
	v_fmac_f32_e32 v4, v7, v4
	v_mul_f32_e32 v7, v5, v4
	v_fma_f32 v8, -v3, v7, v5
	v_fmac_f32_e32 v7, v8, v4
	v_fma_f32 v3, -v3, v7, v5
	v_div_fmas_f32 v3, v3, v4, v7
	v_xad_u32 v4, v0, -1, s15
	v_div_fixup_f32 v2, v3, v2, 1.0
	v_cmp_lt_u32_e32 vcc, s6, v4
	s_mov_b64 s[10:11], -1
	v_mov_b32_e32 v3, v0
	s_and_saveexec_b64 s[6:7], vcc
	s_cbranch_execz .LBB109_41
; %bb.33:
	v_lshrrev_b32_e32 v4, 7, v4
	v_add_u32_e32 v7, -1, v4
	v_lshrrev_b32_e32 v5, 1, v7
	v_mov_b32_e32 v3, v2
	v_add_u32_e32 v5, 1, v5
	v_cmp_lt_u32_e32 vcc, 13, v7
	v_mov_b32_e32 v9, 0
	s_and_saveexec_b64 s[10:11], vcc
	s_cbranch_execz .LBB109_37
; %bb.34:
	v_mov_b32_e32 v8, 0x90
	v_and_b32_e32 v7, -8, v5
	v_lshl_add_u32 v8, v0, 2, v8
	s_mov_b32 s36, 0
	s_mov_b64 s[34:35], 0
.LBB109_35:                             ; =>This Inner Loop Header: Depth=1
	ds_read2st64_b32 v[10:11], v8 offset1:2
	ds_read2st64_b32 v[12:13], v8 offset0:4 offset1:6
	ds_read2st64_b32 v[14:15], v8 offset0:8 offset1:10
	;; [unrolled: 1-line block ×3, first 2 shown]
	v_add_u32_e32 v7, -8, v7
	s_waitcnt lgkmcnt(3)
	v_pk_mul_f32 v[10:11], v[2:3], v[10:11]
	s_waitcnt lgkmcnt(2)
	v_pk_mul_f32 v[12:13], v[2:3], v[12:13]
	ds_write2st64_b32 v8, v10, v11 offset1:2
	ds_write2st64_b32 v8, v12, v13 offset0:4 offset1:6
	ds_read2st64_b32 v[12:13], v8 offset0:16 offset1:18
	s_waitcnt lgkmcnt(4)
	v_pk_mul_f32 v[10:11], v[2:3], v[14:15]
	ds_write2st64_b32 v8, v10, v11 offset0:8 offset1:10
	s_waitcnt lgkmcnt(4)
	v_pk_mul_f32 v[10:11], v[2:3], v[18:19]
	ds_write2st64_b32 v8, v10, v11 offset0:12 offset1:14
	ds_read2st64_b32 v[10:11], v8 offset0:20 offset1:22
	s_waitcnt lgkmcnt(3)
	v_pk_mul_f32 v[12:13], v[2:3], v[12:13]
	ds_read2st64_b32 v[14:15], v8 offset0:24 offset1:26
	ds_write2st64_b32 v8, v12, v13 offset0:16 offset1:18
	ds_read2st64_b32 v[12:13], v8 offset0:28 offset1:30
	s_waitcnt lgkmcnt(3)
	v_pk_mul_f32 v[10:11], v[2:3], v[10:11]
	ds_write2st64_b32 v8, v10, v11 offset0:20 offset1:22
	s_waitcnt lgkmcnt(3)
	v_pk_mul_f32 v[10:11], v[2:3], v[14:15]
	ds_write2st64_b32 v8, v10, v11 offset0:24 offset1:26
	s_waitcnt lgkmcnt(2)
	v_pk_mul_f32 v[10:11], v[2:3], v[12:13]
	s_add_i32 s36, s36, 16
	v_cmp_eq_u32_e32 vcc, 0, v7
	ds_write2st64_b32 v8, v10, v11 offset0:28 offset1:30
	v_add_u32_e32 v8, 0x2000, v8
	s_or_b64 s[34:35], vcc, s[34:35]
	v_mov_b32_e32 v9, s36
	s_andn2_b64 exec, exec, s[34:35]
	s_cbranch_execnz .LBB109_35
; %bb.36:
	s_or_b64 exec, exec, s[34:35]
.LBB109_37:
	s_or_b64 exec, exec, s[10:11]
	v_and_b32_e32 v5, 7, v5
	v_cmp_ne_u32_e32 vcc, 0, v5
	s_and_saveexec_b64 s[10:11], vcc
	s_cbranch_execz .LBB109_40
; %bb.38:
	v_lshlrev_b32_e32 v7, 9, v9
	v_lshlrev_b32_e32 v8, 2, v0
	s_movk_i32 s34, 0x90
	v_add3_u32 v7, v7, v8, s34
	s_mov_b64 s[34:35], 0
.LBB109_39:                             ; =>This Inner Loop Header: Depth=1
	ds_read2st64_b32 v[8:9], v7 offset1:2
	v_add_u32_e32 v5, -1, v5
	v_cmp_eq_u32_e32 vcc, 0, v5
	s_or_b64 s[34:35], vcc, s[34:35]
	s_waitcnt lgkmcnt(0)
	v_pk_mul_f32 v[8:9], v[2:3], v[8:9]
	ds_write2st64_b32 v7, v8, v9 offset1:2
	v_add_u32_e32 v7, 0x400, v7
	s_andn2_b64 exec, exec, s[34:35]
	s_cbranch_execnz .LBB109_39
.LBB109_40:
	s_or_b64 exec, exec, s[10:11]
	v_add_u32_e32 v4, 1, v4
	v_and_b32_e32 v5, 0x3fffffe, v4
	v_cmp_ne_u32_e32 vcc, v4, v5
	v_lshl_add_u32 v3, v5, 7, v0
	s_orn2_b64 s[10:11], vcc, exec
.LBB109_41:
	s_or_b64 exec, exec, s[6:7]
	s_and_b64 exec, exec, s[10:11]
	s_cbranch_execz .LBB109_44
; %bb.42:
	v_mov_b32_e32 v4, 0x90
	v_lshl_add_u32 v4, v3, 2, v4
	s_mov_b64 s[6:7], 0
.LBB109_43:                             ; =>This Inner Loop Header: Depth=1
	ds_read_b32 v5, v4
	v_add_u32_e32 v3, 0x80, v3
	v_cmp_le_i32_e32 vcc, s15, v3
	s_or_b64 s[6:7], vcc, s[6:7]
	s_waitcnt lgkmcnt(0)
	v_mul_f32_e32 v5, v2, v5
	ds_write_b32 v4, v5
	v_add_u32_e32 v4, 0x200, v4
	s_andn2_b64 exec, exec, s[6:7]
	s_cbranch_execnz .LBB109_43
.LBB109_44:
	s_or_b64 exec, exec, s[0:1]
	v_mov_b32_e32 v10, 0
	s_waitcnt lgkmcnt(0)
	s_barrier
	s_and_saveexec_b64 s[6:7], s[2:3]
	s_cbranch_execz .LBB109_116
; %bb.45:
	s_ashr_i32 s15, s14, 31
	s_sub_i32 s17, s43, s17
	s_lshl_b64 s[0:1], s[14:15], 1
	s_add_u32 s0, s30, s0
	s_addc_u32 s1, s31, s1
	s_abs_i32 s14, s18
	v_cvt_f32_u32_e32 v2, s14
	v_lshlrev_b32_e32 v10, 4, v17
	v_mov_b32_e32 v11, 0
	v_lshl_add_u64 v[12:13], s[0:1], 0, v[10:11]
	v_rcp_iflag_f32_e32 v2, v2
	s_sub_i32 s0, 0, s14
	s_add_i32 s15, s16, -1
	v_and_b32_e32 v10, 60, v6
	v_mul_f32_e32 v2, 0x4f7ffffe, v2
	v_cvt_u32_f32_e32 v2, v2
	s_mov_b64 s[2:3], 0
	s_mov_b32 s18, 0x7f800000
	v_mul_lo_u32 v3, s0, v2
	s_lshl_b64 s[0:1], s[28:29], 2
	v_mul_hi_u32 v3, v2, v3
	s_add_u32 s0, s26, s0
	v_add_u32_e32 v18, v2, v3
	s_addc_u32 s1, s27, s1
	v_mov_b32_e32 v2, 0x90
	v_lshl_add_u64 v[14:15], s[0:1], 0, v[10:11]
	v_lshl_add_u32 v19, v1, 5, v2
	s_movk_i32 s26, 0x7fff
	v_mov_b32_e32 v10, 0
	s_branch .LBB109_48
.LBB109_46:                             ;   in Loop: Header=BB109_48 Depth=1
	s_or_b64 exec, exec, s[10:11]
	v_and_b32_e32 v6, 0xffff0000, v8
	v_and_b32_e32 v9, 0xffff0000, v20
	;; [unrolled: 1-line block ×8, first 2 shown]
	v_pk_add_f32 v[2:3], v[2:3], v[8:9]
	v_pk_add_f32 v[4:5], v[4:5], v[6:7]
	v_add_f32_e32 v2, v2, v3
	v_add_f32_e32 v2, v2, v4
	;; [unrolled: 1-line block ×4, first 2 shown]
.LBB109_47:                             ;   in Loop: Header=BB109_48 Depth=1
	s_or_b64 exec, exec, s[0:1]
	v_add_u32_e32 v1, 2, v1
	v_cmp_le_i32_e32 vcc, s16, v1
	v_lshl_add_u64 v[14:15], v[14:15], 0, 8
	v_add_u32_e32 v16, 16, v16
	s_or_b64 s[2:3], vcc, s[2:3]
	v_add_u32_e32 v19, 64, v19
	s_andn2_b64 exec, exec, s[2:3]
	s_cbranch_execz .LBB109_115
.LBB109_48:                             ; =>This Inner Loop Header: Depth=1
	v_mul_hi_u32 v2, v16, s33
	v_mul_lo_u32 v3, v2, s23
	v_sub_u32_e32 v3, v16, v3
	v_add_u32_e32 v4, 1, v2
	v_cmp_le_u32_e32 vcc, s23, v3
	s_nop 1
	v_cndmask_b32_e32 v2, v2, v4, vcc
	v_subrev_u32_e32 v4, s23, v3
	v_cndmask_b32_e32 v3, v3, v4, vcc
	v_add_u32_e32 v4, 1, v2
	v_cmp_le_u32_e32 vcc, s23, v3
	s_nop 1
	v_cndmask_b32_e32 v2, v2, v4, vcc
	v_xor_b32_e32 v2, s19, v2
	v_subrev_u32_e32 v2, s19, v2
	v_add_u32_e32 v3, s42, v2
	v_sub_u32_e32 v5, 0, v3
	v_ashrrev_i32_e32 v4, 31, v3
	v_max_i32_e32 v3, v3, v5
	v_mul_hi_u32 v5, v3, v18
	v_mul_lo_u32 v5, v5, s14
	v_sub_u32_e32 v3, v3, v5
	v_subrev_u32_e32 v5, s14, v3
	v_cmp_le_u32_e32 vcc, s14, v3
	v_cmp_lt_i32_e64 s[0:1], s17, v2
	s_nop 0
	v_cndmask_b32_e32 v3, v3, v5, vcc
	v_subrev_u32_e32 v5, s14, v3
	v_cmp_le_u32_e32 vcc, s14, v3
	s_nop 1
	v_cndmask_b32_e32 v3, v3, v5, vcc
	v_xor_b32_e32 v3, v3, v4
	v_sub_u32_e32 v3, v3, v4
	v_cmp_eq_u32_e32 vcc, 0, v3
	s_or_b64 s[10:11], vcc, s[0:1]
	s_and_saveexec_b64 s[0:1], s[10:11]
	s_cbranch_execz .LBB109_47
; %bb.49:                               ;   in Loop: Header=BB109_48 Depth=1
	global_load_dword v24, v[14:15], off
	ds_read2_b64 v[6:9], v19 offset1:1
	ds_read2_b64 v[2:5], v19 offset0:2 offset1:3
                                        ; implicit-def: $vgpr23
	s_waitcnt lgkmcnt(1)
	v_and_b32_e32 v20, 0x7f800000, v6
	v_cmp_ne_u32_e32 vcc, s18, v20
	s_and_saveexec_b64 s[10:11], vcc
	s_xor_b64 s[10:11], exec, s[10:11]
; %bb.50:                               ;   in Loop: Header=BB109_48 Depth=1
	v_bfe_u32 v20, v6, 16, 1
	v_add3_u32 v23, v6, v20, s26
; %bb.51:                               ;   in Loop: Header=BB109_48 Depth=1
	s_andn2_saveexec_b64 s[10:11], s[10:11]
; %bb.52:                               ;   in Loop: Header=BB109_48 Depth=1
	v_or_b32_e32 v20, 0x10000, v6
	v_cmp_eq_u32_sdwa vcc, v6, v11 src0_sel:WORD_0 src1_sel:DWORD
	s_nop 1
	v_cndmask_b32_e32 v23, v20, v6, vcc
; %bb.53:                               ;   in Loop: Header=BB109_48 Depth=1
	s_or_b64 exec, exec, s[10:11]
	v_and_b32_e32 v6, 0x7f800000, v7
	v_cmp_ne_u32_e32 vcc, s18, v6
                                        ; implicit-def: $vgpr22
	s_and_saveexec_b64 s[10:11], vcc
	s_xor_b64 s[10:11], exec, s[10:11]
; %bb.54:                               ;   in Loop: Header=BB109_48 Depth=1
	v_bfe_u32 v6, v7, 16, 1
	v_add3_u32 v22, v7, v6, s26
; %bb.55:                               ;   in Loop: Header=BB109_48 Depth=1
	s_andn2_saveexec_b64 s[10:11], s[10:11]
; %bb.56:                               ;   in Loop: Header=BB109_48 Depth=1
	v_or_b32_e32 v6, 0x10000, v7
	v_cmp_eq_u32_sdwa vcc, v7, v11 src0_sel:WORD_0 src1_sel:DWORD
	s_nop 1
	v_cndmask_b32_e32 v22, v6, v7, vcc
; %bb.57:                               ;   in Loop: Header=BB109_48 Depth=1
	s_or_b64 exec, exec, s[10:11]
	v_and_b32_e32 v6, 0x7f800000, v8
	v_cmp_ne_u32_e32 vcc, s18, v6
                                        ; implicit-def: $vgpr21
	s_and_saveexec_b64 s[10:11], vcc
	s_xor_b64 s[10:11], exec, s[10:11]
; %bb.58:                               ;   in Loop: Header=BB109_48 Depth=1
	v_bfe_u32 v6, v8, 16, 1
	v_add3_u32 v21, v8, v6, s26
; %bb.59:                               ;   in Loop: Header=BB109_48 Depth=1
	s_andn2_saveexec_b64 s[10:11], s[10:11]
; %bb.60:                               ;   in Loop: Header=BB109_48 Depth=1
	v_or_b32_e32 v6, 0x10000, v8
	v_cmp_eq_u32_sdwa vcc, v8, v11 src0_sel:WORD_0 src1_sel:DWORD
	s_nop 1
	v_cndmask_b32_e32 v21, v6, v8, vcc
; %bb.61:                               ;   in Loop: Header=BB109_48 Depth=1
	s_or_b64 exec, exec, s[10:11]
	v_and_b32_e32 v6, 0x7f800000, v9
	v_cmp_ne_u32_e32 vcc, s18, v6
                                        ; implicit-def: $vgpr20
	s_and_saveexec_b64 s[10:11], vcc
	s_xor_b64 s[10:11], exec, s[10:11]
; %bb.62:                               ;   in Loop: Header=BB109_48 Depth=1
	v_bfe_u32 v6, v9, 16, 1
	v_add3_u32 v20, v9, v6, s26
                                        ; implicit-def: $vgpr6_vgpr7_vgpr8_vgpr9
; %bb.63:                               ;   in Loop: Header=BB109_48 Depth=1
	s_andn2_saveexec_b64 s[10:11], s[10:11]
; %bb.64:                               ;   in Loop: Header=BB109_48 Depth=1
	v_or_b32_e32 v6, 0x10000, v9
	v_cmp_eq_u32_sdwa vcc, v9, v11 src0_sel:WORD_0 src1_sel:DWORD
	s_nop 1
	v_cndmask_b32_e32 v20, v6, v9, vcc
; %bb.65:                               ;   in Loop: Header=BB109_48 Depth=1
	s_or_b64 exec, exec, s[10:11]
	s_waitcnt lgkmcnt(0)
	v_and_b32_e32 v6, 0x7f800000, v2
	v_cmp_ne_u32_e32 vcc, s18, v6
                                        ; implicit-def: $vgpr9
	s_and_saveexec_b64 s[10:11], vcc
	s_xor_b64 s[10:11], exec, s[10:11]
; %bb.66:                               ;   in Loop: Header=BB109_48 Depth=1
	v_bfe_u32 v6, v2, 16, 1
	v_add3_u32 v9, v2, v6, s26
; %bb.67:                               ;   in Loop: Header=BB109_48 Depth=1
	s_andn2_saveexec_b64 s[10:11], s[10:11]
; %bb.68:                               ;   in Loop: Header=BB109_48 Depth=1
	v_or_b32_e32 v6, 0x10000, v2
	v_cmp_eq_u32_sdwa vcc, v2, v11 src0_sel:WORD_0 src1_sel:DWORD
	s_nop 1
	v_cndmask_b32_e32 v9, v6, v2, vcc
; %bb.69:                               ;   in Loop: Header=BB109_48 Depth=1
	s_or_b64 exec, exec, s[10:11]
	v_and_b32_e32 v2, 0x7f800000, v3
	v_cmp_ne_u32_e32 vcc, s18, v2
                                        ; implicit-def: $vgpr8
	s_and_saveexec_b64 s[10:11], vcc
	s_xor_b64 s[10:11], exec, s[10:11]
; %bb.70:                               ;   in Loop: Header=BB109_48 Depth=1
	v_bfe_u32 v2, v3, 16, 1
	v_add3_u32 v8, v3, v2, s26
; %bb.71:                               ;   in Loop: Header=BB109_48 Depth=1
	s_andn2_saveexec_b64 s[10:11], s[10:11]
; %bb.72:                               ;   in Loop: Header=BB109_48 Depth=1
	v_or_b32_e32 v2, 0x10000, v3
	v_cmp_eq_u32_sdwa vcc, v3, v11 src0_sel:WORD_0 src1_sel:DWORD
	s_nop 1
	v_cndmask_b32_e32 v8, v2, v3, vcc
; %bb.73:                               ;   in Loop: Header=BB109_48 Depth=1
	s_or_b64 exec, exec, s[10:11]
	v_and_b32_e32 v2, 0x7f800000, v4
	v_cmp_ne_u32_e32 vcc, s18, v2
                                        ; implicit-def: $vgpr7
	s_and_saveexec_b64 s[10:11], vcc
	s_xor_b64 s[10:11], exec, s[10:11]
; %bb.74:                               ;   in Loop: Header=BB109_48 Depth=1
	v_bfe_u32 v2, v4, 16, 1
	v_add3_u32 v7, v4, v2, s26
; %bb.75:                               ;   in Loop: Header=BB109_48 Depth=1
	s_andn2_saveexec_b64 s[10:11], s[10:11]
; %bb.76:                               ;   in Loop: Header=BB109_48 Depth=1
	v_or_b32_e32 v2, 0x10000, v4
	v_cmp_eq_u32_sdwa vcc, v4, v11 src0_sel:WORD_0 src1_sel:DWORD
	s_nop 1
	v_cndmask_b32_e32 v7, v2, v4, vcc
; %bb.77:                               ;   in Loop: Header=BB109_48 Depth=1
	s_or_b64 exec, exec, s[10:11]
	v_and_b32_e32 v2, 0x7f800000, v5
	v_cmp_ne_u32_e32 vcc, s18, v2
                                        ; implicit-def: $vgpr6
	s_and_saveexec_b64 s[10:11], vcc
	s_xor_b64 s[10:11], exec, s[10:11]
; %bb.78:                               ;   in Loop: Header=BB109_48 Depth=1
	v_bfe_u32 v2, v5, 16, 1
	v_add3_u32 v6, v5, v2, s26
                                        ; implicit-def: $vgpr2_vgpr3_vgpr4_vgpr5
; %bb.79:                               ;   in Loop: Header=BB109_48 Depth=1
	s_andn2_saveexec_b64 s[10:11], s[10:11]
; %bb.80:                               ;   in Loop: Header=BB109_48 Depth=1
	v_or_b32_e32 v2, 0x10000, v5
	v_cmp_eq_u32_sdwa vcc, v5, v11 src0_sel:WORD_0 src1_sel:DWORD
	s_nop 1
	v_cndmask_b32_e32 v6, v2, v5, vcc
; %bb.81:                               ;   in Loop: Header=BB109_48 Depth=1
	s_or_b64 exec, exec, s[10:11]
	s_waitcnt vmcnt(0)
	v_mad_i64_i32 v[2:3], s[10:11], v24, s13, 0
	v_lshl_add_u64 v[2:3], v[2:3], 1, v[12:13]
	global_load_dwordx4 v[2:5], v[2:3], off
	v_cmp_eq_u32_e32 vcc, s15, v1
	s_waitcnt vmcnt(0)
	v_lshrrev_b32_e32 v27, 16, v2
	v_lshrrev_b32_e32 v26, 16, v3
	;; [unrolled: 1-line block ×4, first 2 shown]
	s_and_saveexec_b64 s[10:11], vcc
	s_cbranch_execz .LBB109_83
; %bb.82:                               ;   in Loop: Header=BB109_48 Depth=1
	v_cmp_gt_i32_e32 vcc, s21, v16
	v_add_u32_e32 v28, 1, v16
	s_nop 0
	v_cndmask_b32_e32 v2, 0, v2, vcc
	v_cmp_gt_i32_e32 vcc, s21, v28
	v_add_u32_e32 v28, 2, v16
	s_nop 0
	v_cndmask_b32_e32 v27, 0, v27, vcc
	;; [unrolled: 4-line block ×7, first 2 shown]
	v_cmp_gt_i32_e32 vcc, s21, v28
	s_nop 1
	v_cndmask_b32_e32 v24, 0, v24, vcc
.LBB109_83:                             ;   in Loop: Header=BB109_48 Depth=1
	s_or_b64 exec, exec, s[10:11]
	v_and_b32_e32 v23, 0xffff0000, v23
	v_lshlrev_b32_e32 v2, 16, v2
	v_mul_f32_e32 v23, v23, v2
	v_and_b32_e32 v2, 0x7f800000, v23
	v_cmp_ne_u32_e32 vcc, s18, v2
                                        ; implicit-def: $vgpr2
	s_and_saveexec_b64 s[10:11], vcc
	s_xor_b64 s[10:11], exec, s[10:11]
; %bb.84:                               ;   in Loop: Header=BB109_48 Depth=1
	v_bfe_u32 v2, v23, 16, 1
	v_add3_u32 v2, v23, v2, s26
                                        ; implicit-def: $vgpr23
; %bb.85:                               ;   in Loop: Header=BB109_48 Depth=1
	s_andn2_saveexec_b64 s[10:11], s[10:11]
; %bb.86:                               ;   in Loop: Header=BB109_48 Depth=1
	v_or_b32_e32 v2, 0x10000, v23
	v_cmp_eq_u32_sdwa vcc, v23, v11 src0_sel:WORD_0 src1_sel:DWORD
	s_nop 1
	v_cndmask_b32_e32 v2, v2, v23, vcc
; %bb.87:                               ;   in Loop: Header=BB109_48 Depth=1
	s_or_b64 exec, exec, s[10:11]
	v_and_b32_e32 v22, 0xffff0000, v22
	v_lshlrev_b32_e32 v23, 16, v27
	v_mul_f32_e32 v23, v22, v23
	v_and_b32_e32 v22, 0x7f800000, v23
	v_cmp_ne_u32_e32 vcc, s18, v22
                                        ; implicit-def: $vgpr22
	s_and_saveexec_b64 s[10:11], vcc
	s_xor_b64 s[10:11], exec, s[10:11]
; %bb.88:                               ;   in Loop: Header=BB109_48 Depth=1
	v_bfe_u32 v22, v23, 16, 1
	v_add3_u32 v22, v23, v22, s26
                                        ; implicit-def: $vgpr23
; %bb.89:                               ;   in Loop: Header=BB109_48 Depth=1
	s_andn2_saveexec_b64 s[10:11], s[10:11]
; %bb.90:                               ;   in Loop: Header=BB109_48 Depth=1
	v_or_b32_e32 v22, 0x10000, v23
	v_cmp_eq_u32_sdwa vcc, v23, v11 src0_sel:WORD_0 src1_sel:DWORD
	s_nop 1
	v_cndmask_b32_e32 v22, v22, v23, vcc
; %bb.91:                               ;   in Loop: Header=BB109_48 Depth=1
	s_or_b64 exec, exec, s[10:11]
	v_and_b32_e32 v21, 0xffff0000, v21
	v_lshlrev_b32_e32 v3, 16, v3
	v_mul_f32_e32 v21, v21, v3
	v_and_b32_e32 v3, 0x7f800000, v21
	v_cmp_ne_u32_e32 vcc, s18, v3
                                        ; implicit-def: $vgpr3
	s_and_saveexec_b64 s[10:11], vcc
	s_xor_b64 s[10:11], exec, s[10:11]
; %bb.92:                               ;   in Loop: Header=BB109_48 Depth=1
	v_bfe_u32 v3, v21, 16, 1
	v_add3_u32 v3, v21, v3, s26
                                        ; implicit-def: $vgpr21
; %bb.93:                               ;   in Loop: Header=BB109_48 Depth=1
	s_andn2_saveexec_b64 s[10:11], s[10:11]
; %bb.94:                               ;   in Loop: Header=BB109_48 Depth=1
	v_or_b32_e32 v3, 0x10000, v21
	v_cmp_eq_u32_sdwa vcc, v21, v11 src0_sel:WORD_0 src1_sel:DWORD
	s_nop 1
	v_cndmask_b32_e32 v3, v3, v21, vcc
; %bb.95:                               ;   in Loop: Header=BB109_48 Depth=1
	s_or_b64 exec, exec, s[10:11]
	v_and_b32_e32 v20, 0xffff0000, v20
	v_lshlrev_b32_e32 v21, 16, v26
	v_mul_f32_e32 v21, v20, v21
	v_and_b32_e32 v20, 0x7f800000, v21
	v_cmp_ne_u32_e32 vcc, s18, v20
                                        ; implicit-def: $vgpr20
	s_and_saveexec_b64 s[10:11], vcc
	s_xor_b64 s[10:11], exec, s[10:11]
; %bb.96:                               ;   in Loop: Header=BB109_48 Depth=1
	v_bfe_u32 v20, v21, 16, 1
	v_add3_u32 v20, v21, v20, s26
                                        ; implicit-def: $vgpr21
; %bb.97:                               ;   in Loop: Header=BB109_48 Depth=1
	s_andn2_saveexec_b64 s[10:11], s[10:11]
; %bb.98:                               ;   in Loop: Header=BB109_48 Depth=1
	v_or_b32_e32 v20, 0x10000, v21
	v_cmp_eq_u32_sdwa vcc, v21, v11 src0_sel:WORD_0 src1_sel:DWORD
	s_nop 1
	v_cndmask_b32_e32 v20, v20, v21, vcc
; %bb.99:                               ;   in Loop: Header=BB109_48 Depth=1
	s_or_b64 exec, exec, s[10:11]
	v_and_b32_e32 v9, 0xffff0000, v9
	v_lshlrev_b32_e32 v4, 16, v4
	v_mul_f32_e32 v9, v9, v4
	v_and_b32_e32 v4, 0x7f800000, v9
	v_cmp_ne_u32_e32 vcc, s18, v4
                                        ; implicit-def: $vgpr4
	s_and_saveexec_b64 s[10:11], vcc
	s_xor_b64 s[10:11], exec, s[10:11]
; %bb.100:                              ;   in Loop: Header=BB109_48 Depth=1
	v_bfe_u32 v4, v9, 16, 1
	v_add3_u32 v4, v9, v4, s26
                                        ; implicit-def: $vgpr9
; %bb.101:                              ;   in Loop: Header=BB109_48 Depth=1
	s_andn2_saveexec_b64 s[10:11], s[10:11]
; %bb.102:                              ;   in Loop: Header=BB109_48 Depth=1
	v_or_b32_e32 v4, 0x10000, v9
	v_cmp_eq_u32_sdwa vcc, v9, v11 src0_sel:WORD_0 src1_sel:DWORD
	s_nop 1
	v_cndmask_b32_e32 v4, v4, v9, vcc
; %bb.103:                              ;   in Loop: Header=BB109_48 Depth=1
	s_or_b64 exec, exec, s[10:11]
	v_and_b32_e32 v8, 0xffff0000, v8
	v_lshlrev_b32_e32 v9, 16, v25
	v_mul_f32_e32 v9, v8, v9
	v_and_b32_e32 v8, 0x7f800000, v9
	v_cmp_ne_u32_e32 vcc, s18, v8
                                        ; implicit-def: $vgpr8
	s_and_saveexec_b64 s[10:11], vcc
	s_xor_b64 s[10:11], exec, s[10:11]
; %bb.104:                              ;   in Loop: Header=BB109_48 Depth=1
	v_bfe_u32 v8, v9, 16, 1
	v_add3_u32 v8, v9, v8, s26
                                        ; implicit-def: $vgpr9
; %bb.105:                              ;   in Loop: Header=BB109_48 Depth=1
	s_andn2_saveexec_b64 s[10:11], s[10:11]
; %bb.106:                              ;   in Loop: Header=BB109_48 Depth=1
	v_or_b32_e32 v8, 0x10000, v9
	v_cmp_eq_u32_sdwa vcc, v9, v11 src0_sel:WORD_0 src1_sel:DWORD
	s_nop 1
	v_cndmask_b32_e32 v8, v8, v9, vcc
; %bb.107:                              ;   in Loop: Header=BB109_48 Depth=1
	s_or_b64 exec, exec, s[10:11]
	v_and_b32_e32 v7, 0xffff0000, v7
	v_lshlrev_b32_e32 v5, 16, v5
	v_mul_f32_e32 v7, v7, v5
	v_and_b32_e32 v5, 0x7f800000, v7
	v_cmp_ne_u32_e32 vcc, s18, v5
                                        ; implicit-def: $vgpr5
	s_and_saveexec_b64 s[10:11], vcc
	s_xor_b64 s[10:11], exec, s[10:11]
; %bb.108:                              ;   in Loop: Header=BB109_48 Depth=1
	v_bfe_u32 v5, v7, 16, 1
	v_add3_u32 v5, v7, v5, s26
                                        ; implicit-def: $vgpr7
; %bb.109:                              ;   in Loop: Header=BB109_48 Depth=1
	s_andn2_saveexec_b64 s[10:11], s[10:11]
; %bb.110:                              ;   in Loop: Header=BB109_48 Depth=1
	v_or_b32_e32 v5, 0x10000, v7
	v_cmp_eq_u32_sdwa vcc, v7, v11 src0_sel:WORD_0 src1_sel:DWORD
	s_nop 1
	v_cndmask_b32_e32 v5, v5, v7, vcc
; %bb.111:                              ;   in Loop: Header=BB109_48 Depth=1
	s_or_b64 exec, exec, s[10:11]
	v_and_b32_e32 v6, 0xffff0000, v6
	v_lshlrev_b32_e32 v7, 16, v24
	v_mul_f32_e32 v6, v6, v7
	v_and_b32_e32 v7, 0x7f800000, v6
	v_cmp_ne_u32_e32 vcc, s18, v7
                                        ; implicit-def: $vgpr7
	s_and_saveexec_b64 s[10:11], vcc
	s_xor_b64 s[10:11], exec, s[10:11]
; %bb.112:                              ;   in Loop: Header=BB109_48 Depth=1
	v_bfe_u32 v7, v6, 16, 1
	v_add3_u32 v7, v6, v7, s26
                                        ; implicit-def: $vgpr6
; %bb.113:                              ;   in Loop: Header=BB109_48 Depth=1
	s_andn2_saveexec_b64 s[10:11], s[10:11]
	s_cbranch_execz .LBB109_46
; %bb.114:                              ;   in Loop: Header=BB109_48 Depth=1
	v_or_b32_e32 v7, 0x10000, v6
	v_cmp_eq_u32_sdwa vcc, v6, v11 src0_sel:WORD_0 src1_sel:DWORD
	s_nop 1
	v_cndmask_b32_e32 v7, v7, v6, vcc
	s_branch .LBB109_46
.LBB109_115:
	s_or_b64 exec, exec, s[2:3]
.LBB109_116:
	s_or_b64 exec, exec, s[6:7]
	v_and_b32_e32 v0, 0x3c0, v0
	v_cmp_eq_u32_e32 vcc, 64, v0
	s_barrier
	s_and_saveexec_b64 s[0:1], vcc
	s_cbranch_execz .LBB109_118
; %bb.117:
	v_mov_b32_e32 v0, 0x90
	v_lshl_add_u32 v0, v17, 2, v0
	ds_write_b32 v0, v10
.LBB109_118:
	s_or_b64 exec, exec, s[0:1]
	s_waitcnt lgkmcnt(0)
	s_barrier
	s_and_saveexec_b64 s[0:1], s[8:9]
	s_cbranch_execz .LBB109_120
; %bb.119:
	v_mov_b32_e32 v0, 0x90
	v_lshl_add_u32 v0, v17, 2, v0
	ds_read_b32 v0, v0
	s_waitcnt lgkmcnt(0)
	v_add_f32_e32 v10, v10, v0
.LBB109_120:
	s_or_b64 exec, exec, s[0:1]
	s_barrier
	s_and_saveexec_b64 s[0:1], s[8:9]
	s_cbranch_execz .LBB109_126
; %bb.121:
	s_mov_b32 s0, 0x7f800000
	v_and_b32_e32 v0, 0x7f800000, v10
	v_cmp_ne_u32_e32 vcc, s0, v0
                                        ; implicit-def: $vgpr0
	s_and_saveexec_b64 s[0:1], vcc
	s_xor_b64 s[0:1], exec, s[0:1]
; %bb.122:
	v_bfe_u32 v0, v10, 16, 1
	s_movk_i32 s2, 0x7fff
	v_add3_u32 v0, v10, v0, s2
                                        ; implicit-def: $vgpr10
; %bb.123:
	s_andn2_saveexec_b64 s[0:1], s[0:1]
; %bb.124:
	v_mov_b32_e32 v0, 0
	v_or_b32_e32 v1, 0x10000, v10
	v_cmp_eq_u32_sdwa vcc, v10, v0 src0_sel:WORD_0 src1_sel:DWORD
	s_nop 1
	v_cndmask_b32_e32 v0, v1, v10, vcc
; %bb.125:
	s_or_b64 exec, exec, s[0:1]
	s_mul_i32 s0, s20, s12
	s_mul_i32 s0, s0, s5
	s_lshl_b32 s0, s0, 6
	s_ashr_i32 s1, s0, 31
	s_lshl_b64 s[0:1], s[0:1], 1
	s_add_u32 s2, s24, s0
	s_mul_i32 s0, s12, s22
	s_addc_u32 s3, s25, s1
	s_ashr_i32 s1, s0, 31
	s_lshl_b64 s[0:1], s[0:1], 1
	s_add_u32 s2, s2, s0
	s_addc_u32 s3, s3, s1
	s_lshl_b32 s0, s4, 6
	s_ashr_i32 s1, s0, 31
	s_lshl_b64 s[0:1], s[0:1], 1
	s_add_u32 s0, s2, s0
	s_addc_u32 s1, s3, s1
	v_lshlrev_b32_e32 v1, 1, v17
	global_store_short_d16_hi v1, v0, s[0:1]
.LBB109_126:
	s_endpgm
	.section	.rodata,"a",@progbits
	.p2align	6, 0x0
	.amdhsa_kernel _ZN4vllm25paged_attention_v1_kernelI14__hip_bfloat16S1_Li64ELi8ELi128ELNS_18Fp8KVCacheDataTypeE0ELb1EEEvPT_PKS3_PKT0_S9_ifPKiSB_iPKfiiiSD_SD_iiiii
		.amdhsa_group_segment_fixed_size 144
		.amdhsa_private_segment_fixed_size 0
		.amdhsa_kernarg_size 384
		.amdhsa_user_sgpr_count 2
		.amdhsa_user_sgpr_dispatch_ptr 0
		.amdhsa_user_sgpr_queue_ptr 0
		.amdhsa_user_sgpr_kernarg_segment_ptr 1
		.amdhsa_user_sgpr_dispatch_id 0
		.amdhsa_user_sgpr_kernarg_preload_length 0
		.amdhsa_user_sgpr_kernarg_preload_offset 0
		.amdhsa_user_sgpr_private_segment_size 0
		.amdhsa_uses_dynamic_stack 0
		.amdhsa_enable_private_segment 0
		.amdhsa_system_sgpr_workgroup_id_x 1
		.amdhsa_system_sgpr_workgroup_id_y 1
		.amdhsa_system_sgpr_workgroup_id_z 1
		.amdhsa_system_sgpr_workgroup_info 0
		.amdhsa_system_vgpr_workitem_id 0
		.amdhsa_next_free_vgpr 40
		.amdhsa_next_free_sgpr 46
		.amdhsa_accum_offset 40
		.amdhsa_reserve_vcc 1
		.amdhsa_float_round_mode_32 0
		.amdhsa_float_round_mode_16_64 0
		.amdhsa_float_denorm_mode_32 3
		.amdhsa_float_denorm_mode_16_64 3
		.amdhsa_dx10_clamp 1
		.amdhsa_ieee_mode 1
		.amdhsa_fp16_overflow 0
		.amdhsa_tg_split 0
		.amdhsa_exception_fp_ieee_invalid_op 0
		.amdhsa_exception_fp_denorm_src 0
		.amdhsa_exception_fp_ieee_div_zero 0
		.amdhsa_exception_fp_ieee_overflow 0
		.amdhsa_exception_fp_ieee_underflow 0
		.amdhsa_exception_fp_ieee_inexact 0
		.amdhsa_exception_int_div_zero 0
	.end_amdhsa_kernel
	.section	.text._ZN4vllm25paged_attention_v1_kernelI14__hip_bfloat16S1_Li64ELi8ELi128ELNS_18Fp8KVCacheDataTypeE0ELb1EEEvPT_PKS3_PKT0_S9_ifPKiSB_iPKfiiiSD_SD_iiiii,"axG",@progbits,_ZN4vllm25paged_attention_v1_kernelI14__hip_bfloat16S1_Li64ELi8ELi128ELNS_18Fp8KVCacheDataTypeE0ELb1EEEvPT_PKS3_PKT0_S9_ifPKiSB_iPKfiiiSD_SD_iiiii,comdat
.Lfunc_end109:
	.size	_ZN4vllm25paged_attention_v1_kernelI14__hip_bfloat16S1_Li64ELi8ELi128ELNS_18Fp8KVCacheDataTypeE0ELb1EEEvPT_PKS3_PKT0_S9_ifPKiSB_iPKfiiiSD_SD_iiiii, .Lfunc_end109-_ZN4vllm25paged_attention_v1_kernelI14__hip_bfloat16S1_Li64ELi8ELi128ELNS_18Fp8KVCacheDataTypeE0ELb1EEEvPT_PKS3_PKT0_S9_ifPKiSB_iPKfiiiSD_SD_iiiii
                                        ; -- End function
	.section	.AMDGPU.csdata,"",@progbits
; Kernel info:
; codeLenInByte = 5304
; NumSgprs: 52
; NumVgprs: 40
; NumAgprs: 0
; TotalNumVgprs: 40
; ScratchSize: 0
; MemoryBound: 0
; FloatMode: 240
; IeeeMode: 1
; LDSByteSize: 144 bytes/workgroup (compile time only)
; SGPRBlocks: 6
; VGPRBlocks: 4
; NumSGPRsForWavesPerEU: 52
; NumVGPRsForWavesPerEU: 40
; AccumOffset: 40
; Occupancy: 8
; WaveLimiterHint : 1
; COMPUTE_PGM_RSRC2:SCRATCH_EN: 0
; COMPUTE_PGM_RSRC2:USER_SGPR: 2
; COMPUTE_PGM_RSRC2:TRAP_HANDLER: 0
; COMPUTE_PGM_RSRC2:TGID_X_EN: 1
; COMPUTE_PGM_RSRC2:TGID_Y_EN: 1
; COMPUTE_PGM_RSRC2:TGID_Z_EN: 1
; COMPUTE_PGM_RSRC2:TIDIG_COMP_CNT: 0
; COMPUTE_PGM_RSRC3_GFX90A:ACCUM_OFFSET: 9
; COMPUTE_PGM_RSRC3_GFX90A:TG_SPLIT: 0
	.section	.text._ZN4vllm25paged_attention_v1_kernelI14__hip_bfloat16S1_Li80ELi8ELi128ELNS_18Fp8KVCacheDataTypeE0ELb1EEEvPT_PKS3_PKT0_S9_ifPKiSB_iPKfiiiSD_SD_iiiii,"axG",@progbits,_ZN4vllm25paged_attention_v1_kernelI14__hip_bfloat16S1_Li80ELi8ELi128ELNS_18Fp8KVCacheDataTypeE0ELb1EEEvPT_PKS3_PKT0_S9_ifPKiSB_iPKfiiiSD_SD_iiiii,comdat
	.protected	_ZN4vllm25paged_attention_v1_kernelI14__hip_bfloat16S1_Li80ELi8ELi128ELNS_18Fp8KVCacheDataTypeE0ELb1EEEvPT_PKS3_PKT0_S9_ifPKiSB_iPKfiiiSD_SD_iiiii ; -- Begin function _ZN4vllm25paged_attention_v1_kernelI14__hip_bfloat16S1_Li80ELi8ELi128ELNS_18Fp8KVCacheDataTypeE0ELb1EEEvPT_PKS3_PKT0_S9_ifPKiSB_iPKfiiiSD_SD_iiiii
	.globl	_ZN4vllm25paged_attention_v1_kernelI14__hip_bfloat16S1_Li80ELi8ELi128ELNS_18Fp8KVCacheDataTypeE0ELb1EEEvPT_PKS3_PKT0_S9_ifPKiSB_iPKfiiiSD_SD_iiiii
	.p2align	8
	.type	_ZN4vllm25paged_attention_v1_kernelI14__hip_bfloat16S1_Li80ELi8ELi128ELNS_18Fp8KVCacheDataTypeE0ELb1EEEvPT_PKS3_PKT0_S9_ifPKiSB_iPKfiiiSD_SD_iiiii,@function
_ZN4vllm25paged_attention_v1_kernelI14__hip_bfloat16S1_Li80ELi8ELi128ELNS_18Fp8KVCacheDataTypeE0ELb1EEEvPT_PKS3_PKT0_S9_ifPKiSB_iPKfiiiSD_SD_iiiii: ; @_ZN4vllm25paged_attention_v1_kernelI14__hip_bfloat16S1_Li80ELi8ELi128ELNS_18Fp8KVCacheDataTypeE0ELb1EEEvPT_PKS3_PKT0_S9_ifPKiSB_iPKfiiiSD_SD_iiiii
; %bb.0:
	s_load_dword s5, s[0:1], 0x80
	s_load_dwordx2 s[6:7], s[0:1], 0x30
	s_load_dwordx2 s[34:35], s[0:1], 0x20
	s_mov_b32 s20, s3
	s_ashr_i32 s21, s3, 31
	s_lshl_b64 s[8:9], s[20:21], 2
	s_waitcnt lgkmcnt(0)
	s_add_u32 s6, s6, s8
	s_addc_u32 s7, s7, s9
	s_abs_i32 s3, s34
	v_cvt_f32_u32_e32 v1, s3
	s_sub_i32 s10, 0, s3
	s_abs_i32 s9, s5
	s_xor_b32 s8, s5, s34
	v_rcp_iflag_f32_e32 v1, v1
	s_ashr_i32 s8, s8, 31
	s_mov_b32 s46, 0
	v_mul_f32_e32 v1, 0x4f7ffffe, v1
	v_cvt_u32_f32_e32 v1, v1
	s_nop 0
	v_readfirstlane_b32 s11, v1
	s_mul_i32 s10, s10, s11
	s_mul_hi_u32 s10, s11, s10
	s_add_i32 s11, s11, s10
	s_mul_hi_u32 s10, s9, s11
	s_mul_i32 s11, s10, s3
	s_sub_i32 s9, s9, s11
	s_add_i32 s11, s10, 1
	s_sub_i32 s12, s9, s3
	s_cmp_ge_u32 s9, s3
	s_cselect_b32 s10, s11, s10
	s_cselect_b32 s9, s12, s9
	s_add_i32 s11, s10, 1
	s_cmp_ge_u32 s9, s3
	s_cselect_b32 s3, s11, s10
	s_xor_b32 s3, s3, s8
	s_sub_i32 s12, s3, s8
	s_abs_i32 s10, s12
	v_cvt_f32_u32_e32 v1, s10
	s_load_dwordx2 s[8:9], s[0:1], 0x40
	s_sub_i32 s3, 0, s10
	s_abs_i32 s11, s2
	v_rcp_iflag_f32_e32 v1, v1
	s_nop 0
	v_mul_f32_e32 v1, 0x4f7ffffe, v1
	v_cvt_u32_f32_e32 v1, v1
	s_nop 0
	v_readfirstlane_b32 s13, v1
	s_mul_i32 s3, s3, s13
	s_mul_hi_u32 s3, s13, s3
	s_add_i32 s13, s13, s3
	s_waitcnt lgkmcnt(0)
	s_cmp_eq_u64 s[8:9], 0
	s_mul_hi_u32 s21, s11, s13
	s_cbranch_scc1 .LBB110_2
; %bb.1:
	s_ashr_i32 s3, s2, 31
	s_lshl_b64 s[14:15], s[2:3], 2
	s_add_u32 s8, s8, s14
	s_addc_u32 s9, s9, s15
	s_load_dword s46, s[8:9], 0x0
.LBB110_2:
	s_load_dword s33, s[6:7], 0x0
	s_ashr_i32 s25, s12, 31
	s_load_dwordx4 s[12:15], s[0:1], 0x48
	s_movk_i32 s3, 0x50
	s_ashr_i32 s24, s2, 31
	v_and_b32_e32 v4, 7, v0
	s_mul_i32 s22, s2, 0x50
	v_cmp_gt_u32_e64 s[6:7], s3, v0
	v_lshlrev_b32_e32 v10, 1, v0
	s_and_saveexec_b64 s[8:9], s[6:7]
	s_cbranch_execz .LBB110_4
; %bb.3:
	s_load_dwordx2 s[16:17], s[0:1], 0x8
	s_waitcnt lgkmcnt(0)
	s_mul_i32 s18, s20, s12
	s_ashr_i32 s19, s18, 31
	s_lshl_b64 s[18:19], s[18:19], 1
	v_lshrrev_b32_e32 v2, 2, v0
	s_add_u32 s3, s16, s18
	s_addc_u32 s12, s17, s19
	s_ashr_i32 s23, s22, 31
	s_lshl_b64 s[16:17], s[22:23], 1
	s_add_u32 s16, s3, s16
	s_addc_u32 s17, s12, s17
	global_load_ushort v1, v10, s[16:17]
	v_and_b32_e32 v2, 0xfe, v2
	v_mad_u32_u24 v2, v4, 20, v2
	s_waitcnt vmcnt(0)
	ds_write_b16 v2, v1
.LBB110_4:
	s_or_b64 exec, exec, s[8:9]
	s_mul_i32 s9, s21, s10
	s_sub_i32 s9, s11, s9
	s_xor_b32 s8, s24, s25
	s_add_i32 s11, s21, 1
	s_waitcnt lgkmcnt(0)
	s_sub_i32 s12, s9, s10
	s_load_dwordx4 s[16:19], s[0:1], 0x68
	s_load_dword s3, s[0:1], 0x78
	s_cmp_ge_u32 s9, s10
	s_cselect_b32 s11, s11, s21
	s_cselect_b32 s9, s12, s9
	s_add_i32 s12, s11, 1
	s_cmp_ge_u32 s9, s10
	s_cselect_b32 s9, s12, s11
	s_waitcnt lgkmcnt(0)
	s_abs_i32 s23, s19
	v_cvt_f32_u32_e32 v1, s23
	s_xor_b32 s9, s9, s8
	s_sub_i32 s10, s9, s8
	s_sub_i32 s8, 0, s23
	v_rcp_iflag_f32_e32 v1, v1
	s_add_i32 s15, s33, -1
	s_abs_i32 s11, s15
	v_mul_f32_e32 v1, 0x4f7ffffe, v1
	v_cvt_u32_f32_e32 v1, v1
	s_barrier
	v_readfirstlane_b32 s42, v1
	s_mul_i32 s8, s8, s42
	s_mul_hi_u32 s8, s42, s8
	s_add_i32 s42, s42, s8
	s_cmp_lt_i32 s3, 0
	s_mul_hi_u32 s12, s11, s42
	s_cbranch_scc0 .LBB110_6
; %bb.5:
	s_mul_i32 s8, s16, s34
	s_add_i32 s8, s10, s8
	s_mul_i32 s8, s8, s3
	s_sub_i32 s43, 1, s8
	s_mov_b64 s[8:9], 0
	s_branch .LBB110_7
.LBB110_6:
	s_mov_b64 s[8:9], -1
                                        ; implicit-def: $sgpr43
.LBB110_7:
	s_load_dwordx2 s[26:27], s[0:1], 0x28
	s_ashr_i32 s15, s15, 31
	s_andn2_b64 vcc, exec, s[8:9]
	s_ashr_i32 s44, s19, 31
	s_cbranch_vccnz .LBB110_9
; %bb.8:
	s_mul_i32 s8, s5, s16
	s_add_i32 s2, s8, s2
	s_mul_i32 s2, s2, s3
	s_add_i32 s43, s2, 1
.LBB110_9:
	s_load_dword s2, s[0:1], 0x38
	s_load_dwordx2 s[24:25], s[0:1], 0x0
	s_load_dwordx2 s[30:31], s[0:1], 0x18
	s_load_dword s21, s[0:1], 0x88
	s_xor_b32 s3, s15, s44
	s_waitcnt lgkmcnt(0)
	s_mul_i32 s28, s20, s2
	s_mul_i32 s2, s12, s23
	s_sub_i32 s2, s11, s2
	s_ashr_i32 s29, s28, 31
	s_add_i32 s8, s12, 1
	s_sub_i32 s9, s2, s23
	s_cmp_ge_u32 s2, s23
	s_cselect_b32 s8, s8, s12
	s_cselect_b32 s2, s9, s2
	s_add_i32 s9, s8, 1
	s_cmp_ge_u32 s2, s23
	s_cselect_b32 s2, s9, s8
	s_xor_b32 s2, s2, s3
	s_sub_i32 s12, s2, s3
	s_add_i32 s2, s33, 7
	s_ashr_i32 s3, s2, 31
	s_lshr_b32 s3, s3, 29
	s_add_i32 s2, s2, s3
	s_ashr_i32 s45, s2, 3
	v_lshrrev_b32_e32 v1, 6, v0
	v_cmp_gt_i32_e64 s[2:3], s45, v1
	v_mov_b32_e32 v12, 0xff7fffff
	s_mul_i32 s14, s10, s14
	v_lshrrev_b32_e32 v6, 4, v0
	v_lshlrev_b32_e32 v11, 3, v1
	v_mbcnt_lo_u32_b32 v7, -1, 0
	s_and_saveexec_b64 s[36:37], s[2:3]
	s_cbranch_execz .LBB110_19
; %bb.10:
	s_load_dwordx2 s[0:1], s[0:1], 0x10
	s_ashr_i32 s15, s14, 31
	s_sub_i32 s16, s12, s17
	s_lshl_b64 s[8:9], s[14:15], 1
	v_bfe_u32 v8, v0, 3, 3
	s_waitcnt lgkmcnt(0)
	s_add_u32 s0, s0, s8
	s_addc_u32 s1, s1, s9
	s_abs_i32 s15, s18
	v_cvt_f32_u32_e32 v2, s15
	v_lshlrev_b32_e32 v14, 4, v8
	v_mov_b32_e32 v15, 0
	s_sub_i32 s8, 0, s15
	v_rcp_iflag_f32_e32 v5, v2
	v_cmp_eq_u32_e32 vcc, 0, v4
	v_lshl_add_u64 v[2:3], s[0:1], 0, v[14:15]
	v_lshlrev_b32_e32 v14, 1, v4
	v_mul_f32_e32 v5, 0x4f7ffffe, v5
	v_cvt_u32_f32_e32 v5, v5
	v_mul_u32_u24_e32 v9, 20, v4
	v_lshlrev_b32_e32 v12, 2, v8
	v_lshl_add_u64 v[2:3], v[2:3], 0, v[14:15]
	v_mul_lo_u32 v4, s8, v5
	s_lshl_b64 s[8:9], s[28:29], 2
	s_add_u32 s8, s26, s8
	v_mul_hi_u32 v4, v5, v4
	v_and_b32_e32 v14, 60, v6
	s_addc_u32 s9, s27, s9
	v_lshl_or_b32 v12, v1, 5, v12
	v_add_u32_e32 v13, v5, v4
	v_lshl_add_u64 v[4:5], s[8:9], 0, v[14:15]
	v_add_u32_e32 v15, 0xb0, v12
	v_subrev_u32_e32 v12, s33, v8
	v_mbcnt_hi_u32_b32 v18, -1, v7
	v_add_u32_e32 v16, 1, v12
	v_and_b32_e32 v12, 64, v18
	s_mov_b32 s19, s13
	v_cmp_neq_f32_e64 s[0:1], s46, 0
	v_lshlrev_b32_e32 v14, 3, v1
	s_mov_b64 s[38:39], 0
	v_mov_b32_e32 v17, 0xff7fffff
	v_add_u32_e32 v19, 64, v12
	v_xor_b32_e32 v20, 4, v18
	v_xor_b32_e32 v21, 2, v18
	;; [unrolled: 1-line block ×3, first 2 shown]
	v_mov_b32_e32 v12, 0xff7fffff
	v_mov_b32_e32 v23, v1
	s_branch .LBB110_13
.LBB110_11:                             ;   in Loop: Header=BB110_13 Depth=1
	s_or_b64 exec, exec, s[40:41]
.LBB110_12:                             ;   in Loop: Header=BB110_13 Depth=1
	s_or_b64 exec, exec, s[10:11]
	v_add_u32_e32 v23, 2, v23
	v_cmp_le_i32_e64 s[8:9], s45, v23
	v_lshl_add_u64 v[4:5], v[4:5], 0, 8
	v_add_u32_e32 v14, 16, v14
	s_or_b64 s[38:39], s[8:9], s[38:39]
	v_add_u32_e32 v15, 64, v15
	s_andn2_b64 exec, exec, s[38:39]
	s_cbranch_execz .LBB110_18
.LBB110_13:                             ; =>This Inner Loop Header: Depth=1
	v_mul_hi_u32 v24, v14, s42
	s_waitcnt lgkmcnt(0)
	v_mul_lo_u32 v25, v24, s23
	v_sub_u32_e32 v25, v14, v25
	v_add_u32_e32 v26, 1, v24
	v_cmp_le_u32_e64 s[8:9], s23, v25
	s_nop 1
	v_cndmask_b32_e64 v24, v24, v26, s[8:9]
	v_subrev_u32_e32 v26, s23, v25
	v_cndmask_b32_e64 v25, v25, v26, s[8:9]
	v_add_u32_e32 v26, 1, v24
	v_cmp_le_u32_e64 s[8:9], s23, v25
	s_nop 1
	v_cndmask_b32_e64 v24, v24, v26, s[8:9]
	v_xor_b32_e32 v24, s44, v24
	v_subrev_u32_e32 v24, s44, v24
	v_add_u32_e32 v25, s43, v24
	v_sub_u32_e32 v27, 0, v25
	v_ashrrev_i32_e32 v26, 31, v25
	v_max_i32_e32 v25, v25, v27
	v_mul_hi_u32 v27, v25, v13
	v_mul_lo_u32 v27, v27, s15
	v_sub_u32_e32 v25, v25, v27
	v_subrev_u32_e32 v27, s15, v25
	v_cmp_le_u32_e64 s[8:9], s15, v25
	v_cmp_ge_i32_e64 s[10:11], s16, v24
	s_nop 0
	v_cndmask_b32_e64 v25, v25, v27, s[8:9]
	v_subrev_u32_e32 v27, s15, v25
	v_cmp_le_u32_e64 s[8:9], s15, v25
	s_nop 1
	v_cndmask_b32_e64 v25, v25, v27, s[8:9]
	v_xor_b32_e32 v25, v25, v26
	v_sub_u32_e32 v25, v25, v26
	v_cmp_ne_u32_e64 s[8:9], 0, v25
	s_and_b64 s[8:9], s[8:9], s[10:11]
	s_and_b64 s[40:41], vcc, s[8:9]
	s_and_saveexec_b64 s[10:11], s[40:41]
	s_cbranch_execz .LBB110_15
; %bb.14:                               ;   in Loop: Header=BB110_13 Depth=1
	ds_write_b32 v15, v17
.LBB110_15:                             ;   in Loop: Header=BB110_13 Depth=1
	s_or_b64 exec, exec, s[10:11]
	s_xor_b64 s[8:9], s[8:9], -1
	s_and_saveexec_b64 s[10:11], s[8:9]
	s_cbranch_execz .LBB110_12
; %bb.16:                               ;   in Loop: Header=BB110_13 Depth=1
	global_load_dword v24, v[4:5], off
	s_waitcnt vmcnt(0)
	v_mad_i64_i32 v[24:25], s[8:9], v24, s19, 0
	v_lshl_add_u64 v[24:25], v[24:25], 1, v[2:3]
	global_load_ushort v28, v[24:25], off
	global_load_ushort v29, v[24:25], off offset:128
	global_load_ushort v30, v[24:25], off offset:256
	;; [unrolled: 1-line block ×9, first 2 shown]
	ds_read2_b32 v[24:25], v9 offset1:1
	ds_read2_b32 v[26:27], v9 offset0:2 offset1:3
	ds_read_b32 v38, v9 offset:16
	v_cmp_lt_i32_e64 s[8:9], v20, v19
	s_waitcnt lgkmcnt(2)
	v_lshlrev_b32_e32 v40, 16, v24
	v_and_b32_e32 v24, 0xffff0000, v24
	v_lshlrev_b32_e32 v41, 16, v25
	v_and_b32_e32 v25, 0xffff0000, v25
	s_waitcnt lgkmcnt(1)
	v_lshlrev_b32_e32 v42, 16, v26
	v_and_b32_e32 v26, 0xffff0000, v26
	v_lshlrev_b32_e32 v43, 16, v27
	v_and_b32_e32 v27, 0xffff0000, v27
	s_waitcnt lgkmcnt(0)
	v_lshlrev_b32_e32 v44, 16, v38
	v_cndmask_b32_e64 v39, v18, v20, s[8:9]
	v_and_b32_e32 v38, 0xffff0000, v38
	v_lshlrev_b32_e32 v39, 2, v39
	v_cmp_lt_i32_e64 s[8:9], v21, v19
	s_waitcnt vmcnt(9)
	v_lshlrev_b32_e32 v28, 16, v28
	s_waitcnt vmcnt(8)
	v_lshlrev_b32_e32 v29, 16, v29
	v_mul_f32_e32 v24, v24, v29
	s_waitcnt vmcnt(7)
	v_lshlrev_b32_e32 v30, 16, v30
	v_fmac_f32_e32 v24, v40, v28
	s_waitcnt vmcnt(6)
	v_lshlrev_b32_e32 v31, 16, v31
	v_fmac_f32_e32 v24, v41, v30
	;; [unrolled: 3-line block ×7, first 2 shown]
	v_fmac_f32_e32 v24, v44, v36
	s_waitcnt vmcnt(0)
	v_lshlrev_b32_e32 v25, 16, v37
	v_fmac_f32_e32 v24, v38, v25
	ds_bpermute_b32 v25, v39, v24
	v_cndmask_b32_e64 v26, v18, v21, s[8:9]
	v_lshlrev_b32_e32 v26, 2, v26
	v_cmp_lt_i32_e64 s[8:9], v22, v19
	s_waitcnt lgkmcnt(0)
	v_add_f32_e32 v24, v24, v25
	ds_bpermute_b32 v25, v26, v24
	v_cndmask_b32_e64 v26, v18, v22, s[8:9]
	v_lshlrev_b32_e32 v26, 2, v26
	s_waitcnt lgkmcnt(0)
	v_add_f32_e32 v24, v24, v25
	ds_bpermute_b32 v25, v26, v24
	s_and_saveexec_b64 s[40:41], vcc
	s_cbranch_execz .LBB110_11
; %bb.17:                               ;   in Loop: Header=BB110_13 Depth=1
	v_add_u32_e32 v26, v16, v14
	v_cvt_f32_i32_e32 v26, v26
	s_waitcnt lgkmcnt(0)
	v_add_f32_e32 v24, v24, v25
	v_add_u32_e32 v27, v8, v14
	v_cmp_gt_i32_e64 s[8:9], s33, v27
	v_mul_f32_e32 v25, s46, v26
	v_cndmask_b32_e64 v25, 0, v25, s[0:1]
	v_fmac_f32_e32 v25, s35, v24
	v_cndmask_b32_e64 v24, 0, v25, s[8:9]
	ds_write_b32 v15, v24
	v_max_f32_e32 v24, v12, v12
	v_max_f32_e32 v24, v24, v25
	v_cndmask_b32_e64 v12, v12, v24, s[8:9]
	s_branch .LBB110_11
.LBB110_18:
	s_or_b64 exec, exec, s[38:39]
.LBB110_19:
	s_or_b64 exec, exec, s[36:37]
	v_mbcnt_hi_u32_b32 v2, -1, v7
	v_and_b32_e32 v3, 64, v2
	v_add_u32_e32 v3, 64, v3
	v_xor_b32_e32 v4, 32, v2
	v_cmp_lt_i32_e32 vcc, v4, v3
	v_xor_b32_e32 v8, 16, v2
	v_max_f32_e32 v7, v12, v12
	v_cndmask_b32_e32 v4, v2, v4, vcc
	v_lshlrev_b32_e32 v5, 2, v4
	ds_bpermute_b32 v4, v5, v12
	v_cmp_lt_i32_e32 vcc, v8, v3
	v_xor_b32_e32 v9, 8, v2
	v_and_b32_e32 v20, 63, v0
	s_waitcnt lgkmcnt(0)
	v_max_f32_e32 v4, v4, v4
	v_max_f32_e32 v4, v7, v4
	v_cndmask_b32_e32 v7, v2, v8, vcc
	v_lshlrev_b32_e32 v8, 2, v7
	ds_bpermute_b32 v7, v8, v4
	v_cmp_lt_i32_e32 vcc, v9, v3
	s_waitcnt lgkmcnt(0)
	v_max_f32_e32 v7, v7, v7
	v_max_f32_e32 v7, v4, v7
	v_cndmask_b32_e32 v4, v2, v9, vcc
	v_lshlrev_b32_e32 v12, 2, v4
	ds_bpermute_b32 v9, v12, v7
	v_cmp_eq_u32_e32 vcc, 0, v20
	v_lshlrev_b32_e32 v4, 2, v1
	s_and_saveexec_b64 s[0:1], vcc
	s_cbranch_execz .LBB110_21
; %bb.20:
	s_waitcnt lgkmcnt(0)
	v_max_f32_e32 v9, v9, v9
	v_max_f32_e32 v7, v7, v7
	;; [unrolled: 1-line block ×3, first 2 shown]
	ds_write_b32 v4, v7 offset:160
.LBB110_21:
	s_or_b64 exec, exec, s[0:1]
	v_cmp_gt_u32_e64 s[0:1], 2, v20
	v_mov_b32_e32 v13, 0xff7fffff
	v_lshlrev_b32_e32 v7, 2, v20
	s_waitcnt lgkmcnt(0)
	s_barrier
	s_and_saveexec_b64 s[8:9], s[0:1]
	s_cbranch_execz .LBB110_23
; %bb.22:
	ds_read_b32 v13, v7 offset:160
.LBB110_23:
	s_or_b64 exec, exec, s[8:9]
	v_xor_b32_e32 v9, 1, v2
	v_cmp_lt_i32_e64 s[8:9], v9, v3
	v_lshlrev_b32_e32 v15, 2, v2
	s_nop 0
	v_cndmask_b32_e64 v9, v2, v9, s[8:9]
	v_lshlrev_b32_e32 v9, 2, v9
	s_waitcnt lgkmcnt(0)
	ds_bpermute_b32 v14, v9, v13
	v_max_f32_e32 v13, v13, v13
	s_lshl_b32 s8, s45, 3
	s_min_i32 s15, s8, s33
	v_cmp_gt_i32_e64 s[8:9], s15, v0
	s_waitcnt lgkmcnt(0)
	v_max_f32_e32 v14, v14, v14
	v_max_f32_e32 v14, v13, v14
	v_and_b32_e32 v13, 0x100, v15
	ds_bpermute_b32 v15, v13, v14
	v_mov_b32_e32 v14, 0
	s_and_saveexec_b64 s[34:35], s[8:9]
	s_cbranch_execz .LBB110_27
; %bb.24:
	v_mov_b32_e32 v14, 0xb0
	v_lshl_add_u32 v16, v0, 2, v14
	s_mov_b64 s[36:37], 0
	v_mov_b32_e32 v14, 0
	v_mov_b32_e32 v17, v0
.LBB110_25:                             ; =>This Inner Loop Header: Depth=1
	ds_read_b32 v18, v16
	v_add_u32_e32 v17, 0x80, v17
	v_cmp_le_i32_e64 s[10:11], s15, v17
	s_or_b64 s[36:37], s[10:11], s[36:37]
	s_waitcnt lgkmcnt(0)
	v_sub_f32_e32 v18, v18, v15
	v_mul_f32_e32 v18, 0x3fb8aa3b, v18
	v_exp_f32_e32 v18, v18
	ds_write_b32 v16, v18
	v_add_f32_e32 v14, v14, v18
	v_add_u32_e32 v16, 0x200, v16
	s_andn2_b64 exec, exec, s[36:37]
	s_cbranch_execnz .LBB110_25
; %bb.26:
	s_or_b64 exec, exec, s[36:37]
.LBB110_27:
	s_or_b64 exec, exec, s[34:35]
	ds_bpermute_b32 v5, v5, v14
	s_waitcnt lgkmcnt(0)
	v_add_f32_e32 v5, v14, v5
	ds_bpermute_b32 v8, v8, v5
	s_waitcnt lgkmcnt(0)
	v_add_f32_e32 v5, v5, v8
	ds_bpermute_b32 v8, v12, v5
	v_xor_b32_e32 v12, 4, v2
	v_cmp_lt_i32_e64 s[10:11], v12, v3
	s_waitcnt lgkmcnt(0)
	v_add_f32_e32 v5, v5, v8
	v_cndmask_b32_e64 v12, v2, v12, s[10:11]
	v_lshlrev_b32_e32 v12, 2, v12
	ds_bpermute_b32 v8, v12, v5
	v_xor_b32_e32 v12, 2, v2
	v_cmp_lt_i32_e64 s[10:11], v12, v3
	s_waitcnt lgkmcnt(0)
	v_add_f32_e32 v3, v5, v8
	v_cndmask_b32_e64 v2, v2, v12, s[10:11]
	v_lshlrev_b32_e32 v2, 2, v2
	ds_bpermute_b32 v2, v2, v3
	s_waitcnt lgkmcnt(0)
	v_add_f32_e32 v2, v3, v2
	ds_bpermute_b32 v3, v9, v2
	s_waitcnt lgkmcnt(0)
	v_add_f32_e32 v2, v2, v3
	s_and_saveexec_b64 s[10:11], vcc
	s_cbranch_execz .LBB110_29
; %bb.28:
	ds_write_b32 v4, v2 offset:168
.LBB110_29:
	s_or_b64 exec, exec, s[10:11]
	s_waitcnt lgkmcnt(0)
	s_barrier
	s_and_saveexec_b64 s[10:11], s[0:1]
	s_cbranch_execz .LBB110_31
; %bb.30:
	ds_read_b32 v2, v7 offset:168
.LBB110_31:
	s_or_b64 exec, exec, s[10:11]
	s_waitcnt lgkmcnt(0)
	ds_bpermute_b32 v3, v9, v2
	s_waitcnt lgkmcnt(0)
	v_add_f32_e32 v2, v2, v3
	ds_bpermute_b32 v2, v13, v2
	s_and_saveexec_b64 s[0:1], s[8:9]
	s_cbranch_execz .LBB110_44
; %bb.32:
	s_waitcnt lgkmcnt(0)
	v_add_f32_e32 v2, 0x358637bd, v2
	v_div_scale_f32 v3, s[8:9], v2, v2, 1.0
	v_rcp_f32_e32 v4, v3
	v_div_scale_f32 v5, vcc, 1.0, v2, 1.0
	s_movk_i32 s8, 0x7f
	v_fma_f32 v7, -v3, v4, 1.0
	v_fmac_f32_e32 v4, v7, v4
	v_mul_f32_e32 v7, v5, v4
	v_fma_f32 v8, -v3, v7, v5
	v_fmac_f32_e32 v7, v8, v4
	v_fma_f32 v3, -v3, v7, v5
	v_div_fmas_f32 v3, v3, v4, v7
	v_xad_u32 v4, v0, -1, s15
	v_div_fixup_f32 v2, v3, v2, 1.0
	v_cmp_lt_u32_e32 vcc, s8, v4
	s_mov_b64 s[10:11], -1
	v_mov_b32_e32 v3, v0
	s_and_saveexec_b64 s[8:9], vcc
	s_cbranch_execz .LBB110_41
; %bb.33:
	v_lshrrev_b32_e32 v4, 7, v4
	v_add_u32_e32 v7, -1, v4
	v_lshrrev_b32_e32 v5, 1, v7
	v_mov_b32_e32 v3, v2
	v_add_u32_e32 v5, 1, v5
	v_cmp_lt_u32_e32 vcc, 13, v7
	v_mov_b32_e32 v9, 0
	s_and_saveexec_b64 s[10:11], vcc
	s_cbranch_execz .LBB110_37
; %bb.34:
	v_mov_b32_e32 v8, 0xb0
	v_and_b32_e32 v7, -8, v5
	v_lshl_add_u32 v8, v0, 2, v8
	s_mov_b32 s16, 0
	s_mov_b64 s[34:35], 0
.LBB110_35:                             ; =>This Inner Loop Header: Depth=1
	ds_read2st64_b32 v[12:13], v8 offset1:2
	ds_read2st64_b32 v[14:15], v8 offset0:4 offset1:6
	ds_read2st64_b32 v[16:17], v8 offset0:8 offset1:10
	;; [unrolled: 1-line block ×3, first 2 shown]
	v_add_u32_e32 v7, -8, v7
	s_waitcnt lgkmcnt(3)
	v_pk_mul_f32 v[12:13], v[2:3], v[12:13]
	s_waitcnt lgkmcnt(2)
	v_pk_mul_f32 v[14:15], v[2:3], v[14:15]
	ds_write2st64_b32 v8, v12, v13 offset1:2
	ds_write2st64_b32 v8, v14, v15 offset0:4 offset1:6
	ds_read2st64_b32 v[14:15], v8 offset0:16 offset1:18
	s_waitcnt lgkmcnt(4)
	v_pk_mul_f32 v[12:13], v[2:3], v[16:17]
	ds_write2st64_b32 v8, v12, v13 offset0:8 offset1:10
	s_waitcnt lgkmcnt(4)
	v_pk_mul_f32 v[12:13], v[2:3], v[18:19]
	ds_write2st64_b32 v8, v12, v13 offset0:12 offset1:14
	ds_read2st64_b32 v[12:13], v8 offset0:20 offset1:22
	s_waitcnt lgkmcnt(3)
	v_pk_mul_f32 v[14:15], v[2:3], v[14:15]
	ds_read2st64_b32 v[16:17], v8 offset0:24 offset1:26
	ds_write2st64_b32 v8, v14, v15 offset0:16 offset1:18
	ds_read2st64_b32 v[14:15], v8 offset0:28 offset1:30
	s_waitcnt lgkmcnt(3)
	v_pk_mul_f32 v[12:13], v[2:3], v[12:13]
	ds_write2st64_b32 v8, v12, v13 offset0:20 offset1:22
	s_waitcnt lgkmcnt(3)
	v_pk_mul_f32 v[12:13], v[2:3], v[16:17]
	ds_write2st64_b32 v8, v12, v13 offset0:24 offset1:26
	s_waitcnt lgkmcnt(2)
	v_pk_mul_f32 v[12:13], v[2:3], v[14:15]
	s_add_i32 s16, s16, 16
	v_cmp_eq_u32_e32 vcc, 0, v7
	ds_write2st64_b32 v8, v12, v13 offset0:28 offset1:30
	v_add_u32_e32 v8, 0x2000, v8
	s_or_b64 s[34:35], vcc, s[34:35]
	v_mov_b32_e32 v9, s16
	s_andn2_b64 exec, exec, s[34:35]
	s_cbranch_execnz .LBB110_35
; %bb.36:
	s_or_b64 exec, exec, s[34:35]
.LBB110_37:
	s_or_b64 exec, exec, s[10:11]
	v_and_b32_e32 v5, 7, v5
	v_cmp_ne_u32_e32 vcc, 0, v5
	s_and_saveexec_b64 s[10:11], vcc
	s_cbranch_execz .LBB110_40
; %bb.38:
	v_lshlrev_b32_e32 v7, 9, v9
	v_lshlrev_b32_e32 v8, 2, v0
	s_movk_i32 s16, 0xb0
	v_add3_u32 v7, v7, v8, s16
	s_mov_b64 s[34:35], 0
.LBB110_39:                             ; =>This Inner Loop Header: Depth=1
	ds_read2st64_b32 v[8:9], v7 offset1:2
	v_add_u32_e32 v5, -1, v5
	v_cmp_eq_u32_e32 vcc, 0, v5
	s_or_b64 s[34:35], vcc, s[34:35]
	s_waitcnt lgkmcnt(0)
	v_pk_mul_f32 v[8:9], v[2:3], v[8:9]
	ds_write2st64_b32 v7, v8, v9 offset1:2
	v_add_u32_e32 v7, 0x400, v7
	s_andn2_b64 exec, exec, s[34:35]
	s_cbranch_execnz .LBB110_39
.LBB110_40:
	s_or_b64 exec, exec, s[10:11]
	v_add_u32_e32 v4, 1, v4
	v_and_b32_e32 v5, 0x3fffffe, v4
	v_cmp_ne_u32_e32 vcc, v4, v5
	v_lshl_add_u32 v3, v5, 7, v0
	s_orn2_b64 s[10:11], vcc, exec
.LBB110_41:
	s_or_b64 exec, exec, s[8:9]
	s_and_b64 exec, exec, s[10:11]
	s_cbranch_execz .LBB110_44
; %bb.42:
	v_mov_b32_e32 v4, 0xb0
	v_lshl_add_u32 v4, v3, 2, v4
	s_mov_b64 s[8:9], 0
.LBB110_43:                             ; =>This Inner Loop Header: Depth=1
	ds_read_b32 v5, v4
	v_add_u32_e32 v3, 0x80, v3
	v_cmp_le_i32_e32 vcc, s15, v3
	s_or_b64 s[8:9], vcc, s[8:9]
	s_waitcnt lgkmcnt(0)
	v_mul_f32_e32 v5, v2, v5
	ds_write_b32 v4, v5
	v_add_u32_e32 v4, 0x200, v4
	s_andn2_b64 exec, exec, s[8:9]
	s_cbranch_execnz .LBB110_43
.LBB110_44:
	s_or_b64 exec, exec, s[0:1]
	v_mov_b32_e32 v13, 0
	v_mov_b32_e32 v12, v13
	s_waitcnt lgkmcnt(0)
	s_barrier
	s_and_saveexec_b64 s[8:9], s[2:3]
	s_cbranch_execz .LBB110_152
; %bb.45:
	s_ashr_i32 s15, s14, 31
	s_sub_i32 s34, s12, s17
	s_lshl_b64 s[0:1], s[14:15], 1
	s_add_u32 s10, s30, s0
	s_addc_u32 s11, s31, s1
	s_abs_i32 s30, s18
	v_cvt_f32_u32_e32 v3, s30
	v_or_b32_e32 v4, 64, v20
	s_movk_i32 s0, 0x50
	v_cmp_gt_u32_e32 vcc, s0, v4
	v_rcp_iflag_f32_e32 v3, v3
	s_sub_i32 s0, 0, s30
	s_add_i32 s35, s45, -1
	v_lshlrev_b32_e32 v2, 3, v20
	v_mul_f32_e32 v3, 0x4f7ffffe, v3
	v_cvt_u32_f32_e32 v3, v3
	v_mov_b32_e32 v15, 0
	v_lshlrev_b32_e32 v4, 3, v4
	v_and_b32_e32 v14, 60, v6
	v_mul_lo_u32 v5, s0, v3
	s_lshl_b64 s[0:1], s[28:29], 2
	v_mul_hi_u32 v5, v3, v5
	s_add_u32 s0, s26, s0
	v_add_u32_e32 v21, v3, v5
	s_addc_u32 s1, s27, s1
	v_mov_b32_e32 v3, 0xb0
	s_mov_b32 s31, s13
	v_lshl_add_u64 v[16:17], s[0:1], 0, v[14:15]
	v_lshl_add_u32 v22, v1, 5, v3
	s_mov_b64 s[12:13], 0
	s_mov_b32 s26, 0x7f800000
	s_movk_i32 s27, 0x7fff
	v_lshlrev_b32_e32 v14, 1, v2
	v_lshlrev_b32_e32 v18, 1, v4
	v_mov_b32_e32 v12, v15
	v_mov_b32_e32 v13, v15
	s_branch .LBB110_49
.LBB110_46:                             ;   in Loop: Header=BB110_49 Depth=1
	s_or_b64 exec, exec, s[2:3]
	v_and_b32_e32 v27, 0xffff0000, v19
	v_and_b32_e32 v26, 0xffff0000, v7
	;; [unrolled: 1-line block ×4, first 2 shown]
	v_pk_add_f32 v[2:3], v[2:3], v[26:27]
	v_and_b32_e32 v25, 0xffff0000, v23
	v_and_b32_e32 v24, 0xffff0000, v9
	;; [unrolled: 1-line block ×4, first 2 shown]
	v_mov_b32_e32 v6, v3
	v_pk_add_f32 v[2:3], v[2:3], v[6:7]
	v_pk_add_f32 v[4:5], v[4:5], v[24:25]
	s_nop 0
	v_pk_add_f32 v[2:3], v[2:3], v[4:5]
	v_mov_b32_e32 v4, v5
	v_pk_add_f32 v[2:3], v[2:3], v[4:5]
	s_nop 0
	v_mov_b32_e32 v3, v2
	v_pk_add_f32 v[12:13], v[12:13], v[2:3]
.LBB110_47:                             ;   in Loop: Header=BB110_49 Depth=1
	s_or_b64 exec, exec, s[16:17]
	v_mov_b32_e32 v12, v8
.LBB110_48:                             ;   in Loop: Header=BB110_49 Depth=1
	s_or_b64 exec, exec, s[14:15]
	v_add_u32_e32 v1, 2, v1
	v_cmp_le_i32_e64 s[0:1], s45, v1
	v_lshl_add_u64 v[16:17], v[16:17], 0, 8
	v_add_u32_e32 v11, 16, v11
	s_or_b64 s[12:13], s[0:1], s[12:13]
	v_add_u32_e32 v22, 64, v22
	s_andn2_b64 exec, exec, s[12:13]
	s_cbranch_execz .LBB110_151
.LBB110_49:                             ; =>This Inner Loop Header: Depth=1
	v_mul_hi_u32 v2, v11, s42
	v_mul_lo_u32 v3, v2, s23
	v_sub_u32_e32 v3, v11, v3
	v_add_u32_e32 v4, 1, v2
	v_cmp_le_u32_e64 s[0:1], s23, v3
	s_nop 1
	v_cndmask_b32_e64 v2, v2, v4, s[0:1]
	v_subrev_u32_e32 v4, s23, v3
	v_cndmask_b32_e64 v3, v3, v4, s[0:1]
	v_add_u32_e32 v4, 1, v2
	v_cmp_le_u32_e64 s[0:1], s23, v3
	s_nop 1
	v_cndmask_b32_e64 v2, v2, v4, s[0:1]
	v_xor_b32_e32 v2, s44, v2
	v_subrev_u32_e32 v2, s44, v2
	v_add_u32_e32 v3, s43, v2
	v_sub_u32_e32 v5, 0, v3
	v_ashrrev_i32_e32 v4, 31, v3
	v_max_i32_e32 v3, v3, v5
	v_mul_hi_u32 v5, v3, v21
	v_mul_lo_u32 v5, v5, s30
	v_sub_u32_e32 v3, v3, v5
	v_subrev_u32_e32 v5, s30, v3
	v_cmp_le_u32_e64 s[0:1], s30, v3
	v_cmp_lt_i32_e64 s[2:3], s34, v2
	s_nop 0
	v_cndmask_b32_e64 v3, v3, v5, s[0:1]
	v_subrev_u32_e32 v5, s30, v3
	v_cmp_le_u32_e64 s[0:1], s30, v3
	s_nop 1
	v_cndmask_b32_e64 v3, v3, v5, s[0:1]
	v_xor_b32_e32 v3, v3, v4
	v_sub_u32_e32 v3, v3, v4
	v_cmp_eq_u32_e64 s[0:1], 0, v3
	s_or_b64 s[0:1], s[0:1], s[2:3]
	s_and_saveexec_b64 s[14:15], s[0:1]
	s_cbranch_execz .LBB110_48
; %bb.50:                               ;   in Loop: Header=BB110_49 Depth=1
	global_load_dword v28, v[16:17], off
	ds_read2_b64 v[6:9], v22 offset1:1
	ds_read2_b64 v[2:5], v22 offset0:2 offset1:3
                                        ; implicit-def: $vgpr23
	s_waitcnt lgkmcnt(1)
	v_and_b32_e32 v19, 0x7f800000, v6
	v_cmp_ne_u32_e64 s[0:1], s26, v19
	s_and_saveexec_b64 s[2:3], s[0:1]
	s_xor_b64 s[0:1], exec, s[2:3]
; %bb.51:                               ;   in Loop: Header=BB110_49 Depth=1
	v_bfe_u32 v19, v6, 16, 1
	v_add3_u32 v23, v6, v19, s27
; %bb.52:                               ;   in Loop: Header=BB110_49 Depth=1
	s_andn2_saveexec_b64 s[2:3], s[0:1]
; %bb.53:                               ;   in Loop: Header=BB110_49 Depth=1
	v_or_b32_e32 v19, 0x10000, v6
	v_cmp_eq_u32_sdwa s[0:1], v6, v15 src0_sel:WORD_0 src1_sel:DWORD
	s_nop 1
	v_cndmask_b32_e64 v23, v19, v6, s[0:1]
; %bb.54:                               ;   in Loop: Header=BB110_49 Depth=1
	s_or_b64 exec, exec, s[2:3]
	v_and_b32_e32 v6, 0x7f800000, v7
	v_cmp_ne_u32_e64 s[0:1], s26, v6
                                        ; implicit-def: $vgpr24
	s_and_saveexec_b64 s[2:3], s[0:1]
	s_xor_b64 s[0:1], exec, s[2:3]
; %bb.55:                               ;   in Loop: Header=BB110_49 Depth=1
	v_bfe_u32 v6, v7, 16, 1
	v_add3_u32 v24, v7, v6, s27
; %bb.56:                               ;   in Loop: Header=BB110_49 Depth=1
	s_andn2_saveexec_b64 s[2:3], s[0:1]
; %bb.57:                               ;   in Loop: Header=BB110_49 Depth=1
	v_or_b32_e32 v6, 0x10000, v7
	v_cmp_eq_u32_sdwa s[0:1], v7, v15 src0_sel:WORD_0 src1_sel:DWORD
	s_nop 1
	v_cndmask_b32_e64 v24, v6, v7, s[0:1]
; %bb.58:                               ;   in Loop: Header=BB110_49 Depth=1
	s_or_b64 exec, exec, s[2:3]
	v_and_b32_e32 v6, 0x7f800000, v8
	v_cmp_ne_u32_e64 s[0:1], s26, v6
                                        ; implicit-def: $vgpr25
	s_and_saveexec_b64 s[2:3], s[0:1]
	s_xor_b64 s[0:1], exec, s[2:3]
; %bb.59:                               ;   in Loop: Header=BB110_49 Depth=1
	v_bfe_u32 v6, v8, 16, 1
	v_add3_u32 v25, v8, v6, s27
; %bb.60:                               ;   in Loop: Header=BB110_49 Depth=1
	s_andn2_saveexec_b64 s[2:3], s[0:1]
; %bb.61:                               ;   in Loop: Header=BB110_49 Depth=1
	v_or_b32_e32 v6, 0x10000, v8
	v_cmp_eq_u32_sdwa s[0:1], v8, v15 src0_sel:WORD_0 src1_sel:DWORD
	s_nop 1
	v_cndmask_b32_e64 v25, v6, v8, s[0:1]
; %bb.62:                               ;   in Loop: Header=BB110_49 Depth=1
	s_or_b64 exec, exec, s[2:3]
	v_and_b32_e32 v6, 0x7f800000, v9
	v_cmp_ne_u32_e64 s[0:1], s26, v6
                                        ; implicit-def: $vgpr26
	s_and_saveexec_b64 s[2:3], s[0:1]
	s_xor_b64 s[0:1], exec, s[2:3]
; %bb.63:                               ;   in Loop: Header=BB110_49 Depth=1
	v_bfe_u32 v6, v9, 16, 1
	v_add3_u32 v26, v9, v6, s27
                                        ; implicit-def: $vgpr6_vgpr7_vgpr8_vgpr9
; %bb.64:                               ;   in Loop: Header=BB110_49 Depth=1
	s_andn2_saveexec_b64 s[2:3], s[0:1]
; %bb.65:                               ;   in Loop: Header=BB110_49 Depth=1
	v_or_b32_e32 v6, 0x10000, v9
	v_cmp_eq_u32_sdwa s[0:1], v9, v15 src0_sel:WORD_0 src1_sel:DWORD
	s_nop 1
	v_cndmask_b32_e64 v26, v6, v9, s[0:1]
; %bb.66:                               ;   in Loop: Header=BB110_49 Depth=1
	s_or_b64 exec, exec, s[2:3]
	s_waitcnt lgkmcnt(0)
	v_and_b32_e32 v6, 0x7f800000, v2
	v_cmp_ne_u32_e64 s[0:1], s26, v6
                                        ; implicit-def: $vgpr27
	s_and_saveexec_b64 s[2:3], s[0:1]
	s_xor_b64 s[0:1], exec, s[2:3]
; %bb.67:                               ;   in Loop: Header=BB110_49 Depth=1
	v_bfe_u32 v6, v2, 16, 1
	v_add3_u32 v27, v2, v6, s27
; %bb.68:                               ;   in Loop: Header=BB110_49 Depth=1
	s_andn2_saveexec_b64 s[2:3], s[0:1]
; %bb.69:                               ;   in Loop: Header=BB110_49 Depth=1
	v_or_b32_e32 v6, 0x10000, v2
	v_cmp_eq_u32_sdwa s[0:1], v2, v15 src0_sel:WORD_0 src1_sel:DWORD
	s_nop 1
	v_cndmask_b32_e64 v27, v6, v2, s[0:1]
; %bb.70:                               ;   in Loop: Header=BB110_49 Depth=1
	s_or_b64 exec, exec, s[2:3]
	v_and_b32_e32 v2, 0x7f800000, v3
	v_cmp_ne_u32_e64 s[0:1], s26, v2
                                        ; implicit-def: $vgpr19
	s_and_saveexec_b64 s[2:3], s[0:1]
	s_xor_b64 s[0:1], exec, s[2:3]
; %bb.71:                               ;   in Loop: Header=BB110_49 Depth=1
	v_bfe_u32 v2, v3, 16, 1
	v_add3_u32 v19, v3, v2, s27
; %bb.72:                               ;   in Loop: Header=BB110_49 Depth=1
	s_andn2_saveexec_b64 s[2:3], s[0:1]
; %bb.73:                               ;   in Loop: Header=BB110_49 Depth=1
	v_or_b32_e32 v2, 0x10000, v3
	v_cmp_eq_u32_sdwa s[0:1], v3, v15 src0_sel:WORD_0 src1_sel:DWORD
	s_nop 1
	v_cndmask_b32_e64 v19, v2, v3, s[0:1]
; %bb.74:                               ;   in Loop: Header=BB110_49 Depth=1
	s_or_b64 exec, exec, s[2:3]
	v_and_b32_e32 v2, 0x7f800000, v4
	v_cmp_ne_u32_e64 s[0:1], s26, v2
                                        ; implicit-def: $vgpr9
	s_and_saveexec_b64 s[2:3], s[0:1]
	s_xor_b64 s[0:1], exec, s[2:3]
; %bb.75:                               ;   in Loop: Header=BB110_49 Depth=1
	v_bfe_u32 v2, v4, 16, 1
	v_add3_u32 v9, v4, v2, s27
; %bb.76:                               ;   in Loop: Header=BB110_49 Depth=1
	s_andn2_saveexec_b64 s[2:3], s[0:1]
; %bb.77:                               ;   in Loop: Header=BB110_49 Depth=1
	v_or_b32_e32 v2, 0x10000, v4
	v_cmp_eq_u32_sdwa s[0:1], v4, v15 src0_sel:WORD_0 src1_sel:DWORD
	s_nop 1
	v_cndmask_b32_e64 v9, v2, v4, s[0:1]
; %bb.78:                               ;   in Loop: Header=BB110_49 Depth=1
	s_or_b64 exec, exec, s[2:3]
	v_and_b32_e32 v2, 0x7f800000, v5
	v_cmp_ne_u32_e64 s[0:1], s26, v2
                                        ; implicit-def: $vgpr8
	s_and_saveexec_b64 s[2:3], s[0:1]
	s_xor_b64 s[0:1], exec, s[2:3]
; %bb.79:                               ;   in Loop: Header=BB110_49 Depth=1
	v_bfe_u32 v2, v5, 16, 1
	v_add3_u32 v8, v5, v2, s27
                                        ; implicit-def: $vgpr2_vgpr3_vgpr4_vgpr5
; %bb.80:                               ;   in Loop: Header=BB110_49 Depth=1
	s_andn2_saveexec_b64 s[2:3], s[0:1]
; %bb.81:                               ;   in Loop: Header=BB110_49 Depth=1
	v_or_b32_e32 v2, 0x10000, v5
	v_cmp_eq_u32_sdwa s[0:1], v5, v15 src0_sel:WORD_0 src1_sel:DWORD
	s_nop 1
	v_cndmask_b32_e64 v8, v2, v5, s[0:1]
; %bb.82:                               ;   in Loop: Header=BB110_49 Depth=1
	s_or_b64 exec, exec, s[2:3]
	s_waitcnt vmcnt(0)
	v_mad_i64_i32 v[2:3], s[0:1], v28, s31, 0
	v_lshl_add_u64 v[6:7], v[2:3], 1, s[10:11]
	v_lshl_add_u64 v[2:3], v[6:7], 0, v[14:15]
	global_load_dwordx4 v[2:5], v[2:3], off
	v_cmp_eq_u32_e64 s[2:3], s35, v1
	s_waitcnt vmcnt(0)
	v_lshrrev_b32_e32 v30, 16, v2
	v_lshrrev_b32_e32 v28, 16, v3
	;; [unrolled: 1-line block ×4, first 2 shown]
	s_and_saveexec_b64 s[16:17], s[2:3]
	s_cbranch_execz .LBB110_84
; %bb.83:                               ;   in Loop: Header=BB110_49 Depth=1
	v_cmp_gt_i32_e64 s[0:1], s33, v11
	v_add_u32_e32 v32, 1, v11
	s_nop 0
	v_cndmask_b32_e64 v2, 0, v2, s[0:1]
	v_cmp_gt_i32_e64 s[0:1], s33, v32
	v_add_u32_e32 v32, 2, v11
	s_nop 0
	v_cndmask_b32_e64 v30, 0, v30, s[0:1]
	;; [unrolled: 4-line block ×7, first 2 shown]
	v_cmp_gt_i32_e64 s[0:1], s33, v32
	s_nop 1
	v_cndmask_b32_e64 v31, 0, v31, s[0:1]
.LBB110_84:                             ;   in Loop: Header=BB110_49 Depth=1
	s_or_b64 exec, exec, s[16:17]
	v_and_b32_e32 v23, 0xffff0000, v23
	v_lshlrev_b32_e32 v2, 16, v2
	v_mul_f32_e32 v32, v23, v2
	v_and_b32_e32 v2, 0x7f800000, v32
	v_cmp_ne_u32_e64 s[0:1], s26, v2
                                        ; implicit-def: $vgpr2
	s_and_saveexec_b64 s[16:17], s[0:1]
	s_xor_b64 s[0:1], exec, s[16:17]
; %bb.85:                               ;   in Loop: Header=BB110_49 Depth=1
	v_bfe_u32 v2, v32, 16, 1
	v_add3_u32 v2, v32, v2, s27
                                        ; implicit-def: $vgpr32
; %bb.86:                               ;   in Loop: Header=BB110_49 Depth=1
	s_andn2_saveexec_b64 s[16:17], s[0:1]
; %bb.87:                               ;   in Loop: Header=BB110_49 Depth=1
	v_or_b32_e32 v2, 0x10000, v32
	v_cmp_eq_u32_sdwa s[0:1], v32, v15 src0_sel:WORD_0 src1_sel:DWORD
	s_nop 1
	v_cndmask_b32_e64 v2, v2, v32, s[0:1]
; %bb.88:                               ;   in Loop: Header=BB110_49 Depth=1
	s_or_b64 exec, exec, s[16:17]
	v_and_b32_e32 v24, 0xffff0000, v24
	v_lshlrev_b32_e32 v30, 16, v30
	v_mul_f32_e32 v30, v24, v30
	v_and_b32_e32 v32, 0x7f800000, v30
	v_cmp_ne_u32_e64 s[0:1], s26, v32
                                        ; implicit-def: $vgpr32
	s_and_saveexec_b64 s[16:17], s[0:1]
	s_xor_b64 s[0:1], exec, s[16:17]
; %bb.89:                               ;   in Loop: Header=BB110_49 Depth=1
	v_bfe_u32 v32, v30, 16, 1
	v_add3_u32 v32, v30, v32, s27
                                        ; implicit-def: $vgpr30
; %bb.90:                               ;   in Loop: Header=BB110_49 Depth=1
	s_andn2_saveexec_b64 s[16:17], s[0:1]
; %bb.91:                               ;   in Loop: Header=BB110_49 Depth=1
	v_or_b32_e32 v32, 0x10000, v30
	v_cmp_eq_u32_sdwa s[0:1], v30, v15 src0_sel:WORD_0 src1_sel:DWORD
	s_nop 1
	v_cndmask_b32_e64 v32, v32, v30, s[0:1]
; %bb.92:                               ;   in Loop: Header=BB110_49 Depth=1
	s_or_b64 exec, exec, s[16:17]
	v_and_b32_e32 v25, 0xffff0000, v25
	v_lshlrev_b32_e32 v3, 16, v3
	v_mul_f32_e32 v30, v25, v3
	v_and_b32_e32 v3, 0x7f800000, v30
	v_cmp_ne_u32_e64 s[0:1], s26, v3
                                        ; implicit-def: $vgpr3
	s_and_saveexec_b64 s[16:17], s[0:1]
	s_xor_b64 s[0:1], exec, s[16:17]
; %bb.93:                               ;   in Loop: Header=BB110_49 Depth=1
	v_bfe_u32 v3, v30, 16, 1
	v_add3_u32 v3, v30, v3, s27
                                        ; implicit-def: $vgpr30
; %bb.94:                               ;   in Loop: Header=BB110_49 Depth=1
	s_andn2_saveexec_b64 s[16:17], s[0:1]
; %bb.95:                               ;   in Loop: Header=BB110_49 Depth=1
	v_or_b32_e32 v3, 0x10000, v30
	v_cmp_eq_u32_sdwa s[0:1], v30, v15 src0_sel:WORD_0 src1_sel:DWORD
	s_nop 1
	v_cndmask_b32_e64 v3, v3, v30, s[0:1]
; %bb.96:                               ;   in Loop: Header=BB110_49 Depth=1
	s_or_b64 exec, exec, s[16:17]
	v_and_b32_e32 v26, 0xffff0000, v26
	v_lshlrev_b32_e32 v28, 16, v28
	v_mul_f32_e32 v28, v26, v28
	v_and_b32_e32 v30, 0x7f800000, v28
	v_cmp_ne_u32_e64 s[0:1], s26, v30
                                        ; implicit-def: $vgpr33
	s_and_saveexec_b64 s[16:17], s[0:1]
	s_xor_b64 s[0:1], exec, s[16:17]
; %bb.97:                               ;   in Loop: Header=BB110_49 Depth=1
	v_bfe_u32 v30, v28, 16, 1
	v_add3_u32 v33, v28, v30, s27
                                        ; implicit-def: $vgpr28
; %bb.98:                               ;   in Loop: Header=BB110_49 Depth=1
	s_andn2_saveexec_b64 s[16:17], s[0:1]
; %bb.99:                               ;   in Loop: Header=BB110_49 Depth=1
	v_or_b32_e32 v30, 0x10000, v28
	v_cmp_eq_u32_sdwa s[0:1], v28, v15 src0_sel:WORD_0 src1_sel:DWORD
	s_nop 1
	v_cndmask_b32_e64 v33, v30, v28, s[0:1]
; %bb.100:                              ;   in Loop: Header=BB110_49 Depth=1
	s_or_b64 exec, exec, s[16:17]
	v_and_b32_e32 v27, 0xffff0000, v27
	v_lshlrev_b32_e32 v4, 16, v4
	v_mul_f32_e32 v28, v27, v4
	v_and_b32_e32 v4, 0x7f800000, v28
	v_cmp_ne_u32_e64 s[0:1], s26, v4
                                        ; implicit-def: $vgpr4
	s_and_saveexec_b64 s[16:17], s[0:1]
	s_xor_b64 s[0:1], exec, s[16:17]
; %bb.101:                              ;   in Loop: Header=BB110_49 Depth=1
	v_bfe_u32 v4, v28, 16, 1
	v_add3_u32 v4, v28, v4, s27
                                        ; implicit-def: $vgpr28
; %bb.102:                              ;   in Loop: Header=BB110_49 Depth=1
	s_andn2_saveexec_b64 s[16:17], s[0:1]
; %bb.103:                              ;   in Loop: Header=BB110_49 Depth=1
	v_or_b32_e32 v4, 0x10000, v28
	v_cmp_eq_u32_sdwa s[0:1], v28, v15 src0_sel:WORD_0 src1_sel:DWORD
	s_nop 1
	v_cndmask_b32_e64 v4, v4, v28, s[0:1]
; %bb.104:                              ;   in Loop: Header=BB110_49 Depth=1
	s_or_b64 exec, exec, s[16:17]
	v_and_b32_e32 v28, 0xffff0000, v19
	v_lshlrev_b32_e32 v19, 16, v29
	v_mul_f32_e32 v29, v28, v19
	v_and_b32_e32 v19, 0x7f800000, v29
	v_cmp_ne_u32_e64 s[0:1], s26, v19
                                        ; implicit-def: $vgpr19
	s_and_saveexec_b64 s[16:17], s[0:1]
	s_xor_b64 s[0:1], exec, s[16:17]
; %bb.105:                              ;   in Loop: Header=BB110_49 Depth=1
	v_bfe_u32 v19, v29, 16, 1
	v_add3_u32 v19, v29, v19, s27
                                        ; implicit-def: $vgpr29
; %bb.106:                              ;   in Loop: Header=BB110_49 Depth=1
	s_andn2_saveexec_b64 s[16:17], s[0:1]
; %bb.107:                              ;   in Loop: Header=BB110_49 Depth=1
	v_or_b32_e32 v19, 0x10000, v29
	v_cmp_eq_u32_sdwa s[0:1], v29, v15 src0_sel:WORD_0 src1_sel:DWORD
	s_nop 1
	v_cndmask_b32_e64 v19, v19, v29, s[0:1]
; %bb.108:                              ;   in Loop: Header=BB110_49 Depth=1
	s_or_b64 exec, exec, s[16:17]
	v_and_b32_e32 v29, 0xffff0000, v9
	v_lshlrev_b32_e32 v5, 16, v5
	v_mul_f32_e32 v9, v29, v5
	v_and_b32_e32 v5, 0x7f800000, v9
	v_cmp_ne_u32_e64 s[0:1], s26, v5
                                        ; implicit-def: $vgpr5
	s_and_saveexec_b64 s[16:17], s[0:1]
	s_xor_b64 s[0:1], exec, s[16:17]
; %bb.109:                              ;   in Loop: Header=BB110_49 Depth=1
	v_bfe_u32 v5, v9, 16, 1
	v_add3_u32 v5, v9, v5, s27
                                        ; implicit-def: $vgpr9
; %bb.110:                              ;   in Loop: Header=BB110_49 Depth=1
	s_andn2_saveexec_b64 s[16:17], s[0:1]
; %bb.111:                              ;   in Loop: Header=BB110_49 Depth=1
	v_or_b32_e32 v5, 0x10000, v9
	v_cmp_eq_u32_sdwa s[0:1], v9, v15 src0_sel:WORD_0 src1_sel:DWORD
	s_nop 1
	v_cndmask_b32_e64 v5, v5, v9, s[0:1]
; %bb.112:                              ;   in Loop: Header=BB110_49 Depth=1
	s_or_b64 exec, exec, s[16:17]
	v_and_b32_e32 v30, 0xffff0000, v8
	v_lshlrev_b32_e32 v8, 16, v31
	v_mul_f32_e32 v8, v30, v8
	v_and_b32_e32 v9, 0x7f800000, v8
	v_cmp_ne_u32_e64 s[0:1], s26, v9
                                        ; implicit-def: $vgpr9
	s_and_saveexec_b64 s[16:17], s[0:1]
	s_xor_b64 s[0:1], exec, s[16:17]
; %bb.113:                              ;   in Loop: Header=BB110_49 Depth=1
	v_bfe_u32 v9, v8, 16, 1
	v_add3_u32 v9, v8, v9, s27
                                        ; implicit-def: $vgpr8
; %bb.114:                              ;   in Loop: Header=BB110_49 Depth=1
	s_andn2_saveexec_b64 s[16:17], s[0:1]
; %bb.115:                              ;   in Loop: Header=BB110_49 Depth=1
	v_or_b32_e32 v9, 0x10000, v8
	v_cmp_eq_u32_sdwa s[0:1], v8, v15 src0_sel:WORD_0 src1_sel:DWORD
	s_nop 1
	v_cndmask_b32_e64 v9, v9, v8, s[0:1]
; %bb.116:                              ;   in Loop: Header=BB110_49 Depth=1
	s_or_b64 exec, exec, s[16:17]
	v_and_b32_e32 v33, 0xffff0000, v33
	v_and_b32_e32 v32, 0xffff0000, v32
	;; [unrolled: 1-line block ×4, first 2 shown]
	v_pk_add_f32 v[2:3], v[2:3], v[32:33]
	v_and_b32_e32 v9, 0xffff0000, v9
	v_and_b32_e32 v8, 0xffff0000, v19
	;; [unrolled: 1-line block ×4, first 2 shown]
	v_mov_b32_e32 v32, v3
	v_pk_add_f32 v[2:3], v[2:3], v[32:33]
	v_pk_add_f32 v[4:5], v[4:5], v[8:9]
	s_nop 0
	v_pk_add_f32 v[2:3], v[2:3], v[4:5]
	v_mov_b32_e32 v4, v5
	v_pk_add_f32 v[2:3], v[2:3], v[4:5]
	s_nop 0
	v_pk_add_f32 v[8:9], v[12:13], v[2:3]
	s_and_saveexec_b64 s[16:17], vcc
	s_cbranch_execz .LBB110_47
; %bb.117:                              ;   in Loop: Header=BB110_49 Depth=1
	v_mov_b32_e32 v19, v15
	v_lshl_add_u64 v[2:3], v[6:7], 0, v[18:19]
	global_load_dwordx4 v[2:5], v[2:3], off
	s_waitcnt vmcnt(0)
	v_lshrrev_b32_e32 v7, 16, v2
	v_lshrrev_b32_e32 v19, 16, v3
	;; [unrolled: 1-line block ×4, first 2 shown]
	s_and_saveexec_b64 s[18:19], s[2:3]
	s_cbranch_execz .LBB110_119
; %bb.118:                              ;   in Loop: Header=BB110_49 Depth=1
	v_cmp_gt_i32_e64 s[0:1], s33, v11
	v_add_u32_e32 v31, 1, v11
	s_nop 0
	v_cndmask_b32_e64 v2, 0, v2, s[0:1]
	v_cmp_gt_i32_e64 s[0:1], s33, v31
	v_add_u32_e32 v31, 2, v11
	s_nop 0
	v_cndmask_b32_e64 v7, 0, v7, s[0:1]
	;; [unrolled: 4-line block ×7, first 2 shown]
	v_cmp_gt_i32_e64 s[0:1], s33, v31
	s_nop 1
	v_cndmask_b32_e64 v6, 0, v6, s[0:1]
.LBB110_119:                            ;   in Loop: Header=BB110_49 Depth=1
	s_or_b64 exec, exec, s[18:19]
	v_lshlrev_b32_e32 v2, 16, v2
	v_mul_f32_e32 v23, v23, v2
	v_and_b32_e32 v2, 0x7f800000, v23
	v_cmp_ne_u32_e64 s[0:1], s26, v2
                                        ; implicit-def: $vgpr2
	s_and_saveexec_b64 s[2:3], s[0:1]
	s_xor_b64 s[0:1], exec, s[2:3]
; %bb.120:                              ;   in Loop: Header=BB110_49 Depth=1
	v_bfe_u32 v2, v23, 16, 1
	v_add3_u32 v2, v23, v2, s27
                                        ; implicit-def: $vgpr23
; %bb.121:                              ;   in Loop: Header=BB110_49 Depth=1
	s_andn2_saveexec_b64 s[2:3], s[0:1]
; %bb.122:                              ;   in Loop: Header=BB110_49 Depth=1
	v_or_b32_e32 v2, 0x10000, v23
	v_cmp_eq_u32_sdwa s[0:1], v23, v15 src0_sel:WORD_0 src1_sel:DWORD
	s_nop 1
	v_cndmask_b32_e64 v2, v2, v23, s[0:1]
; %bb.123:                              ;   in Loop: Header=BB110_49 Depth=1
	s_or_b64 exec, exec, s[2:3]
	v_lshlrev_b32_e32 v7, 16, v7
	v_mul_f32_e32 v23, v24, v7
	v_and_b32_e32 v7, 0x7f800000, v23
	v_cmp_ne_u32_e64 s[0:1], s26, v7
                                        ; implicit-def: $vgpr7
	s_and_saveexec_b64 s[2:3], s[0:1]
	s_xor_b64 s[0:1], exec, s[2:3]
; %bb.124:                              ;   in Loop: Header=BB110_49 Depth=1
	v_bfe_u32 v7, v23, 16, 1
	v_add3_u32 v7, v23, v7, s27
                                        ; implicit-def: $vgpr23
; %bb.125:                              ;   in Loop: Header=BB110_49 Depth=1
	s_andn2_saveexec_b64 s[2:3], s[0:1]
; %bb.126:                              ;   in Loop: Header=BB110_49 Depth=1
	v_or_b32_e32 v7, 0x10000, v23
	v_cmp_eq_u32_sdwa s[0:1], v23, v15 src0_sel:WORD_0 src1_sel:DWORD
	s_nop 1
	v_cndmask_b32_e64 v7, v7, v23, s[0:1]
; %bb.127:                              ;   in Loop: Header=BB110_49 Depth=1
	s_or_b64 exec, exec, s[2:3]
	v_lshlrev_b32_e32 v3, 16, v3
	v_mul_f32_e32 v23, v25, v3
	v_and_b32_e32 v3, 0x7f800000, v23
	v_cmp_ne_u32_e64 s[0:1], s26, v3
                                        ; implicit-def: $vgpr3
	s_and_saveexec_b64 s[2:3], s[0:1]
	s_xor_b64 s[0:1], exec, s[2:3]
; %bb.128:                              ;   in Loop: Header=BB110_49 Depth=1
	v_bfe_u32 v3, v23, 16, 1
	v_add3_u32 v3, v23, v3, s27
                                        ; implicit-def: $vgpr23
; %bb.129:                              ;   in Loop: Header=BB110_49 Depth=1
	s_andn2_saveexec_b64 s[2:3], s[0:1]
; %bb.130:                              ;   in Loop: Header=BB110_49 Depth=1
	v_or_b32_e32 v3, 0x10000, v23
	v_cmp_eq_u32_sdwa s[0:1], v23, v15 src0_sel:WORD_0 src1_sel:DWORD
	s_nop 1
	v_cndmask_b32_e64 v3, v3, v23, s[0:1]
; %bb.131:                              ;   in Loop: Header=BB110_49 Depth=1
	s_or_b64 exec, exec, s[2:3]
	v_lshlrev_b32_e32 v19, 16, v19
	v_mul_f32_e32 v23, v26, v19
	v_and_b32_e32 v19, 0x7f800000, v23
	v_cmp_ne_u32_e64 s[0:1], s26, v19
                                        ; implicit-def: $vgpr19
	s_and_saveexec_b64 s[2:3], s[0:1]
	s_xor_b64 s[0:1], exec, s[2:3]
; %bb.132:                              ;   in Loop: Header=BB110_49 Depth=1
	v_bfe_u32 v19, v23, 16, 1
	v_add3_u32 v19, v23, v19, s27
                                        ; implicit-def: $vgpr23
; %bb.133:                              ;   in Loop: Header=BB110_49 Depth=1
	s_andn2_saveexec_b64 s[2:3], s[0:1]
; %bb.134:                              ;   in Loop: Header=BB110_49 Depth=1
	v_or_b32_e32 v19, 0x10000, v23
	v_cmp_eq_u32_sdwa s[0:1], v23, v15 src0_sel:WORD_0 src1_sel:DWORD
	s_nop 1
	v_cndmask_b32_e64 v19, v19, v23, s[0:1]
; %bb.135:                              ;   in Loop: Header=BB110_49 Depth=1
	s_or_b64 exec, exec, s[2:3]
	v_lshlrev_b32_e32 v4, 16, v4
	v_mul_f32_e32 v23, v27, v4
	v_and_b32_e32 v4, 0x7f800000, v23
	v_cmp_ne_u32_e64 s[0:1], s26, v4
                                        ; implicit-def: $vgpr4
	s_and_saveexec_b64 s[2:3], s[0:1]
	s_xor_b64 s[0:1], exec, s[2:3]
; %bb.136:                              ;   in Loop: Header=BB110_49 Depth=1
	v_bfe_u32 v4, v23, 16, 1
	v_add3_u32 v4, v23, v4, s27
                                        ; implicit-def: $vgpr23
; %bb.137:                              ;   in Loop: Header=BB110_49 Depth=1
	s_andn2_saveexec_b64 s[2:3], s[0:1]
; %bb.138:                              ;   in Loop: Header=BB110_49 Depth=1
	v_or_b32_e32 v4, 0x10000, v23
	v_cmp_eq_u32_sdwa s[0:1], v23, v15 src0_sel:WORD_0 src1_sel:DWORD
	s_nop 1
	v_cndmask_b32_e64 v4, v4, v23, s[0:1]
; %bb.139:                              ;   in Loop: Header=BB110_49 Depth=1
	s_or_b64 exec, exec, s[2:3]
	v_lshlrev_b32_e32 v9, 16, v9
	v_mul_f32_e32 v23, v28, v9
	v_and_b32_e32 v9, 0x7f800000, v23
	v_cmp_ne_u32_e64 s[0:1], s26, v9
                                        ; implicit-def: $vgpr9
	s_and_saveexec_b64 s[2:3], s[0:1]
	s_xor_b64 s[0:1], exec, s[2:3]
; %bb.140:                              ;   in Loop: Header=BB110_49 Depth=1
	v_bfe_u32 v9, v23, 16, 1
	v_add3_u32 v9, v23, v9, s27
                                        ; implicit-def: $vgpr23
; %bb.141:                              ;   in Loop: Header=BB110_49 Depth=1
	s_andn2_saveexec_b64 s[2:3], s[0:1]
; %bb.142:                              ;   in Loop: Header=BB110_49 Depth=1
	v_or_b32_e32 v9, 0x10000, v23
	v_cmp_eq_u32_sdwa s[0:1], v23, v15 src0_sel:WORD_0 src1_sel:DWORD
	s_nop 1
	v_cndmask_b32_e64 v9, v9, v23, s[0:1]
; %bb.143:                              ;   in Loop: Header=BB110_49 Depth=1
	s_or_b64 exec, exec, s[2:3]
	v_lshlrev_b32_e32 v5, 16, v5
	v_mul_f32_e32 v23, v29, v5
	v_and_b32_e32 v5, 0x7f800000, v23
	v_cmp_ne_u32_e64 s[0:1], s26, v5
                                        ; implicit-def: $vgpr5
	s_and_saveexec_b64 s[2:3], s[0:1]
	s_xor_b64 s[0:1], exec, s[2:3]
; %bb.144:                              ;   in Loop: Header=BB110_49 Depth=1
	v_bfe_u32 v5, v23, 16, 1
	v_add3_u32 v5, v23, v5, s27
                                        ; implicit-def: $vgpr23
; %bb.145:                              ;   in Loop: Header=BB110_49 Depth=1
	s_andn2_saveexec_b64 s[2:3], s[0:1]
; %bb.146:                              ;   in Loop: Header=BB110_49 Depth=1
	v_or_b32_e32 v5, 0x10000, v23
	v_cmp_eq_u32_sdwa s[0:1], v23, v15 src0_sel:WORD_0 src1_sel:DWORD
	s_nop 1
	v_cndmask_b32_e64 v5, v5, v23, s[0:1]
; %bb.147:                              ;   in Loop: Header=BB110_49 Depth=1
	s_or_b64 exec, exec, s[2:3]
	v_lshlrev_b32_e32 v6, 16, v6
	v_mul_f32_e32 v6, v30, v6
	v_and_b32_e32 v23, 0x7f800000, v6
	v_cmp_ne_u32_e64 s[0:1], s26, v23
                                        ; implicit-def: $vgpr23
	s_and_saveexec_b64 s[2:3], s[0:1]
	s_xor_b64 s[0:1], exec, s[2:3]
; %bb.148:                              ;   in Loop: Header=BB110_49 Depth=1
	v_bfe_u32 v23, v6, 16, 1
	v_add3_u32 v23, v6, v23, s27
                                        ; implicit-def: $vgpr6
; %bb.149:                              ;   in Loop: Header=BB110_49 Depth=1
	s_andn2_saveexec_b64 s[2:3], s[0:1]
	s_cbranch_execz .LBB110_46
; %bb.150:                              ;   in Loop: Header=BB110_49 Depth=1
	v_or_b32_e32 v23, 0x10000, v6
	v_cmp_eq_u32_sdwa s[0:1], v6, v15 src0_sel:WORD_0 src1_sel:DWORD
	s_nop 1
	v_cndmask_b32_e64 v23, v23, v6, s[0:1]
	s_branch .LBB110_46
.LBB110_151:
	s_or_b64 exec, exec, s[12:13]
.LBB110_152:
	s_or_b64 exec, exec, s[8:9]
	v_and_b32_e32 v1, 0x3c0, v0
	v_cmp_eq_u32_e32 vcc, 64, v1
	s_barrier
	s_and_saveexec_b64 s[0:1], vcc
	s_cbranch_execz .LBB110_155
; %bb.153:
	v_mov_b32_e32 v1, 0xb0
	v_lshl_add_u32 v2, v20, 2, v1
	ds_write_b32 v2, v12
	s_and_b64 exec, exec, s[6:7]
	s_cbranch_execz .LBB110_155
; %bb.154:
	v_lshl_add_u32 v1, v0, 2, v1
	ds_write_b32 v1, v13
.LBB110_155:
	s_or_b64 exec, exec, s[0:1]
	v_cmp_gt_u32_e32 vcc, 64, v0
	v_or_b32_e32 v1, 64, v0
	s_waitcnt lgkmcnt(0)
	s_barrier
	s_and_saveexec_b64 s[2:3], vcc
	s_cbranch_execz .LBB110_159
; %bb.156:
	v_mov_b32_e32 v2, 0xb0
	v_lshl_add_u32 v2, v0, 2, v2
	ds_read_b32 v0, v2
	s_movk_i32 s0, 0x50
	v_cmp_gt_u32_e64 s[0:1], s0, v1
	s_and_saveexec_b64 s[6:7], s[0:1]
	s_cbranch_execz .LBB110_158
; %bb.157:
	ds_read_b32 v2, v2 offset:256
	s_waitcnt lgkmcnt(0)
	v_add_f32_e32 v13, v13, v2
.LBB110_158:
	s_or_b64 exec, exec, s[6:7]
	s_waitcnt lgkmcnt(0)
	v_add_f32_e32 v12, v12, v0
.LBB110_159:
	s_or_b64 exec, exec, s[2:3]
	s_barrier
	s_and_saveexec_b64 s[0:1], vcc
	s_cbranch_execz .LBB110_170
; %bb.160:
	s_mov_b32 s0, 0x7f800000
	v_and_b32_e32 v0, 0x7f800000, v12
	v_cmp_ne_u32_e32 vcc, s0, v0
                                        ; implicit-def: $vgpr0
	s_and_saveexec_b64 s[0:1], vcc
	s_xor_b64 s[0:1], exec, s[0:1]
; %bb.161:
	v_bfe_u32 v0, v12, 16, 1
	s_movk_i32 s2, 0x7fff
	v_add3_u32 v0, v12, v0, s2
; %bb.162:
	s_andn2_saveexec_b64 s[0:1], s[0:1]
; %bb.163:
	v_mov_b32_e32 v0, 0
	v_or_b32_e32 v2, 0x10000, v12
	v_cmp_eq_u32_sdwa vcc, v12, v0 src0_sel:WORD_0 src1_sel:DWORD
	s_nop 1
	v_cndmask_b32_e32 v0, v2, v12, vcc
; %bb.164:
	s_or_b64 exec, exec, s[0:1]
	s_mul_i32 s0, s20, s21
	s_mul_i32 s0, s0, s5
	s_mulk_i32 s0, 0x50
	s_ashr_i32 s1, s0, 31
	s_lshl_b64 s[0:1], s[0:1], 1
	s_add_u32 s3, s24, s0
	s_mul_i32 s0, s21, s22
	s_addc_u32 s5, s25, s1
	s_ashr_i32 s1, s0, 31
	s_lshl_b64 s[0:1], s[0:1], 1
	s_add_u32 s3, s3, s0
	s_mul_i32 s0, s4, 0x50
	s_addc_u32 s5, s5, s1
	s_ashr_i32 s1, s0, 31
	s_lshl_b64 s[0:1], s[0:1], 1
	s_movk_i32 s2, 0x50
	s_add_u32 s0, s3, s0
	s_addc_u32 s1, s5, s1
	v_cmp_gt_u32_e32 vcc, s2, v1
	global_store_short_d16_hi v10, v0, s[0:1]
	s_and_b64 exec, exec, vcc
	s_cbranch_execz .LBB110_170
; %bb.165:
	s_mov_b32 s2, 0x7f800000
	v_and_b32_e32 v0, 0x7f800000, v13
	v_mov_b32_e32 v11, 0
	v_cmp_ne_u32_e32 vcc, s2, v0
                                        ; implicit-def: $vgpr2
	s_and_saveexec_b64 s[2:3], vcc
	s_xor_b64 s[2:3], exec, s[2:3]
; %bb.166:
	v_bfe_u32 v0, v13, 16, 1
	s_movk_i32 s4, 0x7fff
	v_add3_u32 v2, v13, v0, s4
                                        ; implicit-def: $vgpr13
; %bb.167:
	s_or_saveexec_b64 s[2:3], s[2:3]
	v_lshl_add_u64 v[0:1], s[0:1], 0, v[10:11]
	s_xor_b64 exec, exec, s[2:3]
; %bb.168:
	v_mov_b32_e32 v2, 0
	v_or_b32_e32 v3, 0x10000, v13
	v_cmp_eq_u32_sdwa vcc, v13, v2 src0_sel:WORD_0 src1_sel:DWORD
	s_nop 1
	v_cndmask_b32_e32 v2, v3, v13, vcc
; %bb.169:
	s_or_b64 exec, exec, s[2:3]
	global_store_short_d16_hi v[0:1], v2, off offset:128
.LBB110_170:
	s_endpgm
	.section	.rodata,"a",@progbits
	.p2align	6, 0x0
	.amdhsa_kernel _ZN4vllm25paged_attention_v1_kernelI14__hip_bfloat16S1_Li80ELi8ELi128ELNS_18Fp8KVCacheDataTypeE0ELb1EEEvPT_PKS3_PKT0_S9_ifPKiSB_iPKfiiiSD_SD_iiiii
		.amdhsa_group_segment_fixed_size 176
		.amdhsa_private_segment_fixed_size 0
		.amdhsa_kernarg_size 384
		.amdhsa_user_sgpr_count 2
		.amdhsa_user_sgpr_dispatch_ptr 0
		.amdhsa_user_sgpr_queue_ptr 0
		.amdhsa_user_sgpr_kernarg_segment_ptr 1
		.amdhsa_user_sgpr_dispatch_id 0
		.amdhsa_user_sgpr_kernarg_preload_length 0
		.amdhsa_user_sgpr_kernarg_preload_offset 0
		.amdhsa_user_sgpr_private_segment_size 0
		.amdhsa_uses_dynamic_stack 0
		.amdhsa_enable_private_segment 0
		.amdhsa_system_sgpr_workgroup_id_x 1
		.amdhsa_system_sgpr_workgroup_id_y 1
		.amdhsa_system_sgpr_workgroup_id_z 1
		.amdhsa_system_sgpr_workgroup_info 0
		.amdhsa_system_vgpr_workitem_id 0
		.amdhsa_next_free_vgpr 45
		.amdhsa_next_free_sgpr 47
		.amdhsa_accum_offset 48
		.amdhsa_reserve_vcc 1
		.amdhsa_float_round_mode_32 0
		.amdhsa_float_round_mode_16_64 0
		.amdhsa_float_denorm_mode_32 3
		.amdhsa_float_denorm_mode_16_64 3
		.amdhsa_dx10_clamp 1
		.amdhsa_ieee_mode 1
		.amdhsa_fp16_overflow 0
		.amdhsa_tg_split 0
		.amdhsa_exception_fp_ieee_invalid_op 0
		.amdhsa_exception_fp_denorm_src 0
		.amdhsa_exception_fp_ieee_div_zero 0
		.amdhsa_exception_fp_ieee_overflow 0
		.amdhsa_exception_fp_ieee_underflow 0
		.amdhsa_exception_fp_ieee_inexact 0
		.amdhsa_exception_int_div_zero 0
	.end_amdhsa_kernel
	.section	.text._ZN4vllm25paged_attention_v1_kernelI14__hip_bfloat16S1_Li80ELi8ELi128ELNS_18Fp8KVCacheDataTypeE0ELb1EEEvPT_PKS3_PKT0_S9_ifPKiSB_iPKfiiiSD_SD_iiiii,"axG",@progbits,_ZN4vllm25paged_attention_v1_kernelI14__hip_bfloat16S1_Li80ELi8ELi128ELNS_18Fp8KVCacheDataTypeE0ELb1EEEvPT_PKS3_PKT0_S9_ifPKiSB_iPKfiiiSD_SD_iiiii,comdat
.Lfunc_end110:
	.size	_ZN4vllm25paged_attention_v1_kernelI14__hip_bfloat16S1_Li80ELi8ELi128ELNS_18Fp8KVCacheDataTypeE0ELb1EEEvPT_PKS3_PKT0_S9_ifPKiSB_iPKfiiiSD_SD_iiiii, .Lfunc_end110-_ZN4vllm25paged_attention_v1_kernelI14__hip_bfloat16S1_Li80ELi8ELi128ELNS_18Fp8KVCacheDataTypeE0ELb1EEEvPT_PKS3_PKT0_S9_ifPKiSB_iPKfiiiSD_SD_iiiii
                                        ; -- End function
	.section	.AMDGPU.csdata,"",@progbits
; Kernel info:
; codeLenInByte = 6952
; NumSgprs: 53
; NumVgprs: 45
; NumAgprs: 0
; TotalNumVgprs: 45
; ScratchSize: 0
; MemoryBound: 0
; FloatMode: 240
; IeeeMode: 1
; LDSByteSize: 176 bytes/workgroup (compile time only)
; SGPRBlocks: 6
; VGPRBlocks: 5
; NumSGPRsForWavesPerEU: 53
; NumVGPRsForWavesPerEU: 45
; AccumOffset: 48
; Occupancy: 8
; WaveLimiterHint : 1
; COMPUTE_PGM_RSRC2:SCRATCH_EN: 0
; COMPUTE_PGM_RSRC2:USER_SGPR: 2
; COMPUTE_PGM_RSRC2:TRAP_HANDLER: 0
; COMPUTE_PGM_RSRC2:TGID_X_EN: 1
; COMPUTE_PGM_RSRC2:TGID_Y_EN: 1
; COMPUTE_PGM_RSRC2:TGID_Z_EN: 1
; COMPUTE_PGM_RSRC2:TIDIG_COMP_CNT: 0
; COMPUTE_PGM_RSRC3_GFX90A:ACCUM_OFFSET: 11
; COMPUTE_PGM_RSRC3_GFX90A:TG_SPLIT: 0
	.section	.text._ZN4vllm25paged_attention_v1_kernelI14__hip_bfloat16S1_Li96ELi8ELi128ELNS_18Fp8KVCacheDataTypeE0ELb1EEEvPT_PKS3_PKT0_S9_ifPKiSB_iPKfiiiSD_SD_iiiii,"axG",@progbits,_ZN4vllm25paged_attention_v1_kernelI14__hip_bfloat16S1_Li96ELi8ELi128ELNS_18Fp8KVCacheDataTypeE0ELb1EEEvPT_PKS3_PKT0_S9_ifPKiSB_iPKfiiiSD_SD_iiiii,comdat
	.protected	_ZN4vllm25paged_attention_v1_kernelI14__hip_bfloat16S1_Li96ELi8ELi128ELNS_18Fp8KVCacheDataTypeE0ELb1EEEvPT_PKS3_PKT0_S9_ifPKiSB_iPKfiiiSD_SD_iiiii ; -- Begin function _ZN4vllm25paged_attention_v1_kernelI14__hip_bfloat16S1_Li96ELi8ELi128ELNS_18Fp8KVCacheDataTypeE0ELb1EEEvPT_PKS3_PKT0_S9_ifPKiSB_iPKfiiiSD_SD_iiiii
	.globl	_ZN4vllm25paged_attention_v1_kernelI14__hip_bfloat16S1_Li96ELi8ELi128ELNS_18Fp8KVCacheDataTypeE0ELb1EEEvPT_PKS3_PKT0_S9_ifPKiSB_iPKfiiiSD_SD_iiiii
	.p2align	8
	.type	_ZN4vllm25paged_attention_v1_kernelI14__hip_bfloat16S1_Li96ELi8ELi128ELNS_18Fp8KVCacheDataTypeE0ELb1EEEvPT_PKS3_PKT0_S9_ifPKiSB_iPKfiiiSD_SD_iiiii,@function
_ZN4vllm25paged_attention_v1_kernelI14__hip_bfloat16S1_Li96ELi8ELi128ELNS_18Fp8KVCacheDataTypeE0ELb1EEEvPT_PKS3_PKT0_S9_ifPKiSB_iPKfiiiSD_SD_iiiii: ; @_ZN4vllm25paged_attention_v1_kernelI14__hip_bfloat16S1_Li96ELi8ELi128ELNS_18Fp8KVCacheDataTypeE0ELb1EEEvPT_PKS3_PKT0_S9_ifPKiSB_iPKfiiiSD_SD_iiiii
; %bb.0:
	s_load_dword s5, s[0:1], 0x80
	s_load_dwordx2 s[6:7], s[0:1], 0x30
	s_load_dwordx2 s[34:35], s[0:1], 0x20
	s_mov_b32 s20, s3
	s_ashr_i32 s21, s3, 31
	s_lshl_b64 s[8:9], s[20:21], 2
	s_waitcnt lgkmcnt(0)
	s_add_u32 s6, s6, s8
	s_addc_u32 s7, s7, s9
	s_abs_i32 s3, s34
	v_cvt_f32_u32_e32 v1, s3
	s_sub_i32 s10, 0, s3
	s_abs_i32 s9, s5
	s_xor_b32 s8, s5, s34
	v_rcp_iflag_f32_e32 v1, v1
	s_ashr_i32 s8, s8, 31
	s_mov_b32 s46, 0
	v_mul_f32_e32 v1, 0x4f7ffffe, v1
	v_cvt_u32_f32_e32 v1, v1
	s_nop 0
	v_readfirstlane_b32 s11, v1
	s_mul_i32 s10, s10, s11
	s_mul_hi_u32 s10, s11, s10
	s_add_i32 s11, s11, s10
	s_mul_hi_u32 s10, s9, s11
	s_mul_i32 s11, s10, s3
	s_sub_i32 s9, s9, s11
	s_add_i32 s11, s10, 1
	s_sub_i32 s12, s9, s3
	s_cmp_ge_u32 s9, s3
	s_cselect_b32 s10, s11, s10
	s_cselect_b32 s9, s12, s9
	s_add_i32 s11, s10, 1
	s_cmp_ge_u32 s9, s3
	s_cselect_b32 s3, s11, s10
	s_xor_b32 s3, s3, s8
	s_sub_i32 s12, s3, s8
	s_abs_i32 s10, s12
	v_cvt_f32_u32_e32 v1, s10
	s_load_dwordx2 s[8:9], s[0:1], 0x40
	s_sub_i32 s3, 0, s10
	s_abs_i32 s11, s2
	v_rcp_iflag_f32_e32 v1, v1
	s_nop 0
	v_mul_f32_e32 v1, 0x4f7ffffe, v1
	v_cvt_u32_f32_e32 v1, v1
	s_nop 0
	v_readfirstlane_b32 s13, v1
	s_mul_i32 s3, s3, s13
	s_mul_hi_u32 s3, s13, s3
	s_add_i32 s13, s13, s3
	s_waitcnt lgkmcnt(0)
	s_cmp_eq_u64 s[8:9], 0
	s_mul_hi_u32 s21, s11, s13
	s_cbranch_scc1 .LBB111_2
; %bb.1:
	s_ashr_i32 s3, s2, 31
	s_lshl_b64 s[14:15], s[2:3], 2
	s_add_u32 s8, s8, s14
	s_addc_u32 s9, s9, s15
	s_load_dword s46, s[8:9], 0x0
.LBB111_2:
	s_load_dword s33, s[6:7], 0x0
	s_ashr_i32 s25, s12, 31
	s_load_dwordx4 s[12:15], s[0:1], 0x48
	s_movk_i32 s3, 0x60
	s_ashr_i32 s24, s2, 31
	v_and_b32_e32 v4, 7, v0
	s_mul_i32 s22, s2, 0x60
	v_cmp_gt_u32_e64 s[6:7], s3, v0
	v_lshlrev_b32_e32 v10, 1, v0
	s_and_saveexec_b64 s[8:9], s[6:7]
	s_cbranch_execz .LBB111_4
; %bb.3:
	s_load_dwordx2 s[16:17], s[0:1], 0x8
	s_waitcnt lgkmcnt(0)
	s_mul_i32 s18, s20, s12
	s_ashr_i32 s19, s18, 31
	s_lshl_b64 s[18:19], s[18:19], 1
	v_lshrrev_b32_e32 v2, 2, v0
	s_add_u32 s3, s16, s18
	s_addc_u32 s12, s17, s19
	s_ashr_i32 s23, s22, 31
	s_lshl_b64 s[16:17], s[22:23], 1
	s_add_u32 s16, s3, s16
	s_addc_u32 s17, s12, s17
	global_load_ushort v1, v10, s[16:17]
	v_and_b32_e32 v2, 0xfe, v2
	v_mad_u32_u24 v2, v4, 24, v2
	s_waitcnt vmcnt(0)
	ds_write_b16 v2, v1
.LBB111_4:
	s_or_b64 exec, exec, s[8:9]
	s_mul_i32 s9, s21, s10
	s_sub_i32 s9, s11, s9
	s_xor_b32 s8, s24, s25
	s_add_i32 s11, s21, 1
	s_waitcnt lgkmcnt(0)
	s_sub_i32 s12, s9, s10
	s_load_dwordx4 s[16:19], s[0:1], 0x68
	s_load_dword s3, s[0:1], 0x78
	s_cmp_ge_u32 s9, s10
	s_cselect_b32 s11, s11, s21
	s_cselect_b32 s9, s12, s9
	s_add_i32 s12, s11, 1
	s_cmp_ge_u32 s9, s10
	s_cselect_b32 s9, s12, s11
	s_waitcnt lgkmcnt(0)
	s_abs_i32 s23, s19
	v_cvt_f32_u32_e32 v1, s23
	s_xor_b32 s9, s9, s8
	s_sub_i32 s10, s9, s8
	s_sub_i32 s8, 0, s23
	v_rcp_iflag_f32_e32 v1, v1
	s_add_i32 s15, s33, -1
	s_abs_i32 s11, s15
	v_mul_f32_e32 v1, 0x4f7ffffe, v1
	v_cvt_u32_f32_e32 v1, v1
	s_barrier
	v_readfirstlane_b32 s42, v1
	s_mul_i32 s8, s8, s42
	s_mul_hi_u32 s8, s42, s8
	s_add_i32 s42, s42, s8
	s_cmp_lt_i32 s3, 0
	s_mul_hi_u32 s12, s11, s42
	s_cbranch_scc0 .LBB111_6
; %bb.5:
	s_mul_i32 s8, s16, s34
	s_add_i32 s8, s10, s8
	s_mul_i32 s8, s8, s3
	s_sub_i32 s43, 1, s8
	s_mov_b64 s[8:9], 0
	s_branch .LBB111_7
.LBB111_6:
	s_mov_b64 s[8:9], -1
                                        ; implicit-def: $sgpr43
.LBB111_7:
	s_load_dwordx2 s[26:27], s[0:1], 0x28
	s_ashr_i32 s15, s15, 31
	s_andn2_b64 vcc, exec, s[8:9]
	s_ashr_i32 s44, s19, 31
	s_cbranch_vccnz .LBB111_9
; %bb.8:
	s_mul_i32 s8, s5, s16
	s_add_i32 s2, s8, s2
	s_mul_i32 s2, s2, s3
	s_add_i32 s43, s2, 1
.LBB111_9:
	s_load_dword s2, s[0:1], 0x38
	s_load_dwordx2 s[24:25], s[0:1], 0x0
	s_load_dwordx2 s[30:31], s[0:1], 0x18
	s_load_dword s21, s[0:1], 0x88
	s_xor_b32 s3, s15, s44
	s_waitcnt lgkmcnt(0)
	s_mul_i32 s28, s20, s2
	s_mul_i32 s2, s12, s23
	s_sub_i32 s2, s11, s2
	s_ashr_i32 s29, s28, 31
	s_add_i32 s8, s12, 1
	s_sub_i32 s9, s2, s23
	s_cmp_ge_u32 s2, s23
	s_cselect_b32 s8, s8, s12
	s_cselect_b32 s2, s9, s2
	s_add_i32 s9, s8, 1
	s_cmp_ge_u32 s2, s23
	s_cselect_b32 s2, s9, s8
	s_xor_b32 s2, s2, s3
	s_sub_i32 s12, s2, s3
	s_add_i32 s2, s33, 7
	s_ashr_i32 s3, s2, 31
	s_lshr_b32 s3, s3, 29
	s_add_i32 s2, s2, s3
	s_ashr_i32 s45, s2, 3
	v_lshrrev_b32_e32 v1, 6, v0
	v_cmp_gt_i32_e64 s[2:3], s45, v1
	v_mov_b32_e32 v12, 0xff7fffff
	s_mul_i32 s14, s10, s14
	v_lshrrev_b32_e32 v6, 4, v0
	v_lshlrev_b32_e32 v11, 3, v1
	v_mbcnt_lo_u32_b32 v7, -1, 0
	s_and_saveexec_b64 s[36:37], s[2:3]
	s_cbranch_execz .LBB111_19
; %bb.10:
	s_load_dwordx2 s[0:1], s[0:1], 0x10
	s_ashr_i32 s15, s14, 31
	s_sub_i32 s16, s12, s17
	s_lshl_b64 s[8:9], s[14:15], 1
	v_bfe_u32 v8, v0, 3, 3
	s_waitcnt lgkmcnt(0)
	s_add_u32 s0, s0, s8
	s_addc_u32 s1, s1, s9
	s_abs_i32 s15, s18
	v_cvt_f32_u32_e32 v2, s15
	v_lshlrev_b32_e32 v14, 4, v8
	v_mov_b32_e32 v15, 0
	s_sub_i32 s8, 0, s15
	v_rcp_iflag_f32_e32 v5, v2
	v_cmp_eq_u32_e32 vcc, 0, v4
	v_lshl_add_u64 v[2:3], s[0:1], 0, v[14:15]
	v_lshlrev_b32_e32 v14, 1, v4
	v_mul_f32_e32 v5, 0x4f7ffffe, v5
	v_cvt_u32_f32_e32 v5, v5
	v_mul_u32_u24_e32 v9, 24, v4
	v_lshlrev_b32_e32 v12, 2, v8
	v_lshl_add_u64 v[2:3], v[2:3], 0, v[14:15]
	v_mul_lo_u32 v4, s8, v5
	s_lshl_b64 s[8:9], s[28:29], 2
	s_add_u32 s8, s26, s8
	v_mul_hi_u32 v4, v5, v4
	v_and_b32_e32 v14, 60, v6
	s_addc_u32 s9, s27, s9
	v_lshl_or_b32 v12, v1, 5, v12
	v_add_u32_e32 v13, v5, v4
	v_lshl_add_u64 v[4:5], s[8:9], 0, v[14:15]
	v_add_u32_e32 v15, 0xd0, v12
	v_subrev_u32_e32 v12, s33, v8
	v_mbcnt_hi_u32_b32 v18, -1, v7
	v_add_u32_e32 v16, 1, v12
	v_and_b32_e32 v12, 64, v18
	s_mov_b32 s19, s13
	v_cmp_neq_f32_e64 s[0:1], s46, 0
	v_lshlrev_b32_e32 v14, 3, v1
	s_mov_b64 s[38:39], 0
	v_mov_b32_e32 v17, 0xff7fffff
	v_add_u32_e32 v19, 64, v12
	v_xor_b32_e32 v20, 4, v18
	v_xor_b32_e32 v21, 2, v18
	;; [unrolled: 1-line block ×3, first 2 shown]
	v_mov_b32_e32 v12, 0xff7fffff
	v_mov_b32_e32 v23, v1
	s_branch .LBB111_13
.LBB111_11:                             ;   in Loop: Header=BB111_13 Depth=1
	s_or_b64 exec, exec, s[40:41]
.LBB111_12:                             ;   in Loop: Header=BB111_13 Depth=1
	s_or_b64 exec, exec, s[10:11]
	v_add_u32_e32 v23, 2, v23
	v_cmp_le_i32_e64 s[8:9], s45, v23
	v_lshl_add_u64 v[4:5], v[4:5], 0, 8
	v_add_u32_e32 v14, 16, v14
	s_or_b64 s[38:39], s[8:9], s[38:39]
	v_add_u32_e32 v15, 64, v15
	s_andn2_b64 exec, exec, s[38:39]
	s_cbranch_execz .LBB111_18
.LBB111_13:                             ; =>This Inner Loop Header: Depth=1
	v_mul_hi_u32 v24, v14, s42
	s_waitcnt lgkmcnt(0)
	v_mul_lo_u32 v25, v24, s23
	v_sub_u32_e32 v25, v14, v25
	v_add_u32_e32 v26, 1, v24
	v_cmp_le_u32_e64 s[8:9], s23, v25
	s_nop 1
	v_cndmask_b32_e64 v24, v24, v26, s[8:9]
	v_subrev_u32_e32 v26, s23, v25
	v_cndmask_b32_e64 v25, v25, v26, s[8:9]
	v_add_u32_e32 v26, 1, v24
	v_cmp_le_u32_e64 s[8:9], s23, v25
	s_nop 1
	v_cndmask_b32_e64 v24, v24, v26, s[8:9]
	v_xor_b32_e32 v24, s44, v24
	v_subrev_u32_e32 v24, s44, v24
	v_add_u32_e32 v25, s43, v24
	v_sub_u32_e32 v27, 0, v25
	v_ashrrev_i32_e32 v26, 31, v25
	v_max_i32_e32 v25, v25, v27
	v_mul_hi_u32 v27, v25, v13
	v_mul_lo_u32 v27, v27, s15
	v_sub_u32_e32 v25, v25, v27
	v_subrev_u32_e32 v27, s15, v25
	v_cmp_le_u32_e64 s[8:9], s15, v25
	v_cmp_ge_i32_e64 s[10:11], s16, v24
	s_nop 0
	v_cndmask_b32_e64 v25, v25, v27, s[8:9]
	v_subrev_u32_e32 v27, s15, v25
	v_cmp_le_u32_e64 s[8:9], s15, v25
	s_nop 1
	v_cndmask_b32_e64 v25, v25, v27, s[8:9]
	v_xor_b32_e32 v25, v25, v26
	v_sub_u32_e32 v25, v25, v26
	v_cmp_ne_u32_e64 s[8:9], 0, v25
	s_and_b64 s[8:9], s[8:9], s[10:11]
	s_and_b64 s[40:41], vcc, s[8:9]
	s_and_saveexec_b64 s[10:11], s[40:41]
	s_cbranch_execz .LBB111_15
; %bb.14:                               ;   in Loop: Header=BB111_13 Depth=1
	ds_write_b32 v15, v17
.LBB111_15:                             ;   in Loop: Header=BB111_13 Depth=1
	s_or_b64 exec, exec, s[10:11]
	s_xor_b64 s[8:9], s[8:9], -1
	s_and_saveexec_b64 s[10:11], s[8:9]
	s_cbranch_execz .LBB111_12
; %bb.16:                               ;   in Loop: Header=BB111_13 Depth=1
	global_load_dword v24, v[4:5], off
	s_waitcnt vmcnt(0)
	v_mad_i64_i32 v[24:25], s[8:9], v24, s19, 0
	v_lshl_add_u64 v[24:25], v[24:25], 1, v[2:3]
	global_load_ushort v30, v[24:25], off
	global_load_ushort v31, v[24:25], off offset:128
	global_load_ushort v32, v[24:25], off offset:256
	;; [unrolled: 1-line block ×11, first 2 shown]
	ds_read2_b64 v[24:27], v9 offset1:1
	ds_read_b64 v[28:29], v9 offset:16
	v_cmp_lt_i32_e64 s[8:9], v20, v19
	s_waitcnt lgkmcnt(1)
	v_lshlrev_b32_e32 v43, 16, v24
	v_and_b32_e32 v24, 0xffff0000, v24
	v_lshlrev_b32_e32 v44, 16, v25
	v_and_b32_e32 v25, 0xffff0000, v25
	;; [unrolled: 2-line block ×4, first 2 shown]
	s_waitcnt lgkmcnt(0)
	v_lshlrev_b32_e32 v47, 16, v28
	v_and_b32_e32 v28, 0xffff0000, v28
	v_lshlrev_b32_e32 v48, 16, v29
	v_cndmask_b32_e64 v42, v18, v20, s[8:9]
	v_and_b32_e32 v29, 0xffff0000, v29
	v_lshlrev_b32_e32 v42, 2, v42
	v_cmp_lt_i32_e64 s[8:9], v21, v19
	s_waitcnt vmcnt(11)
	v_lshlrev_b32_e32 v30, 16, v30
	s_waitcnt vmcnt(10)
	v_lshlrev_b32_e32 v31, 16, v31
	v_mul_f32_e32 v24, v24, v31
	s_waitcnt vmcnt(9)
	v_lshlrev_b32_e32 v32, 16, v32
	v_fmac_f32_e32 v24, v43, v30
	s_waitcnt vmcnt(8)
	v_lshlrev_b32_e32 v33, 16, v33
	v_fmac_f32_e32 v24, v44, v32
	s_waitcnt vmcnt(7)
	v_lshlrev_b32_e32 v34, 16, v34
	v_fmac_f32_e32 v24, v25, v33
	s_waitcnt vmcnt(6)
	v_lshlrev_b32_e32 v35, 16, v35
	v_fmac_f32_e32 v24, v45, v34
	s_waitcnt vmcnt(5)
	v_lshlrev_b32_e32 v36, 16, v36
	v_fmac_f32_e32 v24, v26, v35
	s_waitcnt vmcnt(4)
	v_lshlrev_b32_e32 v37, 16, v37
	v_fmac_f32_e32 v24, v46, v36
	s_waitcnt vmcnt(3)
	v_lshlrev_b32_e32 v38, 16, v38
	v_fmac_f32_e32 v24, v27, v37
	s_waitcnt vmcnt(2)
	v_lshlrev_b32_e32 v39, 16, v39
	v_fmac_f32_e32 v24, v47, v38
	s_waitcnt vmcnt(1)
	v_lshlrev_b32_e32 v40, 16, v40
	v_fmac_f32_e32 v24, v28, v39
	v_fmac_f32_e32 v24, v48, v40
	s_waitcnt vmcnt(0)
	v_lshlrev_b32_e32 v25, 16, v41
	v_fmac_f32_e32 v24, v29, v25
	ds_bpermute_b32 v25, v42, v24
	v_cndmask_b32_e64 v26, v18, v21, s[8:9]
	v_lshlrev_b32_e32 v26, 2, v26
	v_cmp_lt_i32_e64 s[8:9], v22, v19
	s_waitcnt lgkmcnt(0)
	v_add_f32_e32 v24, v24, v25
	ds_bpermute_b32 v25, v26, v24
	v_cndmask_b32_e64 v26, v18, v22, s[8:9]
	v_lshlrev_b32_e32 v26, 2, v26
	s_waitcnt lgkmcnt(0)
	v_add_f32_e32 v24, v24, v25
	ds_bpermute_b32 v25, v26, v24
	s_and_saveexec_b64 s[40:41], vcc
	s_cbranch_execz .LBB111_11
; %bb.17:                               ;   in Loop: Header=BB111_13 Depth=1
	v_add_u32_e32 v26, v16, v14
	v_cvt_f32_i32_e32 v26, v26
	s_waitcnt lgkmcnt(0)
	v_add_f32_e32 v24, v24, v25
	v_add_u32_e32 v27, v8, v14
	v_cmp_gt_i32_e64 s[8:9], s33, v27
	v_mul_f32_e32 v25, s46, v26
	v_cndmask_b32_e64 v25, 0, v25, s[0:1]
	v_fmac_f32_e32 v25, s35, v24
	v_cndmask_b32_e64 v24, 0, v25, s[8:9]
	ds_write_b32 v15, v24
	v_max_f32_e32 v24, v12, v12
	v_max_f32_e32 v24, v24, v25
	v_cndmask_b32_e64 v12, v12, v24, s[8:9]
	s_branch .LBB111_11
.LBB111_18:
	s_or_b64 exec, exec, s[38:39]
.LBB111_19:
	s_or_b64 exec, exec, s[36:37]
	v_mbcnt_hi_u32_b32 v2, -1, v7
	v_and_b32_e32 v3, 64, v2
	v_add_u32_e32 v3, 64, v3
	v_xor_b32_e32 v4, 32, v2
	v_cmp_lt_i32_e32 vcc, v4, v3
	v_xor_b32_e32 v8, 16, v2
	v_max_f32_e32 v7, v12, v12
	v_cndmask_b32_e32 v4, v2, v4, vcc
	v_lshlrev_b32_e32 v5, 2, v4
	ds_bpermute_b32 v4, v5, v12
	v_cmp_lt_i32_e32 vcc, v8, v3
	v_xor_b32_e32 v9, 8, v2
	v_and_b32_e32 v20, 63, v0
	s_waitcnt lgkmcnt(0)
	v_max_f32_e32 v4, v4, v4
	v_max_f32_e32 v4, v7, v4
	v_cndmask_b32_e32 v7, v2, v8, vcc
	v_lshlrev_b32_e32 v8, 2, v7
	ds_bpermute_b32 v7, v8, v4
	v_cmp_lt_i32_e32 vcc, v9, v3
	s_waitcnt lgkmcnt(0)
	v_max_f32_e32 v7, v7, v7
	v_max_f32_e32 v7, v4, v7
	v_cndmask_b32_e32 v4, v2, v9, vcc
	v_lshlrev_b32_e32 v12, 2, v4
	ds_bpermute_b32 v9, v12, v7
	v_cmp_eq_u32_e32 vcc, 0, v20
	v_lshlrev_b32_e32 v4, 2, v1
	s_and_saveexec_b64 s[0:1], vcc
	s_cbranch_execz .LBB111_21
; %bb.20:
	s_waitcnt lgkmcnt(0)
	v_max_f32_e32 v9, v9, v9
	v_max_f32_e32 v7, v7, v7
	;; [unrolled: 1-line block ×3, first 2 shown]
	ds_write_b32 v4, v7 offset:192
.LBB111_21:
	s_or_b64 exec, exec, s[0:1]
	v_cmp_gt_u32_e64 s[0:1], 2, v20
	v_mov_b32_e32 v13, 0xff7fffff
	v_lshlrev_b32_e32 v7, 2, v20
	s_waitcnt lgkmcnt(0)
	s_barrier
	s_and_saveexec_b64 s[8:9], s[0:1]
	s_cbranch_execz .LBB111_23
; %bb.22:
	ds_read_b32 v13, v7 offset:192
.LBB111_23:
	s_or_b64 exec, exec, s[8:9]
	v_xor_b32_e32 v9, 1, v2
	v_cmp_lt_i32_e64 s[8:9], v9, v3
	v_lshlrev_b32_e32 v15, 2, v2
	s_nop 0
	v_cndmask_b32_e64 v9, v2, v9, s[8:9]
	v_lshlrev_b32_e32 v9, 2, v9
	s_waitcnt lgkmcnt(0)
	ds_bpermute_b32 v14, v9, v13
	v_max_f32_e32 v13, v13, v13
	s_lshl_b32 s8, s45, 3
	s_min_i32 s15, s8, s33
	v_cmp_gt_i32_e64 s[8:9], s15, v0
	s_waitcnt lgkmcnt(0)
	v_max_f32_e32 v14, v14, v14
	v_max_f32_e32 v14, v13, v14
	v_and_b32_e32 v13, 0x100, v15
	ds_bpermute_b32 v15, v13, v14
	v_mov_b32_e32 v14, 0
	s_and_saveexec_b64 s[34:35], s[8:9]
	s_cbranch_execz .LBB111_27
; %bb.24:
	v_mov_b32_e32 v14, 0xd0
	v_lshl_add_u32 v16, v0, 2, v14
	s_mov_b64 s[36:37], 0
	v_mov_b32_e32 v14, 0
	v_mov_b32_e32 v17, v0
.LBB111_25:                             ; =>This Inner Loop Header: Depth=1
	ds_read_b32 v18, v16
	v_add_u32_e32 v17, 0x80, v17
	v_cmp_le_i32_e64 s[10:11], s15, v17
	s_or_b64 s[36:37], s[10:11], s[36:37]
	s_waitcnt lgkmcnt(0)
	v_sub_f32_e32 v18, v18, v15
	v_mul_f32_e32 v18, 0x3fb8aa3b, v18
	v_exp_f32_e32 v18, v18
	ds_write_b32 v16, v18
	v_add_f32_e32 v14, v14, v18
	v_add_u32_e32 v16, 0x200, v16
	s_andn2_b64 exec, exec, s[36:37]
	s_cbranch_execnz .LBB111_25
; %bb.26:
	s_or_b64 exec, exec, s[36:37]
.LBB111_27:
	s_or_b64 exec, exec, s[34:35]
	ds_bpermute_b32 v5, v5, v14
	s_waitcnt lgkmcnt(0)
	v_add_f32_e32 v5, v14, v5
	ds_bpermute_b32 v8, v8, v5
	s_waitcnt lgkmcnt(0)
	v_add_f32_e32 v5, v5, v8
	ds_bpermute_b32 v8, v12, v5
	v_xor_b32_e32 v12, 4, v2
	v_cmp_lt_i32_e64 s[10:11], v12, v3
	s_waitcnt lgkmcnt(0)
	v_add_f32_e32 v5, v5, v8
	v_cndmask_b32_e64 v12, v2, v12, s[10:11]
	v_lshlrev_b32_e32 v12, 2, v12
	ds_bpermute_b32 v8, v12, v5
	v_xor_b32_e32 v12, 2, v2
	v_cmp_lt_i32_e64 s[10:11], v12, v3
	s_waitcnt lgkmcnt(0)
	v_add_f32_e32 v3, v5, v8
	v_cndmask_b32_e64 v2, v2, v12, s[10:11]
	v_lshlrev_b32_e32 v2, 2, v2
	ds_bpermute_b32 v2, v2, v3
	s_waitcnt lgkmcnt(0)
	v_add_f32_e32 v2, v3, v2
	ds_bpermute_b32 v3, v9, v2
	s_waitcnt lgkmcnt(0)
	v_add_f32_e32 v2, v2, v3
	s_and_saveexec_b64 s[10:11], vcc
	s_cbranch_execz .LBB111_29
; %bb.28:
	ds_write_b32 v4, v2 offset:200
.LBB111_29:
	s_or_b64 exec, exec, s[10:11]
	s_waitcnt lgkmcnt(0)
	s_barrier
	s_and_saveexec_b64 s[10:11], s[0:1]
	s_cbranch_execz .LBB111_31
; %bb.30:
	ds_read_b32 v2, v7 offset:200
.LBB111_31:
	s_or_b64 exec, exec, s[10:11]
	s_waitcnt lgkmcnt(0)
	ds_bpermute_b32 v3, v9, v2
	s_waitcnt lgkmcnt(0)
	v_add_f32_e32 v2, v2, v3
	ds_bpermute_b32 v2, v13, v2
	s_and_saveexec_b64 s[0:1], s[8:9]
	s_cbranch_execz .LBB111_44
; %bb.32:
	s_waitcnt lgkmcnt(0)
	v_add_f32_e32 v2, 0x358637bd, v2
	v_div_scale_f32 v3, s[8:9], v2, v2, 1.0
	v_rcp_f32_e32 v4, v3
	v_div_scale_f32 v5, vcc, 1.0, v2, 1.0
	s_movk_i32 s8, 0x7f
	v_fma_f32 v7, -v3, v4, 1.0
	v_fmac_f32_e32 v4, v7, v4
	v_mul_f32_e32 v7, v5, v4
	v_fma_f32 v8, -v3, v7, v5
	v_fmac_f32_e32 v7, v8, v4
	v_fma_f32 v3, -v3, v7, v5
	v_div_fmas_f32 v3, v3, v4, v7
	v_xad_u32 v4, v0, -1, s15
	v_div_fixup_f32 v2, v3, v2, 1.0
	v_cmp_lt_u32_e32 vcc, s8, v4
	s_mov_b64 s[10:11], -1
	v_mov_b32_e32 v3, v0
	s_and_saveexec_b64 s[8:9], vcc
	s_cbranch_execz .LBB111_41
; %bb.33:
	v_lshrrev_b32_e32 v4, 7, v4
	v_add_u32_e32 v7, -1, v4
	v_lshrrev_b32_e32 v5, 1, v7
	v_mov_b32_e32 v3, v2
	v_add_u32_e32 v5, 1, v5
	v_cmp_lt_u32_e32 vcc, 13, v7
	v_mov_b32_e32 v9, 0
	s_and_saveexec_b64 s[10:11], vcc
	s_cbranch_execz .LBB111_37
; %bb.34:
	v_mov_b32_e32 v8, 0xd0
	v_and_b32_e32 v7, -8, v5
	v_lshl_add_u32 v8, v0, 2, v8
	s_mov_b32 s16, 0
	s_mov_b64 s[34:35], 0
.LBB111_35:                             ; =>This Inner Loop Header: Depth=1
	ds_read2st64_b32 v[12:13], v8 offset1:2
	ds_read2st64_b32 v[14:15], v8 offset0:4 offset1:6
	ds_read2st64_b32 v[16:17], v8 offset0:8 offset1:10
	;; [unrolled: 1-line block ×3, first 2 shown]
	v_add_u32_e32 v7, -8, v7
	s_waitcnt lgkmcnt(3)
	v_pk_mul_f32 v[12:13], v[2:3], v[12:13]
	s_waitcnt lgkmcnt(2)
	v_pk_mul_f32 v[14:15], v[2:3], v[14:15]
	ds_write2st64_b32 v8, v12, v13 offset1:2
	ds_write2st64_b32 v8, v14, v15 offset0:4 offset1:6
	ds_read2st64_b32 v[14:15], v8 offset0:16 offset1:18
	s_waitcnt lgkmcnt(4)
	v_pk_mul_f32 v[12:13], v[2:3], v[16:17]
	ds_write2st64_b32 v8, v12, v13 offset0:8 offset1:10
	s_waitcnt lgkmcnt(4)
	v_pk_mul_f32 v[12:13], v[2:3], v[18:19]
	ds_write2st64_b32 v8, v12, v13 offset0:12 offset1:14
	ds_read2st64_b32 v[12:13], v8 offset0:20 offset1:22
	s_waitcnt lgkmcnt(3)
	v_pk_mul_f32 v[14:15], v[2:3], v[14:15]
	ds_read2st64_b32 v[16:17], v8 offset0:24 offset1:26
	ds_write2st64_b32 v8, v14, v15 offset0:16 offset1:18
	ds_read2st64_b32 v[14:15], v8 offset0:28 offset1:30
	s_waitcnt lgkmcnt(3)
	v_pk_mul_f32 v[12:13], v[2:3], v[12:13]
	ds_write2st64_b32 v8, v12, v13 offset0:20 offset1:22
	s_waitcnt lgkmcnt(3)
	v_pk_mul_f32 v[12:13], v[2:3], v[16:17]
	ds_write2st64_b32 v8, v12, v13 offset0:24 offset1:26
	s_waitcnt lgkmcnt(2)
	v_pk_mul_f32 v[12:13], v[2:3], v[14:15]
	s_add_i32 s16, s16, 16
	v_cmp_eq_u32_e32 vcc, 0, v7
	ds_write2st64_b32 v8, v12, v13 offset0:28 offset1:30
	v_add_u32_e32 v8, 0x2000, v8
	s_or_b64 s[34:35], vcc, s[34:35]
	v_mov_b32_e32 v9, s16
	s_andn2_b64 exec, exec, s[34:35]
	s_cbranch_execnz .LBB111_35
; %bb.36:
	s_or_b64 exec, exec, s[34:35]
.LBB111_37:
	s_or_b64 exec, exec, s[10:11]
	v_and_b32_e32 v5, 7, v5
	v_cmp_ne_u32_e32 vcc, 0, v5
	s_and_saveexec_b64 s[10:11], vcc
	s_cbranch_execz .LBB111_40
; %bb.38:
	v_lshlrev_b32_e32 v7, 9, v9
	v_lshlrev_b32_e32 v8, 2, v0
	s_movk_i32 s16, 0xd0
	v_add3_u32 v7, v7, v8, s16
	s_mov_b64 s[34:35], 0
.LBB111_39:                             ; =>This Inner Loop Header: Depth=1
	ds_read2st64_b32 v[8:9], v7 offset1:2
	v_add_u32_e32 v5, -1, v5
	v_cmp_eq_u32_e32 vcc, 0, v5
	s_or_b64 s[34:35], vcc, s[34:35]
	s_waitcnt lgkmcnt(0)
	v_pk_mul_f32 v[8:9], v[2:3], v[8:9]
	ds_write2st64_b32 v7, v8, v9 offset1:2
	v_add_u32_e32 v7, 0x400, v7
	s_andn2_b64 exec, exec, s[34:35]
	s_cbranch_execnz .LBB111_39
.LBB111_40:
	s_or_b64 exec, exec, s[10:11]
	v_add_u32_e32 v4, 1, v4
	v_and_b32_e32 v5, 0x3fffffe, v4
	v_cmp_ne_u32_e32 vcc, v4, v5
	v_lshl_add_u32 v3, v5, 7, v0
	s_orn2_b64 s[10:11], vcc, exec
.LBB111_41:
	s_or_b64 exec, exec, s[8:9]
	s_and_b64 exec, exec, s[10:11]
	s_cbranch_execz .LBB111_44
; %bb.42:
	v_mov_b32_e32 v4, 0xd0
	v_lshl_add_u32 v4, v3, 2, v4
	s_mov_b64 s[8:9], 0
.LBB111_43:                             ; =>This Inner Loop Header: Depth=1
	ds_read_b32 v5, v4
	v_add_u32_e32 v3, 0x80, v3
	v_cmp_le_i32_e32 vcc, s15, v3
	s_or_b64 s[8:9], vcc, s[8:9]
	s_waitcnt lgkmcnt(0)
	v_mul_f32_e32 v5, v2, v5
	ds_write_b32 v4, v5
	v_add_u32_e32 v4, 0x200, v4
	s_andn2_b64 exec, exec, s[8:9]
	s_cbranch_execnz .LBB111_43
.LBB111_44:
	s_or_b64 exec, exec, s[0:1]
	v_mov_b32_e32 v13, 0
	v_mov_b32_e32 v12, v13
	s_waitcnt lgkmcnt(0)
	s_barrier
	s_and_saveexec_b64 s[8:9], s[2:3]
	s_cbranch_execz .LBB111_152
; %bb.45:
	s_ashr_i32 s15, s14, 31
	s_sub_i32 s34, s12, s17
	s_lshl_b64 s[0:1], s[14:15], 1
	s_add_u32 s10, s30, s0
	s_addc_u32 s11, s31, s1
	s_abs_i32 s30, s18
	v_cvt_f32_u32_e32 v3, s30
	v_or_b32_e32 v4, 64, v20
	s_movk_i32 s0, 0x60
	v_cmp_gt_u32_e32 vcc, s0, v4
	v_rcp_iflag_f32_e32 v3, v3
	s_sub_i32 s0, 0, s30
	s_add_i32 s35, s45, -1
	v_lshlrev_b32_e32 v2, 3, v20
	v_mul_f32_e32 v3, 0x4f7ffffe, v3
	v_cvt_u32_f32_e32 v3, v3
	v_mov_b32_e32 v15, 0
	v_lshlrev_b32_e32 v4, 3, v4
	v_and_b32_e32 v14, 60, v6
	v_mul_lo_u32 v5, s0, v3
	s_lshl_b64 s[0:1], s[28:29], 2
	v_mul_hi_u32 v5, v3, v5
	s_add_u32 s0, s26, s0
	v_add_u32_e32 v21, v3, v5
	s_addc_u32 s1, s27, s1
	v_mov_b32_e32 v3, 0xd0
	s_mov_b32 s31, s13
	v_lshl_add_u64 v[16:17], s[0:1], 0, v[14:15]
	v_lshl_add_u32 v22, v1, 5, v3
	s_mov_b64 s[12:13], 0
	s_mov_b32 s26, 0x7f800000
	s_movk_i32 s27, 0x7fff
	v_lshlrev_b32_e32 v14, 1, v2
	v_lshlrev_b32_e32 v18, 1, v4
	v_mov_b32_e32 v12, v15
	v_mov_b32_e32 v13, v15
	s_branch .LBB111_49
.LBB111_46:                             ;   in Loop: Header=BB111_49 Depth=1
	s_or_b64 exec, exec, s[2:3]
	v_and_b32_e32 v27, 0xffff0000, v19
	v_and_b32_e32 v26, 0xffff0000, v7
	;; [unrolled: 1-line block ×4, first 2 shown]
	v_pk_add_f32 v[2:3], v[2:3], v[26:27]
	v_and_b32_e32 v25, 0xffff0000, v23
	v_and_b32_e32 v24, 0xffff0000, v9
	;; [unrolled: 1-line block ×4, first 2 shown]
	v_mov_b32_e32 v6, v3
	v_pk_add_f32 v[2:3], v[2:3], v[6:7]
	v_pk_add_f32 v[4:5], v[4:5], v[24:25]
	s_nop 0
	v_pk_add_f32 v[2:3], v[2:3], v[4:5]
	v_mov_b32_e32 v4, v5
	v_pk_add_f32 v[2:3], v[2:3], v[4:5]
	s_nop 0
	v_mov_b32_e32 v3, v2
	v_pk_add_f32 v[12:13], v[12:13], v[2:3]
.LBB111_47:                             ;   in Loop: Header=BB111_49 Depth=1
	s_or_b64 exec, exec, s[16:17]
	v_mov_b32_e32 v12, v8
.LBB111_48:                             ;   in Loop: Header=BB111_49 Depth=1
	s_or_b64 exec, exec, s[14:15]
	v_add_u32_e32 v1, 2, v1
	v_cmp_le_i32_e64 s[0:1], s45, v1
	v_lshl_add_u64 v[16:17], v[16:17], 0, 8
	v_add_u32_e32 v11, 16, v11
	s_or_b64 s[12:13], s[0:1], s[12:13]
	v_add_u32_e32 v22, 64, v22
	s_andn2_b64 exec, exec, s[12:13]
	s_cbranch_execz .LBB111_151
.LBB111_49:                             ; =>This Inner Loop Header: Depth=1
	v_mul_hi_u32 v2, v11, s42
	v_mul_lo_u32 v3, v2, s23
	v_sub_u32_e32 v3, v11, v3
	v_add_u32_e32 v4, 1, v2
	v_cmp_le_u32_e64 s[0:1], s23, v3
	s_nop 1
	v_cndmask_b32_e64 v2, v2, v4, s[0:1]
	v_subrev_u32_e32 v4, s23, v3
	v_cndmask_b32_e64 v3, v3, v4, s[0:1]
	v_add_u32_e32 v4, 1, v2
	v_cmp_le_u32_e64 s[0:1], s23, v3
	s_nop 1
	v_cndmask_b32_e64 v2, v2, v4, s[0:1]
	v_xor_b32_e32 v2, s44, v2
	v_subrev_u32_e32 v2, s44, v2
	v_add_u32_e32 v3, s43, v2
	v_sub_u32_e32 v5, 0, v3
	v_ashrrev_i32_e32 v4, 31, v3
	v_max_i32_e32 v3, v3, v5
	v_mul_hi_u32 v5, v3, v21
	v_mul_lo_u32 v5, v5, s30
	v_sub_u32_e32 v3, v3, v5
	v_subrev_u32_e32 v5, s30, v3
	v_cmp_le_u32_e64 s[0:1], s30, v3
	v_cmp_lt_i32_e64 s[2:3], s34, v2
	s_nop 0
	v_cndmask_b32_e64 v3, v3, v5, s[0:1]
	v_subrev_u32_e32 v5, s30, v3
	v_cmp_le_u32_e64 s[0:1], s30, v3
	s_nop 1
	v_cndmask_b32_e64 v3, v3, v5, s[0:1]
	v_xor_b32_e32 v3, v3, v4
	v_sub_u32_e32 v3, v3, v4
	v_cmp_eq_u32_e64 s[0:1], 0, v3
	s_or_b64 s[0:1], s[0:1], s[2:3]
	s_and_saveexec_b64 s[14:15], s[0:1]
	s_cbranch_execz .LBB111_48
; %bb.50:                               ;   in Loop: Header=BB111_49 Depth=1
	global_load_dword v28, v[16:17], off
	ds_read2_b64 v[6:9], v22 offset1:1
	ds_read2_b64 v[2:5], v22 offset0:2 offset1:3
                                        ; implicit-def: $vgpr23
	s_waitcnt lgkmcnt(1)
	v_and_b32_e32 v19, 0x7f800000, v6
	v_cmp_ne_u32_e64 s[0:1], s26, v19
	s_and_saveexec_b64 s[2:3], s[0:1]
	s_xor_b64 s[0:1], exec, s[2:3]
; %bb.51:                               ;   in Loop: Header=BB111_49 Depth=1
	v_bfe_u32 v19, v6, 16, 1
	v_add3_u32 v23, v6, v19, s27
; %bb.52:                               ;   in Loop: Header=BB111_49 Depth=1
	s_andn2_saveexec_b64 s[2:3], s[0:1]
; %bb.53:                               ;   in Loop: Header=BB111_49 Depth=1
	v_or_b32_e32 v19, 0x10000, v6
	v_cmp_eq_u32_sdwa s[0:1], v6, v15 src0_sel:WORD_0 src1_sel:DWORD
	s_nop 1
	v_cndmask_b32_e64 v23, v19, v6, s[0:1]
; %bb.54:                               ;   in Loop: Header=BB111_49 Depth=1
	s_or_b64 exec, exec, s[2:3]
	v_and_b32_e32 v6, 0x7f800000, v7
	v_cmp_ne_u32_e64 s[0:1], s26, v6
                                        ; implicit-def: $vgpr24
	s_and_saveexec_b64 s[2:3], s[0:1]
	s_xor_b64 s[0:1], exec, s[2:3]
; %bb.55:                               ;   in Loop: Header=BB111_49 Depth=1
	v_bfe_u32 v6, v7, 16, 1
	v_add3_u32 v24, v7, v6, s27
; %bb.56:                               ;   in Loop: Header=BB111_49 Depth=1
	s_andn2_saveexec_b64 s[2:3], s[0:1]
; %bb.57:                               ;   in Loop: Header=BB111_49 Depth=1
	v_or_b32_e32 v6, 0x10000, v7
	v_cmp_eq_u32_sdwa s[0:1], v7, v15 src0_sel:WORD_0 src1_sel:DWORD
	s_nop 1
	v_cndmask_b32_e64 v24, v6, v7, s[0:1]
; %bb.58:                               ;   in Loop: Header=BB111_49 Depth=1
	s_or_b64 exec, exec, s[2:3]
	v_and_b32_e32 v6, 0x7f800000, v8
	v_cmp_ne_u32_e64 s[0:1], s26, v6
                                        ; implicit-def: $vgpr25
	s_and_saveexec_b64 s[2:3], s[0:1]
	s_xor_b64 s[0:1], exec, s[2:3]
; %bb.59:                               ;   in Loop: Header=BB111_49 Depth=1
	v_bfe_u32 v6, v8, 16, 1
	v_add3_u32 v25, v8, v6, s27
; %bb.60:                               ;   in Loop: Header=BB111_49 Depth=1
	s_andn2_saveexec_b64 s[2:3], s[0:1]
; %bb.61:                               ;   in Loop: Header=BB111_49 Depth=1
	v_or_b32_e32 v6, 0x10000, v8
	v_cmp_eq_u32_sdwa s[0:1], v8, v15 src0_sel:WORD_0 src1_sel:DWORD
	s_nop 1
	v_cndmask_b32_e64 v25, v6, v8, s[0:1]
; %bb.62:                               ;   in Loop: Header=BB111_49 Depth=1
	s_or_b64 exec, exec, s[2:3]
	v_and_b32_e32 v6, 0x7f800000, v9
	v_cmp_ne_u32_e64 s[0:1], s26, v6
                                        ; implicit-def: $vgpr26
	s_and_saveexec_b64 s[2:3], s[0:1]
	s_xor_b64 s[0:1], exec, s[2:3]
; %bb.63:                               ;   in Loop: Header=BB111_49 Depth=1
	v_bfe_u32 v6, v9, 16, 1
	v_add3_u32 v26, v9, v6, s27
                                        ; implicit-def: $vgpr6_vgpr7_vgpr8_vgpr9
; %bb.64:                               ;   in Loop: Header=BB111_49 Depth=1
	s_andn2_saveexec_b64 s[2:3], s[0:1]
; %bb.65:                               ;   in Loop: Header=BB111_49 Depth=1
	v_or_b32_e32 v6, 0x10000, v9
	v_cmp_eq_u32_sdwa s[0:1], v9, v15 src0_sel:WORD_0 src1_sel:DWORD
	s_nop 1
	v_cndmask_b32_e64 v26, v6, v9, s[0:1]
; %bb.66:                               ;   in Loop: Header=BB111_49 Depth=1
	s_or_b64 exec, exec, s[2:3]
	s_waitcnt lgkmcnt(0)
	v_and_b32_e32 v6, 0x7f800000, v2
	v_cmp_ne_u32_e64 s[0:1], s26, v6
                                        ; implicit-def: $vgpr27
	s_and_saveexec_b64 s[2:3], s[0:1]
	s_xor_b64 s[0:1], exec, s[2:3]
; %bb.67:                               ;   in Loop: Header=BB111_49 Depth=1
	v_bfe_u32 v6, v2, 16, 1
	v_add3_u32 v27, v2, v6, s27
; %bb.68:                               ;   in Loop: Header=BB111_49 Depth=1
	s_andn2_saveexec_b64 s[2:3], s[0:1]
; %bb.69:                               ;   in Loop: Header=BB111_49 Depth=1
	v_or_b32_e32 v6, 0x10000, v2
	v_cmp_eq_u32_sdwa s[0:1], v2, v15 src0_sel:WORD_0 src1_sel:DWORD
	s_nop 1
	v_cndmask_b32_e64 v27, v6, v2, s[0:1]
; %bb.70:                               ;   in Loop: Header=BB111_49 Depth=1
	s_or_b64 exec, exec, s[2:3]
	v_and_b32_e32 v2, 0x7f800000, v3
	v_cmp_ne_u32_e64 s[0:1], s26, v2
                                        ; implicit-def: $vgpr19
	s_and_saveexec_b64 s[2:3], s[0:1]
	s_xor_b64 s[0:1], exec, s[2:3]
; %bb.71:                               ;   in Loop: Header=BB111_49 Depth=1
	v_bfe_u32 v2, v3, 16, 1
	v_add3_u32 v19, v3, v2, s27
; %bb.72:                               ;   in Loop: Header=BB111_49 Depth=1
	s_andn2_saveexec_b64 s[2:3], s[0:1]
; %bb.73:                               ;   in Loop: Header=BB111_49 Depth=1
	v_or_b32_e32 v2, 0x10000, v3
	v_cmp_eq_u32_sdwa s[0:1], v3, v15 src0_sel:WORD_0 src1_sel:DWORD
	s_nop 1
	v_cndmask_b32_e64 v19, v2, v3, s[0:1]
; %bb.74:                               ;   in Loop: Header=BB111_49 Depth=1
	s_or_b64 exec, exec, s[2:3]
	v_and_b32_e32 v2, 0x7f800000, v4
	v_cmp_ne_u32_e64 s[0:1], s26, v2
                                        ; implicit-def: $vgpr9
	s_and_saveexec_b64 s[2:3], s[0:1]
	s_xor_b64 s[0:1], exec, s[2:3]
; %bb.75:                               ;   in Loop: Header=BB111_49 Depth=1
	v_bfe_u32 v2, v4, 16, 1
	v_add3_u32 v9, v4, v2, s27
; %bb.76:                               ;   in Loop: Header=BB111_49 Depth=1
	s_andn2_saveexec_b64 s[2:3], s[0:1]
; %bb.77:                               ;   in Loop: Header=BB111_49 Depth=1
	v_or_b32_e32 v2, 0x10000, v4
	v_cmp_eq_u32_sdwa s[0:1], v4, v15 src0_sel:WORD_0 src1_sel:DWORD
	s_nop 1
	v_cndmask_b32_e64 v9, v2, v4, s[0:1]
; %bb.78:                               ;   in Loop: Header=BB111_49 Depth=1
	s_or_b64 exec, exec, s[2:3]
	v_and_b32_e32 v2, 0x7f800000, v5
	v_cmp_ne_u32_e64 s[0:1], s26, v2
                                        ; implicit-def: $vgpr8
	s_and_saveexec_b64 s[2:3], s[0:1]
	s_xor_b64 s[0:1], exec, s[2:3]
; %bb.79:                               ;   in Loop: Header=BB111_49 Depth=1
	v_bfe_u32 v2, v5, 16, 1
	v_add3_u32 v8, v5, v2, s27
                                        ; implicit-def: $vgpr2_vgpr3_vgpr4_vgpr5
; %bb.80:                               ;   in Loop: Header=BB111_49 Depth=1
	s_andn2_saveexec_b64 s[2:3], s[0:1]
; %bb.81:                               ;   in Loop: Header=BB111_49 Depth=1
	v_or_b32_e32 v2, 0x10000, v5
	v_cmp_eq_u32_sdwa s[0:1], v5, v15 src0_sel:WORD_0 src1_sel:DWORD
	s_nop 1
	v_cndmask_b32_e64 v8, v2, v5, s[0:1]
; %bb.82:                               ;   in Loop: Header=BB111_49 Depth=1
	s_or_b64 exec, exec, s[2:3]
	s_waitcnt vmcnt(0)
	v_mad_i64_i32 v[2:3], s[0:1], v28, s31, 0
	v_lshl_add_u64 v[6:7], v[2:3], 1, s[10:11]
	v_lshl_add_u64 v[2:3], v[6:7], 0, v[14:15]
	global_load_dwordx4 v[2:5], v[2:3], off
	v_cmp_eq_u32_e64 s[2:3], s35, v1
	s_waitcnt vmcnt(0)
	v_lshrrev_b32_e32 v30, 16, v2
	v_lshrrev_b32_e32 v28, 16, v3
	v_lshrrev_b32_e32 v29, 16, v4
	v_lshrrev_b32_e32 v31, 16, v5
	s_and_saveexec_b64 s[16:17], s[2:3]
	s_cbranch_execz .LBB111_84
; %bb.83:                               ;   in Loop: Header=BB111_49 Depth=1
	v_cmp_gt_i32_e64 s[0:1], s33, v11
	v_add_u32_e32 v32, 1, v11
	s_nop 0
	v_cndmask_b32_e64 v2, 0, v2, s[0:1]
	v_cmp_gt_i32_e64 s[0:1], s33, v32
	v_add_u32_e32 v32, 2, v11
	s_nop 0
	v_cndmask_b32_e64 v30, 0, v30, s[0:1]
	;; [unrolled: 4-line block ×7, first 2 shown]
	v_cmp_gt_i32_e64 s[0:1], s33, v32
	s_nop 1
	v_cndmask_b32_e64 v31, 0, v31, s[0:1]
.LBB111_84:                             ;   in Loop: Header=BB111_49 Depth=1
	s_or_b64 exec, exec, s[16:17]
	v_and_b32_e32 v23, 0xffff0000, v23
	v_lshlrev_b32_e32 v2, 16, v2
	v_mul_f32_e32 v32, v23, v2
	v_and_b32_e32 v2, 0x7f800000, v32
	v_cmp_ne_u32_e64 s[0:1], s26, v2
                                        ; implicit-def: $vgpr2
	s_and_saveexec_b64 s[16:17], s[0:1]
	s_xor_b64 s[0:1], exec, s[16:17]
; %bb.85:                               ;   in Loop: Header=BB111_49 Depth=1
	v_bfe_u32 v2, v32, 16, 1
	v_add3_u32 v2, v32, v2, s27
                                        ; implicit-def: $vgpr32
; %bb.86:                               ;   in Loop: Header=BB111_49 Depth=1
	s_andn2_saveexec_b64 s[16:17], s[0:1]
; %bb.87:                               ;   in Loop: Header=BB111_49 Depth=1
	v_or_b32_e32 v2, 0x10000, v32
	v_cmp_eq_u32_sdwa s[0:1], v32, v15 src0_sel:WORD_0 src1_sel:DWORD
	s_nop 1
	v_cndmask_b32_e64 v2, v2, v32, s[0:1]
; %bb.88:                               ;   in Loop: Header=BB111_49 Depth=1
	s_or_b64 exec, exec, s[16:17]
	v_and_b32_e32 v24, 0xffff0000, v24
	v_lshlrev_b32_e32 v30, 16, v30
	v_mul_f32_e32 v30, v24, v30
	v_and_b32_e32 v32, 0x7f800000, v30
	v_cmp_ne_u32_e64 s[0:1], s26, v32
                                        ; implicit-def: $vgpr32
	s_and_saveexec_b64 s[16:17], s[0:1]
	s_xor_b64 s[0:1], exec, s[16:17]
; %bb.89:                               ;   in Loop: Header=BB111_49 Depth=1
	v_bfe_u32 v32, v30, 16, 1
	v_add3_u32 v32, v30, v32, s27
                                        ; implicit-def: $vgpr30
; %bb.90:                               ;   in Loop: Header=BB111_49 Depth=1
	s_andn2_saveexec_b64 s[16:17], s[0:1]
; %bb.91:                               ;   in Loop: Header=BB111_49 Depth=1
	v_or_b32_e32 v32, 0x10000, v30
	v_cmp_eq_u32_sdwa s[0:1], v30, v15 src0_sel:WORD_0 src1_sel:DWORD
	s_nop 1
	v_cndmask_b32_e64 v32, v32, v30, s[0:1]
; %bb.92:                               ;   in Loop: Header=BB111_49 Depth=1
	s_or_b64 exec, exec, s[16:17]
	v_and_b32_e32 v25, 0xffff0000, v25
	v_lshlrev_b32_e32 v3, 16, v3
	v_mul_f32_e32 v30, v25, v3
	v_and_b32_e32 v3, 0x7f800000, v30
	v_cmp_ne_u32_e64 s[0:1], s26, v3
                                        ; implicit-def: $vgpr3
	s_and_saveexec_b64 s[16:17], s[0:1]
	s_xor_b64 s[0:1], exec, s[16:17]
; %bb.93:                               ;   in Loop: Header=BB111_49 Depth=1
	v_bfe_u32 v3, v30, 16, 1
	v_add3_u32 v3, v30, v3, s27
                                        ; implicit-def: $vgpr30
; %bb.94:                               ;   in Loop: Header=BB111_49 Depth=1
	s_andn2_saveexec_b64 s[16:17], s[0:1]
; %bb.95:                               ;   in Loop: Header=BB111_49 Depth=1
	v_or_b32_e32 v3, 0x10000, v30
	v_cmp_eq_u32_sdwa s[0:1], v30, v15 src0_sel:WORD_0 src1_sel:DWORD
	s_nop 1
	v_cndmask_b32_e64 v3, v3, v30, s[0:1]
; %bb.96:                               ;   in Loop: Header=BB111_49 Depth=1
	s_or_b64 exec, exec, s[16:17]
	v_and_b32_e32 v26, 0xffff0000, v26
	v_lshlrev_b32_e32 v28, 16, v28
	v_mul_f32_e32 v28, v26, v28
	v_and_b32_e32 v30, 0x7f800000, v28
	v_cmp_ne_u32_e64 s[0:1], s26, v30
                                        ; implicit-def: $vgpr33
	s_and_saveexec_b64 s[16:17], s[0:1]
	s_xor_b64 s[0:1], exec, s[16:17]
; %bb.97:                               ;   in Loop: Header=BB111_49 Depth=1
	v_bfe_u32 v30, v28, 16, 1
	v_add3_u32 v33, v28, v30, s27
                                        ; implicit-def: $vgpr28
; %bb.98:                               ;   in Loop: Header=BB111_49 Depth=1
	s_andn2_saveexec_b64 s[16:17], s[0:1]
; %bb.99:                               ;   in Loop: Header=BB111_49 Depth=1
	v_or_b32_e32 v30, 0x10000, v28
	v_cmp_eq_u32_sdwa s[0:1], v28, v15 src0_sel:WORD_0 src1_sel:DWORD
	s_nop 1
	v_cndmask_b32_e64 v33, v30, v28, s[0:1]
; %bb.100:                              ;   in Loop: Header=BB111_49 Depth=1
	s_or_b64 exec, exec, s[16:17]
	v_and_b32_e32 v27, 0xffff0000, v27
	v_lshlrev_b32_e32 v4, 16, v4
	v_mul_f32_e32 v28, v27, v4
	v_and_b32_e32 v4, 0x7f800000, v28
	v_cmp_ne_u32_e64 s[0:1], s26, v4
                                        ; implicit-def: $vgpr4
	s_and_saveexec_b64 s[16:17], s[0:1]
	s_xor_b64 s[0:1], exec, s[16:17]
; %bb.101:                              ;   in Loop: Header=BB111_49 Depth=1
	v_bfe_u32 v4, v28, 16, 1
	v_add3_u32 v4, v28, v4, s27
                                        ; implicit-def: $vgpr28
; %bb.102:                              ;   in Loop: Header=BB111_49 Depth=1
	s_andn2_saveexec_b64 s[16:17], s[0:1]
; %bb.103:                              ;   in Loop: Header=BB111_49 Depth=1
	v_or_b32_e32 v4, 0x10000, v28
	v_cmp_eq_u32_sdwa s[0:1], v28, v15 src0_sel:WORD_0 src1_sel:DWORD
	s_nop 1
	v_cndmask_b32_e64 v4, v4, v28, s[0:1]
; %bb.104:                              ;   in Loop: Header=BB111_49 Depth=1
	s_or_b64 exec, exec, s[16:17]
	v_and_b32_e32 v28, 0xffff0000, v19
	v_lshlrev_b32_e32 v19, 16, v29
	v_mul_f32_e32 v29, v28, v19
	v_and_b32_e32 v19, 0x7f800000, v29
	v_cmp_ne_u32_e64 s[0:1], s26, v19
                                        ; implicit-def: $vgpr19
	s_and_saveexec_b64 s[16:17], s[0:1]
	s_xor_b64 s[0:1], exec, s[16:17]
; %bb.105:                              ;   in Loop: Header=BB111_49 Depth=1
	v_bfe_u32 v19, v29, 16, 1
	v_add3_u32 v19, v29, v19, s27
                                        ; implicit-def: $vgpr29
; %bb.106:                              ;   in Loop: Header=BB111_49 Depth=1
	s_andn2_saveexec_b64 s[16:17], s[0:1]
; %bb.107:                              ;   in Loop: Header=BB111_49 Depth=1
	v_or_b32_e32 v19, 0x10000, v29
	v_cmp_eq_u32_sdwa s[0:1], v29, v15 src0_sel:WORD_0 src1_sel:DWORD
	s_nop 1
	v_cndmask_b32_e64 v19, v19, v29, s[0:1]
; %bb.108:                              ;   in Loop: Header=BB111_49 Depth=1
	s_or_b64 exec, exec, s[16:17]
	v_and_b32_e32 v29, 0xffff0000, v9
	v_lshlrev_b32_e32 v5, 16, v5
	v_mul_f32_e32 v9, v29, v5
	v_and_b32_e32 v5, 0x7f800000, v9
	v_cmp_ne_u32_e64 s[0:1], s26, v5
                                        ; implicit-def: $vgpr5
	s_and_saveexec_b64 s[16:17], s[0:1]
	s_xor_b64 s[0:1], exec, s[16:17]
; %bb.109:                              ;   in Loop: Header=BB111_49 Depth=1
	v_bfe_u32 v5, v9, 16, 1
	v_add3_u32 v5, v9, v5, s27
                                        ; implicit-def: $vgpr9
; %bb.110:                              ;   in Loop: Header=BB111_49 Depth=1
	s_andn2_saveexec_b64 s[16:17], s[0:1]
; %bb.111:                              ;   in Loop: Header=BB111_49 Depth=1
	v_or_b32_e32 v5, 0x10000, v9
	v_cmp_eq_u32_sdwa s[0:1], v9, v15 src0_sel:WORD_0 src1_sel:DWORD
	s_nop 1
	v_cndmask_b32_e64 v5, v5, v9, s[0:1]
; %bb.112:                              ;   in Loop: Header=BB111_49 Depth=1
	s_or_b64 exec, exec, s[16:17]
	v_and_b32_e32 v30, 0xffff0000, v8
	v_lshlrev_b32_e32 v8, 16, v31
	v_mul_f32_e32 v8, v30, v8
	v_and_b32_e32 v9, 0x7f800000, v8
	v_cmp_ne_u32_e64 s[0:1], s26, v9
                                        ; implicit-def: $vgpr9
	s_and_saveexec_b64 s[16:17], s[0:1]
	s_xor_b64 s[0:1], exec, s[16:17]
; %bb.113:                              ;   in Loop: Header=BB111_49 Depth=1
	v_bfe_u32 v9, v8, 16, 1
	v_add3_u32 v9, v8, v9, s27
                                        ; implicit-def: $vgpr8
; %bb.114:                              ;   in Loop: Header=BB111_49 Depth=1
	s_andn2_saveexec_b64 s[16:17], s[0:1]
; %bb.115:                              ;   in Loop: Header=BB111_49 Depth=1
	v_or_b32_e32 v9, 0x10000, v8
	v_cmp_eq_u32_sdwa s[0:1], v8, v15 src0_sel:WORD_0 src1_sel:DWORD
	s_nop 1
	v_cndmask_b32_e64 v9, v9, v8, s[0:1]
; %bb.116:                              ;   in Loop: Header=BB111_49 Depth=1
	s_or_b64 exec, exec, s[16:17]
	v_and_b32_e32 v33, 0xffff0000, v33
	v_and_b32_e32 v32, 0xffff0000, v32
	;; [unrolled: 1-line block ×4, first 2 shown]
	v_pk_add_f32 v[2:3], v[2:3], v[32:33]
	v_and_b32_e32 v9, 0xffff0000, v9
	v_and_b32_e32 v8, 0xffff0000, v19
	;; [unrolled: 1-line block ×4, first 2 shown]
	v_mov_b32_e32 v32, v3
	v_pk_add_f32 v[2:3], v[2:3], v[32:33]
	v_pk_add_f32 v[4:5], v[4:5], v[8:9]
	s_nop 0
	v_pk_add_f32 v[2:3], v[2:3], v[4:5]
	v_mov_b32_e32 v4, v5
	v_pk_add_f32 v[2:3], v[2:3], v[4:5]
	s_nop 0
	v_pk_add_f32 v[8:9], v[12:13], v[2:3]
	s_and_saveexec_b64 s[16:17], vcc
	s_cbranch_execz .LBB111_47
; %bb.117:                              ;   in Loop: Header=BB111_49 Depth=1
	v_mov_b32_e32 v19, v15
	v_lshl_add_u64 v[2:3], v[6:7], 0, v[18:19]
	global_load_dwordx4 v[2:5], v[2:3], off
	s_waitcnt vmcnt(0)
	v_lshrrev_b32_e32 v7, 16, v2
	v_lshrrev_b32_e32 v19, 16, v3
	;; [unrolled: 1-line block ×4, first 2 shown]
	s_and_saveexec_b64 s[18:19], s[2:3]
	s_cbranch_execz .LBB111_119
; %bb.118:                              ;   in Loop: Header=BB111_49 Depth=1
	v_cmp_gt_i32_e64 s[0:1], s33, v11
	v_add_u32_e32 v31, 1, v11
	s_nop 0
	v_cndmask_b32_e64 v2, 0, v2, s[0:1]
	v_cmp_gt_i32_e64 s[0:1], s33, v31
	v_add_u32_e32 v31, 2, v11
	s_nop 0
	v_cndmask_b32_e64 v7, 0, v7, s[0:1]
	v_cmp_gt_i32_e64 s[0:1], s33, v31
	v_add_u32_e32 v31, 3, v11
	s_nop 0
	v_cndmask_b32_e64 v3, 0, v3, s[0:1]
	v_cmp_gt_i32_e64 s[0:1], s33, v31
	v_add_u32_e32 v31, 4, v11
	s_nop 0
	v_cndmask_b32_e64 v19, 0, v19, s[0:1]
	v_cmp_gt_i32_e64 s[0:1], s33, v31
	v_add_u32_e32 v31, 5, v11
	s_nop 0
	v_cndmask_b32_e64 v4, 0, v4, s[0:1]
	v_cmp_gt_i32_e64 s[0:1], s33, v31
	v_add_u32_e32 v31, 6, v11
	s_nop 0
	v_cndmask_b32_e64 v9, 0, v9, s[0:1]
	v_cmp_gt_i32_e64 s[0:1], s33, v31
	v_add_u32_e32 v31, 7, v11
	s_nop 0
	v_cndmask_b32_e64 v5, 0, v5, s[0:1]
	v_cmp_gt_i32_e64 s[0:1], s33, v31
	s_nop 1
	v_cndmask_b32_e64 v6, 0, v6, s[0:1]
.LBB111_119:                            ;   in Loop: Header=BB111_49 Depth=1
	s_or_b64 exec, exec, s[18:19]
	v_lshlrev_b32_e32 v2, 16, v2
	v_mul_f32_e32 v23, v23, v2
	v_and_b32_e32 v2, 0x7f800000, v23
	v_cmp_ne_u32_e64 s[0:1], s26, v2
                                        ; implicit-def: $vgpr2
	s_and_saveexec_b64 s[2:3], s[0:1]
	s_xor_b64 s[0:1], exec, s[2:3]
; %bb.120:                              ;   in Loop: Header=BB111_49 Depth=1
	v_bfe_u32 v2, v23, 16, 1
	v_add3_u32 v2, v23, v2, s27
                                        ; implicit-def: $vgpr23
; %bb.121:                              ;   in Loop: Header=BB111_49 Depth=1
	s_andn2_saveexec_b64 s[2:3], s[0:1]
; %bb.122:                              ;   in Loop: Header=BB111_49 Depth=1
	v_or_b32_e32 v2, 0x10000, v23
	v_cmp_eq_u32_sdwa s[0:1], v23, v15 src0_sel:WORD_0 src1_sel:DWORD
	s_nop 1
	v_cndmask_b32_e64 v2, v2, v23, s[0:1]
; %bb.123:                              ;   in Loop: Header=BB111_49 Depth=1
	s_or_b64 exec, exec, s[2:3]
	v_lshlrev_b32_e32 v7, 16, v7
	v_mul_f32_e32 v23, v24, v7
	v_and_b32_e32 v7, 0x7f800000, v23
	v_cmp_ne_u32_e64 s[0:1], s26, v7
                                        ; implicit-def: $vgpr7
	s_and_saveexec_b64 s[2:3], s[0:1]
	s_xor_b64 s[0:1], exec, s[2:3]
; %bb.124:                              ;   in Loop: Header=BB111_49 Depth=1
	v_bfe_u32 v7, v23, 16, 1
	v_add3_u32 v7, v23, v7, s27
                                        ; implicit-def: $vgpr23
; %bb.125:                              ;   in Loop: Header=BB111_49 Depth=1
	s_andn2_saveexec_b64 s[2:3], s[0:1]
; %bb.126:                              ;   in Loop: Header=BB111_49 Depth=1
	v_or_b32_e32 v7, 0x10000, v23
	v_cmp_eq_u32_sdwa s[0:1], v23, v15 src0_sel:WORD_0 src1_sel:DWORD
	s_nop 1
	v_cndmask_b32_e64 v7, v7, v23, s[0:1]
; %bb.127:                              ;   in Loop: Header=BB111_49 Depth=1
	s_or_b64 exec, exec, s[2:3]
	v_lshlrev_b32_e32 v3, 16, v3
	v_mul_f32_e32 v23, v25, v3
	v_and_b32_e32 v3, 0x7f800000, v23
	v_cmp_ne_u32_e64 s[0:1], s26, v3
                                        ; implicit-def: $vgpr3
	s_and_saveexec_b64 s[2:3], s[0:1]
	s_xor_b64 s[0:1], exec, s[2:3]
; %bb.128:                              ;   in Loop: Header=BB111_49 Depth=1
	v_bfe_u32 v3, v23, 16, 1
	v_add3_u32 v3, v23, v3, s27
                                        ; implicit-def: $vgpr23
; %bb.129:                              ;   in Loop: Header=BB111_49 Depth=1
	s_andn2_saveexec_b64 s[2:3], s[0:1]
; %bb.130:                              ;   in Loop: Header=BB111_49 Depth=1
	v_or_b32_e32 v3, 0x10000, v23
	v_cmp_eq_u32_sdwa s[0:1], v23, v15 src0_sel:WORD_0 src1_sel:DWORD
	s_nop 1
	v_cndmask_b32_e64 v3, v3, v23, s[0:1]
; %bb.131:                              ;   in Loop: Header=BB111_49 Depth=1
	s_or_b64 exec, exec, s[2:3]
	v_lshlrev_b32_e32 v19, 16, v19
	v_mul_f32_e32 v23, v26, v19
	v_and_b32_e32 v19, 0x7f800000, v23
	v_cmp_ne_u32_e64 s[0:1], s26, v19
                                        ; implicit-def: $vgpr19
	s_and_saveexec_b64 s[2:3], s[0:1]
	s_xor_b64 s[0:1], exec, s[2:3]
; %bb.132:                              ;   in Loop: Header=BB111_49 Depth=1
	v_bfe_u32 v19, v23, 16, 1
	v_add3_u32 v19, v23, v19, s27
                                        ; implicit-def: $vgpr23
; %bb.133:                              ;   in Loop: Header=BB111_49 Depth=1
	s_andn2_saveexec_b64 s[2:3], s[0:1]
; %bb.134:                              ;   in Loop: Header=BB111_49 Depth=1
	v_or_b32_e32 v19, 0x10000, v23
	v_cmp_eq_u32_sdwa s[0:1], v23, v15 src0_sel:WORD_0 src1_sel:DWORD
	s_nop 1
	v_cndmask_b32_e64 v19, v19, v23, s[0:1]
; %bb.135:                              ;   in Loop: Header=BB111_49 Depth=1
	s_or_b64 exec, exec, s[2:3]
	v_lshlrev_b32_e32 v4, 16, v4
	v_mul_f32_e32 v23, v27, v4
	v_and_b32_e32 v4, 0x7f800000, v23
	v_cmp_ne_u32_e64 s[0:1], s26, v4
                                        ; implicit-def: $vgpr4
	s_and_saveexec_b64 s[2:3], s[0:1]
	s_xor_b64 s[0:1], exec, s[2:3]
; %bb.136:                              ;   in Loop: Header=BB111_49 Depth=1
	v_bfe_u32 v4, v23, 16, 1
	v_add3_u32 v4, v23, v4, s27
                                        ; implicit-def: $vgpr23
; %bb.137:                              ;   in Loop: Header=BB111_49 Depth=1
	s_andn2_saveexec_b64 s[2:3], s[0:1]
; %bb.138:                              ;   in Loop: Header=BB111_49 Depth=1
	v_or_b32_e32 v4, 0x10000, v23
	v_cmp_eq_u32_sdwa s[0:1], v23, v15 src0_sel:WORD_0 src1_sel:DWORD
	s_nop 1
	v_cndmask_b32_e64 v4, v4, v23, s[0:1]
; %bb.139:                              ;   in Loop: Header=BB111_49 Depth=1
	s_or_b64 exec, exec, s[2:3]
	v_lshlrev_b32_e32 v9, 16, v9
	v_mul_f32_e32 v23, v28, v9
	v_and_b32_e32 v9, 0x7f800000, v23
	v_cmp_ne_u32_e64 s[0:1], s26, v9
                                        ; implicit-def: $vgpr9
	s_and_saveexec_b64 s[2:3], s[0:1]
	s_xor_b64 s[0:1], exec, s[2:3]
; %bb.140:                              ;   in Loop: Header=BB111_49 Depth=1
	v_bfe_u32 v9, v23, 16, 1
	v_add3_u32 v9, v23, v9, s27
                                        ; implicit-def: $vgpr23
; %bb.141:                              ;   in Loop: Header=BB111_49 Depth=1
	s_andn2_saveexec_b64 s[2:3], s[0:1]
; %bb.142:                              ;   in Loop: Header=BB111_49 Depth=1
	v_or_b32_e32 v9, 0x10000, v23
	v_cmp_eq_u32_sdwa s[0:1], v23, v15 src0_sel:WORD_0 src1_sel:DWORD
	s_nop 1
	v_cndmask_b32_e64 v9, v9, v23, s[0:1]
; %bb.143:                              ;   in Loop: Header=BB111_49 Depth=1
	s_or_b64 exec, exec, s[2:3]
	v_lshlrev_b32_e32 v5, 16, v5
	v_mul_f32_e32 v23, v29, v5
	v_and_b32_e32 v5, 0x7f800000, v23
	v_cmp_ne_u32_e64 s[0:1], s26, v5
                                        ; implicit-def: $vgpr5
	s_and_saveexec_b64 s[2:3], s[0:1]
	s_xor_b64 s[0:1], exec, s[2:3]
; %bb.144:                              ;   in Loop: Header=BB111_49 Depth=1
	v_bfe_u32 v5, v23, 16, 1
	v_add3_u32 v5, v23, v5, s27
                                        ; implicit-def: $vgpr23
; %bb.145:                              ;   in Loop: Header=BB111_49 Depth=1
	s_andn2_saveexec_b64 s[2:3], s[0:1]
; %bb.146:                              ;   in Loop: Header=BB111_49 Depth=1
	v_or_b32_e32 v5, 0x10000, v23
	v_cmp_eq_u32_sdwa s[0:1], v23, v15 src0_sel:WORD_0 src1_sel:DWORD
	s_nop 1
	v_cndmask_b32_e64 v5, v5, v23, s[0:1]
; %bb.147:                              ;   in Loop: Header=BB111_49 Depth=1
	s_or_b64 exec, exec, s[2:3]
	v_lshlrev_b32_e32 v6, 16, v6
	v_mul_f32_e32 v6, v30, v6
	v_and_b32_e32 v23, 0x7f800000, v6
	v_cmp_ne_u32_e64 s[0:1], s26, v23
                                        ; implicit-def: $vgpr23
	s_and_saveexec_b64 s[2:3], s[0:1]
	s_xor_b64 s[0:1], exec, s[2:3]
; %bb.148:                              ;   in Loop: Header=BB111_49 Depth=1
	v_bfe_u32 v23, v6, 16, 1
	v_add3_u32 v23, v6, v23, s27
                                        ; implicit-def: $vgpr6
; %bb.149:                              ;   in Loop: Header=BB111_49 Depth=1
	s_andn2_saveexec_b64 s[2:3], s[0:1]
	s_cbranch_execz .LBB111_46
; %bb.150:                              ;   in Loop: Header=BB111_49 Depth=1
	v_or_b32_e32 v23, 0x10000, v6
	v_cmp_eq_u32_sdwa s[0:1], v6, v15 src0_sel:WORD_0 src1_sel:DWORD
	s_nop 1
	v_cndmask_b32_e64 v23, v23, v6, s[0:1]
	s_branch .LBB111_46
.LBB111_151:
	s_or_b64 exec, exec, s[12:13]
.LBB111_152:
	s_or_b64 exec, exec, s[8:9]
	v_and_b32_e32 v1, 0x3c0, v0
	v_cmp_eq_u32_e32 vcc, 64, v1
	s_barrier
	s_and_saveexec_b64 s[0:1], vcc
	s_cbranch_execz .LBB111_155
; %bb.153:
	v_mov_b32_e32 v1, 0xd0
	v_lshl_add_u32 v2, v20, 2, v1
	ds_write_b32 v2, v12
	s_and_b64 exec, exec, s[6:7]
	s_cbranch_execz .LBB111_155
; %bb.154:
	v_lshl_add_u32 v1, v0, 2, v1
	ds_write_b32 v1, v13
.LBB111_155:
	s_or_b64 exec, exec, s[0:1]
	v_cmp_gt_u32_e32 vcc, 64, v0
	v_or_b32_e32 v1, 64, v0
	s_waitcnt lgkmcnt(0)
	s_barrier
	s_and_saveexec_b64 s[2:3], vcc
	s_cbranch_execz .LBB111_159
; %bb.156:
	v_mov_b32_e32 v2, 0xd0
	v_lshl_add_u32 v2, v0, 2, v2
	ds_read_b32 v0, v2
	s_movk_i32 s0, 0x60
	v_cmp_gt_u32_e64 s[0:1], s0, v1
	s_and_saveexec_b64 s[6:7], s[0:1]
	s_cbranch_execz .LBB111_158
; %bb.157:
	ds_read_b32 v2, v2 offset:256
	s_waitcnt lgkmcnt(0)
	v_add_f32_e32 v13, v13, v2
.LBB111_158:
	s_or_b64 exec, exec, s[6:7]
	s_waitcnt lgkmcnt(0)
	v_add_f32_e32 v12, v12, v0
.LBB111_159:
	s_or_b64 exec, exec, s[2:3]
	s_barrier
	s_and_saveexec_b64 s[0:1], vcc
	s_cbranch_execz .LBB111_170
; %bb.160:
	s_mov_b32 s0, 0x7f800000
	v_and_b32_e32 v0, 0x7f800000, v12
	v_cmp_ne_u32_e32 vcc, s0, v0
                                        ; implicit-def: $vgpr0
	s_and_saveexec_b64 s[0:1], vcc
	s_xor_b64 s[0:1], exec, s[0:1]
; %bb.161:
	v_bfe_u32 v0, v12, 16, 1
	s_movk_i32 s2, 0x7fff
	v_add3_u32 v0, v12, v0, s2
; %bb.162:
	s_andn2_saveexec_b64 s[0:1], s[0:1]
; %bb.163:
	v_mov_b32_e32 v0, 0
	v_or_b32_e32 v2, 0x10000, v12
	v_cmp_eq_u32_sdwa vcc, v12, v0 src0_sel:WORD_0 src1_sel:DWORD
	s_nop 1
	v_cndmask_b32_e32 v0, v2, v12, vcc
; %bb.164:
	s_or_b64 exec, exec, s[0:1]
	s_mul_i32 s0, s20, s21
	s_mul_i32 s0, s0, s5
	s_mulk_i32 s0, 0x60
	s_ashr_i32 s1, s0, 31
	s_lshl_b64 s[0:1], s[0:1], 1
	s_add_u32 s3, s24, s0
	s_mul_i32 s0, s21, s22
	s_addc_u32 s5, s25, s1
	s_ashr_i32 s1, s0, 31
	s_lshl_b64 s[0:1], s[0:1], 1
	s_add_u32 s3, s3, s0
	s_mul_i32 s0, s4, 0x60
	s_addc_u32 s5, s5, s1
	s_ashr_i32 s1, s0, 31
	s_lshl_b64 s[0:1], s[0:1], 1
	s_movk_i32 s2, 0x60
	s_add_u32 s0, s3, s0
	s_addc_u32 s1, s5, s1
	v_cmp_gt_u32_e32 vcc, s2, v1
	global_store_short_d16_hi v10, v0, s[0:1]
	s_and_b64 exec, exec, vcc
	s_cbranch_execz .LBB111_170
; %bb.165:
	s_mov_b32 s2, 0x7f800000
	v_and_b32_e32 v0, 0x7f800000, v13
	v_mov_b32_e32 v11, 0
	v_cmp_ne_u32_e32 vcc, s2, v0
                                        ; implicit-def: $vgpr2
	s_and_saveexec_b64 s[2:3], vcc
	s_xor_b64 s[2:3], exec, s[2:3]
; %bb.166:
	v_bfe_u32 v0, v13, 16, 1
	s_movk_i32 s4, 0x7fff
	v_add3_u32 v2, v13, v0, s4
                                        ; implicit-def: $vgpr13
; %bb.167:
	s_or_saveexec_b64 s[2:3], s[2:3]
	v_lshl_add_u64 v[0:1], s[0:1], 0, v[10:11]
	s_xor_b64 exec, exec, s[2:3]
; %bb.168:
	v_mov_b32_e32 v2, 0
	v_or_b32_e32 v3, 0x10000, v13
	v_cmp_eq_u32_sdwa vcc, v13, v2 src0_sel:WORD_0 src1_sel:DWORD
	s_nop 1
	v_cndmask_b32_e32 v2, v3, v13, vcc
; %bb.169:
	s_or_b64 exec, exec, s[2:3]
	global_store_short_d16_hi v[0:1], v2, off offset:128
.LBB111_170:
	s_endpgm
	.section	.rodata,"a",@progbits
	.p2align	6, 0x0
	.amdhsa_kernel _ZN4vllm25paged_attention_v1_kernelI14__hip_bfloat16S1_Li96ELi8ELi128ELNS_18Fp8KVCacheDataTypeE0ELb1EEEvPT_PKS3_PKT0_S9_ifPKiSB_iPKfiiiSD_SD_iiiii
		.amdhsa_group_segment_fixed_size 208
		.amdhsa_private_segment_fixed_size 0
		.amdhsa_kernarg_size 384
		.amdhsa_user_sgpr_count 2
		.amdhsa_user_sgpr_dispatch_ptr 0
		.amdhsa_user_sgpr_queue_ptr 0
		.amdhsa_user_sgpr_kernarg_segment_ptr 1
		.amdhsa_user_sgpr_dispatch_id 0
		.amdhsa_user_sgpr_kernarg_preload_length 0
		.amdhsa_user_sgpr_kernarg_preload_offset 0
		.amdhsa_user_sgpr_private_segment_size 0
		.amdhsa_uses_dynamic_stack 0
		.amdhsa_enable_private_segment 0
		.amdhsa_system_sgpr_workgroup_id_x 1
		.amdhsa_system_sgpr_workgroup_id_y 1
		.amdhsa_system_sgpr_workgroup_id_z 1
		.amdhsa_system_sgpr_workgroup_info 0
		.amdhsa_system_vgpr_workitem_id 0
		.amdhsa_next_free_vgpr 49
		.amdhsa_next_free_sgpr 47
		.amdhsa_accum_offset 52
		.amdhsa_reserve_vcc 1
		.amdhsa_float_round_mode_32 0
		.amdhsa_float_round_mode_16_64 0
		.amdhsa_float_denorm_mode_32 3
		.amdhsa_float_denorm_mode_16_64 3
		.amdhsa_dx10_clamp 1
		.amdhsa_ieee_mode 1
		.amdhsa_fp16_overflow 0
		.amdhsa_tg_split 0
		.amdhsa_exception_fp_ieee_invalid_op 0
		.amdhsa_exception_fp_denorm_src 0
		.amdhsa_exception_fp_ieee_div_zero 0
		.amdhsa_exception_fp_ieee_overflow 0
		.amdhsa_exception_fp_ieee_underflow 0
		.amdhsa_exception_fp_ieee_inexact 0
		.amdhsa_exception_int_div_zero 0
	.end_amdhsa_kernel
	.section	.text._ZN4vllm25paged_attention_v1_kernelI14__hip_bfloat16S1_Li96ELi8ELi128ELNS_18Fp8KVCacheDataTypeE0ELb1EEEvPT_PKS3_PKT0_S9_ifPKiSB_iPKfiiiSD_SD_iiiii,"axG",@progbits,_ZN4vllm25paged_attention_v1_kernelI14__hip_bfloat16S1_Li96ELi8ELi128ELNS_18Fp8KVCacheDataTypeE0ELb1EEEvPT_PKS3_PKT0_S9_ifPKiSB_iPKfiiiSD_SD_iiiii,comdat
.Lfunc_end111:
	.size	_ZN4vllm25paged_attention_v1_kernelI14__hip_bfloat16S1_Li96ELi8ELi128ELNS_18Fp8KVCacheDataTypeE0ELb1EEEvPT_PKS3_PKT0_S9_ifPKiSB_iPKfiiiSD_SD_iiiii, .Lfunc_end111-_ZN4vllm25paged_attention_v1_kernelI14__hip_bfloat16S1_Li96ELi8ELi128ELNS_18Fp8KVCacheDataTypeE0ELb1EEEvPT_PKS3_PKT0_S9_ifPKiSB_iPKfiiiSD_SD_iiiii
                                        ; -- End function
	.section	.AMDGPU.csdata,"",@progbits
; Kernel info:
; codeLenInByte = 6992
; NumSgprs: 53
; NumVgprs: 49
; NumAgprs: 0
; TotalNumVgprs: 49
; ScratchSize: 0
; MemoryBound: 0
; FloatMode: 240
; IeeeMode: 1
; LDSByteSize: 208 bytes/workgroup (compile time only)
; SGPRBlocks: 6
; VGPRBlocks: 6
; NumSGPRsForWavesPerEU: 53
; NumVGPRsForWavesPerEU: 49
; AccumOffset: 52
; Occupancy: 8
; WaveLimiterHint : 1
; COMPUTE_PGM_RSRC2:SCRATCH_EN: 0
; COMPUTE_PGM_RSRC2:USER_SGPR: 2
; COMPUTE_PGM_RSRC2:TRAP_HANDLER: 0
; COMPUTE_PGM_RSRC2:TGID_X_EN: 1
; COMPUTE_PGM_RSRC2:TGID_Y_EN: 1
; COMPUTE_PGM_RSRC2:TGID_Z_EN: 1
; COMPUTE_PGM_RSRC2:TIDIG_COMP_CNT: 0
; COMPUTE_PGM_RSRC3_GFX90A:ACCUM_OFFSET: 12
; COMPUTE_PGM_RSRC3_GFX90A:TG_SPLIT: 0
	.section	.text._ZN4vllm25paged_attention_v1_kernelI14__hip_bfloat16S1_Li112ELi8ELi128ELNS_18Fp8KVCacheDataTypeE0ELb1EEEvPT_PKS3_PKT0_S9_ifPKiSB_iPKfiiiSD_SD_iiiii,"axG",@progbits,_ZN4vllm25paged_attention_v1_kernelI14__hip_bfloat16S1_Li112ELi8ELi128ELNS_18Fp8KVCacheDataTypeE0ELb1EEEvPT_PKS3_PKT0_S9_ifPKiSB_iPKfiiiSD_SD_iiiii,comdat
	.protected	_ZN4vllm25paged_attention_v1_kernelI14__hip_bfloat16S1_Li112ELi8ELi128ELNS_18Fp8KVCacheDataTypeE0ELb1EEEvPT_PKS3_PKT0_S9_ifPKiSB_iPKfiiiSD_SD_iiiii ; -- Begin function _ZN4vllm25paged_attention_v1_kernelI14__hip_bfloat16S1_Li112ELi8ELi128ELNS_18Fp8KVCacheDataTypeE0ELb1EEEvPT_PKS3_PKT0_S9_ifPKiSB_iPKfiiiSD_SD_iiiii
	.globl	_ZN4vllm25paged_attention_v1_kernelI14__hip_bfloat16S1_Li112ELi8ELi128ELNS_18Fp8KVCacheDataTypeE0ELb1EEEvPT_PKS3_PKT0_S9_ifPKiSB_iPKfiiiSD_SD_iiiii
	.p2align	8
	.type	_ZN4vllm25paged_attention_v1_kernelI14__hip_bfloat16S1_Li112ELi8ELi128ELNS_18Fp8KVCacheDataTypeE0ELb1EEEvPT_PKS3_PKT0_S9_ifPKiSB_iPKfiiiSD_SD_iiiii,@function
_ZN4vllm25paged_attention_v1_kernelI14__hip_bfloat16S1_Li112ELi8ELi128ELNS_18Fp8KVCacheDataTypeE0ELb1EEEvPT_PKS3_PKT0_S9_ifPKiSB_iPKfiiiSD_SD_iiiii: ; @_ZN4vllm25paged_attention_v1_kernelI14__hip_bfloat16S1_Li112ELi8ELi128ELNS_18Fp8KVCacheDataTypeE0ELb1EEEvPT_PKS3_PKT0_S9_ifPKiSB_iPKfiiiSD_SD_iiiii
; %bb.0:
	s_load_dword s5, s[0:1], 0x80
	s_load_dwordx2 s[6:7], s[0:1], 0x30
	s_load_dwordx2 s[34:35], s[0:1], 0x20
	s_mov_b32 s20, s3
	s_ashr_i32 s21, s3, 31
	s_lshl_b64 s[8:9], s[20:21], 2
	s_waitcnt lgkmcnt(0)
	s_add_u32 s6, s6, s8
	s_addc_u32 s7, s7, s9
	s_abs_i32 s3, s34
	v_cvt_f32_u32_e32 v1, s3
	s_sub_i32 s10, 0, s3
	s_abs_i32 s9, s5
	s_xor_b32 s8, s5, s34
	v_rcp_iflag_f32_e32 v1, v1
	s_ashr_i32 s8, s8, 31
	s_mov_b32 s46, 0
	v_mul_f32_e32 v1, 0x4f7ffffe, v1
	v_cvt_u32_f32_e32 v1, v1
	s_nop 0
	v_readfirstlane_b32 s11, v1
	s_mul_i32 s10, s10, s11
	s_mul_hi_u32 s10, s11, s10
	s_add_i32 s11, s11, s10
	s_mul_hi_u32 s10, s9, s11
	s_mul_i32 s11, s10, s3
	s_sub_i32 s9, s9, s11
	s_add_i32 s11, s10, 1
	s_sub_i32 s12, s9, s3
	s_cmp_ge_u32 s9, s3
	s_cselect_b32 s10, s11, s10
	s_cselect_b32 s9, s12, s9
	s_add_i32 s11, s10, 1
	s_cmp_ge_u32 s9, s3
	s_cselect_b32 s3, s11, s10
	s_xor_b32 s3, s3, s8
	s_sub_i32 s12, s3, s8
	s_abs_i32 s10, s12
	v_cvt_f32_u32_e32 v1, s10
	s_load_dwordx2 s[8:9], s[0:1], 0x40
	s_sub_i32 s3, 0, s10
	s_abs_i32 s11, s2
	v_rcp_iflag_f32_e32 v1, v1
	s_nop 0
	v_mul_f32_e32 v1, 0x4f7ffffe, v1
	v_cvt_u32_f32_e32 v1, v1
	s_nop 0
	v_readfirstlane_b32 s13, v1
	s_mul_i32 s3, s3, s13
	s_mul_hi_u32 s3, s13, s3
	s_add_i32 s13, s13, s3
	s_waitcnt lgkmcnt(0)
	s_cmp_eq_u64 s[8:9], 0
	s_mul_hi_u32 s21, s11, s13
	s_cbranch_scc1 .LBB112_2
; %bb.1:
	s_ashr_i32 s3, s2, 31
	s_lshl_b64 s[14:15], s[2:3], 2
	s_add_u32 s8, s8, s14
	s_addc_u32 s9, s9, s15
	s_load_dword s46, s[8:9], 0x0
.LBB112_2:
	s_load_dword s33, s[6:7], 0x0
	s_ashr_i32 s25, s12, 31
	s_load_dwordx4 s[12:15], s[0:1], 0x48
	s_movk_i32 s3, 0x70
	s_ashr_i32 s24, s2, 31
	v_and_b32_e32 v4, 7, v0
	s_mul_i32 s22, s2, 0x70
	v_cmp_gt_u32_e64 s[6:7], s3, v0
	v_lshlrev_b32_e32 v10, 1, v0
	s_and_saveexec_b64 s[8:9], s[6:7]
	s_cbranch_execz .LBB112_4
; %bb.3:
	s_load_dwordx2 s[16:17], s[0:1], 0x8
	s_waitcnt lgkmcnt(0)
	s_mul_i32 s18, s20, s12
	s_ashr_i32 s19, s18, 31
	s_lshl_b64 s[18:19], s[18:19], 1
	v_lshrrev_b32_e32 v2, 2, v0
	s_add_u32 s3, s16, s18
	s_addc_u32 s12, s17, s19
	s_ashr_i32 s23, s22, 31
	s_lshl_b64 s[16:17], s[22:23], 1
	s_add_u32 s16, s3, s16
	s_addc_u32 s17, s12, s17
	global_load_ushort v1, v10, s[16:17]
	v_and_b32_e32 v2, 0xfe, v2
	v_mad_u32_u24 v2, v4, 28, v2
	s_waitcnt vmcnt(0)
	ds_write_b16 v2, v1
.LBB112_4:
	s_or_b64 exec, exec, s[8:9]
	s_mul_i32 s9, s21, s10
	s_sub_i32 s9, s11, s9
	s_xor_b32 s8, s24, s25
	s_add_i32 s11, s21, 1
	s_waitcnt lgkmcnt(0)
	s_sub_i32 s12, s9, s10
	s_load_dwordx4 s[16:19], s[0:1], 0x68
	s_load_dword s3, s[0:1], 0x78
	s_cmp_ge_u32 s9, s10
	s_cselect_b32 s11, s11, s21
	s_cselect_b32 s9, s12, s9
	s_add_i32 s12, s11, 1
	s_cmp_ge_u32 s9, s10
	s_cselect_b32 s9, s12, s11
	s_waitcnt lgkmcnt(0)
	s_abs_i32 s23, s19
	v_cvt_f32_u32_e32 v1, s23
	s_xor_b32 s9, s9, s8
	s_sub_i32 s10, s9, s8
	s_sub_i32 s8, 0, s23
	v_rcp_iflag_f32_e32 v1, v1
	s_add_i32 s15, s33, -1
	s_abs_i32 s11, s15
	v_mul_f32_e32 v1, 0x4f7ffffe, v1
	v_cvt_u32_f32_e32 v1, v1
	s_barrier
	v_readfirstlane_b32 s42, v1
	s_mul_i32 s8, s8, s42
	s_mul_hi_u32 s8, s42, s8
	s_add_i32 s42, s42, s8
	s_cmp_lt_i32 s3, 0
	s_mul_hi_u32 s12, s11, s42
	s_cbranch_scc0 .LBB112_6
; %bb.5:
	s_mul_i32 s8, s16, s34
	s_add_i32 s8, s10, s8
	s_mul_i32 s8, s8, s3
	s_sub_i32 s43, 1, s8
	s_mov_b64 s[8:9], 0
	s_branch .LBB112_7
.LBB112_6:
	s_mov_b64 s[8:9], -1
                                        ; implicit-def: $sgpr43
.LBB112_7:
	s_load_dwordx2 s[26:27], s[0:1], 0x28
	s_ashr_i32 s15, s15, 31
	s_andn2_b64 vcc, exec, s[8:9]
	s_ashr_i32 s44, s19, 31
	s_cbranch_vccnz .LBB112_9
; %bb.8:
	s_mul_i32 s8, s5, s16
	s_add_i32 s2, s8, s2
	s_mul_i32 s2, s2, s3
	s_add_i32 s43, s2, 1
.LBB112_9:
	s_load_dword s2, s[0:1], 0x38
	s_load_dwordx2 s[24:25], s[0:1], 0x0
	s_load_dwordx2 s[30:31], s[0:1], 0x18
	s_load_dword s21, s[0:1], 0x88
	s_xor_b32 s3, s15, s44
	s_waitcnt lgkmcnt(0)
	s_mul_i32 s28, s20, s2
	s_mul_i32 s2, s12, s23
	s_sub_i32 s2, s11, s2
	s_ashr_i32 s29, s28, 31
	s_add_i32 s8, s12, 1
	s_sub_i32 s9, s2, s23
	s_cmp_ge_u32 s2, s23
	s_cselect_b32 s8, s8, s12
	s_cselect_b32 s2, s9, s2
	s_add_i32 s9, s8, 1
	s_cmp_ge_u32 s2, s23
	s_cselect_b32 s2, s9, s8
	s_xor_b32 s2, s2, s3
	s_sub_i32 s12, s2, s3
	s_add_i32 s2, s33, 7
	s_ashr_i32 s3, s2, 31
	s_lshr_b32 s3, s3, 29
	s_add_i32 s2, s2, s3
	s_ashr_i32 s45, s2, 3
	v_lshrrev_b32_e32 v1, 6, v0
	v_cmp_gt_i32_e64 s[2:3], s45, v1
	v_mov_b32_e32 v12, 0xff7fffff
	s_mul_i32 s14, s10, s14
	v_lshrrev_b32_e32 v6, 4, v0
	v_lshlrev_b32_e32 v11, 3, v1
	v_mbcnt_lo_u32_b32 v7, -1, 0
	s_and_saveexec_b64 s[36:37], s[2:3]
	s_cbranch_execz .LBB112_19
; %bb.10:
	s_load_dwordx2 s[0:1], s[0:1], 0x10
	s_ashr_i32 s15, s14, 31
	s_sub_i32 s16, s12, s17
	s_lshl_b64 s[8:9], s[14:15], 1
	v_bfe_u32 v8, v0, 3, 3
	s_waitcnt lgkmcnt(0)
	s_add_u32 s0, s0, s8
	s_addc_u32 s1, s1, s9
	s_abs_i32 s15, s18
	v_cvt_f32_u32_e32 v2, s15
	v_lshlrev_b32_e32 v14, 4, v8
	v_mov_b32_e32 v15, 0
	s_sub_i32 s8, 0, s15
	v_rcp_iflag_f32_e32 v5, v2
	v_cmp_eq_u32_e32 vcc, 0, v4
	v_lshl_add_u64 v[2:3], s[0:1], 0, v[14:15]
	v_lshlrev_b32_e32 v14, 1, v4
	v_mul_f32_e32 v5, 0x4f7ffffe, v5
	v_cvt_u32_f32_e32 v5, v5
	v_mul_u32_u24_e32 v9, 28, v4
	v_lshlrev_b32_e32 v12, 2, v8
	v_lshl_add_u64 v[2:3], v[2:3], 0, v[14:15]
	v_mul_lo_u32 v4, s8, v5
	s_lshl_b64 s[8:9], s[28:29], 2
	s_add_u32 s8, s26, s8
	v_mul_hi_u32 v4, v5, v4
	v_and_b32_e32 v14, 60, v6
	s_addc_u32 s9, s27, s9
	v_lshl_or_b32 v12, v1, 5, v12
	v_add_u32_e32 v13, v5, v4
	v_lshl_add_u64 v[4:5], s[8:9], 0, v[14:15]
	v_add_u32_e32 v15, 0xf0, v12
	v_subrev_u32_e32 v12, s33, v8
	v_mbcnt_hi_u32_b32 v18, -1, v7
	v_add_u32_e32 v16, 1, v12
	v_and_b32_e32 v12, 64, v18
	s_mov_b32 s19, s13
	v_cmp_neq_f32_e64 s[0:1], s46, 0
	v_lshlrev_b32_e32 v14, 3, v1
	s_mov_b64 s[38:39], 0
	v_mov_b32_e32 v17, 0xff7fffff
	v_add_u32_e32 v19, 64, v12
	v_xor_b32_e32 v20, 4, v18
	v_xor_b32_e32 v21, 2, v18
	;; [unrolled: 1-line block ×3, first 2 shown]
	v_mov_b32_e32 v12, 0xff7fffff
	v_mov_b32_e32 v23, v1
	s_branch .LBB112_13
.LBB112_11:                             ;   in Loop: Header=BB112_13 Depth=1
	s_or_b64 exec, exec, s[40:41]
.LBB112_12:                             ;   in Loop: Header=BB112_13 Depth=1
	s_or_b64 exec, exec, s[10:11]
	v_add_u32_e32 v23, 2, v23
	v_cmp_le_i32_e64 s[8:9], s45, v23
	v_lshl_add_u64 v[4:5], v[4:5], 0, 8
	v_add_u32_e32 v14, 16, v14
	s_or_b64 s[38:39], s[8:9], s[38:39]
	v_add_u32_e32 v15, 64, v15
	s_andn2_b64 exec, exec, s[38:39]
	s_cbranch_execz .LBB112_18
.LBB112_13:                             ; =>This Inner Loop Header: Depth=1
	v_mul_hi_u32 v24, v14, s42
	s_waitcnt lgkmcnt(0)
	v_mul_lo_u32 v25, v24, s23
	v_sub_u32_e32 v25, v14, v25
	v_add_u32_e32 v26, 1, v24
	v_cmp_le_u32_e64 s[8:9], s23, v25
	s_nop 1
	v_cndmask_b32_e64 v24, v24, v26, s[8:9]
	v_subrev_u32_e32 v26, s23, v25
	v_cndmask_b32_e64 v25, v25, v26, s[8:9]
	v_add_u32_e32 v26, 1, v24
	v_cmp_le_u32_e64 s[8:9], s23, v25
	s_nop 1
	v_cndmask_b32_e64 v24, v24, v26, s[8:9]
	v_xor_b32_e32 v24, s44, v24
	v_subrev_u32_e32 v24, s44, v24
	v_add_u32_e32 v25, s43, v24
	v_sub_u32_e32 v27, 0, v25
	v_ashrrev_i32_e32 v26, 31, v25
	v_max_i32_e32 v25, v25, v27
	v_mul_hi_u32 v27, v25, v13
	v_mul_lo_u32 v27, v27, s15
	v_sub_u32_e32 v25, v25, v27
	v_subrev_u32_e32 v27, s15, v25
	v_cmp_le_u32_e64 s[8:9], s15, v25
	v_cmp_ge_i32_e64 s[10:11], s16, v24
	s_nop 0
	v_cndmask_b32_e64 v25, v25, v27, s[8:9]
	v_subrev_u32_e32 v27, s15, v25
	v_cmp_le_u32_e64 s[8:9], s15, v25
	s_nop 1
	v_cndmask_b32_e64 v25, v25, v27, s[8:9]
	v_xor_b32_e32 v25, v25, v26
	v_sub_u32_e32 v25, v25, v26
	v_cmp_ne_u32_e64 s[8:9], 0, v25
	s_and_b64 s[8:9], s[8:9], s[10:11]
	s_and_b64 s[40:41], vcc, s[8:9]
	s_and_saveexec_b64 s[10:11], s[40:41]
	s_cbranch_execz .LBB112_15
; %bb.14:                               ;   in Loop: Header=BB112_13 Depth=1
	ds_write_b32 v15, v17
.LBB112_15:                             ;   in Loop: Header=BB112_13 Depth=1
	s_or_b64 exec, exec, s[10:11]
	s_xor_b64 s[8:9], s[8:9], -1
	s_and_saveexec_b64 s[10:11], s[8:9]
	s_cbranch_execz .LBB112_12
; %bb.16:                               ;   in Loop: Header=BB112_13 Depth=1
	global_load_dword v24, v[4:5], off
	s_waitcnt vmcnt(0)
	v_mad_i64_i32 v[24:25], s[8:9], v24, s19, 0
	v_lshl_add_u64 v[24:25], v[24:25], 1, v[2:3]
	global_load_ushort v30, v[24:25], off
	global_load_ushort v31, v[24:25], off offset:128
	global_load_ushort v32, v[24:25], off offset:256
	;; [unrolled: 1-line block ×13, first 2 shown]
	ds_read2_b32 v[24:25], v9 offset1:1
	ds_read2_b32 v[26:27], v9 offset0:2 offset1:3
	ds_read2_b32 v[28:29], v9 offset0:4 offset1:5
	ds_read_b32 v44, v9 offset:24
	v_cmp_lt_i32_e64 s[8:9], v20, v19
	s_waitcnt lgkmcnt(3)
	v_lshlrev_b32_e32 v46, 16, v24
	v_and_b32_e32 v24, 0xffff0000, v24
	v_lshlrev_b32_e32 v47, 16, v25
	v_and_b32_e32 v25, 0xffff0000, v25
	s_waitcnt lgkmcnt(2)
	v_lshlrev_b32_e32 v48, 16, v26
	v_and_b32_e32 v26, 0xffff0000, v26
	v_lshlrev_b32_e32 v49, 16, v27
	v_and_b32_e32 v27, 0xffff0000, v27
	;; [unrolled: 5-line block ×3, first 2 shown]
	s_waitcnt lgkmcnt(0)
	v_lshlrev_b32_e32 v52, 16, v44
	v_cndmask_b32_e64 v45, v18, v20, s[8:9]
	v_and_b32_e32 v44, 0xffff0000, v44
	v_lshlrev_b32_e32 v45, 2, v45
	v_cmp_lt_i32_e64 s[8:9], v21, v19
	s_waitcnt vmcnt(13)
	v_lshlrev_b32_e32 v30, 16, v30
	s_waitcnt vmcnt(12)
	v_lshlrev_b32_e32 v31, 16, v31
	v_mul_f32_e32 v24, v24, v31
	s_waitcnt vmcnt(11)
	v_lshlrev_b32_e32 v32, 16, v32
	v_fmac_f32_e32 v24, v46, v30
	s_waitcnt vmcnt(10)
	v_lshlrev_b32_e32 v33, 16, v33
	v_fmac_f32_e32 v24, v47, v32
	;; [unrolled: 3-line block ×11, first 2 shown]
	v_fmac_f32_e32 v24, v52, v42
	s_waitcnt vmcnt(0)
	v_lshlrev_b32_e32 v25, 16, v43
	v_fmac_f32_e32 v24, v44, v25
	ds_bpermute_b32 v25, v45, v24
	v_cndmask_b32_e64 v26, v18, v21, s[8:9]
	v_lshlrev_b32_e32 v26, 2, v26
	v_cmp_lt_i32_e64 s[8:9], v22, v19
	s_waitcnt lgkmcnt(0)
	v_add_f32_e32 v24, v24, v25
	ds_bpermute_b32 v25, v26, v24
	v_cndmask_b32_e64 v26, v18, v22, s[8:9]
	v_lshlrev_b32_e32 v26, 2, v26
	s_waitcnt lgkmcnt(0)
	v_add_f32_e32 v24, v24, v25
	ds_bpermute_b32 v25, v26, v24
	s_and_saveexec_b64 s[40:41], vcc
	s_cbranch_execz .LBB112_11
; %bb.17:                               ;   in Loop: Header=BB112_13 Depth=1
	v_add_u32_e32 v26, v16, v14
	v_cvt_f32_i32_e32 v26, v26
	s_waitcnt lgkmcnt(0)
	v_add_f32_e32 v24, v24, v25
	v_add_u32_e32 v27, v8, v14
	v_cmp_gt_i32_e64 s[8:9], s33, v27
	v_mul_f32_e32 v25, s46, v26
	v_cndmask_b32_e64 v25, 0, v25, s[0:1]
	v_fmac_f32_e32 v25, s35, v24
	v_cndmask_b32_e64 v24, 0, v25, s[8:9]
	ds_write_b32 v15, v24
	v_max_f32_e32 v24, v12, v12
	v_max_f32_e32 v24, v24, v25
	v_cndmask_b32_e64 v12, v12, v24, s[8:9]
	s_branch .LBB112_11
.LBB112_18:
	s_or_b64 exec, exec, s[38:39]
.LBB112_19:
	s_or_b64 exec, exec, s[36:37]
	v_mbcnt_hi_u32_b32 v2, -1, v7
	v_and_b32_e32 v3, 64, v2
	v_add_u32_e32 v3, 64, v3
	v_xor_b32_e32 v4, 32, v2
	v_cmp_lt_i32_e32 vcc, v4, v3
	v_xor_b32_e32 v8, 16, v2
	v_max_f32_e32 v7, v12, v12
	v_cndmask_b32_e32 v4, v2, v4, vcc
	v_lshlrev_b32_e32 v5, 2, v4
	ds_bpermute_b32 v4, v5, v12
	v_cmp_lt_i32_e32 vcc, v8, v3
	v_xor_b32_e32 v9, 8, v2
	v_and_b32_e32 v20, 63, v0
	s_waitcnt lgkmcnt(0)
	v_max_f32_e32 v4, v4, v4
	v_max_f32_e32 v4, v7, v4
	v_cndmask_b32_e32 v7, v2, v8, vcc
	v_lshlrev_b32_e32 v8, 2, v7
	ds_bpermute_b32 v7, v8, v4
	v_cmp_lt_i32_e32 vcc, v9, v3
	s_waitcnt lgkmcnt(0)
	v_max_f32_e32 v7, v7, v7
	v_max_f32_e32 v7, v4, v7
	v_cndmask_b32_e32 v4, v2, v9, vcc
	v_lshlrev_b32_e32 v12, 2, v4
	ds_bpermute_b32 v9, v12, v7
	v_cmp_eq_u32_e32 vcc, 0, v20
	v_lshlrev_b32_e32 v4, 2, v1
	s_and_saveexec_b64 s[0:1], vcc
	s_cbranch_execz .LBB112_21
; %bb.20:
	s_waitcnt lgkmcnt(0)
	v_max_f32_e32 v9, v9, v9
	v_max_f32_e32 v7, v7, v7
	;; [unrolled: 1-line block ×3, first 2 shown]
	ds_write_b32 v4, v7 offset:224
.LBB112_21:
	s_or_b64 exec, exec, s[0:1]
	v_cmp_gt_u32_e64 s[0:1], 2, v20
	v_mov_b32_e32 v13, 0xff7fffff
	v_lshlrev_b32_e32 v7, 2, v20
	s_waitcnt lgkmcnt(0)
	s_barrier
	s_and_saveexec_b64 s[8:9], s[0:1]
	s_cbranch_execz .LBB112_23
; %bb.22:
	ds_read_b32 v13, v7 offset:224
.LBB112_23:
	s_or_b64 exec, exec, s[8:9]
	v_xor_b32_e32 v9, 1, v2
	v_cmp_lt_i32_e64 s[8:9], v9, v3
	v_lshlrev_b32_e32 v15, 2, v2
	s_nop 0
	v_cndmask_b32_e64 v9, v2, v9, s[8:9]
	v_lshlrev_b32_e32 v9, 2, v9
	s_waitcnt lgkmcnt(0)
	ds_bpermute_b32 v14, v9, v13
	v_max_f32_e32 v13, v13, v13
	s_lshl_b32 s8, s45, 3
	s_min_i32 s15, s8, s33
	v_cmp_gt_i32_e64 s[8:9], s15, v0
	s_waitcnt lgkmcnt(0)
	v_max_f32_e32 v14, v14, v14
	v_max_f32_e32 v14, v13, v14
	v_and_b32_e32 v13, 0x100, v15
	ds_bpermute_b32 v15, v13, v14
	v_mov_b32_e32 v14, 0
	s_and_saveexec_b64 s[34:35], s[8:9]
	s_cbranch_execz .LBB112_27
; %bb.24:
	v_mov_b32_e32 v14, 0xf0
	v_lshl_add_u32 v16, v0, 2, v14
	s_mov_b64 s[36:37], 0
	v_mov_b32_e32 v14, 0
	v_mov_b32_e32 v17, v0
.LBB112_25:                             ; =>This Inner Loop Header: Depth=1
	ds_read_b32 v18, v16
	v_add_u32_e32 v17, 0x80, v17
	v_cmp_le_i32_e64 s[10:11], s15, v17
	s_or_b64 s[36:37], s[10:11], s[36:37]
	s_waitcnt lgkmcnt(0)
	v_sub_f32_e32 v18, v18, v15
	v_mul_f32_e32 v18, 0x3fb8aa3b, v18
	v_exp_f32_e32 v18, v18
	ds_write_b32 v16, v18
	v_add_f32_e32 v14, v14, v18
	v_add_u32_e32 v16, 0x200, v16
	s_andn2_b64 exec, exec, s[36:37]
	s_cbranch_execnz .LBB112_25
; %bb.26:
	s_or_b64 exec, exec, s[36:37]
.LBB112_27:
	s_or_b64 exec, exec, s[34:35]
	ds_bpermute_b32 v5, v5, v14
	s_waitcnt lgkmcnt(0)
	v_add_f32_e32 v5, v14, v5
	ds_bpermute_b32 v8, v8, v5
	s_waitcnt lgkmcnt(0)
	v_add_f32_e32 v5, v5, v8
	ds_bpermute_b32 v8, v12, v5
	v_xor_b32_e32 v12, 4, v2
	v_cmp_lt_i32_e64 s[10:11], v12, v3
	s_waitcnt lgkmcnt(0)
	v_add_f32_e32 v5, v5, v8
	v_cndmask_b32_e64 v12, v2, v12, s[10:11]
	v_lshlrev_b32_e32 v12, 2, v12
	ds_bpermute_b32 v8, v12, v5
	v_xor_b32_e32 v12, 2, v2
	v_cmp_lt_i32_e64 s[10:11], v12, v3
	s_waitcnt lgkmcnt(0)
	v_add_f32_e32 v3, v5, v8
	v_cndmask_b32_e64 v2, v2, v12, s[10:11]
	v_lshlrev_b32_e32 v2, 2, v2
	ds_bpermute_b32 v2, v2, v3
	s_waitcnt lgkmcnt(0)
	v_add_f32_e32 v2, v3, v2
	ds_bpermute_b32 v3, v9, v2
	s_waitcnt lgkmcnt(0)
	v_add_f32_e32 v2, v2, v3
	s_and_saveexec_b64 s[10:11], vcc
	s_cbranch_execz .LBB112_29
; %bb.28:
	ds_write_b32 v4, v2 offset:232
.LBB112_29:
	s_or_b64 exec, exec, s[10:11]
	s_waitcnt lgkmcnt(0)
	s_barrier
	s_and_saveexec_b64 s[10:11], s[0:1]
	s_cbranch_execz .LBB112_31
; %bb.30:
	ds_read_b32 v2, v7 offset:232
.LBB112_31:
	s_or_b64 exec, exec, s[10:11]
	s_waitcnt lgkmcnt(0)
	ds_bpermute_b32 v3, v9, v2
	s_waitcnt lgkmcnt(0)
	v_add_f32_e32 v2, v2, v3
	ds_bpermute_b32 v2, v13, v2
	s_and_saveexec_b64 s[0:1], s[8:9]
	s_cbranch_execz .LBB112_44
; %bb.32:
	s_waitcnt lgkmcnt(0)
	v_add_f32_e32 v2, 0x358637bd, v2
	v_div_scale_f32 v3, s[8:9], v2, v2, 1.0
	v_rcp_f32_e32 v4, v3
	v_div_scale_f32 v5, vcc, 1.0, v2, 1.0
	s_movk_i32 s8, 0x7f
	v_fma_f32 v7, -v3, v4, 1.0
	v_fmac_f32_e32 v4, v7, v4
	v_mul_f32_e32 v7, v5, v4
	v_fma_f32 v8, -v3, v7, v5
	v_fmac_f32_e32 v7, v8, v4
	v_fma_f32 v3, -v3, v7, v5
	v_div_fmas_f32 v3, v3, v4, v7
	v_xad_u32 v4, v0, -1, s15
	v_div_fixup_f32 v2, v3, v2, 1.0
	v_cmp_lt_u32_e32 vcc, s8, v4
	s_mov_b64 s[10:11], -1
	v_mov_b32_e32 v3, v0
	s_and_saveexec_b64 s[8:9], vcc
	s_cbranch_execz .LBB112_41
; %bb.33:
	v_lshrrev_b32_e32 v4, 7, v4
	v_add_u32_e32 v7, -1, v4
	v_lshrrev_b32_e32 v5, 1, v7
	v_mov_b32_e32 v3, v2
	v_add_u32_e32 v5, 1, v5
	v_cmp_lt_u32_e32 vcc, 13, v7
	v_mov_b32_e32 v9, 0
	s_and_saveexec_b64 s[10:11], vcc
	s_cbranch_execz .LBB112_37
; %bb.34:
	v_mov_b32_e32 v8, 0xf0
	v_and_b32_e32 v7, -8, v5
	v_lshl_add_u32 v8, v0, 2, v8
	s_mov_b32 s16, 0
	s_mov_b64 s[34:35], 0
.LBB112_35:                             ; =>This Inner Loop Header: Depth=1
	ds_read2st64_b32 v[12:13], v8 offset1:2
	ds_read2st64_b32 v[14:15], v8 offset0:4 offset1:6
	ds_read2st64_b32 v[16:17], v8 offset0:8 offset1:10
	;; [unrolled: 1-line block ×3, first 2 shown]
	v_add_u32_e32 v7, -8, v7
	s_waitcnt lgkmcnt(3)
	v_pk_mul_f32 v[12:13], v[2:3], v[12:13]
	s_waitcnt lgkmcnt(2)
	v_pk_mul_f32 v[14:15], v[2:3], v[14:15]
	ds_write2st64_b32 v8, v12, v13 offset1:2
	ds_write2st64_b32 v8, v14, v15 offset0:4 offset1:6
	ds_read2st64_b32 v[14:15], v8 offset0:16 offset1:18
	s_waitcnt lgkmcnt(4)
	v_pk_mul_f32 v[12:13], v[2:3], v[16:17]
	ds_write2st64_b32 v8, v12, v13 offset0:8 offset1:10
	s_waitcnt lgkmcnt(4)
	v_pk_mul_f32 v[12:13], v[2:3], v[18:19]
	ds_write2st64_b32 v8, v12, v13 offset0:12 offset1:14
	ds_read2st64_b32 v[12:13], v8 offset0:20 offset1:22
	s_waitcnt lgkmcnt(3)
	v_pk_mul_f32 v[14:15], v[2:3], v[14:15]
	ds_read2st64_b32 v[16:17], v8 offset0:24 offset1:26
	ds_write2st64_b32 v8, v14, v15 offset0:16 offset1:18
	ds_read2st64_b32 v[14:15], v8 offset0:28 offset1:30
	s_waitcnt lgkmcnt(3)
	v_pk_mul_f32 v[12:13], v[2:3], v[12:13]
	ds_write2st64_b32 v8, v12, v13 offset0:20 offset1:22
	s_waitcnt lgkmcnt(3)
	v_pk_mul_f32 v[12:13], v[2:3], v[16:17]
	ds_write2st64_b32 v8, v12, v13 offset0:24 offset1:26
	s_waitcnt lgkmcnt(2)
	v_pk_mul_f32 v[12:13], v[2:3], v[14:15]
	s_add_i32 s16, s16, 16
	v_cmp_eq_u32_e32 vcc, 0, v7
	ds_write2st64_b32 v8, v12, v13 offset0:28 offset1:30
	v_add_u32_e32 v8, 0x2000, v8
	s_or_b64 s[34:35], vcc, s[34:35]
	v_mov_b32_e32 v9, s16
	s_andn2_b64 exec, exec, s[34:35]
	s_cbranch_execnz .LBB112_35
; %bb.36:
	s_or_b64 exec, exec, s[34:35]
.LBB112_37:
	s_or_b64 exec, exec, s[10:11]
	v_and_b32_e32 v5, 7, v5
	v_cmp_ne_u32_e32 vcc, 0, v5
	s_and_saveexec_b64 s[10:11], vcc
	s_cbranch_execz .LBB112_40
; %bb.38:
	v_lshlrev_b32_e32 v7, 9, v9
	v_lshlrev_b32_e32 v8, 2, v0
	s_movk_i32 s16, 0xf0
	v_add3_u32 v7, v7, v8, s16
	s_mov_b64 s[34:35], 0
.LBB112_39:                             ; =>This Inner Loop Header: Depth=1
	ds_read2st64_b32 v[8:9], v7 offset1:2
	v_add_u32_e32 v5, -1, v5
	v_cmp_eq_u32_e32 vcc, 0, v5
	s_or_b64 s[34:35], vcc, s[34:35]
	s_waitcnt lgkmcnt(0)
	v_pk_mul_f32 v[8:9], v[2:3], v[8:9]
	ds_write2st64_b32 v7, v8, v9 offset1:2
	v_add_u32_e32 v7, 0x400, v7
	s_andn2_b64 exec, exec, s[34:35]
	s_cbranch_execnz .LBB112_39
.LBB112_40:
	s_or_b64 exec, exec, s[10:11]
	v_add_u32_e32 v4, 1, v4
	v_and_b32_e32 v5, 0x3fffffe, v4
	v_cmp_ne_u32_e32 vcc, v4, v5
	v_lshl_add_u32 v3, v5, 7, v0
	s_orn2_b64 s[10:11], vcc, exec
.LBB112_41:
	s_or_b64 exec, exec, s[8:9]
	s_and_b64 exec, exec, s[10:11]
	s_cbranch_execz .LBB112_44
; %bb.42:
	v_mov_b32_e32 v4, 0xf0
	v_lshl_add_u32 v4, v3, 2, v4
	s_mov_b64 s[8:9], 0
.LBB112_43:                             ; =>This Inner Loop Header: Depth=1
	ds_read_b32 v5, v4
	v_add_u32_e32 v3, 0x80, v3
	v_cmp_le_i32_e32 vcc, s15, v3
	s_or_b64 s[8:9], vcc, s[8:9]
	s_waitcnt lgkmcnt(0)
	v_mul_f32_e32 v5, v2, v5
	ds_write_b32 v4, v5
	v_add_u32_e32 v4, 0x200, v4
	s_andn2_b64 exec, exec, s[8:9]
	s_cbranch_execnz .LBB112_43
.LBB112_44:
	s_or_b64 exec, exec, s[0:1]
	v_mov_b32_e32 v13, 0
	v_mov_b32_e32 v12, v13
	s_waitcnt lgkmcnt(0)
	s_barrier
	s_and_saveexec_b64 s[8:9], s[2:3]
	s_cbranch_execz .LBB112_152
; %bb.45:
	s_ashr_i32 s15, s14, 31
	s_sub_i32 s34, s12, s17
	s_lshl_b64 s[0:1], s[14:15], 1
	s_add_u32 s10, s30, s0
	s_addc_u32 s11, s31, s1
	s_abs_i32 s30, s18
	v_cvt_f32_u32_e32 v3, s30
	v_or_b32_e32 v4, 64, v20
	s_movk_i32 s0, 0x70
	v_cmp_gt_u32_e32 vcc, s0, v4
	v_rcp_iflag_f32_e32 v3, v3
	s_sub_i32 s0, 0, s30
	s_add_i32 s35, s45, -1
	v_lshlrev_b32_e32 v2, 3, v20
	v_mul_f32_e32 v3, 0x4f7ffffe, v3
	v_cvt_u32_f32_e32 v3, v3
	v_mov_b32_e32 v15, 0
	v_lshlrev_b32_e32 v4, 3, v4
	v_and_b32_e32 v14, 60, v6
	v_mul_lo_u32 v5, s0, v3
	s_lshl_b64 s[0:1], s[28:29], 2
	v_mul_hi_u32 v5, v3, v5
	s_add_u32 s0, s26, s0
	v_add_u32_e32 v21, v3, v5
	s_addc_u32 s1, s27, s1
	v_mov_b32_e32 v3, 0xf0
	s_mov_b32 s31, s13
	v_lshl_add_u64 v[16:17], s[0:1], 0, v[14:15]
	v_lshl_add_u32 v22, v1, 5, v3
	s_mov_b64 s[12:13], 0
	s_mov_b32 s26, 0x7f800000
	s_movk_i32 s27, 0x7fff
	v_lshlrev_b32_e32 v14, 1, v2
	v_lshlrev_b32_e32 v18, 1, v4
	v_mov_b32_e32 v12, v15
	v_mov_b32_e32 v13, v15
	s_branch .LBB112_49
.LBB112_46:                             ;   in Loop: Header=BB112_49 Depth=1
	s_or_b64 exec, exec, s[2:3]
	v_and_b32_e32 v27, 0xffff0000, v19
	v_and_b32_e32 v26, 0xffff0000, v7
	;; [unrolled: 1-line block ×4, first 2 shown]
	v_pk_add_f32 v[2:3], v[2:3], v[26:27]
	v_and_b32_e32 v25, 0xffff0000, v23
	v_and_b32_e32 v24, 0xffff0000, v9
	;; [unrolled: 1-line block ×4, first 2 shown]
	v_mov_b32_e32 v6, v3
	v_pk_add_f32 v[2:3], v[2:3], v[6:7]
	v_pk_add_f32 v[4:5], v[4:5], v[24:25]
	s_nop 0
	v_pk_add_f32 v[2:3], v[2:3], v[4:5]
	v_mov_b32_e32 v4, v5
	v_pk_add_f32 v[2:3], v[2:3], v[4:5]
	s_nop 0
	v_mov_b32_e32 v3, v2
	v_pk_add_f32 v[12:13], v[12:13], v[2:3]
.LBB112_47:                             ;   in Loop: Header=BB112_49 Depth=1
	s_or_b64 exec, exec, s[16:17]
	v_mov_b32_e32 v12, v8
.LBB112_48:                             ;   in Loop: Header=BB112_49 Depth=1
	s_or_b64 exec, exec, s[14:15]
	v_add_u32_e32 v1, 2, v1
	v_cmp_le_i32_e64 s[0:1], s45, v1
	v_lshl_add_u64 v[16:17], v[16:17], 0, 8
	v_add_u32_e32 v11, 16, v11
	s_or_b64 s[12:13], s[0:1], s[12:13]
	v_add_u32_e32 v22, 64, v22
	s_andn2_b64 exec, exec, s[12:13]
	s_cbranch_execz .LBB112_151
.LBB112_49:                             ; =>This Inner Loop Header: Depth=1
	v_mul_hi_u32 v2, v11, s42
	v_mul_lo_u32 v3, v2, s23
	v_sub_u32_e32 v3, v11, v3
	v_add_u32_e32 v4, 1, v2
	v_cmp_le_u32_e64 s[0:1], s23, v3
	s_nop 1
	v_cndmask_b32_e64 v2, v2, v4, s[0:1]
	v_subrev_u32_e32 v4, s23, v3
	v_cndmask_b32_e64 v3, v3, v4, s[0:1]
	v_add_u32_e32 v4, 1, v2
	v_cmp_le_u32_e64 s[0:1], s23, v3
	s_nop 1
	v_cndmask_b32_e64 v2, v2, v4, s[0:1]
	v_xor_b32_e32 v2, s44, v2
	v_subrev_u32_e32 v2, s44, v2
	v_add_u32_e32 v3, s43, v2
	v_sub_u32_e32 v5, 0, v3
	v_ashrrev_i32_e32 v4, 31, v3
	v_max_i32_e32 v3, v3, v5
	v_mul_hi_u32 v5, v3, v21
	v_mul_lo_u32 v5, v5, s30
	v_sub_u32_e32 v3, v3, v5
	v_subrev_u32_e32 v5, s30, v3
	v_cmp_le_u32_e64 s[0:1], s30, v3
	v_cmp_lt_i32_e64 s[2:3], s34, v2
	s_nop 0
	v_cndmask_b32_e64 v3, v3, v5, s[0:1]
	v_subrev_u32_e32 v5, s30, v3
	v_cmp_le_u32_e64 s[0:1], s30, v3
	s_nop 1
	v_cndmask_b32_e64 v3, v3, v5, s[0:1]
	v_xor_b32_e32 v3, v3, v4
	v_sub_u32_e32 v3, v3, v4
	v_cmp_eq_u32_e64 s[0:1], 0, v3
	s_or_b64 s[0:1], s[0:1], s[2:3]
	s_and_saveexec_b64 s[14:15], s[0:1]
	s_cbranch_execz .LBB112_48
; %bb.50:                               ;   in Loop: Header=BB112_49 Depth=1
	global_load_dword v28, v[16:17], off
	ds_read2_b64 v[6:9], v22 offset1:1
	ds_read2_b64 v[2:5], v22 offset0:2 offset1:3
                                        ; implicit-def: $vgpr23
	s_waitcnt lgkmcnt(1)
	v_and_b32_e32 v19, 0x7f800000, v6
	v_cmp_ne_u32_e64 s[0:1], s26, v19
	s_and_saveexec_b64 s[2:3], s[0:1]
	s_xor_b64 s[0:1], exec, s[2:3]
; %bb.51:                               ;   in Loop: Header=BB112_49 Depth=1
	v_bfe_u32 v19, v6, 16, 1
	v_add3_u32 v23, v6, v19, s27
; %bb.52:                               ;   in Loop: Header=BB112_49 Depth=1
	s_andn2_saveexec_b64 s[2:3], s[0:1]
; %bb.53:                               ;   in Loop: Header=BB112_49 Depth=1
	v_or_b32_e32 v19, 0x10000, v6
	v_cmp_eq_u32_sdwa s[0:1], v6, v15 src0_sel:WORD_0 src1_sel:DWORD
	s_nop 1
	v_cndmask_b32_e64 v23, v19, v6, s[0:1]
; %bb.54:                               ;   in Loop: Header=BB112_49 Depth=1
	s_or_b64 exec, exec, s[2:3]
	v_and_b32_e32 v6, 0x7f800000, v7
	v_cmp_ne_u32_e64 s[0:1], s26, v6
                                        ; implicit-def: $vgpr24
	s_and_saveexec_b64 s[2:3], s[0:1]
	s_xor_b64 s[0:1], exec, s[2:3]
; %bb.55:                               ;   in Loop: Header=BB112_49 Depth=1
	v_bfe_u32 v6, v7, 16, 1
	v_add3_u32 v24, v7, v6, s27
; %bb.56:                               ;   in Loop: Header=BB112_49 Depth=1
	s_andn2_saveexec_b64 s[2:3], s[0:1]
; %bb.57:                               ;   in Loop: Header=BB112_49 Depth=1
	v_or_b32_e32 v6, 0x10000, v7
	v_cmp_eq_u32_sdwa s[0:1], v7, v15 src0_sel:WORD_0 src1_sel:DWORD
	s_nop 1
	v_cndmask_b32_e64 v24, v6, v7, s[0:1]
; %bb.58:                               ;   in Loop: Header=BB112_49 Depth=1
	s_or_b64 exec, exec, s[2:3]
	v_and_b32_e32 v6, 0x7f800000, v8
	v_cmp_ne_u32_e64 s[0:1], s26, v6
                                        ; implicit-def: $vgpr25
	s_and_saveexec_b64 s[2:3], s[0:1]
	s_xor_b64 s[0:1], exec, s[2:3]
; %bb.59:                               ;   in Loop: Header=BB112_49 Depth=1
	v_bfe_u32 v6, v8, 16, 1
	v_add3_u32 v25, v8, v6, s27
; %bb.60:                               ;   in Loop: Header=BB112_49 Depth=1
	s_andn2_saveexec_b64 s[2:3], s[0:1]
; %bb.61:                               ;   in Loop: Header=BB112_49 Depth=1
	v_or_b32_e32 v6, 0x10000, v8
	v_cmp_eq_u32_sdwa s[0:1], v8, v15 src0_sel:WORD_0 src1_sel:DWORD
	s_nop 1
	v_cndmask_b32_e64 v25, v6, v8, s[0:1]
; %bb.62:                               ;   in Loop: Header=BB112_49 Depth=1
	s_or_b64 exec, exec, s[2:3]
	v_and_b32_e32 v6, 0x7f800000, v9
	v_cmp_ne_u32_e64 s[0:1], s26, v6
                                        ; implicit-def: $vgpr26
	s_and_saveexec_b64 s[2:3], s[0:1]
	s_xor_b64 s[0:1], exec, s[2:3]
; %bb.63:                               ;   in Loop: Header=BB112_49 Depth=1
	v_bfe_u32 v6, v9, 16, 1
	v_add3_u32 v26, v9, v6, s27
                                        ; implicit-def: $vgpr6_vgpr7_vgpr8_vgpr9
; %bb.64:                               ;   in Loop: Header=BB112_49 Depth=1
	s_andn2_saveexec_b64 s[2:3], s[0:1]
; %bb.65:                               ;   in Loop: Header=BB112_49 Depth=1
	v_or_b32_e32 v6, 0x10000, v9
	v_cmp_eq_u32_sdwa s[0:1], v9, v15 src0_sel:WORD_0 src1_sel:DWORD
	s_nop 1
	v_cndmask_b32_e64 v26, v6, v9, s[0:1]
; %bb.66:                               ;   in Loop: Header=BB112_49 Depth=1
	s_or_b64 exec, exec, s[2:3]
	s_waitcnt lgkmcnt(0)
	v_and_b32_e32 v6, 0x7f800000, v2
	v_cmp_ne_u32_e64 s[0:1], s26, v6
                                        ; implicit-def: $vgpr27
	s_and_saveexec_b64 s[2:3], s[0:1]
	s_xor_b64 s[0:1], exec, s[2:3]
; %bb.67:                               ;   in Loop: Header=BB112_49 Depth=1
	v_bfe_u32 v6, v2, 16, 1
	v_add3_u32 v27, v2, v6, s27
; %bb.68:                               ;   in Loop: Header=BB112_49 Depth=1
	s_andn2_saveexec_b64 s[2:3], s[0:1]
; %bb.69:                               ;   in Loop: Header=BB112_49 Depth=1
	v_or_b32_e32 v6, 0x10000, v2
	v_cmp_eq_u32_sdwa s[0:1], v2, v15 src0_sel:WORD_0 src1_sel:DWORD
	s_nop 1
	v_cndmask_b32_e64 v27, v6, v2, s[0:1]
; %bb.70:                               ;   in Loop: Header=BB112_49 Depth=1
	s_or_b64 exec, exec, s[2:3]
	v_and_b32_e32 v2, 0x7f800000, v3
	v_cmp_ne_u32_e64 s[0:1], s26, v2
                                        ; implicit-def: $vgpr19
	s_and_saveexec_b64 s[2:3], s[0:1]
	s_xor_b64 s[0:1], exec, s[2:3]
; %bb.71:                               ;   in Loop: Header=BB112_49 Depth=1
	v_bfe_u32 v2, v3, 16, 1
	v_add3_u32 v19, v3, v2, s27
; %bb.72:                               ;   in Loop: Header=BB112_49 Depth=1
	s_andn2_saveexec_b64 s[2:3], s[0:1]
; %bb.73:                               ;   in Loop: Header=BB112_49 Depth=1
	v_or_b32_e32 v2, 0x10000, v3
	v_cmp_eq_u32_sdwa s[0:1], v3, v15 src0_sel:WORD_0 src1_sel:DWORD
	s_nop 1
	v_cndmask_b32_e64 v19, v2, v3, s[0:1]
; %bb.74:                               ;   in Loop: Header=BB112_49 Depth=1
	s_or_b64 exec, exec, s[2:3]
	v_and_b32_e32 v2, 0x7f800000, v4
	v_cmp_ne_u32_e64 s[0:1], s26, v2
                                        ; implicit-def: $vgpr9
	s_and_saveexec_b64 s[2:3], s[0:1]
	s_xor_b64 s[0:1], exec, s[2:3]
; %bb.75:                               ;   in Loop: Header=BB112_49 Depth=1
	v_bfe_u32 v2, v4, 16, 1
	v_add3_u32 v9, v4, v2, s27
; %bb.76:                               ;   in Loop: Header=BB112_49 Depth=1
	s_andn2_saveexec_b64 s[2:3], s[0:1]
; %bb.77:                               ;   in Loop: Header=BB112_49 Depth=1
	v_or_b32_e32 v2, 0x10000, v4
	v_cmp_eq_u32_sdwa s[0:1], v4, v15 src0_sel:WORD_0 src1_sel:DWORD
	s_nop 1
	v_cndmask_b32_e64 v9, v2, v4, s[0:1]
; %bb.78:                               ;   in Loop: Header=BB112_49 Depth=1
	s_or_b64 exec, exec, s[2:3]
	v_and_b32_e32 v2, 0x7f800000, v5
	v_cmp_ne_u32_e64 s[0:1], s26, v2
                                        ; implicit-def: $vgpr8
	s_and_saveexec_b64 s[2:3], s[0:1]
	s_xor_b64 s[0:1], exec, s[2:3]
; %bb.79:                               ;   in Loop: Header=BB112_49 Depth=1
	v_bfe_u32 v2, v5, 16, 1
	v_add3_u32 v8, v5, v2, s27
                                        ; implicit-def: $vgpr2_vgpr3_vgpr4_vgpr5
; %bb.80:                               ;   in Loop: Header=BB112_49 Depth=1
	s_andn2_saveexec_b64 s[2:3], s[0:1]
; %bb.81:                               ;   in Loop: Header=BB112_49 Depth=1
	v_or_b32_e32 v2, 0x10000, v5
	v_cmp_eq_u32_sdwa s[0:1], v5, v15 src0_sel:WORD_0 src1_sel:DWORD
	s_nop 1
	v_cndmask_b32_e64 v8, v2, v5, s[0:1]
; %bb.82:                               ;   in Loop: Header=BB112_49 Depth=1
	s_or_b64 exec, exec, s[2:3]
	s_waitcnt vmcnt(0)
	v_mad_i64_i32 v[2:3], s[0:1], v28, s31, 0
	v_lshl_add_u64 v[6:7], v[2:3], 1, s[10:11]
	v_lshl_add_u64 v[2:3], v[6:7], 0, v[14:15]
	global_load_dwordx4 v[2:5], v[2:3], off
	v_cmp_eq_u32_e64 s[2:3], s35, v1
	s_waitcnt vmcnt(0)
	v_lshrrev_b32_e32 v30, 16, v2
	v_lshrrev_b32_e32 v28, 16, v3
	;; [unrolled: 1-line block ×4, first 2 shown]
	s_and_saveexec_b64 s[16:17], s[2:3]
	s_cbranch_execz .LBB112_84
; %bb.83:                               ;   in Loop: Header=BB112_49 Depth=1
	v_cmp_gt_i32_e64 s[0:1], s33, v11
	v_add_u32_e32 v32, 1, v11
	s_nop 0
	v_cndmask_b32_e64 v2, 0, v2, s[0:1]
	v_cmp_gt_i32_e64 s[0:1], s33, v32
	v_add_u32_e32 v32, 2, v11
	s_nop 0
	v_cndmask_b32_e64 v30, 0, v30, s[0:1]
	;; [unrolled: 4-line block ×7, first 2 shown]
	v_cmp_gt_i32_e64 s[0:1], s33, v32
	s_nop 1
	v_cndmask_b32_e64 v31, 0, v31, s[0:1]
.LBB112_84:                             ;   in Loop: Header=BB112_49 Depth=1
	s_or_b64 exec, exec, s[16:17]
	v_and_b32_e32 v23, 0xffff0000, v23
	v_lshlrev_b32_e32 v2, 16, v2
	v_mul_f32_e32 v32, v23, v2
	v_and_b32_e32 v2, 0x7f800000, v32
	v_cmp_ne_u32_e64 s[0:1], s26, v2
                                        ; implicit-def: $vgpr2
	s_and_saveexec_b64 s[16:17], s[0:1]
	s_xor_b64 s[0:1], exec, s[16:17]
; %bb.85:                               ;   in Loop: Header=BB112_49 Depth=1
	v_bfe_u32 v2, v32, 16, 1
	v_add3_u32 v2, v32, v2, s27
                                        ; implicit-def: $vgpr32
; %bb.86:                               ;   in Loop: Header=BB112_49 Depth=1
	s_andn2_saveexec_b64 s[16:17], s[0:1]
; %bb.87:                               ;   in Loop: Header=BB112_49 Depth=1
	v_or_b32_e32 v2, 0x10000, v32
	v_cmp_eq_u32_sdwa s[0:1], v32, v15 src0_sel:WORD_0 src1_sel:DWORD
	s_nop 1
	v_cndmask_b32_e64 v2, v2, v32, s[0:1]
; %bb.88:                               ;   in Loop: Header=BB112_49 Depth=1
	s_or_b64 exec, exec, s[16:17]
	v_and_b32_e32 v24, 0xffff0000, v24
	v_lshlrev_b32_e32 v30, 16, v30
	v_mul_f32_e32 v30, v24, v30
	v_and_b32_e32 v32, 0x7f800000, v30
	v_cmp_ne_u32_e64 s[0:1], s26, v32
                                        ; implicit-def: $vgpr32
	s_and_saveexec_b64 s[16:17], s[0:1]
	s_xor_b64 s[0:1], exec, s[16:17]
; %bb.89:                               ;   in Loop: Header=BB112_49 Depth=1
	v_bfe_u32 v32, v30, 16, 1
	v_add3_u32 v32, v30, v32, s27
                                        ; implicit-def: $vgpr30
; %bb.90:                               ;   in Loop: Header=BB112_49 Depth=1
	s_andn2_saveexec_b64 s[16:17], s[0:1]
; %bb.91:                               ;   in Loop: Header=BB112_49 Depth=1
	v_or_b32_e32 v32, 0x10000, v30
	v_cmp_eq_u32_sdwa s[0:1], v30, v15 src0_sel:WORD_0 src1_sel:DWORD
	s_nop 1
	v_cndmask_b32_e64 v32, v32, v30, s[0:1]
; %bb.92:                               ;   in Loop: Header=BB112_49 Depth=1
	s_or_b64 exec, exec, s[16:17]
	v_and_b32_e32 v25, 0xffff0000, v25
	v_lshlrev_b32_e32 v3, 16, v3
	v_mul_f32_e32 v30, v25, v3
	v_and_b32_e32 v3, 0x7f800000, v30
	v_cmp_ne_u32_e64 s[0:1], s26, v3
                                        ; implicit-def: $vgpr3
	s_and_saveexec_b64 s[16:17], s[0:1]
	s_xor_b64 s[0:1], exec, s[16:17]
; %bb.93:                               ;   in Loop: Header=BB112_49 Depth=1
	v_bfe_u32 v3, v30, 16, 1
	v_add3_u32 v3, v30, v3, s27
                                        ; implicit-def: $vgpr30
; %bb.94:                               ;   in Loop: Header=BB112_49 Depth=1
	s_andn2_saveexec_b64 s[16:17], s[0:1]
; %bb.95:                               ;   in Loop: Header=BB112_49 Depth=1
	v_or_b32_e32 v3, 0x10000, v30
	v_cmp_eq_u32_sdwa s[0:1], v30, v15 src0_sel:WORD_0 src1_sel:DWORD
	s_nop 1
	v_cndmask_b32_e64 v3, v3, v30, s[0:1]
; %bb.96:                               ;   in Loop: Header=BB112_49 Depth=1
	s_or_b64 exec, exec, s[16:17]
	v_and_b32_e32 v26, 0xffff0000, v26
	v_lshlrev_b32_e32 v28, 16, v28
	v_mul_f32_e32 v28, v26, v28
	v_and_b32_e32 v30, 0x7f800000, v28
	v_cmp_ne_u32_e64 s[0:1], s26, v30
                                        ; implicit-def: $vgpr33
	s_and_saveexec_b64 s[16:17], s[0:1]
	s_xor_b64 s[0:1], exec, s[16:17]
; %bb.97:                               ;   in Loop: Header=BB112_49 Depth=1
	v_bfe_u32 v30, v28, 16, 1
	v_add3_u32 v33, v28, v30, s27
                                        ; implicit-def: $vgpr28
; %bb.98:                               ;   in Loop: Header=BB112_49 Depth=1
	s_andn2_saveexec_b64 s[16:17], s[0:1]
; %bb.99:                               ;   in Loop: Header=BB112_49 Depth=1
	v_or_b32_e32 v30, 0x10000, v28
	v_cmp_eq_u32_sdwa s[0:1], v28, v15 src0_sel:WORD_0 src1_sel:DWORD
	s_nop 1
	v_cndmask_b32_e64 v33, v30, v28, s[0:1]
; %bb.100:                              ;   in Loop: Header=BB112_49 Depth=1
	s_or_b64 exec, exec, s[16:17]
	v_and_b32_e32 v27, 0xffff0000, v27
	v_lshlrev_b32_e32 v4, 16, v4
	v_mul_f32_e32 v28, v27, v4
	v_and_b32_e32 v4, 0x7f800000, v28
	v_cmp_ne_u32_e64 s[0:1], s26, v4
                                        ; implicit-def: $vgpr4
	s_and_saveexec_b64 s[16:17], s[0:1]
	s_xor_b64 s[0:1], exec, s[16:17]
; %bb.101:                              ;   in Loop: Header=BB112_49 Depth=1
	v_bfe_u32 v4, v28, 16, 1
	v_add3_u32 v4, v28, v4, s27
                                        ; implicit-def: $vgpr28
; %bb.102:                              ;   in Loop: Header=BB112_49 Depth=1
	s_andn2_saveexec_b64 s[16:17], s[0:1]
; %bb.103:                              ;   in Loop: Header=BB112_49 Depth=1
	v_or_b32_e32 v4, 0x10000, v28
	v_cmp_eq_u32_sdwa s[0:1], v28, v15 src0_sel:WORD_0 src1_sel:DWORD
	s_nop 1
	v_cndmask_b32_e64 v4, v4, v28, s[0:1]
; %bb.104:                              ;   in Loop: Header=BB112_49 Depth=1
	s_or_b64 exec, exec, s[16:17]
	v_and_b32_e32 v28, 0xffff0000, v19
	v_lshlrev_b32_e32 v19, 16, v29
	v_mul_f32_e32 v29, v28, v19
	v_and_b32_e32 v19, 0x7f800000, v29
	v_cmp_ne_u32_e64 s[0:1], s26, v19
                                        ; implicit-def: $vgpr19
	s_and_saveexec_b64 s[16:17], s[0:1]
	s_xor_b64 s[0:1], exec, s[16:17]
; %bb.105:                              ;   in Loop: Header=BB112_49 Depth=1
	v_bfe_u32 v19, v29, 16, 1
	v_add3_u32 v19, v29, v19, s27
                                        ; implicit-def: $vgpr29
; %bb.106:                              ;   in Loop: Header=BB112_49 Depth=1
	s_andn2_saveexec_b64 s[16:17], s[0:1]
; %bb.107:                              ;   in Loop: Header=BB112_49 Depth=1
	v_or_b32_e32 v19, 0x10000, v29
	v_cmp_eq_u32_sdwa s[0:1], v29, v15 src0_sel:WORD_0 src1_sel:DWORD
	s_nop 1
	v_cndmask_b32_e64 v19, v19, v29, s[0:1]
; %bb.108:                              ;   in Loop: Header=BB112_49 Depth=1
	s_or_b64 exec, exec, s[16:17]
	v_and_b32_e32 v29, 0xffff0000, v9
	v_lshlrev_b32_e32 v5, 16, v5
	v_mul_f32_e32 v9, v29, v5
	v_and_b32_e32 v5, 0x7f800000, v9
	v_cmp_ne_u32_e64 s[0:1], s26, v5
                                        ; implicit-def: $vgpr5
	s_and_saveexec_b64 s[16:17], s[0:1]
	s_xor_b64 s[0:1], exec, s[16:17]
; %bb.109:                              ;   in Loop: Header=BB112_49 Depth=1
	v_bfe_u32 v5, v9, 16, 1
	v_add3_u32 v5, v9, v5, s27
                                        ; implicit-def: $vgpr9
; %bb.110:                              ;   in Loop: Header=BB112_49 Depth=1
	s_andn2_saveexec_b64 s[16:17], s[0:1]
; %bb.111:                              ;   in Loop: Header=BB112_49 Depth=1
	v_or_b32_e32 v5, 0x10000, v9
	v_cmp_eq_u32_sdwa s[0:1], v9, v15 src0_sel:WORD_0 src1_sel:DWORD
	s_nop 1
	v_cndmask_b32_e64 v5, v5, v9, s[0:1]
; %bb.112:                              ;   in Loop: Header=BB112_49 Depth=1
	s_or_b64 exec, exec, s[16:17]
	v_and_b32_e32 v30, 0xffff0000, v8
	v_lshlrev_b32_e32 v8, 16, v31
	v_mul_f32_e32 v8, v30, v8
	v_and_b32_e32 v9, 0x7f800000, v8
	v_cmp_ne_u32_e64 s[0:1], s26, v9
                                        ; implicit-def: $vgpr9
	s_and_saveexec_b64 s[16:17], s[0:1]
	s_xor_b64 s[0:1], exec, s[16:17]
; %bb.113:                              ;   in Loop: Header=BB112_49 Depth=1
	v_bfe_u32 v9, v8, 16, 1
	v_add3_u32 v9, v8, v9, s27
                                        ; implicit-def: $vgpr8
; %bb.114:                              ;   in Loop: Header=BB112_49 Depth=1
	s_andn2_saveexec_b64 s[16:17], s[0:1]
; %bb.115:                              ;   in Loop: Header=BB112_49 Depth=1
	v_or_b32_e32 v9, 0x10000, v8
	v_cmp_eq_u32_sdwa s[0:1], v8, v15 src0_sel:WORD_0 src1_sel:DWORD
	s_nop 1
	v_cndmask_b32_e64 v9, v9, v8, s[0:1]
; %bb.116:                              ;   in Loop: Header=BB112_49 Depth=1
	s_or_b64 exec, exec, s[16:17]
	v_and_b32_e32 v33, 0xffff0000, v33
	v_and_b32_e32 v32, 0xffff0000, v32
	;; [unrolled: 1-line block ×4, first 2 shown]
	v_pk_add_f32 v[2:3], v[2:3], v[32:33]
	v_and_b32_e32 v9, 0xffff0000, v9
	v_and_b32_e32 v8, 0xffff0000, v19
	;; [unrolled: 1-line block ×4, first 2 shown]
	v_mov_b32_e32 v32, v3
	v_pk_add_f32 v[2:3], v[2:3], v[32:33]
	v_pk_add_f32 v[4:5], v[4:5], v[8:9]
	s_nop 0
	v_pk_add_f32 v[2:3], v[2:3], v[4:5]
	v_mov_b32_e32 v4, v5
	v_pk_add_f32 v[2:3], v[2:3], v[4:5]
	s_nop 0
	v_pk_add_f32 v[8:9], v[12:13], v[2:3]
	s_and_saveexec_b64 s[16:17], vcc
	s_cbranch_execz .LBB112_47
; %bb.117:                              ;   in Loop: Header=BB112_49 Depth=1
	v_mov_b32_e32 v19, v15
	v_lshl_add_u64 v[2:3], v[6:7], 0, v[18:19]
	global_load_dwordx4 v[2:5], v[2:3], off
	s_waitcnt vmcnt(0)
	v_lshrrev_b32_e32 v7, 16, v2
	v_lshrrev_b32_e32 v19, 16, v3
	;; [unrolled: 1-line block ×4, first 2 shown]
	s_and_saveexec_b64 s[18:19], s[2:3]
	s_cbranch_execz .LBB112_119
; %bb.118:                              ;   in Loop: Header=BB112_49 Depth=1
	v_cmp_gt_i32_e64 s[0:1], s33, v11
	v_add_u32_e32 v31, 1, v11
	s_nop 0
	v_cndmask_b32_e64 v2, 0, v2, s[0:1]
	v_cmp_gt_i32_e64 s[0:1], s33, v31
	v_add_u32_e32 v31, 2, v11
	s_nop 0
	v_cndmask_b32_e64 v7, 0, v7, s[0:1]
	;; [unrolled: 4-line block ×7, first 2 shown]
	v_cmp_gt_i32_e64 s[0:1], s33, v31
	s_nop 1
	v_cndmask_b32_e64 v6, 0, v6, s[0:1]
.LBB112_119:                            ;   in Loop: Header=BB112_49 Depth=1
	s_or_b64 exec, exec, s[18:19]
	v_lshlrev_b32_e32 v2, 16, v2
	v_mul_f32_e32 v23, v23, v2
	v_and_b32_e32 v2, 0x7f800000, v23
	v_cmp_ne_u32_e64 s[0:1], s26, v2
                                        ; implicit-def: $vgpr2
	s_and_saveexec_b64 s[2:3], s[0:1]
	s_xor_b64 s[0:1], exec, s[2:3]
; %bb.120:                              ;   in Loop: Header=BB112_49 Depth=1
	v_bfe_u32 v2, v23, 16, 1
	v_add3_u32 v2, v23, v2, s27
                                        ; implicit-def: $vgpr23
; %bb.121:                              ;   in Loop: Header=BB112_49 Depth=1
	s_andn2_saveexec_b64 s[2:3], s[0:1]
; %bb.122:                              ;   in Loop: Header=BB112_49 Depth=1
	v_or_b32_e32 v2, 0x10000, v23
	v_cmp_eq_u32_sdwa s[0:1], v23, v15 src0_sel:WORD_0 src1_sel:DWORD
	s_nop 1
	v_cndmask_b32_e64 v2, v2, v23, s[0:1]
; %bb.123:                              ;   in Loop: Header=BB112_49 Depth=1
	s_or_b64 exec, exec, s[2:3]
	v_lshlrev_b32_e32 v7, 16, v7
	v_mul_f32_e32 v23, v24, v7
	v_and_b32_e32 v7, 0x7f800000, v23
	v_cmp_ne_u32_e64 s[0:1], s26, v7
                                        ; implicit-def: $vgpr7
	s_and_saveexec_b64 s[2:3], s[0:1]
	s_xor_b64 s[0:1], exec, s[2:3]
; %bb.124:                              ;   in Loop: Header=BB112_49 Depth=1
	v_bfe_u32 v7, v23, 16, 1
	v_add3_u32 v7, v23, v7, s27
                                        ; implicit-def: $vgpr23
; %bb.125:                              ;   in Loop: Header=BB112_49 Depth=1
	s_andn2_saveexec_b64 s[2:3], s[0:1]
; %bb.126:                              ;   in Loop: Header=BB112_49 Depth=1
	v_or_b32_e32 v7, 0x10000, v23
	v_cmp_eq_u32_sdwa s[0:1], v23, v15 src0_sel:WORD_0 src1_sel:DWORD
	s_nop 1
	v_cndmask_b32_e64 v7, v7, v23, s[0:1]
; %bb.127:                              ;   in Loop: Header=BB112_49 Depth=1
	s_or_b64 exec, exec, s[2:3]
	v_lshlrev_b32_e32 v3, 16, v3
	v_mul_f32_e32 v23, v25, v3
	v_and_b32_e32 v3, 0x7f800000, v23
	v_cmp_ne_u32_e64 s[0:1], s26, v3
                                        ; implicit-def: $vgpr3
	s_and_saveexec_b64 s[2:3], s[0:1]
	s_xor_b64 s[0:1], exec, s[2:3]
; %bb.128:                              ;   in Loop: Header=BB112_49 Depth=1
	v_bfe_u32 v3, v23, 16, 1
	v_add3_u32 v3, v23, v3, s27
                                        ; implicit-def: $vgpr23
; %bb.129:                              ;   in Loop: Header=BB112_49 Depth=1
	s_andn2_saveexec_b64 s[2:3], s[0:1]
; %bb.130:                              ;   in Loop: Header=BB112_49 Depth=1
	v_or_b32_e32 v3, 0x10000, v23
	v_cmp_eq_u32_sdwa s[0:1], v23, v15 src0_sel:WORD_0 src1_sel:DWORD
	s_nop 1
	v_cndmask_b32_e64 v3, v3, v23, s[0:1]
; %bb.131:                              ;   in Loop: Header=BB112_49 Depth=1
	s_or_b64 exec, exec, s[2:3]
	v_lshlrev_b32_e32 v19, 16, v19
	v_mul_f32_e32 v23, v26, v19
	v_and_b32_e32 v19, 0x7f800000, v23
	v_cmp_ne_u32_e64 s[0:1], s26, v19
                                        ; implicit-def: $vgpr19
	s_and_saveexec_b64 s[2:3], s[0:1]
	s_xor_b64 s[0:1], exec, s[2:3]
; %bb.132:                              ;   in Loop: Header=BB112_49 Depth=1
	v_bfe_u32 v19, v23, 16, 1
	v_add3_u32 v19, v23, v19, s27
                                        ; implicit-def: $vgpr23
; %bb.133:                              ;   in Loop: Header=BB112_49 Depth=1
	s_andn2_saveexec_b64 s[2:3], s[0:1]
; %bb.134:                              ;   in Loop: Header=BB112_49 Depth=1
	v_or_b32_e32 v19, 0x10000, v23
	v_cmp_eq_u32_sdwa s[0:1], v23, v15 src0_sel:WORD_0 src1_sel:DWORD
	s_nop 1
	v_cndmask_b32_e64 v19, v19, v23, s[0:1]
; %bb.135:                              ;   in Loop: Header=BB112_49 Depth=1
	s_or_b64 exec, exec, s[2:3]
	v_lshlrev_b32_e32 v4, 16, v4
	v_mul_f32_e32 v23, v27, v4
	v_and_b32_e32 v4, 0x7f800000, v23
	v_cmp_ne_u32_e64 s[0:1], s26, v4
                                        ; implicit-def: $vgpr4
	s_and_saveexec_b64 s[2:3], s[0:1]
	s_xor_b64 s[0:1], exec, s[2:3]
; %bb.136:                              ;   in Loop: Header=BB112_49 Depth=1
	v_bfe_u32 v4, v23, 16, 1
	v_add3_u32 v4, v23, v4, s27
                                        ; implicit-def: $vgpr23
; %bb.137:                              ;   in Loop: Header=BB112_49 Depth=1
	s_andn2_saveexec_b64 s[2:3], s[0:1]
; %bb.138:                              ;   in Loop: Header=BB112_49 Depth=1
	v_or_b32_e32 v4, 0x10000, v23
	v_cmp_eq_u32_sdwa s[0:1], v23, v15 src0_sel:WORD_0 src1_sel:DWORD
	s_nop 1
	v_cndmask_b32_e64 v4, v4, v23, s[0:1]
; %bb.139:                              ;   in Loop: Header=BB112_49 Depth=1
	s_or_b64 exec, exec, s[2:3]
	v_lshlrev_b32_e32 v9, 16, v9
	v_mul_f32_e32 v23, v28, v9
	v_and_b32_e32 v9, 0x7f800000, v23
	v_cmp_ne_u32_e64 s[0:1], s26, v9
                                        ; implicit-def: $vgpr9
	s_and_saveexec_b64 s[2:3], s[0:1]
	s_xor_b64 s[0:1], exec, s[2:3]
; %bb.140:                              ;   in Loop: Header=BB112_49 Depth=1
	v_bfe_u32 v9, v23, 16, 1
	v_add3_u32 v9, v23, v9, s27
                                        ; implicit-def: $vgpr23
; %bb.141:                              ;   in Loop: Header=BB112_49 Depth=1
	s_andn2_saveexec_b64 s[2:3], s[0:1]
; %bb.142:                              ;   in Loop: Header=BB112_49 Depth=1
	v_or_b32_e32 v9, 0x10000, v23
	v_cmp_eq_u32_sdwa s[0:1], v23, v15 src0_sel:WORD_0 src1_sel:DWORD
	s_nop 1
	v_cndmask_b32_e64 v9, v9, v23, s[0:1]
; %bb.143:                              ;   in Loop: Header=BB112_49 Depth=1
	s_or_b64 exec, exec, s[2:3]
	v_lshlrev_b32_e32 v5, 16, v5
	v_mul_f32_e32 v23, v29, v5
	v_and_b32_e32 v5, 0x7f800000, v23
	v_cmp_ne_u32_e64 s[0:1], s26, v5
                                        ; implicit-def: $vgpr5
	s_and_saveexec_b64 s[2:3], s[0:1]
	s_xor_b64 s[0:1], exec, s[2:3]
; %bb.144:                              ;   in Loop: Header=BB112_49 Depth=1
	v_bfe_u32 v5, v23, 16, 1
	v_add3_u32 v5, v23, v5, s27
                                        ; implicit-def: $vgpr23
; %bb.145:                              ;   in Loop: Header=BB112_49 Depth=1
	s_andn2_saveexec_b64 s[2:3], s[0:1]
; %bb.146:                              ;   in Loop: Header=BB112_49 Depth=1
	v_or_b32_e32 v5, 0x10000, v23
	v_cmp_eq_u32_sdwa s[0:1], v23, v15 src0_sel:WORD_0 src1_sel:DWORD
	s_nop 1
	v_cndmask_b32_e64 v5, v5, v23, s[0:1]
; %bb.147:                              ;   in Loop: Header=BB112_49 Depth=1
	s_or_b64 exec, exec, s[2:3]
	v_lshlrev_b32_e32 v6, 16, v6
	v_mul_f32_e32 v6, v30, v6
	v_and_b32_e32 v23, 0x7f800000, v6
	v_cmp_ne_u32_e64 s[0:1], s26, v23
                                        ; implicit-def: $vgpr23
	s_and_saveexec_b64 s[2:3], s[0:1]
	s_xor_b64 s[0:1], exec, s[2:3]
; %bb.148:                              ;   in Loop: Header=BB112_49 Depth=1
	v_bfe_u32 v23, v6, 16, 1
	v_add3_u32 v23, v6, v23, s27
                                        ; implicit-def: $vgpr6
; %bb.149:                              ;   in Loop: Header=BB112_49 Depth=1
	s_andn2_saveexec_b64 s[2:3], s[0:1]
	s_cbranch_execz .LBB112_46
; %bb.150:                              ;   in Loop: Header=BB112_49 Depth=1
	v_or_b32_e32 v23, 0x10000, v6
	v_cmp_eq_u32_sdwa s[0:1], v6, v15 src0_sel:WORD_0 src1_sel:DWORD
	s_nop 1
	v_cndmask_b32_e64 v23, v23, v6, s[0:1]
	s_branch .LBB112_46
.LBB112_151:
	s_or_b64 exec, exec, s[12:13]
.LBB112_152:
	s_or_b64 exec, exec, s[8:9]
	v_and_b32_e32 v1, 0x3c0, v0
	v_cmp_eq_u32_e32 vcc, 64, v1
	s_barrier
	s_and_saveexec_b64 s[0:1], vcc
	s_cbranch_execz .LBB112_155
; %bb.153:
	v_mov_b32_e32 v1, 0xf0
	v_lshl_add_u32 v2, v20, 2, v1
	ds_write_b32 v2, v12
	s_and_b64 exec, exec, s[6:7]
	s_cbranch_execz .LBB112_155
; %bb.154:
	v_lshl_add_u32 v1, v0, 2, v1
	ds_write_b32 v1, v13
.LBB112_155:
	s_or_b64 exec, exec, s[0:1]
	v_cmp_gt_u32_e32 vcc, 64, v0
	v_or_b32_e32 v1, 64, v0
	s_waitcnt lgkmcnt(0)
	s_barrier
	s_and_saveexec_b64 s[2:3], vcc
	s_cbranch_execz .LBB112_159
; %bb.156:
	v_mov_b32_e32 v2, 0xf0
	v_lshl_add_u32 v2, v0, 2, v2
	ds_read_b32 v0, v2
	s_movk_i32 s0, 0x70
	v_cmp_gt_u32_e64 s[0:1], s0, v1
	s_and_saveexec_b64 s[6:7], s[0:1]
	s_cbranch_execz .LBB112_158
; %bb.157:
	ds_read_b32 v2, v2 offset:256
	s_waitcnt lgkmcnt(0)
	v_add_f32_e32 v13, v13, v2
.LBB112_158:
	s_or_b64 exec, exec, s[6:7]
	s_waitcnt lgkmcnt(0)
	v_add_f32_e32 v12, v12, v0
.LBB112_159:
	s_or_b64 exec, exec, s[2:3]
	s_barrier
	s_and_saveexec_b64 s[0:1], vcc
	s_cbranch_execz .LBB112_170
; %bb.160:
	s_mov_b32 s0, 0x7f800000
	v_and_b32_e32 v0, 0x7f800000, v12
	v_cmp_ne_u32_e32 vcc, s0, v0
                                        ; implicit-def: $vgpr0
	s_and_saveexec_b64 s[0:1], vcc
	s_xor_b64 s[0:1], exec, s[0:1]
; %bb.161:
	v_bfe_u32 v0, v12, 16, 1
	s_movk_i32 s2, 0x7fff
	v_add3_u32 v0, v12, v0, s2
; %bb.162:
	s_andn2_saveexec_b64 s[0:1], s[0:1]
; %bb.163:
	v_mov_b32_e32 v0, 0
	v_or_b32_e32 v2, 0x10000, v12
	v_cmp_eq_u32_sdwa vcc, v12, v0 src0_sel:WORD_0 src1_sel:DWORD
	s_nop 1
	v_cndmask_b32_e32 v0, v2, v12, vcc
; %bb.164:
	s_or_b64 exec, exec, s[0:1]
	s_mul_i32 s0, s20, s21
	s_mul_i32 s0, s0, s5
	s_mulk_i32 s0, 0x70
	s_ashr_i32 s1, s0, 31
	s_lshl_b64 s[0:1], s[0:1], 1
	s_add_u32 s3, s24, s0
	s_mul_i32 s0, s21, s22
	s_addc_u32 s5, s25, s1
	s_ashr_i32 s1, s0, 31
	s_lshl_b64 s[0:1], s[0:1], 1
	s_add_u32 s3, s3, s0
	s_mul_i32 s0, s4, 0x70
	s_addc_u32 s5, s5, s1
	s_ashr_i32 s1, s0, 31
	s_lshl_b64 s[0:1], s[0:1], 1
	s_movk_i32 s2, 0x70
	s_add_u32 s0, s3, s0
	s_addc_u32 s1, s5, s1
	v_cmp_gt_u32_e32 vcc, s2, v1
	global_store_short_d16_hi v10, v0, s[0:1]
	s_and_b64 exec, exec, vcc
	s_cbranch_execz .LBB112_170
; %bb.165:
	s_mov_b32 s2, 0x7f800000
	v_and_b32_e32 v0, 0x7f800000, v13
	v_mov_b32_e32 v11, 0
	v_cmp_ne_u32_e32 vcc, s2, v0
                                        ; implicit-def: $vgpr2
	s_and_saveexec_b64 s[2:3], vcc
	s_xor_b64 s[2:3], exec, s[2:3]
; %bb.166:
	v_bfe_u32 v0, v13, 16, 1
	s_movk_i32 s4, 0x7fff
	v_add3_u32 v2, v13, v0, s4
                                        ; implicit-def: $vgpr13
; %bb.167:
	s_or_saveexec_b64 s[2:3], s[2:3]
	v_lshl_add_u64 v[0:1], s[0:1], 0, v[10:11]
	s_xor_b64 exec, exec, s[2:3]
; %bb.168:
	v_mov_b32_e32 v2, 0
	v_or_b32_e32 v3, 0x10000, v13
	v_cmp_eq_u32_sdwa vcc, v13, v2 src0_sel:WORD_0 src1_sel:DWORD
	s_nop 1
	v_cndmask_b32_e32 v2, v3, v13, vcc
; %bb.169:
	s_or_b64 exec, exec, s[2:3]
	global_store_short_d16_hi v[0:1], v2, off offset:128
.LBB112_170:
	s_endpgm
	.section	.rodata,"a",@progbits
	.p2align	6, 0x0
	.amdhsa_kernel _ZN4vllm25paged_attention_v1_kernelI14__hip_bfloat16S1_Li112ELi8ELi128ELNS_18Fp8KVCacheDataTypeE0ELb1EEEvPT_PKS3_PKT0_S9_ifPKiSB_iPKfiiiSD_SD_iiiii
		.amdhsa_group_segment_fixed_size 240
		.amdhsa_private_segment_fixed_size 0
		.amdhsa_kernarg_size 384
		.amdhsa_user_sgpr_count 2
		.amdhsa_user_sgpr_dispatch_ptr 0
		.amdhsa_user_sgpr_queue_ptr 0
		.amdhsa_user_sgpr_kernarg_segment_ptr 1
		.amdhsa_user_sgpr_dispatch_id 0
		.amdhsa_user_sgpr_kernarg_preload_length 0
		.amdhsa_user_sgpr_kernarg_preload_offset 0
		.amdhsa_user_sgpr_private_segment_size 0
		.amdhsa_uses_dynamic_stack 0
		.amdhsa_enable_private_segment 0
		.amdhsa_system_sgpr_workgroup_id_x 1
		.amdhsa_system_sgpr_workgroup_id_y 1
		.amdhsa_system_sgpr_workgroup_id_z 1
		.amdhsa_system_sgpr_workgroup_info 0
		.amdhsa_system_vgpr_workitem_id 0
		.amdhsa_next_free_vgpr 53
		.amdhsa_next_free_sgpr 47
		.amdhsa_accum_offset 56
		.amdhsa_reserve_vcc 1
		.amdhsa_float_round_mode_32 0
		.amdhsa_float_round_mode_16_64 0
		.amdhsa_float_denorm_mode_32 3
		.amdhsa_float_denorm_mode_16_64 3
		.amdhsa_dx10_clamp 1
		.amdhsa_ieee_mode 1
		.amdhsa_fp16_overflow 0
		.amdhsa_tg_split 0
		.amdhsa_exception_fp_ieee_invalid_op 0
		.amdhsa_exception_fp_denorm_src 0
		.amdhsa_exception_fp_ieee_div_zero 0
		.amdhsa_exception_fp_ieee_overflow 0
		.amdhsa_exception_fp_ieee_underflow 0
		.amdhsa_exception_fp_ieee_inexact 0
		.amdhsa_exception_int_div_zero 0
	.end_amdhsa_kernel
	.section	.text._ZN4vllm25paged_attention_v1_kernelI14__hip_bfloat16S1_Li112ELi8ELi128ELNS_18Fp8KVCacheDataTypeE0ELb1EEEvPT_PKS3_PKT0_S9_ifPKiSB_iPKfiiiSD_SD_iiiii,"axG",@progbits,_ZN4vllm25paged_attention_v1_kernelI14__hip_bfloat16S1_Li112ELi8ELi128ELNS_18Fp8KVCacheDataTypeE0ELb1EEEvPT_PKS3_PKT0_S9_ifPKiSB_iPKfiiiSD_SD_iiiii,comdat
.Lfunc_end112:
	.size	_ZN4vllm25paged_attention_v1_kernelI14__hip_bfloat16S1_Li112ELi8ELi128ELNS_18Fp8KVCacheDataTypeE0ELb1EEEvPT_PKS3_PKT0_S9_ifPKiSB_iPKfiiiSD_SD_iiiii, .Lfunc_end112-_ZN4vllm25paged_attention_v1_kernelI14__hip_bfloat16S1_Li112ELi8ELi128ELNS_18Fp8KVCacheDataTypeE0ELb1EEEvPT_PKS3_PKT0_S9_ifPKiSB_iPKfiiiSD_SD_iiiii
                                        ; -- End function
	.section	.AMDGPU.csdata,"",@progbits
; Kernel info:
; codeLenInByte = 7068
; NumSgprs: 53
; NumVgprs: 53
; NumAgprs: 0
; TotalNumVgprs: 53
; ScratchSize: 0
; MemoryBound: 0
; FloatMode: 240
; IeeeMode: 1
; LDSByteSize: 240 bytes/workgroup (compile time only)
; SGPRBlocks: 6
; VGPRBlocks: 6
; NumSGPRsForWavesPerEU: 53
; NumVGPRsForWavesPerEU: 53
; AccumOffset: 56
; Occupancy: 8
; WaveLimiterHint : 1
; COMPUTE_PGM_RSRC2:SCRATCH_EN: 0
; COMPUTE_PGM_RSRC2:USER_SGPR: 2
; COMPUTE_PGM_RSRC2:TRAP_HANDLER: 0
; COMPUTE_PGM_RSRC2:TGID_X_EN: 1
; COMPUTE_PGM_RSRC2:TGID_Y_EN: 1
; COMPUTE_PGM_RSRC2:TGID_Z_EN: 1
; COMPUTE_PGM_RSRC2:TIDIG_COMP_CNT: 0
; COMPUTE_PGM_RSRC3_GFX90A:ACCUM_OFFSET: 13
; COMPUTE_PGM_RSRC3_GFX90A:TG_SPLIT: 0
	.section	.text._ZN4vllm25paged_attention_v1_kernelI14__hip_bfloat16S1_Li120ELi8ELi128ELNS_18Fp8KVCacheDataTypeE0ELb1EEEvPT_PKS3_PKT0_S9_ifPKiSB_iPKfiiiSD_SD_iiiii,"axG",@progbits,_ZN4vllm25paged_attention_v1_kernelI14__hip_bfloat16S1_Li120ELi8ELi128ELNS_18Fp8KVCacheDataTypeE0ELb1EEEvPT_PKS3_PKT0_S9_ifPKiSB_iPKfiiiSD_SD_iiiii,comdat
	.protected	_ZN4vllm25paged_attention_v1_kernelI14__hip_bfloat16S1_Li120ELi8ELi128ELNS_18Fp8KVCacheDataTypeE0ELb1EEEvPT_PKS3_PKT0_S9_ifPKiSB_iPKfiiiSD_SD_iiiii ; -- Begin function _ZN4vllm25paged_attention_v1_kernelI14__hip_bfloat16S1_Li120ELi8ELi128ELNS_18Fp8KVCacheDataTypeE0ELb1EEEvPT_PKS3_PKT0_S9_ifPKiSB_iPKfiiiSD_SD_iiiii
	.globl	_ZN4vllm25paged_attention_v1_kernelI14__hip_bfloat16S1_Li120ELi8ELi128ELNS_18Fp8KVCacheDataTypeE0ELb1EEEvPT_PKS3_PKT0_S9_ifPKiSB_iPKfiiiSD_SD_iiiii
	.p2align	8
	.type	_ZN4vllm25paged_attention_v1_kernelI14__hip_bfloat16S1_Li120ELi8ELi128ELNS_18Fp8KVCacheDataTypeE0ELb1EEEvPT_PKS3_PKT0_S9_ifPKiSB_iPKfiiiSD_SD_iiiii,@function
_ZN4vllm25paged_attention_v1_kernelI14__hip_bfloat16S1_Li120ELi8ELi128ELNS_18Fp8KVCacheDataTypeE0ELb1EEEvPT_PKS3_PKT0_S9_ifPKiSB_iPKfiiiSD_SD_iiiii: ; @_ZN4vllm25paged_attention_v1_kernelI14__hip_bfloat16S1_Li120ELi8ELi128ELNS_18Fp8KVCacheDataTypeE0ELb1EEEvPT_PKS3_PKT0_S9_ifPKiSB_iPKfiiiSD_SD_iiiii
; %bb.0:
	s_load_dword s5, s[0:1], 0x80
	s_load_dwordx2 s[6:7], s[0:1], 0x30
	s_load_dwordx2 s[34:35], s[0:1], 0x20
	s_mov_b32 s20, s3
	s_ashr_i32 s21, s3, 31
	s_lshl_b64 s[8:9], s[20:21], 2
	s_waitcnt lgkmcnt(0)
	s_add_u32 s6, s6, s8
	s_addc_u32 s7, s7, s9
	s_abs_i32 s3, s34
	v_cvt_f32_u32_e32 v1, s3
	s_sub_i32 s10, 0, s3
	s_abs_i32 s9, s5
	s_xor_b32 s8, s5, s34
	v_rcp_iflag_f32_e32 v1, v1
	s_ashr_i32 s8, s8, 31
	s_mov_b32 s46, 0
	v_mul_f32_e32 v1, 0x4f7ffffe, v1
	v_cvt_u32_f32_e32 v1, v1
	s_nop 0
	v_readfirstlane_b32 s11, v1
	s_mul_i32 s10, s10, s11
	s_mul_hi_u32 s10, s11, s10
	s_add_i32 s11, s11, s10
	s_mul_hi_u32 s10, s9, s11
	s_mul_i32 s11, s10, s3
	s_sub_i32 s9, s9, s11
	s_add_i32 s11, s10, 1
	s_sub_i32 s12, s9, s3
	s_cmp_ge_u32 s9, s3
	s_cselect_b32 s10, s11, s10
	s_cselect_b32 s9, s12, s9
	s_add_i32 s11, s10, 1
	s_cmp_ge_u32 s9, s3
	s_cselect_b32 s3, s11, s10
	s_xor_b32 s3, s3, s8
	s_sub_i32 s12, s3, s8
	s_abs_i32 s10, s12
	v_cvt_f32_u32_e32 v1, s10
	s_load_dwordx2 s[8:9], s[0:1], 0x40
	s_sub_i32 s3, 0, s10
	s_abs_i32 s11, s2
	v_rcp_iflag_f32_e32 v1, v1
	s_nop 0
	v_mul_f32_e32 v1, 0x4f7ffffe, v1
	v_cvt_u32_f32_e32 v1, v1
	s_nop 0
	v_readfirstlane_b32 s13, v1
	s_mul_i32 s3, s3, s13
	s_mul_hi_u32 s3, s13, s3
	s_add_i32 s13, s13, s3
	s_waitcnt lgkmcnt(0)
	s_cmp_eq_u64 s[8:9], 0
	s_mul_hi_u32 s21, s11, s13
	s_cbranch_scc1 .LBB113_2
; %bb.1:
	s_ashr_i32 s3, s2, 31
	s_lshl_b64 s[14:15], s[2:3], 2
	s_add_u32 s8, s8, s14
	s_addc_u32 s9, s9, s15
	s_load_dword s46, s[8:9], 0x0
.LBB113_2:
	s_load_dword s33, s[6:7], 0x0
	s_ashr_i32 s25, s12, 31
	s_load_dwordx4 s[12:15], s[0:1], 0x48
	s_movk_i32 s3, 0x78
	s_ashr_i32 s24, s2, 31
	v_and_b32_e32 v4, 7, v0
	s_mul_i32 s22, s2, 0x78
	v_cmp_gt_u32_e64 s[6:7], s3, v0
	v_lshlrev_b32_e32 v10, 1, v0
	s_and_saveexec_b64 s[8:9], s[6:7]
	s_cbranch_execz .LBB113_4
; %bb.3:
	s_load_dwordx2 s[16:17], s[0:1], 0x8
	s_waitcnt lgkmcnt(0)
	s_mul_i32 s18, s20, s12
	s_ashr_i32 s19, s18, 31
	s_lshl_b64 s[18:19], s[18:19], 1
	v_lshrrev_b32_e32 v2, 2, v0
	s_add_u32 s3, s16, s18
	s_addc_u32 s12, s17, s19
	s_ashr_i32 s23, s22, 31
	s_lshl_b64 s[16:17], s[22:23], 1
	s_add_u32 s16, s3, s16
	s_addc_u32 s17, s12, s17
	global_load_ushort v1, v10, s[16:17]
	v_and_b32_e32 v2, 0xfe, v2
	v_mad_u32_u24 v2, v4, 30, v2
	s_waitcnt vmcnt(0)
	ds_write_b16 v2, v1
.LBB113_4:
	s_or_b64 exec, exec, s[8:9]
	s_mul_i32 s9, s21, s10
	s_sub_i32 s9, s11, s9
	s_xor_b32 s8, s24, s25
	s_add_i32 s11, s21, 1
	s_waitcnt lgkmcnt(0)
	s_sub_i32 s12, s9, s10
	s_load_dwordx4 s[16:19], s[0:1], 0x68
	s_load_dword s3, s[0:1], 0x78
	s_cmp_ge_u32 s9, s10
	s_cselect_b32 s11, s11, s21
	s_cselect_b32 s9, s12, s9
	s_add_i32 s12, s11, 1
	s_cmp_ge_u32 s9, s10
	s_cselect_b32 s9, s12, s11
	s_waitcnt lgkmcnt(0)
	s_abs_i32 s23, s19
	v_cvt_f32_u32_e32 v1, s23
	s_xor_b32 s9, s9, s8
	s_sub_i32 s10, s9, s8
	s_sub_i32 s8, 0, s23
	v_rcp_iflag_f32_e32 v1, v1
	s_add_i32 s15, s33, -1
	s_abs_i32 s11, s15
	v_mul_f32_e32 v1, 0x4f7ffffe, v1
	v_cvt_u32_f32_e32 v1, v1
	s_barrier
	v_readfirstlane_b32 s42, v1
	s_mul_i32 s8, s8, s42
	s_mul_hi_u32 s8, s42, s8
	s_add_i32 s42, s42, s8
	s_cmp_lt_i32 s3, 0
	s_mul_hi_u32 s12, s11, s42
	s_cbranch_scc0 .LBB113_6
; %bb.5:
	s_mul_i32 s8, s16, s34
	s_add_i32 s8, s10, s8
	s_mul_i32 s8, s8, s3
	s_sub_i32 s43, 1, s8
	s_mov_b64 s[8:9], 0
	s_branch .LBB113_7
.LBB113_6:
	s_mov_b64 s[8:9], -1
                                        ; implicit-def: $sgpr43
.LBB113_7:
	s_load_dwordx2 s[26:27], s[0:1], 0x28
	s_ashr_i32 s15, s15, 31
	s_andn2_b64 vcc, exec, s[8:9]
	s_ashr_i32 s44, s19, 31
	s_cbranch_vccnz .LBB113_9
; %bb.8:
	s_mul_i32 s8, s5, s16
	s_add_i32 s2, s8, s2
	s_mul_i32 s2, s2, s3
	s_add_i32 s43, s2, 1
.LBB113_9:
	s_load_dword s2, s[0:1], 0x38
	s_load_dwordx2 s[24:25], s[0:1], 0x0
	s_load_dwordx2 s[30:31], s[0:1], 0x18
	s_load_dword s21, s[0:1], 0x88
	s_xor_b32 s3, s15, s44
	s_waitcnt lgkmcnt(0)
	s_mul_i32 s28, s20, s2
	s_mul_i32 s2, s12, s23
	s_sub_i32 s2, s11, s2
	s_ashr_i32 s29, s28, 31
	s_add_i32 s8, s12, 1
	s_sub_i32 s9, s2, s23
	s_cmp_ge_u32 s2, s23
	s_cselect_b32 s8, s8, s12
	s_cselect_b32 s2, s9, s2
	s_add_i32 s9, s8, 1
	s_cmp_ge_u32 s2, s23
	s_cselect_b32 s2, s9, s8
	s_xor_b32 s2, s2, s3
	s_sub_i32 s12, s2, s3
	s_add_i32 s2, s33, 7
	s_ashr_i32 s3, s2, 31
	s_lshr_b32 s3, s3, 29
	s_add_i32 s2, s2, s3
	s_ashr_i32 s45, s2, 3
	v_lshrrev_b32_e32 v1, 6, v0
	v_cmp_gt_i32_e64 s[2:3], s45, v1
	v_mov_b32_e32 v12, 0xff7fffff
	s_mul_i32 s14, s10, s14
	v_lshrrev_b32_e32 v6, 4, v0
	v_lshlrev_b32_e32 v11, 3, v1
	v_mbcnt_lo_u32_b32 v7, -1, 0
	s_and_saveexec_b64 s[36:37], s[2:3]
	s_cbranch_execz .LBB113_19
; %bb.10:
	s_load_dwordx2 s[0:1], s[0:1], 0x10
	s_ashr_i32 s15, s14, 31
	s_sub_i32 s16, s12, s17
	s_lshl_b64 s[8:9], s[14:15], 1
	v_bfe_u32 v8, v0, 3, 3
	s_waitcnt lgkmcnt(0)
	s_add_u32 s0, s0, s8
	s_addc_u32 s1, s1, s9
	s_abs_i32 s15, s18
	v_cvt_f32_u32_e32 v2, s15
	v_lshlrev_b32_e32 v14, 4, v8
	v_mov_b32_e32 v15, 0
	s_sub_i32 s8, 0, s15
	v_rcp_iflag_f32_e32 v5, v2
	v_cmp_eq_u32_e32 vcc, 0, v4
	v_lshl_add_u64 v[2:3], s[0:1], 0, v[14:15]
	v_lshlrev_b32_e32 v14, 1, v4
	v_mul_f32_e32 v5, 0x4f7ffffe, v5
	v_cvt_u32_f32_e32 v5, v5
	v_mul_u32_u24_e32 v9, 30, v4
	v_lshlrev_b32_e32 v12, 2, v8
	v_lshl_add_u64 v[2:3], v[2:3], 0, v[14:15]
	v_mul_lo_u32 v4, s8, v5
	s_lshl_b64 s[8:9], s[28:29], 2
	s_add_u32 s8, s26, s8
	v_mul_hi_u32 v4, v5, v4
	v_and_b32_e32 v14, 60, v6
	s_addc_u32 s9, s27, s9
	v_lshl_or_b32 v12, v1, 5, v12
	v_add_u32_e32 v13, v5, v4
	v_lshl_add_u64 v[4:5], s[8:9], 0, v[14:15]
	v_add_u32_e32 v15, 0x100, v12
	v_subrev_u32_e32 v12, s33, v8
	v_mbcnt_hi_u32_b32 v18, -1, v7
	v_add_u32_e32 v16, 1, v12
	v_and_b32_e32 v12, 64, v18
	s_mov_b32 s19, s13
	v_cmp_neq_f32_e64 s[0:1], s46, 0
	v_lshlrev_b32_e32 v14, 3, v1
	s_mov_b64 s[38:39], 0
	v_mov_b32_e32 v17, 0xff7fffff
	v_add_u32_e32 v19, 64, v12
	v_xor_b32_e32 v20, 4, v18
	v_xor_b32_e32 v21, 2, v18
	;; [unrolled: 1-line block ×3, first 2 shown]
	v_mov_b32_e32 v12, 0xff7fffff
	v_mov_b32_e32 v23, v1
	s_branch .LBB113_13
.LBB113_11:                             ;   in Loop: Header=BB113_13 Depth=1
	s_or_b64 exec, exec, s[40:41]
.LBB113_12:                             ;   in Loop: Header=BB113_13 Depth=1
	s_or_b64 exec, exec, s[10:11]
	v_add_u32_e32 v23, 2, v23
	v_cmp_le_i32_e64 s[8:9], s45, v23
	v_lshl_add_u64 v[4:5], v[4:5], 0, 8
	v_add_u32_e32 v14, 16, v14
	s_or_b64 s[38:39], s[8:9], s[38:39]
	v_add_u32_e32 v15, 64, v15
	s_andn2_b64 exec, exec, s[38:39]
	s_cbranch_execz .LBB113_18
.LBB113_13:                             ; =>This Inner Loop Header: Depth=1
	v_mul_hi_u32 v24, v14, s42
	s_waitcnt lgkmcnt(0)
	v_mul_lo_u32 v25, v24, s23
	v_sub_u32_e32 v25, v14, v25
	v_add_u32_e32 v26, 1, v24
	v_cmp_le_u32_e64 s[8:9], s23, v25
	s_nop 1
	v_cndmask_b32_e64 v24, v24, v26, s[8:9]
	v_subrev_u32_e32 v26, s23, v25
	v_cndmask_b32_e64 v25, v25, v26, s[8:9]
	v_add_u32_e32 v26, 1, v24
	v_cmp_le_u32_e64 s[8:9], s23, v25
	s_nop 1
	v_cndmask_b32_e64 v24, v24, v26, s[8:9]
	v_xor_b32_e32 v24, s44, v24
	v_subrev_u32_e32 v24, s44, v24
	v_add_u32_e32 v25, s43, v24
	v_sub_u32_e32 v27, 0, v25
	v_ashrrev_i32_e32 v26, 31, v25
	v_max_i32_e32 v25, v25, v27
	v_mul_hi_u32 v27, v25, v13
	v_mul_lo_u32 v27, v27, s15
	v_sub_u32_e32 v25, v25, v27
	v_subrev_u32_e32 v27, s15, v25
	v_cmp_le_u32_e64 s[8:9], s15, v25
	v_cmp_ge_i32_e64 s[10:11], s16, v24
	s_nop 0
	v_cndmask_b32_e64 v25, v25, v27, s[8:9]
	v_subrev_u32_e32 v27, s15, v25
	v_cmp_le_u32_e64 s[8:9], s15, v25
	s_nop 1
	v_cndmask_b32_e64 v25, v25, v27, s[8:9]
	v_xor_b32_e32 v25, v25, v26
	v_sub_u32_e32 v25, v25, v26
	v_cmp_ne_u32_e64 s[8:9], 0, v25
	s_and_b64 s[8:9], s[8:9], s[10:11]
	s_and_b64 s[40:41], vcc, s[8:9]
	s_and_saveexec_b64 s[10:11], s[40:41]
	s_cbranch_execz .LBB113_15
; %bb.14:                               ;   in Loop: Header=BB113_13 Depth=1
	ds_write_b32 v15, v17
.LBB113_15:                             ;   in Loop: Header=BB113_13 Depth=1
	s_or_b64 exec, exec, s[10:11]
	s_xor_b64 s[8:9], s[8:9], -1
	s_and_saveexec_b64 s[10:11], s[8:9]
	s_cbranch_execz .LBB113_12
; %bb.16:                               ;   in Loop: Header=BB113_13 Depth=1
	global_load_dword v24, v[4:5], off
	s_waitcnt vmcnt(0)
	v_mad_i64_i32 v[24:25], s[8:9], v24, s19, 0
	v_lshl_add_u64 v[24:25], v[24:25], 1, v[2:3]
	global_load_ushort v31, v[24:25], off
	global_load_ushort v32, v[24:25], off offset:128
	global_load_ushort v33, v[24:25], off offset:256
	;; [unrolled: 1-line block ×14, first 2 shown]
	ds_read_b128 v[24:27], v9
	ds_read_b96 v[28:30], v9 offset:16
	ds_read_u16 v46, v9 offset:28
	v_cmp_lt_i32_e64 s[8:9], v20, v19
	s_waitcnt lgkmcnt(2)
	v_lshlrev_b32_e32 v48, 16, v24
	v_and_b32_e32 v24, 0xffff0000, v24
	v_lshlrev_b32_e32 v49, 16, v25
	v_and_b32_e32 v25, 0xffff0000, v25
	;; [unrolled: 2-line block ×4, first 2 shown]
	s_waitcnt lgkmcnt(1)
	v_lshlrev_b32_e32 v52, 16, v28
	v_and_b32_e32 v28, 0xffff0000, v28
	v_lshlrev_b32_e32 v53, 16, v29
	v_and_b32_e32 v29, 0xffff0000, v29
	;; [unrolled: 2-line block ×3, first 2 shown]
	v_cndmask_b32_e64 v47, v18, v20, s[8:9]
	s_waitcnt lgkmcnt(0)
	v_lshlrev_b32_e32 v46, 16, v46
	v_lshlrev_b32_e32 v47, 2, v47
	v_cmp_lt_i32_e64 s[8:9], v21, v19
	s_waitcnt vmcnt(14)
	v_lshlrev_b32_e32 v31, 16, v31
	s_waitcnt vmcnt(13)
	v_lshlrev_b32_e32 v32, 16, v32
	v_mul_f32_e32 v24, v24, v32
	s_waitcnt vmcnt(12)
	v_lshlrev_b32_e32 v33, 16, v33
	v_fmac_f32_e32 v24, v48, v31
	s_waitcnt vmcnt(11)
	v_lshlrev_b32_e32 v34, 16, v34
	v_fmac_f32_e32 v24, v49, v33
	;; [unrolled: 3-line block ×12, first 2 shown]
	v_fmac_f32_e32 v24, v30, v44
	s_waitcnt vmcnt(0)
	v_lshlrev_b32_e32 v25, 16, v45
	v_fmac_f32_e32 v24, v46, v25
	ds_bpermute_b32 v25, v47, v24
	v_cndmask_b32_e64 v26, v18, v21, s[8:9]
	v_lshlrev_b32_e32 v26, 2, v26
	v_cmp_lt_i32_e64 s[8:9], v22, v19
	s_waitcnt lgkmcnt(0)
	v_add_f32_e32 v24, v24, v25
	ds_bpermute_b32 v25, v26, v24
	v_cndmask_b32_e64 v26, v18, v22, s[8:9]
	v_lshlrev_b32_e32 v26, 2, v26
	s_waitcnt lgkmcnt(0)
	v_add_f32_e32 v24, v24, v25
	ds_bpermute_b32 v25, v26, v24
	s_and_saveexec_b64 s[40:41], vcc
	s_cbranch_execz .LBB113_11
; %bb.17:                               ;   in Loop: Header=BB113_13 Depth=1
	v_add_u32_e32 v26, v16, v14
	v_cvt_f32_i32_e32 v26, v26
	s_waitcnt lgkmcnt(0)
	v_add_f32_e32 v24, v24, v25
	v_add_u32_e32 v27, v8, v14
	v_cmp_gt_i32_e64 s[8:9], s33, v27
	v_mul_f32_e32 v25, s46, v26
	v_cndmask_b32_e64 v25, 0, v25, s[0:1]
	v_fmac_f32_e32 v25, s35, v24
	v_cndmask_b32_e64 v24, 0, v25, s[8:9]
	ds_write_b32 v15, v24
	v_max_f32_e32 v24, v12, v12
	v_max_f32_e32 v24, v24, v25
	v_cndmask_b32_e64 v12, v12, v24, s[8:9]
	s_branch .LBB113_11
.LBB113_18:
	s_or_b64 exec, exec, s[38:39]
.LBB113_19:
	s_or_b64 exec, exec, s[36:37]
	v_mbcnt_hi_u32_b32 v2, -1, v7
	v_and_b32_e32 v3, 64, v2
	v_add_u32_e32 v3, 64, v3
	v_xor_b32_e32 v4, 32, v2
	v_cmp_lt_i32_e32 vcc, v4, v3
	v_xor_b32_e32 v8, 16, v2
	v_max_f32_e32 v7, v12, v12
	v_cndmask_b32_e32 v4, v2, v4, vcc
	v_lshlrev_b32_e32 v5, 2, v4
	ds_bpermute_b32 v4, v5, v12
	v_cmp_lt_i32_e32 vcc, v8, v3
	v_xor_b32_e32 v9, 8, v2
	v_and_b32_e32 v20, 63, v0
	s_waitcnt lgkmcnt(0)
	v_max_f32_e32 v4, v4, v4
	v_max_f32_e32 v4, v7, v4
	v_cndmask_b32_e32 v7, v2, v8, vcc
	v_lshlrev_b32_e32 v8, 2, v7
	ds_bpermute_b32 v7, v8, v4
	v_cmp_lt_i32_e32 vcc, v9, v3
	s_waitcnt lgkmcnt(0)
	v_max_f32_e32 v7, v7, v7
	v_max_f32_e32 v7, v4, v7
	v_cndmask_b32_e32 v4, v2, v9, vcc
	v_lshlrev_b32_e32 v12, 2, v4
	ds_bpermute_b32 v9, v12, v7
	v_cmp_eq_u32_e32 vcc, 0, v20
	v_lshlrev_b32_e32 v4, 2, v1
	s_and_saveexec_b64 s[0:1], vcc
	s_cbranch_execz .LBB113_21
; %bb.20:
	s_waitcnt lgkmcnt(0)
	v_max_f32_e32 v9, v9, v9
	v_max_f32_e32 v7, v7, v7
	;; [unrolled: 1-line block ×3, first 2 shown]
	ds_write_b32 v4, v7 offset:240
.LBB113_21:
	s_or_b64 exec, exec, s[0:1]
	v_cmp_gt_u32_e64 s[0:1], 2, v20
	v_mov_b32_e32 v13, 0xff7fffff
	v_lshlrev_b32_e32 v7, 2, v20
	s_waitcnt lgkmcnt(0)
	s_barrier
	s_and_saveexec_b64 s[8:9], s[0:1]
	s_cbranch_execz .LBB113_23
; %bb.22:
	ds_read_b32 v13, v7 offset:240
.LBB113_23:
	s_or_b64 exec, exec, s[8:9]
	v_xor_b32_e32 v9, 1, v2
	v_cmp_lt_i32_e64 s[8:9], v9, v3
	v_lshlrev_b32_e32 v15, 2, v2
	s_nop 0
	v_cndmask_b32_e64 v9, v2, v9, s[8:9]
	v_lshlrev_b32_e32 v9, 2, v9
	s_waitcnt lgkmcnt(0)
	ds_bpermute_b32 v14, v9, v13
	v_max_f32_e32 v13, v13, v13
	s_lshl_b32 s8, s45, 3
	s_min_i32 s15, s8, s33
	v_cmp_gt_i32_e64 s[8:9], s15, v0
	s_waitcnt lgkmcnt(0)
	v_max_f32_e32 v14, v14, v14
	v_max_f32_e32 v14, v13, v14
	v_and_b32_e32 v13, 0x100, v15
	ds_bpermute_b32 v15, v13, v14
	v_mov_b32_e32 v14, 0
	s_and_saveexec_b64 s[34:35], s[8:9]
	s_cbranch_execz .LBB113_27
; %bb.24:
	v_mov_b32_e32 v14, 0x100
	v_lshl_add_u32 v16, v0, 2, v14
	s_mov_b64 s[36:37], 0
	v_mov_b32_e32 v14, 0
	v_mov_b32_e32 v17, v0
.LBB113_25:                             ; =>This Inner Loop Header: Depth=1
	ds_read_b32 v18, v16
	v_add_u32_e32 v17, 0x80, v17
	v_cmp_le_i32_e64 s[10:11], s15, v17
	s_or_b64 s[36:37], s[10:11], s[36:37]
	s_waitcnt lgkmcnt(0)
	v_sub_f32_e32 v18, v18, v15
	v_mul_f32_e32 v18, 0x3fb8aa3b, v18
	v_exp_f32_e32 v18, v18
	ds_write_b32 v16, v18
	v_add_f32_e32 v14, v14, v18
	v_add_u32_e32 v16, 0x200, v16
	s_andn2_b64 exec, exec, s[36:37]
	s_cbranch_execnz .LBB113_25
; %bb.26:
	s_or_b64 exec, exec, s[36:37]
.LBB113_27:
	s_or_b64 exec, exec, s[34:35]
	ds_bpermute_b32 v5, v5, v14
	s_waitcnt lgkmcnt(0)
	v_add_f32_e32 v5, v14, v5
	ds_bpermute_b32 v8, v8, v5
	s_waitcnt lgkmcnt(0)
	v_add_f32_e32 v5, v5, v8
	ds_bpermute_b32 v8, v12, v5
	v_xor_b32_e32 v12, 4, v2
	v_cmp_lt_i32_e64 s[10:11], v12, v3
	s_waitcnt lgkmcnt(0)
	v_add_f32_e32 v5, v5, v8
	v_cndmask_b32_e64 v12, v2, v12, s[10:11]
	v_lshlrev_b32_e32 v12, 2, v12
	ds_bpermute_b32 v8, v12, v5
	v_xor_b32_e32 v12, 2, v2
	v_cmp_lt_i32_e64 s[10:11], v12, v3
	s_waitcnt lgkmcnt(0)
	v_add_f32_e32 v3, v5, v8
	v_cndmask_b32_e64 v2, v2, v12, s[10:11]
	v_lshlrev_b32_e32 v2, 2, v2
	ds_bpermute_b32 v2, v2, v3
	s_waitcnt lgkmcnt(0)
	v_add_f32_e32 v2, v3, v2
	ds_bpermute_b32 v3, v9, v2
	s_waitcnt lgkmcnt(0)
	v_add_f32_e32 v2, v2, v3
	s_and_saveexec_b64 s[10:11], vcc
	s_cbranch_execz .LBB113_29
; %bb.28:
	ds_write_b32 v4, v2 offset:248
.LBB113_29:
	s_or_b64 exec, exec, s[10:11]
	s_waitcnt lgkmcnt(0)
	s_barrier
	s_and_saveexec_b64 s[10:11], s[0:1]
	s_cbranch_execz .LBB113_31
; %bb.30:
	ds_read_b32 v2, v7 offset:248
.LBB113_31:
	s_or_b64 exec, exec, s[10:11]
	s_waitcnt lgkmcnt(0)
	ds_bpermute_b32 v3, v9, v2
	s_waitcnt lgkmcnt(0)
	v_add_f32_e32 v2, v2, v3
	ds_bpermute_b32 v2, v13, v2
	s_and_saveexec_b64 s[0:1], s[8:9]
	s_cbranch_execz .LBB113_44
; %bb.32:
	s_waitcnt lgkmcnt(0)
	v_add_f32_e32 v2, 0x358637bd, v2
	v_div_scale_f32 v3, s[8:9], v2, v2, 1.0
	v_rcp_f32_e32 v4, v3
	v_div_scale_f32 v5, vcc, 1.0, v2, 1.0
	s_movk_i32 s8, 0x7f
	v_fma_f32 v7, -v3, v4, 1.0
	v_fmac_f32_e32 v4, v7, v4
	v_mul_f32_e32 v7, v5, v4
	v_fma_f32 v8, -v3, v7, v5
	v_fmac_f32_e32 v7, v8, v4
	v_fma_f32 v3, -v3, v7, v5
	v_div_fmas_f32 v3, v3, v4, v7
	v_xad_u32 v4, v0, -1, s15
	v_div_fixup_f32 v2, v3, v2, 1.0
	v_cmp_lt_u32_e32 vcc, s8, v4
	s_mov_b64 s[10:11], -1
	v_mov_b32_e32 v3, v0
	s_and_saveexec_b64 s[8:9], vcc
	s_cbranch_execz .LBB113_41
; %bb.33:
	v_lshrrev_b32_e32 v4, 7, v4
	v_add_u32_e32 v7, -1, v4
	v_lshrrev_b32_e32 v5, 1, v7
	v_mov_b32_e32 v3, v2
	v_add_u32_e32 v5, 1, v5
	v_cmp_lt_u32_e32 vcc, 13, v7
	v_mov_b32_e32 v9, 0
	s_and_saveexec_b64 s[10:11], vcc
	s_cbranch_execz .LBB113_37
; %bb.34:
	v_mov_b32_e32 v8, 0x100
	v_and_b32_e32 v7, -8, v5
	v_lshl_add_u32 v8, v0, 2, v8
	s_mov_b32 s16, 0
	s_mov_b64 s[34:35], 0
.LBB113_35:                             ; =>This Inner Loop Header: Depth=1
	ds_read2st64_b32 v[12:13], v8 offset1:2
	ds_read2st64_b32 v[14:15], v8 offset0:4 offset1:6
	ds_read2st64_b32 v[16:17], v8 offset0:8 offset1:10
	;; [unrolled: 1-line block ×3, first 2 shown]
	v_add_u32_e32 v7, -8, v7
	s_waitcnt lgkmcnt(3)
	v_pk_mul_f32 v[12:13], v[2:3], v[12:13]
	s_waitcnt lgkmcnt(2)
	v_pk_mul_f32 v[14:15], v[2:3], v[14:15]
	ds_write2st64_b32 v8, v12, v13 offset1:2
	ds_write2st64_b32 v8, v14, v15 offset0:4 offset1:6
	ds_read2st64_b32 v[14:15], v8 offset0:16 offset1:18
	s_waitcnt lgkmcnt(4)
	v_pk_mul_f32 v[12:13], v[2:3], v[16:17]
	ds_write2st64_b32 v8, v12, v13 offset0:8 offset1:10
	s_waitcnt lgkmcnt(4)
	v_pk_mul_f32 v[12:13], v[2:3], v[18:19]
	ds_write2st64_b32 v8, v12, v13 offset0:12 offset1:14
	ds_read2st64_b32 v[12:13], v8 offset0:20 offset1:22
	s_waitcnt lgkmcnt(3)
	v_pk_mul_f32 v[14:15], v[2:3], v[14:15]
	ds_read2st64_b32 v[16:17], v8 offset0:24 offset1:26
	ds_write2st64_b32 v8, v14, v15 offset0:16 offset1:18
	ds_read2st64_b32 v[14:15], v8 offset0:28 offset1:30
	s_waitcnt lgkmcnt(3)
	v_pk_mul_f32 v[12:13], v[2:3], v[12:13]
	ds_write2st64_b32 v8, v12, v13 offset0:20 offset1:22
	s_waitcnt lgkmcnt(3)
	v_pk_mul_f32 v[12:13], v[2:3], v[16:17]
	ds_write2st64_b32 v8, v12, v13 offset0:24 offset1:26
	s_waitcnt lgkmcnt(2)
	v_pk_mul_f32 v[12:13], v[2:3], v[14:15]
	s_add_i32 s16, s16, 16
	v_cmp_eq_u32_e32 vcc, 0, v7
	ds_write2st64_b32 v8, v12, v13 offset0:28 offset1:30
	v_add_u32_e32 v8, 0x2000, v8
	s_or_b64 s[34:35], vcc, s[34:35]
	v_mov_b32_e32 v9, s16
	s_andn2_b64 exec, exec, s[34:35]
	s_cbranch_execnz .LBB113_35
; %bb.36:
	s_or_b64 exec, exec, s[34:35]
.LBB113_37:
	s_or_b64 exec, exec, s[10:11]
	v_and_b32_e32 v5, 7, v5
	v_cmp_ne_u32_e32 vcc, 0, v5
	s_and_saveexec_b64 s[10:11], vcc
	s_cbranch_execz .LBB113_40
; %bb.38:
	v_lshlrev_b32_e32 v7, 9, v9
	v_lshlrev_b32_e32 v8, 2, v0
	s_movk_i32 s16, 0x100
	v_add3_u32 v7, v7, v8, s16
	s_mov_b64 s[34:35], 0
.LBB113_39:                             ; =>This Inner Loop Header: Depth=1
	ds_read2st64_b32 v[8:9], v7 offset1:2
	v_add_u32_e32 v5, -1, v5
	v_cmp_eq_u32_e32 vcc, 0, v5
	s_or_b64 s[34:35], vcc, s[34:35]
	s_waitcnt lgkmcnt(0)
	v_pk_mul_f32 v[8:9], v[2:3], v[8:9]
	ds_write2st64_b32 v7, v8, v9 offset1:2
	v_add_u32_e32 v7, 0x400, v7
	s_andn2_b64 exec, exec, s[34:35]
	s_cbranch_execnz .LBB113_39
.LBB113_40:
	s_or_b64 exec, exec, s[10:11]
	v_add_u32_e32 v4, 1, v4
	v_and_b32_e32 v5, 0x3fffffe, v4
	v_cmp_ne_u32_e32 vcc, v4, v5
	v_lshl_add_u32 v3, v5, 7, v0
	s_orn2_b64 s[10:11], vcc, exec
.LBB113_41:
	s_or_b64 exec, exec, s[8:9]
	s_and_b64 exec, exec, s[10:11]
	s_cbranch_execz .LBB113_44
; %bb.42:
	v_mov_b32_e32 v4, 0x100
	v_lshl_add_u32 v4, v3, 2, v4
	s_mov_b64 s[8:9], 0
.LBB113_43:                             ; =>This Inner Loop Header: Depth=1
	ds_read_b32 v5, v4
	v_add_u32_e32 v3, 0x80, v3
	v_cmp_le_i32_e32 vcc, s15, v3
	s_or_b64 s[8:9], vcc, s[8:9]
	s_waitcnt lgkmcnt(0)
	v_mul_f32_e32 v5, v2, v5
	ds_write_b32 v4, v5
	v_add_u32_e32 v4, 0x200, v4
	s_andn2_b64 exec, exec, s[8:9]
	s_cbranch_execnz .LBB113_43
.LBB113_44:
	s_or_b64 exec, exec, s[0:1]
	v_mov_b32_e32 v13, 0
	v_mov_b32_e32 v12, v13
	s_waitcnt lgkmcnt(0)
	s_barrier
	s_and_saveexec_b64 s[8:9], s[2:3]
	s_cbranch_execz .LBB113_152
; %bb.45:
	s_ashr_i32 s15, s14, 31
	s_sub_i32 s34, s12, s17
	s_lshl_b64 s[0:1], s[14:15], 1
	s_add_u32 s10, s30, s0
	s_addc_u32 s11, s31, s1
	s_abs_i32 s30, s18
	v_cvt_f32_u32_e32 v3, s30
	v_or_b32_e32 v4, 64, v20
	s_movk_i32 s0, 0x78
	v_cmp_gt_u32_e32 vcc, s0, v4
	v_rcp_iflag_f32_e32 v3, v3
	s_sub_i32 s0, 0, s30
	s_add_i32 s35, s45, -1
	v_lshlrev_b32_e32 v2, 3, v20
	v_mul_f32_e32 v3, 0x4f7ffffe, v3
	v_cvt_u32_f32_e32 v3, v3
	v_mov_b32_e32 v15, 0
	v_lshlrev_b32_e32 v4, 3, v4
	v_and_b32_e32 v14, 60, v6
	v_mul_lo_u32 v5, s0, v3
	s_lshl_b64 s[0:1], s[28:29], 2
	v_mul_hi_u32 v5, v3, v5
	s_add_u32 s0, s26, s0
	v_add_u32_e32 v21, v3, v5
	s_addc_u32 s1, s27, s1
	v_mov_b32_e32 v3, 0x100
	s_mov_b32 s31, s13
	v_lshl_add_u64 v[16:17], s[0:1], 0, v[14:15]
	v_lshl_add_u32 v22, v1, 5, v3
	s_mov_b64 s[12:13], 0
	s_mov_b32 s26, 0x7f800000
	s_movk_i32 s27, 0x7fff
	v_lshlrev_b32_e32 v14, 1, v2
	v_lshlrev_b32_e32 v18, 1, v4
	v_mov_b32_e32 v12, v15
	v_mov_b32_e32 v13, v15
	s_branch .LBB113_49
.LBB113_46:                             ;   in Loop: Header=BB113_49 Depth=1
	s_or_b64 exec, exec, s[2:3]
	v_and_b32_e32 v27, 0xffff0000, v19
	v_and_b32_e32 v26, 0xffff0000, v7
	v_and_b32_e32 v3, 0xffff0000, v3
	v_and_b32_e32 v2, 0xffff0000, v2
	v_pk_add_f32 v[2:3], v[2:3], v[26:27]
	v_and_b32_e32 v25, 0xffff0000, v23
	v_and_b32_e32 v24, 0xffff0000, v9
	;; [unrolled: 1-line block ×4, first 2 shown]
	v_mov_b32_e32 v6, v3
	v_pk_add_f32 v[2:3], v[2:3], v[6:7]
	v_pk_add_f32 v[4:5], v[4:5], v[24:25]
	s_nop 0
	v_pk_add_f32 v[2:3], v[2:3], v[4:5]
	v_mov_b32_e32 v4, v5
	v_pk_add_f32 v[2:3], v[2:3], v[4:5]
	s_nop 0
	v_mov_b32_e32 v3, v2
	v_pk_add_f32 v[12:13], v[12:13], v[2:3]
.LBB113_47:                             ;   in Loop: Header=BB113_49 Depth=1
	s_or_b64 exec, exec, s[16:17]
	v_mov_b32_e32 v12, v8
.LBB113_48:                             ;   in Loop: Header=BB113_49 Depth=1
	s_or_b64 exec, exec, s[14:15]
	v_add_u32_e32 v1, 2, v1
	v_cmp_le_i32_e64 s[0:1], s45, v1
	v_lshl_add_u64 v[16:17], v[16:17], 0, 8
	v_add_u32_e32 v11, 16, v11
	s_or_b64 s[12:13], s[0:1], s[12:13]
	v_add_u32_e32 v22, 64, v22
	s_andn2_b64 exec, exec, s[12:13]
	s_cbranch_execz .LBB113_151
.LBB113_49:                             ; =>This Inner Loop Header: Depth=1
	v_mul_hi_u32 v2, v11, s42
	v_mul_lo_u32 v3, v2, s23
	v_sub_u32_e32 v3, v11, v3
	v_add_u32_e32 v4, 1, v2
	v_cmp_le_u32_e64 s[0:1], s23, v3
	s_nop 1
	v_cndmask_b32_e64 v2, v2, v4, s[0:1]
	v_subrev_u32_e32 v4, s23, v3
	v_cndmask_b32_e64 v3, v3, v4, s[0:1]
	v_add_u32_e32 v4, 1, v2
	v_cmp_le_u32_e64 s[0:1], s23, v3
	s_nop 1
	v_cndmask_b32_e64 v2, v2, v4, s[0:1]
	v_xor_b32_e32 v2, s44, v2
	v_subrev_u32_e32 v2, s44, v2
	v_add_u32_e32 v3, s43, v2
	v_sub_u32_e32 v5, 0, v3
	v_ashrrev_i32_e32 v4, 31, v3
	v_max_i32_e32 v3, v3, v5
	v_mul_hi_u32 v5, v3, v21
	v_mul_lo_u32 v5, v5, s30
	v_sub_u32_e32 v3, v3, v5
	v_subrev_u32_e32 v5, s30, v3
	v_cmp_le_u32_e64 s[0:1], s30, v3
	v_cmp_lt_i32_e64 s[2:3], s34, v2
	s_nop 0
	v_cndmask_b32_e64 v3, v3, v5, s[0:1]
	v_subrev_u32_e32 v5, s30, v3
	v_cmp_le_u32_e64 s[0:1], s30, v3
	s_nop 1
	v_cndmask_b32_e64 v3, v3, v5, s[0:1]
	v_xor_b32_e32 v3, v3, v4
	v_sub_u32_e32 v3, v3, v4
	v_cmp_eq_u32_e64 s[0:1], 0, v3
	s_or_b64 s[0:1], s[0:1], s[2:3]
	s_and_saveexec_b64 s[14:15], s[0:1]
	s_cbranch_execz .LBB113_48
; %bb.50:                               ;   in Loop: Header=BB113_49 Depth=1
	global_load_dword v28, v[16:17], off
	ds_read2_b64 v[6:9], v22 offset1:1
	ds_read2_b64 v[2:5], v22 offset0:2 offset1:3
                                        ; implicit-def: $vgpr23
	s_waitcnt lgkmcnt(1)
	v_and_b32_e32 v19, 0x7f800000, v6
	v_cmp_ne_u32_e64 s[0:1], s26, v19
	s_and_saveexec_b64 s[2:3], s[0:1]
	s_xor_b64 s[0:1], exec, s[2:3]
; %bb.51:                               ;   in Loop: Header=BB113_49 Depth=1
	v_bfe_u32 v19, v6, 16, 1
	v_add3_u32 v23, v6, v19, s27
; %bb.52:                               ;   in Loop: Header=BB113_49 Depth=1
	s_andn2_saveexec_b64 s[2:3], s[0:1]
; %bb.53:                               ;   in Loop: Header=BB113_49 Depth=1
	v_or_b32_e32 v19, 0x10000, v6
	v_cmp_eq_u32_sdwa s[0:1], v6, v15 src0_sel:WORD_0 src1_sel:DWORD
	s_nop 1
	v_cndmask_b32_e64 v23, v19, v6, s[0:1]
; %bb.54:                               ;   in Loop: Header=BB113_49 Depth=1
	s_or_b64 exec, exec, s[2:3]
	v_and_b32_e32 v6, 0x7f800000, v7
	v_cmp_ne_u32_e64 s[0:1], s26, v6
                                        ; implicit-def: $vgpr24
	s_and_saveexec_b64 s[2:3], s[0:1]
	s_xor_b64 s[0:1], exec, s[2:3]
; %bb.55:                               ;   in Loop: Header=BB113_49 Depth=1
	v_bfe_u32 v6, v7, 16, 1
	v_add3_u32 v24, v7, v6, s27
; %bb.56:                               ;   in Loop: Header=BB113_49 Depth=1
	s_andn2_saveexec_b64 s[2:3], s[0:1]
; %bb.57:                               ;   in Loop: Header=BB113_49 Depth=1
	v_or_b32_e32 v6, 0x10000, v7
	v_cmp_eq_u32_sdwa s[0:1], v7, v15 src0_sel:WORD_0 src1_sel:DWORD
	s_nop 1
	v_cndmask_b32_e64 v24, v6, v7, s[0:1]
; %bb.58:                               ;   in Loop: Header=BB113_49 Depth=1
	s_or_b64 exec, exec, s[2:3]
	v_and_b32_e32 v6, 0x7f800000, v8
	v_cmp_ne_u32_e64 s[0:1], s26, v6
                                        ; implicit-def: $vgpr25
	s_and_saveexec_b64 s[2:3], s[0:1]
	s_xor_b64 s[0:1], exec, s[2:3]
; %bb.59:                               ;   in Loop: Header=BB113_49 Depth=1
	v_bfe_u32 v6, v8, 16, 1
	v_add3_u32 v25, v8, v6, s27
; %bb.60:                               ;   in Loop: Header=BB113_49 Depth=1
	s_andn2_saveexec_b64 s[2:3], s[0:1]
; %bb.61:                               ;   in Loop: Header=BB113_49 Depth=1
	v_or_b32_e32 v6, 0x10000, v8
	v_cmp_eq_u32_sdwa s[0:1], v8, v15 src0_sel:WORD_0 src1_sel:DWORD
	s_nop 1
	v_cndmask_b32_e64 v25, v6, v8, s[0:1]
; %bb.62:                               ;   in Loop: Header=BB113_49 Depth=1
	s_or_b64 exec, exec, s[2:3]
	v_and_b32_e32 v6, 0x7f800000, v9
	v_cmp_ne_u32_e64 s[0:1], s26, v6
                                        ; implicit-def: $vgpr26
	s_and_saveexec_b64 s[2:3], s[0:1]
	s_xor_b64 s[0:1], exec, s[2:3]
; %bb.63:                               ;   in Loop: Header=BB113_49 Depth=1
	v_bfe_u32 v6, v9, 16, 1
	v_add3_u32 v26, v9, v6, s27
                                        ; implicit-def: $vgpr6_vgpr7_vgpr8_vgpr9
; %bb.64:                               ;   in Loop: Header=BB113_49 Depth=1
	s_andn2_saveexec_b64 s[2:3], s[0:1]
; %bb.65:                               ;   in Loop: Header=BB113_49 Depth=1
	v_or_b32_e32 v6, 0x10000, v9
	v_cmp_eq_u32_sdwa s[0:1], v9, v15 src0_sel:WORD_0 src1_sel:DWORD
	s_nop 1
	v_cndmask_b32_e64 v26, v6, v9, s[0:1]
; %bb.66:                               ;   in Loop: Header=BB113_49 Depth=1
	s_or_b64 exec, exec, s[2:3]
	s_waitcnt lgkmcnt(0)
	v_and_b32_e32 v6, 0x7f800000, v2
	v_cmp_ne_u32_e64 s[0:1], s26, v6
                                        ; implicit-def: $vgpr27
	s_and_saveexec_b64 s[2:3], s[0:1]
	s_xor_b64 s[0:1], exec, s[2:3]
; %bb.67:                               ;   in Loop: Header=BB113_49 Depth=1
	v_bfe_u32 v6, v2, 16, 1
	v_add3_u32 v27, v2, v6, s27
; %bb.68:                               ;   in Loop: Header=BB113_49 Depth=1
	s_andn2_saveexec_b64 s[2:3], s[0:1]
; %bb.69:                               ;   in Loop: Header=BB113_49 Depth=1
	v_or_b32_e32 v6, 0x10000, v2
	v_cmp_eq_u32_sdwa s[0:1], v2, v15 src0_sel:WORD_0 src1_sel:DWORD
	s_nop 1
	v_cndmask_b32_e64 v27, v6, v2, s[0:1]
; %bb.70:                               ;   in Loop: Header=BB113_49 Depth=1
	s_or_b64 exec, exec, s[2:3]
	v_and_b32_e32 v2, 0x7f800000, v3
	v_cmp_ne_u32_e64 s[0:1], s26, v2
                                        ; implicit-def: $vgpr19
	s_and_saveexec_b64 s[2:3], s[0:1]
	s_xor_b64 s[0:1], exec, s[2:3]
; %bb.71:                               ;   in Loop: Header=BB113_49 Depth=1
	v_bfe_u32 v2, v3, 16, 1
	v_add3_u32 v19, v3, v2, s27
; %bb.72:                               ;   in Loop: Header=BB113_49 Depth=1
	s_andn2_saveexec_b64 s[2:3], s[0:1]
; %bb.73:                               ;   in Loop: Header=BB113_49 Depth=1
	v_or_b32_e32 v2, 0x10000, v3
	v_cmp_eq_u32_sdwa s[0:1], v3, v15 src0_sel:WORD_0 src1_sel:DWORD
	s_nop 1
	v_cndmask_b32_e64 v19, v2, v3, s[0:1]
; %bb.74:                               ;   in Loop: Header=BB113_49 Depth=1
	s_or_b64 exec, exec, s[2:3]
	v_and_b32_e32 v2, 0x7f800000, v4
	v_cmp_ne_u32_e64 s[0:1], s26, v2
                                        ; implicit-def: $vgpr9
	s_and_saveexec_b64 s[2:3], s[0:1]
	s_xor_b64 s[0:1], exec, s[2:3]
; %bb.75:                               ;   in Loop: Header=BB113_49 Depth=1
	v_bfe_u32 v2, v4, 16, 1
	v_add3_u32 v9, v4, v2, s27
; %bb.76:                               ;   in Loop: Header=BB113_49 Depth=1
	s_andn2_saveexec_b64 s[2:3], s[0:1]
; %bb.77:                               ;   in Loop: Header=BB113_49 Depth=1
	v_or_b32_e32 v2, 0x10000, v4
	v_cmp_eq_u32_sdwa s[0:1], v4, v15 src0_sel:WORD_0 src1_sel:DWORD
	s_nop 1
	v_cndmask_b32_e64 v9, v2, v4, s[0:1]
; %bb.78:                               ;   in Loop: Header=BB113_49 Depth=1
	s_or_b64 exec, exec, s[2:3]
	v_and_b32_e32 v2, 0x7f800000, v5
	v_cmp_ne_u32_e64 s[0:1], s26, v2
                                        ; implicit-def: $vgpr8
	s_and_saveexec_b64 s[2:3], s[0:1]
	s_xor_b64 s[0:1], exec, s[2:3]
; %bb.79:                               ;   in Loop: Header=BB113_49 Depth=1
	v_bfe_u32 v2, v5, 16, 1
	v_add3_u32 v8, v5, v2, s27
                                        ; implicit-def: $vgpr2_vgpr3_vgpr4_vgpr5
; %bb.80:                               ;   in Loop: Header=BB113_49 Depth=1
	s_andn2_saveexec_b64 s[2:3], s[0:1]
; %bb.81:                               ;   in Loop: Header=BB113_49 Depth=1
	v_or_b32_e32 v2, 0x10000, v5
	v_cmp_eq_u32_sdwa s[0:1], v5, v15 src0_sel:WORD_0 src1_sel:DWORD
	s_nop 1
	v_cndmask_b32_e64 v8, v2, v5, s[0:1]
; %bb.82:                               ;   in Loop: Header=BB113_49 Depth=1
	s_or_b64 exec, exec, s[2:3]
	s_waitcnt vmcnt(0)
	v_mad_i64_i32 v[2:3], s[0:1], v28, s31, 0
	v_lshl_add_u64 v[6:7], v[2:3], 1, s[10:11]
	v_lshl_add_u64 v[2:3], v[6:7], 0, v[14:15]
	global_load_dwordx4 v[2:5], v[2:3], off
	v_cmp_eq_u32_e64 s[2:3], s35, v1
	s_waitcnt vmcnt(0)
	v_lshrrev_b32_e32 v30, 16, v2
	v_lshrrev_b32_e32 v28, 16, v3
	v_lshrrev_b32_e32 v29, 16, v4
	v_lshrrev_b32_e32 v31, 16, v5
	s_and_saveexec_b64 s[16:17], s[2:3]
	s_cbranch_execz .LBB113_84
; %bb.83:                               ;   in Loop: Header=BB113_49 Depth=1
	v_cmp_gt_i32_e64 s[0:1], s33, v11
	v_add_u32_e32 v32, 1, v11
	s_nop 0
	v_cndmask_b32_e64 v2, 0, v2, s[0:1]
	v_cmp_gt_i32_e64 s[0:1], s33, v32
	v_add_u32_e32 v32, 2, v11
	s_nop 0
	v_cndmask_b32_e64 v30, 0, v30, s[0:1]
	;; [unrolled: 4-line block ×7, first 2 shown]
	v_cmp_gt_i32_e64 s[0:1], s33, v32
	s_nop 1
	v_cndmask_b32_e64 v31, 0, v31, s[0:1]
.LBB113_84:                             ;   in Loop: Header=BB113_49 Depth=1
	s_or_b64 exec, exec, s[16:17]
	v_and_b32_e32 v23, 0xffff0000, v23
	v_lshlrev_b32_e32 v2, 16, v2
	v_mul_f32_e32 v32, v23, v2
	v_and_b32_e32 v2, 0x7f800000, v32
	v_cmp_ne_u32_e64 s[0:1], s26, v2
                                        ; implicit-def: $vgpr2
	s_and_saveexec_b64 s[16:17], s[0:1]
	s_xor_b64 s[0:1], exec, s[16:17]
; %bb.85:                               ;   in Loop: Header=BB113_49 Depth=1
	v_bfe_u32 v2, v32, 16, 1
	v_add3_u32 v2, v32, v2, s27
                                        ; implicit-def: $vgpr32
; %bb.86:                               ;   in Loop: Header=BB113_49 Depth=1
	s_andn2_saveexec_b64 s[16:17], s[0:1]
; %bb.87:                               ;   in Loop: Header=BB113_49 Depth=1
	v_or_b32_e32 v2, 0x10000, v32
	v_cmp_eq_u32_sdwa s[0:1], v32, v15 src0_sel:WORD_0 src1_sel:DWORD
	s_nop 1
	v_cndmask_b32_e64 v2, v2, v32, s[0:1]
; %bb.88:                               ;   in Loop: Header=BB113_49 Depth=1
	s_or_b64 exec, exec, s[16:17]
	v_and_b32_e32 v24, 0xffff0000, v24
	v_lshlrev_b32_e32 v30, 16, v30
	v_mul_f32_e32 v30, v24, v30
	v_and_b32_e32 v32, 0x7f800000, v30
	v_cmp_ne_u32_e64 s[0:1], s26, v32
                                        ; implicit-def: $vgpr32
	s_and_saveexec_b64 s[16:17], s[0:1]
	s_xor_b64 s[0:1], exec, s[16:17]
; %bb.89:                               ;   in Loop: Header=BB113_49 Depth=1
	v_bfe_u32 v32, v30, 16, 1
	v_add3_u32 v32, v30, v32, s27
                                        ; implicit-def: $vgpr30
; %bb.90:                               ;   in Loop: Header=BB113_49 Depth=1
	s_andn2_saveexec_b64 s[16:17], s[0:1]
; %bb.91:                               ;   in Loop: Header=BB113_49 Depth=1
	v_or_b32_e32 v32, 0x10000, v30
	v_cmp_eq_u32_sdwa s[0:1], v30, v15 src0_sel:WORD_0 src1_sel:DWORD
	s_nop 1
	v_cndmask_b32_e64 v32, v32, v30, s[0:1]
; %bb.92:                               ;   in Loop: Header=BB113_49 Depth=1
	s_or_b64 exec, exec, s[16:17]
	v_and_b32_e32 v25, 0xffff0000, v25
	v_lshlrev_b32_e32 v3, 16, v3
	v_mul_f32_e32 v30, v25, v3
	v_and_b32_e32 v3, 0x7f800000, v30
	v_cmp_ne_u32_e64 s[0:1], s26, v3
                                        ; implicit-def: $vgpr3
	s_and_saveexec_b64 s[16:17], s[0:1]
	s_xor_b64 s[0:1], exec, s[16:17]
; %bb.93:                               ;   in Loop: Header=BB113_49 Depth=1
	v_bfe_u32 v3, v30, 16, 1
	v_add3_u32 v3, v30, v3, s27
                                        ; implicit-def: $vgpr30
; %bb.94:                               ;   in Loop: Header=BB113_49 Depth=1
	s_andn2_saveexec_b64 s[16:17], s[0:1]
; %bb.95:                               ;   in Loop: Header=BB113_49 Depth=1
	v_or_b32_e32 v3, 0x10000, v30
	v_cmp_eq_u32_sdwa s[0:1], v30, v15 src0_sel:WORD_0 src1_sel:DWORD
	s_nop 1
	v_cndmask_b32_e64 v3, v3, v30, s[0:1]
; %bb.96:                               ;   in Loop: Header=BB113_49 Depth=1
	s_or_b64 exec, exec, s[16:17]
	v_and_b32_e32 v26, 0xffff0000, v26
	v_lshlrev_b32_e32 v28, 16, v28
	v_mul_f32_e32 v28, v26, v28
	v_and_b32_e32 v30, 0x7f800000, v28
	v_cmp_ne_u32_e64 s[0:1], s26, v30
                                        ; implicit-def: $vgpr33
	s_and_saveexec_b64 s[16:17], s[0:1]
	s_xor_b64 s[0:1], exec, s[16:17]
; %bb.97:                               ;   in Loop: Header=BB113_49 Depth=1
	v_bfe_u32 v30, v28, 16, 1
	v_add3_u32 v33, v28, v30, s27
                                        ; implicit-def: $vgpr28
; %bb.98:                               ;   in Loop: Header=BB113_49 Depth=1
	s_andn2_saveexec_b64 s[16:17], s[0:1]
; %bb.99:                               ;   in Loop: Header=BB113_49 Depth=1
	v_or_b32_e32 v30, 0x10000, v28
	v_cmp_eq_u32_sdwa s[0:1], v28, v15 src0_sel:WORD_0 src1_sel:DWORD
	s_nop 1
	v_cndmask_b32_e64 v33, v30, v28, s[0:1]
; %bb.100:                              ;   in Loop: Header=BB113_49 Depth=1
	s_or_b64 exec, exec, s[16:17]
	v_and_b32_e32 v27, 0xffff0000, v27
	v_lshlrev_b32_e32 v4, 16, v4
	v_mul_f32_e32 v28, v27, v4
	v_and_b32_e32 v4, 0x7f800000, v28
	v_cmp_ne_u32_e64 s[0:1], s26, v4
                                        ; implicit-def: $vgpr4
	s_and_saveexec_b64 s[16:17], s[0:1]
	s_xor_b64 s[0:1], exec, s[16:17]
; %bb.101:                              ;   in Loop: Header=BB113_49 Depth=1
	v_bfe_u32 v4, v28, 16, 1
	v_add3_u32 v4, v28, v4, s27
                                        ; implicit-def: $vgpr28
; %bb.102:                              ;   in Loop: Header=BB113_49 Depth=1
	s_andn2_saveexec_b64 s[16:17], s[0:1]
; %bb.103:                              ;   in Loop: Header=BB113_49 Depth=1
	v_or_b32_e32 v4, 0x10000, v28
	v_cmp_eq_u32_sdwa s[0:1], v28, v15 src0_sel:WORD_0 src1_sel:DWORD
	s_nop 1
	v_cndmask_b32_e64 v4, v4, v28, s[0:1]
; %bb.104:                              ;   in Loop: Header=BB113_49 Depth=1
	s_or_b64 exec, exec, s[16:17]
	v_and_b32_e32 v28, 0xffff0000, v19
	v_lshlrev_b32_e32 v19, 16, v29
	v_mul_f32_e32 v29, v28, v19
	v_and_b32_e32 v19, 0x7f800000, v29
	v_cmp_ne_u32_e64 s[0:1], s26, v19
                                        ; implicit-def: $vgpr19
	s_and_saveexec_b64 s[16:17], s[0:1]
	s_xor_b64 s[0:1], exec, s[16:17]
; %bb.105:                              ;   in Loop: Header=BB113_49 Depth=1
	v_bfe_u32 v19, v29, 16, 1
	v_add3_u32 v19, v29, v19, s27
                                        ; implicit-def: $vgpr29
; %bb.106:                              ;   in Loop: Header=BB113_49 Depth=1
	s_andn2_saveexec_b64 s[16:17], s[0:1]
; %bb.107:                              ;   in Loop: Header=BB113_49 Depth=1
	v_or_b32_e32 v19, 0x10000, v29
	v_cmp_eq_u32_sdwa s[0:1], v29, v15 src0_sel:WORD_0 src1_sel:DWORD
	s_nop 1
	v_cndmask_b32_e64 v19, v19, v29, s[0:1]
; %bb.108:                              ;   in Loop: Header=BB113_49 Depth=1
	s_or_b64 exec, exec, s[16:17]
	v_and_b32_e32 v29, 0xffff0000, v9
	v_lshlrev_b32_e32 v5, 16, v5
	v_mul_f32_e32 v9, v29, v5
	v_and_b32_e32 v5, 0x7f800000, v9
	v_cmp_ne_u32_e64 s[0:1], s26, v5
                                        ; implicit-def: $vgpr5
	s_and_saveexec_b64 s[16:17], s[0:1]
	s_xor_b64 s[0:1], exec, s[16:17]
; %bb.109:                              ;   in Loop: Header=BB113_49 Depth=1
	v_bfe_u32 v5, v9, 16, 1
	v_add3_u32 v5, v9, v5, s27
                                        ; implicit-def: $vgpr9
; %bb.110:                              ;   in Loop: Header=BB113_49 Depth=1
	s_andn2_saveexec_b64 s[16:17], s[0:1]
; %bb.111:                              ;   in Loop: Header=BB113_49 Depth=1
	v_or_b32_e32 v5, 0x10000, v9
	v_cmp_eq_u32_sdwa s[0:1], v9, v15 src0_sel:WORD_0 src1_sel:DWORD
	s_nop 1
	v_cndmask_b32_e64 v5, v5, v9, s[0:1]
; %bb.112:                              ;   in Loop: Header=BB113_49 Depth=1
	s_or_b64 exec, exec, s[16:17]
	v_and_b32_e32 v30, 0xffff0000, v8
	v_lshlrev_b32_e32 v8, 16, v31
	v_mul_f32_e32 v8, v30, v8
	v_and_b32_e32 v9, 0x7f800000, v8
	v_cmp_ne_u32_e64 s[0:1], s26, v9
                                        ; implicit-def: $vgpr9
	s_and_saveexec_b64 s[16:17], s[0:1]
	s_xor_b64 s[0:1], exec, s[16:17]
; %bb.113:                              ;   in Loop: Header=BB113_49 Depth=1
	v_bfe_u32 v9, v8, 16, 1
	v_add3_u32 v9, v8, v9, s27
                                        ; implicit-def: $vgpr8
; %bb.114:                              ;   in Loop: Header=BB113_49 Depth=1
	s_andn2_saveexec_b64 s[16:17], s[0:1]
; %bb.115:                              ;   in Loop: Header=BB113_49 Depth=1
	v_or_b32_e32 v9, 0x10000, v8
	v_cmp_eq_u32_sdwa s[0:1], v8, v15 src0_sel:WORD_0 src1_sel:DWORD
	s_nop 1
	v_cndmask_b32_e64 v9, v9, v8, s[0:1]
; %bb.116:                              ;   in Loop: Header=BB113_49 Depth=1
	s_or_b64 exec, exec, s[16:17]
	v_and_b32_e32 v33, 0xffff0000, v33
	v_and_b32_e32 v32, 0xffff0000, v32
	;; [unrolled: 1-line block ×4, first 2 shown]
	v_pk_add_f32 v[2:3], v[2:3], v[32:33]
	v_and_b32_e32 v9, 0xffff0000, v9
	v_and_b32_e32 v8, 0xffff0000, v19
	;; [unrolled: 1-line block ×4, first 2 shown]
	v_mov_b32_e32 v32, v3
	v_pk_add_f32 v[2:3], v[2:3], v[32:33]
	v_pk_add_f32 v[4:5], v[4:5], v[8:9]
	s_nop 0
	v_pk_add_f32 v[2:3], v[2:3], v[4:5]
	v_mov_b32_e32 v4, v5
	v_pk_add_f32 v[2:3], v[2:3], v[4:5]
	s_nop 0
	v_pk_add_f32 v[8:9], v[12:13], v[2:3]
	s_and_saveexec_b64 s[16:17], vcc
	s_cbranch_execz .LBB113_47
; %bb.117:                              ;   in Loop: Header=BB113_49 Depth=1
	v_mov_b32_e32 v19, v15
	v_lshl_add_u64 v[2:3], v[6:7], 0, v[18:19]
	global_load_dwordx4 v[2:5], v[2:3], off
	s_waitcnt vmcnt(0)
	v_lshrrev_b32_e32 v7, 16, v2
	v_lshrrev_b32_e32 v19, 16, v3
	v_lshrrev_b32_e32 v9, 16, v4
	v_lshrrev_b32_e32 v6, 16, v5
	s_and_saveexec_b64 s[18:19], s[2:3]
	s_cbranch_execz .LBB113_119
; %bb.118:                              ;   in Loop: Header=BB113_49 Depth=1
	v_cmp_gt_i32_e64 s[0:1], s33, v11
	v_add_u32_e32 v31, 1, v11
	s_nop 0
	v_cndmask_b32_e64 v2, 0, v2, s[0:1]
	v_cmp_gt_i32_e64 s[0:1], s33, v31
	v_add_u32_e32 v31, 2, v11
	s_nop 0
	v_cndmask_b32_e64 v7, 0, v7, s[0:1]
	;; [unrolled: 4-line block ×7, first 2 shown]
	v_cmp_gt_i32_e64 s[0:1], s33, v31
	s_nop 1
	v_cndmask_b32_e64 v6, 0, v6, s[0:1]
.LBB113_119:                            ;   in Loop: Header=BB113_49 Depth=1
	s_or_b64 exec, exec, s[18:19]
	v_lshlrev_b32_e32 v2, 16, v2
	v_mul_f32_e32 v23, v23, v2
	v_and_b32_e32 v2, 0x7f800000, v23
	v_cmp_ne_u32_e64 s[0:1], s26, v2
                                        ; implicit-def: $vgpr2
	s_and_saveexec_b64 s[2:3], s[0:1]
	s_xor_b64 s[0:1], exec, s[2:3]
; %bb.120:                              ;   in Loop: Header=BB113_49 Depth=1
	v_bfe_u32 v2, v23, 16, 1
	v_add3_u32 v2, v23, v2, s27
                                        ; implicit-def: $vgpr23
; %bb.121:                              ;   in Loop: Header=BB113_49 Depth=1
	s_andn2_saveexec_b64 s[2:3], s[0:1]
; %bb.122:                              ;   in Loop: Header=BB113_49 Depth=1
	v_or_b32_e32 v2, 0x10000, v23
	v_cmp_eq_u32_sdwa s[0:1], v23, v15 src0_sel:WORD_0 src1_sel:DWORD
	s_nop 1
	v_cndmask_b32_e64 v2, v2, v23, s[0:1]
; %bb.123:                              ;   in Loop: Header=BB113_49 Depth=1
	s_or_b64 exec, exec, s[2:3]
	v_lshlrev_b32_e32 v7, 16, v7
	v_mul_f32_e32 v23, v24, v7
	v_and_b32_e32 v7, 0x7f800000, v23
	v_cmp_ne_u32_e64 s[0:1], s26, v7
                                        ; implicit-def: $vgpr7
	s_and_saveexec_b64 s[2:3], s[0:1]
	s_xor_b64 s[0:1], exec, s[2:3]
; %bb.124:                              ;   in Loop: Header=BB113_49 Depth=1
	v_bfe_u32 v7, v23, 16, 1
	v_add3_u32 v7, v23, v7, s27
                                        ; implicit-def: $vgpr23
; %bb.125:                              ;   in Loop: Header=BB113_49 Depth=1
	s_andn2_saveexec_b64 s[2:3], s[0:1]
; %bb.126:                              ;   in Loop: Header=BB113_49 Depth=1
	v_or_b32_e32 v7, 0x10000, v23
	v_cmp_eq_u32_sdwa s[0:1], v23, v15 src0_sel:WORD_0 src1_sel:DWORD
	s_nop 1
	v_cndmask_b32_e64 v7, v7, v23, s[0:1]
; %bb.127:                              ;   in Loop: Header=BB113_49 Depth=1
	s_or_b64 exec, exec, s[2:3]
	v_lshlrev_b32_e32 v3, 16, v3
	v_mul_f32_e32 v23, v25, v3
	v_and_b32_e32 v3, 0x7f800000, v23
	v_cmp_ne_u32_e64 s[0:1], s26, v3
                                        ; implicit-def: $vgpr3
	s_and_saveexec_b64 s[2:3], s[0:1]
	s_xor_b64 s[0:1], exec, s[2:3]
; %bb.128:                              ;   in Loop: Header=BB113_49 Depth=1
	v_bfe_u32 v3, v23, 16, 1
	v_add3_u32 v3, v23, v3, s27
                                        ; implicit-def: $vgpr23
; %bb.129:                              ;   in Loop: Header=BB113_49 Depth=1
	s_andn2_saveexec_b64 s[2:3], s[0:1]
; %bb.130:                              ;   in Loop: Header=BB113_49 Depth=1
	v_or_b32_e32 v3, 0x10000, v23
	v_cmp_eq_u32_sdwa s[0:1], v23, v15 src0_sel:WORD_0 src1_sel:DWORD
	s_nop 1
	v_cndmask_b32_e64 v3, v3, v23, s[0:1]
; %bb.131:                              ;   in Loop: Header=BB113_49 Depth=1
	s_or_b64 exec, exec, s[2:3]
	v_lshlrev_b32_e32 v19, 16, v19
	v_mul_f32_e32 v23, v26, v19
	v_and_b32_e32 v19, 0x7f800000, v23
	v_cmp_ne_u32_e64 s[0:1], s26, v19
                                        ; implicit-def: $vgpr19
	s_and_saveexec_b64 s[2:3], s[0:1]
	s_xor_b64 s[0:1], exec, s[2:3]
; %bb.132:                              ;   in Loop: Header=BB113_49 Depth=1
	v_bfe_u32 v19, v23, 16, 1
	v_add3_u32 v19, v23, v19, s27
                                        ; implicit-def: $vgpr23
; %bb.133:                              ;   in Loop: Header=BB113_49 Depth=1
	s_andn2_saveexec_b64 s[2:3], s[0:1]
; %bb.134:                              ;   in Loop: Header=BB113_49 Depth=1
	v_or_b32_e32 v19, 0x10000, v23
	v_cmp_eq_u32_sdwa s[0:1], v23, v15 src0_sel:WORD_0 src1_sel:DWORD
	s_nop 1
	v_cndmask_b32_e64 v19, v19, v23, s[0:1]
; %bb.135:                              ;   in Loop: Header=BB113_49 Depth=1
	s_or_b64 exec, exec, s[2:3]
	v_lshlrev_b32_e32 v4, 16, v4
	v_mul_f32_e32 v23, v27, v4
	v_and_b32_e32 v4, 0x7f800000, v23
	v_cmp_ne_u32_e64 s[0:1], s26, v4
                                        ; implicit-def: $vgpr4
	s_and_saveexec_b64 s[2:3], s[0:1]
	s_xor_b64 s[0:1], exec, s[2:3]
; %bb.136:                              ;   in Loop: Header=BB113_49 Depth=1
	v_bfe_u32 v4, v23, 16, 1
	v_add3_u32 v4, v23, v4, s27
                                        ; implicit-def: $vgpr23
; %bb.137:                              ;   in Loop: Header=BB113_49 Depth=1
	s_andn2_saveexec_b64 s[2:3], s[0:1]
; %bb.138:                              ;   in Loop: Header=BB113_49 Depth=1
	v_or_b32_e32 v4, 0x10000, v23
	v_cmp_eq_u32_sdwa s[0:1], v23, v15 src0_sel:WORD_0 src1_sel:DWORD
	s_nop 1
	v_cndmask_b32_e64 v4, v4, v23, s[0:1]
; %bb.139:                              ;   in Loop: Header=BB113_49 Depth=1
	s_or_b64 exec, exec, s[2:3]
	v_lshlrev_b32_e32 v9, 16, v9
	v_mul_f32_e32 v23, v28, v9
	v_and_b32_e32 v9, 0x7f800000, v23
	v_cmp_ne_u32_e64 s[0:1], s26, v9
                                        ; implicit-def: $vgpr9
	s_and_saveexec_b64 s[2:3], s[0:1]
	s_xor_b64 s[0:1], exec, s[2:3]
; %bb.140:                              ;   in Loop: Header=BB113_49 Depth=1
	v_bfe_u32 v9, v23, 16, 1
	v_add3_u32 v9, v23, v9, s27
                                        ; implicit-def: $vgpr23
; %bb.141:                              ;   in Loop: Header=BB113_49 Depth=1
	s_andn2_saveexec_b64 s[2:3], s[0:1]
; %bb.142:                              ;   in Loop: Header=BB113_49 Depth=1
	v_or_b32_e32 v9, 0x10000, v23
	v_cmp_eq_u32_sdwa s[0:1], v23, v15 src0_sel:WORD_0 src1_sel:DWORD
	s_nop 1
	v_cndmask_b32_e64 v9, v9, v23, s[0:1]
; %bb.143:                              ;   in Loop: Header=BB113_49 Depth=1
	s_or_b64 exec, exec, s[2:3]
	v_lshlrev_b32_e32 v5, 16, v5
	v_mul_f32_e32 v23, v29, v5
	v_and_b32_e32 v5, 0x7f800000, v23
	v_cmp_ne_u32_e64 s[0:1], s26, v5
                                        ; implicit-def: $vgpr5
	s_and_saveexec_b64 s[2:3], s[0:1]
	s_xor_b64 s[0:1], exec, s[2:3]
; %bb.144:                              ;   in Loop: Header=BB113_49 Depth=1
	v_bfe_u32 v5, v23, 16, 1
	v_add3_u32 v5, v23, v5, s27
                                        ; implicit-def: $vgpr23
; %bb.145:                              ;   in Loop: Header=BB113_49 Depth=1
	s_andn2_saveexec_b64 s[2:3], s[0:1]
; %bb.146:                              ;   in Loop: Header=BB113_49 Depth=1
	v_or_b32_e32 v5, 0x10000, v23
	v_cmp_eq_u32_sdwa s[0:1], v23, v15 src0_sel:WORD_0 src1_sel:DWORD
	s_nop 1
	v_cndmask_b32_e64 v5, v5, v23, s[0:1]
; %bb.147:                              ;   in Loop: Header=BB113_49 Depth=1
	s_or_b64 exec, exec, s[2:3]
	v_lshlrev_b32_e32 v6, 16, v6
	v_mul_f32_e32 v6, v30, v6
	v_and_b32_e32 v23, 0x7f800000, v6
	v_cmp_ne_u32_e64 s[0:1], s26, v23
                                        ; implicit-def: $vgpr23
	s_and_saveexec_b64 s[2:3], s[0:1]
	s_xor_b64 s[0:1], exec, s[2:3]
; %bb.148:                              ;   in Loop: Header=BB113_49 Depth=1
	v_bfe_u32 v23, v6, 16, 1
	v_add3_u32 v23, v6, v23, s27
                                        ; implicit-def: $vgpr6
; %bb.149:                              ;   in Loop: Header=BB113_49 Depth=1
	s_andn2_saveexec_b64 s[2:3], s[0:1]
	s_cbranch_execz .LBB113_46
; %bb.150:                              ;   in Loop: Header=BB113_49 Depth=1
	v_or_b32_e32 v23, 0x10000, v6
	v_cmp_eq_u32_sdwa s[0:1], v6, v15 src0_sel:WORD_0 src1_sel:DWORD
	s_nop 1
	v_cndmask_b32_e64 v23, v23, v6, s[0:1]
	s_branch .LBB113_46
.LBB113_151:
	s_or_b64 exec, exec, s[12:13]
.LBB113_152:
	s_or_b64 exec, exec, s[8:9]
	v_and_b32_e32 v1, 0x3c0, v0
	v_cmp_eq_u32_e32 vcc, 64, v1
	s_barrier
	s_and_saveexec_b64 s[0:1], vcc
	s_cbranch_execz .LBB113_155
; %bb.153:
	v_mov_b32_e32 v1, 0x100
	v_lshl_add_u32 v2, v20, 2, v1
	ds_write_b32 v2, v12
	s_and_b64 exec, exec, s[6:7]
	s_cbranch_execz .LBB113_155
; %bb.154:
	v_lshl_add_u32 v1, v0, 2, v1
	ds_write_b32 v1, v13
.LBB113_155:
	s_or_b64 exec, exec, s[0:1]
	v_cmp_gt_u32_e32 vcc, 64, v0
	v_or_b32_e32 v1, 64, v0
	s_waitcnt lgkmcnt(0)
	s_barrier
	s_and_saveexec_b64 s[2:3], vcc
	s_cbranch_execz .LBB113_159
; %bb.156:
	v_mov_b32_e32 v2, 0x100
	v_lshl_add_u32 v2, v0, 2, v2
	ds_read_b32 v0, v2
	s_movk_i32 s0, 0x78
	v_cmp_gt_u32_e64 s[0:1], s0, v1
	s_and_saveexec_b64 s[6:7], s[0:1]
	s_cbranch_execz .LBB113_158
; %bb.157:
	ds_read_b32 v2, v2 offset:256
	s_waitcnt lgkmcnt(0)
	v_add_f32_e32 v13, v13, v2
.LBB113_158:
	s_or_b64 exec, exec, s[6:7]
	s_waitcnt lgkmcnt(0)
	v_add_f32_e32 v12, v12, v0
.LBB113_159:
	s_or_b64 exec, exec, s[2:3]
	s_barrier
	s_and_saveexec_b64 s[0:1], vcc
	s_cbranch_execz .LBB113_170
; %bb.160:
	s_mov_b32 s0, 0x7f800000
	v_and_b32_e32 v0, 0x7f800000, v12
	v_cmp_ne_u32_e32 vcc, s0, v0
                                        ; implicit-def: $vgpr0
	s_and_saveexec_b64 s[0:1], vcc
	s_xor_b64 s[0:1], exec, s[0:1]
; %bb.161:
	v_bfe_u32 v0, v12, 16, 1
	s_movk_i32 s2, 0x7fff
	v_add3_u32 v0, v12, v0, s2
; %bb.162:
	s_andn2_saveexec_b64 s[0:1], s[0:1]
; %bb.163:
	v_mov_b32_e32 v0, 0
	v_or_b32_e32 v2, 0x10000, v12
	v_cmp_eq_u32_sdwa vcc, v12, v0 src0_sel:WORD_0 src1_sel:DWORD
	s_nop 1
	v_cndmask_b32_e32 v0, v2, v12, vcc
; %bb.164:
	s_or_b64 exec, exec, s[0:1]
	s_mul_i32 s0, s20, s21
	s_mul_i32 s0, s0, s5
	s_mulk_i32 s0, 0x78
	s_ashr_i32 s1, s0, 31
	s_lshl_b64 s[0:1], s[0:1], 1
	s_add_u32 s3, s24, s0
	s_mul_i32 s0, s21, s22
	s_addc_u32 s5, s25, s1
	s_ashr_i32 s1, s0, 31
	s_lshl_b64 s[0:1], s[0:1], 1
	s_add_u32 s3, s3, s0
	s_mul_i32 s0, s4, 0x78
	s_addc_u32 s5, s5, s1
	s_ashr_i32 s1, s0, 31
	s_lshl_b64 s[0:1], s[0:1], 1
	s_movk_i32 s2, 0x78
	s_add_u32 s0, s3, s0
	s_addc_u32 s1, s5, s1
	v_cmp_gt_u32_e32 vcc, s2, v1
	global_store_short_d16_hi v10, v0, s[0:1]
	s_and_b64 exec, exec, vcc
	s_cbranch_execz .LBB113_170
; %bb.165:
	s_mov_b32 s2, 0x7f800000
	v_and_b32_e32 v0, 0x7f800000, v13
	v_mov_b32_e32 v11, 0
	v_cmp_ne_u32_e32 vcc, s2, v0
                                        ; implicit-def: $vgpr2
	s_and_saveexec_b64 s[2:3], vcc
	s_xor_b64 s[2:3], exec, s[2:3]
; %bb.166:
	v_bfe_u32 v0, v13, 16, 1
	s_movk_i32 s4, 0x7fff
	v_add3_u32 v2, v13, v0, s4
                                        ; implicit-def: $vgpr13
; %bb.167:
	s_or_saveexec_b64 s[2:3], s[2:3]
	v_lshl_add_u64 v[0:1], s[0:1], 0, v[10:11]
	s_xor_b64 exec, exec, s[2:3]
; %bb.168:
	v_mov_b32_e32 v2, 0
	v_or_b32_e32 v3, 0x10000, v13
	v_cmp_eq_u32_sdwa vcc, v13, v2 src0_sel:WORD_0 src1_sel:DWORD
	s_nop 1
	v_cndmask_b32_e32 v2, v3, v13, vcc
; %bb.169:
	s_or_b64 exec, exec, s[2:3]
	global_store_short_d16_hi v[0:1], v2, off offset:128
.LBB113_170:
	s_endpgm
	.section	.rodata,"a",@progbits
	.p2align	6, 0x0
	.amdhsa_kernel _ZN4vllm25paged_attention_v1_kernelI14__hip_bfloat16S1_Li120ELi8ELi128ELNS_18Fp8KVCacheDataTypeE0ELb1EEEvPT_PKS3_PKT0_S9_ifPKiSB_iPKfiiiSD_SD_iiiii
		.amdhsa_group_segment_fixed_size 256
		.amdhsa_private_segment_fixed_size 0
		.amdhsa_kernarg_size 384
		.amdhsa_user_sgpr_count 2
		.amdhsa_user_sgpr_dispatch_ptr 0
		.amdhsa_user_sgpr_queue_ptr 0
		.amdhsa_user_sgpr_kernarg_segment_ptr 1
		.amdhsa_user_sgpr_dispatch_id 0
		.amdhsa_user_sgpr_kernarg_preload_length 0
		.amdhsa_user_sgpr_kernarg_preload_offset 0
		.amdhsa_user_sgpr_private_segment_size 0
		.amdhsa_uses_dynamic_stack 0
		.amdhsa_enable_private_segment 0
		.amdhsa_system_sgpr_workgroup_id_x 1
		.amdhsa_system_sgpr_workgroup_id_y 1
		.amdhsa_system_sgpr_workgroup_id_z 1
		.amdhsa_system_sgpr_workgroup_info 0
		.amdhsa_system_vgpr_workitem_id 0
		.amdhsa_next_free_vgpr 55
		.amdhsa_next_free_sgpr 47
		.amdhsa_accum_offset 56
		.amdhsa_reserve_vcc 1
		.amdhsa_float_round_mode_32 0
		.amdhsa_float_round_mode_16_64 0
		.amdhsa_float_denorm_mode_32 3
		.amdhsa_float_denorm_mode_16_64 3
		.amdhsa_dx10_clamp 1
		.amdhsa_ieee_mode 1
		.amdhsa_fp16_overflow 0
		.amdhsa_tg_split 0
		.amdhsa_exception_fp_ieee_invalid_op 0
		.amdhsa_exception_fp_denorm_src 0
		.amdhsa_exception_fp_ieee_div_zero 0
		.amdhsa_exception_fp_ieee_overflow 0
		.amdhsa_exception_fp_ieee_underflow 0
		.amdhsa_exception_fp_ieee_inexact 0
		.amdhsa_exception_int_div_zero 0
	.end_amdhsa_kernel
	.section	.text._ZN4vllm25paged_attention_v1_kernelI14__hip_bfloat16S1_Li120ELi8ELi128ELNS_18Fp8KVCacheDataTypeE0ELb1EEEvPT_PKS3_PKT0_S9_ifPKiSB_iPKfiiiSD_SD_iiiii,"axG",@progbits,_ZN4vllm25paged_attention_v1_kernelI14__hip_bfloat16S1_Li120ELi8ELi128ELNS_18Fp8KVCacheDataTypeE0ELb1EEEvPT_PKS3_PKT0_S9_ifPKiSB_iPKfiiiSD_SD_iiiii,comdat
.Lfunc_end113:
	.size	_ZN4vllm25paged_attention_v1_kernelI14__hip_bfloat16S1_Li120ELi8ELi128ELNS_18Fp8KVCacheDataTypeE0ELb1EEEvPT_PKS3_PKT0_S9_ifPKiSB_iPKfiiiSD_SD_iiiii, .Lfunc_end113-_ZN4vllm25paged_attention_v1_kernelI14__hip_bfloat16S1_Li120ELi8ELi128ELNS_18Fp8KVCacheDataTypeE0ELb1EEEvPT_PKS3_PKT0_S9_ifPKiSB_iPKfiiiSD_SD_iiiii
                                        ; -- End function
	.section	.AMDGPU.csdata,"",@progbits
; Kernel info:
; codeLenInByte = 7080
; NumSgprs: 53
; NumVgprs: 55
; NumAgprs: 0
; TotalNumVgprs: 55
; ScratchSize: 0
; MemoryBound: 0
; FloatMode: 240
; IeeeMode: 1
; LDSByteSize: 256 bytes/workgroup (compile time only)
; SGPRBlocks: 6
; VGPRBlocks: 6
; NumSGPRsForWavesPerEU: 53
; NumVGPRsForWavesPerEU: 55
; AccumOffset: 56
; Occupancy: 8
; WaveLimiterHint : 1
; COMPUTE_PGM_RSRC2:SCRATCH_EN: 0
; COMPUTE_PGM_RSRC2:USER_SGPR: 2
; COMPUTE_PGM_RSRC2:TRAP_HANDLER: 0
; COMPUTE_PGM_RSRC2:TGID_X_EN: 1
; COMPUTE_PGM_RSRC2:TGID_Y_EN: 1
; COMPUTE_PGM_RSRC2:TGID_Z_EN: 1
; COMPUTE_PGM_RSRC2:TIDIG_COMP_CNT: 0
; COMPUTE_PGM_RSRC3_GFX90A:ACCUM_OFFSET: 13
; COMPUTE_PGM_RSRC3_GFX90A:TG_SPLIT: 0
	.section	.text._ZN4vllm25paged_attention_v1_kernelI14__hip_bfloat16S1_Li128ELi8ELi128ELNS_18Fp8KVCacheDataTypeE0ELb1EEEvPT_PKS3_PKT0_S9_ifPKiSB_iPKfiiiSD_SD_iiiii,"axG",@progbits,_ZN4vllm25paged_attention_v1_kernelI14__hip_bfloat16S1_Li128ELi8ELi128ELNS_18Fp8KVCacheDataTypeE0ELb1EEEvPT_PKS3_PKT0_S9_ifPKiSB_iPKfiiiSD_SD_iiiii,comdat
	.protected	_ZN4vllm25paged_attention_v1_kernelI14__hip_bfloat16S1_Li128ELi8ELi128ELNS_18Fp8KVCacheDataTypeE0ELb1EEEvPT_PKS3_PKT0_S9_ifPKiSB_iPKfiiiSD_SD_iiiii ; -- Begin function _ZN4vllm25paged_attention_v1_kernelI14__hip_bfloat16S1_Li128ELi8ELi128ELNS_18Fp8KVCacheDataTypeE0ELb1EEEvPT_PKS3_PKT0_S9_ifPKiSB_iPKfiiiSD_SD_iiiii
	.globl	_ZN4vllm25paged_attention_v1_kernelI14__hip_bfloat16S1_Li128ELi8ELi128ELNS_18Fp8KVCacheDataTypeE0ELb1EEEvPT_PKS3_PKT0_S9_ifPKiSB_iPKfiiiSD_SD_iiiii
	.p2align	8
	.type	_ZN4vllm25paged_attention_v1_kernelI14__hip_bfloat16S1_Li128ELi8ELi128ELNS_18Fp8KVCacheDataTypeE0ELb1EEEvPT_PKS3_PKT0_S9_ifPKiSB_iPKfiiiSD_SD_iiiii,@function
_ZN4vllm25paged_attention_v1_kernelI14__hip_bfloat16S1_Li128ELi8ELi128ELNS_18Fp8KVCacheDataTypeE0ELb1EEEvPT_PKS3_PKT0_S9_ifPKiSB_iPKfiiiSD_SD_iiiii: ; @_ZN4vllm25paged_attention_v1_kernelI14__hip_bfloat16S1_Li128ELi8ELi128ELNS_18Fp8KVCacheDataTypeE0ELb1EEEvPT_PKS3_PKT0_S9_ifPKiSB_iPKfiiiSD_SD_iiiii
; %bb.0:
	s_load_dword s5, s[0:1], 0x80
	s_load_dwordx2 s[6:7], s[0:1], 0x30
	s_load_dwordx2 s[30:31], s[0:1], 0x20
	s_mov_b32 s10, s3
	s_ashr_i32 s11, s3, 31
	s_lshl_b64 s[8:9], s[10:11], 2
	s_waitcnt lgkmcnt(0)
	s_add_u32 s6, s6, s8
	s_addc_u32 s7, s7, s9
	s_abs_i32 s3, s30
	v_cvt_f32_u32_e32 v1, s3
	s_sub_i32 s11, 0, s3
	s_abs_i32 s9, s5
	s_xor_b32 s8, s5, s30
	v_rcp_iflag_f32_e32 v1, v1
	s_ashr_i32 s8, s8, 31
	s_mov_b32 s42, 0
	v_mul_f32_e32 v1, 0x4f7ffffe, v1
	v_cvt_u32_f32_e32 v1, v1
	s_nop 0
	v_readfirstlane_b32 s12, v1
	s_mul_i32 s11, s11, s12
	s_mul_hi_u32 s11, s12, s11
	s_add_i32 s12, s12, s11
	s_mul_hi_u32 s11, s9, s12
	s_mul_i32 s12, s11, s3
	s_sub_i32 s9, s9, s12
	s_add_i32 s12, s11, 1
	s_sub_i32 s13, s9, s3
	s_cmp_ge_u32 s9, s3
	s_cselect_b32 s11, s12, s11
	s_cselect_b32 s9, s13, s9
	s_add_i32 s12, s11, 1
	s_cmp_ge_u32 s9, s3
	s_cselect_b32 s3, s12, s11
	s_xor_b32 s3, s3, s8
	s_sub_i32 s12, s3, s8
	s_abs_i32 s22, s12
	v_cvt_f32_u32_e32 v1, s22
	s_load_dwordx2 s[8:9], s[0:1], 0x40
	s_sub_i32 s3, 0, s22
	s_abs_i32 s23, s2
	v_rcp_iflag_f32_e32 v1, v1
	s_nop 0
	v_mul_f32_e32 v1, 0x4f7ffffe, v1
	v_cvt_u32_f32_e32 v1, v1
	s_nop 0
	v_readfirstlane_b32 s11, v1
	s_mul_i32 s3, s3, s11
	s_mul_hi_u32 s3, s11, s3
	s_add_i32 s11, s11, s3
	s_waitcnt lgkmcnt(0)
	s_cmp_eq_u64 s[8:9], 0
	s_mul_hi_u32 s24, s23, s11
	s_cbranch_scc1 .LBB114_2
; %bb.1:
	s_ashr_i32 s3, s2, 31
	s_lshl_b64 s[14:15], s[2:3], 2
	s_add_u32 s8, s8, s14
	s_addc_u32 s9, s9, s15
	s_load_dword s42, s[8:9], 0x0
.LBB114_2:
	s_load_dword s11, s[6:7], 0x0
	s_ashr_i32 s9, s12, 31
	s_load_dwordx4 s[12:15], s[0:1], 0x48
	s_movk_i32 s6, 0x80
	s_ashr_i32 s3, s2, 31
	v_and_b32_e32 v4, 7, v0
	s_lshl_b32 s20, s2, 7
	v_cmp_gt_u32_e32 vcc, s6, v0
	v_lshlrev_b32_e32 v10, 1, v0
	s_and_saveexec_b64 s[6:7], vcc
	s_cbranch_execz .LBB114_4
; %bb.3:
	s_load_dwordx2 s[16:17], s[0:1], 0x8
	s_waitcnt lgkmcnt(0)
	s_mul_i32 s18, s10, s12
	s_ashr_i32 s19, s18, 31
	s_lshl_b64 s[18:19], s[18:19], 1
	v_lshrrev_b32_e32 v2, 2, v0
	s_add_u32 s8, s16, s18
	s_addc_u32 s12, s17, s19
	s_ashr_i32 s21, s20, 31
	s_lshl_b64 s[16:17], s[20:21], 1
	s_add_u32 s16, s8, s16
	s_addc_u32 s17, s12, s17
	global_load_ushort v1, v10, s[16:17]
	v_and_b32_e32 v2, 0xfe, v2
	v_lshl_add_u32 v2, v4, 5, v2
	s_waitcnt vmcnt(0)
	ds_write_b16 v2, v1
.LBB114_4:
	s_or_b64 exec, exec, s[6:7]
	s_mul_i32 s6, s24, s22
	s_sub_i32 s6, s23, s6
	s_xor_b32 s3, s3, s9
	s_add_i32 s7, s24, 1
	s_sub_i32 s9, s6, s22
	s_load_dwordx4 s[16:19], s[0:1], 0x68
	s_load_dword s8, s[0:1], 0x78
	s_cmp_ge_u32 s6, s22
	s_cselect_b32 s7, s7, s24
	s_cselect_b32 s6, s9, s6
	s_add_i32 s9, s7, 1
	s_cmp_ge_u32 s6, s22
	s_cselect_b32 s6, s9, s7
	s_waitcnt lgkmcnt(0)
	s_abs_i32 s21, s19
	v_cvt_f32_u32_e32 v1, s21
	s_xor_b32 s6, s6, s3
	s_sub_i32 s3, s6, s3
	s_sub_i32 s6, 0, s21
	v_rcp_iflag_f32_e32 v1, v1
	s_add_i32 s15, s11, -1
	s_abs_i32 s9, s15
	v_mul_f32_e32 v1, 0x4f7ffffe, v1
	v_cvt_u32_f32_e32 v1, v1
	s_barrier
	v_readfirstlane_b32 s33, v1
	s_mul_i32 s6, s6, s33
	s_mul_hi_u32 s6, s33, s6
	s_add_i32 s33, s33, s6
	s_cmp_lt_i32 s8, 0
	s_mul_hi_u32 s12, s9, s33
	s_cbranch_scc0 .LBB114_6
; %bb.5:
	s_mul_i32 s6, s16, s30
	s_add_i32 s6, s3, s6
	s_mul_i32 s6, s6, s8
	s_sub_i32 s40, 1, s6
	s_mov_b64 s[6:7], 0
	s_branch .LBB114_7
.LBB114_6:
	s_mov_b64 s[6:7], -1
                                        ; implicit-def: $sgpr40
.LBB114_7:
	s_load_dwordx2 s[24:25], s[0:1], 0x28
	s_ashr_i32 s15, s15, 31
	s_andn2_b64 vcc, exec, s[6:7]
	s_ashr_i32 s19, s19, 31
	s_cbranch_vccnz .LBB114_9
; %bb.8:
	s_mul_i32 s6, s5, s16
	s_add_i32 s2, s6, s2
	s_mul_i32 s2, s2, s8
	s_add_i32 s40, s2, 1
.LBB114_9:
	s_load_dword s2, s[0:1], 0x38
	s_load_dwordx2 s[22:23], s[0:1], 0x0
	s_load_dwordx2 s[28:29], s[0:1], 0x18
	s_load_dword s16, s[0:1], 0x88
	s_xor_b32 s6, s15, s19
	s_waitcnt lgkmcnt(0)
	s_mul_i32 s26, s10, s2
	s_mul_i32 s2, s12, s21
	s_sub_i32 s2, s9, s2
	s_ashr_i32 s27, s26, 31
	s_add_i32 s7, s12, 1
	s_sub_i32 s8, s2, s21
	s_cmp_ge_u32 s2, s21
	s_cselect_b32 s7, s7, s12
	s_cselect_b32 s2, s8, s2
	s_add_i32 s8, s7, 1
	s_cmp_ge_u32 s2, s21
	s_cselect_b32 s2, s8, s7
	s_xor_b32 s2, s2, s6
	s_sub_i32 s12, s2, s6
	s_add_i32 s2, s11, 7
	s_ashr_i32 s6, s2, 31
	s_lshr_b32 s6, s6, 29
	s_add_i32 s2, s2, s6
	s_ashr_i32 s41, s2, 3
	v_lshrrev_b32_e32 v1, 6, v0
	v_cmp_gt_i32_e64 s[6:7], s41, v1
	v_mov_b32_e32 v12, 0xff7fffff
	s_mul_i32 s14, s3, s14
	v_lshrrev_b32_e32 v6, 4, v0
	v_lshlrev_b32_e32 v11, 3, v1
	v_mbcnt_lo_u32_b32 v7, -1, 0
	s_and_saveexec_b64 s[34:35], s[6:7]
	s_cbranch_execz .LBB114_19
; %bb.10:
	s_load_dwordx2 s[0:1], s[0:1], 0x10
	s_ashr_i32 s15, s14, 31
	s_sub_i32 s30, s12, s17
	s_lshl_b64 s[2:3], s[14:15], 1
	v_bfe_u32 v8, v0, 3, 3
	s_waitcnt lgkmcnt(0)
	s_add_u32 s0, s0, s2
	s_addc_u32 s1, s1, s3
	s_abs_i32 s15, s18
	v_cvt_f32_u32_e32 v2, s15
	v_lshlrev_b32_e32 v14, 4, v8
	v_mov_b32_e32 v15, 0
	v_cmp_eq_u32_e32 vcc, 0, v4
	v_rcp_iflag_f32_e32 v5, v2
	v_lshl_add_u64 v[2:3], s[0:1], 0, v[14:15]
	s_sub_i32 s0, 0, s15
	v_lshlrev_b32_e32 v14, 1, v4
	v_mul_f32_e32 v5, 0x4f7ffffe, v5
	v_cvt_u32_f32_e32 v5, v5
	v_lshlrev_b32_e32 v9, 5, v4
	v_lshlrev_b32_e32 v12, 2, v8
	v_lshl_add_u64 v[2:3], v[2:3], 0, v[14:15]
	v_mul_lo_u32 v4, s0, v5
	s_lshl_b64 s[0:1], s[26:27], 2
	s_add_u32 s0, s24, s0
	v_mul_hi_u32 v4, v5, v4
	v_and_b32_e32 v14, 60, v6
	s_addc_u32 s1, s25, s1
	v_lshl_or_b32 v12, v1, 5, v12
	v_add_u32_e32 v13, v5, v4
	v_lshl_add_u64 v[4:5], s[0:1], 0, v[14:15]
	v_add_u32_e32 v15, 0x110, v12
	v_subrev_u32_e32 v12, s11, v8
	v_mbcnt_hi_u32_b32 v18, -1, v7
	v_add_u32_e32 v16, 1, v12
	v_and_b32_e32 v12, 64, v18
	s_mov_b32 s43, s13
	v_cmp_neq_f32_e64 s[2:3], s42, 0
	v_lshlrev_b32_e32 v14, 3, v1
	s_mov_b64 s[36:37], 0
	v_mov_b32_e32 v17, 0xff7fffff
	v_add_u32_e32 v19, 64, v12
	v_xor_b32_e32 v20, 4, v18
	v_xor_b32_e32 v21, 2, v18
	;; [unrolled: 1-line block ×3, first 2 shown]
	v_mov_b32_e32 v12, 0xff7fffff
	v_mov_b32_e32 v23, v1
	s_branch .LBB114_13
.LBB114_11:                             ;   in Loop: Header=BB114_13 Depth=1
	s_or_b64 exec, exec, s[38:39]
.LBB114_12:                             ;   in Loop: Header=BB114_13 Depth=1
	s_or_b64 exec, exec, s[8:9]
	v_add_u32_e32 v23, 2, v23
	v_cmp_le_i32_e64 s[0:1], s41, v23
	v_lshl_add_u64 v[4:5], v[4:5], 0, 8
	v_add_u32_e32 v14, 16, v14
	s_or_b64 s[36:37], s[0:1], s[36:37]
	v_add_u32_e32 v15, 64, v15
	s_andn2_b64 exec, exec, s[36:37]
	s_cbranch_execz .LBB114_18
.LBB114_13:                             ; =>This Inner Loop Header: Depth=1
	v_mul_hi_u32 v24, v14, s33
	s_waitcnt lgkmcnt(0)
	v_mul_lo_u32 v25, v24, s21
	v_sub_u32_e32 v25, v14, v25
	v_add_u32_e32 v26, 1, v24
	v_cmp_le_u32_e64 s[0:1], s21, v25
	s_nop 1
	v_cndmask_b32_e64 v24, v24, v26, s[0:1]
	v_subrev_u32_e32 v26, s21, v25
	v_cndmask_b32_e64 v25, v25, v26, s[0:1]
	v_add_u32_e32 v26, 1, v24
	v_cmp_le_u32_e64 s[0:1], s21, v25
	s_nop 1
	v_cndmask_b32_e64 v24, v24, v26, s[0:1]
	v_xor_b32_e32 v24, s19, v24
	v_subrev_u32_e32 v24, s19, v24
	v_add_u32_e32 v25, s40, v24
	v_sub_u32_e32 v27, 0, v25
	v_ashrrev_i32_e32 v26, 31, v25
	v_max_i32_e32 v25, v25, v27
	v_mul_hi_u32 v27, v25, v13
	v_mul_lo_u32 v27, v27, s15
	v_sub_u32_e32 v25, v25, v27
	v_subrev_u32_e32 v27, s15, v25
	v_cmp_le_u32_e64 s[0:1], s15, v25
	v_cmp_ge_i32_e64 s[8:9], s30, v24
	s_nop 0
	v_cndmask_b32_e64 v25, v25, v27, s[0:1]
	v_subrev_u32_e32 v27, s15, v25
	v_cmp_le_u32_e64 s[0:1], s15, v25
	s_nop 1
	v_cndmask_b32_e64 v25, v25, v27, s[0:1]
	v_xor_b32_e32 v25, v25, v26
	v_sub_u32_e32 v25, v25, v26
	v_cmp_ne_u32_e64 s[0:1], 0, v25
	s_and_b64 s[0:1], s[0:1], s[8:9]
	s_and_b64 s[38:39], vcc, s[0:1]
	s_and_saveexec_b64 s[8:9], s[38:39]
	s_cbranch_execz .LBB114_15
; %bb.14:                               ;   in Loop: Header=BB114_13 Depth=1
	ds_write_b32 v15, v17
.LBB114_15:                             ;   in Loop: Header=BB114_13 Depth=1
	s_or_b64 exec, exec, s[8:9]
	s_xor_b64 s[0:1], s[0:1], -1
	s_and_saveexec_b64 s[8:9], s[0:1]
	s_cbranch_execz .LBB114_12
; %bb.16:                               ;   in Loop: Header=BB114_13 Depth=1
	global_load_dword v24, v[4:5], off
	s_waitcnt vmcnt(0)
	v_mad_i64_i32 v[24:25], s[0:1], v24, s43, 0
	v_lshl_add_u64 v[24:25], v[24:25], 1, v[2:3]
	global_load_ushort v32, v[24:25], off
	global_load_ushort v33, v[24:25], off offset:128
	global_load_ushort v34, v[24:25], off offset:256
	;; [unrolled: 1-line block ×15, first 2 shown]
	ds_read_b128 v[24:27], v9
	ds_read_b128 v[28:31], v9 offset:16
	v_cmp_lt_i32_e64 s[0:1], v20, v19
	s_waitcnt lgkmcnt(1)
	v_lshlrev_b32_e32 v49, 16, v24
	v_and_b32_e32 v24, 0xffff0000, v24
	v_lshlrev_b32_e32 v50, 16, v25
	v_and_b32_e32 v25, 0xffff0000, v25
	;; [unrolled: 2-line block ×4, first 2 shown]
	s_waitcnt lgkmcnt(0)
	v_lshlrev_b32_e32 v53, 16, v28
	v_and_b32_e32 v28, 0xffff0000, v28
	v_lshlrev_b32_e32 v54, 16, v29
	v_and_b32_e32 v29, 0xffff0000, v29
	;; [unrolled: 2-line block ×3, first 2 shown]
	v_lshlrev_b32_e32 v56, 16, v31
	v_cndmask_b32_e64 v48, v18, v20, s[0:1]
	v_and_b32_e32 v31, 0xffff0000, v31
	v_lshlrev_b32_e32 v48, 2, v48
	v_cmp_lt_i32_e64 s[0:1], v21, v19
	s_waitcnt vmcnt(15)
	v_lshlrev_b32_e32 v32, 16, v32
	s_waitcnt vmcnt(14)
	v_lshlrev_b32_e32 v33, 16, v33
	v_mul_f32_e32 v24, v24, v33
	s_waitcnt vmcnt(13)
	v_lshlrev_b32_e32 v34, 16, v34
	v_fmac_f32_e32 v24, v49, v32
	s_waitcnt vmcnt(12)
	v_lshlrev_b32_e32 v35, 16, v35
	v_fmac_f32_e32 v24, v50, v34
	;; [unrolled: 3-line block ×13, first 2 shown]
	v_fmac_f32_e32 v24, v56, v46
	s_waitcnt vmcnt(0)
	v_lshlrev_b32_e32 v25, 16, v47
	v_fmac_f32_e32 v24, v31, v25
	ds_bpermute_b32 v25, v48, v24
	v_cndmask_b32_e64 v26, v18, v21, s[0:1]
	v_lshlrev_b32_e32 v26, 2, v26
	v_cmp_lt_i32_e64 s[0:1], v22, v19
	s_waitcnt lgkmcnt(0)
	v_add_f32_e32 v24, v24, v25
	ds_bpermute_b32 v25, v26, v24
	v_cndmask_b32_e64 v26, v18, v22, s[0:1]
	v_lshlrev_b32_e32 v26, 2, v26
	s_waitcnt lgkmcnt(0)
	v_add_f32_e32 v24, v24, v25
	ds_bpermute_b32 v25, v26, v24
	s_and_saveexec_b64 s[38:39], vcc
	s_cbranch_execz .LBB114_11
; %bb.17:                               ;   in Loop: Header=BB114_13 Depth=1
	v_add_u32_e32 v26, v16, v14
	v_cvt_f32_i32_e32 v26, v26
	s_waitcnt lgkmcnt(0)
	v_add_f32_e32 v24, v24, v25
	v_add_u32_e32 v27, v8, v14
	v_cmp_gt_i32_e64 s[0:1], s11, v27
	v_mul_f32_e32 v25, s42, v26
	v_cndmask_b32_e64 v25, 0, v25, s[2:3]
	v_fmac_f32_e32 v25, s31, v24
	v_cndmask_b32_e64 v24, 0, v25, s[0:1]
	ds_write_b32 v15, v24
	v_max_f32_e32 v24, v12, v12
	v_max_f32_e32 v24, v24, v25
	v_cndmask_b32_e64 v12, v12, v24, s[0:1]
	s_branch .LBB114_11
.LBB114_18:
	s_or_b64 exec, exec, s[36:37]
.LBB114_19:
	s_or_b64 exec, exec, s[34:35]
	v_mbcnt_hi_u32_b32 v2, -1, v7
	v_and_b32_e32 v3, 64, v2
	v_add_u32_e32 v3, 64, v3
	v_xor_b32_e32 v4, 32, v2
	v_cmp_lt_i32_e32 vcc, v4, v3
	v_xor_b32_e32 v8, 16, v2
	v_max_f32_e32 v7, v12, v12
	v_cndmask_b32_e32 v4, v2, v4, vcc
	v_lshlrev_b32_e32 v5, 2, v4
	ds_bpermute_b32 v4, v5, v12
	v_cmp_lt_i32_e32 vcc, v8, v3
	v_xor_b32_e32 v9, 8, v2
	v_and_b32_e32 v20, 63, v0
	s_waitcnt lgkmcnt(0)
	v_max_f32_e32 v4, v4, v4
	v_max_f32_e32 v4, v7, v4
	v_cndmask_b32_e32 v7, v2, v8, vcc
	v_lshlrev_b32_e32 v8, 2, v7
	ds_bpermute_b32 v7, v8, v4
	v_cmp_lt_i32_e32 vcc, v9, v3
	s_waitcnt lgkmcnt(0)
	v_max_f32_e32 v7, v7, v7
	v_max_f32_e32 v7, v4, v7
	v_cndmask_b32_e32 v4, v2, v9, vcc
	v_lshlrev_b32_e32 v12, 2, v4
	ds_bpermute_b32 v9, v12, v7
	v_cmp_eq_u32_e32 vcc, 0, v20
	v_lshlrev_b32_e32 v4, 2, v1
	s_and_saveexec_b64 s[0:1], vcc
	s_cbranch_execz .LBB114_21
; %bb.20:
	s_waitcnt lgkmcnt(0)
	v_max_f32_e32 v9, v9, v9
	v_max_f32_e32 v7, v7, v7
	;; [unrolled: 1-line block ×3, first 2 shown]
	ds_write_b32 v4, v7 offset:256
.LBB114_21:
	s_or_b64 exec, exec, s[0:1]
	v_cmp_gt_u32_e64 s[0:1], 2, v20
	v_mov_b32_e32 v13, 0xff7fffff
	v_lshlrev_b32_e32 v7, 2, v20
	s_waitcnt lgkmcnt(0)
	s_barrier
	s_and_saveexec_b64 s[2:3], s[0:1]
	s_cbranch_execz .LBB114_23
; %bb.22:
	ds_read_b32 v13, v7 offset:256
.LBB114_23:
	s_or_b64 exec, exec, s[2:3]
	v_xor_b32_e32 v9, 1, v2
	v_cmp_lt_i32_e64 s[2:3], v9, v3
	v_lshlrev_b32_e32 v15, 2, v2
	s_nop 0
	v_cndmask_b32_e64 v9, v2, v9, s[2:3]
	v_lshlrev_b32_e32 v9, 2, v9
	s_waitcnt lgkmcnt(0)
	ds_bpermute_b32 v14, v9, v13
	v_max_f32_e32 v13, v13, v13
	s_lshl_b32 s2, s41, 3
	s_min_i32 s15, s2, s11
	v_cmp_gt_i32_e64 s[2:3], s15, v0
	s_waitcnt lgkmcnt(0)
	v_max_f32_e32 v14, v14, v14
	v_max_f32_e32 v14, v13, v14
	v_and_b32_e32 v13, 0x100, v15
	ds_bpermute_b32 v15, v13, v14
	v_mov_b32_e32 v14, 0
	s_and_saveexec_b64 s[30:31], s[2:3]
	s_cbranch_execz .LBB114_27
; %bb.24:
	v_mov_b32_e32 v14, 0x110
	v_lshl_add_u32 v16, v0, 2, v14
	s_mov_b64 s[34:35], 0
	v_mov_b32_e32 v14, 0
	v_mov_b32_e32 v17, v0
.LBB114_25:                             ; =>This Inner Loop Header: Depth=1
	ds_read_b32 v18, v16
	v_add_u32_e32 v17, 0x80, v17
	v_cmp_le_i32_e64 s[8:9], s15, v17
	s_or_b64 s[34:35], s[8:9], s[34:35]
	s_waitcnt lgkmcnt(0)
	v_sub_f32_e32 v18, v18, v15
	v_mul_f32_e32 v18, 0x3fb8aa3b, v18
	v_exp_f32_e32 v18, v18
	ds_write_b32 v16, v18
	v_add_f32_e32 v14, v14, v18
	v_add_u32_e32 v16, 0x200, v16
	s_andn2_b64 exec, exec, s[34:35]
	s_cbranch_execnz .LBB114_25
; %bb.26:
	s_or_b64 exec, exec, s[34:35]
.LBB114_27:
	s_or_b64 exec, exec, s[30:31]
	ds_bpermute_b32 v5, v5, v14
	s_waitcnt lgkmcnt(0)
	v_add_f32_e32 v5, v14, v5
	ds_bpermute_b32 v8, v8, v5
	s_waitcnt lgkmcnt(0)
	v_add_f32_e32 v5, v5, v8
	ds_bpermute_b32 v8, v12, v5
	v_xor_b32_e32 v12, 4, v2
	v_cmp_lt_i32_e64 s[8:9], v12, v3
	s_waitcnt lgkmcnt(0)
	v_add_f32_e32 v5, v5, v8
	v_cndmask_b32_e64 v12, v2, v12, s[8:9]
	v_lshlrev_b32_e32 v12, 2, v12
	ds_bpermute_b32 v8, v12, v5
	v_xor_b32_e32 v12, 2, v2
	v_cmp_lt_i32_e64 s[8:9], v12, v3
	s_waitcnt lgkmcnt(0)
	v_add_f32_e32 v3, v5, v8
	v_cndmask_b32_e64 v2, v2, v12, s[8:9]
	v_lshlrev_b32_e32 v2, 2, v2
	ds_bpermute_b32 v2, v2, v3
	s_waitcnt lgkmcnt(0)
	v_add_f32_e32 v2, v3, v2
	ds_bpermute_b32 v3, v9, v2
	s_waitcnt lgkmcnt(0)
	v_add_f32_e32 v2, v2, v3
	s_and_saveexec_b64 s[8:9], vcc
	s_cbranch_execz .LBB114_29
; %bb.28:
	ds_write_b32 v4, v2 offset:264
.LBB114_29:
	s_or_b64 exec, exec, s[8:9]
	s_waitcnt lgkmcnt(0)
	s_barrier
	s_and_saveexec_b64 s[8:9], s[0:1]
	s_cbranch_execz .LBB114_31
; %bb.30:
	ds_read_b32 v2, v7 offset:264
.LBB114_31:
	s_or_b64 exec, exec, s[8:9]
	s_waitcnt lgkmcnt(0)
	ds_bpermute_b32 v3, v9, v2
	s_waitcnt lgkmcnt(0)
	v_add_f32_e32 v2, v2, v3
	ds_bpermute_b32 v2, v13, v2
	s_and_saveexec_b64 s[0:1], s[2:3]
	s_cbranch_execz .LBB114_44
; %bb.32:
	s_waitcnt lgkmcnt(0)
	v_add_f32_e32 v2, 0x358637bd, v2
	v_div_scale_f32 v3, s[2:3], v2, v2, 1.0
	v_rcp_f32_e32 v4, v3
	v_div_scale_f32 v5, vcc, 1.0, v2, 1.0
	s_movk_i32 s2, 0x7f
	v_fma_f32 v7, -v3, v4, 1.0
	v_fmac_f32_e32 v4, v7, v4
	v_mul_f32_e32 v7, v5, v4
	v_fma_f32 v8, -v3, v7, v5
	v_fmac_f32_e32 v7, v8, v4
	v_fma_f32 v3, -v3, v7, v5
	v_div_fmas_f32 v3, v3, v4, v7
	v_xad_u32 v4, v0, -1, s15
	v_div_fixup_f32 v2, v3, v2, 1.0
	v_cmp_lt_u32_e32 vcc, s2, v4
	s_mov_b64 s[8:9], -1
	v_mov_b32_e32 v3, v0
	s_and_saveexec_b64 s[2:3], vcc
	s_cbranch_execz .LBB114_41
; %bb.33:
	v_lshrrev_b32_e32 v4, 7, v4
	v_add_u32_e32 v7, -1, v4
	v_lshrrev_b32_e32 v5, 1, v7
	v_mov_b32_e32 v3, v2
	v_add_u32_e32 v5, 1, v5
	v_cmp_lt_u32_e32 vcc, 13, v7
	v_mov_b32_e32 v9, 0
	s_and_saveexec_b64 s[8:9], vcc
	s_cbranch_execz .LBB114_37
; %bb.34:
	v_mov_b32_e32 v8, 0x110
	v_and_b32_e32 v7, -8, v5
	v_lshl_add_u32 v8, v0, 2, v8
	s_mov_b32 s34, 0
	s_mov_b64 s[30:31], 0
.LBB114_35:                             ; =>This Inner Loop Header: Depth=1
	ds_read2st64_b32 v[12:13], v8 offset1:2
	ds_read2st64_b32 v[14:15], v8 offset0:4 offset1:6
	ds_read2st64_b32 v[16:17], v8 offset0:8 offset1:10
	;; [unrolled: 1-line block ×3, first 2 shown]
	v_add_u32_e32 v7, -8, v7
	s_waitcnt lgkmcnt(3)
	v_pk_mul_f32 v[12:13], v[2:3], v[12:13]
	s_waitcnt lgkmcnt(2)
	v_pk_mul_f32 v[14:15], v[2:3], v[14:15]
	ds_write2st64_b32 v8, v12, v13 offset1:2
	ds_write2st64_b32 v8, v14, v15 offset0:4 offset1:6
	ds_read2st64_b32 v[14:15], v8 offset0:16 offset1:18
	s_waitcnt lgkmcnt(4)
	v_pk_mul_f32 v[12:13], v[2:3], v[16:17]
	ds_write2st64_b32 v8, v12, v13 offset0:8 offset1:10
	s_waitcnt lgkmcnt(4)
	v_pk_mul_f32 v[12:13], v[2:3], v[18:19]
	ds_write2st64_b32 v8, v12, v13 offset0:12 offset1:14
	ds_read2st64_b32 v[12:13], v8 offset0:20 offset1:22
	s_waitcnt lgkmcnt(3)
	v_pk_mul_f32 v[14:15], v[2:3], v[14:15]
	ds_read2st64_b32 v[16:17], v8 offset0:24 offset1:26
	ds_write2st64_b32 v8, v14, v15 offset0:16 offset1:18
	ds_read2st64_b32 v[14:15], v8 offset0:28 offset1:30
	s_waitcnt lgkmcnt(3)
	v_pk_mul_f32 v[12:13], v[2:3], v[12:13]
	ds_write2st64_b32 v8, v12, v13 offset0:20 offset1:22
	s_waitcnt lgkmcnt(3)
	v_pk_mul_f32 v[12:13], v[2:3], v[16:17]
	ds_write2st64_b32 v8, v12, v13 offset0:24 offset1:26
	s_waitcnt lgkmcnt(2)
	v_pk_mul_f32 v[12:13], v[2:3], v[14:15]
	s_add_i32 s34, s34, 16
	v_cmp_eq_u32_e32 vcc, 0, v7
	ds_write2st64_b32 v8, v12, v13 offset0:28 offset1:30
	v_add_u32_e32 v8, 0x2000, v8
	s_or_b64 s[30:31], vcc, s[30:31]
	v_mov_b32_e32 v9, s34
	s_andn2_b64 exec, exec, s[30:31]
	s_cbranch_execnz .LBB114_35
; %bb.36:
	s_or_b64 exec, exec, s[30:31]
.LBB114_37:
	s_or_b64 exec, exec, s[8:9]
	v_and_b32_e32 v5, 7, v5
	v_cmp_ne_u32_e32 vcc, 0, v5
	s_and_saveexec_b64 s[8:9], vcc
	s_cbranch_execz .LBB114_40
; %bb.38:
	v_lshlrev_b32_e32 v7, 9, v9
	v_lshlrev_b32_e32 v8, 2, v0
	s_movk_i32 s30, 0x110
	v_add3_u32 v7, v7, v8, s30
	s_mov_b64 s[30:31], 0
.LBB114_39:                             ; =>This Inner Loop Header: Depth=1
	ds_read2st64_b32 v[8:9], v7 offset1:2
	v_add_u32_e32 v5, -1, v5
	v_cmp_eq_u32_e32 vcc, 0, v5
	s_or_b64 s[30:31], vcc, s[30:31]
	s_waitcnt lgkmcnt(0)
	v_pk_mul_f32 v[8:9], v[2:3], v[8:9]
	ds_write2st64_b32 v7, v8, v9 offset1:2
	v_add_u32_e32 v7, 0x400, v7
	s_andn2_b64 exec, exec, s[30:31]
	s_cbranch_execnz .LBB114_39
.LBB114_40:
	s_or_b64 exec, exec, s[8:9]
	v_add_u32_e32 v4, 1, v4
	v_and_b32_e32 v5, 0x3fffffe, v4
	v_cmp_ne_u32_e32 vcc, v4, v5
	v_lshl_add_u32 v3, v5, 7, v0
	s_orn2_b64 s[8:9], vcc, exec
.LBB114_41:
	s_or_b64 exec, exec, s[2:3]
	s_and_b64 exec, exec, s[8:9]
	s_cbranch_execz .LBB114_44
; %bb.42:
	v_mov_b32_e32 v4, 0x110
	v_lshl_add_u32 v4, v3, 2, v4
	s_mov_b64 s[2:3], 0
.LBB114_43:                             ; =>This Inner Loop Header: Depth=1
	ds_read_b32 v5, v4
	v_add_u32_e32 v3, 0x80, v3
	v_cmp_le_i32_e32 vcc, s15, v3
	s_or_b64 s[2:3], vcc, s[2:3]
	s_waitcnt lgkmcnt(0)
	v_mul_f32_e32 v5, v2, v5
	ds_write_b32 v4, v5
	v_add_u32_e32 v4, 0x200, v4
	s_andn2_b64 exec, exec, s[2:3]
	s_cbranch_execnz .LBB114_43
.LBB114_44:
	s_or_b64 exec, exec, s[0:1]
	v_mov_b32_e32 v13, 0
	v_mov_b32_e32 v12, v13
	s_waitcnt lgkmcnt(0)
	s_barrier
	s_and_saveexec_b64 s[2:3], s[6:7]
	s_cbranch_execz .LBB114_150
; %bb.45:
	s_ashr_i32 s15, s14, 31
	s_sub_i32 s17, s12, s17
	s_lshl_b64 s[0:1], s[14:15], 1
	s_add_u32 s0, s28, s0
	s_addc_u32 s1, s29, s1
	s_abs_i32 s14, s18
	v_cvt_f32_u32_e32 v2, s14
	v_mov_b32_e32 v15, 0
	v_lshlrev_b32_e32 v14, 4, v20
	s_sub_i32 s6, 0, s14
	v_rcp_iflag_f32_e32 v2, v2
	s_add_i32 s18, s41, -1
	v_lshl_add_u64 v[16:17], s[0:1], 0, v[14:15]
	s_lshl_b64 s[0:1], s[26:27], 2
	v_mul_f32_e32 v2, 0x4f7ffffe, v2
	v_cvt_u32_f32_e32 v2, v2
	s_add_u32 s0, s24, s0
	v_and_b32_e32 v14, 60, v6
	s_addc_u32 s1, s25, s1
	v_mul_lo_u32 v3, s6, v2
	v_mul_hi_u32 v3, v2, v3
	v_add_u32_e32 v21, v2, v3
	v_mov_b32_e32 v2, 0x110
	s_mov_b32 s15, s13
	v_lshl_add_u64 v[18:19], s[0:1], 0, v[14:15]
	v_lshl_add_u32 v14, v1, 5, v2
	s_mov_b64 s[6:7], 0
	s_mov_b32 s24, 0x7f800000
	s_movk_i32 s25, 0x7fff
	v_mov_b32_e32 v22, 0
	v_mov_b32_e32 v13, 0
	s_branch .LBB114_48
.LBB114_46:                             ;   in Loop: Header=BB114_48 Depth=1
	s_or_b64 exec, exec, s[0:1]
	v_and_b32_e32 v30, 0xffff0000, v25
	v_and_b32_e32 v25, 0xffff0000, v26
	v_and_b32_e32 v27, 0xffff0000, v27
	v_and_b32_e32 v26, 0xffff0000, v7
	v_and_b32_e32 v3, 0xffff0000, v3
	v_and_b32_e32 v2, 0xffff0000, v2
	v_pk_add_f32 v[2:3], v[2:3], v[26:27]
	v_and_b32_e32 v29, 0xffff0000, v6
	v_and_b32_e32 v28, 0xffff0000, v28
	;; [unrolled: 1-line block ×4, first 2 shown]
	v_mov_b32_e32 v6, v3
	v_pk_add_f32 v[2:3], v[2:3], v[6:7]
	v_pk_add_f32 v[4:5], v[4:5], v[28:29]
	v_and_b32_e32 v33, 0xffff0000, v23
	v_pk_add_f32 v[2:3], v[2:3], v[4:5]
	v_mov_b32_e32 v4, v5
	v_and_b32_e32 v32, 0xffff0000, v9
	v_and_b32_e32 v9, 0xffff0000, v12
	;; [unrolled: 1-line block ×3, first 2 shown]
	v_pk_add_f32 v[2:3], v[2:3], v[4:5]
	v_and_b32_e32 v31, 0xffff0000, v34
	v_and_b32_e32 v24, 0xffff0000, v24
	v_pk_add_f32 v[8:9], v[8:9], v[32:33]
	v_mov_b32_e32 v3, v2
	v_pk_add_f32 v[24:25], v[24:25], v[30:31]
	v_pk_add_f32 v[12:13], v[12:13], v[2:3]
	v_add_f32_e32 v2, v8, v9
	v_add_f32_e32 v2, v2, v24
	;; [unrolled: 1-line block ×4, first 2 shown]
.LBB114_47:                             ;   in Loop: Header=BB114_48 Depth=1
	s_or_b64 exec, exec, s[8:9]
	v_add_u32_e32 v1, 2, v1
	v_cmp_le_i32_e32 vcc, s41, v1
	v_lshl_add_u64 v[18:19], v[18:19], 0, 8
	v_add_u32_e32 v11, 16, v11
	s_or_b64 s[6:7], vcc, s[6:7]
	v_add_u32_e32 v14, 64, v14
	s_andn2_b64 exec, exec, s[6:7]
	s_cbranch_execz .LBB114_149
.LBB114_48:                             ; =>This Inner Loop Header: Depth=1
	v_mul_hi_u32 v2, v11, s33
	v_mul_lo_u32 v3, v2, s21
	v_sub_u32_e32 v3, v11, v3
	v_add_u32_e32 v4, 1, v2
	v_cmp_le_u32_e32 vcc, s21, v3
	s_nop 1
	v_cndmask_b32_e32 v2, v2, v4, vcc
	v_subrev_u32_e32 v4, s21, v3
	v_cndmask_b32_e32 v3, v3, v4, vcc
	v_add_u32_e32 v4, 1, v2
	v_cmp_le_u32_e32 vcc, s21, v3
	s_nop 1
	v_cndmask_b32_e32 v2, v2, v4, vcc
	v_xor_b32_e32 v2, s19, v2
	v_subrev_u32_e32 v2, s19, v2
	v_add_u32_e32 v3, s40, v2
	v_sub_u32_e32 v5, 0, v3
	v_ashrrev_i32_e32 v4, 31, v3
	v_max_i32_e32 v3, v3, v5
	v_mul_hi_u32 v5, v3, v21
	v_mul_lo_u32 v5, v5, s14
	v_sub_u32_e32 v3, v3, v5
	v_subrev_u32_e32 v5, s14, v3
	v_cmp_le_u32_e32 vcc, s14, v3
	v_cmp_lt_i32_e64 s[0:1], s17, v2
	s_nop 0
	v_cndmask_b32_e32 v3, v3, v5, vcc
	v_subrev_u32_e32 v5, s14, v3
	v_cmp_le_u32_e32 vcc, s14, v3
	s_nop 1
	v_cndmask_b32_e32 v3, v3, v5, vcc
	v_xor_b32_e32 v3, v3, v4
	v_sub_u32_e32 v3, v3, v4
	v_cmp_eq_u32_e32 vcc, 0, v3
	s_or_b64 s[0:1], vcc, s[0:1]
	s_and_saveexec_b64 s[8:9], s[0:1]
	s_cbranch_execz .LBB114_47
; %bb.49:                               ;   in Loop: Header=BB114_48 Depth=1
	global_load_dword v27, v[18:19], off
	ds_read2_b64 v[6:9], v14 offset1:1
	ds_read2_b64 v[2:5], v14 offset0:2 offset1:3
                                        ; implicit-def: $vgpr35
	s_waitcnt lgkmcnt(1)
	v_and_b32_e32 v12, 0x7f800000, v6
	v_cmp_ne_u32_e32 vcc, s24, v12
	s_and_saveexec_b64 s[0:1], vcc
	s_xor_b64 s[0:1], exec, s[0:1]
; %bb.50:                               ;   in Loop: Header=BB114_48 Depth=1
	v_bfe_u32 v12, v6, 16, 1
	v_add3_u32 v35, v6, v12, s25
; %bb.51:                               ;   in Loop: Header=BB114_48 Depth=1
	s_andn2_saveexec_b64 s[0:1], s[0:1]
; %bb.52:                               ;   in Loop: Header=BB114_48 Depth=1
	v_or_b32_e32 v12, 0x10000, v6
	v_cmp_eq_u32_sdwa vcc, v6, v15 src0_sel:WORD_0 src1_sel:DWORD
	s_nop 1
	v_cndmask_b32_e32 v35, v12, v6, vcc
; %bb.53:                               ;   in Loop: Header=BB114_48 Depth=1
	s_or_b64 exec, exec, s[0:1]
	v_and_b32_e32 v6, 0x7f800000, v7
	v_cmp_ne_u32_e32 vcc, s24, v6
                                        ; implicit-def: $vgpr36
	s_and_saveexec_b64 s[0:1], vcc
	s_xor_b64 s[0:1], exec, s[0:1]
; %bb.54:                               ;   in Loop: Header=BB114_48 Depth=1
	v_bfe_u32 v6, v7, 16, 1
	v_add3_u32 v36, v7, v6, s25
; %bb.55:                               ;   in Loop: Header=BB114_48 Depth=1
	s_andn2_saveexec_b64 s[0:1], s[0:1]
; %bb.56:                               ;   in Loop: Header=BB114_48 Depth=1
	v_or_b32_e32 v6, 0x10000, v7
	v_cmp_eq_u32_sdwa vcc, v7, v15 src0_sel:WORD_0 src1_sel:DWORD
	s_nop 1
	v_cndmask_b32_e32 v36, v6, v7, vcc
; %bb.57:                               ;   in Loop: Header=BB114_48 Depth=1
	s_or_b64 exec, exec, s[0:1]
	v_and_b32_e32 v6, 0x7f800000, v8
	v_cmp_ne_u32_e32 vcc, s24, v6
                                        ; implicit-def: $vgpr12
	s_and_saveexec_b64 s[0:1], vcc
	s_xor_b64 s[0:1], exec, s[0:1]
; %bb.58:                               ;   in Loop: Header=BB114_48 Depth=1
	v_bfe_u32 v6, v8, 16, 1
	v_add3_u32 v12, v8, v6, s25
; %bb.59:                               ;   in Loop: Header=BB114_48 Depth=1
	s_andn2_saveexec_b64 s[0:1], s[0:1]
; %bb.60:                               ;   in Loop: Header=BB114_48 Depth=1
	v_or_b32_e32 v6, 0x10000, v8
	v_cmp_eq_u32_sdwa vcc, v8, v15 src0_sel:WORD_0 src1_sel:DWORD
	s_nop 1
	v_cndmask_b32_e32 v12, v6, v8, vcc
; %bb.61:                               ;   in Loop: Header=BB114_48 Depth=1
	s_or_b64 exec, exec, s[0:1]
	v_and_b32_e32 v6, 0x7f800000, v9
	v_cmp_ne_u32_e32 vcc, s24, v6
                                        ; implicit-def: $vgpr23
	s_and_saveexec_b64 s[0:1], vcc
	s_xor_b64 s[0:1], exec, s[0:1]
; %bb.62:                               ;   in Loop: Header=BB114_48 Depth=1
	v_bfe_u32 v6, v9, 16, 1
	v_add3_u32 v23, v9, v6, s25
                                        ; implicit-def: $vgpr6_vgpr7_vgpr8_vgpr9
; %bb.63:                               ;   in Loop: Header=BB114_48 Depth=1
	s_andn2_saveexec_b64 s[0:1], s[0:1]
; %bb.64:                               ;   in Loop: Header=BB114_48 Depth=1
	v_or_b32_e32 v6, 0x10000, v9
	v_cmp_eq_u32_sdwa vcc, v9, v15 src0_sel:WORD_0 src1_sel:DWORD
	s_nop 1
	v_cndmask_b32_e32 v23, v6, v9, vcc
; %bb.65:                               ;   in Loop: Header=BB114_48 Depth=1
	s_or_b64 exec, exec, s[0:1]
	s_waitcnt lgkmcnt(0)
	v_and_b32_e32 v6, 0x7f800000, v2
	v_cmp_ne_u32_e32 vcc, s24, v6
                                        ; implicit-def: $vgpr24
	s_and_saveexec_b64 s[0:1], vcc
	s_xor_b64 s[0:1], exec, s[0:1]
; %bb.66:                               ;   in Loop: Header=BB114_48 Depth=1
	v_bfe_u32 v6, v2, 16, 1
	v_add3_u32 v24, v2, v6, s25
; %bb.67:                               ;   in Loop: Header=BB114_48 Depth=1
	s_andn2_saveexec_b64 s[0:1], s[0:1]
; %bb.68:                               ;   in Loop: Header=BB114_48 Depth=1
	v_or_b32_e32 v6, 0x10000, v2
	v_cmp_eq_u32_sdwa vcc, v2, v15 src0_sel:WORD_0 src1_sel:DWORD
	s_nop 1
	v_cndmask_b32_e32 v24, v6, v2, vcc
; %bb.69:                               ;   in Loop: Header=BB114_48 Depth=1
	s_or_b64 exec, exec, s[0:1]
	v_and_b32_e32 v2, 0x7f800000, v3
	v_cmp_ne_u32_e32 vcc, s24, v2
                                        ; implicit-def: $vgpr25
	s_and_saveexec_b64 s[0:1], vcc
	s_xor_b64 s[0:1], exec, s[0:1]
; %bb.70:                               ;   in Loop: Header=BB114_48 Depth=1
	v_bfe_u32 v2, v3, 16, 1
	v_add3_u32 v25, v3, v2, s25
; %bb.71:                               ;   in Loop: Header=BB114_48 Depth=1
	s_andn2_saveexec_b64 s[0:1], s[0:1]
; %bb.72:                               ;   in Loop: Header=BB114_48 Depth=1
	v_or_b32_e32 v2, 0x10000, v3
	v_cmp_eq_u32_sdwa vcc, v3, v15 src0_sel:WORD_0 src1_sel:DWORD
	s_nop 1
	v_cndmask_b32_e32 v25, v2, v3, vcc
; %bb.73:                               ;   in Loop: Header=BB114_48 Depth=1
	s_or_b64 exec, exec, s[0:1]
	v_and_b32_e32 v2, 0x7f800000, v4
	v_cmp_ne_u32_e32 vcc, s24, v2
                                        ; implicit-def: $vgpr26
	s_and_saveexec_b64 s[0:1], vcc
	s_xor_b64 s[0:1], exec, s[0:1]
; %bb.74:                               ;   in Loop: Header=BB114_48 Depth=1
	v_bfe_u32 v2, v4, 16, 1
	v_add3_u32 v26, v4, v2, s25
; %bb.75:                               ;   in Loop: Header=BB114_48 Depth=1
	s_andn2_saveexec_b64 s[0:1], s[0:1]
; %bb.76:                               ;   in Loop: Header=BB114_48 Depth=1
	v_or_b32_e32 v2, 0x10000, v4
	v_cmp_eq_u32_sdwa vcc, v4, v15 src0_sel:WORD_0 src1_sel:DWORD
	s_nop 1
	v_cndmask_b32_e32 v26, v2, v4, vcc
; %bb.77:                               ;   in Loop: Header=BB114_48 Depth=1
	s_or_b64 exec, exec, s[0:1]
	v_and_b32_e32 v2, 0x7f800000, v5
	v_cmp_ne_u32_e32 vcc, s24, v2
                                        ; implicit-def: $vgpr34
	s_and_saveexec_b64 s[0:1], vcc
	s_xor_b64 s[0:1], exec, s[0:1]
; %bb.78:                               ;   in Loop: Header=BB114_48 Depth=1
	v_bfe_u32 v2, v5, 16, 1
	v_add3_u32 v34, v5, v2, s25
                                        ; implicit-def: $vgpr2_vgpr3_vgpr4_vgpr5
; %bb.79:                               ;   in Loop: Header=BB114_48 Depth=1
	s_andn2_saveexec_b64 s[0:1], s[0:1]
; %bb.80:                               ;   in Loop: Header=BB114_48 Depth=1
	v_or_b32_e32 v2, 0x10000, v5
	v_cmp_eq_u32_sdwa vcc, v5, v15 src0_sel:WORD_0 src1_sel:DWORD
	s_nop 1
	v_cndmask_b32_e32 v34, v2, v5, vcc
; %bb.81:                               ;   in Loop: Header=BB114_48 Depth=1
	s_or_b64 exec, exec, s[0:1]
	s_waitcnt vmcnt(0)
	v_mad_i64_i32 v[2:3], s[0:1], v27, s15, 0
	v_lshl_add_u64 v[6:7], v[2:3], 1, v[16:17]
	global_load_dwordx4 v[2:5], v[6:7], off
	v_cmp_eq_u32_e32 vcc, s18, v1
	v_add_u32_e32 v33, 1, v11
	v_add_u32_e32 v32, 2, v11
	;; [unrolled: 1-line block ×7, first 2 shown]
	s_waitcnt vmcnt(0)
	v_lshrrev_b32_e32 v9, 16, v2
	v_lshrrev_b32_e32 v39, 16, v3
	;; [unrolled: 1-line block ×4, first 2 shown]
	s_and_saveexec_b64 s[12:13], vcc
	s_cbranch_execz .LBB114_83
; %bb.82:                               ;   in Loop: Header=BB114_48 Depth=1
	v_cmp_gt_i32_e64 s[0:1], s11, v11
	s_nop 1
	v_cndmask_b32_e64 v2, 0, v2, s[0:1]
	v_cmp_gt_i32_e64 s[0:1], s11, v33
	s_nop 1
	v_cndmask_b32_e64 v9, 0, v9, s[0:1]
	v_cmp_gt_i32_e64 s[0:1], s11, v32
	s_nop 1
	v_cndmask_b32_e64 v3, 0, v3, s[0:1]
	v_cmp_gt_i32_e64 s[0:1], s11, v30
	s_nop 1
	v_cndmask_b32_e64 v39, 0, v39, s[0:1]
	v_cmp_gt_i32_e64 s[0:1], s11, v29
	s_nop 1
	v_cndmask_b32_e64 v4, 0, v4, s[0:1]
	v_cmp_gt_i32_e64 s[0:1], s11, v28
	s_nop 1
	v_cndmask_b32_e64 v41, 0, v41, s[0:1]
	v_cmp_gt_i32_e64 s[0:1], s11, v27
	s_nop 1
	v_cndmask_b32_e64 v5, 0, v5, s[0:1]
	v_cmp_gt_i32_e64 s[0:1], s11, v31
	s_nop 1
	v_cndmask_b32_e64 v43, 0, v43, s[0:1]
.LBB114_83:                             ;   in Loop: Header=BB114_48 Depth=1
	s_or_b64 exec, exec, s[12:13]
	v_and_b32_e32 v35, 0xffff0000, v35
	v_lshlrev_b32_e32 v2, 16, v2
	v_mul_f32_e32 v2, v35, v2
	v_and_b32_e32 v8, 0x7f800000, v2
	v_cmp_ne_u32_e64 s[0:1], s24, v8
                                        ; implicit-def: $vgpr8
	s_and_saveexec_b64 s[12:13], s[0:1]
	s_xor_b64 s[0:1], exec, s[12:13]
; %bb.84:                               ;   in Loop: Header=BB114_48 Depth=1
	v_bfe_u32 v8, v2, 16, 1
	v_add3_u32 v8, v2, v8, s25
                                        ; implicit-def: $vgpr2
; %bb.85:                               ;   in Loop: Header=BB114_48 Depth=1
	s_andn2_saveexec_b64 s[12:13], s[0:1]
; %bb.86:                               ;   in Loop: Header=BB114_48 Depth=1
	v_or_b32_e32 v8, 0x10000, v2
	v_cmp_eq_u32_sdwa s[0:1], v2, v15 src0_sel:WORD_0 src1_sel:DWORD
	s_nop 1
	v_cndmask_b32_e64 v8, v8, v2, s[0:1]
; %bb.87:                               ;   in Loop: Header=BB114_48 Depth=1
	s_or_b64 exec, exec, s[12:13]
	v_and_b32_e32 v36, 0xffff0000, v36
	v_lshlrev_b32_e32 v2, 16, v9
	v_mul_f32_e32 v2, v36, v2
	v_and_b32_e32 v9, 0x7f800000, v2
	v_cmp_ne_u32_e64 s[0:1], s24, v9
                                        ; implicit-def: $vgpr9
	s_and_saveexec_b64 s[12:13], s[0:1]
	s_xor_b64 s[0:1], exec, s[12:13]
; %bb.88:                               ;   in Loop: Header=BB114_48 Depth=1
	v_bfe_u32 v9, v2, 16, 1
	v_add3_u32 v9, v2, v9, s25
                                        ; implicit-def: $vgpr2
; %bb.89:                               ;   in Loop: Header=BB114_48 Depth=1
	s_andn2_saveexec_b64 s[12:13], s[0:1]
; %bb.90:                               ;   in Loop: Header=BB114_48 Depth=1
	v_or_b32_e32 v9, 0x10000, v2
	v_cmp_eq_u32_sdwa s[0:1], v2, v15 src0_sel:WORD_0 src1_sel:DWORD
	s_nop 1
	v_cndmask_b32_e64 v9, v9, v2, s[0:1]
; %bb.91:                               ;   in Loop: Header=BB114_48 Depth=1
	s_or_b64 exec, exec, s[12:13]
	v_and_b32_e32 v37, 0xffff0000, v12
	v_lshlrev_b32_e32 v2, 16, v3
	v_mul_f32_e32 v2, v37, v2
	v_and_b32_e32 v3, 0x7f800000, v2
	v_cmp_ne_u32_e64 s[0:1], s24, v3
                                        ; implicit-def: $vgpr12
	s_and_saveexec_b64 s[12:13], s[0:1]
	s_xor_b64 s[0:1], exec, s[12:13]
; %bb.92:                               ;   in Loop: Header=BB114_48 Depth=1
	v_bfe_u32 v3, v2, 16, 1
	v_add3_u32 v12, v2, v3, s25
                                        ; implicit-def: $vgpr2
; %bb.93:                               ;   in Loop: Header=BB114_48 Depth=1
	s_andn2_saveexec_b64 s[12:13], s[0:1]
; %bb.94:                               ;   in Loop: Header=BB114_48 Depth=1
	v_or_b32_e32 v3, 0x10000, v2
	v_cmp_eq_u32_sdwa s[0:1], v2, v15 src0_sel:WORD_0 src1_sel:DWORD
	s_nop 1
	v_cndmask_b32_e64 v12, v3, v2, s[0:1]
; %bb.95:                               ;   in Loop: Header=BB114_48 Depth=1
	s_or_b64 exec, exec, s[12:13]
	v_and_b32_e32 v38, 0xffff0000, v23
	v_lshlrev_b32_e32 v2, 16, v39
	v_mul_f32_e32 v2, v38, v2
	v_and_b32_e32 v3, 0x7f800000, v2
	v_cmp_ne_u32_e64 s[0:1], s24, v3
                                        ; implicit-def: $vgpr23
	s_and_saveexec_b64 s[12:13], s[0:1]
	s_xor_b64 s[0:1], exec, s[12:13]
; %bb.96:                               ;   in Loop: Header=BB114_48 Depth=1
	v_bfe_u32 v3, v2, 16, 1
	v_add3_u32 v23, v2, v3, s25
                                        ; implicit-def: $vgpr2
; %bb.97:                               ;   in Loop: Header=BB114_48 Depth=1
	s_andn2_saveexec_b64 s[12:13], s[0:1]
; %bb.98:                               ;   in Loop: Header=BB114_48 Depth=1
	v_or_b32_e32 v3, 0x10000, v2
	v_cmp_eq_u32_sdwa s[0:1], v2, v15 src0_sel:WORD_0 src1_sel:DWORD
	s_nop 1
	v_cndmask_b32_e64 v23, v3, v2, s[0:1]
; %bb.99:                               ;   in Loop: Header=BB114_48 Depth=1
	s_or_b64 exec, exec, s[12:13]
	v_and_b32_e32 v39, 0xffff0000, v24
	v_lshlrev_b32_e32 v2, 16, v4
	v_mul_f32_e32 v2, v39, v2
	v_and_b32_e32 v3, 0x7f800000, v2
	v_cmp_ne_u32_e64 s[0:1], s24, v3
                                        ; implicit-def: $vgpr24
	s_and_saveexec_b64 s[12:13], s[0:1]
	s_xor_b64 s[0:1], exec, s[12:13]
; %bb.100:                              ;   in Loop: Header=BB114_48 Depth=1
	v_bfe_u32 v3, v2, 16, 1
	v_add3_u32 v24, v2, v3, s25
                                        ; implicit-def: $vgpr2
; %bb.101:                              ;   in Loop: Header=BB114_48 Depth=1
	s_andn2_saveexec_b64 s[12:13], s[0:1]
; %bb.102:                              ;   in Loop: Header=BB114_48 Depth=1
	v_or_b32_e32 v3, 0x10000, v2
	v_cmp_eq_u32_sdwa s[0:1], v2, v15 src0_sel:WORD_0 src1_sel:DWORD
	s_nop 1
	v_cndmask_b32_e64 v24, v3, v2, s[0:1]
; %bb.103:                              ;   in Loop: Header=BB114_48 Depth=1
	s_or_b64 exec, exec, s[12:13]
	v_and_b32_e32 v40, 0xffff0000, v25
	v_lshlrev_b32_e32 v2, 16, v41
	v_mul_f32_e32 v2, v40, v2
	v_and_b32_e32 v3, 0x7f800000, v2
	v_cmp_ne_u32_e64 s[0:1], s24, v3
                                        ; implicit-def: $vgpr25
	s_and_saveexec_b64 s[12:13], s[0:1]
	s_xor_b64 s[0:1], exec, s[12:13]
; %bb.104:                              ;   in Loop: Header=BB114_48 Depth=1
	v_bfe_u32 v3, v2, 16, 1
	v_add3_u32 v25, v2, v3, s25
                                        ; implicit-def: $vgpr2
; %bb.105:                              ;   in Loop: Header=BB114_48 Depth=1
	s_andn2_saveexec_b64 s[12:13], s[0:1]
; %bb.106:                              ;   in Loop: Header=BB114_48 Depth=1
	v_or_b32_e32 v3, 0x10000, v2
	v_cmp_eq_u32_sdwa s[0:1], v2, v15 src0_sel:WORD_0 src1_sel:DWORD
	s_nop 1
	v_cndmask_b32_e64 v25, v3, v2, s[0:1]
; %bb.107:                              ;   in Loop: Header=BB114_48 Depth=1
	s_or_b64 exec, exec, s[12:13]
	v_and_b32_e32 v41, 0xffff0000, v26
	v_lshlrev_b32_e32 v2, 16, v5
	v_mul_f32_e32 v2, v41, v2
	v_and_b32_e32 v3, 0x7f800000, v2
	v_cmp_ne_u32_e64 s[0:1], s24, v3
                                        ; implicit-def: $vgpr26
	s_and_saveexec_b64 s[12:13], s[0:1]
	s_xor_b64 s[0:1], exec, s[12:13]
; %bb.108:                              ;   in Loop: Header=BB114_48 Depth=1
	v_bfe_u32 v3, v2, 16, 1
	v_add3_u32 v26, v2, v3, s25
                                        ; implicit-def: $vgpr2
; %bb.109:                              ;   in Loop: Header=BB114_48 Depth=1
	s_andn2_saveexec_b64 s[12:13], s[0:1]
; %bb.110:                              ;   in Loop: Header=BB114_48 Depth=1
	v_or_b32_e32 v3, 0x10000, v2
	v_cmp_eq_u32_sdwa s[0:1], v2, v15 src0_sel:WORD_0 src1_sel:DWORD
	s_nop 1
	v_cndmask_b32_e64 v26, v3, v2, s[0:1]
; %bb.111:                              ;   in Loop: Header=BB114_48 Depth=1
	s_or_b64 exec, exec, s[12:13]
	v_and_b32_e32 v42, 0xffff0000, v34
	v_lshlrev_b32_e32 v2, 16, v43
	v_mul_f32_e32 v2, v42, v2
	v_and_b32_e32 v3, 0x7f800000, v2
	v_cmp_ne_u32_e64 s[0:1], s24, v3
                                        ; implicit-def: $vgpr34
	s_and_saveexec_b64 s[12:13], s[0:1]
	s_xor_b64 s[0:1], exec, s[12:13]
; %bb.112:                              ;   in Loop: Header=BB114_48 Depth=1
	v_bfe_u32 v3, v2, 16, 1
	v_add3_u32 v34, v2, v3, s25
                                        ; implicit-def: $vgpr2
; %bb.113:                              ;   in Loop: Header=BB114_48 Depth=1
	s_andn2_saveexec_b64 s[12:13], s[0:1]
; %bb.114:                              ;   in Loop: Header=BB114_48 Depth=1
	v_or_b32_e32 v3, 0x10000, v2
	v_cmp_eq_u32_sdwa s[0:1], v2, v15 src0_sel:WORD_0 src1_sel:DWORD
	s_nop 1
	v_cndmask_b32_e64 v34, v3, v2, s[0:1]
; %bb.115:                              ;   in Loop: Header=BB114_48 Depth=1
	s_or_b64 exec, exec, s[12:13]
	global_load_dwordx4 v[2:5], v[6:7], off offset:1024
	s_waitcnt vmcnt(0)
	v_lshrrev_b32_e32 v7, 16, v2
	v_lshrrev_b32_e32 v44, 16, v3
	;; [unrolled: 1-line block ×4, first 2 shown]
	s_and_saveexec_b64 s[0:1], vcc
	s_cbranch_execz .LBB114_117
; %bb.116:                              ;   in Loop: Header=BB114_48 Depth=1
	v_cmp_gt_i32_e32 vcc, s11, v11
	s_nop 1
	v_cndmask_b32_e32 v2, 0, v2, vcc
	v_cmp_gt_i32_e32 vcc, s11, v33
	s_nop 1
	v_cndmask_b32_e32 v7, 0, v7, vcc
	;; [unrolled: 3-line block ×8, first 2 shown]
.LBB114_117:                            ;   in Loop: Header=BB114_48 Depth=1
	s_or_b64 exec, exec, s[0:1]
	v_lshlrev_b32_e32 v2, 16, v2
	v_mul_f32_e32 v27, v35, v2
	v_and_b32_e32 v2, 0x7f800000, v27
	v_cmp_ne_u32_e32 vcc, s24, v2
                                        ; implicit-def: $vgpr2
	s_and_saveexec_b64 s[0:1], vcc
	s_xor_b64 s[0:1], exec, s[0:1]
; %bb.118:                              ;   in Loop: Header=BB114_48 Depth=1
	v_bfe_u32 v2, v27, 16, 1
	v_add3_u32 v2, v27, v2, s25
                                        ; implicit-def: $vgpr27
; %bb.119:                              ;   in Loop: Header=BB114_48 Depth=1
	s_andn2_saveexec_b64 s[0:1], s[0:1]
; %bb.120:                              ;   in Loop: Header=BB114_48 Depth=1
	v_or_b32_e32 v2, 0x10000, v27
	v_cmp_eq_u32_sdwa vcc, v27, v15 src0_sel:WORD_0 src1_sel:DWORD
	s_nop 1
	v_cndmask_b32_e32 v2, v2, v27, vcc
; %bb.121:                              ;   in Loop: Header=BB114_48 Depth=1
	s_or_b64 exec, exec, s[0:1]
	v_lshlrev_b32_e32 v7, 16, v7
	v_mul_f32_e32 v27, v36, v7
	v_and_b32_e32 v7, 0x7f800000, v27
	v_cmp_ne_u32_e32 vcc, s24, v7
                                        ; implicit-def: $vgpr7
	s_and_saveexec_b64 s[0:1], vcc
	s_xor_b64 s[0:1], exec, s[0:1]
; %bb.122:                              ;   in Loop: Header=BB114_48 Depth=1
	v_bfe_u32 v7, v27, 16, 1
	v_add3_u32 v7, v27, v7, s25
                                        ; implicit-def: $vgpr27
; %bb.123:                              ;   in Loop: Header=BB114_48 Depth=1
	s_andn2_saveexec_b64 s[0:1], s[0:1]
; %bb.124:                              ;   in Loop: Header=BB114_48 Depth=1
	v_or_b32_e32 v7, 0x10000, v27
	v_cmp_eq_u32_sdwa vcc, v27, v15 src0_sel:WORD_0 src1_sel:DWORD
	s_nop 1
	v_cndmask_b32_e32 v7, v7, v27, vcc
; %bb.125:                              ;   in Loop: Header=BB114_48 Depth=1
	s_or_b64 exec, exec, s[0:1]
	v_lshlrev_b32_e32 v3, 16, v3
	v_mul_f32_e32 v27, v37, v3
	v_and_b32_e32 v3, 0x7f800000, v27
	v_cmp_ne_u32_e32 vcc, s24, v3
                                        ; implicit-def: $vgpr3
	s_and_saveexec_b64 s[0:1], vcc
	s_xor_b64 s[0:1], exec, s[0:1]
; %bb.126:                              ;   in Loop: Header=BB114_48 Depth=1
	v_bfe_u32 v3, v27, 16, 1
	v_add3_u32 v3, v27, v3, s25
                                        ; implicit-def: $vgpr27
; %bb.127:                              ;   in Loop: Header=BB114_48 Depth=1
	s_andn2_saveexec_b64 s[0:1], s[0:1]
; %bb.128:                              ;   in Loop: Header=BB114_48 Depth=1
	v_or_b32_e32 v3, 0x10000, v27
	v_cmp_eq_u32_sdwa vcc, v27, v15 src0_sel:WORD_0 src1_sel:DWORD
	s_nop 1
	v_cndmask_b32_e32 v3, v3, v27, vcc
; %bb.129:                              ;   in Loop: Header=BB114_48 Depth=1
	s_or_b64 exec, exec, s[0:1]
	v_lshlrev_b32_e32 v27, 16, v44
	v_mul_f32_e32 v28, v38, v27
	v_and_b32_e32 v27, 0x7f800000, v28
	v_cmp_ne_u32_e32 vcc, s24, v27
                                        ; implicit-def: $vgpr27
	s_and_saveexec_b64 s[0:1], vcc
	s_xor_b64 s[0:1], exec, s[0:1]
; %bb.130:                              ;   in Loop: Header=BB114_48 Depth=1
	v_bfe_u32 v27, v28, 16, 1
	v_add3_u32 v27, v28, v27, s25
                                        ; implicit-def: $vgpr28
; %bb.131:                              ;   in Loop: Header=BB114_48 Depth=1
	s_andn2_saveexec_b64 s[0:1], s[0:1]
; %bb.132:                              ;   in Loop: Header=BB114_48 Depth=1
	v_or_b32_e32 v27, 0x10000, v28
	v_cmp_eq_u32_sdwa vcc, v28, v15 src0_sel:WORD_0 src1_sel:DWORD
	s_nop 1
	v_cndmask_b32_e32 v27, v27, v28, vcc
; %bb.133:                              ;   in Loop: Header=BB114_48 Depth=1
	s_or_b64 exec, exec, s[0:1]
	v_lshlrev_b32_e32 v4, 16, v4
	v_mul_f32_e32 v28, v39, v4
	v_and_b32_e32 v4, 0x7f800000, v28
	v_cmp_ne_u32_e32 vcc, s24, v4
                                        ; implicit-def: $vgpr4
	s_and_saveexec_b64 s[0:1], vcc
	s_xor_b64 s[0:1], exec, s[0:1]
; %bb.134:                              ;   in Loop: Header=BB114_48 Depth=1
	v_bfe_u32 v4, v28, 16, 1
	v_add3_u32 v4, v28, v4, s25
                                        ; implicit-def: $vgpr28
; %bb.135:                              ;   in Loop: Header=BB114_48 Depth=1
	s_andn2_saveexec_b64 s[0:1], s[0:1]
; %bb.136:                              ;   in Loop: Header=BB114_48 Depth=1
	v_or_b32_e32 v4, 0x10000, v28
	v_cmp_eq_u32_sdwa vcc, v28, v15 src0_sel:WORD_0 src1_sel:DWORD
	s_nop 1
	v_cndmask_b32_e32 v4, v4, v28, vcc
; %bb.137:                              ;   in Loop: Header=BB114_48 Depth=1
	s_or_b64 exec, exec, s[0:1]
	v_lshlrev_b32_e32 v28, 16, v43
	v_mul_f32_e32 v29, v40, v28
	v_and_b32_e32 v28, 0x7f800000, v29
	v_cmp_ne_u32_e32 vcc, s24, v28
                                        ; implicit-def: $vgpr28
	s_and_saveexec_b64 s[0:1], vcc
	s_xor_b64 s[0:1], exec, s[0:1]
; %bb.138:                              ;   in Loop: Header=BB114_48 Depth=1
	v_bfe_u32 v28, v29, 16, 1
	v_add3_u32 v28, v29, v28, s25
                                        ; implicit-def: $vgpr29
; %bb.139:                              ;   in Loop: Header=BB114_48 Depth=1
	s_andn2_saveexec_b64 s[0:1], s[0:1]
; %bb.140:                              ;   in Loop: Header=BB114_48 Depth=1
	v_or_b32_e32 v28, 0x10000, v29
	v_cmp_eq_u32_sdwa vcc, v29, v15 src0_sel:WORD_0 src1_sel:DWORD
	s_nop 1
	v_cndmask_b32_e32 v28, v28, v29, vcc
; %bb.141:                              ;   in Loop: Header=BB114_48 Depth=1
	s_or_b64 exec, exec, s[0:1]
	v_lshlrev_b32_e32 v5, 16, v5
	v_mul_f32_e32 v29, v41, v5
	v_and_b32_e32 v5, 0x7f800000, v29
	v_cmp_ne_u32_e32 vcc, s24, v5
                                        ; implicit-def: $vgpr5
	s_and_saveexec_b64 s[0:1], vcc
	s_xor_b64 s[0:1], exec, s[0:1]
; %bb.142:                              ;   in Loop: Header=BB114_48 Depth=1
	v_bfe_u32 v5, v29, 16, 1
	v_add3_u32 v5, v29, v5, s25
                                        ; implicit-def: $vgpr29
; %bb.143:                              ;   in Loop: Header=BB114_48 Depth=1
	s_andn2_saveexec_b64 s[0:1], s[0:1]
; %bb.144:                              ;   in Loop: Header=BB114_48 Depth=1
	v_or_b32_e32 v5, 0x10000, v29
	v_cmp_eq_u32_sdwa vcc, v29, v15 src0_sel:WORD_0 src1_sel:DWORD
	s_nop 1
	v_cndmask_b32_e32 v5, v5, v29, vcc
; %bb.145:                              ;   in Loop: Header=BB114_48 Depth=1
	s_or_b64 exec, exec, s[0:1]
	v_lshlrev_b32_e32 v6, 16, v6
	v_mul_f32_e32 v29, v42, v6
	v_and_b32_e32 v6, 0x7f800000, v29
	v_cmp_ne_u32_e32 vcc, s24, v6
                                        ; implicit-def: $vgpr6
	s_and_saveexec_b64 s[0:1], vcc
	s_xor_b64 s[0:1], exec, s[0:1]
; %bb.146:                              ;   in Loop: Header=BB114_48 Depth=1
	v_bfe_u32 v6, v29, 16, 1
	v_add3_u32 v6, v29, v6, s25
                                        ; implicit-def: $vgpr29
; %bb.147:                              ;   in Loop: Header=BB114_48 Depth=1
	s_andn2_saveexec_b64 s[0:1], s[0:1]
	s_cbranch_execz .LBB114_46
; %bb.148:                              ;   in Loop: Header=BB114_48 Depth=1
	v_or_b32_e32 v6, 0x10000, v29
	v_cmp_eq_u32_sdwa vcc, v29, v15 src0_sel:WORD_0 src1_sel:DWORD
	s_nop 1
	v_cndmask_b32_e32 v6, v6, v29, vcc
	s_branch .LBB114_46
.LBB114_149:
	s_or_b64 exec, exec, s[6:7]
	v_mov_b32_e32 v12, v22
.LBB114_150:
	s_or_b64 exec, exec, s[2:3]
	v_and_b32_e32 v1, 0x3c0, v0
	v_cmp_eq_u32_e32 vcc, 64, v1
	s_barrier
	s_and_saveexec_b64 s[0:1], vcc
	s_cbranch_execz .LBB114_152
; %bb.151:
	v_mov_b32_e32 v1, 0x110
	v_lshl_add_u32 v2, v0, 2, v1
	v_lshl_add_u32 v1, v20, 2, v1
	ds_write_b32 v1, v12
	ds_write_b32 v2, v13
.LBB114_152:
	s_or_b64 exec, exec, s[0:1]
	v_cmp_gt_u32_e32 vcc, 64, v0
	s_waitcnt lgkmcnt(0)
	s_barrier
	s_and_saveexec_b64 s[0:1], vcc
	s_cbranch_execz .LBB114_154
; %bb.153:
	v_mov_b32_e32 v1, 0x110
	v_lshl_add_u32 v0, v0, 2, v1
	ds_read2st64_b32 v[0:1], v0 offset1:1
	s_waitcnt lgkmcnt(0)
	v_pk_add_f32 v[12:13], v[12:13], v[0:1]
.LBB114_154:
	s_or_b64 exec, exec, s[0:1]
	s_barrier
	s_and_saveexec_b64 s[0:1], vcc
	s_cbranch_execz .LBB114_164
; %bb.155:
	s_mov_b32 s0, 0x7f800000
	v_and_b32_e32 v0, 0x7f800000, v12
	v_cmp_ne_u32_e32 vcc, s0, v0
                                        ; implicit-def: $vgpr0
	s_and_saveexec_b64 s[0:1], vcc
	s_xor_b64 s[0:1], exec, s[0:1]
; %bb.156:
	v_bfe_u32 v0, v12, 16, 1
	s_movk_i32 s2, 0x7fff
	v_add3_u32 v0, v12, v0, s2
; %bb.157:
	s_andn2_saveexec_b64 s[0:1], s[0:1]
; %bb.158:
	v_mov_b32_e32 v0, 0
	v_or_b32_e32 v1, 0x10000, v12
	v_cmp_eq_u32_sdwa vcc, v12, v0 src0_sel:WORD_0 src1_sel:DWORD
	s_nop 1
	v_cndmask_b32_e32 v0, v1, v12, vcc
; %bb.159:
	s_or_b64 exec, exec, s[0:1]
	s_mul_i32 s0, s10, s16
	s_mul_i32 s0, s0, s5
	s_lshl_b32 s0, s0, 7
	s_ashr_i32 s1, s0, 31
	s_lshl_b64 s[0:1], s[0:1], 1
	s_add_u32 s2, s22, s0
	s_mul_i32 s0, s16, s20
	s_addc_u32 s3, s23, s1
	s_ashr_i32 s1, s0, 31
	s_lshl_b64 s[0:1], s[0:1], 1
	s_add_u32 s2, s2, s0
	s_addc_u32 s3, s3, s1
	s_lshl_b32 s0, s4, 7
	s_ashr_i32 s1, s0, 31
	s_lshl_b64 s[0:1], s[0:1], 1
	s_add_u32 s0, s2, s0
	s_addc_u32 s1, s3, s1
	global_store_short_d16_hi v10, v0, s[0:1]
	s_mov_b32 s2, 0x7f800000
	v_and_b32_e32 v0, 0x7f800000, v13
	v_mov_b32_e32 v11, 0
	v_cmp_ne_u32_e32 vcc, s2, v0
                                        ; implicit-def: $vgpr2
	s_and_saveexec_b64 s[2:3], vcc
	s_xor_b64 s[2:3], exec, s[2:3]
; %bb.160:
	v_bfe_u32 v0, v13, 16, 1
	s_movk_i32 s4, 0x7fff
	v_add3_u32 v2, v13, v0, s4
                                        ; implicit-def: $vgpr12_vgpr13
; %bb.161:
	s_or_saveexec_b64 s[2:3], s[2:3]
	v_lshl_add_u64 v[0:1], s[0:1], 0, v[10:11]
	s_xor_b64 exec, exec, s[2:3]
; %bb.162:
	v_mov_b32_e32 v2, 0
	v_or_b32_e32 v3, 0x10000, v13
	v_cmp_eq_u32_sdwa vcc, v13, v2 src0_sel:WORD_0 src1_sel:DWORD
	s_nop 1
	v_cndmask_b32_e32 v2, v3, v13, vcc
; %bb.163:
	s_or_b64 exec, exec, s[2:3]
	global_store_short_d16_hi v[0:1], v2, off offset:128
.LBB114_164:
	s_endpgm
	.section	.rodata,"a",@progbits
	.p2align	6, 0x0
	.amdhsa_kernel _ZN4vllm25paged_attention_v1_kernelI14__hip_bfloat16S1_Li128ELi8ELi128ELNS_18Fp8KVCacheDataTypeE0ELb1EEEvPT_PKS3_PKT0_S9_ifPKiSB_iPKfiiiSD_SD_iiiii
		.amdhsa_group_segment_fixed_size 272
		.amdhsa_private_segment_fixed_size 0
		.amdhsa_kernarg_size 384
		.amdhsa_user_sgpr_count 2
		.amdhsa_user_sgpr_dispatch_ptr 0
		.amdhsa_user_sgpr_queue_ptr 0
		.amdhsa_user_sgpr_kernarg_segment_ptr 1
		.amdhsa_user_sgpr_dispatch_id 0
		.amdhsa_user_sgpr_kernarg_preload_length 0
		.amdhsa_user_sgpr_kernarg_preload_offset 0
		.amdhsa_user_sgpr_private_segment_size 0
		.amdhsa_uses_dynamic_stack 0
		.amdhsa_enable_private_segment 0
		.amdhsa_system_sgpr_workgroup_id_x 1
		.amdhsa_system_sgpr_workgroup_id_y 1
		.amdhsa_system_sgpr_workgroup_id_z 1
		.amdhsa_system_sgpr_workgroup_info 0
		.amdhsa_system_vgpr_workitem_id 0
		.amdhsa_next_free_vgpr 57
		.amdhsa_next_free_sgpr 44
		.amdhsa_accum_offset 60
		.amdhsa_reserve_vcc 1
		.amdhsa_float_round_mode_32 0
		.amdhsa_float_round_mode_16_64 0
		.amdhsa_float_denorm_mode_32 3
		.amdhsa_float_denorm_mode_16_64 3
		.amdhsa_dx10_clamp 1
		.amdhsa_ieee_mode 1
		.amdhsa_fp16_overflow 0
		.amdhsa_tg_split 0
		.amdhsa_exception_fp_ieee_invalid_op 0
		.amdhsa_exception_fp_denorm_src 0
		.amdhsa_exception_fp_ieee_div_zero 0
		.amdhsa_exception_fp_ieee_overflow 0
		.amdhsa_exception_fp_ieee_underflow 0
		.amdhsa_exception_fp_ieee_inexact 0
		.amdhsa_exception_int_div_zero 0
	.end_amdhsa_kernel
	.section	.text._ZN4vllm25paged_attention_v1_kernelI14__hip_bfloat16S1_Li128ELi8ELi128ELNS_18Fp8KVCacheDataTypeE0ELb1EEEvPT_PKS3_PKT0_S9_ifPKiSB_iPKfiiiSD_SD_iiiii,"axG",@progbits,_ZN4vllm25paged_attention_v1_kernelI14__hip_bfloat16S1_Li128ELi8ELi128ELNS_18Fp8KVCacheDataTypeE0ELb1EEEvPT_PKS3_PKT0_S9_ifPKiSB_iPKfiiiSD_SD_iiiii,comdat
.Lfunc_end114:
	.size	_ZN4vllm25paged_attention_v1_kernelI14__hip_bfloat16S1_Li128ELi8ELi128ELNS_18Fp8KVCacheDataTypeE0ELb1EEEvPT_PKS3_PKT0_S9_ifPKiSB_iPKfiiiSD_SD_iiiii, .Lfunc_end114-_ZN4vllm25paged_attention_v1_kernelI14__hip_bfloat16S1_Li128ELi8ELi128ELNS_18Fp8KVCacheDataTypeE0ELb1EEEvPT_PKS3_PKT0_S9_ifPKiSB_iPKfiiiSD_SD_iiiii
                                        ; -- End function
	.section	.AMDGPU.csdata,"",@progbits
; Kernel info:
; codeLenInByte = 6660
; NumSgprs: 50
; NumVgprs: 57
; NumAgprs: 0
; TotalNumVgprs: 57
; ScratchSize: 0
; MemoryBound: 0
; FloatMode: 240
; IeeeMode: 1
; LDSByteSize: 272 bytes/workgroup (compile time only)
; SGPRBlocks: 6
; VGPRBlocks: 7
; NumSGPRsForWavesPerEU: 50
; NumVGPRsForWavesPerEU: 57
; AccumOffset: 60
; Occupancy: 8
; WaveLimiterHint : 1
; COMPUTE_PGM_RSRC2:SCRATCH_EN: 0
; COMPUTE_PGM_RSRC2:USER_SGPR: 2
; COMPUTE_PGM_RSRC2:TRAP_HANDLER: 0
; COMPUTE_PGM_RSRC2:TGID_X_EN: 1
; COMPUTE_PGM_RSRC2:TGID_Y_EN: 1
; COMPUTE_PGM_RSRC2:TGID_Z_EN: 1
; COMPUTE_PGM_RSRC2:TIDIG_COMP_CNT: 0
; COMPUTE_PGM_RSRC3_GFX90A:ACCUM_OFFSET: 14
; COMPUTE_PGM_RSRC3_GFX90A:TG_SPLIT: 0
	.section	.text._ZN4vllm25paged_attention_v1_kernelI14__hip_bfloat16S1_Li192ELi8ELi128ELNS_18Fp8KVCacheDataTypeE0ELb1EEEvPT_PKS3_PKT0_S9_ifPKiSB_iPKfiiiSD_SD_iiiii,"axG",@progbits,_ZN4vllm25paged_attention_v1_kernelI14__hip_bfloat16S1_Li192ELi8ELi128ELNS_18Fp8KVCacheDataTypeE0ELb1EEEvPT_PKS3_PKT0_S9_ifPKiSB_iPKfiiiSD_SD_iiiii,comdat
	.protected	_ZN4vllm25paged_attention_v1_kernelI14__hip_bfloat16S1_Li192ELi8ELi128ELNS_18Fp8KVCacheDataTypeE0ELb1EEEvPT_PKS3_PKT0_S9_ifPKiSB_iPKfiiiSD_SD_iiiii ; -- Begin function _ZN4vllm25paged_attention_v1_kernelI14__hip_bfloat16S1_Li192ELi8ELi128ELNS_18Fp8KVCacheDataTypeE0ELb1EEEvPT_PKS3_PKT0_S9_ifPKiSB_iPKfiiiSD_SD_iiiii
	.globl	_ZN4vllm25paged_attention_v1_kernelI14__hip_bfloat16S1_Li192ELi8ELi128ELNS_18Fp8KVCacheDataTypeE0ELb1EEEvPT_PKS3_PKT0_S9_ifPKiSB_iPKfiiiSD_SD_iiiii
	.p2align	8
	.type	_ZN4vllm25paged_attention_v1_kernelI14__hip_bfloat16S1_Li192ELi8ELi128ELNS_18Fp8KVCacheDataTypeE0ELb1EEEvPT_PKS3_PKT0_S9_ifPKiSB_iPKfiiiSD_SD_iiiii,@function
_ZN4vllm25paged_attention_v1_kernelI14__hip_bfloat16S1_Li192ELi8ELi128ELNS_18Fp8KVCacheDataTypeE0ELb1EEEvPT_PKS3_PKT0_S9_ifPKiSB_iPKfiiiSD_SD_iiiii: ; @_ZN4vllm25paged_attention_v1_kernelI14__hip_bfloat16S1_Li192ELi8ELi128ELNS_18Fp8KVCacheDataTypeE0ELb1EEEvPT_PKS3_PKT0_S9_ifPKiSB_iPKfiiiSD_SD_iiiii
; %bb.0:
	s_load_dword s5, s[0:1], 0x80
	s_load_dwordx2 s[6:7], s[0:1], 0x30
	s_load_dwordx2 s[30:31], s[0:1], 0x20
	s_mov_b32 s20, s3
	s_ashr_i32 s21, s3, 31
	s_lshl_b64 s[8:9], s[20:21], 2
	s_waitcnt lgkmcnt(0)
	s_add_u32 s6, s6, s8
	s_addc_u32 s7, s7, s9
	s_abs_i32 s3, s30
	v_cvt_f32_u32_e32 v1, s3
	s_sub_i32 s10, 0, s3
	s_abs_i32 s9, s5
	s_xor_b32 s8, s5, s30
	v_rcp_iflag_f32_e32 v1, v1
	s_ashr_i32 s8, s8, 31
	s_mov_b32 s42, 0
	v_mul_f32_e32 v1, 0x4f7ffffe, v1
	v_cvt_u32_f32_e32 v1, v1
	s_nop 0
	v_readfirstlane_b32 s11, v1
	s_mul_i32 s10, s10, s11
	s_mul_hi_u32 s10, s11, s10
	s_add_i32 s11, s11, s10
	s_mul_hi_u32 s10, s9, s11
	s_mul_i32 s11, s10, s3
	s_sub_i32 s9, s9, s11
	s_add_i32 s11, s10, 1
	s_sub_i32 s12, s9, s3
	s_cmp_ge_u32 s9, s3
	s_cselect_b32 s10, s11, s10
	s_cselect_b32 s9, s12, s9
	s_add_i32 s11, s10, 1
	s_cmp_ge_u32 s9, s3
	s_cselect_b32 s3, s11, s10
	s_xor_b32 s3, s3, s8
	s_sub_i32 s34, s3, s8
	s_abs_i32 s28, s34
	v_cvt_f32_u32_e32 v1, s28
	s_load_dwordx2 s[8:9], s[0:1], 0x40
	s_sub_i32 s3, 0, s28
	s_abs_i32 s29, s2
	v_rcp_iflag_f32_e32 v1, v1
	s_nop 0
	v_mul_f32_e32 v1, 0x4f7ffffe, v1
	v_cvt_u32_f32_e32 v1, v1
	s_nop 0
	v_readfirstlane_b32 s12, v1
	s_mul_i32 s3, s3, s12
	s_mul_hi_u32 s3, s12, s3
	s_add_i32 s12, s12, s3
	s_waitcnt lgkmcnt(0)
	s_cmp_eq_u64 s[8:9], 0
	s_cbranch_scc1 .LBB115_2
; %bb.1:
	s_ashr_i32 s3, s2, 31
	s_lshl_b64 s[10:11], s[2:3], 2
	s_add_u32 s8, s8, s10
	s_addc_u32 s9, s9, s11
	s_load_dword s42, s[8:9], 0x0
.LBB115_2:
	s_load_dwordx2 s[22:23], s[0:1], 0x0
	s_nop 0
	s_load_dwordx4 s[8:11], s[0:1], 0x10
	s_mul_hi_u32 s3, s29, s12
	s_load_dword s21, s[0:1], 0x88
	s_load_dword s33, s[6:7], 0x0
	s_load_dwordx2 s[26:27], s[0:1], 0x28
	s_load_dwordx4 s[12:15], s[0:1], 0x48
	v_and_b32_e32 v9, 7, v0
	s_movk_i32 s6, 0xc0
	s_mul_i32 s24, s2, 0xc0
	s_ashr_i32 s25, s24, 31
	v_cmp_gt_u32_e32 vcc, s6, v0
	v_lshlrev_b32_e32 v2, 1, v9
	s_and_saveexec_b64 s[6:7], vcc
	s_cbranch_execz .LBB115_5
; %bb.3:
	s_load_dwordx2 s[16:17], s[0:1], 0x8
	s_waitcnt lgkmcnt(0)
	s_mul_i32 s18, s20, s12
	s_ashr_i32 s19, s18, 31
	s_lshl_b64 s[18:19], s[18:19], 1
	s_lshl_b64 s[36:37], s[24:25], 1
	s_add_u32 s12, s18, s36
	s_addc_u32 s15, s19, s37
	v_lshrrev_b32_e32 v4, 3, v0
	s_add_u32 s16, s16, s12
	v_add_u32_e32 v1, -16, v4
	v_lshlrev_b32_e32 v3, 1, v4
	v_lshl_or_b32 v4, v4, 4, v2
	v_mov_b32_e32 v5, 0
	s_addc_u32 s17, s17, s15
	v_mad_u32_u24 v3, v9, 48, v3
	v_lshl_add_u64 v[4:5], s[16:17], 0, v[4:5]
	s_mov_b64 s[16:17], 0
	s_mov_b64 s[18:19], 0x100
.LBB115_4:                              ; =>This Inner Loop Header: Depth=1
	global_load_ushort v6, v[4:5], off
	v_add_u32_e32 v1, 16, v1
	v_cmp_lt_u32_e32 vcc, 7, v1
	v_lshl_add_u64 v[4:5], v[4:5], 0, s[18:19]
	s_or_b64 s[16:17], vcc, s[16:17]
	s_waitcnt vmcnt(0)
	ds_write_b16 v3, v6
	v_add_u32_e32 v3, 32, v3
	s_andn2_b64 exec, exec, s[16:17]
	s_cbranch_execnz .LBB115_4
.LBB115_5:
	s_or_b64 exec, exec, s[6:7]
	s_ashr_i32 s6, s2, 31
	s_ashr_i32 s7, s34, 31
	s_xor_b32 s6, s6, s7
	s_mul_i32 s7, s3, s28
	s_sub_i32 s7, s29, s7
	s_waitcnt lgkmcnt(0)
	s_add_i32 s12, s3, 1
	s_sub_i32 s25, s7, s28
	s_load_dwordx4 s[16:19], s[0:1], 0x68
	s_load_dword s15, s[0:1], 0x78
	s_cmp_ge_u32 s7, s28
	s_cselect_b32 s3, s12, s3
	s_cselect_b32 s7, s25, s7
	s_add_i32 s12, s3, 1
	s_cmp_ge_u32 s7, s28
	s_cselect_b32 s3, s12, s3
	s_waitcnt lgkmcnt(0)
	s_abs_i32 s12, s19
	v_cvt_f32_u32_e32 v1, s12
	s_xor_b32 s3, s3, s6
	s_sub_i32 s3, s3, s6
	s_sub_i32 s6, 0, s12
	v_rcp_iflag_f32_e32 v1, v1
	s_add_i32 s29, s33, -1
	s_abs_i32 s28, s29
	v_mul_f32_e32 v1, 0x4f7ffffe, v1
	v_cvt_u32_f32_e32 v1, v1
	s_barrier
	v_readfirstlane_b32 s25, v1
	s_mul_i32 s6, s6, s25
	s_mul_hi_u32 s6, s25, s6
	s_add_i32 s25, s25, s6
	s_cmp_lt_i32 s15, 0
	s_mul_hi_u32 s34, s28, s25
	s_cbranch_scc0 .LBB115_7
; %bb.6:
	s_mul_i32 s6, s16, s30
	s_add_i32 s6, s3, s6
	s_mul_i32 s6, s6, s15
	s_sub_i32 s40, 1, s6
	s_ashr_i32 s29, s29, 31
	s_ashr_i32 s19, s19, 31
	s_cbranch_execz .LBB115_8
	s_branch .LBB115_9
.LBB115_7:
                                        ; implicit-def: $sgpr40
	s_ashr_i32 s29, s29, 31
	s_ashr_i32 s19, s19, 31
.LBB115_8:
	s_mul_i32 s6, s5, s16
	s_add_i32 s2, s6, s2
	s_mul_i32 s2, s2, s15
	s_add_i32 s40, s2, 1
.LBB115_9:
	s_load_dword s0, s[0:1], 0x38
	s_mul_i32 s2, s34, s12
	s_sub_i32 s2, s28, s2
	s_xor_b32 s1, s29, s19
	s_add_i32 s6, s34, 1
	s_waitcnt lgkmcnt(0)
	s_mul_i32 s28, s20, s0
	s_ashr_i32 s29, s28, 31
	s_sub_i32 s0, s2, s12
	s_cmp_ge_u32 s2, s12
	s_cselect_b32 s6, s6, s34
	s_cselect_b32 s0, s0, s2
	s_add_i32 s2, s6, 1
	s_cmp_ge_u32 s0, s12
	s_cselect_b32 s0, s2, s6
	s_xor_b32 s0, s0, s1
	s_sub_i32 s41, s0, s1
	s_add_i32 s0, s33, 7
	s_ashr_i32 s1, s0, 31
	s_lshr_b32 s1, s1, 29
	s_add_i32 s0, s0, s1
	s_ashr_i32 s16, s0, 3
	v_lshrrev_b32_e32 v1, 6, v0
	v_cmp_gt_i32_e64 s[0:1], s16, v1
	v_mov_b32_e32 v10, 0xff7fffff
	s_mul_i32 s14, s3, s14
	v_lshrrev_b32_e32 v6, 4, v0
	v_lshlrev_b32_e32 v18, 3, v1
	v_mbcnt_lo_u32_b32 v7, -1, 0
	s_and_saveexec_b64 s[34:35], s[0:1]
	s_cbranch_execz .LBB115_19
; %bb.10:
	s_ashr_i32 s15, s14, 31
	s_sub_i32 s30, s41, s17
	s_lshl_b64 s[2:3], s[14:15], 1
	s_add_u32 s2, s8, s2
	s_addc_u32 s3, s9, s3
	s_abs_i32 s15, s18
	v_cvt_f32_u32_e32 v3, s15
	v_bfe_u32 v8, v0, 3, 3
	v_lshlrev_b32_e32 v4, 4, v8
	v_mov_b32_e32 v5, 0
	v_rcp_iflag_f32_e32 v12, v3
	v_lshl_add_u64 v[10:11], s[2:3], 0, v[4:5]
	v_mov_b32_e32 v3, v5
	s_sub_i32 s6, 0, s15
	v_mul_f32_e32 v4, 0x4f7ffffe, v12
	v_cvt_u32_f32_e32 v4, v4
	v_lshl_add_u64 v[2:3], v[10:11], 0, v[2:3]
	v_mbcnt_hi_u32_b32 v15, -1, v7
	v_cmp_eq_u32_e32 vcc, 0, v9
	v_mul_lo_u32 v10, s6, v4
	v_mul_hi_u32 v10, v4, v10
	v_add_u32_e32 v11, v4, v10
	v_lshlrev_b32_e32 v10, 2, v8
	s_lshl_b64 s[6:7], s[28:29], 2
	v_lshl_or_b32 v10, v1, 5, v10
	s_add_u32 s6, s26, s6
	v_add_u32_e32 v13, 0x190, v10
	v_subrev_u32_e32 v10, s33, v8
	v_and_b32_e32 v4, 60, v6
	s_addc_u32 s7, s27, s7
	v_add_u32_e32 v14, 1, v10
	v_and_b32_e32 v10, 64, v15
	s_mov_b32 s43, s13
	v_mul_u32_u24_e32 v9, 48, v9
	v_cmp_neq_f32_e64 s[2:3], s42, 0
	v_lshl_add_u64 v[4:5], s[6:7], 0, v[4:5]
	v_lshlrev_b32_e32 v12, 3, v1
	s_mov_b64 s[36:37], 0
	v_add_u32_e32 v16, 64, v10
	v_xor_b32_e32 v17, 4, v15
	v_xor_b32_e32 v19, 2, v15
	v_xor_b32_e32 v20, 1, v15
	v_mov_b32_e32 v10, 0xff7fffff
	v_mov_b32_e32 v21, v1
	s_branch .LBB115_13
.LBB115_11:                             ;   in Loop: Header=BB115_13 Depth=1
	s_or_b64 exec, exec, s[38:39]
.LBB115_12:                             ;   in Loop: Header=BB115_13 Depth=1
	s_or_b64 exec, exec, s[8:9]
	v_add_u32_e32 v21, 2, v21
	v_cmp_le_i32_e64 s[6:7], s16, v21
	v_lshl_add_u64 v[4:5], v[4:5], 0, 8
	v_add_u32_e32 v12, 16, v12
	s_or_b64 s[36:37], s[6:7], s[36:37]
	v_add_u32_e32 v13, 64, v13
	s_andn2_b64 exec, exec, s[36:37]
	s_cbranch_execz .LBB115_18
.LBB115_13:                             ; =>This Inner Loop Header: Depth=1
	v_mul_hi_u32 v22, v12, s25
	s_waitcnt lgkmcnt(0)
	v_mul_lo_u32 v23, v22, s12
	v_sub_u32_e32 v23, v12, v23
	v_add_u32_e32 v24, 1, v22
	v_cmp_le_u32_e64 s[6:7], s12, v23
	s_nop 1
	v_cndmask_b32_e64 v22, v22, v24, s[6:7]
	v_subrev_u32_e32 v24, s12, v23
	v_cndmask_b32_e64 v23, v23, v24, s[6:7]
	v_add_u32_e32 v24, 1, v22
	v_cmp_le_u32_e64 s[6:7], s12, v23
	s_nop 1
	v_cndmask_b32_e64 v22, v22, v24, s[6:7]
	v_xor_b32_e32 v22, s19, v22
	v_subrev_u32_e32 v22, s19, v22
	v_add_u32_e32 v23, s40, v22
	v_sub_u32_e32 v25, 0, v23
	v_ashrrev_i32_e32 v24, 31, v23
	v_max_i32_e32 v23, v23, v25
	v_mul_hi_u32 v25, v23, v11
	v_mul_lo_u32 v25, v25, s15
	v_sub_u32_e32 v23, v23, v25
	v_subrev_u32_e32 v25, s15, v23
	v_cmp_le_u32_e64 s[6:7], s15, v23
	v_cmp_ge_i32_e64 s[8:9], s30, v22
	s_nop 0
	v_cndmask_b32_e64 v23, v23, v25, s[6:7]
	v_subrev_u32_e32 v25, s15, v23
	v_cmp_le_u32_e64 s[6:7], s15, v23
	s_nop 1
	v_cndmask_b32_e64 v23, v23, v25, s[6:7]
	v_xor_b32_e32 v23, v23, v24
	v_sub_u32_e32 v23, v23, v24
	v_cmp_ne_u32_e64 s[6:7], 0, v23
	s_and_b64 s[6:7], s[6:7], s[8:9]
	s_and_b64 s[38:39], vcc, s[6:7]
	s_and_saveexec_b64 s[8:9], s[38:39]
	s_cbranch_execz .LBB115_15
; %bb.14:                               ;   in Loop: Header=BB115_13 Depth=1
	v_mov_b32_e32 v22, 0xff7fffff
	ds_write_b32 v13, v22
.LBB115_15:                             ;   in Loop: Header=BB115_13 Depth=1
	s_or_b64 exec, exec, s[8:9]
	s_xor_b64 s[6:7], s[6:7], -1
	s_and_saveexec_b64 s[8:9], s[6:7]
	s_cbranch_execz .LBB115_12
; %bb.16:                               ;   in Loop: Header=BB115_13 Depth=1
	global_load_dword v22, v[4:5], off
	s_waitcnt vmcnt(0)
	v_mad_i64_i32 v[22:23], s[6:7], v22, s43, 0
	v_lshl_add_u64 v[22:23], v[22:23], 1, v[2:3]
	global_load_ushort v34, v[22:23], off
	global_load_ushort v35, v[22:23], off offset:128
	global_load_ushort v36, v[22:23], off offset:256
	;; [unrolled: 1-line block ×23, first 2 shown]
	ds_read_b128 v[22:25], v9
	ds_read_b128 v[26:29], v9 offset:16
	ds_read_b128 v[30:33], v9 offset:32
	v_cmp_lt_i32_e64 s[6:7], v17, v16
	s_waitcnt lgkmcnt(2)
	v_lshlrev_b32_e32 v59, 16, v22
	v_and_b32_e32 v22, 0xffff0000, v22
	v_lshlrev_b32_e32 v60, 16, v23
	v_and_b32_e32 v23, 0xffff0000, v23
	;; [unrolled: 2-line block ×4, first 2 shown]
	s_waitcnt lgkmcnt(1)
	v_lshlrev_b32_e32 v63, 16, v26
	v_and_b32_e32 v26, 0xffff0000, v26
	v_lshlrev_b32_e32 v64, 16, v27
	v_and_b32_e32 v27, 0xffff0000, v27
	;; [unrolled: 2-line block ×4, first 2 shown]
	s_waitcnt lgkmcnt(0)
	v_lshlrev_b32_e32 v67, 16, v30
	v_and_b32_e32 v30, 0xffff0000, v30
	v_lshlrev_b32_e32 v68, 16, v31
	v_and_b32_e32 v31, 0xffff0000, v31
	;; [unrolled: 2-line block ×3, first 2 shown]
	v_lshlrev_b32_e32 v70, 16, v33
	v_cndmask_b32_e64 v58, v15, v17, s[6:7]
	v_and_b32_e32 v33, 0xffff0000, v33
	v_lshlrev_b32_e32 v58, 2, v58
	v_cmp_lt_i32_e64 s[6:7], v19, v16
	s_waitcnt vmcnt(23)
	v_lshlrev_b32_e32 v34, 16, v34
	s_waitcnt vmcnt(22)
	v_lshlrev_b32_e32 v35, 16, v35
	v_mul_f32_e32 v22, v22, v35
	s_waitcnt vmcnt(21)
	v_lshlrev_b32_e32 v36, 16, v36
	v_fmac_f32_e32 v22, v59, v34
	s_waitcnt vmcnt(20)
	v_lshlrev_b32_e32 v37, 16, v37
	v_fmac_f32_e32 v22, v60, v36
	;; [unrolled: 3-line block ×21, first 2 shown]
	v_fmac_f32_e32 v22, v70, v56
	s_waitcnt vmcnt(0)
	v_lshlrev_b32_e32 v23, 16, v57
	v_fmac_f32_e32 v22, v33, v23
	ds_bpermute_b32 v23, v58, v22
	v_cndmask_b32_e64 v24, v15, v19, s[6:7]
	v_lshlrev_b32_e32 v24, 2, v24
	v_cmp_lt_i32_e64 s[6:7], v20, v16
	s_waitcnt lgkmcnt(0)
	v_add_f32_e32 v22, v22, v23
	ds_bpermute_b32 v23, v24, v22
	v_cndmask_b32_e64 v24, v15, v20, s[6:7]
	v_lshlrev_b32_e32 v24, 2, v24
	s_waitcnt lgkmcnt(0)
	v_add_f32_e32 v22, v22, v23
	ds_bpermute_b32 v23, v24, v22
	s_and_saveexec_b64 s[38:39], vcc
	s_cbranch_execz .LBB115_11
; %bb.17:                               ;   in Loop: Header=BB115_13 Depth=1
	v_add_u32_e32 v24, v14, v12
	v_cvt_f32_i32_e32 v24, v24
	s_waitcnt lgkmcnt(0)
	v_add_f32_e32 v22, v22, v23
	v_add_u32_e32 v25, v8, v12
	v_cmp_gt_i32_e64 s[6:7], s33, v25
	v_mul_f32_e32 v23, s42, v24
	v_cndmask_b32_e64 v23, 0, v23, s[2:3]
	v_fmac_f32_e32 v23, s31, v22
	v_cndmask_b32_e64 v22, 0, v23, s[6:7]
	ds_write_b32 v13, v22
	v_max_f32_e32 v22, v10, v10
	v_max_f32_e32 v22, v22, v23
	v_cndmask_b32_e64 v10, v10, v22, s[6:7]
	s_branch .LBB115_11
.LBB115_18:
	s_or_b64 exec, exec, s[36:37]
.LBB115_19:
	s_or_b64 exec, exec, s[34:35]
	v_mbcnt_hi_u32_b32 v2, -1, v7
	v_and_b32_e32 v3, 64, v2
	v_add_u32_e32 v3, 64, v3
	v_xor_b32_e32 v4, 32, v2
	v_cmp_lt_i32_e32 vcc, v4, v3
	v_xor_b32_e32 v8, 16, v2
	v_max_f32_e32 v7, v10, v10
	v_cndmask_b32_e32 v4, v2, v4, vcc
	v_lshlrev_b32_e32 v5, 2, v4
	ds_bpermute_b32 v4, v5, v10
	v_cmp_lt_i32_e32 vcc, v8, v3
	v_xor_b32_e32 v9, 8, v2
	v_and_b32_e32 v19, 63, v0
	s_waitcnt lgkmcnt(0)
	v_max_f32_e32 v4, v4, v4
	v_max_f32_e32 v4, v7, v4
	v_cndmask_b32_e32 v7, v2, v8, vcc
	v_lshlrev_b32_e32 v8, 2, v7
	ds_bpermute_b32 v7, v8, v4
	v_cmp_lt_i32_e32 vcc, v9, v3
	s_waitcnt lgkmcnt(0)
	v_max_f32_e32 v7, v7, v7
	v_max_f32_e32 v7, v4, v7
	v_cndmask_b32_e32 v4, v2, v9, vcc
	v_lshlrev_b32_e32 v10, 2, v4
	ds_bpermute_b32 v9, v10, v7
	v_cmp_eq_u32_e32 vcc, 0, v19
	v_lshlrev_b32_e32 v4, 2, v1
	s_and_saveexec_b64 s[2:3], vcc
	s_cbranch_execz .LBB115_21
; %bb.20:
	s_waitcnt lgkmcnt(0)
	v_max_f32_e32 v9, v9, v9
	v_max_f32_e32 v7, v7, v7
	;; [unrolled: 1-line block ×3, first 2 shown]
	ds_write_b32 v4, v7 offset:384
.LBB115_21:
	s_or_b64 exec, exec, s[2:3]
	v_cmp_gt_u32_e64 s[2:3], 2, v19
	v_mov_b32_e32 v11, 0xff7fffff
	v_lshlrev_b32_e32 v7, 2, v19
	s_waitcnt lgkmcnt(0)
	s_barrier
	s_and_saveexec_b64 s[6:7], s[2:3]
	s_cbranch_execz .LBB115_23
; %bb.22:
	ds_read_b32 v11, v7 offset:384
.LBB115_23:
	s_or_b64 exec, exec, s[6:7]
	v_xor_b32_e32 v9, 1, v2
	v_cmp_lt_i32_e64 s[6:7], v9, v3
	v_lshlrev_b32_e32 v13, 2, v2
	s_nop 0
	v_cndmask_b32_e64 v9, v2, v9, s[6:7]
	v_lshlrev_b32_e32 v9, 2, v9
	s_waitcnt lgkmcnt(0)
	ds_bpermute_b32 v12, v9, v11
	v_max_f32_e32 v11, v11, v11
	s_lshl_b32 s6, s16, 3
	s_min_i32 s15, s6, s33
	v_cmp_gt_i32_e64 s[6:7], s15, v0
	s_waitcnt lgkmcnt(0)
	v_max_f32_e32 v12, v12, v12
	v_max_f32_e32 v12, v11, v12
	v_and_b32_e32 v11, 0x100, v13
	ds_bpermute_b32 v13, v11, v12
	v_mov_b32_e32 v12, 0
	s_and_saveexec_b64 s[30:31], s[6:7]
	s_cbranch_execz .LBB115_27
; %bb.24:
	v_mov_b32_e32 v12, 0x190
	v_lshl_add_u32 v14, v0, 2, v12
	s_mov_b64 s[34:35], 0
	v_mov_b32_e32 v12, 0
	v_mov_b32_e32 v15, v0
.LBB115_25:                             ; =>This Inner Loop Header: Depth=1
	ds_read_b32 v16, v14
	v_add_u32_e32 v15, 0x80, v15
	v_cmp_le_i32_e64 s[8:9], s15, v15
	s_or_b64 s[34:35], s[8:9], s[34:35]
	s_waitcnt lgkmcnt(0)
	v_sub_f32_e32 v16, v16, v13
	v_mul_f32_e32 v16, 0x3fb8aa3b, v16
	v_exp_f32_e32 v16, v16
	ds_write_b32 v14, v16
	v_add_f32_e32 v12, v12, v16
	v_add_u32_e32 v14, 0x200, v14
	s_andn2_b64 exec, exec, s[34:35]
	s_cbranch_execnz .LBB115_25
; %bb.26:
	s_or_b64 exec, exec, s[34:35]
.LBB115_27:
	s_or_b64 exec, exec, s[30:31]
	ds_bpermute_b32 v5, v5, v12
	s_waitcnt lgkmcnt(0)
	v_add_f32_e32 v5, v12, v5
	ds_bpermute_b32 v8, v8, v5
	s_waitcnt lgkmcnt(0)
	v_add_f32_e32 v5, v5, v8
	ds_bpermute_b32 v8, v10, v5
	v_xor_b32_e32 v10, 4, v2
	v_cmp_lt_i32_e64 s[8:9], v10, v3
	s_waitcnt lgkmcnt(0)
	v_add_f32_e32 v5, v5, v8
	v_cndmask_b32_e64 v10, v2, v10, s[8:9]
	v_lshlrev_b32_e32 v10, 2, v10
	ds_bpermute_b32 v8, v10, v5
	v_xor_b32_e32 v10, 2, v2
	v_cmp_lt_i32_e64 s[8:9], v10, v3
	s_waitcnt lgkmcnt(0)
	v_add_f32_e32 v3, v5, v8
	v_cndmask_b32_e64 v2, v2, v10, s[8:9]
	v_lshlrev_b32_e32 v2, 2, v2
	ds_bpermute_b32 v2, v2, v3
	s_waitcnt lgkmcnt(0)
	v_add_f32_e32 v2, v3, v2
	ds_bpermute_b32 v3, v9, v2
	s_waitcnt lgkmcnt(0)
	v_add_f32_e32 v2, v2, v3
	s_and_saveexec_b64 s[8:9], vcc
	s_cbranch_execz .LBB115_29
; %bb.28:
	ds_write_b32 v4, v2 offset:392
.LBB115_29:
	s_or_b64 exec, exec, s[8:9]
	s_waitcnt lgkmcnt(0)
	s_barrier
	s_and_saveexec_b64 s[8:9], s[2:3]
	s_cbranch_execz .LBB115_31
; %bb.30:
	ds_read_b32 v2, v7 offset:392
.LBB115_31:
	s_or_b64 exec, exec, s[8:9]
	s_waitcnt lgkmcnt(0)
	ds_bpermute_b32 v3, v9, v2
	s_waitcnt lgkmcnt(0)
	v_add_f32_e32 v2, v2, v3
	ds_bpermute_b32 v2, v11, v2
	s_and_saveexec_b64 s[2:3], s[6:7]
	s_cbranch_execz .LBB115_44
; %bb.32:
	s_waitcnt lgkmcnt(0)
	v_add_f32_e32 v2, 0x358637bd, v2
	v_div_scale_f32 v3, s[6:7], v2, v2, 1.0
	v_rcp_f32_e32 v4, v3
	v_div_scale_f32 v5, vcc, 1.0, v2, 1.0
	s_movk_i32 s6, 0x7f
	v_fma_f32 v7, -v3, v4, 1.0
	v_fmac_f32_e32 v4, v7, v4
	v_mul_f32_e32 v7, v5, v4
	v_fma_f32 v8, -v3, v7, v5
	v_fmac_f32_e32 v7, v8, v4
	v_fma_f32 v3, -v3, v7, v5
	v_div_fmas_f32 v3, v3, v4, v7
	v_xad_u32 v4, v0, -1, s15
	v_div_fixup_f32 v2, v3, v2, 1.0
	v_cmp_lt_u32_e32 vcc, s6, v4
	s_mov_b64 s[8:9], -1
	v_mov_b32_e32 v3, v0
	s_and_saveexec_b64 s[6:7], vcc
	s_cbranch_execz .LBB115_41
; %bb.33:
	v_lshrrev_b32_e32 v4, 7, v4
	v_add_u32_e32 v7, -1, v4
	v_lshrrev_b32_e32 v5, 1, v7
	v_mov_b32_e32 v3, v2
	v_add_u32_e32 v5, 1, v5
	v_cmp_lt_u32_e32 vcc, 13, v7
	v_mov_b32_e32 v9, 0
	s_and_saveexec_b64 s[8:9], vcc
	s_cbranch_execz .LBB115_37
; %bb.34:
	v_mov_b32_e32 v8, 0x190
	v_and_b32_e32 v7, -8, v5
	v_lshl_add_u32 v8, v0, 2, v8
	s_mov_b32 s34, 0
	s_mov_b64 s[30:31], 0
.LBB115_35:                             ; =>This Inner Loop Header: Depth=1
	ds_read2st64_b32 v[10:11], v8 offset1:2
	ds_read2st64_b32 v[12:13], v8 offset0:4 offset1:6
	ds_read2st64_b32 v[14:15], v8 offset0:8 offset1:10
	;; [unrolled: 1-line block ×3, first 2 shown]
	v_add_u32_e32 v7, -8, v7
	s_waitcnt lgkmcnt(3)
	v_pk_mul_f32 v[10:11], v[2:3], v[10:11]
	s_waitcnt lgkmcnt(2)
	v_pk_mul_f32 v[12:13], v[2:3], v[12:13]
	ds_write2st64_b32 v8, v10, v11 offset1:2
	ds_write2st64_b32 v8, v12, v13 offset0:4 offset1:6
	ds_read2st64_b32 v[12:13], v8 offset0:16 offset1:18
	s_waitcnt lgkmcnt(4)
	v_pk_mul_f32 v[10:11], v[2:3], v[14:15]
	ds_write2st64_b32 v8, v10, v11 offset0:8 offset1:10
	s_waitcnt lgkmcnt(4)
	v_pk_mul_f32 v[10:11], v[2:3], v[16:17]
	ds_write2st64_b32 v8, v10, v11 offset0:12 offset1:14
	ds_read2st64_b32 v[10:11], v8 offset0:20 offset1:22
	s_waitcnt lgkmcnt(3)
	v_pk_mul_f32 v[12:13], v[2:3], v[12:13]
	ds_read2st64_b32 v[14:15], v8 offset0:24 offset1:26
	ds_write2st64_b32 v8, v12, v13 offset0:16 offset1:18
	ds_read2st64_b32 v[12:13], v8 offset0:28 offset1:30
	s_waitcnt lgkmcnt(3)
	v_pk_mul_f32 v[10:11], v[2:3], v[10:11]
	ds_write2st64_b32 v8, v10, v11 offset0:20 offset1:22
	s_waitcnt lgkmcnt(3)
	v_pk_mul_f32 v[10:11], v[2:3], v[14:15]
	ds_write2st64_b32 v8, v10, v11 offset0:24 offset1:26
	s_waitcnt lgkmcnt(2)
	v_pk_mul_f32 v[10:11], v[2:3], v[12:13]
	s_add_i32 s34, s34, 16
	v_cmp_eq_u32_e32 vcc, 0, v7
	ds_write2st64_b32 v8, v10, v11 offset0:28 offset1:30
	v_add_u32_e32 v8, 0x2000, v8
	s_or_b64 s[30:31], vcc, s[30:31]
	v_mov_b32_e32 v9, s34
	s_andn2_b64 exec, exec, s[30:31]
	s_cbranch_execnz .LBB115_35
; %bb.36:
	s_or_b64 exec, exec, s[30:31]
.LBB115_37:
	s_or_b64 exec, exec, s[8:9]
	v_and_b32_e32 v5, 7, v5
	v_cmp_ne_u32_e32 vcc, 0, v5
	s_and_saveexec_b64 s[8:9], vcc
	s_cbranch_execz .LBB115_40
; %bb.38:
	v_lshlrev_b32_e32 v7, 9, v9
	v_lshlrev_b32_e32 v8, 2, v0
	s_movk_i32 s30, 0x190
	v_add3_u32 v7, v7, v8, s30
	s_mov_b64 s[30:31], 0
.LBB115_39:                             ; =>This Inner Loop Header: Depth=1
	ds_read2st64_b32 v[8:9], v7 offset1:2
	v_add_u32_e32 v5, -1, v5
	v_cmp_eq_u32_e32 vcc, 0, v5
	s_or_b64 s[30:31], vcc, s[30:31]
	s_waitcnt lgkmcnt(0)
	v_pk_mul_f32 v[8:9], v[2:3], v[8:9]
	ds_write2st64_b32 v7, v8, v9 offset1:2
	v_add_u32_e32 v7, 0x400, v7
	s_andn2_b64 exec, exec, s[30:31]
	s_cbranch_execnz .LBB115_39
.LBB115_40:
	s_or_b64 exec, exec, s[8:9]
	v_add_u32_e32 v4, 1, v4
	v_and_b32_e32 v5, 0x3fffffe, v4
	v_cmp_ne_u32_e32 vcc, v4, v5
	v_lshl_add_u32 v3, v5, 7, v0
	s_orn2_b64 s[8:9], vcc, exec
.LBB115_41:
	s_or_b64 exec, exec, s[6:7]
	s_and_b64 exec, exec, s[8:9]
	s_cbranch_execz .LBB115_44
; %bb.42:
	v_mov_b32_e32 v4, 0x190
	v_lshl_add_u32 v4, v3, 2, v4
	s_mov_b64 s[6:7], 0
.LBB115_43:                             ; =>This Inner Loop Header: Depth=1
	ds_read_b32 v5, v4
	v_add_u32_e32 v3, 0x80, v3
	v_cmp_le_i32_e32 vcc, s15, v3
	s_or_b64 s[6:7], vcc, s[6:7]
	s_waitcnt lgkmcnt(0)
	v_mul_f32_e32 v5, v2, v5
	ds_write_b32 v4, v5
	v_add_u32_e32 v4, 0x200, v4
	s_andn2_b64 exec, exec, s[6:7]
	s_cbranch_execnz .LBB115_43
.LBB115_44:
	s_or_b64 exec, exec, s[2:3]
	v_mov_b32_e32 v10, 0
	v_mov_b32_e32 v13, v10
	;; [unrolled: 1-line block ×3, first 2 shown]
	s_waitcnt lgkmcnt(0)
	s_barrier
	s_and_saveexec_b64 s[2:3], s[0:1]
	s_cbranch_execz .LBB115_184
; %bb.45:
	s_ashr_i32 s15, s14, 31
	s_sub_i32 s17, s41, s17
	s_lshl_b64 s[0:1], s[14:15], 1
	s_add_u32 s0, s10, s0
	s_addc_u32 s1, s11, s1
	s_abs_i32 s14, s18
	v_cvt_f32_u32_e32 v2, s14
	v_mov_b32_e32 v11, 0
	v_lshlrev_b32_e32 v10, 4, v19
	s_sub_i32 s6, 0, s14
	v_rcp_iflag_f32_e32 v2, v2
	s_add_i32 s15, s16, -1
	v_lshl_add_u64 v[14:15], s[0:1], 0, v[10:11]
	s_lshl_b64 s[0:1], s[28:29], 2
	v_mul_f32_e32 v2, 0x4f7ffffe, v2
	v_cvt_u32_f32_e32 v2, v2
	s_add_u32 s0, s26, s0
	v_and_b32_e32 v10, 60, v6
	s_addc_u32 s1, s27, s1
	v_mul_lo_u32 v3, s6, v2
	v_mul_hi_u32 v3, v2, v3
	v_add_u32_e32 v20, v2, v3
	v_mov_b32_e32 v2, 0x190
	v_lshl_add_u64 v[16:17], s[0:1], 0, v[10:11]
	v_lshl_add_u32 v21, v1, 5, v2
	s_mov_b64 s[6:7], 0
	s_mov_b32 s18, 0x7f800000
	s_movk_i32 s26, 0x7fff
	v_mov_b32_e32 v12, 0
	v_mov_b32_e32 v13, 0
	;; [unrolled: 1-line block ×3, first 2 shown]
	s_branch .LBB115_48
.LBB115_46:                             ;   in Loop: Header=BB115_48 Depth=1
	s_or_b64 exec, exec, s[0:1]
	v_and_b32_e32 v35, 0xffff0000, v46
	v_and_b32_e32 v34, 0xffff0000, v44
	;; [unrolled: 1-line block ×8, first 2 shown]
	v_pk_add_f32 v[34:35], v[36:37], v[34:35]
	v_pk_add_f32 v[30:31], v[32:33], v[30:31]
	v_add_f32_e32 v32, v34, v35
	v_add_f32_e32 v30, v32, v30
	;; [unrolled: 1-line block ×4, first 2 shown]
	v_and_b32_e32 v31, 0xffff0000, v27
	v_and_b32_e32 v30, 0xffff0000, v25
	v_and_b32_e32 v25, 0xffff0000, v26
	v_and_b32_e32 v27, 0xffff0000, v23
	v_and_b32_e32 v26, 0xffff0000, v9
	v_and_b32_e32 v9, 0xffff0000, v22
	v_and_b32_e32 v8, 0xffff0000, v8
	v_and_b32_e32 v24, 0xffff0000, v24
	v_pk_add_f32 v[8:9], v[8:9], v[26:27]
	v_pk_add_f32 v[22:23], v[24:25], v[30:31]
	v_add_f32_e32 v8, v8, v9
	v_add_f32_e32 v8, v8, v22
	;; [unrolled: 1-line block ×3, first 2 shown]
	v_and_b32_e32 v23, 0xffff0000, v28
	v_and_b32_e32 v22, 0xffff0000, v7
	;; [unrolled: 1-line block ×4, first 2 shown]
	v_add_f32_e32 v12, v12, v8
	v_and_b32_e32 v9, 0xffff0000, v6
	v_and_b32_e32 v8, 0xffff0000, v29
	;; [unrolled: 1-line block ×4, first 2 shown]
	v_pk_add_f32 v[2:3], v[2:3], v[22:23]
	v_pk_add_f32 v[4:5], v[4:5], v[8:9]
	v_add_f32_e32 v2, v2, v3
	v_add_f32_e32 v2, v2, v4
	;; [unrolled: 1-line block ×4, first 2 shown]
.LBB115_47:                             ;   in Loop: Header=BB115_48 Depth=1
	s_or_b64 exec, exec, s[8:9]
	v_add_u32_e32 v1, 2, v1
	v_cmp_le_i32_e32 vcc, s16, v1
	v_lshl_add_u64 v[16:17], v[16:17], 0, 8
	v_add_u32_e32 v18, 16, v18
	s_or_b64 s[6:7], vcc, s[6:7]
	v_add_u32_e32 v21, 64, v21
	s_andn2_b64 exec, exec, s[6:7]
	s_cbranch_execz .LBB115_183
.LBB115_48:                             ; =>This Inner Loop Header: Depth=1
	v_mul_hi_u32 v2, v18, s25
	v_mul_lo_u32 v3, v2, s12
	v_sub_u32_e32 v3, v18, v3
	v_add_u32_e32 v4, 1, v2
	v_cmp_le_u32_e32 vcc, s12, v3
	s_nop 1
	v_cndmask_b32_e32 v2, v2, v4, vcc
	v_subrev_u32_e32 v4, s12, v3
	v_cndmask_b32_e32 v3, v3, v4, vcc
	v_add_u32_e32 v4, 1, v2
	v_cmp_le_u32_e32 vcc, s12, v3
	s_nop 1
	v_cndmask_b32_e32 v2, v2, v4, vcc
	v_xor_b32_e32 v2, s19, v2
	v_subrev_u32_e32 v2, s19, v2
	v_add_u32_e32 v3, s40, v2
	v_sub_u32_e32 v5, 0, v3
	v_ashrrev_i32_e32 v4, 31, v3
	v_max_i32_e32 v3, v3, v5
	v_mul_hi_u32 v5, v3, v20
	v_mul_lo_u32 v5, v5, s14
	v_sub_u32_e32 v3, v3, v5
	v_subrev_u32_e32 v5, s14, v3
	v_cmp_le_u32_e32 vcc, s14, v3
	v_cmp_lt_i32_e64 s[0:1], s17, v2
	s_nop 0
	v_cndmask_b32_e32 v3, v3, v5, vcc
	v_subrev_u32_e32 v5, s14, v3
	v_cmp_le_u32_e32 vcc, s14, v3
	s_nop 1
	v_cndmask_b32_e32 v3, v3, v5, vcc
	v_xor_b32_e32 v3, v3, v4
	v_sub_u32_e32 v3, v3, v4
	v_cmp_eq_u32_e32 vcc, 0, v3
	s_or_b64 s[0:1], vcc, s[0:1]
	s_and_saveexec_b64 s[8:9], s[0:1]
	s_cbranch_execz .LBB115_47
; %bb.49:                               ;   in Loop: Header=BB115_48 Depth=1
	global_load_dword v28, v[16:17], off
	ds_read2_b64 v[6:9], v21 offset1:1
	ds_read2_b64 v[2:5], v21 offset0:2 offset1:3
                                        ; implicit-def: $vgpr35
	s_waitcnt lgkmcnt(1)
	v_and_b32_e32 v22, 0x7f800000, v6
	v_cmp_ne_u32_e32 vcc, s18, v22
	s_and_saveexec_b64 s[0:1], vcc
	s_xor_b64 s[0:1], exec, s[0:1]
; %bb.50:                               ;   in Loop: Header=BB115_48 Depth=1
	v_bfe_u32 v22, v6, 16, 1
	v_add3_u32 v35, v6, v22, s26
; %bb.51:                               ;   in Loop: Header=BB115_48 Depth=1
	s_andn2_saveexec_b64 s[0:1], s[0:1]
; %bb.52:                               ;   in Loop: Header=BB115_48 Depth=1
	v_or_b32_e32 v22, 0x10000, v6
	v_cmp_eq_u32_sdwa vcc, v6, v11 src0_sel:WORD_0 src1_sel:DWORD
	s_nop 1
	v_cndmask_b32_e32 v35, v22, v6, vcc
; %bb.53:                               ;   in Loop: Header=BB115_48 Depth=1
	s_or_b64 exec, exec, s[0:1]
	v_and_b32_e32 v6, 0x7f800000, v7
	v_cmp_ne_u32_e32 vcc, s18, v6
                                        ; implicit-def: $vgpr36
	s_and_saveexec_b64 s[0:1], vcc
	s_xor_b64 s[0:1], exec, s[0:1]
; %bb.54:                               ;   in Loop: Header=BB115_48 Depth=1
	v_bfe_u32 v6, v7, 16, 1
	v_add3_u32 v36, v7, v6, s26
; %bb.55:                               ;   in Loop: Header=BB115_48 Depth=1
	s_andn2_saveexec_b64 s[0:1], s[0:1]
; %bb.56:                               ;   in Loop: Header=BB115_48 Depth=1
	v_or_b32_e32 v6, 0x10000, v7
	v_cmp_eq_u32_sdwa vcc, v7, v11 src0_sel:WORD_0 src1_sel:DWORD
	s_nop 1
	v_cndmask_b32_e32 v36, v6, v7, vcc
; %bb.57:                               ;   in Loop: Header=BB115_48 Depth=1
	s_or_b64 exec, exec, s[0:1]
	v_and_b32_e32 v6, 0x7f800000, v8
	v_cmp_ne_u32_e32 vcc, s18, v6
                                        ; implicit-def: $vgpr22
	s_and_saveexec_b64 s[0:1], vcc
	s_xor_b64 s[0:1], exec, s[0:1]
; %bb.58:                               ;   in Loop: Header=BB115_48 Depth=1
	v_bfe_u32 v6, v8, 16, 1
	v_add3_u32 v22, v8, v6, s26
; %bb.59:                               ;   in Loop: Header=BB115_48 Depth=1
	s_andn2_saveexec_b64 s[0:1], s[0:1]
; %bb.60:                               ;   in Loop: Header=BB115_48 Depth=1
	v_or_b32_e32 v6, 0x10000, v8
	v_cmp_eq_u32_sdwa vcc, v8, v11 src0_sel:WORD_0 src1_sel:DWORD
	s_nop 1
	v_cndmask_b32_e32 v22, v6, v8, vcc
; %bb.61:                               ;   in Loop: Header=BB115_48 Depth=1
	s_or_b64 exec, exec, s[0:1]
	v_and_b32_e32 v6, 0x7f800000, v9
	v_cmp_ne_u32_e32 vcc, s18, v6
                                        ; implicit-def: $vgpr23
	s_and_saveexec_b64 s[0:1], vcc
	s_xor_b64 s[0:1], exec, s[0:1]
; %bb.62:                               ;   in Loop: Header=BB115_48 Depth=1
	v_bfe_u32 v6, v9, 16, 1
	v_add3_u32 v23, v9, v6, s26
                                        ; implicit-def: $vgpr6_vgpr7_vgpr8_vgpr9
; %bb.63:                               ;   in Loop: Header=BB115_48 Depth=1
	s_andn2_saveexec_b64 s[0:1], s[0:1]
; %bb.64:                               ;   in Loop: Header=BB115_48 Depth=1
	v_or_b32_e32 v6, 0x10000, v9
	v_cmp_eq_u32_sdwa vcc, v9, v11 src0_sel:WORD_0 src1_sel:DWORD
	s_nop 1
	v_cndmask_b32_e32 v23, v6, v9, vcc
; %bb.65:                               ;   in Loop: Header=BB115_48 Depth=1
	s_or_b64 exec, exec, s[0:1]
	s_waitcnt lgkmcnt(0)
	v_and_b32_e32 v6, 0x7f800000, v2
	v_cmp_ne_u32_e32 vcc, s18, v6
                                        ; implicit-def: $vgpr24
	s_and_saveexec_b64 s[0:1], vcc
	s_xor_b64 s[0:1], exec, s[0:1]
; %bb.66:                               ;   in Loop: Header=BB115_48 Depth=1
	v_bfe_u32 v6, v2, 16, 1
	v_add3_u32 v24, v2, v6, s26
; %bb.67:                               ;   in Loop: Header=BB115_48 Depth=1
	s_andn2_saveexec_b64 s[0:1], s[0:1]
; %bb.68:                               ;   in Loop: Header=BB115_48 Depth=1
	v_or_b32_e32 v6, 0x10000, v2
	v_cmp_eq_u32_sdwa vcc, v2, v11 src0_sel:WORD_0 src1_sel:DWORD
	s_nop 1
	v_cndmask_b32_e32 v24, v6, v2, vcc
; %bb.69:                               ;   in Loop: Header=BB115_48 Depth=1
	s_or_b64 exec, exec, s[0:1]
	v_and_b32_e32 v2, 0x7f800000, v3
	v_cmp_ne_u32_e32 vcc, s18, v2
                                        ; implicit-def: $vgpr25
	s_and_saveexec_b64 s[0:1], vcc
	s_xor_b64 s[0:1], exec, s[0:1]
; %bb.70:                               ;   in Loop: Header=BB115_48 Depth=1
	v_bfe_u32 v2, v3, 16, 1
	v_add3_u32 v25, v3, v2, s26
; %bb.71:                               ;   in Loop: Header=BB115_48 Depth=1
	s_andn2_saveexec_b64 s[0:1], s[0:1]
; %bb.72:                               ;   in Loop: Header=BB115_48 Depth=1
	v_or_b32_e32 v2, 0x10000, v3
	v_cmp_eq_u32_sdwa vcc, v3, v11 src0_sel:WORD_0 src1_sel:DWORD
	s_nop 1
	v_cndmask_b32_e32 v25, v2, v3, vcc
; %bb.73:                               ;   in Loop: Header=BB115_48 Depth=1
	s_or_b64 exec, exec, s[0:1]
	v_and_b32_e32 v2, 0x7f800000, v4
	v_cmp_ne_u32_e32 vcc, s18, v2
                                        ; implicit-def: $vgpr26
	s_and_saveexec_b64 s[0:1], vcc
	s_xor_b64 s[0:1], exec, s[0:1]
; %bb.74:                               ;   in Loop: Header=BB115_48 Depth=1
	v_bfe_u32 v2, v4, 16, 1
	v_add3_u32 v26, v4, v2, s26
; %bb.75:                               ;   in Loop: Header=BB115_48 Depth=1
	s_andn2_saveexec_b64 s[0:1], s[0:1]
; %bb.76:                               ;   in Loop: Header=BB115_48 Depth=1
	v_or_b32_e32 v2, 0x10000, v4
	v_cmp_eq_u32_sdwa vcc, v4, v11 src0_sel:WORD_0 src1_sel:DWORD
	s_nop 1
	v_cndmask_b32_e32 v26, v2, v4, vcc
; %bb.77:                               ;   in Loop: Header=BB115_48 Depth=1
	s_or_b64 exec, exec, s[0:1]
	v_and_b32_e32 v2, 0x7f800000, v5
	v_cmp_ne_u32_e32 vcc, s18, v2
                                        ; implicit-def: $vgpr27
	s_and_saveexec_b64 s[0:1], vcc
	s_xor_b64 s[0:1], exec, s[0:1]
; %bb.78:                               ;   in Loop: Header=BB115_48 Depth=1
	v_bfe_u32 v2, v5, 16, 1
	v_add3_u32 v27, v5, v2, s26
                                        ; implicit-def: $vgpr2_vgpr3_vgpr4_vgpr5
; %bb.79:                               ;   in Loop: Header=BB115_48 Depth=1
	s_andn2_saveexec_b64 s[0:1], s[0:1]
; %bb.80:                               ;   in Loop: Header=BB115_48 Depth=1
	v_or_b32_e32 v2, 0x10000, v5
	v_cmp_eq_u32_sdwa vcc, v5, v11 src0_sel:WORD_0 src1_sel:DWORD
	s_nop 1
	v_cndmask_b32_e32 v27, v2, v5, vcc
; %bb.81:                               ;   in Loop: Header=BB115_48 Depth=1
	s_or_b64 exec, exec, s[0:1]
	s_waitcnt vmcnt(0)
	v_mad_i64_i32 v[2:3], s[0:1], v28, s13, 0
	v_lshl_add_u64 v[6:7], v[2:3], 1, v[14:15]
	global_load_dwordx4 v[2:5], v[6:7], off
	v_cmp_eq_u32_e32 vcc, s15, v1
	v_add_u32_e32 v34, 1, v18
	v_add_u32_e32 v33, 2, v18
	;; [unrolled: 1-line block ×7, first 2 shown]
	s_waitcnt vmcnt(0)
	v_lshrrev_b32_e32 v9, 16, v2
	v_lshrrev_b32_e32 v39, 16, v3
	;; [unrolled: 1-line block ×4, first 2 shown]
	s_and_saveexec_b64 s[10:11], vcc
	s_cbranch_execz .LBB115_83
; %bb.82:                               ;   in Loop: Header=BB115_48 Depth=1
	v_cmp_gt_i32_e64 s[0:1], s33, v18
	s_nop 1
	v_cndmask_b32_e64 v2, 0, v2, s[0:1]
	v_cmp_gt_i32_e64 s[0:1], s33, v34
	s_nop 1
	v_cndmask_b32_e64 v9, 0, v9, s[0:1]
	;; [unrolled: 3-line block ×8, first 2 shown]
.LBB115_83:                             ;   in Loop: Header=BB115_48 Depth=1
	s_or_b64 exec, exec, s[10:11]
	v_and_b32_e32 v35, 0xffff0000, v35
	v_lshlrev_b32_e32 v2, 16, v2
	v_mul_f32_e32 v2, v35, v2
	v_and_b32_e32 v8, 0x7f800000, v2
	v_cmp_ne_u32_e64 s[0:1], s18, v8
                                        ; implicit-def: $vgpr8
	s_and_saveexec_b64 s[10:11], s[0:1]
	s_xor_b64 s[0:1], exec, s[10:11]
; %bb.84:                               ;   in Loop: Header=BB115_48 Depth=1
	v_bfe_u32 v8, v2, 16, 1
	v_add3_u32 v8, v2, v8, s26
                                        ; implicit-def: $vgpr2
; %bb.85:                               ;   in Loop: Header=BB115_48 Depth=1
	s_andn2_saveexec_b64 s[10:11], s[0:1]
; %bb.86:                               ;   in Loop: Header=BB115_48 Depth=1
	v_or_b32_e32 v8, 0x10000, v2
	v_cmp_eq_u32_sdwa s[0:1], v2, v11 src0_sel:WORD_0 src1_sel:DWORD
	s_nop 1
	v_cndmask_b32_e64 v8, v8, v2, s[0:1]
; %bb.87:                               ;   in Loop: Header=BB115_48 Depth=1
	s_or_b64 exec, exec, s[10:11]
	v_and_b32_e32 v36, 0xffff0000, v36
	v_lshlrev_b32_e32 v2, 16, v9
	v_mul_f32_e32 v2, v36, v2
	v_and_b32_e32 v9, 0x7f800000, v2
	v_cmp_ne_u32_e64 s[0:1], s18, v9
                                        ; implicit-def: $vgpr9
	s_and_saveexec_b64 s[10:11], s[0:1]
	s_xor_b64 s[0:1], exec, s[10:11]
; %bb.88:                               ;   in Loop: Header=BB115_48 Depth=1
	v_bfe_u32 v9, v2, 16, 1
	v_add3_u32 v9, v2, v9, s26
                                        ; implicit-def: $vgpr2
; %bb.89:                               ;   in Loop: Header=BB115_48 Depth=1
	s_andn2_saveexec_b64 s[10:11], s[0:1]
; %bb.90:                               ;   in Loop: Header=BB115_48 Depth=1
	v_or_b32_e32 v9, 0x10000, v2
	v_cmp_eq_u32_sdwa s[0:1], v2, v11 src0_sel:WORD_0 src1_sel:DWORD
	s_nop 1
	v_cndmask_b32_e64 v9, v9, v2, s[0:1]
; %bb.91:                               ;   in Loop: Header=BB115_48 Depth=1
	s_or_b64 exec, exec, s[10:11]
	v_and_b32_e32 v37, 0xffff0000, v22
	v_lshlrev_b32_e32 v2, 16, v3
	v_mul_f32_e32 v2, v37, v2
	v_and_b32_e32 v3, 0x7f800000, v2
	v_cmp_ne_u32_e64 s[0:1], s18, v3
                                        ; implicit-def: $vgpr22
	s_and_saveexec_b64 s[10:11], s[0:1]
	s_xor_b64 s[0:1], exec, s[10:11]
; %bb.92:                               ;   in Loop: Header=BB115_48 Depth=1
	v_bfe_u32 v3, v2, 16, 1
	v_add3_u32 v22, v2, v3, s26
                                        ; implicit-def: $vgpr2
; %bb.93:                               ;   in Loop: Header=BB115_48 Depth=1
	s_andn2_saveexec_b64 s[10:11], s[0:1]
; %bb.94:                               ;   in Loop: Header=BB115_48 Depth=1
	v_or_b32_e32 v3, 0x10000, v2
	v_cmp_eq_u32_sdwa s[0:1], v2, v11 src0_sel:WORD_0 src1_sel:DWORD
	s_nop 1
	v_cndmask_b32_e64 v22, v3, v2, s[0:1]
; %bb.95:                               ;   in Loop: Header=BB115_48 Depth=1
	s_or_b64 exec, exec, s[10:11]
	v_and_b32_e32 v38, 0xffff0000, v23
	v_lshlrev_b32_e32 v2, 16, v39
	v_mul_f32_e32 v2, v38, v2
	v_and_b32_e32 v3, 0x7f800000, v2
	v_cmp_ne_u32_e64 s[0:1], s18, v3
                                        ; implicit-def: $vgpr23
	s_and_saveexec_b64 s[10:11], s[0:1]
	s_xor_b64 s[0:1], exec, s[10:11]
; %bb.96:                               ;   in Loop: Header=BB115_48 Depth=1
	v_bfe_u32 v3, v2, 16, 1
	v_add3_u32 v23, v2, v3, s26
                                        ; implicit-def: $vgpr2
; %bb.97:                               ;   in Loop: Header=BB115_48 Depth=1
	s_andn2_saveexec_b64 s[10:11], s[0:1]
; %bb.98:                               ;   in Loop: Header=BB115_48 Depth=1
	v_or_b32_e32 v3, 0x10000, v2
	v_cmp_eq_u32_sdwa s[0:1], v2, v11 src0_sel:WORD_0 src1_sel:DWORD
	s_nop 1
	v_cndmask_b32_e64 v23, v3, v2, s[0:1]
; %bb.99:                               ;   in Loop: Header=BB115_48 Depth=1
	s_or_b64 exec, exec, s[10:11]
	v_and_b32_e32 v39, 0xffff0000, v24
	v_lshlrev_b32_e32 v2, 16, v4
	v_mul_f32_e32 v2, v39, v2
	v_and_b32_e32 v3, 0x7f800000, v2
	v_cmp_ne_u32_e64 s[0:1], s18, v3
                                        ; implicit-def: $vgpr24
	s_and_saveexec_b64 s[10:11], s[0:1]
	s_xor_b64 s[0:1], exec, s[10:11]
; %bb.100:                              ;   in Loop: Header=BB115_48 Depth=1
	v_bfe_u32 v3, v2, 16, 1
	v_add3_u32 v24, v2, v3, s26
                                        ; implicit-def: $vgpr2
; %bb.101:                              ;   in Loop: Header=BB115_48 Depth=1
	s_andn2_saveexec_b64 s[10:11], s[0:1]
; %bb.102:                              ;   in Loop: Header=BB115_48 Depth=1
	v_or_b32_e32 v3, 0x10000, v2
	v_cmp_eq_u32_sdwa s[0:1], v2, v11 src0_sel:WORD_0 src1_sel:DWORD
	s_nop 1
	v_cndmask_b32_e64 v24, v3, v2, s[0:1]
; %bb.103:                              ;   in Loop: Header=BB115_48 Depth=1
	s_or_b64 exec, exec, s[10:11]
	v_and_b32_e32 v40, 0xffff0000, v25
	v_lshlrev_b32_e32 v2, 16, v41
	v_mul_f32_e32 v2, v40, v2
	v_and_b32_e32 v3, 0x7f800000, v2
	v_cmp_ne_u32_e64 s[0:1], s18, v3
                                        ; implicit-def: $vgpr25
	s_and_saveexec_b64 s[10:11], s[0:1]
	s_xor_b64 s[0:1], exec, s[10:11]
; %bb.104:                              ;   in Loop: Header=BB115_48 Depth=1
	v_bfe_u32 v3, v2, 16, 1
	v_add3_u32 v25, v2, v3, s26
                                        ; implicit-def: $vgpr2
; %bb.105:                              ;   in Loop: Header=BB115_48 Depth=1
	s_andn2_saveexec_b64 s[10:11], s[0:1]
; %bb.106:                              ;   in Loop: Header=BB115_48 Depth=1
	v_or_b32_e32 v3, 0x10000, v2
	v_cmp_eq_u32_sdwa s[0:1], v2, v11 src0_sel:WORD_0 src1_sel:DWORD
	s_nop 1
	v_cndmask_b32_e64 v25, v3, v2, s[0:1]
; %bb.107:                              ;   in Loop: Header=BB115_48 Depth=1
	s_or_b64 exec, exec, s[10:11]
	v_and_b32_e32 v41, 0xffff0000, v26
	v_lshlrev_b32_e32 v2, 16, v5
	v_mul_f32_e32 v2, v41, v2
	v_and_b32_e32 v3, 0x7f800000, v2
	v_cmp_ne_u32_e64 s[0:1], s18, v3
                                        ; implicit-def: $vgpr26
	s_and_saveexec_b64 s[10:11], s[0:1]
	s_xor_b64 s[0:1], exec, s[10:11]
; %bb.108:                              ;   in Loop: Header=BB115_48 Depth=1
	v_bfe_u32 v3, v2, 16, 1
	v_add3_u32 v26, v2, v3, s26
                                        ; implicit-def: $vgpr2
; %bb.109:                              ;   in Loop: Header=BB115_48 Depth=1
	s_andn2_saveexec_b64 s[10:11], s[0:1]
; %bb.110:                              ;   in Loop: Header=BB115_48 Depth=1
	v_or_b32_e32 v3, 0x10000, v2
	v_cmp_eq_u32_sdwa s[0:1], v2, v11 src0_sel:WORD_0 src1_sel:DWORD
	s_nop 1
	v_cndmask_b32_e64 v26, v3, v2, s[0:1]
; %bb.111:                              ;   in Loop: Header=BB115_48 Depth=1
	s_or_b64 exec, exec, s[10:11]
	v_and_b32_e32 v42, 0xffff0000, v27
	v_lshlrev_b32_e32 v2, 16, v43
	v_mul_f32_e32 v2, v42, v2
	v_and_b32_e32 v3, 0x7f800000, v2
	v_cmp_ne_u32_e64 s[0:1], s18, v3
                                        ; implicit-def: $vgpr27
	s_and_saveexec_b64 s[10:11], s[0:1]
	s_xor_b64 s[0:1], exec, s[10:11]
; %bb.112:                              ;   in Loop: Header=BB115_48 Depth=1
	v_bfe_u32 v3, v2, 16, 1
	v_add3_u32 v27, v2, v3, s26
                                        ; implicit-def: $vgpr2
; %bb.113:                              ;   in Loop: Header=BB115_48 Depth=1
	s_andn2_saveexec_b64 s[10:11], s[0:1]
; %bb.114:                              ;   in Loop: Header=BB115_48 Depth=1
	v_or_b32_e32 v3, 0x10000, v2
	v_cmp_eq_u32_sdwa s[0:1], v2, v11 src0_sel:WORD_0 src1_sel:DWORD
	s_nop 1
	v_cndmask_b32_e64 v27, v3, v2, s[0:1]
; %bb.115:                              ;   in Loop: Header=BB115_48 Depth=1
	s_or_b64 exec, exec, s[10:11]
	global_load_dwordx4 v[2:5], v[6:7], off offset:1024
	s_waitcnt vmcnt(0)
	v_lshrrev_b32_e32 v44, 16, v2
	v_lshrrev_b32_e32 v46, 16, v3
	;; [unrolled: 1-line block ×4, first 2 shown]
	s_and_saveexec_b64 s[10:11], vcc
	s_cbranch_execz .LBB115_117
; %bb.116:                              ;   in Loop: Header=BB115_48 Depth=1
	v_cmp_gt_i32_e64 s[0:1], s33, v18
	s_nop 1
	v_cndmask_b32_e64 v2, 0, v2, s[0:1]
	v_cmp_gt_i32_e64 s[0:1], s33, v34
	s_nop 1
	v_cndmask_b32_e64 v44, 0, v44, s[0:1]
	v_cmp_gt_i32_e64 s[0:1], s33, v33
	s_nop 1
	v_cndmask_b32_e64 v3, 0, v3, s[0:1]
	v_cmp_gt_i32_e64 s[0:1], s33, v31
	s_nop 1
	v_cndmask_b32_e64 v46, 0, v46, s[0:1]
	v_cmp_gt_i32_e64 s[0:1], s33, v30
	s_nop 1
	v_cndmask_b32_e64 v4, 0, v4, s[0:1]
	v_cmp_gt_i32_e64 s[0:1], s33, v29
	s_nop 1
	v_cndmask_b32_e64 v48, 0, v48, s[0:1]
	v_cmp_gt_i32_e64 s[0:1], s33, v28
	s_nop 1
	v_cndmask_b32_e64 v5, 0, v5, s[0:1]
	v_cmp_gt_i32_e64 s[0:1], s33, v32
	s_nop 1
	v_cndmask_b32_e64 v50, 0, v50, s[0:1]
.LBB115_117:                            ;   in Loop: Header=BB115_48 Depth=1
	s_or_b64 exec, exec, s[10:11]
	v_lshlrev_b32_e32 v2, 16, v2
	v_mul_f32_e32 v2, v35, v2
	v_and_b32_e32 v43, 0x7f800000, v2
	v_cmp_ne_u32_e64 s[0:1], s18, v43
                                        ; implicit-def: $vgpr43
	s_and_saveexec_b64 s[10:11], s[0:1]
	s_xor_b64 s[0:1], exec, s[10:11]
; %bb.118:                              ;   in Loop: Header=BB115_48 Depth=1
	v_bfe_u32 v43, v2, 16, 1
	v_add3_u32 v43, v2, v43, s26
                                        ; implicit-def: $vgpr2
; %bb.119:                              ;   in Loop: Header=BB115_48 Depth=1
	s_andn2_saveexec_b64 s[10:11], s[0:1]
; %bb.120:                              ;   in Loop: Header=BB115_48 Depth=1
	v_or_b32_e32 v43, 0x10000, v2
	v_cmp_eq_u32_sdwa s[0:1], v2, v11 src0_sel:WORD_0 src1_sel:DWORD
	s_nop 1
	v_cndmask_b32_e64 v43, v43, v2, s[0:1]
; %bb.121:                              ;   in Loop: Header=BB115_48 Depth=1
	s_or_b64 exec, exec, s[10:11]
	v_lshlrev_b32_e32 v2, 16, v44
	v_mul_f32_e32 v2, v36, v2
	v_and_b32_e32 v44, 0x7f800000, v2
	v_cmp_ne_u32_e64 s[0:1], s18, v44
                                        ; implicit-def: $vgpr44
	s_and_saveexec_b64 s[10:11], s[0:1]
	s_xor_b64 s[0:1], exec, s[10:11]
; %bb.122:                              ;   in Loop: Header=BB115_48 Depth=1
	v_bfe_u32 v44, v2, 16, 1
	v_add3_u32 v44, v2, v44, s26
                                        ; implicit-def: $vgpr2
; %bb.123:                              ;   in Loop: Header=BB115_48 Depth=1
	s_andn2_saveexec_b64 s[10:11], s[0:1]
; %bb.124:                              ;   in Loop: Header=BB115_48 Depth=1
	v_or_b32_e32 v44, 0x10000, v2
	v_cmp_eq_u32_sdwa s[0:1], v2, v11 src0_sel:WORD_0 src1_sel:DWORD
	s_nop 1
	v_cndmask_b32_e64 v44, v44, v2, s[0:1]
; %bb.125:                              ;   in Loop: Header=BB115_48 Depth=1
	s_or_b64 exec, exec, s[10:11]
	v_lshlrev_b32_e32 v2, 16, v3
	v_mul_f32_e32 v2, v37, v2
	v_and_b32_e32 v3, 0x7f800000, v2
	v_cmp_ne_u32_e64 s[0:1], s18, v3
                                        ; implicit-def: $vgpr45
	s_and_saveexec_b64 s[10:11], s[0:1]
	s_xor_b64 s[0:1], exec, s[10:11]
; %bb.126:                              ;   in Loop: Header=BB115_48 Depth=1
	v_bfe_u32 v3, v2, 16, 1
	v_add3_u32 v45, v2, v3, s26
                                        ; implicit-def: $vgpr2
; %bb.127:                              ;   in Loop: Header=BB115_48 Depth=1
	s_andn2_saveexec_b64 s[10:11], s[0:1]
; %bb.128:                              ;   in Loop: Header=BB115_48 Depth=1
	v_or_b32_e32 v3, 0x10000, v2
	v_cmp_eq_u32_sdwa s[0:1], v2, v11 src0_sel:WORD_0 src1_sel:DWORD
	s_nop 1
	v_cndmask_b32_e64 v45, v3, v2, s[0:1]
; %bb.129:                              ;   in Loop: Header=BB115_48 Depth=1
	s_or_b64 exec, exec, s[10:11]
	v_lshlrev_b32_e32 v2, 16, v46
	v_mul_f32_e32 v2, v38, v2
	v_and_b32_e32 v3, 0x7f800000, v2
	v_cmp_ne_u32_e64 s[0:1], s18, v3
                                        ; implicit-def: $vgpr46
	s_and_saveexec_b64 s[10:11], s[0:1]
	s_xor_b64 s[0:1], exec, s[10:11]
; %bb.130:                              ;   in Loop: Header=BB115_48 Depth=1
	v_bfe_u32 v3, v2, 16, 1
	v_add3_u32 v46, v2, v3, s26
                                        ; implicit-def: $vgpr2
; %bb.131:                              ;   in Loop: Header=BB115_48 Depth=1
	s_andn2_saveexec_b64 s[10:11], s[0:1]
; %bb.132:                              ;   in Loop: Header=BB115_48 Depth=1
	v_or_b32_e32 v3, 0x10000, v2
	v_cmp_eq_u32_sdwa s[0:1], v2, v11 src0_sel:WORD_0 src1_sel:DWORD
	s_nop 1
	v_cndmask_b32_e64 v46, v3, v2, s[0:1]
; %bb.133:                              ;   in Loop: Header=BB115_48 Depth=1
	s_or_b64 exec, exec, s[10:11]
	v_lshlrev_b32_e32 v2, 16, v4
	v_mul_f32_e32 v2, v39, v2
	v_and_b32_e32 v3, 0x7f800000, v2
	v_cmp_ne_u32_e64 s[0:1], s18, v3
                                        ; implicit-def: $vgpr47
	s_and_saveexec_b64 s[10:11], s[0:1]
	s_xor_b64 s[0:1], exec, s[10:11]
; %bb.134:                              ;   in Loop: Header=BB115_48 Depth=1
	v_bfe_u32 v3, v2, 16, 1
	v_add3_u32 v47, v2, v3, s26
                                        ; implicit-def: $vgpr2
; %bb.135:                              ;   in Loop: Header=BB115_48 Depth=1
	s_andn2_saveexec_b64 s[10:11], s[0:1]
; %bb.136:                              ;   in Loop: Header=BB115_48 Depth=1
	v_or_b32_e32 v3, 0x10000, v2
	v_cmp_eq_u32_sdwa s[0:1], v2, v11 src0_sel:WORD_0 src1_sel:DWORD
	s_nop 1
	v_cndmask_b32_e64 v47, v3, v2, s[0:1]
; %bb.137:                              ;   in Loop: Header=BB115_48 Depth=1
	s_or_b64 exec, exec, s[10:11]
	v_lshlrev_b32_e32 v2, 16, v48
	v_mul_f32_e32 v2, v40, v2
	v_and_b32_e32 v3, 0x7f800000, v2
	v_cmp_ne_u32_e64 s[0:1], s18, v3
                                        ; implicit-def: $vgpr48
	s_and_saveexec_b64 s[10:11], s[0:1]
	s_xor_b64 s[0:1], exec, s[10:11]
; %bb.138:                              ;   in Loop: Header=BB115_48 Depth=1
	v_bfe_u32 v3, v2, 16, 1
	v_add3_u32 v48, v2, v3, s26
                                        ; implicit-def: $vgpr2
; %bb.139:                              ;   in Loop: Header=BB115_48 Depth=1
	s_andn2_saveexec_b64 s[10:11], s[0:1]
; %bb.140:                              ;   in Loop: Header=BB115_48 Depth=1
	v_or_b32_e32 v3, 0x10000, v2
	v_cmp_eq_u32_sdwa s[0:1], v2, v11 src0_sel:WORD_0 src1_sel:DWORD
	s_nop 1
	v_cndmask_b32_e64 v48, v3, v2, s[0:1]
; %bb.141:                              ;   in Loop: Header=BB115_48 Depth=1
	s_or_b64 exec, exec, s[10:11]
	v_lshlrev_b32_e32 v2, 16, v5
	v_mul_f32_e32 v2, v41, v2
	v_and_b32_e32 v3, 0x7f800000, v2
	v_cmp_ne_u32_e64 s[0:1], s18, v3
                                        ; implicit-def: $vgpr49
	s_and_saveexec_b64 s[10:11], s[0:1]
	s_xor_b64 s[0:1], exec, s[10:11]
; %bb.142:                              ;   in Loop: Header=BB115_48 Depth=1
	v_bfe_u32 v3, v2, 16, 1
	v_add3_u32 v49, v2, v3, s26
                                        ; implicit-def: $vgpr2
; %bb.143:                              ;   in Loop: Header=BB115_48 Depth=1
	s_andn2_saveexec_b64 s[10:11], s[0:1]
; %bb.144:                              ;   in Loop: Header=BB115_48 Depth=1
	v_or_b32_e32 v3, 0x10000, v2
	v_cmp_eq_u32_sdwa s[0:1], v2, v11 src0_sel:WORD_0 src1_sel:DWORD
	s_nop 1
	v_cndmask_b32_e64 v49, v3, v2, s[0:1]
; %bb.145:                              ;   in Loop: Header=BB115_48 Depth=1
	s_or_b64 exec, exec, s[10:11]
	v_lshlrev_b32_e32 v2, 16, v50
	v_mul_f32_e32 v2, v42, v2
	v_and_b32_e32 v3, 0x7f800000, v2
	v_cmp_ne_u32_e64 s[0:1], s18, v3
                                        ; implicit-def: $vgpr50
	s_and_saveexec_b64 s[10:11], s[0:1]
	s_xor_b64 s[0:1], exec, s[10:11]
; %bb.146:                              ;   in Loop: Header=BB115_48 Depth=1
	v_bfe_u32 v3, v2, 16, 1
	v_add3_u32 v50, v2, v3, s26
                                        ; implicit-def: $vgpr2
; %bb.147:                              ;   in Loop: Header=BB115_48 Depth=1
	s_andn2_saveexec_b64 s[10:11], s[0:1]
; %bb.148:                              ;   in Loop: Header=BB115_48 Depth=1
	v_or_b32_e32 v3, 0x10000, v2
	v_cmp_eq_u32_sdwa s[0:1], v2, v11 src0_sel:WORD_0 src1_sel:DWORD
	s_nop 1
	v_cndmask_b32_e64 v50, v3, v2, s[0:1]
; %bb.149:                              ;   in Loop: Header=BB115_48 Depth=1
	s_or_b64 exec, exec, s[10:11]
	global_load_dwordx4 v[2:5], v[6:7], off offset:2048
	s_waitcnt vmcnt(0)
	v_lshrrev_b32_e32 v7, 16, v2
	v_lshrrev_b32_e32 v52, 16, v3
	;; [unrolled: 1-line block ×4, first 2 shown]
	s_and_saveexec_b64 s[0:1], vcc
	s_cbranch_execz .LBB115_151
; %bb.150:                              ;   in Loop: Header=BB115_48 Depth=1
	v_cmp_gt_i32_e32 vcc, s33, v18
	s_nop 1
	v_cndmask_b32_e32 v2, 0, v2, vcc
	v_cmp_gt_i32_e32 vcc, s33, v34
	s_nop 1
	v_cndmask_b32_e32 v7, 0, v7, vcc
	;; [unrolled: 3-line block ×8, first 2 shown]
.LBB115_151:                            ;   in Loop: Header=BB115_48 Depth=1
	s_or_b64 exec, exec, s[0:1]
	v_lshlrev_b32_e32 v2, 16, v2
	v_mul_f32_e32 v28, v35, v2
	v_and_b32_e32 v2, 0x7f800000, v28
	v_cmp_ne_u32_e32 vcc, s18, v2
                                        ; implicit-def: $vgpr2
	s_and_saveexec_b64 s[0:1], vcc
	s_xor_b64 s[0:1], exec, s[0:1]
; %bb.152:                              ;   in Loop: Header=BB115_48 Depth=1
	v_bfe_u32 v2, v28, 16, 1
	v_add3_u32 v2, v28, v2, s26
                                        ; implicit-def: $vgpr28
; %bb.153:                              ;   in Loop: Header=BB115_48 Depth=1
	s_andn2_saveexec_b64 s[0:1], s[0:1]
; %bb.154:                              ;   in Loop: Header=BB115_48 Depth=1
	v_or_b32_e32 v2, 0x10000, v28
	v_cmp_eq_u32_sdwa vcc, v28, v11 src0_sel:WORD_0 src1_sel:DWORD
	s_nop 1
	v_cndmask_b32_e32 v2, v2, v28, vcc
; %bb.155:                              ;   in Loop: Header=BB115_48 Depth=1
	s_or_b64 exec, exec, s[0:1]
	v_lshlrev_b32_e32 v7, 16, v7
	v_mul_f32_e32 v28, v36, v7
	v_and_b32_e32 v7, 0x7f800000, v28
	v_cmp_ne_u32_e32 vcc, s18, v7
                                        ; implicit-def: $vgpr7
	s_and_saveexec_b64 s[0:1], vcc
	s_xor_b64 s[0:1], exec, s[0:1]
; %bb.156:                              ;   in Loop: Header=BB115_48 Depth=1
	v_bfe_u32 v7, v28, 16, 1
	v_add3_u32 v7, v28, v7, s26
                                        ; implicit-def: $vgpr28
; %bb.157:                              ;   in Loop: Header=BB115_48 Depth=1
	s_andn2_saveexec_b64 s[0:1], s[0:1]
; %bb.158:                              ;   in Loop: Header=BB115_48 Depth=1
	v_or_b32_e32 v7, 0x10000, v28
	v_cmp_eq_u32_sdwa vcc, v28, v11 src0_sel:WORD_0 src1_sel:DWORD
	s_nop 1
	v_cndmask_b32_e32 v7, v7, v28, vcc
; %bb.159:                              ;   in Loop: Header=BB115_48 Depth=1
	s_or_b64 exec, exec, s[0:1]
	v_lshlrev_b32_e32 v3, 16, v3
	v_mul_f32_e32 v28, v37, v3
	v_and_b32_e32 v3, 0x7f800000, v28
	v_cmp_ne_u32_e32 vcc, s18, v3
                                        ; implicit-def: $vgpr3
	s_and_saveexec_b64 s[0:1], vcc
	s_xor_b64 s[0:1], exec, s[0:1]
; %bb.160:                              ;   in Loop: Header=BB115_48 Depth=1
	v_bfe_u32 v3, v28, 16, 1
	v_add3_u32 v3, v28, v3, s26
                                        ; implicit-def: $vgpr28
; %bb.161:                              ;   in Loop: Header=BB115_48 Depth=1
	s_andn2_saveexec_b64 s[0:1], s[0:1]
; %bb.162:                              ;   in Loop: Header=BB115_48 Depth=1
	v_or_b32_e32 v3, 0x10000, v28
	v_cmp_eq_u32_sdwa vcc, v28, v11 src0_sel:WORD_0 src1_sel:DWORD
	s_nop 1
	v_cndmask_b32_e32 v3, v3, v28, vcc
; %bb.163:                              ;   in Loop: Header=BB115_48 Depth=1
	s_or_b64 exec, exec, s[0:1]
	v_lshlrev_b32_e32 v28, 16, v52
	v_mul_f32_e32 v29, v38, v28
	v_and_b32_e32 v28, 0x7f800000, v29
	v_cmp_ne_u32_e32 vcc, s18, v28
                                        ; implicit-def: $vgpr28
	s_and_saveexec_b64 s[0:1], vcc
	s_xor_b64 s[0:1], exec, s[0:1]
; %bb.164:                              ;   in Loop: Header=BB115_48 Depth=1
	v_bfe_u32 v28, v29, 16, 1
	v_add3_u32 v28, v29, v28, s26
                                        ; implicit-def: $vgpr29
; %bb.165:                              ;   in Loop: Header=BB115_48 Depth=1
	s_andn2_saveexec_b64 s[0:1], s[0:1]
; %bb.166:                              ;   in Loop: Header=BB115_48 Depth=1
	v_or_b32_e32 v28, 0x10000, v29
	v_cmp_eq_u32_sdwa vcc, v29, v11 src0_sel:WORD_0 src1_sel:DWORD
	s_nop 1
	v_cndmask_b32_e32 v28, v28, v29, vcc
; %bb.167:                              ;   in Loop: Header=BB115_48 Depth=1
	s_or_b64 exec, exec, s[0:1]
	v_lshlrev_b32_e32 v4, 16, v4
	v_mul_f32_e32 v29, v39, v4
	v_and_b32_e32 v4, 0x7f800000, v29
	v_cmp_ne_u32_e32 vcc, s18, v4
                                        ; implicit-def: $vgpr4
	s_and_saveexec_b64 s[0:1], vcc
	s_xor_b64 s[0:1], exec, s[0:1]
; %bb.168:                              ;   in Loop: Header=BB115_48 Depth=1
	v_bfe_u32 v4, v29, 16, 1
	v_add3_u32 v4, v29, v4, s26
                                        ; implicit-def: $vgpr29
; %bb.169:                              ;   in Loop: Header=BB115_48 Depth=1
	s_andn2_saveexec_b64 s[0:1], s[0:1]
; %bb.170:                              ;   in Loop: Header=BB115_48 Depth=1
	v_or_b32_e32 v4, 0x10000, v29
	v_cmp_eq_u32_sdwa vcc, v29, v11 src0_sel:WORD_0 src1_sel:DWORD
	s_nop 1
	v_cndmask_b32_e32 v4, v4, v29, vcc
; %bb.171:                              ;   in Loop: Header=BB115_48 Depth=1
	s_or_b64 exec, exec, s[0:1]
	v_lshlrev_b32_e32 v29, 16, v51
	v_mul_f32_e32 v30, v40, v29
	v_and_b32_e32 v29, 0x7f800000, v30
	v_cmp_ne_u32_e32 vcc, s18, v29
                                        ; implicit-def: $vgpr29
	s_and_saveexec_b64 s[0:1], vcc
	s_xor_b64 s[0:1], exec, s[0:1]
; %bb.172:                              ;   in Loop: Header=BB115_48 Depth=1
	v_bfe_u32 v29, v30, 16, 1
	v_add3_u32 v29, v30, v29, s26
                                        ; implicit-def: $vgpr30
; %bb.173:                              ;   in Loop: Header=BB115_48 Depth=1
	s_andn2_saveexec_b64 s[0:1], s[0:1]
; %bb.174:                              ;   in Loop: Header=BB115_48 Depth=1
	v_or_b32_e32 v29, 0x10000, v30
	v_cmp_eq_u32_sdwa vcc, v30, v11 src0_sel:WORD_0 src1_sel:DWORD
	s_nop 1
	v_cndmask_b32_e32 v29, v29, v30, vcc
; %bb.175:                              ;   in Loop: Header=BB115_48 Depth=1
	s_or_b64 exec, exec, s[0:1]
	v_lshlrev_b32_e32 v5, 16, v5
	v_mul_f32_e32 v30, v41, v5
	v_and_b32_e32 v5, 0x7f800000, v30
	v_cmp_ne_u32_e32 vcc, s18, v5
                                        ; implicit-def: $vgpr5
	s_and_saveexec_b64 s[0:1], vcc
	s_xor_b64 s[0:1], exec, s[0:1]
; %bb.176:                              ;   in Loop: Header=BB115_48 Depth=1
	v_bfe_u32 v5, v30, 16, 1
	v_add3_u32 v5, v30, v5, s26
                                        ; implicit-def: $vgpr30
; %bb.177:                              ;   in Loop: Header=BB115_48 Depth=1
	s_andn2_saveexec_b64 s[0:1], s[0:1]
; %bb.178:                              ;   in Loop: Header=BB115_48 Depth=1
	v_or_b32_e32 v5, 0x10000, v30
	v_cmp_eq_u32_sdwa vcc, v30, v11 src0_sel:WORD_0 src1_sel:DWORD
	s_nop 1
	v_cndmask_b32_e32 v5, v5, v30, vcc
; %bb.179:                              ;   in Loop: Header=BB115_48 Depth=1
	s_or_b64 exec, exec, s[0:1]
	v_lshlrev_b32_e32 v6, 16, v6
	v_mul_f32_e32 v30, v42, v6
	v_and_b32_e32 v6, 0x7f800000, v30
	v_cmp_ne_u32_e32 vcc, s18, v6
                                        ; implicit-def: $vgpr6
	s_and_saveexec_b64 s[0:1], vcc
	s_xor_b64 s[0:1], exec, s[0:1]
; %bb.180:                              ;   in Loop: Header=BB115_48 Depth=1
	v_bfe_u32 v6, v30, 16, 1
	v_add3_u32 v6, v30, v6, s26
                                        ; implicit-def: $vgpr30
; %bb.181:                              ;   in Loop: Header=BB115_48 Depth=1
	s_andn2_saveexec_b64 s[0:1], s[0:1]
	s_cbranch_execz .LBB115_46
; %bb.182:                              ;   in Loop: Header=BB115_48 Depth=1
	v_or_b32_e32 v6, 0x10000, v30
	v_cmp_eq_u32_sdwa vcc, v30, v11 src0_sel:WORD_0 src1_sel:DWORD
	s_nop 1
	v_cndmask_b32_e32 v6, v6, v30, vcc
	s_branch .LBB115_46
.LBB115_183:
	s_or_b64 exec, exec, s[6:7]
.LBB115_184:
	s_or_b64 exec, exec, s[2:3]
	v_and_b32_e32 v1, 0x3c0, v0
	v_cmp_eq_u32_e32 vcc, 64, v1
	s_barrier
	s_and_saveexec_b64 s[0:1], vcc
	s_cbranch_execz .LBB115_186
; %bb.185:
	v_mov_b32_e32 v1, 0x190
	v_lshl_add_u32 v2, v19, 2, v1
	v_lshl_add_u32 v1, v0, 2, v1
	ds_write_b32 v2, v12
	ds_write_b32 v1, v13
	ds_write_b32 v2, v10 offset:512
.LBB115_186:
	s_or_b64 exec, exec, s[0:1]
	v_cmp_gt_u32_e32 vcc, 64, v0
	s_waitcnt lgkmcnt(0)
	s_barrier
	s_and_saveexec_b64 s[0:1], vcc
	s_cbranch_execz .LBB115_188
; %bb.187:
	v_mov_b32_e32 v1, 0x190
	v_lshl_add_u32 v1, v0, 2, v1
	ds_read2st64_b32 v[2:3], v1 offset1:1
	ds_read_b32 v1, v1 offset:512
	s_waitcnt lgkmcnt(1)
	v_pk_add_f32 v[12:13], v[12:13], v[2:3]
	s_waitcnt lgkmcnt(0)
	v_add_f32_e32 v10, v10, v1
.LBB115_188:
	s_or_b64 exec, exec, s[0:1]
	s_barrier
	s_and_saveexec_b64 s[0:1], vcc
	s_cbranch_execz .LBB115_202
; %bb.189:
	s_mov_b32 s0, 0x7f800000
	v_and_b32_e32 v1, 0x7f800000, v12
	v_cmp_ne_u32_e32 vcc, s0, v1
                                        ; implicit-def: $vgpr2
	s_and_saveexec_b64 s[0:1], vcc
	s_xor_b64 s[0:1], exec, s[0:1]
; %bb.190:
	v_bfe_u32 v1, v12, 16, 1
	s_movk_i32 s2, 0x7fff
	v_add3_u32 v2, v12, v1, s2
; %bb.191:
	s_andn2_saveexec_b64 s[0:1], s[0:1]
; %bb.192:
	v_mov_b32_e32 v1, 0
	v_or_b32_e32 v2, 0x10000, v12
	v_cmp_eq_u32_sdwa vcc, v12, v1 src0_sel:WORD_0 src1_sel:DWORD
	s_nop 1
	v_cndmask_b32_e32 v2, v2, v12, vcc
; %bb.193:
	s_or_b64 exec, exec, s[0:1]
	s_mul_i32 s0, s20, s21
	s_mul_i32 s0, s0, s5
	s_mulk_i32 s0, 0xc0
	s_ashr_i32 s1, s0, 31
	s_lshl_b64 s[0:1], s[0:1], 1
	s_add_u32 s2, s22, s0
	s_mul_i32 s0, s21, s24
	s_addc_u32 s3, s23, s1
	s_ashr_i32 s1, s0, 31
	s_lshl_b64 s[0:1], s[0:1], 1
	s_add_u32 s2, s2, s0
	s_mul_i32 s0, s4, 0xc0
	s_addc_u32 s3, s3, s1
	s_ashr_i32 s1, s0, 31
	s_lshl_b64 s[0:1], s[0:1], 1
	s_add_u32 s0, s2, s0
	s_addc_u32 s1, s3, s1
	v_lshlrev_b32_e32 v0, 1, v0
	global_store_short_d16_hi v0, v2, s[0:1]
	s_mov_b32 s2, 0x7f800000
	v_and_b32_e32 v2, 0x7f800000, v13
	v_mov_b32_e32 v1, 0
	v_cmp_ne_u32_e32 vcc, s2, v2
                                        ; implicit-def: $vgpr2
	s_and_saveexec_b64 s[2:3], vcc
	s_xor_b64 s[2:3], exec, s[2:3]
; %bb.194:
	v_bfe_u32 v2, v13, 16, 1
	s_movk_i32 s4, 0x7fff
	v_add3_u32 v2, v13, v2, s4
; %bb.195:
	s_or_saveexec_b64 s[2:3], s[2:3]
	v_lshl_add_u64 v[0:1], s[0:1], 0, v[0:1]
	s_xor_b64 exec, exec, s[2:3]
; %bb.196:
	v_mov_b32_e32 v2, 0
	v_or_b32_e32 v3, 0x10000, v13
	v_cmp_eq_u32_sdwa vcc, v13, v2 src0_sel:WORD_0 src1_sel:DWORD
	s_nop 1
	v_cndmask_b32_e32 v2, v3, v13, vcc
; %bb.197:
	s_or_b64 exec, exec, s[2:3]
	global_store_short_d16_hi v[0:1], v2, off offset:128
	s_mov_b32 s0, 0x7f800000
	v_and_b32_e32 v2, 0x7f800000, v10
	v_cmp_ne_u32_e32 vcc, s0, v2
                                        ; implicit-def: $vgpr2
	s_and_saveexec_b64 s[0:1], vcc
	s_xor_b64 s[0:1], exec, s[0:1]
; %bb.198:
	v_bfe_u32 v2, v10, 16, 1
	s_movk_i32 s2, 0x7fff
	v_add3_u32 v2, v10, v2, s2
                                        ; implicit-def: $vgpr8_vgpr9_vgpr10
; %bb.199:
	s_andn2_saveexec_b64 s[0:1], s[0:1]
; %bb.200:
	v_mov_b32_e32 v2, 0
	v_or_b32_e32 v3, 0x10000, v10
	v_cmp_eq_u32_sdwa vcc, v10, v2 src0_sel:WORD_0 src1_sel:DWORD
	s_nop 1
	v_cndmask_b32_e32 v2, v3, v10, vcc
; %bb.201:
	s_or_b64 exec, exec, s[0:1]
	global_store_short_d16_hi v[0:1], v2, off offset:256
.LBB115_202:
	s_endpgm
	.section	.rodata,"a",@progbits
	.p2align	6, 0x0
	.amdhsa_kernel _ZN4vllm25paged_attention_v1_kernelI14__hip_bfloat16S1_Li192ELi8ELi128ELNS_18Fp8KVCacheDataTypeE0ELb1EEEvPT_PKS3_PKT0_S9_ifPKiSB_iPKfiiiSD_SD_iiiii
		.amdhsa_group_segment_fixed_size 400
		.amdhsa_private_segment_fixed_size 0
		.amdhsa_kernarg_size 384
		.amdhsa_user_sgpr_count 2
		.amdhsa_user_sgpr_dispatch_ptr 0
		.amdhsa_user_sgpr_queue_ptr 0
		.amdhsa_user_sgpr_kernarg_segment_ptr 1
		.amdhsa_user_sgpr_dispatch_id 0
		.amdhsa_user_sgpr_kernarg_preload_length 0
		.amdhsa_user_sgpr_kernarg_preload_offset 0
		.amdhsa_user_sgpr_private_segment_size 0
		.amdhsa_uses_dynamic_stack 0
		.amdhsa_enable_private_segment 0
		.amdhsa_system_sgpr_workgroup_id_x 1
		.amdhsa_system_sgpr_workgroup_id_y 1
		.amdhsa_system_sgpr_workgroup_id_z 1
		.amdhsa_system_sgpr_workgroup_info 0
		.amdhsa_system_vgpr_workitem_id 0
		.amdhsa_next_free_vgpr 71
		.amdhsa_next_free_sgpr 44
		.amdhsa_accum_offset 72
		.amdhsa_reserve_vcc 1
		.amdhsa_float_round_mode_32 0
		.amdhsa_float_round_mode_16_64 0
		.amdhsa_float_denorm_mode_32 3
		.amdhsa_float_denorm_mode_16_64 3
		.amdhsa_dx10_clamp 1
		.amdhsa_ieee_mode 1
		.amdhsa_fp16_overflow 0
		.amdhsa_tg_split 0
		.amdhsa_exception_fp_ieee_invalid_op 0
		.amdhsa_exception_fp_denorm_src 0
		.amdhsa_exception_fp_ieee_div_zero 0
		.amdhsa_exception_fp_ieee_overflow 0
		.amdhsa_exception_fp_ieee_underflow 0
		.amdhsa_exception_fp_ieee_inexact 0
		.amdhsa_exception_int_div_zero 0
	.end_amdhsa_kernel
	.section	.text._ZN4vllm25paged_attention_v1_kernelI14__hip_bfloat16S1_Li192ELi8ELi128ELNS_18Fp8KVCacheDataTypeE0ELb1EEEvPT_PKS3_PKT0_S9_ifPKiSB_iPKfiiiSD_SD_iiiii,"axG",@progbits,_ZN4vllm25paged_attention_v1_kernelI14__hip_bfloat16S1_Li192ELi8ELi128ELNS_18Fp8KVCacheDataTypeE0ELb1EEEvPT_PKS3_PKT0_S9_ifPKiSB_iPKfiiiSD_SD_iiiii,comdat
.Lfunc_end115:
	.size	_ZN4vllm25paged_attention_v1_kernelI14__hip_bfloat16S1_Li192ELi8ELi128ELNS_18Fp8KVCacheDataTypeE0ELb1EEEvPT_PKS3_PKT0_S9_ifPKiSB_iPKfiiiSD_SD_iiiii, .Lfunc_end115-_ZN4vllm25paged_attention_v1_kernelI14__hip_bfloat16S1_Li192ELi8ELi128ELNS_18Fp8KVCacheDataTypeE0ELb1EEEvPT_PKS3_PKT0_S9_ifPKiSB_iPKfiiiSD_SD_iiiii
                                        ; -- End function
	.section	.AMDGPU.csdata,"",@progbits
; Kernel info:
; codeLenInByte = 8004
; NumSgprs: 50
; NumVgprs: 71
; NumAgprs: 0
; TotalNumVgprs: 71
; ScratchSize: 0
; MemoryBound: 0
; FloatMode: 240
; IeeeMode: 1
; LDSByteSize: 400 bytes/workgroup (compile time only)
; SGPRBlocks: 6
; VGPRBlocks: 8
; NumSGPRsForWavesPerEU: 50
; NumVGPRsForWavesPerEU: 71
; AccumOffset: 72
; Occupancy: 7
; WaveLimiterHint : 1
; COMPUTE_PGM_RSRC2:SCRATCH_EN: 0
; COMPUTE_PGM_RSRC2:USER_SGPR: 2
; COMPUTE_PGM_RSRC2:TRAP_HANDLER: 0
; COMPUTE_PGM_RSRC2:TGID_X_EN: 1
; COMPUTE_PGM_RSRC2:TGID_Y_EN: 1
; COMPUTE_PGM_RSRC2:TGID_Z_EN: 1
; COMPUTE_PGM_RSRC2:TIDIG_COMP_CNT: 0
; COMPUTE_PGM_RSRC3_GFX90A:ACCUM_OFFSET: 17
; COMPUTE_PGM_RSRC3_GFX90A:TG_SPLIT: 0
	.section	.text._ZN4vllm25paged_attention_v1_kernelI14__hip_bfloat16S1_Li256ELi8ELi128ELNS_18Fp8KVCacheDataTypeE0ELb1EEEvPT_PKS3_PKT0_S9_ifPKiSB_iPKfiiiSD_SD_iiiii,"axG",@progbits,_ZN4vllm25paged_attention_v1_kernelI14__hip_bfloat16S1_Li256ELi8ELi128ELNS_18Fp8KVCacheDataTypeE0ELb1EEEvPT_PKS3_PKT0_S9_ifPKiSB_iPKfiiiSD_SD_iiiii,comdat
	.protected	_ZN4vllm25paged_attention_v1_kernelI14__hip_bfloat16S1_Li256ELi8ELi128ELNS_18Fp8KVCacheDataTypeE0ELb1EEEvPT_PKS3_PKT0_S9_ifPKiSB_iPKfiiiSD_SD_iiiii ; -- Begin function _ZN4vllm25paged_attention_v1_kernelI14__hip_bfloat16S1_Li256ELi8ELi128ELNS_18Fp8KVCacheDataTypeE0ELb1EEEvPT_PKS3_PKT0_S9_ifPKiSB_iPKfiiiSD_SD_iiiii
	.globl	_ZN4vllm25paged_attention_v1_kernelI14__hip_bfloat16S1_Li256ELi8ELi128ELNS_18Fp8KVCacheDataTypeE0ELb1EEEvPT_PKS3_PKT0_S9_ifPKiSB_iPKfiiiSD_SD_iiiii
	.p2align	8
	.type	_ZN4vllm25paged_attention_v1_kernelI14__hip_bfloat16S1_Li256ELi8ELi128ELNS_18Fp8KVCacheDataTypeE0ELb1EEEvPT_PKS3_PKT0_S9_ifPKiSB_iPKfiiiSD_SD_iiiii,@function
_ZN4vllm25paged_attention_v1_kernelI14__hip_bfloat16S1_Li256ELi8ELi128ELNS_18Fp8KVCacheDataTypeE0ELb1EEEvPT_PKS3_PKT0_S9_ifPKiSB_iPKfiiiSD_SD_iiiii: ; @_ZN4vllm25paged_attention_v1_kernelI14__hip_bfloat16S1_Li256ELi8ELi128ELNS_18Fp8KVCacheDataTypeE0ELb1EEEvPT_PKS3_PKT0_S9_ifPKiSB_iPKfiiiSD_SD_iiiii
; %bb.0:
	s_load_dword s5, s[0:1], 0x80
	s_load_dwordx2 s[6:7], s[0:1], 0x30
	s_load_dwordx2 s[20:21], s[0:1], 0x20
	s_mov_b32 s24, s3
	s_ashr_i32 s25, s3, 31
	s_lshl_b64 s[8:9], s[24:25], 2
	s_waitcnt lgkmcnt(0)
	s_add_u32 s6, s6, s8
	s_addc_u32 s7, s7, s9
	s_abs_i32 s3, s20
	v_cvt_f32_u32_e32 v1, s3
	s_sub_i32 s10, 0, s3
	s_abs_i32 s9, s5
	s_xor_b32 s8, s5, s20
	v_rcp_iflag_f32_e32 v1, v1
	s_ashr_i32 s8, s8, 31
	s_mov_b32 s42, 0
	v_mul_f32_e32 v1, 0x4f7ffffe, v1
	v_cvt_u32_f32_e32 v1, v1
	s_nop 0
	v_readfirstlane_b32 s11, v1
	s_mul_i32 s10, s10, s11
	s_mul_hi_u32 s10, s11, s10
	s_add_i32 s11, s11, s10
	s_mul_hi_u32 s10, s9, s11
	s_mul_i32 s11, s10, s3
	s_sub_i32 s9, s9, s11
	s_add_i32 s11, s10, 1
	s_sub_i32 s12, s9, s3
	s_cmp_ge_u32 s9, s3
	s_cselect_b32 s10, s11, s10
	s_cselect_b32 s9, s12, s9
	s_add_i32 s11, s10, 1
	s_cmp_ge_u32 s9, s3
	s_cselect_b32 s3, s11, s10
	s_xor_b32 s3, s3, s8
	s_sub_i32 s34, s3, s8
	s_abs_i32 s22, s34
	v_cvt_f32_u32_e32 v1, s22
	s_load_dwordx2 s[8:9], s[0:1], 0x40
	s_sub_i32 s3, 0, s22
	s_abs_i32 s23, s2
	v_rcp_iflag_f32_e32 v1, v1
	s_nop 0
	v_mul_f32_e32 v1, 0x4f7ffffe, v1
	v_cvt_u32_f32_e32 v1, v1
	s_nop 0
	v_readfirstlane_b32 s12, v1
	s_mul_i32 s3, s3, s12
	s_mul_hi_u32 s3, s12, s3
	s_add_i32 s12, s12, s3
	s_waitcnt lgkmcnt(0)
	s_cmp_eq_u64 s[8:9], 0
	s_cbranch_scc1 .LBB116_2
; %bb.1:
	s_ashr_i32 s3, s2, 31
	s_lshl_b64 s[10:11], s[2:3], 2
	s_add_u32 s8, s8, s10
	s_addc_u32 s9, s9, s11
	s_load_dword s42, s[8:9], 0x0
.LBB116_2:
	s_load_dwordx2 s[26:27], s[0:1], 0x0
	s_nop 0
	s_load_dwordx4 s[8:11], s[0:1], 0x10
	s_mul_hi_u32 s3, s23, s12
	s_load_dword s25, s[0:1], 0x88
	s_load_dword s33, s[6:7], 0x0
	s_load_dwordx2 s[30:31], s[0:1], 0x28
	s_load_dwordx4 s[12:15], s[0:1], 0x48
	v_and_b32_e32 v6, 7, v0
	s_lshl_b32 s28, s2, 8
	s_movk_i32 s6, 0x100
	s_ashr_i32 s29, s28, 31
	v_cmp_gt_u32_e32 vcc, s6, v0
	v_lshlrev_b32_e32 v2, 1, v6
	s_and_saveexec_b64 s[6:7], vcc
	s_cbranch_execz .LBB116_5
; %bb.3:
	s_load_dwordx2 s[16:17], s[0:1], 0x8
	s_waitcnt lgkmcnt(0)
	s_mul_i32 s18, s24, s12
	s_ashr_i32 s19, s18, 31
	s_lshl_b64 s[18:19], s[18:19], 1
	s_lshl_b64 s[36:37], s[28:29], 1
	s_add_u32 s12, s18, s36
	s_addc_u32 s15, s19, s37
	v_lshrrev_b32_e32 v4, 3, v0
	s_add_u32 s16, s16, s12
	v_add_u32_e32 v1, -16, v4
	v_lshlrev_b32_e32 v3, 1, v4
	v_lshl_or_b32 v4, v4, 4, v2
	v_mov_b32_e32 v5, 0
	s_addc_u32 s17, s17, s15
	v_lshl_add_u32 v3, v6, 6, v3
	v_lshl_add_u64 v[4:5], s[16:17], 0, v[4:5]
	s_mov_b64 s[16:17], 0
	s_mov_b64 s[18:19], 0x100
.LBB116_4:                              ; =>This Inner Loop Header: Depth=1
	global_load_ushort v7, v[4:5], off
	v_add_co_u32_e32 v1, vcc, 16, v1
	s_xor_b64 s[36:37], vcc, -1
	s_and_b64 s[36:37], exec, s[36:37]
	v_lshl_add_u64 v[4:5], v[4:5], 0, s[18:19]
	s_or_b64 s[16:17], s[36:37], s[16:17]
	s_waitcnt vmcnt(0)
	ds_write_b16 v3, v7
	v_add_u32_e32 v3, 32, v3
	s_andn2_b64 exec, exec, s[16:17]
	s_cbranch_execnz .LBB116_4
.LBB116_5:
	s_or_b64 exec, exec, s[6:7]
	s_ashr_i32 s6, s2, 31
	s_ashr_i32 s7, s34, 31
	s_xor_b32 s6, s6, s7
	s_mul_i32 s7, s3, s22
	s_sub_i32 s7, s23, s7
	s_waitcnt lgkmcnt(0)
	s_add_i32 s12, s3, 1
	s_sub_i32 s23, s7, s22
	s_load_dwordx4 s[16:19], s[0:1], 0x68
	s_load_dword s15, s[0:1], 0x78
	s_cmp_ge_u32 s7, s22
	s_cselect_b32 s3, s12, s3
	s_cselect_b32 s7, s23, s7
	s_add_i32 s12, s3, 1
	s_cmp_ge_u32 s7, s22
	s_cselect_b32 s3, s12, s3
	s_waitcnt lgkmcnt(0)
	s_abs_i32 s12, s19
	v_cvt_f32_u32_e32 v1, s12
	s_xor_b32 s3, s3, s6
	s_sub_i32 s3, s3, s6
	s_sub_i32 s6, 0, s12
	v_rcp_iflag_f32_e32 v1, v1
	s_add_i32 s34, s33, -1
	s_abs_i32 s22, s34
	v_mul_f32_e32 v1, 0x4f7ffffe, v1
	v_cvt_u32_f32_e32 v1, v1
	s_barrier
	v_readfirstlane_b32 s29, v1
	s_mul_i32 s6, s6, s29
	s_mul_hi_u32 s6, s29, s6
	s_add_i32 s29, s29, s6
	s_cmp_lt_i32 s15, 0
	s_mul_hi_u32 s23, s22, s29
	s_cbranch_scc0 .LBB116_7
; %bb.6:
	s_mul_i32 s6, s16, s20
	s_add_i32 s6, s3, s6
	s_mul_i32 s6, s6, s15
	s_sub_i32 s40, 1, s6
	s_ashr_i32 s20, s34, 31
	s_ashr_i32 s19, s19, 31
	s_cbranch_execz .LBB116_8
	s_branch .LBB116_9
.LBB116_7:
                                        ; implicit-def: $sgpr40
	s_ashr_i32 s20, s34, 31
	s_ashr_i32 s19, s19, 31
.LBB116_8:
	s_mul_i32 s6, s5, s16
	s_add_i32 s2, s6, s2
	s_mul_i32 s2, s2, s15
	s_add_i32 s40, s2, 1
.LBB116_9:
	s_load_dword s0, s[0:1], 0x38
	s_mul_i32 s2, s23, s12
	s_sub_i32 s2, s22, s2
	s_xor_b32 s1, s20, s19
	s_add_i32 s6, s23, 1
	s_waitcnt lgkmcnt(0)
	s_mul_i32 s34, s24, s0
	s_ashr_i32 s35, s34, 31
	s_sub_i32 s0, s2, s12
	s_cmp_ge_u32 s2, s12
	s_cselect_b32 s6, s6, s23
	s_cselect_b32 s0, s0, s2
	s_add_i32 s2, s6, 1
	s_cmp_ge_u32 s0, s12
	s_cselect_b32 s0, s2, s6
	s_xor_b32 s0, s0, s1
	s_sub_i32 s41, s0, s1
	s_add_i32 s0, s33, 7
	s_ashr_i32 s1, s0, 31
	s_lshr_b32 s1, s1, 29
	s_add_i32 s0, s0, s1
	s_ashr_i32 s16, s0, 3
	v_lshrrev_b32_e32 v1, 6, v0
	v_cmp_gt_i32_e64 s[0:1], s16, v1
	v_mov_b32_e32 v12, 0xff7fffff
	s_mul_i32 s14, s3, s14
	v_lshrrev_b32_e32 v8, 4, v0
	v_lshlrev_b32_e32 v20, 3, v1
	v_mbcnt_lo_u32_b32 v9, -1, 0
	s_and_saveexec_b64 s[22:23], s[0:1]
	s_cbranch_execz .LBB116_19
; %bb.10:
	s_ashr_i32 s15, s14, 31
	s_sub_i32 s20, s41, s17
	s_lshl_b64 s[2:3], s[14:15], 1
	s_add_u32 s2, s8, s2
	s_addc_u32 s3, s9, s3
	s_abs_i32 s15, s18
	v_cvt_f32_u32_e32 v3, s15
	v_bfe_u32 v10, v0, 3, 3
	v_lshlrev_b32_e32 v4, 4, v10
	v_mov_b32_e32 v5, 0
	v_rcp_iflag_f32_e32 v7, v3
	v_lshl_add_u64 v[12:13], s[2:3], 0, v[4:5]
	s_sub_i32 s6, 0, s15
	v_cmp_eq_u32_e32 vcc, 0, v6
	v_mul_f32_e32 v4, 0x4f7ffffe, v7
	v_cvt_u32_f32_e32 v4, v4
	v_lshlrev_b32_e32 v11, 6, v6
	v_mov_b32_e32 v3, v5
	v_lshl_add_u64 v[2:3], v[12:13], 0, v[2:3]
	v_mul_lo_u32 v6, s6, v4
	v_mul_hi_u32 v6, v4, v6
	v_add_u32_e32 v13, v4, v6
	v_lshlrev_b32_e32 v6, 2, v10
	s_lshl_b64 s[6:7], s[34:35], 2
	v_lshl_or_b32 v6, v1, 5, v6
	s_add_u32 s6, s30, s6
	v_add_u32_e32 v15, 0x210, v6
	v_subrev_u32_e32 v6, s33, v10
	v_mbcnt_hi_u32_b32 v18, -1, v9
	v_and_b32_e32 v4, 60, v8
	s_addc_u32 s7, s31, s7
	v_add_u32_e32 v16, 1, v6
	v_and_b32_e32 v6, 64, v18
	s_mov_b32 s43, s13
	v_cmp_neq_f32_e64 s[2:3], s42, 0
	v_lshl_add_u64 v[4:5], s[6:7], 0, v[4:5]
	v_lshlrev_b32_e32 v14, 3, v1
	s_mov_b64 s[36:37], 0
	v_mov_b32_e32 v17, 0xff7fffff
	v_add_u32_e32 v19, 64, v6
	v_xor_b32_e32 v21, 4, v18
	v_xor_b32_e32 v22, 2, v18
	;; [unrolled: 1-line block ×3, first 2 shown]
	v_mov_b32_e32 v12, 0xff7fffff
	v_mov_b32_e32 v24, v1
	s_branch .LBB116_13
.LBB116_11:                             ;   in Loop: Header=BB116_13 Depth=1
	s_or_b64 exec, exec, s[38:39]
.LBB116_12:                             ;   in Loop: Header=BB116_13 Depth=1
	s_or_b64 exec, exec, s[8:9]
	v_add_u32_e32 v24, 2, v24
	v_cmp_le_i32_e64 s[6:7], s16, v24
	v_lshl_add_u64 v[4:5], v[4:5], 0, 8
	v_add_u32_e32 v14, 16, v14
	s_or_b64 s[36:37], s[6:7], s[36:37]
	v_add_u32_e32 v15, 64, v15
	s_andn2_b64 exec, exec, s[36:37]
	s_cbranch_execz .LBB116_18
.LBB116_13:                             ; =>This Inner Loop Header: Depth=1
	v_mul_hi_u32 v6, v14, s29
	s_waitcnt lgkmcnt(0)
	v_mul_lo_u32 v7, v6, s12
	v_sub_u32_e32 v7, v14, v7
	v_add_u32_e32 v25, 1, v6
	v_cmp_le_u32_e64 s[6:7], s12, v7
	s_nop 1
	v_cndmask_b32_e64 v6, v6, v25, s[6:7]
	v_subrev_u32_e32 v25, s12, v7
	v_cndmask_b32_e64 v7, v7, v25, s[6:7]
	v_add_u32_e32 v25, 1, v6
	v_cmp_le_u32_e64 s[6:7], s12, v7
	s_nop 1
	v_cndmask_b32_e64 v6, v6, v25, s[6:7]
	v_xor_b32_e32 v6, s19, v6
	v_subrev_u32_e32 v6, s19, v6
	v_add_u32_e32 v7, s40, v6
	v_sub_u32_e32 v26, 0, v7
	v_ashrrev_i32_e32 v25, 31, v7
	v_max_i32_e32 v7, v7, v26
	v_mul_hi_u32 v26, v7, v13
	v_mul_lo_u32 v26, v26, s15
	v_sub_u32_e32 v7, v7, v26
	v_subrev_u32_e32 v26, s15, v7
	v_cmp_le_u32_e64 s[6:7], s15, v7
	v_cmp_ge_i32_e64 s[8:9], s20, v6
	s_nop 0
	v_cndmask_b32_e64 v7, v7, v26, s[6:7]
	v_subrev_u32_e32 v26, s15, v7
	v_cmp_le_u32_e64 s[6:7], s15, v7
	s_nop 1
	v_cndmask_b32_e64 v7, v7, v26, s[6:7]
	v_xor_b32_e32 v7, v7, v25
	v_sub_u32_e32 v7, v7, v25
	v_cmp_ne_u32_e64 s[6:7], 0, v7
	s_and_b64 s[6:7], s[6:7], s[8:9]
	s_and_b64 s[38:39], vcc, s[6:7]
	s_and_saveexec_b64 s[8:9], s[38:39]
	s_cbranch_execz .LBB116_15
; %bb.14:                               ;   in Loop: Header=BB116_13 Depth=1
	ds_write_b32 v15, v17
.LBB116_15:                             ;   in Loop: Header=BB116_13 Depth=1
	s_or_b64 exec, exec, s[8:9]
	s_xor_b64 s[6:7], s[6:7], -1
	s_and_saveexec_b64 s[8:9], s[6:7]
	s_cbranch_execz .LBB116_12
; %bb.16:                               ;   in Loop: Header=BB116_13 Depth=1
	global_load_dword v6, v[4:5], off
	ds_read_b128 v[26:29], v11
	ds_read_b128 v[30:33], v11 offset:16
	ds_read_b128 v[34:37], v11 offset:32
	;; [unrolled: 1-line block ×3, first 2 shown]
	s_waitcnt lgkmcnt(3)
	v_lshlrev_b32_e32 v25, 16, v26
	v_and_b32_e32 v26, 0xffff0000, v26
	v_lshlrev_b32_e32 v42, 16, v27
	v_and_b32_e32 v27, 0xffff0000, v27
	v_lshlrev_b32_e32 v43, 16, v28
	v_and_b32_e32 v28, 0xffff0000, v28
	v_lshlrev_b32_e32 v44, 16, v29
	v_and_b32_e32 v29, 0xffff0000, v29
	s_waitcnt lgkmcnt(2)
	v_lshlrev_b32_e32 v45, 16, v30
	v_and_b32_e32 v30, 0xffff0000, v30
	v_lshlrev_b32_e32 v46, 16, v31
	v_and_b32_e32 v31, 0xffff0000, v31
	v_lshlrev_b32_e32 v47, 16, v32
	v_and_b32_e32 v32, 0xffff0000, v32
	v_lshlrev_b32_e32 v48, 16, v33
	v_and_b32_e32 v33, 0xffff0000, v33
	;; [unrolled: 9-line block ×4, first 2 shown]
	s_waitcnt vmcnt(0)
	v_mad_i64_i32 v[6:7], s[6:7], v6, s43, 0
	v_lshl_add_u64 v[6:7], v[6:7], 1, v[2:3]
	global_load_ushort v54, v[6:7], off offset:256
	global_load_ushort v55, v[6:7], off offset:384
	;; [unrolled: 1-line block ×7, first 2 shown]
	global_load_ushort v61, v[6:7], off
	global_load_ushort v65, v[6:7], off offset:1024
	global_load_ushort v66, v[6:7], off offset:1152
	;; [unrolled: 1-line block ×23, first 2 shown]
	s_nop 0
	global_load_ushort v6, v[6:7], off offset:3968
	v_cmp_lt_i32_e64 s[6:7], v21, v19
	s_waitcnt vmcnt(23)
	v_lshlrev_b32_e32 v65, 16, v65
	s_waitcnt vmcnt(22)
	v_lshlrev_b32_e32 v66, 16, v66
	;; [unrolled: 2-line block ×15, first 2 shown]
	v_lshlrev_b32_e32 v54, 16, v54
	v_lshlrev_b32_e32 v55, 16, v55
	;; [unrolled: 1-line block ×8, first 2 shown]
	v_mul_f32_e32 v26, v26, v60
	v_fmac_f32_e32 v26, v25, v61
	v_fmac_f32_e32 v26, v42, v54
	;; [unrolled: 1-line block ×21, first 2 shown]
	s_waitcnt vmcnt(8)
	v_lshlrev_b32_e32 v80, 16, v80
	v_fmac_f32_e32 v26, v52, v79
	s_waitcnt vmcnt(7)
	v_lshlrev_b32_e32 v81, 16, v81
	v_fmac_f32_e32 v26, v37, v80
	;; [unrolled: 3-line block ×8, first 2 shown]
	v_cndmask_b32_e64 v7, v18, v21, s[6:7]
	v_fmac_f32_e32 v26, v64, v87
	s_waitcnt vmcnt(0)
	v_lshlrev_b32_e32 v6, 16, v6
	v_lshlrev_b32_e32 v7, 2, v7
	v_fmac_f32_e32 v26, v41, v6
	ds_bpermute_b32 v6, v7, v26
	v_cmp_lt_i32_e64 s[6:7], v22, v19
	s_waitcnt lgkmcnt(0)
	v_add_f32_e32 v6, v26, v6
	v_cndmask_b32_e64 v7, v18, v22, s[6:7]
	v_lshlrev_b32_e32 v7, 2, v7
	ds_bpermute_b32 v7, v7, v6
	v_cmp_lt_i32_e64 s[6:7], v23, v19
	s_waitcnt lgkmcnt(0)
	v_add_f32_e32 v6, v6, v7
	v_cndmask_b32_e64 v25, v18, v23, s[6:7]
	v_lshlrev_b32_e32 v25, 2, v25
	ds_bpermute_b32 v7, v25, v6
	s_and_saveexec_b64 s[38:39], vcc
	s_cbranch_execz .LBB116_11
; %bb.17:                               ;   in Loop: Header=BB116_13 Depth=1
	v_add_u32_e32 v25, v16, v14
	v_cvt_f32_i32_e32 v25, v25
	s_waitcnt lgkmcnt(0)
	v_add_f32_e32 v6, v6, v7
	v_add_u32_e32 v26, v10, v14
	v_cmp_gt_i32_e64 s[6:7], s33, v26
	v_mul_f32_e32 v7, s42, v25
	v_cndmask_b32_e64 v7, 0, v7, s[2:3]
	v_fmac_f32_e32 v7, s21, v6
	v_cndmask_b32_e64 v6, 0, v7, s[6:7]
	ds_write_b32 v15, v6
	v_max_f32_e32 v6, v12, v12
	v_max_f32_e32 v6, v6, v7
	v_cndmask_b32_e64 v12, v12, v6, s[6:7]
	s_branch .LBB116_11
.LBB116_18:
	s_or_b64 exec, exec, s[36:37]
.LBB116_19:
	s_or_b64 exec, exec, s[22:23]
	v_mbcnt_hi_u32_b32 v2, -1, v9
	v_and_b32_e32 v3, 64, v2
	v_add_u32_e32 v3, 64, v3
	v_xor_b32_e32 v4, 32, v2
	v_cmp_lt_i32_e32 vcc, v4, v3
	s_waitcnt lgkmcnt(0)
	v_xor_b32_e32 v7, 16, v2
	v_max_f32_e32 v6, v12, v12
	v_cndmask_b32_e32 v4, v2, v4, vcc
	v_lshlrev_b32_e32 v5, 2, v4
	ds_bpermute_b32 v4, v5, v12
	v_cmp_lt_i32_e32 vcc, v7, v3
	v_xor_b32_e32 v9, 8, v2
	v_and_b32_e32 v21, 63, v0
	s_waitcnt lgkmcnt(0)
	v_max_f32_e32 v4, v4, v4
	v_max_f32_e32 v4, v6, v4
	v_cndmask_b32_e32 v6, v2, v7, vcc
	v_lshlrev_b32_e32 v7, 2, v6
	ds_bpermute_b32 v6, v7, v4
	v_cmp_lt_i32_e32 vcc, v9, v3
	s_waitcnt lgkmcnt(0)
	v_max_f32_e32 v6, v6, v6
	v_max_f32_e32 v6, v4, v6
	v_cndmask_b32_e32 v4, v2, v9, vcc
	v_lshlrev_b32_e32 v10, 2, v4
	ds_bpermute_b32 v9, v10, v6
	v_cmp_eq_u32_e32 vcc, 0, v21
	v_lshlrev_b32_e32 v4, 2, v1
	s_and_saveexec_b64 s[2:3], vcc
	s_cbranch_execz .LBB116_21
; %bb.20:
	s_waitcnt lgkmcnt(0)
	v_max_f32_e32 v9, v9, v9
	v_max_f32_e32 v6, v6, v6
	;; [unrolled: 1-line block ×3, first 2 shown]
	ds_write_b32 v4, v6 offset:512
.LBB116_21:
	s_or_b64 exec, exec, s[2:3]
	v_cmp_gt_u32_e64 s[2:3], 2, v21
	v_mov_b32_e32 v11, 0xff7fffff
	v_lshlrev_b32_e32 v6, 2, v21
	s_waitcnt lgkmcnt(0)
	s_barrier
	s_and_saveexec_b64 s[6:7], s[2:3]
	s_cbranch_execz .LBB116_23
; %bb.22:
	ds_read_b32 v11, v6 offset:512
.LBB116_23:
	s_or_b64 exec, exec, s[6:7]
	v_xor_b32_e32 v9, 1, v2
	v_cmp_lt_i32_e64 s[6:7], v9, v3
	v_lshlrev_b32_e32 v13, 2, v2
	s_nop 0
	v_cndmask_b32_e64 v9, v2, v9, s[6:7]
	v_lshlrev_b32_e32 v9, 2, v9
	s_waitcnt lgkmcnt(0)
	ds_bpermute_b32 v12, v9, v11
	v_max_f32_e32 v11, v11, v11
	s_lshl_b32 s6, s16, 3
	s_min_i32 s15, s6, s33
	v_cmp_gt_i32_e64 s[6:7], s15, v0
	s_waitcnt lgkmcnt(0)
	v_max_f32_e32 v12, v12, v12
	v_max_f32_e32 v12, v11, v12
	v_and_b32_e32 v11, 0x100, v13
	ds_bpermute_b32 v13, v11, v12
	v_mov_b32_e32 v12, 0
	s_and_saveexec_b64 s[20:21], s[6:7]
	s_cbranch_execz .LBB116_27
; %bb.24:
	v_mov_b32_e32 v12, 0x210
	v_lshl_add_u32 v14, v0, 2, v12
	s_mov_b64 s[22:23], 0
	v_mov_b32_e32 v12, 0
	v_mov_b32_e32 v15, v0
.LBB116_25:                             ; =>This Inner Loop Header: Depth=1
	ds_read_b32 v16, v14
	v_add_u32_e32 v15, 0x80, v15
	v_cmp_le_i32_e64 s[8:9], s15, v15
	s_or_b64 s[22:23], s[8:9], s[22:23]
	s_waitcnt lgkmcnt(0)
	v_sub_f32_e32 v16, v16, v13
	v_mul_f32_e32 v16, 0x3fb8aa3b, v16
	v_exp_f32_e32 v16, v16
	ds_write_b32 v14, v16
	v_add_f32_e32 v12, v12, v16
	v_add_u32_e32 v14, 0x200, v14
	s_andn2_b64 exec, exec, s[22:23]
	s_cbranch_execnz .LBB116_25
; %bb.26:
	s_or_b64 exec, exec, s[22:23]
.LBB116_27:
	s_or_b64 exec, exec, s[20:21]
	ds_bpermute_b32 v5, v5, v12
	s_waitcnt lgkmcnt(0)
	v_add_f32_e32 v5, v12, v5
	ds_bpermute_b32 v7, v7, v5
	s_waitcnt lgkmcnt(0)
	v_add_f32_e32 v5, v5, v7
	ds_bpermute_b32 v7, v10, v5
	v_xor_b32_e32 v10, 4, v2
	v_cmp_lt_i32_e64 s[8:9], v10, v3
	s_waitcnt lgkmcnt(0)
	v_add_f32_e32 v5, v5, v7
	v_cndmask_b32_e64 v10, v2, v10, s[8:9]
	v_lshlrev_b32_e32 v10, 2, v10
	ds_bpermute_b32 v7, v10, v5
	v_xor_b32_e32 v10, 2, v2
	v_cmp_lt_i32_e64 s[8:9], v10, v3
	s_waitcnt lgkmcnt(0)
	v_add_f32_e32 v3, v5, v7
	v_cndmask_b32_e64 v2, v2, v10, s[8:9]
	v_lshlrev_b32_e32 v2, 2, v2
	ds_bpermute_b32 v2, v2, v3
	s_waitcnt lgkmcnt(0)
	v_add_f32_e32 v2, v3, v2
	ds_bpermute_b32 v3, v9, v2
	s_waitcnt lgkmcnt(0)
	v_add_f32_e32 v2, v2, v3
	s_and_saveexec_b64 s[8:9], vcc
	s_cbranch_execz .LBB116_29
; %bb.28:
	ds_write_b32 v4, v2 offset:520
.LBB116_29:
	s_or_b64 exec, exec, s[8:9]
	s_waitcnt lgkmcnt(0)
	s_barrier
	s_and_saveexec_b64 s[8:9], s[2:3]
	s_cbranch_execz .LBB116_31
; %bb.30:
	ds_read_b32 v2, v6 offset:520
.LBB116_31:
	s_or_b64 exec, exec, s[8:9]
	s_waitcnt lgkmcnt(0)
	ds_bpermute_b32 v3, v9, v2
	s_waitcnt lgkmcnt(0)
	v_add_f32_e32 v2, v2, v3
	ds_bpermute_b32 v2, v11, v2
	s_and_saveexec_b64 s[2:3], s[6:7]
	s_cbranch_execz .LBB116_44
; %bb.32:
	s_waitcnt lgkmcnt(0)
	v_add_f32_e32 v2, 0x358637bd, v2
	v_div_scale_f32 v3, s[6:7], v2, v2, 1.0
	v_rcp_f32_e32 v4, v3
	v_div_scale_f32 v5, vcc, 1.0, v2, 1.0
	s_movk_i32 s6, 0x7f
	v_fma_f32 v6, -v3, v4, 1.0
	v_fmac_f32_e32 v4, v6, v4
	v_mul_f32_e32 v6, v5, v4
	v_fma_f32 v7, -v3, v6, v5
	v_fmac_f32_e32 v6, v7, v4
	v_fma_f32 v3, -v3, v6, v5
	v_div_fmas_f32 v3, v3, v4, v6
	v_xad_u32 v4, v0, -1, s15
	v_div_fixup_f32 v2, v3, v2, 1.0
	v_cmp_lt_u32_e32 vcc, s6, v4
	s_mov_b64 s[8:9], -1
	v_mov_b32_e32 v3, v0
	s_and_saveexec_b64 s[6:7], vcc
	s_cbranch_execz .LBB116_41
; %bb.33:
	v_lshrrev_b32_e32 v4, 7, v4
	v_add_u32_e32 v6, -1, v4
	v_lshrrev_b32_e32 v5, 1, v6
	v_mov_b32_e32 v3, v2
	v_add_u32_e32 v5, 1, v5
	v_cmp_lt_u32_e32 vcc, 13, v6
	v_mov_b32_e32 v9, 0
	s_and_saveexec_b64 s[8:9], vcc
	s_cbranch_execz .LBB116_37
; %bb.34:
	v_mov_b32_e32 v7, 0x210
	v_and_b32_e32 v6, -8, v5
	v_lshl_add_u32 v7, v0, 2, v7
	s_mov_b32 s22, 0
	s_mov_b64 s[20:21], 0
.LBB116_35:                             ; =>This Inner Loop Header: Depth=1
	ds_read2st64_b32 v[10:11], v7 offset1:2
	ds_read2st64_b32 v[12:13], v7 offset0:4 offset1:6
	ds_read2st64_b32 v[14:15], v7 offset0:8 offset1:10
	;; [unrolled: 1-line block ×3, first 2 shown]
	v_add_u32_e32 v6, -8, v6
	s_waitcnt lgkmcnt(3)
	v_pk_mul_f32 v[10:11], v[2:3], v[10:11]
	s_waitcnt lgkmcnt(2)
	v_pk_mul_f32 v[12:13], v[2:3], v[12:13]
	ds_write2st64_b32 v7, v10, v11 offset1:2
	ds_write2st64_b32 v7, v12, v13 offset0:4 offset1:6
	ds_read2st64_b32 v[12:13], v7 offset0:16 offset1:18
	s_waitcnt lgkmcnt(4)
	v_pk_mul_f32 v[10:11], v[2:3], v[14:15]
	ds_write2st64_b32 v7, v10, v11 offset0:8 offset1:10
	s_waitcnt lgkmcnt(4)
	v_pk_mul_f32 v[10:11], v[2:3], v[16:17]
	ds_write2st64_b32 v7, v10, v11 offset0:12 offset1:14
	ds_read2st64_b32 v[10:11], v7 offset0:20 offset1:22
	s_waitcnt lgkmcnt(3)
	v_pk_mul_f32 v[12:13], v[2:3], v[12:13]
	ds_read2st64_b32 v[14:15], v7 offset0:24 offset1:26
	ds_write2st64_b32 v7, v12, v13 offset0:16 offset1:18
	ds_read2st64_b32 v[12:13], v7 offset0:28 offset1:30
	s_waitcnt lgkmcnt(3)
	v_pk_mul_f32 v[10:11], v[2:3], v[10:11]
	ds_write2st64_b32 v7, v10, v11 offset0:20 offset1:22
	s_waitcnt lgkmcnt(3)
	v_pk_mul_f32 v[10:11], v[2:3], v[14:15]
	ds_write2st64_b32 v7, v10, v11 offset0:24 offset1:26
	s_waitcnt lgkmcnt(2)
	v_pk_mul_f32 v[10:11], v[2:3], v[12:13]
	s_add_i32 s22, s22, 16
	v_cmp_eq_u32_e32 vcc, 0, v6
	ds_write2st64_b32 v7, v10, v11 offset0:28 offset1:30
	v_add_u32_e32 v7, 0x2000, v7
	s_or_b64 s[20:21], vcc, s[20:21]
	v_mov_b32_e32 v9, s22
	s_andn2_b64 exec, exec, s[20:21]
	s_cbranch_execnz .LBB116_35
; %bb.36:
	s_or_b64 exec, exec, s[20:21]
.LBB116_37:
	s_or_b64 exec, exec, s[8:9]
	v_and_b32_e32 v5, 7, v5
	v_cmp_ne_u32_e32 vcc, 0, v5
	s_and_saveexec_b64 s[8:9], vcc
	s_cbranch_execz .LBB116_40
; %bb.38:
	v_lshlrev_b32_e32 v6, 9, v9
	v_lshlrev_b32_e32 v7, 2, v0
	s_movk_i32 s20, 0x210
	v_add3_u32 v6, v6, v7, s20
	s_mov_b64 s[20:21], 0
.LBB116_39:                             ; =>This Inner Loop Header: Depth=1
	ds_read2st64_b32 v[10:11], v6 offset1:2
	v_add_u32_e32 v5, -1, v5
	v_cmp_eq_u32_e32 vcc, 0, v5
	s_or_b64 s[20:21], vcc, s[20:21]
	s_waitcnt lgkmcnt(0)
	v_pk_mul_f32 v[10:11], v[2:3], v[10:11]
	ds_write2st64_b32 v6, v10, v11 offset1:2
	v_add_u32_e32 v6, 0x400, v6
	s_andn2_b64 exec, exec, s[20:21]
	s_cbranch_execnz .LBB116_39
.LBB116_40:
	s_or_b64 exec, exec, s[8:9]
	v_add_u32_e32 v4, 1, v4
	v_and_b32_e32 v5, 0x3fffffe, v4
	v_cmp_ne_u32_e32 vcc, v4, v5
	v_lshl_add_u32 v3, v5, 7, v0
	s_orn2_b64 s[8:9], vcc, exec
.LBB116_41:
	s_or_b64 exec, exec, s[6:7]
	s_and_b64 exec, exec, s[8:9]
	s_cbranch_execz .LBB116_44
; %bb.42:
	v_mov_b32_e32 v4, 0x210
	v_lshl_add_u32 v4, v3, 2, v4
	s_mov_b64 s[6:7], 0
.LBB116_43:                             ; =>This Inner Loop Header: Depth=1
	ds_read_b32 v5, v4
	v_add_u32_e32 v3, 0x80, v3
	v_cmp_le_i32_e32 vcc, s15, v3
	s_or_b64 s[6:7], vcc, s[6:7]
	s_waitcnt lgkmcnt(0)
	v_mul_f32_e32 v5, v2, v5
	ds_write_b32 v4, v5
	v_add_u32_e32 v4, 0x200, v4
	s_andn2_b64 exec, exec, s[6:7]
	s_cbranch_execnz .LBB116_43
.LBB116_44:
	s_or_b64 exec, exec, s[2:3]
	s_mov_b32 s20, 0
	s_mov_b32 s21, s20
	s_mov_b32 s22, s20
	s_mov_b32 s23, s20
	s_waitcnt lgkmcnt(0)
	v_mov_b64_e32 v[2:3], s[20:21]
	v_mov_b64_e32 v[4:5], s[22:23]
	s_barrier
	s_and_saveexec_b64 s[2:3], s[0:1]
	s_cbranch_execz .LBB116_218
; %bb.45:
	s_ashr_i32 s15, s14, 31
	s_sub_i32 s17, s41, s17
	s_lshl_b64 s[0:1], s[14:15], 1
	s_add_u32 s0, s10, s0
	s_addc_u32 s1, s11, s1
	s_abs_i32 s14, s18
	v_cvt_f32_u32_e32 v2, s14
	v_mov_b32_e32 v15, 0
	v_lshlrev_b32_e32 v14, 4, v21
	s_sub_i32 s6, 0, s14
	v_rcp_iflag_f32_e32 v2, v2
	s_add_i32 s15, s16, -1
	v_lshl_add_u64 v[16:17], s[0:1], 0, v[14:15]
	s_lshl_b64 s[0:1], s[34:35], 2
	v_mul_f32_e32 v2, 0x4f7ffffe, v2
	v_cvt_u32_f32_e32 v2, v2
	s_add_u32 s0, s30, s0
	v_and_b32_e32 v14, 60, v8
	s_addc_u32 s1, s31, s1
	v_mul_lo_u32 v3, s6, v2
	v_mul_hi_u32 v3, v2, v3
	v_add_u32_e32 v22, v2, v3
	v_mov_b32_e32 v2, 0x210
	v_lshl_add_u64 v[18:19], s[0:1], 0, v[14:15]
	v_lshl_add_u32 v14, v1, 5, v2
	v_mov_b64_e32 v[2:3], s[20:21]
	s_mov_b64 s[6:7], 0
	v_mov_b64_e32 v[4:5], s[22:23]
	s_mov_b32 s18, 0x7f800000
	s_movk_i32 s20, 0x7fff
	s_branch .LBB116_48
.LBB116_46:                             ;   in Loop: Header=BB116_48 Depth=1
	s_or_b64 exec, exec, s[0:1]
	v_and_b32_e32 v30, 0xffff0000, v26
	v_and_b32_e32 v26, 0xffff0000, v25
	;; [unrolled: 1-line block ×8, first 2 shown]
	v_pk_add_f32 v[12:13], v[12:13], v[24:25]
	v_pk_add_f32 v[24:25], v[26:27], v[30:31]
	v_add_f32_e32 v12, v12, v13
	v_add_f32_e32 v12, v12, v24
	;; [unrolled: 1-line block ×3, first 2 shown]
	v_and_b32_e32 v27, 0xffff0000, v47
	v_and_b32_e32 v26, 0xffff0000, v45
	;; [unrolled: 1-line block ×4, first 2 shown]
	v_add_f32_e32 v2, v2, v12
	v_and_b32_e32 v13, 0xffff0000, v51
	v_and_b32_e32 v12, 0xffff0000, v49
	;; [unrolled: 1-line block ×4, first 2 shown]
	v_pk_add_f32 v[26:27], v[30:31], v[26:27]
	v_pk_add_f32 v[12:13], v[24:25], v[12:13]
	v_add_f32_e32 v23, v26, v27
	v_add_f32_e32 v12, v23, v12
	;; [unrolled: 1-line block ×3, first 2 shown]
	v_and_b32_e32 v27, 0xffff0000, v55
	v_and_b32_e32 v26, 0xffff0000, v53
	;; [unrolled: 1-line block ×4, first 2 shown]
	v_add_f32_e32 v3, v3, v12
	v_and_b32_e32 v13, 0xffff0000, v59
	v_and_b32_e32 v12, 0xffff0000, v57
	;; [unrolled: 1-line block ×4, first 2 shown]
	v_pk_add_f32 v[26:27], v[30:31], v[26:27]
	v_pk_add_f32 v[12:13], v[24:25], v[12:13]
	v_add_f32_e32 v23, v26, v27
	v_add_f32_e32 v12, v23, v12
	;; [unrolled: 1-line block ×3, first 2 shown]
	v_and_b32_e32 v13, 0xffff0000, v11
	v_and_b32_e32 v11, 0xffff0000, v28
	;; [unrolled: 1-line block ×5, first 2 shown]
	v_add_f32_e32 v4, v4, v12
	v_and_b32_e32 v12, 0xffff0000, v29
	v_and_b32_e32 v9, 0xffff0000, v9
	;; [unrolled: 1-line block ×3, first 2 shown]
	v_pk_add_f32 v[6:7], v[6:7], v[10:11]
	v_pk_add_f32 v[8:9], v[8:9], v[12:13]
	v_add_f32_e32 v6, v6, v7
	v_add_f32_e32 v6, v6, v8
	;; [unrolled: 1-line block ×4, first 2 shown]
.LBB116_47:                             ;   in Loop: Header=BB116_48 Depth=1
	s_or_b64 exec, exec, s[8:9]
	v_add_u32_e32 v1, 2, v1
	v_cmp_le_i32_e32 vcc, s16, v1
	v_lshl_add_u64 v[18:19], v[18:19], 0, 8
	v_add_u32_e32 v20, 16, v20
	s_or_b64 s[6:7], vcc, s[6:7]
	v_add_u32_e32 v14, 64, v14
	s_andn2_b64 exec, exec, s[6:7]
	s_cbranch_execz .LBB116_217
.LBB116_48:                             ; =>This Inner Loop Header: Depth=1
	v_mul_hi_u32 v6, v20, s29
	v_mul_lo_u32 v7, v6, s12
	v_sub_u32_e32 v7, v20, v7
	v_add_u32_e32 v8, 1, v6
	v_cmp_le_u32_e32 vcc, s12, v7
	s_nop 1
	v_cndmask_b32_e32 v6, v6, v8, vcc
	v_subrev_u32_e32 v8, s12, v7
	v_cndmask_b32_e32 v7, v7, v8, vcc
	v_add_u32_e32 v8, 1, v6
	v_cmp_le_u32_e32 vcc, s12, v7
	s_nop 1
	v_cndmask_b32_e32 v6, v6, v8, vcc
	v_xor_b32_e32 v6, s19, v6
	v_subrev_u32_e32 v6, s19, v6
	v_add_u32_e32 v7, s40, v6
	v_sub_u32_e32 v9, 0, v7
	v_ashrrev_i32_e32 v8, 31, v7
	v_max_i32_e32 v7, v7, v9
	v_mul_hi_u32 v9, v7, v22
	v_mul_lo_u32 v9, v9, s14
	v_sub_u32_e32 v7, v7, v9
	v_subrev_u32_e32 v9, s14, v7
	v_cmp_le_u32_e32 vcc, s14, v7
	v_cmp_lt_i32_e64 s[0:1], s17, v6
	s_nop 0
	v_cndmask_b32_e32 v7, v7, v9, vcc
	v_subrev_u32_e32 v9, s14, v7
	v_cmp_le_u32_e32 vcc, s14, v7
	s_nop 1
	v_cndmask_b32_e32 v7, v7, v9, vcc
	v_xor_b32_e32 v7, v7, v8
	v_sub_u32_e32 v7, v7, v8
	v_cmp_eq_u32_e32 vcc, 0, v7
	s_or_b64 s[0:1], vcc, s[0:1]
	s_and_saveexec_b64 s[8:9], s[0:1]
	s_cbranch_execz .LBB116_47
; %bb.49:                               ;   in Loop: Header=BB116_48 Depth=1
	global_load_dword v28, v[18:19], off
	ds_read2_b64 v[10:13], v14 offset1:1
	ds_read2_b64 v[6:9], v14 offset0:2 offset1:3
                                        ; implicit-def: $vgpr36
	s_waitcnt lgkmcnt(1)
	v_and_b32_e32 v23, 0x7f800000, v10
	v_cmp_ne_u32_e32 vcc, s18, v23
	s_and_saveexec_b64 s[0:1], vcc
	s_xor_b64 s[0:1], exec, s[0:1]
; %bb.50:                               ;   in Loop: Header=BB116_48 Depth=1
	v_bfe_u32 v23, v10, 16, 1
	v_add3_u32 v36, v10, v23, s20
; %bb.51:                               ;   in Loop: Header=BB116_48 Depth=1
	s_andn2_saveexec_b64 s[0:1], s[0:1]
; %bb.52:                               ;   in Loop: Header=BB116_48 Depth=1
	v_or_b32_e32 v23, 0x10000, v10
	v_cmp_eq_u32_sdwa vcc, v10, v15 src0_sel:WORD_0 src1_sel:DWORD
	s_nop 1
	v_cndmask_b32_e32 v36, v23, v10, vcc
; %bb.53:                               ;   in Loop: Header=BB116_48 Depth=1
	s_or_b64 exec, exec, s[0:1]
	v_and_b32_e32 v10, 0x7f800000, v11
	v_cmp_ne_u32_e32 vcc, s18, v10
                                        ; implicit-def: $vgpr37
	s_and_saveexec_b64 s[0:1], vcc
	s_xor_b64 s[0:1], exec, s[0:1]
; %bb.54:                               ;   in Loop: Header=BB116_48 Depth=1
	v_bfe_u32 v10, v11, 16, 1
	v_add3_u32 v37, v11, v10, s20
; %bb.55:                               ;   in Loop: Header=BB116_48 Depth=1
	s_andn2_saveexec_b64 s[0:1], s[0:1]
; %bb.56:                               ;   in Loop: Header=BB116_48 Depth=1
	v_or_b32_e32 v10, 0x10000, v11
	v_cmp_eq_u32_sdwa vcc, v11, v15 src0_sel:WORD_0 src1_sel:DWORD
	s_nop 1
	v_cndmask_b32_e32 v37, v10, v11, vcc
; %bb.57:                               ;   in Loop: Header=BB116_48 Depth=1
	s_or_b64 exec, exec, s[0:1]
	v_and_b32_e32 v10, 0x7f800000, v12
	v_cmp_ne_u32_e32 vcc, s18, v10
                                        ; implicit-def: $vgpr23
	s_and_saveexec_b64 s[0:1], vcc
	s_xor_b64 s[0:1], exec, s[0:1]
; %bb.58:                               ;   in Loop: Header=BB116_48 Depth=1
	v_bfe_u32 v10, v12, 16, 1
	v_add3_u32 v23, v12, v10, s20
; %bb.59:                               ;   in Loop: Header=BB116_48 Depth=1
	s_andn2_saveexec_b64 s[0:1], s[0:1]
; %bb.60:                               ;   in Loop: Header=BB116_48 Depth=1
	v_or_b32_e32 v10, 0x10000, v12
	v_cmp_eq_u32_sdwa vcc, v12, v15 src0_sel:WORD_0 src1_sel:DWORD
	s_nop 1
	v_cndmask_b32_e32 v23, v10, v12, vcc
; %bb.61:                               ;   in Loop: Header=BB116_48 Depth=1
	s_or_b64 exec, exec, s[0:1]
	v_and_b32_e32 v10, 0x7f800000, v13
	v_cmp_ne_u32_e32 vcc, s18, v10
                                        ; implicit-def: $vgpr24
	s_and_saveexec_b64 s[0:1], vcc
	s_xor_b64 s[0:1], exec, s[0:1]
; %bb.62:                               ;   in Loop: Header=BB116_48 Depth=1
	v_bfe_u32 v10, v13, 16, 1
	v_add3_u32 v24, v13, v10, s20
                                        ; implicit-def: $vgpr10_vgpr11_vgpr12_vgpr13
; %bb.63:                               ;   in Loop: Header=BB116_48 Depth=1
	s_andn2_saveexec_b64 s[0:1], s[0:1]
; %bb.64:                               ;   in Loop: Header=BB116_48 Depth=1
	v_or_b32_e32 v10, 0x10000, v13
	v_cmp_eq_u32_sdwa vcc, v13, v15 src0_sel:WORD_0 src1_sel:DWORD
	s_nop 1
	v_cndmask_b32_e32 v24, v10, v13, vcc
; %bb.65:                               ;   in Loop: Header=BB116_48 Depth=1
	s_or_b64 exec, exec, s[0:1]
	s_waitcnt lgkmcnt(0)
	v_and_b32_e32 v10, 0x7f800000, v6
	v_cmp_ne_u32_e32 vcc, s18, v10
                                        ; implicit-def: $vgpr25
	s_and_saveexec_b64 s[0:1], vcc
	s_xor_b64 s[0:1], exec, s[0:1]
; %bb.66:                               ;   in Loop: Header=BB116_48 Depth=1
	v_bfe_u32 v10, v6, 16, 1
	v_add3_u32 v25, v6, v10, s20
; %bb.67:                               ;   in Loop: Header=BB116_48 Depth=1
	s_andn2_saveexec_b64 s[0:1], s[0:1]
; %bb.68:                               ;   in Loop: Header=BB116_48 Depth=1
	v_or_b32_e32 v10, 0x10000, v6
	v_cmp_eq_u32_sdwa vcc, v6, v15 src0_sel:WORD_0 src1_sel:DWORD
	s_nop 1
	v_cndmask_b32_e32 v25, v10, v6, vcc
; %bb.69:                               ;   in Loop: Header=BB116_48 Depth=1
	s_or_b64 exec, exec, s[0:1]
	v_and_b32_e32 v6, 0x7f800000, v7
	v_cmp_ne_u32_e32 vcc, s18, v6
                                        ; implicit-def: $vgpr26
	s_and_saveexec_b64 s[0:1], vcc
	s_xor_b64 s[0:1], exec, s[0:1]
; %bb.70:                               ;   in Loop: Header=BB116_48 Depth=1
	v_bfe_u32 v6, v7, 16, 1
	v_add3_u32 v26, v7, v6, s20
; %bb.71:                               ;   in Loop: Header=BB116_48 Depth=1
	s_andn2_saveexec_b64 s[0:1], s[0:1]
; %bb.72:                               ;   in Loop: Header=BB116_48 Depth=1
	v_or_b32_e32 v6, 0x10000, v7
	v_cmp_eq_u32_sdwa vcc, v7, v15 src0_sel:WORD_0 src1_sel:DWORD
	s_nop 1
	v_cndmask_b32_e32 v26, v6, v7, vcc
; %bb.73:                               ;   in Loop: Header=BB116_48 Depth=1
	s_or_b64 exec, exec, s[0:1]
	v_and_b32_e32 v6, 0x7f800000, v8
	v_cmp_ne_u32_e32 vcc, s18, v6
                                        ; implicit-def: $vgpr27
	s_and_saveexec_b64 s[0:1], vcc
	s_xor_b64 s[0:1], exec, s[0:1]
; %bb.74:                               ;   in Loop: Header=BB116_48 Depth=1
	v_bfe_u32 v6, v8, 16, 1
	v_add3_u32 v27, v8, v6, s20
; %bb.75:                               ;   in Loop: Header=BB116_48 Depth=1
	s_andn2_saveexec_b64 s[0:1], s[0:1]
; %bb.76:                               ;   in Loop: Header=BB116_48 Depth=1
	v_or_b32_e32 v6, 0x10000, v8
	v_cmp_eq_u32_sdwa vcc, v8, v15 src0_sel:WORD_0 src1_sel:DWORD
	s_nop 1
	v_cndmask_b32_e32 v27, v6, v8, vcc
; %bb.77:                               ;   in Loop: Header=BB116_48 Depth=1
	s_or_b64 exec, exec, s[0:1]
	v_and_b32_e32 v6, 0x7f800000, v9
	v_cmp_ne_u32_e32 vcc, s18, v6
                                        ; implicit-def: $vgpr35
	s_and_saveexec_b64 s[0:1], vcc
	s_xor_b64 s[0:1], exec, s[0:1]
; %bb.78:                               ;   in Loop: Header=BB116_48 Depth=1
	v_bfe_u32 v6, v9, 16, 1
	v_add3_u32 v35, v9, v6, s20
                                        ; implicit-def: $vgpr6_vgpr7_vgpr8_vgpr9
; %bb.79:                               ;   in Loop: Header=BB116_48 Depth=1
	s_andn2_saveexec_b64 s[0:1], s[0:1]
; %bb.80:                               ;   in Loop: Header=BB116_48 Depth=1
	v_or_b32_e32 v6, 0x10000, v9
	v_cmp_eq_u32_sdwa vcc, v9, v15 src0_sel:WORD_0 src1_sel:DWORD
	s_nop 1
	v_cndmask_b32_e32 v35, v6, v9, vcc
; %bb.81:                               ;   in Loop: Header=BB116_48 Depth=1
	s_or_b64 exec, exec, s[0:1]
	s_waitcnt vmcnt(0)
	v_mad_i64_i32 v[6:7], s[0:1], v28, s13, 0
	v_lshl_add_u64 v[10:11], v[6:7], 1, v[16:17]
	global_load_dwordx4 v[6:9], v[10:11], off
	v_cmp_eq_u32_e32 vcc, s15, v1
	v_add_u32_e32 v34, 1, v20
	v_add_u32_e32 v33, 2, v20
	;; [unrolled: 1-line block ×7, first 2 shown]
	s_waitcnt vmcnt(0)
	v_lshrrev_b32_e32 v13, 16, v6
	v_lshrrev_b32_e32 v40, 16, v7
	;; [unrolled: 1-line block ×4, first 2 shown]
	s_and_saveexec_b64 s[10:11], vcc
	s_cbranch_execz .LBB116_83
; %bb.82:                               ;   in Loop: Header=BB116_48 Depth=1
	v_cmp_gt_i32_e64 s[0:1], s33, v20
	s_nop 1
	v_cndmask_b32_e64 v6, 0, v6, s[0:1]
	v_cmp_gt_i32_e64 s[0:1], s33, v34
	s_nop 1
	v_cndmask_b32_e64 v13, 0, v13, s[0:1]
	;; [unrolled: 3-line block ×8, first 2 shown]
.LBB116_83:                             ;   in Loop: Header=BB116_48 Depth=1
	s_or_b64 exec, exec, s[10:11]
	v_and_b32_e32 v36, 0xffff0000, v36
	v_lshlrev_b32_e32 v6, 16, v6
	v_mul_f32_e32 v6, v36, v6
	v_and_b32_e32 v12, 0x7f800000, v6
	v_cmp_ne_u32_e64 s[0:1], s18, v12
                                        ; implicit-def: $vgpr12
	s_and_saveexec_b64 s[10:11], s[0:1]
	s_xor_b64 s[0:1], exec, s[10:11]
; %bb.84:                               ;   in Loop: Header=BB116_48 Depth=1
	v_bfe_u32 v12, v6, 16, 1
	v_add3_u32 v12, v6, v12, s20
                                        ; implicit-def: $vgpr6
; %bb.85:                               ;   in Loop: Header=BB116_48 Depth=1
	s_andn2_saveexec_b64 s[10:11], s[0:1]
; %bb.86:                               ;   in Loop: Header=BB116_48 Depth=1
	v_or_b32_e32 v12, 0x10000, v6
	v_cmp_eq_u32_sdwa s[0:1], v6, v15 src0_sel:WORD_0 src1_sel:DWORD
	s_nop 1
	v_cndmask_b32_e64 v12, v12, v6, s[0:1]
; %bb.87:                               ;   in Loop: Header=BB116_48 Depth=1
	s_or_b64 exec, exec, s[10:11]
	v_and_b32_e32 v37, 0xffff0000, v37
	v_lshlrev_b32_e32 v6, 16, v13
	v_mul_f32_e32 v6, v37, v6
	v_and_b32_e32 v13, 0x7f800000, v6
	v_cmp_ne_u32_e64 s[0:1], s18, v13
                                        ; implicit-def: $vgpr13
	s_and_saveexec_b64 s[10:11], s[0:1]
	s_xor_b64 s[0:1], exec, s[10:11]
; %bb.88:                               ;   in Loop: Header=BB116_48 Depth=1
	v_bfe_u32 v13, v6, 16, 1
	v_add3_u32 v13, v6, v13, s20
                                        ; implicit-def: $vgpr6
; %bb.89:                               ;   in Loop: Header=BB116_48 Depth=1
	s_andn2_saveexec_b64 s[10:11], s[0:1]
; %bb.90:                               ;   in Loop: Header=BB116_48 Depth=1
	v_or_b32_e32 v13, 0x10000, v6
	v_cmp_eq_u32_sdwa s[0:1], v6, v15 src0_sel:WORD_0 src1_sel:DWORD
	s_nop 1
	v_cndmask_b32_e64 v13, v13, v6, s[0:1]
; %bb.91:                               ;   in Loop: Header=BB116_48 Depth=1
	s_or_b64 exec, exec, s[10:11]
	v_and_b32_e32 v38, 0xffff0000, v23
	v_lshlrev_b32_e32 v6, 16, v7
	v_mul_f32_e32 v6, v38, v6
	v_and_b32_e32 v7, 0x7f800000, v6
	v_cmp_ne_u32_e64 s[0:1], s18, v7
                                        ; implicit-def: $vgpr23
	s_and_saveexec_b64 s[10:11], s[0:1]
	s_xor_b64 s[0:1], exec, s[10:11]
; %bb.92:                               ;   in Loop: Header=BB116_48 Depth=1
	v_bfe_u32 v7, v6, 16, 1
	v_add3_u32 v23, v6, v7, s20
                                        ; implicit-def: $vgpr6
; %bb.93:                               ;   in Loop: Header=BB116_48 Depth=1
	s_andn2_saveexec_b64 s[10:11], s[0:1]
; %bb.94:                               ;   in Loop: Header=BB116_48 Depth=1
	v_or_b32_e32 v7, 0x10000, v6
	v_cmp_eq_u32_sdwa s[0:1], v6, v15 src0_sel:WORD_0 src1_sel:DWORD
	s_nop 1
	v_cndmask_b32_e64 v23, v7, v6, s[0:1]
; %bb.95:                               ;   in Loop: Header=BB116_48 Depth=1
	s_or_b64 exec, exec, s[10:11]
	v_and_b32_e32 v39, 0xffff0000, v24
	v_lshlrev_b32_e32 v6, 16, v40
	v_mul_f32_e32 v6, v39, v6
	v_and_b32_e32 v7, 0x7f800000, v6
	v_cmp_ne_u32_e64 s[0:1], s18, v7
                                        ; implicit-def: $vgpr24
	s_and_saveexec_b64 s[10:11], s[0:1]
	s_xor_b64 s[0:1], exec, s[10:11]
; %bb.96:                               ;   in Loop: Header=BB116_48 Depth=1
	v_bfe_u32 v7, v6, 16, 1
	v_add3_u32 v24, v6, v7, s20
                                        ; implicit-def: $vgpr6
; %bb.97:                               ;   in Loop: Header=BB116_48 Depth=1
	s_andn2_saveexec_b64 s[10:11], s[0:1]
; %bb.98:                               ;   in Loop: Header=BB116_48 Depth=1
	v_or_b32_e32 v7, 0x10000, v6
	v_cmp_eq_u32_sdwa s[0:1], v6, v15 src0_sel:WORD_0 src1_sel:DWORD
	s_nop 1
	v_cndmask_b32_e64 v24, v7, v6, s[0:1]
; %bb.99:                               ;   in Loop: Header=BB116_48 Depth=1
	s_or_b64 exec, exec, s[10:11]
	v_and_b32_e32 v40, 0xffff0000, v25
	v_lshlrev_b32_e32 v6, 16, v8
	v_mul_f32_e32 v6, v40, v6
	v_and_b32_e32 v7, 0x7f800000, v6
	v_cmp_ne_u32_e64 s[0:1], s18, v7
                                        ; implicit-def: $vgpr25
	s_and_saveexec_b64 s[10:11], s[0:1]
	s_xor_b64 s[0:1], exec, s[10:11]
; %bb.100:                              ;   in Loop: Header=BB116_48 Depth=1
	v_bfe_u32 v7, v6, 16, 1
	v_add3_u32 v25, v6, v7, s20
                                        ; implicit-def: $vgpr6
; %bb.101:                              ;   in Loop: Header=BB116_48 Depth=1
	s_andn2_saveexec_b64 s[10:11], s[0:1]
; %bb.102:                              ;   in Loop: Header=BB116_48 Depth=1
	v_or_b32_e32 v7, 0x10000, v6
	v_cmp_eq_u32_sdwa s[0:1], v6, v15 src0_sel:WORD_0 src1_sel:DWORD
	s_nop 1
	v_cndmask_b32_e64 v25, v7, v6, s[0:1]
; %bb.103:                              ;   in Loop: Header=BB116_48 Depth=1
	s_or_b64 exec, exec, s[10:11]
	v_and_b32_e32 v41, 0xffff0000, v26
	v_lshlrev_b32_e32 v6, 16, v42
	v_mul_f32_e32 v6, v41, v6
	v_and_b32_e32 v7, 0x7f800000, v6
	v_cmp_ne_u32_e64 s[0:1], s18, v7
                                        ; implicit-def: $vgpr26
	s_and_saveexec_b64 s[10:11], s[0:1]
	s_xor_b64 s[0:1], exec, s[10:11]
; %bb.104:                              ;   in Loop: Header=BB116_48 Depth=1
	v_bfe_u32 v7, v6, 16, 1
	v_add3_u32 v26, v6, v7, s20
                                        ; implicit-def: $vgpr6
; %bb.105:                              ;   in Loop: Header=BB116_48 Depth=1
	s_andn2_saveexec_b64 s[10:11], s[0:1]
; %bb.106:                              ;   in Loop: Header=BB116_48 Depth=1
	v_or_b32_e32 v7, 0x10000, v6
	v_cmp_eq_u32_sdwa s[0:1], v6, v15 src0_sel:WORD_0 src1_sel:DWORD
	s_nop 1
	v_cndmask_b32_e64 v26, v7, v6, s[0:1]
; %bb.107:                              ;   in Loop: Header=BB116_48 Depth=1
	s_or_b64 exec, exec, s[10:11]
	v_and_b32_e32 v42, 0xffff0000, v27
	v_lshlrev_b32_e32 v6, 16, v9
	v_mul_f32_e32 v6, v42, v6
	v_and_b32_e32 v7, 0x7f800000, v6
	v_cmp_ne_u32_e64 s[0:1], s18, v7
                                        ; implicit-def: $vgpr27
	s_and_saveexec_b64 s[10:11], s[0:1]
	s_xor_b64 s[0:1], exec, s[10:11]
; %bb.108:                              ;   in Loop: Header=BB116_48 Depth=1
	v_bfe_u32 v7, v6, 16, 1
	v_add3_u32 v27, v6, v7, s20
                                        ; implicit-def: $vgpr6
; %bb.109:                              ;   in Loop: Header=BB116_48 Depth=1
	s_andn2_saveexec_b64 s[10:11], s[0:1]
; %bb.110:                              ;   in Loop: Header=BB116_48 Depth=1
	v_or_b32_e32 v7, 0x10000, v6
	v_cmp_eq_u32_sdwa s[0:1], v6, v15 src0_sel:WORD_0 src1_sel:DWORD
	s_nop 1
	v_cndmask_b32_e64 v27, v7, v6, s[0:1]
; %bb.111:                              ;   in Loop: Header=BB116_48 Depth=1
	s_or_b64 exec, exec, s[10:11]
	v_and_b32_e32 v43, 0xffff0000, v35
	v_lshlrev_b32_e32 v6, 16, v44
	v_mul_f32_e32 v6, v43, v6
	v_and_b32_e32 v7, 0x7f800000, v6
	v_cmp_ne_u32_e64 s[0:1], s18, v7
                                        ; implicit-def: $vgpr35
	s_and_saveexec_b64 s[10:11], s[0:1]
	s_xor_b64 s[0:1], exec, s[10:11]
; %bb.112:                              ;   in Loop: Header=BB116_48 Depth=1
	v_bfe_u32 v7, v6, 16, 1
	v_add3_u32 v35, v6, v7, s20
                                        ; implicit-def: $vgpr6
; %bb.113:                              ;   in Loop: Header=BB116_48 Depth=1
	s_andn2_saveexec_b64 s[10:11], s[0:1]
; %bb.114:                              ;   in Loop: Header=BB116_48 Depth=1
	v_or_b32_e32 v7, 0x10000, v6
	v_cmp_eq_u32_sdwa s[0:1], v6, v15 src0_sel:WORD_0 src1_sel:DWORD
	s_nop 1
	v_cndmask_b32_e64 v35, v7, v6, s[0:1]
; %bb.115:                              ;   in Loop: Header=BB116_48 Depth=1
	s_or_b64 exec, exec, s[10:11]
	global_load_dwordx4 v[6:9], v[10:11], off offset:1024
	s_waitcnt vmcnt(0)
	v_lshrrev_b32_e32 v45, 16, v6
	v_lshrrev_b32_e32 v47, 16, v7
	;; [unrolled: 1-line block ×4, first 2 shown]
	s_and_saveexec_b64 s[10:11], vcc
	s_cbranch_execz .LBB116_117
; %bb.116:                              ;   in Loop: Header=BB116_48 Depth=1
	v_cmp_gt_i32_e64 s[0:1], s33, v20
	s_nop 1
	v_cndmask_b32_e64 v6, 0, v6, s[0:1]
	v_cmp_gt_i32_e64 s[0:1], s33, v34
	s_nop 1
	v_cndmask_b32_e64 v45, 0, v45, s[0:1]
	;; [unrolled: 3-line block ×8, first 2 shown]
.LBB116_117:                            ;   in Loop: Header=BB116_48 Depth=1
	s_or_b64 exec, exec, s[10:11]
	v_lshlrev_b32_e32 v6, 16, v6
	v_mul_f32_e32 v6, v36, v6
	v_and_b32_e32 v44, 0x7f800000, v6
	v_cmp_ne_u32_e64 s[0:1], s18, v44
                                        ; implicit-def: $vgpr44
	s_and_saveexec_b64 s[10:11], s[0:1]
	s_xor_b64 s[0:1], exec, s[10:11]
; %bb.118:                              ;   in Loop: Header=BB116_48 Depth=1
	v_bfe_u32 v44, v6, 16, 1
	v_add3_u32 v44, v6, v44, s20
                                        ; implicit-def: $vgpr6
; %bb.119:                              ;   in Loop: Header=BB116_48 Depth=1
	s_andn2_saveexec_b64 s[10:11], s[0:1]
; %bb.120:                              ;   in Loop: Header=BB116_48 Depth=1
	v_or_b32_e32 v44, 0x10000, v6
	v_cmp_eq_u32_sdwa s[0:1], v6, v15 src0_sel:WORD_0 src1_sel:DWORD
	s_nop 1
	v_cndmask_b32_e64 v44, v44, v6, s[0:1]
; %bb.121:                              ;   in Loop: Header=BB116_48 Depth=1
	s_or_b64 exec, exec, s[10:11]
	v_lshlrev_b32_e32 v6, 16, v45
	v_mul_f32_e32 v6, v37, v6
	v_and_b32_e32 v45, 0x7f800000, v6
	v_cmp_ne_u32_e64 s[0:1], s18, v45
                                        ; implicit-def: $vgpr45
	s_and_saveexec_b64 s[10:11], s[0:1]
	s_xor_b64 s[0:1], exec, s[10:11]
; %bb.122:                              ;   in Loop: Header=BB116_48 Depth=1
	v_bfe_u32 v45, v6, 16, 1
	v_add3_u32 v45, v6, v45, s20
                                        ; implicit-def: $vgpr6
; %bb.123:                              ;   in Loop: Header=BB116_48 Depth=1
	s_andn2_saveexec_b64 s[10:11], s[0:1]
; %bb.124:                              ;   in Loop: Header=BB116_48 Depth=1
	v_or_b32_e32 v45, 0x10000, v6
	v_cmp_eq_u32_sdwa s[0:1], v6, v15 src0_sel:WORD_0 src1_sel:DWORD
	s_nop 1
	v_cndmask_b32_e64 v45, v45, v6, s[0:1]
; %bb.125:                              ;   in Loop: Header=BB116_48 Depth=1
	s_or_b64 exec, exec, s[10:11]
	v_lshlrev_b32_e32 v6, 16, v7
	v_mul_f32_e32 v6, v38, v6
	v_and_b32_e32 v7, 0x7f800000, v6
	v_cmp_ne_u32_e64 s[0:1], s18, v7
                                        ; implicit-def: $vgpr46
	s_and_saveexec_b64 s[10:11], s[0:1]
	s_xor_b64 s[0:1], exec, s[10:11]
; %bb.126:                              ;   in Loop: Header=BB116_48 Depth=1
	v_bfe_u32 v7, v6, 16, 1
	v_add3_u32 v46, v6, v7, s20
                                        ; implicit-def: $vgpr6
; %bb.127:                              ;   in Loop: Header=BB116_48 Depth=1
	s_andn2_saveexec_b64 s[10:11], s[0:1]
; %bb.128:                              ;   in Loop: Header=BB116_48 Depth=1
	v_or_b32_e32 v7, 0x10000, v6
	v_cmp_eq_u32_sdwa s[0:1], v6, v15 src0_sel:WORD_0 src1_sel:DWORD
	s_nop 1
	v_cndmask_b32_e64 v46, v7, v6, s[0:1]
; %bb.129:                              ;   in Loop: Header=BB116_48 Depth=1
	s_or_b64 exec, exec, s[10:11]
	v_lshlrev_b32_e32 v6, 16, v47
	v_mul_f32_e32 v6, v39, v6
	v_and_b32_e32 v7, 0x7f800000, v6
	v_cmp_ne_u32_e64 s[0:1], s18, v7
                                        ; implicit-def: $vgpr47
	s_and_saveexec_b64 s[10:11], s[0:1]
	s_xor_b64 s[0:1], exec, s[10:11]
; %bb.130:                              ;   in Loop: Header=BB116_48 Depth=1
	v_bfe_u32 v7, v6, 16, 1
	v_add3_u32 v47, v6, v7, s20
                                        ; implicit-def: $vgpr6
; %bb.131:                              ;   in Loop: Header=BB116_48 Depth=1
	s_andn2_saveexec_b64 s[10:11], s[0:1]
; %bb.132:                              ;   in Loop: Header=BB116_48 Depth=1
	v_or_b32_e32 v7, 0x10000, v6
	v_cmp_eq_u32_sdwa s[0:1], v6, v15 src0_sel:WORD_0 src1_sel:DWORD
	s_nop 1
	v_cndmask_b32_e64 v47, v7, v6, s[0:1]
; %bb.133:                              ;   in Loop: Header=BB116_48 Depth=1
	s_or_b64 exec, exec, s[10:11]
	v_lshlrev_b32_e32 v6, 16, v8
	v_mul_f32_e32 v6, v40, v6
	v_and_b32_e32 v7, 0x7f800000, v6
	v_cmp_ne_u32_e64 s[0:1], s18, v7
                                        ; implicit-def: $vgpr48
	s_and_saveexec_b64 s[10:11], s[0:1]
	s_xor_b64 s[0:1], exec, s[10:11]
; %bb.134:                              ;   in Loop: Header=BB116_48 Depth=1
	v_bfe_u32 v7, v6, 16, 1
	v_add3_u32 v48, v6, v7, s20
                                        ; implicit-def: $vgpr6
; %bb.135:                              ;   in Loop: Header=BB116_48 Depth=1
	s_andn2_saveexec_b64 s[10:11], s[0:1]
; %bb.136:                              ;   in Loop: Header=BB116_48 Depth=1
	v_or_b32_e32 v7, 0x10000, v6
	v_cmp_eq_u32_sdwa s[0:1], v6, v15 src0_sel:WORD_0 src1_sel:DWORD
	s_nop 1
	v_cndmask_b32_e64 v48, v7, v6, s[0:1]
; %bb.137:                              ;   in Loop: Header=BB116_48 Depth=1
	s_or_b64 exec, exec, s[10:11]
	v_lshlrev_b32_e32 v6, 16, v49
	v_mul_f32_e32 v6, v41, v6
	v_and_b32_e32 v7, 0x7f800000, v6
	v_cmp_ne_u32_e64 s[0:1], s18, v7
                                        ; implicit-def: $vgpr49
	s_and_saveexec_b64 s[10:11], s[0:1]
	s_xor_b64 s[0:1], exec, s[10:11]
; %bb.138:                              ;   in Loop: Header=BB116_48 Depth=1
	v_bfe_u32 v7, v6, 16, 1
	v_add3_u32 v49, v6, v7, s20
                                        ; implicit-def: $vgpr6
; %bb.139:                              ;   in Loop: Header=BB116_48 Depth=1
	s_andn2_saveexec_b64 s[10:11], s[0:1]
; %bb.140:                              ;   in Loop: Header=BB116_48 Depth=1
	v_or_b32_e32 v7, 0x10000, v6
	v_cmp_eq_u32_sdwa s[0:1], v6, v15 src0_sel:WORD_0 src1_sel:DWORD
	s_nop 1
	v_cndmask_b32_e64 v49, v7, v6, s[0:1]
; %bb.141:                              ;   in Loop: Header=BB116_48 Depth=1
	s_or_b64 exec, exec, s[10:11]
	v_lshlrev_b32_e32 v6, 16, v9
	v_mul_f32_e32 v6, v42, v6
	v_and_b32_e32 v7, 0x7f800000, v6
	v_cmp_ne_u32_e64 s[0:1], s18, v7
                                        ; implicit-def: $vgpr50
	s_and_saveexec_b64 s[10:11], s[0:1]
	s_xor_b64 s[0:1], exec, s[10:11]
; %bb.142:                              ;   in Loop: Header=BB116_48 Depth=1
	v_bfe_u32 v7, v6, 16, 1
	v_add3_u32 v50, v6, v7, s20
                                        ; implicit-def: $vgpr6
; %bb.143:                              ;   in Loop: Header=BB116_48 Depth=1
	s_andn2_saveexec_b64 s[10:11], s[0:1]
; %bb.144:                              ;   in Loop: Header=BB116_48 Depth=1
	v_or_b32_e32 v7, 0x10000, v6
	v_cmp_eq_u32_sdwa s[0:1], v6, v15 src0_sel:WORD_0 src1_sel:DWORD
	s_nop 1
	v_cndmask_b32_e64 v50, v7, v6, s[0:1]
; %bb.145:                              ;   in Loop: Header=BB116_48 Depth=1
	s_or_b64 exec, exec, s[10:11]
	v_lshlrev_b32_e32 v6, 16, v51
	v_mul_f32_e32 v6, v43, v6
	v_and_b32_e32 v7, 0x7f800000, v6
	v_cmp_ne_u32_e64 s[0:1], s18, v7
                                        ; implicit-def: $vgpr51
	s_and_saveexec_b64 s[10:11], s[0:1]
	s_xor_b64 s[0:1], exec, s[10:11]
; %bb.146:                              ;   in Loop: Header=BB116_48 Depth=1
	v_bfe_u32 v7, v6, 16, 1
	v_add3_u32 v51, v6, v7, s20
                                        ; implicit-def: $vgpr6
; %bb.147:                              ;   in Loop: Header=BB116_48 Depth=1
	s_andn2_saveexec_b64 s[10:11], s[0:1]
; %bb.148:                              ;   in Loop: Header=BB116_48 Depth=1
	v_or_b32_e32 v7, 0x10000, v6
	v_cmp_eq_u32_sdwa s[0:1], v6, v15 src0_sel:WORD_0 src1_sel:DWORD
	s_nop 1
	v_cndmask_b32_e64 v51, v7, v6, s[0:1]
; %bb.149:                              ;   in Loop: Header=BB116_48 Depth=1
	s_or_b64 exec, exec, s[10:11]
	global_load_dwordx4 v[6:9], v[10:11], off offset:2048
	s_waitcnt vmcnt(0)
	v_lshrrev_b32_e32 v53, 16, v6
	v_lshrrev_b32_e32 v55, 16, v7
	;; [unrolled: 1-line block ×4, first 2 shown]
	s_and_saveexec_b64 s[10:11], vcc
	s_cbranch_execz .LBB116_151
; %bb.150:                              ;   in Loop: Header=BB116_48 Depth=1
	v_cmp_gt_i32_e64 s[0:1], s33, v20
	s_nop 1
	v_cndmask_b32_e64 v6, 0, v6, s[0:1]
	v_cmp_gt_i32_e64 s[0:1], s33, v34
	s_nop 1
	v_cndmask_b32_e64 v53, 0, v53, s[0:1]
	;; [unrolled: 3-line block ×8, first 2 shown]
.LBB116_151:                            ;   in Loop: Header=BB116_48 Depth=1
	s_or_b64 exec, exec, s[10:11]
	v_lshlrev_b32_e32 v6, 16, v6
	v_mul_f32_e32 v6, v36, v6
	v_and_b32_e32 v52, 0x7f800000, v6
	v_cmp_ne_u32_e64 s[0:1], s18, v52
                                        ; implicit-def: $vgpr52
	s_and_saveexec_b64 s[10:11], s[0:1]
	s_xor_b64 s[0:1], exec, s[10:11]
; %bb.152:                              ;   in Loop: Header=BB116_48 Depth=1
	v_bfe_u32 v52, v6, 16, 1
	v_add3_u32 v52, v6, v52, s20
                                        ; implicit-def: $vgpr6
; %bb.153:                              ;   in Loop: Header=BB116_48 Depth=1
	s_andn2_saveexec_b64 s[10:11], s[0:1]
; %bb.154:                              ;   in Loop: Header=BB116_48 Depth=1
	v_or_b32_e32 v52, 0x10000, v6
	v_cmp_eq_u32_sdwa s[0:1], v6, v15 src0_sel:WORD_0 src1_sel:DWORD
	s_nop 1
	v_cndmask_b32_e64 v52, v52, v6, s[0:1]
; %bb.155:                              ;   in Loop: Header=BB116_48 Depth=1
	s_or_b64 exec, exec, s[10:11]
	v_lshlrev_b32_e32 v6, 16, v53
	v_mul_f32_e32 v6, v37, v6
	v_and_b32_e32 v53, 0x7f800000, v6
	v_cmp_ne_u32_e64 s[0:1], s18, v53
                                        ; implicit-def: $vgpr53
	s_and_saveexec_b64 s[10:11], s[0:1]
	s_xor_b64 s[0:1], exec, s[10:11]
; %bb.156:                              ;   in Loop: Header=BB116_48 Depth=1
	v_bfe_u32 v53, v6, 16, 1
	v_add3_u32 v53, v6, v53, s20
                                        ; implicit-def: $vgpr6
; %bb.157:                              ;   in Loop: Header=BB116_48 Depth=1
	s_andn2_saveexec_b64 s[10:11], s[0:1]
; %bb.158:                              ;   in Loop: Header=BB116_48 Depth=1
	v_or_b32_e32 v53, 0x10000, v6
	v_cmp_eq_u32_sdwa s[0:1], v6, v15 src0_sel:WORD_0 src1_sel:DWORD
	s_nop 1
	v_cndmask_b32_e64 v53, v53, v6, s[0:1]
; %bb.159:                              ;   in Loop: Header=BB116_48 Depth=1
	s_or_b64 exec, exec, s[10:11]
	v_lshlrev_b32_e32 v6, 16, v7
	v_mul_f32_e32 v6, v38, v6
	v_and_b32_e32 v7, 0x7f800000, v6
	v_cmp_ne_u32_e64 s[0:1], s18, v7
                                        ; implicit-def: $vgpr54
	s_and_saveexec_b64 s[10:11], s[0:1]
	s_xor_b64 s[0:1], exec, s[10:11]
; %bb.160:                              ;   in Loop: Header=BB116_48 Depth=1
	v_bfe_u32 v7, v6, 16, 1
	v_add3_u32 v54, v6, v7, s20
                                        ; implicit-def: $vgpr6
; %bb.161:                              ;   in Loop: Header=BB116_48 Depth=1
	s_andn2_saveexec_b64 s[10:11], s[0:1]
; %bb.162:                              ;   in Loop: Header=BB116_48 Depth=1
	v_or_b32_e32 v7, 0x10000, v6
	v_cmp_eq_u32_sdwa s[0:1], v6, v15 src0_sel:WORD_0 src1_sel:DWORD
	s_nop 1
	v_cndmask_b32_e64 v54, v7, v6, s[0:1]
; %bb.163:                              ;   in Loop: Header=BB116_48 Depth=1
	s_or_b64 exec, exec, s[10:11]
	v_lshlrev_b32_e32 v6, 16, v55
	v_mul_f32_e32 v6, v39, v6
	v_and_b32_e32 v7, 0x7f800000, v6
	v_cmp_ne_u32_e64 s[0:1], s18, v7
                                        ; implicit-def: $vgpr55
	s_and_saveexec_b64 s[10:11], s[0:1]
	s_xor_b64 s[0:1], exec, s[10:11]
; %bb.164:                              ;   in Loop: Header=BB116_48 Depth=1
	v_bfe_u32 v7, v6, 16, 1
	v_add3_u32 v55, v6, v7, s20
                                        ; implicit-def: $vgpr6
; %bb.165:                              ;   in Loop: Header=BB116_48 Depth=1
	s_andn2_saveexec_b64 s[10:11], s[0:1]
; %bb.166:                              ;   in Loop: Header=BB116_48 Depth=1
	v_or_b32_e32 v7, 0x10000, v6
	v_cmp_eq_u32_sdwa s[0:1], v6, v15 src0_sel:WORD_0 src1_sel:DWORD
	s_nop 1
	v_cndmask_b32_e64 v55, v7, v6, s[0:1]
; %bb.167:                              ;   in Loop: Header=BB116_48 Depth=1
	s_or_b64 exec, exec, s[10:11]
	v_lshlrev_b32_e32 v6, 16, v8
	v_mul_f32_e32 v6, v40, v6
	v_and_b32_e32 v7, 0x7f800000, v6
	v_cmp_ne_u32_e64 s[0:1], s18, v7
                                        ; implicit-def: $vgpr56
	s_and_saveexec_b64 s[10:11], s[0:1]
	s_xor_b64 s[0:1], exec, s[10:11]
; %bb.168:                              ;   in Loop: Header=BB116_48 Depth=1
	v_bfe_u32 v7, v6, 16, 1
	v_add3_u32 v56, v6, v7, s20
                                        ; implicit-def: $vgpr6
; %bb.169:                              ;   in Loop: Header=BB116_48 Depth=1
	s_andn2_saveexec_b64 s[10:11], s[0:1]
; %bb.170:                              ;   in Loop: Header=BB116_48 Depth=1
	v_or_b32_e32 v7, 0x10000, v6
	v_cmp_eq_u32_sdwa s[0:1], v6, v15 src0_sel:WORD_0 src1_sel:DWORD
	s_nop 1
	v_cndmask_b32_e64 v56, v7, v6, s[0:1]
; %bb.171:                              ;   in Loop: Header=BB116_48 Depth=1
	s_or_b64 exec, exec, s[10:11]
	v_lshlrev_b32_e32 v6, 16, v57
	v_mul_f32_e32 v6, v41, v6
	v_and_b32_e32 v7, 0x7f800000, v6
	v_cmp_ne_u32_e64 s[0:1], s18, v7
                                        ; implicit-def: $vgpr57
	s_and_saveexec_b64 s[10:11], s[0:1]
	s_xor_b64 s[0:1], exec, s[10:11]
; %bb.172:                              ;   in Loop: Header=BB116_48 Depth=1
	v_bfe_u32 v7, v6, 16, 1
	v_add3_u32 v57, v6, v7, s20
                                        ; implicit-def: $vgpr6
; %bb.173:                              ;   in Loop: Header=BB116_48 Depth=1
	s_andn2_saveexec_b64 s[10:11], s[0:1]
; %bb.174:                              ;   in Loop: Header=BB116_48 Depth=1
	v_or_b32_e32 v7, 0x10000, v6
	v_cmp_eq_u32_sdwa s[0:1], v6, v15 src0_sel:WORD_0 src1_sel:DWORD
	s_nop 1
	v_cndmask_b32_e64 v57, v7, v6, s[0:1]
; %bb.175:                              ;   in Loop: Header=BB116_48 Depth=1
	s_or_b64 exec, exec, s[10:11]
	v_lshlrev_b32_e32 v6, 16, v9
	v_mul_f32_e32 v6, v42, v6
	v_and_b32_e32 v7, 0x7f800000, v6
	v_cmp_ne_u32_e64 s[0:1], s18, v7
                                        ; implicit-def: $vgpr58
	s_and_saveexec_b64 s[10:11], s[0:1]
	s_xor_b64 s[0:1], exec, s[10:11]
; %bb.176:                              ;   in Loop: Header=BB116_48 Depth=1
	v_bfe_u32 v7, v6, 16, 1
	v_add3_u32 v58, v6, v7, s20
                                        ; implicit-def: $vgpr6
; %bb.177:                              ;   in Loop: Header=BB116_48 Depth=1
	s_andn2_saveexec_b64 s[10:11], s[0:1]
; %bb.178:                              ;   in Loop: Header=BB116_48 Depth=1
	v_or_b32_e32 v7, 0x10000, v6
	v_cmp_eq_u32_sdwa s[0:1], v6, v15 src0_sel:WORD_0 src1_sel:DWORD
	s_nop 1
	v_cndmask_b32_e64 v58, v7, v6, s[0:1]
; %bb.179:                              ;   in Loop: Header=BB116_48 Depth=1
	s_or_b64 exec, exec, s[10:11]
	v_lshlrev_b32_e32 v6, 16, v59
	v_mul_f32_e32 v6, v43, v6
	v_and_b32_e32 v7, 0x7f800000, v6
	v_cmp_ne_u32_e64 s[0:1], s18, v7
                                        ; implicit-def: $vgpr59
	s_and_saveexec_b64 s[10:11], s[0:1]
	s_xor_b64 s[0:1], exec, s[10:11]
; %bb.180:                              ;   in Loop: Header=BB116_48 Depth=1
	v_bfe_u32 v7, v6, 16, 1
	v_add3_u32 v59, v6, v7, s20
                                        ; implicit-def: $vgpr6
; %bb.181:                              ;   in Loop: Header=BB116_48 Depth=1
	s_andn2_saveexec_b64 s[10:11], s[0:1]
; %bb.182:                              ;   in Loop: Header=BB116_48 Depth=1
	v_or_b32_e32 v7, 0x10000, v6
	v_cmp_eq_u32_sdwa s[0:1], v6, v15 src0_sel:WORD_0 src1_sel:DWORD
	s_nop 1
	v_cndmask_b32_e64 v59, v7, v6, s[0:1]
; %bb.183:                              ;   in Loop: Header=BB116_48 Depth=1
	s_or_b64 exec, exec, s[10:11]
	global_load_dwordx4 v[6:9], v[10:11], off offset:3072
	s_waitcnt vmcnt(0)
	v_lshrrev_b32_e32 v10, 16, v6
	v_lshrrev_b32_e32 v61, 16, v7
	;; [unrolled: 1-line block ×4, first 2 shown]
	s_and_saveexec_b64 s[0:1], vcc
	s_cbranch_execz .LBB116_185
; %bb.184:                              ;   in Loop: Header=BB116_48 Depth=1
	v_cmp_gt_i32_e32 vcc, s33, v20
	s_nop 1
	v_cndmask_b32_e32 v6, 0, v6, vcc
	v_cmp_gt_i32_e32 vcc, s33, v34
	s_nop 1
	v_cndmask_b32_e32 v10, 0, v10, vcc
	;; [unrolled: 3-line block ×8, first 2 shown]
.LBB116_185:                            ;   in Loop: Header=BB116_48 Depth=1
	s_or_b64 exec, exec, s[0:1]
	v_lshlrev_b32_e32 v6, 16, v6
	v_mul_f32_e32 v28, v36, v6
	v_and_b32_e32 v6, 0x7f800000, v28
	v_cmp_ne_u32_e32 vcc, s18, v6
                                        ; implicit-def: $vgpr6
	s_and_saveexec_b64 s[0:1], vcc
	s_xor_b64 s[0:1], exec, s[0:1]
; %bb.186:                              ;   in Loop: Header=BB116_48 Depth=1
	v_bfe_u32 v6, v28, 16, 1
	v_add3_u32 v6, v28, v6, s20
                                        ; implicit-def: $vgpr28
; %bb.187:                              ;   in Loop: Header=BB116_48 Depth=1
	s_andn2_saveexec_b64 s[0:1], s[0:1]
; %bb.188:                              ;   in Loop: Header=BB116_48 Depth=1
	v_or_b32_e32 v6, 0x10000, v28
	v_cmp_eq_u32_sdwa vcc, v28, v15 src0_sel:WORD_0 src1_sel:DWORD
	s_nop 1
	v_cndmask_b32_e32 v6, v6, v28, vcc
; %bb.189:                              ;   in Loop: Header=BB116_48 Depth=1
	s_or_b64 exec, exec, s[0:1]
	v_lshlrev_b32_e32 v10, 16, v10
	v_mul_f32_e32 v28, v37, v10
	v_and_b32_e32 v10, 0x7f800000, v28
	v_cmp_ne_u32_e32 vcc, s18, v10
                                        ; implicit-def: $vgpr10
	s_and_saveexec_b64 s[0:1], vcc
	s_xor_b64 s[0:1], exec, s[0:1]
; %bb.190:                              ;   in Loop: Header=BB116_48 Depth=1
	v_bfe_u32 v10, v28, 16, 1
	v_add3_u32 v10, v28, v10, s20
                                        ; implicit-def: $vgpr28
; %bb.191:                              ;   in Loop: Header=BB116_48 Depth=1
	s_andn2_saveexec_b64 s[0:1], s[0:1]
; %bb.192:                              ;   in Loop: Header=BB116_48 Depth=1
	v_or_b32_e32 v10, 0x10000, v28
	v_cmp_eq_u32_sdwa vcc, v28, v15 src0_sel:WORD_0 src1_sel:DWORD
	s_nop 1
	v_cndmask_b32_e32 v10, v10, v28, vcc
; %bb.193:                              ;   in Loop: Header=BB116_48 Depth=1
	s_or_b64 exec, exec, s[0:1]
	v_lshlrev_b32_e32 v7, 16, v7
	v_mul_f32_e32 v28, v38, v7
	v_and_b32_e32 v7, 0x7f800000, v28
	v_cmp_ne_u32_e32 vcc, s18, v7
                                        ; implicit-def: $vgpr7
	s_and_saveexec_b64 s[0:1], vcc
	s_xor_b64 s[0:1], exec, s[0:1]
; %bb.194:                              ;   in Loop: Header=BB116_48 Depth=1
	v_bfe_u32 v7, v28, 16, 1
	v_add3_u32 v7, v28, v7, s20
                                        ; implicit-def: $vgpr28
; %bb.195:                              ;   in Loop: Header=BB116_48 Depth=1
	s_andn2_saveexec_b64 s[0:1], s[0:1]
; %bb.196:                              ;   in Loop: Header=BB116_48 Depth=1
	v_or_b32_e32 v7, 0x10000, v28
	v_cmp_eq_u32_sdwa vcc, v28, v15 src0_sel:WORD_0 src1_sel:DWORD
	s_nop 1
	v_cndmask_b32_e32 v7, v7, v28, vcc
; %bb.197:                              ;   in Loop: Header=BB116_48 Depth=1
	s_or_b64 exec, exec, s[0:1]
	v_lshlrev_b32_e32 v28, 16, v61
	v_mul_f32_e32 v29, v39, v28
	v_and_b32_e32 v28, 0x7f800000, v29
	v_cmp_ne_u32_e32 vcc, s18, v28
                                        ; implicit-def: $vgpr28
	s_and_saveexec_b64 s[0:1], vcc
	s_xor_b64 s[0:1], exec, s[0:1]
; %bb.198:                              ;   in Loop: Header=BB116_48 Depth=1
	v_bfe_u32 v28, v29, 16, 1
	v_add3_u32 v28, v29, v28, s20
                                        ; implicit-def: $vgpr29
; %bb.199:                              ;   in Loop: Header=BB116_48 Depth=1
	s_andn2_saveexec_b64 s[0:1], s[0:1]
; %bb.200:                              ;   in Loop: Header=BB116_48 Depth=1
	v_or_b32_e32 v28, 0x10000, v29
	v_cmp_eq_u32_sdwa vcc, v29, v15 src0_sel:WORD_0 src1_sel:DWORD
	s_nop 1
	v_cndmask_b32_e32 v28, v28, v29, vcc
; %bb.201:                              ;   in Loop: Header=BB116_48 Depth=1
	s_or_b64 exec, exec, s[0:1]
	v_lshlrev_b32_e32 v8, 16, v8
	v_mul_f32_e32 v29, v40, v8
	v_and_b32_e32 v8, 0x7f800000, v29
	v_cmp_ne_u32_e32 vcc, s18, v8
                                        ; implicit-def: $vgpr8
	s_and_saveexec_b64 s[0:1], vcc
	s_xor_b64 s[0:1], exec, s[0:1]
; %bb.202:                              ;   in Loop: Header=BB116_48 Depth=1
	v_bfe_u32 v8, v29, 16, 1
	v_add3_u32 v8, v29, v8, s20
                                        ; implicit-def: $vgpr29
; %bb.203:                              ;   in Loop: Header=BB116_48 Depth=1
	s_andn2_saveexec_b64 s[0:1], s[0:1]
; %bb.204:                              ;   in Loop: Header=BB116_48 Depth=1
	v_or_b32_e32 v8, 0x10000, v29
	v_cmp_eq_u32_sdwa vcc, v29, v15 src0_sel:WORD_0 src1_sel:DWORD
	s_nop 1
	v_cndmask_b32_e32 v8, v8, v29, vcc
; %bb.205:                              ;   in Loop: Header=BB116_48 Depth=1
	s_or_b64 exec, exec, s[0:1]
	v_lshlrev_b32_e32 v29, 16, v60
	v_mul_f32_e32 v30, v41, v29
	v_and_b32_e32 v29, 0x7f800000, v30
	v_cmp_ne_u32_e32 vcc, s18, v29
                                        ; implicit-def: $vgpr29
	s_and_saveexec_b64 s[0:1], vcc
	s_xor_b64 s[0:1], exec, s[0:1]
; %bb.206:                              ;   in Loop: Header=BB116_48 Depth=1
	v_bfe_u32 v29, v30, 16, 1
	v_add3_u32 v29, v30, v29, s20
                                        ; implicit-def: $vgpr30
; %bb.207:                              ;   in Loop: Header=BB116_48 Depth=1
	s_andn2_saveexec_b64 s[0:1], s[0:1]
; %bb.208:                              ;   in Loop: Header=BB116_48 Depth=1
	v_or_b32_e32 v29, 0x10000, v30
	v_cmp_eq_u32_sdwa vcc, v30, v15 src0_sel:WORD_0 src1_sel:DWORD
	s_nop 1
	v_cndmask_b32_e32 v29, v29, v30, vcc
; %bb.209:                              ;   in Loop: Header=BB116_48 Depth=1
	s_or_b64 exec, exec, s[0:1]
	v_lshlrev_b32_e32 v9, 16, v9
	v_mul_f32_e32 v30, v42, v9
	v_and_b32_e32 v9, 0x7f800000, v30
	v_cmp_ne_u32_e32 vcc, s18, v9
                                        ; implicit-def: $vgpr9
	s_and_saveexec_b64 s[0:1], vcc
	s_xor_b64 s[0:1], exec, s[0:1]
; %bb.210:                              ;   in Loop: Header=BB116_48 Depth=1
	v_bfe_u32 v9, v30, 16, 1
	v_add3_u32 v9, v30, v9, s20
                                        ; implicit-def: $vgpr30
; %bb.211:                              ;   in Loop: Header=BB116_48 Depth=1
	s_andn2_saveexec_b64 s[0:1], s[0:1]
; %bb.212:                              ;   in Loop: Header=BB116_48 Depth=1
	v_or_b32_e32 v9, 0x10000, v30
	v_cmp_eq_u32_sdwa vcc, v30, v15 src0_sel:WORD_0 src1_sel:DWORD
	s_nop 1
	v_cndmask_b32_e32 v9, v9, v30, vcc
; %bb.213:                              ;   in Loop: Header=BB116_48 Depth=1
	s_or_b64 exec, exec, s[0:1]
	v_lshlrev_b32_e32 v11, 16, v11
	v_mul_f32_e32 v30, v43, v11
	v_and_b32_e32 v11, 0x7f800000, v30
	v_cmp_ne_u32_e32 vcc, s18, v11
                                        ; implicit-def: $vgpr11
	s_and_saveexec_b64 s[0:1], vcc
	s_xor_b64 s[0:1], exec, s[0:1]
; %bb.214:                              ;   in Loop: Header=BB116_48 Depth=1
	v_bfe_u32 v11, v30, 16, 1
	v_add3_u32 v11, v30, v11, s20
                                        ; implicit-def: $vgpr30
; %bb.215:                              ;   in Loop: Header=BB116_48 Depth=1
	s_andn2_saveexec_b64 s[0:1], s[0:1]
	s_cbranch_execz .LBB116_46
; %bb.216:                              ;   in Loop: Header=BB116_48 Depth=1
	v_or_b32_e32 v11, 0x10000, v30
	v_cmp_eq_u32_sdwa vcc, v30, v15 src0_sel:WORD_0 src1_sel:DWORD
	s_nop 1
	v_cndmask_b32_e32 v11, v11, v30, vcc
	s_branch .LBB116_46
.LBB116_217:
	s_or_b64 exec, exec, s[6:7]
.LBB116_218:
	s_or_b64 exec, exec, s[2:3]
	v_and_b32_e32 v1, 0x3c0, v0
	v_cmp_eq_u32_e32 vcc, 64, v1
	s_barrier
	s_and_saveexec_b64 s[0:1], vcc
	s_cbranch_execz .LBB116_220
; %bb.219:
	v_lshlrev_b32_e32 v1, 2, v0
	v_mov_b32_e32 v7, 0x210
	v_or_b32_e32 v6, 0x300, v1
	v_lshl_add_u32 v7, v21, 2, v7
	v_add_u32_e32 v6, 0x210, v6
	v_add_u32_e32 v1, 0x210, v1
	ds_write_b32 v7, v2
	ds_write_b32 v1, v3
	ds_write_b32 v7, v4 offset:512
	ds_write_b32 v6, v5
.LBB116_220:
	s_or_b64 exec, exec, s[0:1]
	v_cmp_gt_u32_e32 vcc, 64, v0
	s_waitcnt lgkmcnt(0)
	s_barrier
	s_and_saveexec_b64 s[0:1], vcc
	s_cbranch_execz .LBB116_222
; %bb.221:
	v_mov_b32_e32 v1, 0x210
	v_lshl_add_u32 v1, v0, 2, v1
	ds_read2st64_b32 v[6:7], v1 offset0:2 offset1:3
	ds_read2st64_b32 v[8:9], v1 offset1:1
	s_waitcnt lgkmcnt(1)
	v_pk_add_f32 v[4:5], v[4:5], v[6:7]
	s_waitcnt lgkmcnt(0)
	v_pk_add_f32 v[2:3], v[2:3], v[8:9]
.LBB116_222:
	s_or_b64 exec, exec, s[0:1]
	s_barrier
	s_and_saveexec_b64 s[0:1], vcc
	s_cbranch_execz .LBB116_240
; %bb.223:
	s_mov_b32 s0, 0x7f800000
	v_and_b32_e32 v1, 0x7f800000, v2
	v_cmp_ne_u32_e32 vcc, s0, v1
                                        ; implicit-def: $vgpr6
	s_and_saveexec_b64 s[0:1], vcc
	s_xor_b64 s[0:1], exec, s[0:1]
; %bb.224:
	v_bfe_u32 v1, v2, 16, 1
	s_movk_i32 s2, 0x7fff
	v_add3_u32 v6, v2, v1, s2
; %bb.225:
	s_andn2_saveexec_b64 s[0:1], s[0:1]
; %bb.226:
	v_mov_b32_e32 v1, 0
	v_or_b32_e32 v6, 0x10000, v2
	v_cmp_eq_u32_sdwa vcc, v2, v1 src0_sel:WORD_0 src1_sel:DWORD
	s_nop 1
	v_cndmask_b32_e32 v6, v6, v2, vcc
; %bb.227:
	s_or_b64 exec, exec, s[0:1]
	s_mul_i32 s0, s24, s25
	s_mul_i32 s0, s0, s5
	s_lshl_b32 s0, s0, 8
	s_ashr_i32 s1, s0, 31
	s_lshl_b64 s[0:1], s[0:1], 1
	s_add_u32 s2, s26, s0
	s_mul_i32 s0, s25, s28
	s_addc_u32 s3, s27, s1
	s_ashr_i32 s1, s0, 31
	s_lshl_b64 s[0:1], s[0:1], 1
	s_add_u32 s2, s2, s0
	s_addc_u32 s3, s3, s1
	s_lshl_b32 s0, s4, 8
	s_ashr_i32 s1, s0, 31
	s_lshl_b64 s[0:1], s[0:1], 1
	s_add_u32 s0, s2, s0
	s_mov_b32 s2, 0x7f800000
	v_and_b32_e32 v2, 0x7f800000, v3
	s_addc_u32 s1, s3, s1
	v_lshlrev_b32_e32 v0, 1, v0
	v_mov_b32_e32 v1, 0
	v_cmp_ne_u32_e32 vcc, s2, v2
	global_store_short_d16_hi v0, v6, s[0:1]
                                        ; implicit-def: $vgpr2
	s_and_saveexec_b64 s[2:3], vcc
	s_xor_b64 s[2:3], exec, s[2:3]
; %bb.228:
	v_bfe_u32 v2, v3, 16, 1
	s_movk_i32 s4, 0x7fff
	v_add3_u32 v2, v3, v2, s4
; %bb.229:
	s_or_saveexec_b64 s[2:3], s[2:3]
	v_lshl_add_u64 v[0:1], s[0:1], 0, v[0:1]
	s_xor_b64 exec, exec, s[2:3]
; %bb.230:
	v_mov_b32_e32 v2, 0
	v_or_b32_e32 v6, 0x10000, v3
	v_cmp_eq_u32_sdwa vcc, v3, v2 src0_sel:WORD_0 src1_sel:DWORD
	s_nop 1
	v_cndmask_b32_e32 v2, v6, v3, vcc
; %bb.231:
	s_or_b64 exec, exec, s[2:3]
	global_store_short_d16_hi v[0:1], v2, off offset:128
	s_mov_b32 s0, 0x7f800000
	v_and_b32_e32 v2, 0x7f800000, v4
	v_cmp_ne_u32_e32 vcc, s0, v2
                                        ; implicit-def: $vgpr2
	s_and_saveexec_b64 s[0:1], vcc
	s_xor_b64 s[0:1], exec, s[0:1]
; %bb.232:
	v_bfe_u32 v2, v4, 16, 1
	s_movk_i32 s2, 0x7fff
	v_add3_u32 v2, v4, v2, s2
; %bb.233:
	s_andn2_saveexec_b64 s[0:1], s[0:1]
; %bb.234:
	v_mov_b32_e32 v2, 0
	v_or_b32_e32 v3, 0x10000, v4
	v_cmp_eq_u32_sdwa vcc, v4, v2 src0_sel:WORD_0 src1_sel:DWORD
	s_nop 1
	v_cndmask_b32_e32 v2, v3, v4, vcc
; %bb.235:
	s_or_b64 exec, exec, s[0:1]
	global_store_short_d16_hi v[0:1], v2, off offset:256
	s_mov_b32 s0, 0x7f800000
	v_and_b32_e32 v2, 0x7f800000, v5
	v_cmp_ne_u32_e32 vcc, s0, v2
                                        ; implicit-def: $vgpr6
	s_and_saveexec_b64 s[0:1], vcc
	s_xor_b64 s[0:1], exec, s[0:1]
; %bb.236:
	v_bfe_u32 v2, v5, 16, 1
	s_movk_i32 s2, 0x7fff
	v_add3_u32 v6, v5, v2, s2
                                        ; implicit-def: $vgpr2_vgpr3_vgpr4_vgpr5
; %bb.237:
	s_andn2_saveexec_b64 s[0:1], s[0:1]
; %bb.238:
	v_mov_b32_e32 v2, 0
	v_or_b32_e32 v3, 0x10000, v5
	v_cmp_eq_u32_sdwa vcc, v5, v2 src0_sel:WORD_0 src1_sel:DWORD
	s_nop 1
	v_cndmask_b32_e32 v6, v3, v5, vcc
; %bb.239:
	s_or_b64 exec, exec, s[0:1]
	global_store_short_d16_hi v[0:1], v6, off offset:384
.LBB116_240:
	s_endpgm
	.section	.rodata,"a",@progbits
	.p2align	6, 0x0
	.amdhsa_kernel _ZN4vllm25paged_attention_v1_kernelI14__hip_bfloat16S1_Li256ELi8ELi128ELNS_18Fp8KVCacheDataTypeE0ELb1EEEvPT_PKS3_PKT0_S9_ifPKiSB_iPKfiiiSD_SD_iiiii
		.amdhsa_group_segment_fixed_size 528
		.amdhsa_private_segment_fixed_size 0
		.amdhsa_kernarg_size 384
		.amdhsa_user_sgpr_count 2
		.amdhsa_user_sgpr_dispatch_ptr 0
		.amdhsa_user_sgpr_queue_ptr 0
		.amdhsa_user_sgpr_kernarg_segment_ptr 1
		.amdhsa_user_sgpr_dispatch_id 0
		.amdhsa_user_sgpr_kernarg_preload_length 0
		.amdhsa_user_sgpr_kernarg_preload_offset 0
		.amdhsa_user_sgpr_private_segment_size 0
		.amdhsa_uses_dynamic_stack 0
		.amdhsa_enable_private_segment 0
		.amdhsa_system_sgpr_workgroup_id_x 1
		.amdhsa_system_sgpr_workgroup_id_y 1
		.amdhsa_system_sgpr_workgroup_id_z 1
		.amdhsa_system_sgpr_workgroup_info 0
		.amdhsa_system_vgpr_workitem_id 0
		.amdhsa_next_free_vgpr 88
		.amdhsa_next_free_sgpr 44
		.amdhsa_accum_offset 88
		.amdhsa_reserve_vcc 1
		.amdhsa_float_round_mode_32 0
		.amdhsa_float_round_mode_16_64 0
		.amdhsa_float_denorm_mode_32 3
		.amdhsa_float_denorm_mode_16_64 3
		.amdhsa_dx10_clamp 1
		.amdhsa_ieee_mode 1
		.amdhsa_fp16_overflow 0
		.amdhsa_tg_split 0
		.amdhsa_exception_fp_ieee_invalid_op 0
		.amdhsa_exception_fp_denorm_src 0
		.amdhsa_exception_fp_ieee_div_zero 0
		.amdhsa_exception_fp_ieee_overflow 0
		.amdhsa_exception_fp_ieee_underflow 0
		.amdhsa_exception_fp_ieee_inexact 0
		.amdhsa_exception_int_div_zero 0
	.end_amdhsa_kernel
	.section	.text._ZN4vllm25paged_attention_v1_kernelI14__hip_bfloat16S1_Li256ELi8ELi128ELNS_18Fp8KVCacheDataTypeE0ELb1EEEvPT_PKS3_PKT0_S9_ifPKiSB_iPKfiiiSD_SD_iiiii,"axG",@progbits,_ZN4vllm25paged_attention_v1_kernelI14__hip_bfloat16S1_Li256ELi8ELi128ELNS_18Fp8KVCacheDataTypeE0ELb1EEEvPT_PKS3_PKT0_S9_ifPKiSB_iPKfiiiSD_SD_iiiii,comdat
.Lfunc_end116:
	.size	_ZN4vllm25paged_attention_v1_kernelI14__hip_bfloat16S1_Li256ELi8ELi128ELNS_18Fp8KVCacheDataTypeE0ELb1EEEvPT_PKS3_PKT0_S9_ifPKiSB_iPKfiiiSD_SD_iiiii, .Lfunc_end116-_ZN4vllm25paged_attention_v1_kernelI14__hip_bfloat16S1_Li256ELi8ELi128ELNS_18Fp8KVCacheDataTypeE0ELb1EEEvPT_PKS3_PKT0_S9_ifPKiSB_iPKfiiiSD_SD_iiiii
                                        ; -- End function
	.section	.AMDGPU.csdata,"",@progbits
; Kernel info:
; codeLenInByte = 9296
; NumSgprs: 50
; NumVgprs: 88
; NumAgprs: 0
; TotalNumVgprs: 88
; ScratchSize: 0
; MemoryBound: 0
; FloatMode: 240
; IeeeMode: 1
; LDSByteSize: 528 bytes/workgroup (compile time only)
; SGPRBlocks: 6
; VGPRBlocks: 10
; NumSGPRsForWavesPerEU: 50
; NumVGPRsForWavesPerEU: 88
; AccumOffset: 88
; Occupancy: 5
; WaveLimiterHint : 1
; COMPUTE_PGM_RSRC2:SCRATCH_EN: 0
; COMPUTE_PGM_RSRC2:USER_SGPR: 2
; COMPUTE_PGM_RSRC2:TRAP_HANDLER: 0
; COMPUTE_PGM_RSRC2:TGID_X_EN: 1
; COMPUTE_PGM_RSRC2:TGID_Y_EN: 1
; COMPUTE_PGM_RSRC2:TGID_Z_EN: 1
; COMPUTE_PGM_RSRC2:TIDIG_COMP_CNT: 0
; COMPUTE_PGM_RSRC3_GFX90A:ACCUM_OFFSET: 21
; COMPUTE_PGM_RSRC3_GFX90A:TG_SPLIT: 0
	.section	.text._ZN4vllm25paged_attention_v1_kernelI14__hip_bfloat16S1_Li32ELi8ELi128ELNS_18Fp8KVCacheDataTypeE0ELb0EEEvPT_PKS3_PKT0_S9_ifPKiSB_iPKfiiiSD_SD_iiiii,"axG",@progbits,_ZN4vllm25paged_attention_v1_kernelI14__hip_bfloat16S1_Li32ELi8ELi128ELNS_18Fp8KVCacheDataTypeE0ELb0EEEvPT_PKS3_PKT0_S9_ifPKiSB_iPKfiiiSD_SD_iiiii,comdat
	.protected	_ZN4vllm25paged_attention_v1_kernelI14__hip_bfloat16S1_Li32ELi8ELi128ELNS_18Fp8KVCacheDataTypeE0ELb0EEEvPT_PKS3_PKT0_S9_ifPKiSB_iPKfiiiSD_SD_iiiii ; -- Begin function _ZN4vllm25paged_attention_v1_kernelI14__hip_bfloat16S1_Li32ELi8ELi128ELNS_18Fp8KVCacheDataTypeE0ELb0EEEvPT_PKS3_PKT0_S9_ifPKiSB_iPKfiiiSD_SD_iiiii
	.globl	_ZN4vllm25paged_attention_v1_kernelI14__hip_bfloat16S1_Li32ELi8ELi128ELNS_18Fp8KVCacheDataTypeE0ELb0EEEvPT_PKS3_PKT0_S9_ifPKiSB_iPKfiiiSD_SD_iiiii
	.p2align	8
	.type	_ZN4vllm25paged_attention_v1_kernelI14__hip_bfloat16S1_Li32ELi8ELi128ELNS_18Fp8KVCacheDataTypeE0ELb0EEEvPT_PKS3_PKT0_S9_ifPKiSB_iPKfiiiSD_SD_iiiii,@function
_ZN4vllm25paged_attention_v1_kernelI14__hip_bfloat16S1_Li32ELi8ELi128ELNS_18Fp8KVCacheDataTypeE0ELb0EEEvPT_PKS3_PKT0_S9_ifPKiSB_iPKfiiiSD_SD_iiiii: ; @_ZN4vllm25paged_attention_v1_kernelI14__hip_bfloat16S1_Li32ELi8ELi128ELNS_18Fp8KVCacheDataTypeE0ELb0EEEvPT_PKS3_PKT0_S9_ifPKiSB_iPKfiiiSD_SD_iiiii
; %bb.0:
	s_load_dword s5, s[0:1], 0x80
	s_load_dwordx2 s[6:7], s[0:1], 0x30
	s_load_dwordx2 s[8:9], s[0:1], 0x20
	s_mov_b32 s10, s3
	s_ashr_i32 s11, s3, 31
	s_lshl_b64 s[12:13], s[10:11], 2
	s_waitcnt lgkmcnt(0)
	s_add_u32 s6, s6, s12
	s_addc_u32 s7, s7, s13
	s_abs_i32 s3, s8
	v_cvt_f32_u32_e32 v1, s3
	s_sub_i32 s12, 0, s3
	s_abs_i32 s11, s5
	s_xor_b32 s8, s5, s8
	v_rcp_iflag_f32_e32 v1, v1
	s_ashr_i32 s8, s8, 31
	v_mul_f32_e32 v1, 0x4f7ffffe, v1
	v_cvt_u32_f32_e32 v1, v1
	s_nop 0
	v_readfirstlane_b32 s13, v1
	s_mul_i32 s12, s12, s13
	s_mul_hi_u32 s12, s13, s12
	s_add_i32 s13, s13, s12
	s_mul_hi_u32 s12, s11, s13
	s_mul_i32 s13, s12, s3
	s_sub_i32 s11, s11, s13
	s_add_i32 s13, s12, 1
	s_sub_i32 s14, s11, s3
	s_cmp_ge_u32 s11, s3
	s_cselect_b32 s12, s13, s12
	s_cselect_b32 s11, s14, s11
	s_add_i32 s13, s12, 1
	s_cmp_ge_u32 s11, s3
	s_cselect_b32 s3, s13, s12
	s_xor_b32 s3, s3, s8
	s_sub_i32 s16, s3, s8
	s_abs_i32 s11, s16
	v_cvt_f32_u32_e32 v1, s11
	s_load_dwordx2 s[12:13], s[0:1], 0x40
	s_sub_i32 s3, 0, s11
	s_abs_i32 s18, s2
	v_rcp_iflag_f32_e32 v1, v1
	s_mov_b32 s8, 0
	v_mul_f32_e32 v1, 0x4f7ffffe, v1
	v_cvt_u32_f32_e32 v1, v1
	s_nop 0
	v_readfirstlane_b32 s14, v1
	s_mul_i32 s3, s3, s14
	s_mul_hi_u32 s3, s14, s3
	s_add_i32 s14, s14, s3
	s_waitcnt lgkmcnt(0)
	s_cmp_eq_u64 s[12:13], 0
	s_mul_hi_u32 s19, s18, s14
	s_cbranch_scc1 .LBB117_2
; %bb.1:
	s_ashr_i32 s3, s2, 31
	s_lshl_b64 s[14:15], s[2:3], 2
	s_add_u32 s12, s12, s14
	s_addc_u32 s13, s13, s15
	s_load_dword s8, s[12:13], 0x0
.LBB117_2:
	s_load_dword s33, s[6:7], 0x0
	s_nop 0
	s_load_dwordx4 s[12:15], s[0:1], 0x48
	s_ashr_i32 s6, s2, 31
	s_ashr_i32 s7, s16, 31
	v_and_b32_e32 v4, 7, v0
	s_lshl_b32 s16, s2, 5
	v_cmp_gt_u32_e32 vcc, 32, v0
	s_and_saveexec_b64 s[2:3], vcc
	s_cbranch_execz .LBB117_4
; %bb.3:
	s_load_dwordx2 s[20:21], s[0:1], 0x8
	s_waitcnt lgkmcnt(0)
	s_mul_i32 s22, s10, s12
	s_ashr_i32 s23, s22, 31
	s_lshl_b64 s[22:23], s[22:23], 1
	v_lshlrev_b32_e32 v1, 1, v0
	s_add_u32 s12, s20, s22
	s_addc_u32 s15, s21, s23
	s_ashr_i32 s17, s16, 31
	s_lshl_b64 s[20:21], s[16:17], 1
	s_add_u32 s20, s12, s20
	s_addc_u32 s21, s15, s21
	global_load_ushort v1, v1, s[20:21]
	v_lshrrev_b32_e32 v2, 2, v0
	v_and_b32_e32 v2, 0xfe, v2
	v_lshl_add_u32 v2, v4, 3, v2
	s_waitcnt vmcnt(0)
	ds_write_b16 v2, v1
.LBB117_4:
	s_or_b64 exec, exec, s[2:3]
	s_waitcnt lgkmcnt(0)
	s_add_i32 s3, s33, 7
	s_ashr_i32 s12, s3, 31
	s_lshr_b32 s12, s12, 29
	s_add_i32 s3, s3, s12
	s_ashr_i32 s17, s3, 3
	s_xor_b32 s3, s6, s7
	s_mul_i32 s6, s19, s11
	s_sub_i32 s6, s18, s6
	s_add_i32 s7, s19, 1
	s_sub_i32 s12, s6, s11
	s_load_dwordx2 s[20:21], s[0:1], 0x28
	s_load_dword s2, s[0:1], 0x38
	s_cmp_ge_u32 s6, s11
	s_cselect_b32 s7, s7, s19
	s_cselect_b32 s6, s12, s6
	s_add_i32 s12, s7, 1
	s_cmp_ge_u32 s6, s11
	s_cselect_b32 s6, s12, s7
	v_lshrrev_b32_e32 v1, 6, v0
	s_xor_b32 s6, s6, s3
	s_waitcnt lgkmcnt(0)
	s_mul_i32 s22, s10, s2
	s_sub_i32 s12, s6, s3
	s_ashr_i32 s23, s22, 31
	v_cmp_gt_i32_e64 s[2:3], s17, v1
	v_cmp_le_i32_e32 vcc, s17, v1
	v_mbcnt_lo_u32_b32 v5, -1, 0
	s_barrier
	s_waitcnt lgkmcnt(0)
                                        ; implicit-def: $sgpr15
                                        ; implicit-def: $vgpr7
                                        ; implicit-def: $vgpr8
	s_and_saveexec_b64 s[6:7], vcc
	s_xor_b64 s[6:7], exec, s[6:7]
; %bb.5:
	v_mbcnt_hi_u32_b32 v7, -1, v5
	v_and_b32_e32 v2, 64, v7
	v_add_u32_e32 v8, 64, v2
	s_mov_b32 s15, 0xff7fffff
                                        ; implicit-def: $vgpr4
                                        ; implicit-def: $vgpr5
; %bb.6:
	s_or_saveexec_b64 s[26:27], s[6:7]
	s_load_dwordx2 s[18:19], s[0:1], 0x0
	s_load_dwordx2 s[24:25], s[0:1], 0x18
	s_load_dword s11, s[0:1], 0x88
	v_mov_b32_e32 v13, s15
	s_mul_i32 s14, s12, s14
	v_lshrrev_b32_e32 v6, 4, v0
	s_xor_b64 exec, exec, s[26:27]
	s_cbranch_execz .LBB117_12
; %bb.7:
	v_mbcnt_hi_u32_b32 v7, -1, v5
	v_and_b32_e32 v5, 64, v7
	v_add_u32_e32 v8, 64, v5
	v_xor_b32_e32 v5, 4, v7
	s_load_dwordx2 s[0:1], s[0:1], 0x10
	v_cmp_lt_i32_e32 vcc, v5, v8
	s_ashr_i32 s15, s14, 31
	v_lshlrev_b32_e32 v2, 3, v4
	v_cndmask_b32_e32 v5, v7, v5, vcc
	v_lshlrev_b32_e32 v14, 2, v5
	v_xor_b32_e32 v5, 2, v7
	v_cmp_lt_i32_e32 vcc, v5, v8
	s_lshl_b64 s[6:7], s[14:15], 1
	ds_read_b64 v[12:13], v2
	v_cndmask_b32_e32 v5, v7, v5, vcc
	v_bfe_u32 v18, v0, 3, 3
	s_waitcnt lgkmcnt(0)
	s_add_u32 s0, s0, s6
	v_lshlrev_b32_e32 v15, 2, v5
	v_xor_b32_e32 v5, 1, v7
	s_addc_u32 s1, s1, s7
	v_lshlrev_b32_e32 v20, 4, v18
	v_mov_b32_e32 v21, 0
	v_cmp_lt_i32_e32 vcc, v5, v8
	s_sub_i32 s15, 1, s33
	s_lshl_b64 s[6:7], s[22:23], 2
	v_lshl_add_u64 v[2:3], s[0:1], 0, v[20:21]
	v_lshlrev_b32_e32 v20, 1, v4
	v_cndmask_b32_e32 v5, v7, v5, vcc
	v_cmp_eq_u32_e32 vcc, 0, v4
	v_lshlrev_b32_e32 v4, 2, v18
	s_add_u32 s6, s20, s6
	v_lshl_add_u64 v[2:3], v[2:3], 0, v[20:21]
	v_lshl_or_b32 v4, v1, 5, v4
	v_and_b32_e32 v20, 60, v6
	s_addc_u32 s7, s21, s7
	s_mov_b32 s12, s13
	v_lshlrev_b32_e32 v9, 16, v12
	v_and_b32_e32 v10, 0xffff0000, v12
	v_lshlrev_b32_e32 v11, 16, v13
	v_and_b32_e32 v12, 0xffff0000, v13
	v_lshlrev_b32_e32 v16, 2, v5
	v_cmp_neq_f32_e64 s[0:1], s8, 0
	v_lshl_or_b32 v17, v1, 3, v18
	v_add_u32_e32 v18, 0x50, v4
	v_lshl_add_u64 v[4:5], s[6:7], 0, v[20:21]
	s_mov_b64 s[28:29], 0
	v_mov_b32_e32 v13, 0xff7fffff
	v_mov_b32_e32 v19, v1
	s_branch .LBB117_9
.LBB117_8:                              ;   in Loop: Header=BB117_9 Depth=1
	s_or_b64 exec, exec, s[30:31]
	v_add_u32_e32 v19, 2, v19
	v_cmp_le_i32_e64 s[6:7], s17, v19
	v_add_u32_e32 v17, 16, v17
	v_add_u32_e32 v18, 64, v18
	s_or_b64 s[28:29], s[6:7], s[28:29]
	v_lshl_add_u64 v[4:5], v[4:5], 0, 8
	s_andn2_b64 exec, exec, s[28:29]
	s_cbranch_execz .LBB117_11
.LBB117_9:                              ; =>This Inner Loop Header: Depth=1
	global_load_dword v20, v[4:5], off
	s_waitcnt vmcnt(0) lgkmcnt(0)
	v_mad_i64_i32 v[20:21], s[6:7], v20, s12, 0
	v_lshl_add_u64 v[20:21], v[20:21], 1, v[2:3]
	global_load_ushort v22, v[20:21], off
	global_load_ushort v23, v[20:21], off offset:128
	global_load_ushort v24, v[20:21], off offset:256
	global_load_ushort v25, v[20:21], off offset:384
	s_waitcnt vmcnt(3)
	v_lshlrev_b32_e32 v20, 16, v22
	s_waitcnt vmcnt(2)
	v_lshlrev_b32_e32 v21, 16, v23
	v_mul_f32_e32 v21, v10, v21
	s_waitcnt vmcnt(1)
	v_lshlrev_b32_e32 v22, 16, v24
	v_fmac_f32_e32 v21, v9, v20
	v_fmac_f32_e32 v21, v11, v22
	s_waitcnt vmcnt(0)
	v_lshlrev_b32_e32 v20, 16, v25
	v_fmac_f32_e32 v21, v12, v20
	ds_bpermute_b32 v20, v14, v21
	s_waitcnt lgkmcnt(0)
	v_add_f32_e32 v20, v21, v20
	ds_bpermute_b32 v21, v15, v20
	s_waitcnt lgkmcnt(0)
	v_add_f32_e32 v20, v20, v21
	ds_bpermute_b32 v21, v16, v20
	s_and_saveexec_b64 s[30:31], vcc
	s_cbranch_execz .LBB117_8
; %bb.10:                               ;   in Loop: Header=BB117_9 Depth=1
	v_add_u32_e32 v22, s15, v17
	v_cvt_f32_i32_e32 v22, v22
	s_waitcnt lgkmcnt(0)
	v_add_f32_e32 v20, v20, v21
	v_cmp_gt_i32_e64 s[6:7], s33, v17
	v_max_f32_e32 v21, v13, v13
	v_mul_f32_e32 v22, s8, v22
	v_cndmask_b32_e64 v22, 0, v22, s[0:1]
	v_fmac_f32_e32 v22, s9, v20
	v_cndmask_b32_e64 v20, 0, v22, s[6:7]
	ds_write_b32 v18, v20
	v_max_f32_e32 v20, v21, v22
	v_cndmask_b32_e64 v13, v13, v20, s[6:7]
	s_branch .LBB117_8
.LBB117_11:
	s_or_b64 exec, exec, s[28:29]
.LBB117_12:
	s_or_b64 exec, exec, s[26:27]
	v_xor_b32_e32 v2, 32, v7
	v_cmp_lt_i32_e32 vcc, v2, v8
	v_xor_b32_e32 v5, 16, v7
	v_max_f32_e32 v4, v13, v13
	v_cndmask_b32_e32 v2, v7, v2, vcc
	v_lshlrev_b32_e32 v3, 2, v2
	ds_bpermute_b32 v2, v3, v13
	v_cmp_lt_i32_e32 vcc, v5, v8
	v_xor_b32_e32 v9, 8, v7
	v_and_b32_e32 v16, 63, v0
	s_waitcnt lgkmcnt(0)
	v_max_f32_e32 v2, v2, v2
	v_max_f32_e32 v2, v4, v2
	v_cndmask_b32_e32 v4, v7, v5, vcc
	v_lshlrev_b32_e32 v5, 2, v4
	ds_bpermute_b32 v4, v5, v2
	v_cmp_lt_i32_e32 vcc, v9, v8
	s_waitcnt lgkmcnt(0)
	v_max_f32_e32 v4, v4, v4
	v_max_f32_e32 v4, v2, v4
	v_cndmask_b32_e32 v2, v7, v9, vcc
	v_lshlrev_b32_e32 v10, 2, v2
	ds_bpermute_b32 v9, v10, v4
	v_cmp_eq_u32_e32 vcc, 0, v16
	v_lshlrev_b32_e32 v2, 2, v1
	s_and_saveexec_b64 s[0:1], vcc
	s_cbranch_execz .LBB117_14
; %bb.13:
	s_waitcnt lgkmcnt(0)
	v_max_f32_e32 v9, v9, v9
	v_max_f32_e32 v4, v4, v4
	;; [unrolled: 1-line block ×3, first 2 shown]
	ds_write_b32 v2, v4 offset:64
.LBB117_14:
	s_or_b64 exec, exec, s[0:1]
	v_cmp_gt_u32_e64 s[0:1], 2, v16
	v_mov_b32_e32 v11, 0xff7fffff
	v_lshlrev_b32_e32 v4, 2, v16
	s_waitcnt lgkmcnt(0)
	s_barrier
	s_and_saveexec_b64 s[6:7], s[0:1]
	s_cbranch_execz .LBB117_16
; %bb.15:
	ds_read_b32 v11, v4 offset:64
.LBB117_16:
	s_or_b64 exec, exec, s[6:7]
	v_xor_b32_e32 v9, 1, v7
	v_cmp_lt_i32_e64 s[6:7], v9, v8
	v_lshlrev_b32_e32 v13, 2, v7
	s_nop 0
	v_cndmask_b32_e64 v9, v7, v9, s[6:7]
	v_lshlrev_b32_e32 v9, 2, v9
	s_waitcnt lgkmcnt(0)
	ds_bpermute_b32 v12, v9, v11
	v_max_f32_e32 v11, v11, v11
	s_lshl_b32 s6, s17, 3
	s_min_i32 s12, s6, s33
	v_cmp_gt_i32_e64 s[6:7], s12, v0
	s_waitcnt lgkmcnt(0)
	v_max_f32_e32 v12, v12, v12
	v_max_f32_e32 v12, v11, v12
	v_and_b32_e32 v11, 0xffffff00, v13
	ds_bpermute_b32 v13, v11, v12
	v_mov_b32_e32 v12, 0
	s_and_saveexec_b64 s[26:27], s[6:7]
	s_cbranch_execz .LBB117_20
; %bb.17:
	v_mov_b32_e32 v12, 0x50
	v_lshl_add_u32 v14, v0, 2, v12
	s_mov_b64 s[28:29], 0
	v_mov_b32_e32 v12, 0
	v_mov_b32_e32 v15, v0
.LBB117_18:                             ; =>This Inner Loop Header: Depth=1
	ds_read_b32 v17, v14
	v_add_u32_e32 v15, 0x80, v15
	v_cmp_le_i32_e64 s[8:9], s12, v15
	s_or_b64 s[28:29], s[8:9], s[28:29]
	s_waitcnt lgkmcnt(0)
	v_sub_f32_e32 v17, v17, v13
	v_mul_f32_e32 v17, 0x3fb8aa3b, v17
	v_exp_f32_e32 v17, v17
	ds_write_b32 v14, v17
	v_add_f32_e32 v12, v12, v17
	v_add_u32_e32 v14, 0x200, v14
	s_andn2_b64 exec, exec, s[28:29]
	s_cbranch_execnz .LBB117_18
; %bb.19:
	s_or_b64 exec, exec, s[28:29]
.LBB117_20:
	s_or_b64 exec, exec, s[26:27]
	ds_bpermute_b32 v3, v3, v12
	s_waitcnt lgkmcnt(0)
	v_add_f32_e32 v3, v12, v3
	ds_bpermute_b32 v5, v5, v3
	s_waitcnt lgkmcnt(0)
	v_add_f32_e32 v3, v3, v5
	ds_bpermute_b32 v5, v10, v3
	v_xor_b32_e32 v10, 4, v7
	v_cmp_lt_i32_e64 s[8:9], v10, v8
	s_waitcnt lgkmcnt(0)
	v_add_f32_e32 v3, v3, v5
	v_cndmask_b32_e64 v10, v7, v10, s[8:9]
	v_lshlrev_b32_e32 v10, 2, v10
	ds_bpermute_b32 v5, v10, v3
	v_xor_b32_e32 v10, 2, v7
	v_cmp_lt_i32_e64 s[8:9], v10, v8
	s_waitcnt lgkmcnt(0)
	v_add_f32_e32 v3, v3, v5
	v_cndmask_b32_e64 v7, v7, v10, s[8:9]
	v_lshlrev_b32_e32 v5, 2, v7
	ds_bpermute_b32 v5, v5, v3
	s_waitcnt lgkmcnt(0)
	v_add_f32_e32 v3, v3, v5
	ds_bpermute_b32 v5, v9, v3
	s_waitcnt lgkmcnt(0)
	v_add_f32_e32 v3, v3, v5
	s_and_saveexec_b64 s[8:9], vcc
	s_cbranch_execz .LBB117_22
; %bb.21:
	ds_write_b32 v2, v3 offset:72
.LBB117_22:
	s_or_b64 exec, exec, s[8:9]
	s_waitcnt lgkmcnt(0)
	s_barrier
	s_and_saveexec_b64 s[8:9], s[0:1]
	s_cbranch_execz .LBB117_24
; %bb.23:
	ds_read_b32 v3, v4 offset:72
.LBB117_24:
	s_or_b64 exec, exec, s[8:9]
	s_waitcnt lgkmcnt(0)
	ds_bpermute_b32 v2, v9, v3
	s_waitcnt lgkmcnt(0)
	v_add_f32_e32 v2, v3, v2
	ds_bpermute_b32 v2, v11, v2
	s_and_saveexec_b64 s[0:1], s[6:7]
	s_cbranch_execz .LBB117_37
; %bb.25:
	s_waitcnt lgkmcnt(0)
	v_add_f32_e32 v2, 0x358637bd, v2
	v_div_scale_f32 v3, s[6:7], v2, v2, 1.0
	v_rcp_f32_e32 v4, v3
	v_div_scale_f32 v5, vcc, 1.0, v2, 1.0
	s_movk_i32 s6, 0x7f
	v_fma_f32 v7, -v3, v4, 1.0
	v_fmac_f32_e32 v4, v7, v4
	v_mul_f32_e32 v7, v5, v4
	v_fma_f32 v8, -v3, v7, v5
	v_fmac_f32_e32 v7, v8, v4
	v_fma_f32 v3, -v3, v7, v5
	v_div_fmas_f32 v3, v3, v4, v7
	v_xad_u32 v4, v0, -1, s12
	v_div_fixup_f32 v2, v3, v2, 1.0
	v_cmp_lt_u32_e32 vcc, s6, v4
	s_mov_b64 s[8:9], -1
	v_mov_b32_e32 v3, v0
	s_and_saveexec_b64 s[6:7], vcc
	s_cbranch_execz .LBB117_34
; %bb.26:
	v_lshrrev_b32_e32 v4, 7, v4
	v_add_u32_e32 v7, -1, v4
	v_lshrrev_b32_e32 v5, 1, v7
	v_mov_b32_e32 v3, v2
	v_add_u32_e32 v5, 1, v5
	v_cmp_lt_u32_e32 vcc, 13, v7
	v_mov_b32_e32 v9, 0
	s_and_saveexec_b64 s[8:9], vcc
	s_cbranch_execz .LBB117_30
; %bb.27:
	v_mov_b32_e32 v8, 0x50
	v_and_b32_e32 v7, -8, v5
	v_lshl_add_u32 v8, v0, 2, v8
	s_mov_b32 s15, 0
	s_mov_b64 s[26:27], 0
.LBB117_28:                             ; =>This Inner Loop Header: Depth=1
	ds_read2st64_b32 v[10:11], v8 offset1:2
	ds_read2st64_b32 v[12:13], v8 offset0:4 offset1:6
	ds_read2st64_b32 v[14:15], v8 offset0:8 offset1:10
	;; [unrolled: 1-line block ×3, first 2 shown]
	v_add_u32_e32 v7, -8, v7
	s_waitcnt lgkmcnt(3)
	v_pk_mul_f32 v[10:11], v[2:3], v[10:11]
	s_waitcnt lgkmcnt(2)
	v_pk_mul_f32 v[12:13], v[2:3], v[12:13]
	ds_write2st64_b32 v8, v10, v11 offset1:2
	ds_write2st64_b32 v8, v12, v13 offset0:4 offset1:6
	ds_read2st64_b32 v[12:13], v8 offset0:16 offset1:18
	s_waitcnt lgkmcnt(4)
	v_pk_mul_f32 v[10:11], v[2:3], v[14:15]
	ds_write2st64_b32 v8, v10, v11 offset0:8 offset1:10
	s_waitcnt lgkmcnt(4)
	v_pk_mul_f32 v[10:11], v[2:3], v[18:19]
	ds_write2st64_b32 v8, v10, v11 offset0:12 offset1:14
	ds_read2st64_b32 v[10:11], v8 offset0:20 offset1:22
	s_waitcnt lgkmcnt(3)
	v_pk_mul_f32 v[12:13], v[2:3], v[12:13]
	ds_read2st64_b32 v[14:15], v8 offset0:24 offset1:26
	ds_write2st64_b32 v8, v12, v13 offset0:16 offset1:18
	ds_read2st64_b32 v[12:13], v8 offset0:28 offset1:30
	s_waitcnt lgkmcnt(3)
	v_pk_mul_f32 v[10:11], v[2:3], v[10:11]
	ds_write2st64_b32 v8, v10, v11 offset0:20 offset1:22
	s_waitcnt lgkmcnt(3)
	v_pk_mul_f32 v[10:11], v[2:3], v[14:15]
	ds_write2st64_b32 v8, v10, v11 offset0:24 offset1:26
	s_waitcnt lgkmcnt(2)
	v_pk_mul_f32 v[10:11], v[2:3], v[12:13]
	s_add_i32 s15, s15, 16
	v_cmp_eq_u32_e32 vcc, 0, v7
	ds_write2st64_b32 v8, v10, v11 offset0:28 offset1:30
	v_add_u32_e32 v8, 0x2000, v8
	s_or_b64 s[26:27], vcc, s[26:27]
	v_mov_b32_e32 v9, s15
	s_andn2_b64 exec, exec, s[26:27]
	s_cbranch_execnz .LBB117_28
; %bb.29:
	s_or_b64 exec, exec, s[26:27]
.LBB117_30:
	s_or_b64 exec, exec, s[8:9]
	v_and_b32_e32 v5, 7, v5
	v_cmp_ne_u32_e32 vcc, 0, v5
	s_and_saveexec_b64 s[8:9], vcc
	s_cbranch_execz .LBB117_33
; %bb.31:
	v_lshlrev_b32_e32 v7, 9, v9
	v_lshlrev_b32_e32 v8, 2, v0
	s_movk_i32 s15, 0x50
	v_add3_u32 v7, v7, v8, s15
	s_mov_b64 s[26:27], 0
.LBB117_32:                             ; =>This Inner Loop Header: Depth=1
	ds_read2st64_b32 v[8:9], v7 offset1:2
	v_add_u32_e32 v5, -1, v5
	v_cmp_eq_u32_e32 vcc, 0, v5
	s_or_b64 s[26:27], vcc, s[26:27]
	s_waitcnt lgkmcnt(0)
	v_pk_mul_f32 v[8:9], v[2:3], v[8:9]
	ds_write2st64_b32 v7, v8, v9 offset1:2
	v_add_u32_e32 v7, 0x400, v7
	s_andn2_b64 exec, exec, s[26:27]
	s_cbranch_execnz .LBB117_32
.LBB117_33:
	s_or_b64 exec, exec, s[8:9]
	v_add_u32_e32 v4, 1, v4
	v_and_b32_e32 v5, 0x3fffffe, v4
	v_cmp_ne_u32_e32 vcc, v4, v5
	v_lshl_add_u32 v3, v5, 7, v0
	s_orn2_b64 s[8:9], vcc, exec
.LBB117_34:
	s_or_b64 exec, exec, s[6:7]
	s_and_b64 exec, exec, s[8:9]
	s_cbranch_execz .LBB117_37
; %bb.35:
	v_mov_b32_e32 v4, 0x50
	v_lshl_add_u32 v4, v3, 2, v4
	s_mov_b64 s[6:7], 0
.LBB117_36:                             ; =>This Inner Loop Header: Depth=1
	ds_read_b32 v5, v4
	v_add_u32_e32 v3, 0x80, v3
	v_cmp_le_i32_e32 vcc, s12, v3
	s_or_b64 s[6:7], vcc, s[6:7]
	s_waitcnt lgkmcnt(0)
	v_mul_f32_e32 v5, v2, v5
	ds_write_b32 v4, v5
	v_add_u32_e32 v4, 0x200, v4
	s_andn2_b64 exec, exec, s[6:7]
	s_cbranch_execnz .LBB117_36
.LBB117_37:
	s_or_b64 exec, exec, s[0:1]
	v_mov_b32_e32 v10, 0
	s_waitcnt lgkmcnt(0)
	s_barrier
	s_and_saveexec_b64 s[6:7], s[2:3]
	s_cbranch_execz .LBB117_109
; %bb.38:
	s_ashr_i32 s15, s14, 31
	s_lshl_b64 s[0:1], s[14:15], 1
	s_add_u32 s0, s24, s0
	s_addc_u32 s1, s25, s1
	v_lshlrev_b32_e32 v10, 4, v16
	v_mov_b32_e32 v11, 0
	v_lshl_add_u64 v[12:13], s[0:1], 0, v[10:11]
	s_add_i32 s14, s17, -1
	s_lshl_b64 s[0:1], s[22:23], 2
	s_add_u32 s0, s20, s0
	v_mov_b32_e32 v2, 0x50
	v_and_b32_e32 v10, 60, v6
	s_addc_u32 s1, s21, s1
	v_cmp_gt_u32_e32 vcc, 32, v16
	s_mov_b32 s26, s13
	v_lshl_or_b32 v17, v1, 3, 7
	v_lshl_add_u32 v18, v1, 5, v2
	v_lshl_add_u64 v[14:15], s[0:1], 0, v[10:11]
	s_mov_b64 s[2:3], 0
	s_mov_b32 s15, 0x7f800000
	s_movk_i32 s20, 0x7fff
	v_mov_b32_e32 v10, 0
	s_branch .LBB117_41
.LBB117_39:                             ;   in Loop: Header=BB117_41 Depth=1
	s_or_b64 exec, exec, s[12:13]
	v_and_b32_e32 v6, 0xffff0000, v8
	v_and_b32_e32 v9, 0xffff0000, v19
	;; [unrolled: 1-line block ×8, first 2 shown]
	v_pk_add_f32 v[2:3], v[2:3], v[8:9]
	v_pk_add_f32 v[4:5], v[4:5], v[6:7]
	v_add_f32_e32 v2, v2, v3
	v_add_f32_e32 v2, v2, v4
	;; [unrolled: 1-line block ×4, first 2 shown]
.LBB117_40:                             ;   in Loop: Header=BB117_41 Depth=1
	s_or_b64 exec, exec, s[8:9]
	v_add_u32_e32 v1, 2, v1
	v_cmp_le_i32_e64 s[0:1], s17, v1
	v_add_u32_e32 v17, 16, v17
	v_add_u32_e32 v18, 64, v18
	s_or_b64 s[2:3], s[0:1], s[2:3]
	v_lshl_add_u64 v[14:15], v[14:15], 0, 8
	s_andn2_b64 exec, exec, s[2:3]
	s_cbranch_execz .LBB117_108
.LBB117_41:                             ; =>This Inner Loop Header: Depth=1
	global_load_dword v23, v[14:15], off
	ds_read2_b64 v[6:9], v18 offset1:1
	ds_read2_b64 v[2:5], v18 offset0:2 offset1:3
                                        ; implicit-def: $vgpr22
	s_waitcnt lgkmcnt(1)
	v_and_b32_e32 v19, 0x7f800000, v6
	v_cmp_ne_u32_e64 s[0:1], s15, v19
	s_and_saveexec_b64 s[8:9], s[0:1]
	s_xor_b64 s[0:1], exec, s[8:9]
; %bb.42:                               ;   in Loop: Header=BB117_41 Depth=1
	v_bfe_u32 v19, v6, 16, 1
	v_add3_u32 v22, v6, v19, s20
; %bb.43:                               ;   in Loop: Header=BB117_41 Depth=1
	s_andn2_saveexec_b64 s[8:9], s[0:1]
; %bb.44:                               ;   in Loop: Header=BB117_41 Depth=1
	v_or_b32_e32 v19, 0x10000, v6
	v_cmp_eq_u32_sdwa s[0:1], v6, v11 src0_sel:WORD_0 src1_sel:DWORD
	s_nop 1
	v_cndmask_b32_e64 v22, v19, v6, s[0:1]
; %bb.45:                               ;   in Loop: Header=BB117_41 Depth=1
	s_or_b64 exec, exec, s[8:9]
	v_and_b32_e32 v6, 0x7f800000, v7
	v_cmp_ne_u32_e64 s[0:1], s15, v6
                                        ; implicit-def: $vgpr21
	s_and_saveexec_b64 s[8:9], s[0:1]
	s_xor_b64 s[0:1], exec, s[8:9]
; %bb.46:                               ;   in Loop: Header=BB117_41 Depth=1
	v_bfe_u32 v6, v7, 16, 1
	v_add3_u32 v21, v7, v6, s20
; %bb.47:                               ;   in Loop: Header=BB117_41 Depth=1
	s_andn2_saveexec_b64 s[8:9], s[0:1]
; %bb.48:                               ;   in Loop: Header=BB117_41 Depth=1
	v_or_b32_e32 v6, 0x10000, v7
	v_cmp_eq_u32_sdwa s[0:1], v7, v11 src0_sel:WORD_0 src1_sel:DWORD
	s_nop 1
	v_cndmask_b32_e64 v21, v6, v7, s[0:1]
; %bb.49:                               ;   in Loop: Header=BB117_41 Depth=1
	s_or_b64 exec, exec, s[8:9]
	v_and_b32_e32 v6, 0x7f800000, v8
	v_cmp_ne_u32_e64 s[0:1], s15, v6
                                        ; implicit-def: $vgpr20
	s_and_saveexec_b64 s[8:9], s[0:1]
	s_xor_b64 s[0:1], exec, s[8:9]
; %bb.50:                               ;   in Loop: Header=BB117_41 Depth=1
	v_bfe_u32 v6, v8, 16, 1
	v_add3_u32 v20, v8, v6, s20
; %bb.51:                               ;   in Loop: Header=BB117_41 Depth=1
	s_andn2_saveexec_b64 s[8:9], s[0:1]
; %bb.52:                               ;   in Loop: Header=BB117_41 Depth=1
	v_or_b32_e32 v6, 0x10000, v8
	v_cmp_eq_u32_sdwa s[0:1], v8, v11 src0_sel:WORD_0 src1_sel:DWORD
	s_nop 1
	v_cndmask_b32_e64 v20, v6, v8, s[0:1]
; %bb.53:                               ;   in Loop: Header=BB117_41 Depth=1
	s_or_b64 exec, exec, s[8:9]
	v_and_b32_e32 v6, 0x7f800000, v9
	v_cmp_ne_u32_e64 s[0:1], s15, v6
                                        ; implicit-def: $vgpr19
	s_and_saveexec_b64 s[8:9], s[0:1]
	s_xor_b64 s[0:1], exec, s[8:9]
; %bb.54:                               ;   in Loop: Header=BB117_41 Depth=1
	v_bfe_u32 v6, v9, 16, 1
	v_add3_u32 v19, v9, v6, s20
                                        ; implicit-def: $vgpr6_vgpr7_vgpr8_vgpr9
; %bb.55:                               ;   in Loop: Header=BB117_41 Depth=1
	s_andn2_saveexec_b64 s[8:9], s[0:1]
; %bb.56:                               ;   in Loop: Header=BB117_41 Depth=1
	v_or_b32_e32 v6, 0x10000, v9
	v_cmp_eq_u32_sdwa s[0:1], v9, v11 src0_sel:WORD_0 src1_sel:DWORD
	s_nop 1
	v_cndmask_b32_e64 v19, v6, v9, s[0:1]
; %bb.57:                               ;   in Loop: Header=BB117_41 Depth=1
	s_or_b64 exec, exec, s[8:9]
	s_waitcnt lgkmcnt(0)
	v_and_b32_e32 v6, 0x7f800000, v2
	v_cmp_ne_u32_e64 s[0:1], s15, v6
                                        ; implicit-def: $vgpr9
	s_and_saveexec_b64 s[8:9], s[0:1]
	s_xor_b64 s[0:1], exec, s[8:9]
; %bb.58:                               ;   in Loop: Header=BB117_41 Depth=1
	v_bfe_u32 v6, v2, 16, 1
	v_add3_u32 v9, v2, v6, s20
; %bb.59:                               ;   in Loop: Header=BB117_41 Depth=1
	s_andn2_saveexec_b64 s[8:9], s[0:1]
; %bb.60:                               ;   in Loop: Header=BB117_41 Depth=1
	v_or_b32_e32 v6, 0x10000, v2
	v_cmp_eq_u32_sdwa s[0:1], v2, v11 src0_sel:WORD_0 src1_sel:DWORD
	s_nop 1
	v_cndmask_b32_e64 v9, v6, v2, s[0:1]
; %bb.61:                               ;   in Loop: Header=BB117_41 Depth=1
	s_or_b64 exec, exec, s[8:9]
	v_and_b32_e32 v2, 0x7f800000, v3
	v_cmp_ne_u32_e64 s[0:1], s15, v2
                                        ; implicit-def: $vgpr8
	s_and_saveexec_b64 s[8:9], s[0:1]
	s_xor_b64 s[0:1], exec, s[8:9]
; %bb.62:                               ;   in Loop: Header=BB117_41 Depth=1
	v_bfe_u32 v2, v3, 16, 1
	v_add3_u32 v8, v3, v2, s20
; %bb.63:                               ;   in Loop: Header=BB117_41 Depth=1
	s_andn2_saveexec_b64 s[8:9], s[0:1]
; %bb.64:                               ;   in Loop: Header=BB117_41 Depth=1
	v_or_b32_e32 v2, 0x10000, v3
	v_cmp_eq_u32_sdwa s[0:1], v3, v11 src0_sel:WORD_0 src1_sel:DWORD
	s_nop 1
	v_cndmask_b32_e64 v8, v2, v3, s[0:1]
; %bb.65:                               ;   in Loop: Header=BB117_41 Depth=1
	s_or_b64 exec, exec, s[8:9]
	v_and_b32_e32 v2, 0x7f800000, v4
	v_cmp_ne_u32_e64 s[0:1], s15, v2
                                        ; implicit-def: $vgpr7
	s_and_saveexec_b64 s[8:9], s[0:1]
	s_xor_b64 s[0:1], exec, s[8:9]
; %bb.66:                               ;   in Loop: Header=BB117_41 Depth=1
	v_bfe_u32 v2, v4, 16, 1
	v_add3_u32 v7, v4, v2, s20
; %bb.67:                               ;   in Loop: Header=BB117_41 Depth=1
	s_andn2_saveexec_b64 s[8:9], s[0:1]
; %bb.68:                               ;   in Loop: Header=BB117_41 Depth=1
	v_or_b32_e32 v2, 0x10000, v4
	v_cmp_eq_u32_sdwa s[0:1], v4, v11 src0_sel:WORD_0 src1_sel:DWORD
	s_nop 1
	v_cndmask_b32_e64 v7, v2, v4, s[0:1]
; %bb.69:                               ;   in Loop: Header=BB117_41 Depth=1
	s_or_b64 exec, exec, s[8:9]
	v_and_b32_e32 v2, 0x7f800000, v5
	v_cmp_ne_u32_e64 s[0:1], s15, v2
                                        ; implicit-def: $vgpr6
	s_and_saveexec_b64 s[8:9], s[0:1]
	s_xor_b64 s[0:1], exec, s[8:9]
	s_cbranch_execnz .LBB117_72
; %bb.70:                               ;   in Loop: Header=BB117_41 Depth=1
	s_andn2_saveexec_b64 s[8:9], s[0:1]
	s_cbranch_execnz .LBB117_73
.LBB117_71:                             ;   in Loop: Header=BB117_41 Depth=1
	s_or_b64 exec, exec, s[8:9]
	s_and_saveexec_b64 s[8:9], vcc
	s_cbranch_execz .LBB117_40
	s_branch .LBB117_74
.LBB117_72:                             ;   in Loop: Header=BB117_41 Depth=1
	v_bfe_u32 v2, v5, 16, 1
	v_add3_u32 v6, v5, v2, s20
                                        ; implicit-def: $vgpr2_vgpr3_vgpr4_vgpr5
	s_andn2_saveexec_b64 s[8:9], s[0:1]
	s_cbranch_execz .LBB117_71
.LBB117_73:                             ;   in Loop: Header=BB117_41 Depth=1
	v_or_b32_e32 v2, 0x10000, v5
	v_cmp_eq_u32_sdwa s[0:1], v5, v11 src0_sel:WORD_0 src1_sel:DWORD
	s_nop 1
	v_cndmask_b32_e64 v6, v2, v5, s[0:1]
	s_or_b64 exec, exec, s[8:9]
	s_and_saveexec_b64 s[8:9], vcc
	s_cbranch_execz .LBB117_40
.LBB117_74:                             ;   in Loop: Header=BB117_41 Depth=1
	s_waitcnt vmcnt(0)
	v_mad_i64_i32 v[2:3], s[0:1], v23, s26, 0
	v_lshl_add_u64 v[2:3], v[2:3], 1, v[12:13]
	global_load_dwordx4 v[2:5], v[2:3], off
	v_cmp_eq_u32_e64 s[0:1], s14, v1
	s_waitcnt vmcnt(0)
	v_lshrrev_b32_e32 v26, 16, v2
	v_lshrrev_b32_e32 v25, 16, v3
	;; [unrolled: 1-line block ×4, first 2 shown]
	s_and_saveexec_b64 s[12:13], s[0:1]
	s_cbranch_execz .LBB117_76
; %bb.75:                               ;   in Loop: Header=BB117_41 Depth=1
	v_add_u32_e32 v27, -7, v17
	v_cmp_gt_i32_e64 s[0:1], s33, v27
	v_add_u32_e32 v27, -6, v17
	s_nop 0
	v_cndmask_b32_e64 v2, 0, v2, s[0:1]
	v_cmp_gt_i32_e64 s[0:1], s33, v27
	v_add_u32_e32 v27, -5, v17
	s_nop 0
	v_cndmask_b32_e64 v26, 0, v26, s[0:1]
	v_cmp_gt_i32_e64 s[0:1], s33, v27
	v_add_u32_e32 v27, -4, v17
	s_nop 0
	v_cndmask_b32_e64 v3, 0, v3, s[0:1]
	v_cmp_gt_i32_e64 s[0:1], s33, v27
	v_add_u32_e32 v27, -3, v17
	s_nop 0
	v_cndmask_b32_e64 v25, 0, v25, s[0:1]
	v_cmp_gt_i32_e64 s[0:1], s33, v27
	v_add_u32_e32 v27, -2, v17
	s_nop 0
	v_cndmask_b32_e64 v4, 0, v4, s[0:1]
	v_cmp_gt_i32_e64 s[0:1], s33, v27
	v_add_u32_e32 v27, -1, v17
	s_nop 0
	v_cndmask_b32_e64 v24, 0, v24, s[0:1]
	v_cmp_gt_i32_e64 s[0:1], s33, v27
	s_nop 1
	v_cndmask_b32_e64 v5, 0, v5, s[0:1]
	v_cmp_gt_i32_e64 s[0:1], s33, v17
	s_nop 1
	v_cndmask_b32_e64 v23, 0, v23, s[0:1]
.LBB117_76:                             ;   in Loop: Header=BB117_41 Depth=1
	s_or_b64 exec, exec, s[12:13]
	v_and_b32_e32 v22, 0xffff0000, v22
	v_lshlrev_b32_e32 v2, 16, v2
	v_mul_f32_e32 v22, v22, v2
	v_and_b32_e32 v2, 0x7f800000, v22
	v_cmp_ne_u32_e64 s[0:1], s15, v2
                                        ; implicit-def: $vgpr2
	s_and_saveexec_b64 s[12:13], s[0:1]
	s_xor_b64 s[0:1], exec, s[12:13]
; %bb.77:                               ;   in Loop: Header=BB117_41 Depth=1
	v_bfe_u32 v2, v22, 16, 1
	v_add3_u32 v2, v22, v2, s20
                                        ; implicit-def: $vgpr22
; %bb.78:                               ;   in Loop: Header=BB117_41 Depth=1
	s_andn2_saveexec_b64 s[12:13], s[0:1]
; %bb.79:                               ;   in Loop: Header=BB117_41 Depth=1
	v_or_b32_e32 v2, 0x10000, v22
	v_cmp_eq_u32_sdwa s[0:1], v22, v11 src0_sel:WORD_0 src1_sel:DWORD
	s_nop 1
	v_cndmask_b32_e64 v2, v2, v22, s[0:1]
; %bb.80:                               ;   in Loop: Header=BB117_41 Depth=1
	s_or_b64 exec, exec, s[12:13]
	v_and_b32_e32 v21, 0xffff0000, v21
	v_lshlrev_b32_e32 v22, 16, v26
	v_mul_f32_e32 v22, v21, v22
	v_and_b32_e32 v21, 0x7f800000, v22
	v_cmp_ne_u32_e64 s[0:1], s15, v21
                                        ; implicit-def: $vgpr21
	s_and_saveexec_b64 s[12:13], s[0:1]
	s_xor_b64 s[0:1], exec, s[12:13]
; %bb.81:                               ;   in Loop: Header=BB117_41 Depth=1
	v_bfe_u32 v21, v22, 16, 1
	v_add3_u32 v21, v22, v21, s20
                                        ; implicit-def: $vgpr22
; %bb.82:                               ;   in Loop: Header=BB117_41 Depth=1
	s_andn2_saveexec_b64 s[12:13], s[0:1]
; %bb.83:                               ;   in Loop: Header=BB117_41 Depth=1
	v_or_b32_e32 v21, 0x10000, v22
	v_cmp_eq_u32_sdwa s[0:1], v22, v11 src0_sel:WORD_0 src1_sel:DWORD
	s_nop 1
	v_cndmask_b32_e64 v21, v21, v22, s[0:1]
; %bb.84:                               ;   in Loop: Header=BB117_41 Depth=1
	s_or_b64 exec, exec, s[12:13]
	v_and_b32_e32 v20, 0xffff0000, v20
	v_lshlrev_b32_e32 v3, 16, v3
	v_mul_f32_e32 v20, v20, v3
	v_and_b32_e32 v3, 0x7f800000, v20
	v_cmp_ne_u32_e64 s[0:1], s15, v3
                                        ; implicit-def: $vgpr3
	s_and_saveexec_b64 s[12:13], s[0:1]
	s_xor_b64 s[0:1], exec, s[12:13]
; %bb.85:                               ;   in Loop: Header=BB117_41 Depth=1
	v_bfe_u32 v3, v20, 16, 1
	v_add3_u32 v3, v20, v3, s20
                                        ; implicit-def: $vgpr20
; %bb.86:                               ;   in Loop: Header=BB117_41 Depth=1
	s_andn2_saveexec_b64 s[12:13], s[0:1]
; %bb.87:                               ;   in Loop: Header=BB117_41 Depth=1
	v_or_b32_e32 v3, 0x10000, v20
	v_cmp_eq_u32_sdwa s[0:1], v20, v11 src0_sel:WORD_0 src1_sel:DWORD
	s_nop 1
	v_cndmask_b32_e64 v3, v3, v20, s[0:1]
; %bb.88:                               ;   in Loop: Header=BB117_41 Depth=1
	s_or_b64 exec, exec, s[12:13]
	v_and_b32_e32 v19, 0xffff0000, v19
	v_lshlrev_b32_e32 v20, 16, v25
	v_mul_f32_e32 v20, v19, v20
	v_and_b32_e32 v19, 0x7f800000, v20
	v_cmp_ne_u32_e64 s[0:1], s15, v19
                                        ; implicit-def: $vgpr19
	s_and_saveexec_b64 s[12:13], s[0:1]
	s_xor_b64 s[0:1], exec, s[12:13]
; %bb.89:                               ;   in Loop: Header=BB117_41 Depth=1
	v_bfe_u32 v19, v20, 16, 1
	v_add3_u32 v19, v20, v19, s20
                                        ; implicit-def: $vgpr20
; %bb.90:                               ;   in Loop: Header=BB117_41 Depth=1
	s_andn2_saveexec_b64 s[12:13], s[0:1]
; %bb.91:                               ;   in Loop: Header=BB117_41 Depth=1
	v_or_b32_e32 v19, 0x10000, v20
	v_cmp_eq_u32_sdwa s[0:1], v20, v11 src0_sel:WORD_0 src1_sel:DWORD
	s_nop 1
	v_cndmask_b32_e64 v19, v19, v20, s[0:1]
; %bb.92:                               ;   in Loop: Header=BB117_41 Depth=1
	s_or_b64 exec, exec, s[12:13]
	v_and_b32_e32 v9, 0xffff0000, v9
	v_lshlrev_b32_e32 v4, 16, v4
	v_mul_f32_e32 v9, v9, v4
	v_and_b32_e32 v4, 0x7f800000, v9
	v_cmp_ne_u32_e64 s[0:1], s15, v4
                                        ; implicit-def: $vgpr4
	s_and_saveexec_b64 s[12:13], s[0:1]
	s_xor_b64 s[0:1], exec, s[12:13]
; %bb.93:                               ;   in Loop: Header=BB117_41 Depth=1
	v_bfe_u32 v4, v9, 16, 1
	v_add3_u32 v4, v9, v4, s20
                                        ; implicit-def: $vgpr9
; %bb.94:                               ;   in Loop: Header=BB117_41 Depth=1
	s_andn2_saveexec_b64 s[12:13], s[0:1]
; %bb.95:                               ;   in Loop: Header=BB117_41 Depth=1
	v_or_b32_e32 v4, 0x10000, v9
	v_cmp_eq_u32_sdwa s[0:1], v9, v11 src0_sel:WORD_0 src1_sel:DWORD
	s_nop 1
	v_cndmask_b32_e64 v4, v4, v9, s[0:1]
; %bb.96:                               ;   in Loop: Header=BB117_41 Depth=1
	s_or_b64 exec, exec, s[12:13]
	v_and_b32_e32 v8, 0xffff0000, v8
	v_lshlrev_b32_e32 v9, 16, v24
	v_mul_f32_e32 v9, v8, v9
	v_and_b32_e32 v8, 0x7f800000, v9
	v_cmp_ne_u32_e64 s[0:1], s15, v8
                                        ; implicit-def: $vgpr8
	s_and_saveexec_b64 s[12:13], s[0:1]
	s_xor_b64 s[0:1], exec, s[12:13]
; %bb.97:                               ;   in Loop: Header=BB117_41 Depth=1
	v_bfe_u32 v8, v9, 16, 1
	v_add3_u32 v8, v9, v8, s20
                                        ; implicit-def: $vgpr9
; %bb.98:                               ;   in Loop: Header=BB117_41 Depth=1
	s_andn2_saveexec_b64 s[12:13], s[0:1]
; %bb.99:                               ;   in Loop: Header=BB117_41 Depth=1
	v_or_b32_e32 v8, 0x10000, v9
	v_cmp_eq_u32_sdwa s[0:1], v9, v11 src0_sel:WORD_0 src1_sel:DWORD
	s_nop 1
	v_cndmask_b32_e64 v8, v8, v9, s[0:1]
; %bb.100:                              ;   in Loop: Header=BB117_41 Depth=1
	s_or_b64 exec, exec, s[12:13]
	v_and_b32_e32 v7, 0xffff0000, v7
	v_lshlrev_b32_e32 v5, 16, v5
	v_mul_f32_e32 v7, v7, v5
	v_and_b32_e32 v5, 0x7f800000, v7
	v_cmp_ne_u32_e64 s[0:1], s15, v5
                                        ; implicit-def: $vgpr5
	s_and_saveexec_b64 s[12:13], s[0:1]
	s_xor_b64 s[0:1], exec, s[12:13]
; %bb.101:                              ;   in Loop: Header=BB117_41 Depth=1
	v_bfe_u32 v5, v7, 16, 1
	v_add3_u32 v5, v7, v5, s20
                                        ; implicit-def: $vgpr7
; %bb.102:                              ;   in Loop: Header=BB117_41 Depth=1
	s_andn2_saveexec_b64 s[12:13], s[0:1]
; %bb.103:                              ;   in Loop: Header=BB117_41 Depth=1
	v_or_b32_e32 v5, 0x10000, v7
	v_cmp_eq_u32_sdwa s[0:1], v7, v11 src0_sel:WORD_0 src1_sel:DWORD
	s_nop 1
	v_cndmask_b32_e64 v5, v5, v7, s[0:1]
; %bb.104:                              ;   in Loop: Header=BB117_41 Depth=1
	s_or_b64 exec, exec, s[12:13]
	v_and_b32_e32 v6, 0xffff0000, v6
	v_lshlrev_b32_e32 v7, 16, v23
	v_mul_f32_e32 v6, v6, v7
	v_and_b32_e32 v7, 0x7f800000, v6
	v_cmp_ne_u32_e64 s[0:1], s15, v7
                                        ; implicit-def: $vgpr7
	s_and_saveexec_b64 s[12:13], s[0:1]
	s_xor_b64 s[0:1], exec, s[12:13]
; %bb.105:                              ;   in Loop: Header=BB117_41 Depth=1
	v_bfe_u32 v7, v6, 16, 1
	v_add3_u32 v7, v6, v7, s20
                                        ; implicit-def: $vgpr6
; %bb.106:                              ;   in Loop: Header=BB117_41 Depth=1
	s_andn2_saveexec_b64 s[12:13], s[0:1]
	s_cbranch_execz .LBB117_39
; %bb.107:                              ;   in Loop: Header=BB117_41 Depth=1
	v_or_b32_e32 v7, 0x10000, v6
	v_cmp_eq_u32_sdwa s[0:1], v6, v11 src0_sel:WORD_0 src1_sel:DWORD
	s_nop 1
	v_cndmask_b32_e64 v7, v7, v6, s[0:1]
	s_branch .LBB117_39
.LBB117_108:
	s_or_b64 exec, exec, s[2:3]
.LBB117_109:
	s_or_b64 exec, exec, s[6:7]
	v_and_b32_e32 v1, 0x3c0, v0
	v_cmp_eq_u32_e64 s[0:1], 64, v1
	v_cmp_gt_u32_e32 vcc, 32, v16
	s_and_b64 s[2:3], s[0:1], vcc
	s_barrier
	s_and_saveexec_b64 s[0:1], s[2:3]
	s_cbranch_execz .LBB117_111
; %bb.110:
	v_mov_b32_e32 v1, 0x50
	v_lshl_add_u32 v1, v16, 2, v1
	ds_write_b32 v1, v10
.LBB117_111:
	s_or_b64 exec, exec, s[0:1]
	v_cmp_gt_u32_e64 s[0:1], 64, v0
	s_and_b64 s[0:1], s[0:1], vcc
	s_waitcnt lgkmcnt(0)
	s_barrier
	s_and_saveexec_b64 s[2:3], s[0:1]
	s_cbranch_execz .LBB117_113
; %bb.112:
	v_mov_b32_e32 v0, 0x50
	v_lshl_add_u32 v0, v16, 2, v0
	ds_read_b32 v0, v0
	s_waitcnt lgkmcnt(0)
	v_add_f32_e32 v10, v10, v0
.LBB117_113:
	s_or_b64 exec, exec, s[2:3]
	s_barrier
	s_and_saveexec_b64 s[2:3], s[0:1]
	s_cbranch_execz .LBB117_119
; %bb.114:
	s_mov_b32 s0, 0x7f800000
	v_and_b32_e32 v0, 0x7f800000, v10
	v_cmp_ne_u32_e32 vcc, s0, v0
                                        ; implicit-def: $vgpr0
	s_and_saveexec_b64 s[0:1], vcc
	s_xor_b64 s[0:1], exec, s[0:1]
; %bb.115:
	v_bfe_u32 v0, v10, 16, 1
	s_movk_i32 s2, 0x7fff
	v_add3_u32 v0, v10, v0, s2
                                        ; implicit-def: $vgpr10
; %bb.116:
	s_andn2_saveexec_b64 s[0:1], s[0:1]
; %bb.117:
	v_mov_b32_e32 v0, 0
	v_or_b32_e32 v1, 0x10000, v10
	v_cmp_eq_u32_sdwa vcc, v10, v0 src0_sel:WORD_0 src1_sel:DWORD
	s_nop 1
	v_cndmask_b32_e32 v0, v1, v10, vcc
; %bb.118:
	s_or_b64 exec, exec, s[0:1]
	s_mul_i32 s0, s10, s11
	s_mul_i32 s0, s0, s5
	s_lshl_b32 s0, s0, 5
	s_ashr_i32 s1, s0, 31
	s_lshl_b64 s[0:1], s[0:1], 1
	s_add_u32 s2, s18, s0
	s_mul_i32 s0, s11, s16
	s_addc_u32 s3, s19, s1
	s_ashr_i32 s1, s0, 31
	s_lshl_b64 s[0:1], s[0:1], 1
	s_add_u32 s2, s2, s0
	s_addc_u32 s3, s3, s1
	s_lshl_b32 s0, s4, 5
	s_ashr_i32 s1, s0, 31
	s_lshl_b64 s[0:1], s[0:1], 1
	s_add_u32 s0, s2, s0
	s_addc_u32 s1, s3, s1
	v_lshlrev_b32_e32 v1, 1, v16
	global_store_short_d16_hi v1, v0, s[0:1]
.LBB117_119:
	s_endpgm
	.section	.rodata,"a",@progbits
	.p2align	6, 0x0
	.amdhsa_kernel _ZN4vllm25paged_attention_v1_kernelI14__hip_bfloat16S1_Li32ELi8ELi128ELNS_18Fp8KVCacheDataTypeE0ELb0EEEvPT_PKS3_PKT0_S9_ifPKiSB_iPKfiiiSD_SD_iiiii
		.amdhsa_group_segment_fixed_size 80
		.amdhsa_private_segment_fixed_size 0
		.amdhsa_kernarg_size 384
		.amdhsa_user_sgpr_count 2
		.amdhsa_user_sgpr_dispatch_ptr 0
		.amdhsa_user_sgpr_queue_ptr 0
		.amdhsa_user_sgpr_kernarg_segment_ptr 1
		.amdhsa_user_sgpr_dispatch_id 0
		.amdhsa_user_sgpr_kernarg_preload_length 0
		.amdhsa_user_sgpr_kernarg_preload_offset 0
		.amdhsa_user_sgpr_private_segment_size 0
		.amdhsa_uses_dynamic_stack 0
		.amdhsa_enable_private_segment 0
		.amdhsa_system_sgpr_workgroup_id_x 1
		.amdhsa_system_sgpr_workgroup_id_y 1
		.amdhsa_system_sgpr_workgroup_id_z 1
		.amdhsa_system_sgpr_workgroup_info 0
		.amdhsa_system_vgpr_workitem_id 0
		.amdhsa_next_free_vgpr 28
		.amdhsa_next_free_sgpr 34
		.amdhsa_accum_offset 28
		.amdhsa_reserve_vcc 1
		.amdhsa_float_round_mode_32 0
		.amdhsa_float_round_mode_16_64 0
		.amdhsa_float_denorm_mode_32 3
		.amdhsa_float_denorm_mode_16_64 3
		.amdhsa_dx10_clamp 1
		.amdhsa_ieee_mode 1
		.amdhsa_fp16_overflow 0
		.amdhsa_tg_split 0
		.amdhsa_exception_fp_ieee_invalid_op 0
		.amdhsa_exception_fp_denorm_src 0
		.amdhsa_exception_fp_ieee_div_zero 0
		.amdhsa_exception_fp_ieee_overflow 0
		.amdhsa_exception_fp_ieee_underflow 0
		.amdhsa_exception_fp_ieee_inexact 0
		.amdhsa_exception_int_div_zero 0
	.end_amdhsa_kernel
	.section	.text._ZN4vllm25paged_attention_v1_kernelI14__hip_bfloat16S1_Li32ELi8ELi128ELNS_18Fp8KVCacheDataTypeE0ELb0EEEvPT_PKS3_PKT0_S9_ifPKiSB_iPKfiiiSD_SD_iiiii,"axG",@progbits,_ZN4vllm25paged_attention_v1_kernelI14__hip_bfloat16S1_Li32ELi8ELi128ELNS_18Fp8KVCacheDataTypeE0ELb0EEEvPT_PKS3_PKT0_S9_ifPKiSB_iPKfiiiSD_SD_iiiii,comdat
.Lfunc_end117:
	.size	_ZN4vllm25paged_attention_v1_kernelI14__hip_bfloat16S1_Li32ELi8ELi128ELNS_18Fp8KVCacheDataTypeE0ELb0EEEvPT_PKS3_PKT0_S9_ifPKiSB_iPKfiiiSD_SD_iiiii, .Lfunc_end117-_ZN4vllm25paged_attention_v1_kernelI14__hip_bfloat16S1_Li32ELi8ELi128ELNS_18Fp8KVCacheDataTypeE0ELb0EEEvPT_PKS3_PKT0_S9_ifPKiSB_iPKfiiiSD_SD_iiiii
                                        ; -- End function
	.section	.AMDGPU.csdata,"",@progbits
; Kernel info:
; codeLenInByte = 4744
; NumSgprs: 40
; NumVgprs: 28
; NumAgprs: 0
; TotalNumVgprs: 28
; ScratchSize: 0
; MemoryBound: 0
; FloatMode: 240
; IeeeMode: 1
; LDSByteSize: 80 bytes/workgroup (compile time only)
; SGPRBlocks: 4
; VGPRBlocks: 3
; NumSGPRsForWavesPerEU: 40
; NumVGPRsForWavesPerEU: 28
; AccumOffset: 28
; Occupancy: 8
; WaveLimiterHint : 1
; COMPUTE_PGM_RSRC2:SCRATCH_EN: 0
; COMPUTE_PGM_RSRC2:USER_SGPR: 2
; COMPUTE_PGM_RSRC2:TRAP_HANDLER: 0
; COMPUTE_PGM_RSRC2:TGID_X_EN: 1
; COMPUTE_PGM_RSRC2:TGID_Y_EN: 1
; COMPUTE_PGM_RSRC2:TGID_Z_EN: 1
; COMPUTE_PGM_RSRC2:TIDIG_COMP_CNT: 0
; COMPUTE_PGM_RSRC3_GFX90A:ACCUM_OFFSET: 6
; COMPUTE_PGM_RSRC3_GFX90A:TG_SPLIT: 0
	.section	.text._ZN4vllm25paged_attention_v1_kernelI14__hip_bfloat16S1_Li64ELi8ELi128ELNS_18Fp8KVCacheDataTypeE0ELb0EEEvPT_PKS3_PKT0_S9_ifPKiSB_iPKfiiiSD_SD_iiiii,"axG",@progbits,_ZN4vllm25paged_attention_v1_kernelI14__hip_bfloat16S1_Li64ELi8ELi128ELNS_18Fp8KVCacheDataTypeE0ELb0EEEvPT_PKS3_PKT0_S9_ifPKiSB_iPKfiiiSD_SD_iiiii,comdat
	.protected	_ZN4vllm25paged_attention_v1_kernelI14__hip_bfloat16S1_Li64ELi8ELi128ELNS_18Fp8KVCacheDataTypeE0ELb0EEEvPT_PKS3_PKT0_S9_ifPKiSB_iPKfiiiSD_SD_iiiii ; -- Begin function _ZN4vllm25paged_attention_v1_kernelI14__hip_bfloat16S1_Li64ELi8ELi128ELNS_18Fp8KVCacheDataTypeE0ELb0EEEvPT_PKS3_PKT0_S9_ifPKiSB_iPKfiiiSD_SD_iiiii
	.globl	_ZN4vllm25paged_attention_v1_kernelI14__hip_bfloat16S1_Li64ELi8ELi128ELNS_18Fp8KVCacheDataTypeE0ELb0EEEvPT_PKS3_PKT0_S9_ifPKiSB_iPKfiiiSD_SD_iiiii
	.p2align	8
	.type	_ZN4vllm25paged_attention_v1_kernelI14__hip_bfloat16S1_Li64ELi8ELi128ELNS_18Fp8KVCacheDataTypeE0ELb0EEEvPT_PKS3_PKT0_S9_ifPKiSB_iPKfiiiSD_SD_iiiii,@function
_ZN4vllm25paged_attention_v1_kernelI14__hip_bfloat16S1_Li64ELi8ELi128ELNS_18Fp8KVCacheDataTypeE0ELb0EEEvPT_PKS3_PKT0_S9_ifPKiSB_iPKfiiiSD_SD_iiiii: ; @_ZN4vllm25paged_attention_v1_kernelI14__hip_bfloat16S1_Li64ELi8ELi128ELNS_18Fp8KVCacheDataTypeE0ELb0EEEvPT_PKS3_PKT0_S9_ifPKiSB_iPKfiiiSD_SD_iiiii
; %bb.0:
	s_load_dword s5, s[0:1], 0x80
	s_load_dwordx2 s[6:7], s[0:1], 0x30
	s_load_dwordx2 s[10:11], s[0:1], 0x20
	s_mov_b32 s16, s3
	s_ashr_i32 s17, s3, 31
	s_lshl_b64 s[8:9], s[16:17], 2
	s_waitcnt lgkmcnt(0)
	s_add_u32 s6, s6, s8
	s_addc_u32 s7, s7, s9
	s_abs_i32 s3, s10
	v_cvt_f32_u32_e32 v1, s3
	s_xor_b32 s8, s5, s10
	s_sub_i32 s10, 0, s3
	s_abs_i32 s9, s5
	v_rcp_iflag_f32_e32 v1, v1
	s_ashr_i32 s8, s8, 31
	v_mul_f32_e32 v1, 0x4f7ffffe, v1
	v_cvt_u32_f32_e32 v1, v1
	s_nop 0
	v_readfirstlane_b32 s12, v1
	s_mul_i32 s10, s10, s12
	s_mul_hi_u32 s10, s12, s10
	s_add_i32 s12, s12, s10
	s_mul_hi_u32 s10, s9, s12
	s_mul_i32 s12, s10, s3
	s_sub_i32 s9, s9, s12
	s_add_i32 s12, s10, 1
	s_sub_i32 s13, s9, s3
	s_cmp_ge_u32 s9, s3
	s_cselect_b32 s10, s12, s10
	s_cselect_b32 s9, s13, s9
	s_add_i32 s12, s10, 1
	s_cmp_ge_u32 s9, s3
	s_cselect_b32 s3, s12, s10
	s_xor_b32 s3, s3, s8
	s_sub_i32 s18, s3, s8
	s_abs_i32 s20, s18
	v_cvt_f32_u32_e32 v1, s20
	s_load_dwordx2 s[8:9], s[0:1], 0x40
	s_sub_i32 s3, 0, s20
	s_abs_i32 s21, s2
	v_rcp_iflag_f32_e32 v1, v1
	s_mov_b32 s10, 0
	v_mul_f32_e32 v1, 0x4f7ffffe, v1
	v_cvt_u32_f32_e32 v1, v1
	s_nop 0
	v_readfirstlane_b32 s12, v1
	s_mul_i32 s3, s3, s12
	s_mul_hi_u32 s3, s12, s3
	s_add_i32 s12, s12, s3
	s_waitcnt lgkmcnt(0)
	s_cmp_eq_u64 s[8:9], 0
	s_mul_hi_u32 s24, s21, s12
	s_cbranch_scc1 .LBB118_2
; %bb.1:
	s_ashr_i32 s3, s2, 31
	s_lshl_b64 s[12:13], s[2:3], 2
	s_add_u32 s8, s8, s12
	s_addc_u32 s9, s9, s13
	s_load_dword s10, s[8:9], 0x0
.LBB118_2:
	s_load_dword s17, s[6:7], 0x0
	s_load_dwordx4 s[12:15], s[0:1], 0x48
	s_ashr_i32 s6, s2, 31
	s_ashr_i32 s7, s18, 31
	v_and_b32_e32 v4, 7, v0
	s_lshl_b32 s18, s2, 6
	v_cmp_gt_u32_e64 s[8:9], 64, v0
	s_and_saveexec_b64 s[2:3], s[8:9]
	s_cbranch_execz .LBB118_4
; %bb.3:
	s_load_dwordx2 s[22:23], s[0:1], 0x8
	s_waitcnt lgkmcnt(0)
	s_mul_i32 s26, s16, s12
	s_ashr_i32 s27, s26, 31
	s_lshl_b64 s[26:27], s[26:27], 1
	v_lshlrev_b32_e32 v1, 1, v0
	s_add_u32 s12, s22, s26
	s_addc_u32 s15, s23, s27
	s_ashr_i32 s19, s18, 31
	s_lshl_b64 s[22:23], s[18:19], 1
	s_add_u32 s22, s12, s22
	s_addc_u32 s23, s15, s23
	global_load_ushort v1, v1, s[22:23]
	v_lshrrev_b32_e32 v2, 2, v0
	v_and_b32_e32 v2, 0xfe, v2
	v_lshl_add_u32 v2, v4, 4, v2
	s_waitcnt vmcnt(0)
	ds_write_b16 v2, v1
.LBB118_4:
	s_or_b64 exec, exec, s[2:3]
	s_waitcnt lgkmcnt(0)
	s_add_i32 s3, s17, 7
	s_ashr_i32 s12, s3, 31
	s_lshr_b32 s12, s12, 29
	s_add_i32 s3, s3, s12
	s_ashr_i32 s19, s3, 3
	s_xor_b32 s3, s6, s7
	s_mul_i32 s6, s24, s20
	s_sub_i32 s6, s21, s6
	s_add_i32 s7, s24, 1
	s_sub_i32 s12, s6, s20
	s_load_dwordx2 s[22:23], s[0:1], 0x28
	s_load_dword s2, s[0:1], 0x38
	s_cmp_ge_u32 s6, s20
	s_cselect_b32 s7, s7, s24
	s_cselect_b32 s6, s12, s6
	s_add_i32 s12, s7, 1
	s_cmp_ge_u32 s6, s20
	s_cselect_b32 s6, s12, s7
	v_lshrrev_b32_e32 v1, 6, v0
	s_xor_b32 s6, s6, s3
	s_waitcnt lgkmcnt(0)
	s_mul_i32 s24, s16, s2
	s_sub_i32 s15, s6, s3
	s_ashr_i32 s25, s24, 31
	v_cmp_gt_i32_e64 s[2:3], s19, v1
	v_cmp_le_i32_e32 vcc, s19, v1
	v_mbcnt_lo_u32_b32 v5, -1, 0
	s_barrier
	s_waitcnt lgkmcnt(0)
                                        ; implicit-def: $sgpr30
                                        ; implicit-def: $vgpr7
                                        ; implicit-def: $vgpr8
	s_and_saveexec_b64 s[6:7], vcc
	s_xor_b64 s[6:7], exec, s[6:7]
; %bb.5:
	v_mbcnt_hi_u32_b32 v7, -1, v5
	v_and_b32_e32 v2, 64, v7
	v_add_u32_e32 v8, 64, v2
	s_mov_b32 s30, 0xff7fffff
                                        ; implicit-def: $vgpr4
                                        ; implicit-def: $vgpr5
; %bb.6:
	s_or_saveexec_b64 s[28:29], s[6:7]
	s_load_dwordx2 s[20:21], s[0:1], 0x0
	s_load_dwordx2 s[26:27], s[0:1], 0x18
	s_load_dword s12, s[0:1], 0x88
	v_mov_b32_e32 v17, s30
	s_mul_i32 s14, s15, s14
	v_lshrrev_b32_e32 v6, 4, v0
	s_xor_b64 exec, exec, s[28:29]
	s_cbranch_execz .LBB118_12
; %bb.7:
	v_mbcnt_hi_u32_b32 v7, -1, v5
	v_and_b32_e32 v5, 64, v7
	v_add_u32_e32 v8, 64, v5
	v_xor_b32_e32 v5, 4, v7
	s_load_dwordx2 s[0:1], s[0:1], 0x10
	v_cmp_lt_i32_e32 vcc, v5, v8
	s_ashr_i32 s15, s14, 31
	v_lshlrev_b32_e32 v2, 4, v4
	v_cndmask_b32_e32 v5, v7, v5, vcc
	v_lshlrev_b32_e32 v18, 2, v5
	v_xor_b32_e32 v5, 2, v7
	v_cmp_lt_i32_e32 vcc, v5, v8
	s_lshl_b64 s[6:7], s[14:15], 1
	ds_read_b128 v[14:17], v2
	v_cndmask_b32_e32 v5, v7, v5, vcc
	v_bfe_u32 v22, v0, 3, 3
	s_waitcnt lgkmcnt(0)
	s_add_u32 s0, s0, s6
	v_lshlrev_b32_e32 v19, 2, v5
	v_xor_b32_e32 v5, 1, v7
	s_addc_u32 s1, s1, s7
	v_lshlrev_b32_e32 v24, 4, v22
	v_mov_b32_e32 v25, 0
	v_cmp_lt_i32_e32 vcc, v5, v8
	s_sub_i32 s15, 1, s17
	s_lshl_b64 s[6:7], s[24:25], 2
	v_lshl_add_u64 v[2:3], s[0:1], 0, v[24:25]
	v_lshlrev_b32_e32 v24, 1, v4
	v_cndmask_b32_e32 v5, v7, v5, vcc
	v_cmp_eq_u32_e32 vcc, 0, v4
	v_lshlrev_b32_e32 v4, 2, v22
	s_add_u32 s6, s22, s6
	v_lshl_add_u64 v[2:3], v[2:3], 0, v[24:25]
	v_lshl_or_b32 v4, v1, 5, v4
	v_and_b32_e32 v24, 60, v6
	s_addc_u32 s7, s23, s7
	s_mov_b32 s33, s13
	v_lshlrev_b32_e32 v9, 16, v14
	v_and_b32_e32 v10, 0xffff0000, v14
	v_lshlrev_b32_e32 v11, 16, v15
	v_and_b32_e32 v12, 0xffff0000, v15
	;; [unrolled: 2-line block ×4, first 2 shown]
	v_lshlrev_b32_e32 v20, 2, v5
	v_cmp_neq_f32_e64 s[0:1], s10, 0
	v_lshl_or_b32 v21, v1, 3, v22
	v_add_u32_e32 v22, 0x90, v4
	v_lshl_add_u64 v[4:5], s[6:7], 0, v[24:25]
	s_mov_b64 s[30:31], 0
	v_mov_b32_e32 v17, 0xff7fffff
	v_mov_b32_e32 v23, v1
	s_branch .LBB118_9
.LBB118_8:                              ;   in Loop: Header=BB118_9 Depth=1
	s_or_b64 exec, exec, s[34:35]
	v_add_u32_e32 v23, 2, v23
	v_cmp_le_i32_e64 s[6:7], s19, v23
	v_add_u32_e32 v21, 16, v21
	v_add_u32_e32 v22, 64, v22
	s_or_b64 s[30:31], s[6:7], s[30:31]
	v_lshl_add_u64 v[4:5], v[4:5], 0, 8
	s_andn2_b64 exec, exec, s[30:31]
	s_cbranch_execz .LBB118_11
.LBB118_9:                              ; =>This Inner Loop Header: Depth=1
	global_load_dword v24, v[4:5], off
	s_waitcnt vmcnt(0) lgkmcnt(0)
	v_mad_i64_i32 v[24:25], s[6:7], v24, s33, 0
	v_lshl_add_u64 v[24:25], v[24:25], 1, v[2:3]
	global_load_ushort v26, v[24:25], off
	global_load_ushort v27, v[24:25], off offset:128
	global_load_ushort v28, v[24:25], off offset:256
	;; [unrolled: 1-line block ×7, first 2 shown]
	s_waitcnt vmcnt(7)
	v_lshlrev_b32_e32 v24, 16, v26
	s_waitcnt vmcnt(6)
	v_lshlrev_b32_e32 v25, 16, v27
	v_mul_f32_e32 v25, v10, v25
	s_waitcnt vmcnt(5)
	v_lshlrev_b32_e32 v26, 16, v28
	v_fmac_f32_e32 v25, v9, v24
	s_waitcnt vmcnt(4)
	v_lshlrev_b32_e32 v27, 16, v29
	v_fmac_f32_e32 v25, v11, v26
	;; [unrolled: 3-line block ×5, first 2 shown]
	v_fmac_f32_e32 v25, v15, v30
	s_waitcnt vmcnt(0)
	v_lshlrev_b32_e32 v24, 16, v33
	v_fmac_f32_e32 v25, v16, v24
	ds_bpermute_b32 v24, v18, v25
	s_waitcnt lgkmcnt(0)
	v_add_f32_e32 v24, v25, v24
	ds_bpermute_b32 v25, v19, v24
	s_waitcnt lgkmcnt(0)
	v_add_f32_e32 v24, v24, v25
	ds_bpermute_b32 v25, v20, v24
	s_and_saveexec_b64 s[34:35], vcc
	s_cbranch_execz .LBB118_8
; %bb.10:                               ;   in Loop: Header=BB118_9 Depth=1
	v_add_u32_e32 v26, s15, v21
	v_cvt_f32_i32_e32 v26, v26
	s_waitcnt lgkmcnt(0)
	v_add_f32_e32 v24, v24, v25
	v_cmp_gt_i32_e64 s[6:7], s17, v21
	v_max_f32_e32 v25, v17, v17
	v_mul_f32_e32 v26, s10, v26
	v_cndmask_b32_e64 v26, 0, v26, s[0:1]
	v_fmac_f32_e32 v26, s11, v24
	v_cndmask_b32_e64 v24, 0, v26, s[6:7]
	ds_write_b32 v22, v24
	v_max_f32_e32 v24, v25, v26
	v_cndmask_b32_e64 v17, v17, v24, s[6:7]
	s_branch .LBB118_8
.LBB118_11:
	s_or_b64 exec, exec, s[30:31]
.LBB118_12:
	s_or_b64 exec, exec, s[28:29]
	v_xor_b32_e32 v2, 32, v7
	v_cmp_lt_i32_e32 vcc, v2, v8
	v_xor_b32_e32 v5, 16, v7
	v_max_f32_e32 v4, v17, v17
	v_cndmask_b32_e32 v2, v7, v2, vcc
	v_lshlrev_b32_e32 v3, 2, v2
	ds_bpermute_b32 v2, v3, v17
	v_cmp_lt_i32_e32 vcc, v5, v8
	v_xor_b32_e32 v9, 8, v7
	v_and_b32_e32 v16, 63, v0
	s_waitcnt lgkmcnt(0)
	v_max_f32_e32 v2, v2, v2
	v_max_f32_e32 v2, v4, v2
	v_cndmask_b32_e32 v4, v7, v5, vcc
	v_lshlrev_b32_e32 v5, 2, v4
	ds_bpermute_b32 v4, v5, v2
	v_cmp_lt_i32_e32 vcc, v9, v8
	s_waitcnt lgkmcnt(0)
	v_max_f32_e32 v4, v4, v4
	v_max_f32_e32 v4, v2, v4
	v_cndmask_b32_e32 v2, v7, v9, vcc
	v_lshlrev_b32_e32 v10, 2, v2
	ds_bpermute_b32 v9, v10, v4
	v_cmp_eq_u32_e32 vcc, 0, v16
	v_lshlrev_b32_e32 v2, 2, v1
	s_and_saveexec_b64 s[0:1], vcc
	s_cbranch_execz .LBB118_14
; %bb.13:
	s_waitcnt lgkmcnt(0)
	v_max_f32_e32 v9, v9, v9
	v_max_f32_e32 v4, v4, v4
	;; [unrolled: 1-line block ×3, first 2 shown]
	ds_write_b32 v2, v4 offset:128
.LBB118_14:
	s_or_b64 exec, exec, s[0:1]
	v_cmp_gt_u32_e64 s[0:1], 2, v16
	v_mov_b32_e32 v11, 0xff7fffff
	v_lshlrev_b32_e32 v4, 2, v16
	s_waitcnt lgkmcnt(0)
	s_barrier
	s_and_saveexec_b64 s[6:7], s[0:1]
	s_cbranch_execz .LBB118_16
; %bb.15:
	ds_read_b32 v11, v4 offset:128
.LBB118_16:
	s_or_b64 exec, exec, s[6:7]
	v_xor_b32_e32 v9, 1, v7
	v_cmp_lt_i32_e64 s[6:7], v9, v8
	v_lshlrev_b32_e32 v13, 2, v7
	s_nop 0
	v_cndmask_b32_e64 v9, v7, v9, s[6:7]
	v_lshlrev_b32_e32 v9, 2, v9
	s_waitcnt lgkmcnt(0)
	ds_bpermute_b32 v12, v9, v11
	v_max_f32_e32 v11, v11, v11
	s_lshl_b32 s6, s19, 3
	s_min_i32 s15, s6, s17
	v_cmp_gt_i32_e64 s[6:7], s15, v0
	s_waitcnt lgkmcnt(0)
	v_max_f32_e32 v12, v12, v12
	v_max_f32_e32 v12, v11, v12
	v_and_b32_e32 v11, 0xffffff00, v13
	ds_bpermute_b32 v13, v11, v12
	v_mov_b32_e32 v12, 0
	s_and_saveexec_b64 s[28:29], s[6:7]
	s_cbranch_execz .LBB118_20
; %bb.17:
	v_mov_b32_e32 v12, 0x90
	v_lshl_add_u32 v14, v0, 2, v12
	s_mov_b64 s[30:31], 0
	v_mov_b32_e32 v12, 0
	v_mov_b32_e32 v15, v0
.LBB118_18:                             ; =>This Inner Loop Header: Depth=1
	ds_read_b32 v17, v14
	v_add_u32_e32 v15, 0x80, v15
	v_cmp_le_i32_e64 s[10:11], s15, v15
	s_or_b64 s[30:31], s[10:11], s[30:31]
	s_waitcnt lgkmcnt(0)
	v_sub_f32_e32 v17, v17, v13
	v_mul_f32_e32 v17, 0x3fb8aa3b, v17
	v_exp_f32_e32 v17, v17
	ds_write_b32 v14, v17
	v_add_f32_e32 v12, v12, v17
	v_add_u32_e32 v14, 0x200, v14
	s_andn2_b64 exec, exec, s[30:31]
	s_cbranch_execnz .LBB118_18
; %bb.19:
	s_or_b64 exec, exec, s[30:31]
.LBB118_20:
	s_or_b64 exec, exec, s[28:29]
	ds_bpermute_b32 v3, v3, v12
	s_waitcnt lgkmcnt(0)
	v_add_f32_e32 v3, v12, v3
	ds_bpermute_b32 v5, v5, v3
	s_waitcnt lgkmcnt(0)
	v_add_f32_e32 v3, v3, v5
	ds_bpermute_b32 v5, v10, v3
	v_xor_b32_e32 v10, 4, v7
	v_cmp_lt_i32_e64 s[10:11], v10, v8
	s_waitcnt lgkmcnt(0)
	v_add_f32_e32 v3, v3, v5
	v_cndmask_b32_e64 v10, v7, v10, s[10:11]
	v_lshlrev_b32_e32 v10, 2, v10
	ds_bpermute_b32 v5, v10, v3
	v_xor_b32_e32 v10, 2, v7
	v_cmp_lt_i32_e64 s[10:11], v10, v8
	s_waitcnt lgkmcnt(0)
	v_add_f32_e32 v3, v3, v5
	v_cndmask_b32_e64 v7, v7, v10, s[10:11]
	v_lshlrev_b32_e32 v5, 2, v7
	ds_bpermute_b32 v5, v5, v3
	s_waitcnt lgkmcnt(0)
	v_add_f32_e32 v3, v3, v5
	ds_bpermute_b32 v5, v9, v3
	s_waitcnt lgkmcnt(0)
	v_add_f32_e32 v3, v3, v5
	s_and_saveexec_b64 s[10:11], vcc
	s_cbranch_execz .LBB118_22
; %bb.21:
	ds_write_b32 v2, v3 offset:136
.LBB118_22:
	s_or_b64 exec, exec, s[10:11]
	s_waitcnt lgkmcnt(0)
	s_barrier
	s_and_saveexec_b64 s[10:11], s[0:1]
	s_cbranch_execz .LBB118_24
; %bb.23:
	ds_read_b32 v3, v4 offset:136
.LBB118_24:
	s_or_b64 exec, exec, s[10:11]
	s_waitcnt lgkmcnt(0)
	ds_bpermute_b32 v2, v9, v3
	s_waitcnt lgkmcnt(0)
	v_add_f32_e32 v2, v3, v2
	ds_bpermute_b32 v2, v11, v2
	s_and_saveexec_b64 s[0:1], s[6:7]
	s_cbranch_execz .LBB118_37
; %bb.25:
	s_waitcnt lgkmcnt(0)
	v_add_f32_e32 v2, 0x358637bd, v2
	v_div_scale_f32 v3, s[6:7], v2, v2, 1.0
	v_rcp_f32_e32 v4, v3
	v_div_scale_f32 v5, vcc, 1.0, v2, 1.0
	s_movk_i32 s6, 0x7f
	v_fma_f32 v7, -v3, v4, 1.0
	v_fmac_f32_e32 v4, v7, v4
	v_mul_f32_e32 v7, v5, v4
	v_fma_f32 v8, -v3, v7, v5
	v_fmac_f32_e32 v7, v8, v4
	v_fma_f32 v3, -v3, v7, v5
	v_div_fmas_f32 v3, v3, v4, v7
	v_xad_u32 v4, v0, -1, s15
	v_div_fixup_f32 v2, v3, v2, 1.0
	v_cmp_lt_u32_e32 vcc, s6, v4
	s_mov_b64 s[10:11], -1
	v_mov_b32_e32 v3, v0
	s_and_saveexec_b64 s[6:7], vcc
	s_cbranch_execz .LBB118_34
; %bb.26:
	v_lshrrev_b32_e32 v4, 7, v4
	v_add_u32_e32 v7, -1, v4
	v_lshrrev_b32_e32 v5, 1, v7
	v_mov_b32_e32 v3, v2
	v_add_u32_e32 v5, 1, v5
	v_cmp_lt_u32_e32 vcc, 13, v7
	v_mov_b32_e32 v9, 0
	s_and_saveexec_b64 s[10:11], vcc
	s_cbranch_execz .LBB118_30
; %bb.27:
	v_mov_b32_e32 v8, 0x90
	v_and_b32_e32 v7, -8, v5
	v_lshl_add_u32 v8, v0, 2, v8
	s_mov_b32 s30, 0
	s_mov_b64 s[28:29], 0
.LBB118_28:                             ; =>This Inner Loop Header: Depth=1
	ds_read2st64_b32 v[10:11], v8 offset1:2
	ds_read2st64_b32 v[12:13], v8 offset0:4 offset1:6
	ds_read2st64_b32 v[14:15], v8 offset0:8 offset1:10
	;; [unrolled: 1-line block ×3, first 2 shown]
	v_add_u32_e32 v7, -8, v7
	s_waitcnt lgkmcnt(3)
	v_pk_mul_f32 v[10:11], v[2:3], v[10:11]
	s_waitcnt lgkmcnt(2)
	v_pk_mul_f32 v[12:13], v[2:3], v[12:13]
	ds_write2st64_b32 v8, v10, v11 offset1:2
	ds_write2st64_b32 v8, v12, v13 offset0:4 offset1:6
	ds_read2st64_b32 v[12:13], v8 offset0:16 offset1:18
	s_waitcnt lgkmcnt(4)
	v_pk_mul_f32 v[10:11], v[2:3], v[14:15]
	ds_write2st64_b32 v8, v10, v11 offset0:8 offset1:10
	s_waitcnt lgkmcnt(4)
	v_pk_mul_f32 v[10:11], v[2:3], v[18:19]
	ds_write2st64_b32 v8, v10, v11 offset0:12 offset1:14
	ds_read2st64_b32 v[10:11], v8 offset0:20 offset1:22
	s_waitcnt lgkmcnt(3)
	v_pk_mul_f32 v[12:13], v[2:3], v[12:13]
	ds_read2st64_b32 v[14:15], v8 offset0:24 offset1:26
	ds_write2st64_b32 v8, v12, v13 offset0:16 offset1:18
	ds_read2st64_b32 v[12:13], v8 offset0:28 offset1:30
	s_waitcnt lgkmcnt(3)
	v_pk_mul_f32 v[10:11], v[2:3], v[10:11]
	ds_write2st64_b32 v8, v10, v11 offset0:20 offset1:22
	s_waitcnt lgkmcnt(3)
	v_pk_mul_f32 v[10:11], v[2:3], v[14:15]
	ds_write2st64_b32 v8, v10, v11 offset0:24 offset1:26
	s_waitcnt lgkmcnt(2)
	v_pk_mul_f32 v[10:11], v[2:3], v[12:13]
	s_add_i32 s30, s30, 16
	v_cmp_eq_u32_e32 vcc, 0, v7
	ds_write2st64_b32 v8, v10, v11 offset0:28 offset1:30
	v_add_u32_e32 v8, 0x2000, v8
	s_or_b64 s[28:29], vcc, s[28:29]
	v_mov_b32_e32 v9, s30
	s_andn2_b64 exec, exec, s[28:29]
	s_cbranch_execnz .LBB118_28
; %bb.29:
	s_or_b64 exec, exec, s[28:29]
.LBB118_30:
	s_or_b64 exec, exec, s[10:11]
	v_and_b32_e32 v5, 7, v5
	v_cmp_ne_u32_e32 vcc, 0, v5
	s_and_saveexec_b64 s[10:11], vcc
	s_cbranch_execz .LBB118_33
; %bb.31:
	v_lshlrev_b32_e32 v7, 9, v9
	v_lshlrev_b32_e32 v8, 2, v0
	s_movk_i32 s28, 0x90
	v_add3_u32 v7, v7, v8, s28
	s_mov_b64 s[28:29], 0
.LBB118_32:                             ; =>This Inner Loop Header: Depth=1
	ds_read2st64_b32 v[8:9], v7 offset1:2
	v_add_u32_e32 v5, -1, v5
	v_cmp_eq_u32_e32 vcc, 0, v5
	s_or_b64 s[28:29], vcc, s[28:29]
	s_waitcnt lgkmcnt(0)
	v_pk_mul_f32 v[8:9], v[2:3], v[8:9]
	ds_write2st64_b32 v7, v8, v9 offset1:2
	v_add_u32_e32 v7, 0x400, v7
	s_andn2_b64 exec, exec, s[28:29]
	s_cbranch_execnz .LBB118_32
.LBB118_33:
	s_or_b64 exec, exec, s[10:11]
	v_add_u32_e32 v4, 1, v4
	v_and_b32_e32 v5, 0x3fffffe, v4
	v_cmp_ne_u32_e32 vcc, v4, v5
	v_lshl_add_u32 v3, v5, 7, v0
	s_orn2_b64 s[10:11], vcc, exec
.LBB118_34:
	s_or_b64 exec, exec, s[6:7]
	s_and_b64 exec, exec, s[10:11]
	s_cbranch_execz .LBB118_37
; %bb.35:
	v_mov_b32_e32 v4, 0x90
	v_lshl_add_u32 v4, v3, 2, v4
	s_mov_b64 s[6:7], 0
.LBB118_36:                             ; =>This Inner Loop Header: Depth=1
	ds_read_b32 v5, v4
	v_add_u32_e32 v3, 0x80, v3
	v_cmp_le_i32_e32 vcc, s15, v3
	s_or_b64 s[6:7], vcc, s[6:7]
	s_waitcnt lgkmcnt(0)
	v_mul_f32_e32 v5, v2, v5
	ds_write_b32 v4, v5
	v_add_u32_e32 v4, 0x200, v4
	s_andn2_b64 exec, exec, s[6:7]
	s_cbranch_execnz .LBB118_36
.LBB118_37:
	s_or_b64 exec, exec, s[0:1]
	v_mov_b32_e32 v10, 0
	s_waitcnt lgkmcnt(0)
	s_barrier
	s_and_saveexec_b64 s[0:1], s[2:3]
	s_cbranch_execz .LBB118_107
; %bb.38:
	s_ashr_i32 s15, s14, 31
	s_lshl_b64 s[2:3], s[14:15], 1
	s_add_u32 s2, s26, s2
	s_addc_u32 s3, s27, s3
	v_lshlrev_b32_e32 v10, 4, v16
	v_mov_b32_e32 v11, 0
	v_lshl_add_u64 v[12:13], s[2:3], 0, v[10:11]
	s_add_i32 s11, s19, -1
	s_lshl_b64 s[2:3], s[24:25], 2
	s_add_u32 s2, s22, s2
	v_mov_b32_e32 v2, 0x90
	v_and_b32_e32 v10, 60, v6
	s_addc_u32 s3, s23, s3
	s_mov_b32 s10, s13
	v_lshl_or_b32 v17, v1, 3, 7
	v_lshl_add_u32 v18, v1, 5, v2
	v_lshl_add_u64 v[14:15], s[2:3], 0, v[10:11]
	s_mov_b64 s[2:3], 0
	s_mov_b32 s13, 0x7f800000
	s_movk_i32 s14, 0x7fff
	v_mov_b32_e32 v10, 0
	s_branch .LBB118_40
.LBB118_39:                             ;   in Loop: Header=BB118_40 Depth=1
	s_or_b64 exec, exec, s[6:7]
	v_and_b32_e32 v6, 0xffff0000, v8
	v_and_b32_e32 v9, 0xffff0000, v19
	;; [unrolled: 1-line block ×8, first 2 shown]
	v_pk_add_f32 v[2:3], v[2:3], v[8:9]
	v_pk_add_f32 v[4:5], v[4:5], v[6:7]
	v_add_f32_e32 v2, v2, v3
	v_add_f32_e32 v2, v2, v4
	v_add_u32_e32 v1, 2, v1
	v_add_f32_e32 v2, v2, v5
	v_cmp_le_i32_e32 vcc, s19, v1
	v_add_f32_e32 v10, v10, v2
	v_add_u32_e32 v17, 16, v17
	v_add_u32_e32 v18, 64, v18
	s_or_b64 s[2:3], vcc, s[2:3]
	v_lshl_add_u64 v[14:15], v[14:15], 0, 8
	s_andn2_b64 exec, exec, s[2:3]
	s_cbranch_execz .LBB118_106
.LBB118_40:                             ; =>This Inner Loop Header: Depth=1
	global_load_dword v22, v[14:15], off
	ds_read2_b64 v[6:9], v18 offset1:1
	ds_read2_b64 v[2:5], v18 offset0:2 offset1:3
                                        ; implicit-def: $vgpr23
	s_waitcnt lgkmcnt(1)
	v_and_b32_e32 v19, 0x7f800000, v6
	v_cmp_ne_u32_e32 vcc, s13, v19
	s_and_saveexec_b64 s[6:7], vcc
	s_xor_b64 s[6:7], exec, s[6:7]
; %bb.41:                               ;   in Loop: Header=BB118_40 Depth=1
	v_bfe_u32 v19, v6, 16, 1
	v_add3_u32 v23, v6, v19, s14
; %bb.42:                               ;   in Loop: Header=BB118_40 Depth=1
	s_andn2_saveexec_b64 s[6:7], s[6:7]
; %bb.43:                               ;   in Loop: Header=BB118_40 Depth=1
	v_or_b32_e32 v19, 0x10000, v6
	v_cmp_eq_u32_sdwa vcc, v6, v11 src0_sel:WORD_0 src1_sel:DWORD
	s_nop 1
	v_cndmask_b32_e32 v23, v19, v6, vcc
; %bb.44:                               ;   in Loop: Header=BB118_40 Depth=1
	s_or_b64 exec, exec, s[6:7]
	v_and_b32_e32 v6, 0x7f800000, v7
	v_cmp_ne_u32_e32 vcc, s13, v6
                                        ; implicit-def: $vgpr21
	s_and_saveexec_b64 s[6:7], vcc
	s_xor_b64 s[6:7], exec, s[6:7]
; %bb.45:                               ;   in Loop: Header=BB118_40 Depth=1
	v_bfe_u32 v6, v7, 16, 1
	v_add3_u32 v21, v7, v6, s14
; %bb.46:                               ;   in Loop: Header=BB118_40 Depth=1
	s_andn2_saveexec_b64 s[6:7], s[6:7]
; %bb.47:                               ;   in Loop: Header=BB118_40 Depth=1
	v_or_b32_e32 v6, 0x10000, v7
	v_cmp_eq_u32_sdwa vcc, v7, v11 src0_sel:WORD_0 src1_sel:DWORD
	s_nop 1
	v_cndmask_b32_e32 v21, v6, v7, vcc
; %bb.48:                               ;   in Loop: Header=BB118_40 Depth=1
	s_or_b64 exec, exec, s[6:7]
	v_and_b32_e32 v6, 0x7f800000, v8
	v_cmp_ne_u32_e32 vcc, s13, v6
                                        ; implicit-def: $vgpr20
	s_and_saveexec_b64 s[6:7], vcc
	s_xor_b64 s[6:7], exec, s[6:7]
; %bb.49:                               ;   in Loop: Header=BB118_40 Depth=1
	v_bfe_u32 v6, v8, 16, 1
	v_add3_u32 v20, v8, v6, s14
; %bb.50:                               ;   in Loop: Header=BB118_40 Depth=1
	s_andn2_saveexec_b64 s[6:7], s[6:7]
; %bb.51:                               ;   in Loop: Header=BB118_40 Depth=1
	v_or_b32_e32 v6, 0x10000, v8
	v_cmp_eq_u32_sdwa vcc, v8, v11 src0_sel:WORD_0 src1_sel:DWORD
	s_nop 1
	v_cndmask_b32_e32 v20, v6, v8, vcc
; %bb.52:                               ;   in Loop: Header=BB118_40 Depth=1
	s_or_b64 exec, exec, s[6:7]
	v_and_b32_e32 v6, 0x7f800000, v9
	v_cmp_ne_u32_e32 vcc, s13, v6
                                        ; implicit-def: $vgpr19
	s_and_saveexec_b64 s[6:7], vcc
	s_xor_b64 s[6:7], exec, s[6:7]
; %bb.53:                               ;   in Loop: Header=BB118_40 Depth=1
	v_bfe_u32 v6, v9, 16, 1
	v_add3_u32 v19, v9, v6, s14
                                        ; implicit-def: $vgpr6_vgpr7_vgpr8_vgpr9
; %bb.54:                               ;   in Loop: Header=BB118_40 Depth=1
	s_andn2_saveexec_b64 s[6:7], s[6:7]
; %bb.55:                               ;   in Loop: Header=BB118_40 Depth=1
	v_or_b32_e32 v6, 0x10000, v9
	v_cmp_eq_u32_sdwa vcc, v9, v11 src0_sel:WORD_0 src1_sel:DWORD
	s_nop 1
	v_cndmask_b32_e32 v19, v6, v9, vcc
; %bb.56:                               ;   in Loop: Header=BB118_40 Depth=1
	s_or_b64 exec, exec, s[6:7]
	s_waitcnt lgkmcnt(0)
	v_and_b32_e32 v6, 0x7f800000, v2
	v_cmp_ne_u32_e32 vcc, s13, v6
                                        ; implicit-def: $vgpr9
	s_and_saveexec_b64 s[6:7], vcc
	s_xor_b64 s[6:7], exec, s[6:7]
; %bb.57:                               ;   in Loop: Header=BB118_40 Depth=1
	v_bfe_u32 v6, v2, 16, 1
	v_add3_u32 v9, v2, v6, s14
; %bb.58:                               ;   in Loop: Header=BB118_40 Depth=1
	s_andn2_saveexec_b64 s[6:7], s[6:7]
; %bb.59:                               ;   in Loop: Header=BB118_40 Depth=1
	v_or_b32_e32 v6, 0x10000, v2
	v_cmp_eq_u32_sdwa vcc, v2, v11 src0_sel:WORD_0 src1_sel:DWORD
	s_nop 1
	v_cndmask_b32_e32 v9, v6, v2, vcc
; %bb.60:                               ;   in Loop: Header=BB118_40 Depth=1
	s_or_b64 exec, exec, s[6:7]
	v_and_b32_e32 v2, 0x7f800000, v3
	v_cmp_ne_u32_e32 vcc, s13, v2
                                        ; implicit-def: $vgpr8
	s_and_saveexec_b64 s[6:7], vcc
	s_xor_b64 s[6:7], exec, s[6:7]
; %bb.61:                               ;   in Loop: Header=BB118_40 Depth=1
	v_bfe_u32 v2, v3, 16, 1
	v_add3_u32 v8, v3, v2, s14
; %bb.62:                               ;   in Loop: Header=BB118_40 Depth=1
	s_andn2_saveexec_b64 s[6:7], s[6:7]
; %bb.63:                               ;   in Loop: Header=BB118_40 Depth=1
	v_or_b32_e32 v2, 0x10000, v3
	v_cmp_eq_u32_sdwa vcc, v3, v11 src0_sel:WORD_0 src1_sel:DWORD
	s_nop 1
	v_cndmask_b32_e32 v8, v2, v3, vcc
; %bb.64:                               ;   in Loop: Header=BB118_40 Depth=1
	s_or_b64 exec, exec, s[6:7]
	v_and_b32_e32 v2, 0x7f800000, v4
	v_cmp_ne_u32_e32 vcc, s13, v2
                                        ; implicit-def: $vgpr7
	s_and_saveexec_b64 s[6:7], vcc
	s_xor_b64 s[6:7], exec, s[6:7]
; %bb.65:                               ;   in Loop: Header=BB118_40 Depth=1
	v_bfe_u32 v2, v4, 16, 1
	v_add3_u32 v7, v4, v2, s14
; %bb.66:                               ;   in Loop: Header=BB118_40 Depth=1
	s_andn2_saveexec_b64 s[6:7], s[6:7]
; %bb.67:                               ;   in Loop: Header=BB118_40 Depth=1
	v_or_b32_e32 v2, 0x10000, v4
	v_cmp_eq_u32_sdwa vcc, v4, v11 src0_sel:WORD_0 src1_sel:DWORD
	s_nop 1
	v_cndmask_b32_e32 v7, v2, v4, vcc
; %bb.68:                               ;   in Loop: Header=BB118_40 Depth=1
	s_or_b64 exec, exec, s[6:7]
	v_and_b32_e32 v2, 0x7f800000, v5
	v_cmp_ne_u32_e32 vcc, s13, v2
                                        ; implicit-def: $vgpr6
	s_and_saveexec_b64 s[6:7], vcc
	s_xor_b64 s[6:7], exec, s[6:7]
; %bb.69:                               ;   in Loop: Header=BB118_40 Depth=1
	v_bfe_u32 v2, v5, 16, 1
	v_add3_u32 v6, v5, v2, s14
                                        ; implicit-def: $vgpr2_vgpr3_vgpr4_vgpr5
; %bb.70:                               ;   in Loop: Header=BB118_40 Depth=1
	s_andn2_saveexec_b64 s[6:7], s[6:7]
; %bb.71:                               ;   in Loop: Header=BB118_40 Depth=1
	v_or_b32_e32 v2, 0x10000, v5
	v_cmp_eq_u32_sdwa vcc, v5, v11 src0_sel:WORD_0 src1_sel:DWORD
	s_nop 1
	v_cndmask_b32_e32 v6, v2, v5, vcc
; %bb.72:                               ;   in Loop: Header=BB118_40 Depth=1
	s_or_b64 exec, exec, s[6:7]
	s_waitcnt vmcnt(0)
	v_mad_i64_i32 v[2:3], s[6:7], v22, s10, 0
	v_lshl_add_u64 v[2:3], v[2:3], 1, v[12:13]
	global_load_dwordx4 v[2:5], v[2:3], off
	v_cmp_eq_u32_e32 vcc, s11, v1
	s_waitcnt vmcnt(0)
	v_lshrrev_b32_e32 v26, 16, v2
	v_lshrrev_b32_e32 v25, 16, v3
	;; [unrolled: 1-line block ×4, first 2 shown]
	s_and_saveexec_b64 s[6:7], vcc
	s_cbranch_execz .LBB118_74
; %bb.73:                               ;   in Loop: Header=BB118_40 Depth=1
	v_add_u32_e32 v27, -7, v17
	v_cmp_gt_i32_e32 vcc, s17, v27
	v_add_u32_e32 v27, -6, v17
	s_nop 0
	v_cndmask_b32_e32 v2, 0, v2, vcc
	v_cmp_gt_i32_e32 vcc, s17, v27
	v_add_u32_e32 v27, -5, v17
	s_nop 0
	v_cndmask_b32_e32 v26, 0, v26, vcc
	;; [unrolled: 4-line block ×6, first 2 shown]
	v_cmp_gt_i32_e32 vcc, s17, v27
	s_nop 1
	v_cndmask_b32_e32 v5, 0, v5, vcc
	v_cmp_gt_i32_e32 vcc, s17, v17
	s_nop 1
	v_cndmask_b32_e32 v22, 0, v22, vcc
.LBB118_74:                             ;   in Loop: Header=BB118_40 Depth=1
	s_or_b64 exec, exec, s[6:7]
	v_and_b32_e32 v23, 0xffff0000, v23
	v_lshlrev_b32_e32 v2, 16, v2
	v_mul_f32_e32 v23, v23, v2
	v_and_b32_e32 v2, 0x7f800000, v23
	v_cmp_ne_u32_e32 vcc, s13, v2
                                        ; implicit-def: $vgpr2
	s_and_saveexec_b64 s[6:7], vcc
	s_xor_b64 s[6:7], exec, s[6:7]
; %bb.75:                               ;   in Loop: Header=BB118_40 Depth=1
	v_bfe_u32 v2, v23, 16, 1
	v_add3_u32 v2, v23, v2, s14
                                        ; implicit-def: $vgpr23
; %bb.76:                               ;   in Loop: Header=BB118_40 Depth=1
	s_andn2_saveexec_b64 s[6:7], s[6:7]
; %bb.77:                               ;   in Loop: Header=BB118_40 Depth=1
	v_or_b32_e32 v2, 0x10000, v23
	v_cmp_eq_u32_sdwa vcc, v23, v11 src0_sel:WORD_0 src1_sel:DWORD
	s_nop 1
	v_cndmask_b32_e32 v2, v2, v23, vcc
; %bb.78:                               ;   in Loop: Header=BB118_40 Depth=1
	s_or_b64 exec, exec, s[6:7]
	v_and_b32_e32 v21, 0xffff0000, v21
	v_lshlrev_b32_e32 v23, 16, v26
	v_mul_f32_e32 v23, v21, v23
	v_and_b32_e32 v21, 0x7f800000, v23
	v_cmp_ne_u32_e32 vcc, s13, v21
                                        ; implicit-def: $vgpr21
	s_and_saveexec_b64 s[6:7], vcc
	s_xor_b64 s[6:7], exec, s[6:7]
; %bb.79:                               ;   in Loop: Header=BB118_40 Depth=1
	v_bfe_u32 v21, v23, 16, 1
	v_add3_u32 v21, v23, v21, s14
                                        ; implicit-def: $vgpr23
; %bb.80:                               ;   in Loop: Header=BB118_40 Depth=1
	s_andn2_saveexec_b64 s[6:7], s[6:7]
; %bb.81:                               ;   in Loop: Header=BB118_40 Depth=1
	v_or_b32_e32 v21, 0x10000, v23
	v_cmp_eq_u32_sdwa vcc, v23, v11 src0_sel:WORD_0 src1_sel:DWORD
	s_nop 1
	v_cndmask_b32_e32 v21, v21, v23, vcc
; %bb.82:                               ;   in Loop: Header=BB118_40 Depth=1
	s_or_b64 exec, exec, s[6:7]
	v_and_b32_e32 v20, 0xffff0000, v20
	v_lshlrev_b32_e32 v3, 16, v3
	v_mul_f32_e32 v20, v20, v3
	v_and_b32_e32 v3, 0x7f800000, v20
	v_cmp_ne_u32_e32 vcc, s13, v3
                                        ; implicit-def: $vgpr3
	s_and_saveexec_b64 s[6:7], vcc
	s_xor_b64 s[6:7], exec, s[6:7]
; %bb.83:                               ;   in Loop: Header=BB118_40 Depth=1
	v_bfe_u32 v3, v20, 16, 1
	v_add3_u32 v3, v20, v3, s14
                                        ; implicit-def: $vgpr20
; %bb.84:                               ;   in Loop: Header=BB118_40 Depth=1
	s_andn2_saveexec_b64 s[6:7], s[6:7]
; %bb.85:                               ;   in Loop: Header=BB118_40 Depth=1
	v_or_b32_e32 v3, 0x10000, v20
	v_cmp_eq_u32_sdwa vcc, v20, v11 src0_sel:WORD_0 src1_sel:DWORD
	s_nop 1
	v_cndmask_b32_e32 v3, v3, v20, vcc
; %bb.86:                               ;   in Loop: Header=BB118_40 Depth=1
	s_or_b64 exec, exec, s[6:7]
	v_and_b32_e32 v19, 0xffff0000, v19
	v_lshlrev_b32_e32 v20, 16, v25
	v_mul_f32_e32 v20, v19, v20
	v_and_b32_e32 v19, 0x7f800000, v20
	v_cmp_ne_u32_e32 vcc, s13, v19
                                        ; implicit-def: $vgpr19
	s_and_saveexec_b64 s[6:7], vcc
	s_xor_b64 s[6:7], exec, s[6:7]
; %bb.87:                               ;   in Loop: Header=BB118_40 Depth=1
	v_bfe_u32 v19, v20, 16, 1
	v_add3_u32 v19, v20, v19, s14
                                        ; implicit-def: $vgpr20
; %bb.88:                               ;   in Loop: Header=BB118_40 Depth=1
	s_andn2_saveexec_b64 s[6:7], s[6:7]
; %bb.89:                               ;   in Loop: Header=BB118_40 Depth=1
	v_or_b32_e32 v19, 0x10000, v20
	v_cmp_eq_u32_sdwa vcc, v20, v11 src0_sel:WORD_0 src1_sel:DWORD
	s_nop 1
	v_cndmask_b32_e32 v19, v19, v20, vcc
; %bb.90:                               ;   in Loop: Header=BB118_40 Depth=1
	s_or_b64 exec, exec, s[6:7]
	v_and_b32_e32 v9, 0xffff0000, v9
	v_lshlrev_b32_e32 v4, 16, v4
	v_mul_f32_e32 v9, v9, v4
	v_and_b32_e32 v4, 0x7f800000, v9
	v_cmp_ne_u32_e32 vcc, s13, v4
                                        ; implicit-def: $vgpr4
	s_and_saveexec_b64 s[6:7], vcc
	s_xor_b64 s[6:7], exec, s[6:7]
; %bb.91:                               ;   in Loop: Header=BB118_40 Depth=1
	v_bfe_u32 v4, v9, 16, 1
	v_add3_u32 v4, v9, v4, s14
                                        ; implicit-def: $vgpr9
; %bb.92:                               ;   in Loop: Header=BB118_40 Depth=1
	s_andn2_saveexec_b64 s[6:7], s[6:7]
; %bb.93:                               ;   in Loop: Header=BB118_40 Depth=1
	v_or_b32_e32 v4, 0x10000, v9
	v_cmp_eq_u32_sdwa vcc, v9, v11 src0_sel:WORD_0 src1_sel:DWORD
	s_nop 1
	v_cndmask_b32_e32 v4, v4, v9, vcc
; %bb.94:                               ;   in Loop: Header=BB118_40 Depth=1
	s_or_b64 exec, exec, s[6:7]
	v_and_b32_e32 v8, 0xffff0000, v8
	v_lshlrev_b32_e32 v9, 16, v24
	v_mul_f32_e32 v9, v8, v9
	v_and_b32_e32 v8, 0x7f800000, v9
	v_cmp_ne_u32_e32 vcc, s13, v8
                                        ; implicit-def: $vgpr8
	s_and_saveexec_b64 s[6:7], vcc
	s_xor_b64 s[6:7], exec, s[6:7]
; %bb.95:                               ;   in Loop: Header=BB118_40 Depth=1
	v_bfe_u32 v8, v9, 16, 1
	v_add3_u32 v8, v9, v8, s14
                                        ; implicit-def: $vgpr9
; %bb.96:                               ;   in Loop: Header=BB118_40 Depth=1
	s_andn2_saveexec_b64 s[6:7], s[6:7]
; %bb.97:                               ;   in Loop: Header=BB118_40 Depth=1
	v_or_b32_e32 v8, 0x10000, v9
	v_cmp_eq_u32_sdwa vcc, v9, v11 src0_sel:WORD_0 src1_sel:DWORD
	s_nop 1
	v_cndmask_b32_e32 v8, v8, v9, vcc
; %bb.98:                               ;   in Loop: Header=BB118_40 Depth=1
	s_or_b64 exec, exec, s[6:7]
	v_and_b32_e32 v7, 0xffff0000, v7
	v_lshlrev_b32_e32 v5, 16, v5
	v_mul_f32_e32 v7, v7, v5
	v_and_b32_e32 v5, 0x7f800000, v7
	v_cmp_ne_u32_e32 vcc, s13, v5
                                        ; implicit-def: $vgpr5
	s_and_saveexec_b64 s[6:7], vcc
	s_xor_b64 s[6:7], exec, s[6:7]
; %bb.99:                               ;   in Loop: Header=BB118_40 Depth=1
	v_bfe_u32 v5, v7, 16, 1
	v_add3_u32 v5, v7, v5, s14
                                        ; implicit-def: $vgpr7
; %bb.100:                              ;   in Loop: Header=BB118_40 Depth=1
	s_andn2_saveexec_b64 s[6:7], s[6:7]
; %bb.101:                              ;   in Loop: Header=BB118_40 Depth=1
	v_or_b32_e32 v5, 0x10000, v7
	v_cmp_eq_u32_sdwa vcc, v7, v11 src0_sel:WORD_0 src1_sel:DWORD
	s_nop 1
	v_cndmask_b32_e32 v5, v5, v7, vcc
; %bb.102:                              ;   in Loop: Header=BB118_40 Depth=1
	s_or_b64 exec, exec, s[6:7]
	v_and_b32_e32 v6, 0xffff0000, v6
	v_lshlrev_b32_e32 v7, 16, v22
	v_mul_f32_e32 v6, v6, v7
	v_and_b32_e32 v7, 0x7f800000, v6
	v_cmp_ne_u32_e32 vcc, s13, v7
                                        ; implicit-def: $vgpr7
	s_and_saveexec_b64 s[6:7], vcc
	s_xor_b64 s[6:7], exec, s[6:7]
; %bb.103:                              ;   in Loop: Header=BB118_40 Depth=1
	v_bfe_u32 v7, v6, 16, 1
	v_add3_u32 v7, v6, v7, s14
                                        ; implicit-def: $vgpr6
; %bb.104:                              ;   in Loop: Header=BB118_40 Depth=1
	s_andn2_saveexec_b64 s[6:7], s[6:7]
	s_cbranch_execz .LBB118_39
; %bb.105:                              ;   in Loop: Header=BB118_40 Depth=1
	v_or_b32_e32 v7, 0x10000, v6
	v_cmp_eq_u32_sdwa vcc, v6, v11 src0_sel:WORD_0 src1_sel:DWORD
	s_nop 1
	v_cndmask_b32_e32 v7, v7, v6, vcc
	s_branch .LBB118_39
.LBB118_106:
	s_or_b64 exec, exec, s[2:3]
.LBB118_107:
	s_or_b64 exec, exec, s[0:1]
	v_and_b32_e32 v0, 0x3c0, v0
	v_cmp_eq_u32_e32 vcc, 64, v0
	s_barrier
	s_and_saveexec_b64 s[0:1], vcc
	s_cbranch_execz .LBB118_109
; %bb.108:
	v_mov_b32_e32 v0, 0x90
	v_lshl_add_u32 v0, v16, 2, v0
	ds_write_b32 v0, v10
.LBB118_109:
	s_or_b64 exec, exec, s[0:1]
	s_waitcnt lgkmcnt(0)
	s_barrier
	s_and_saveexec_b64 s[0:1], s[8:9]
	s_cbranch_execz .LBB118_111
; %bb.110:
	v_mov_b32_e32 v0, 0x90
	v_lshl_add_u32 v0, v16, 2, v0
	ds_read_b32 v0, v0
	s_waitcnt lgkmcnt(0)
	v_add_f32_e32 v10, v10, v0
.LBB118_111:
	s_or_b64 exec, exec, s[0:1]
	s_barrier
	s_and_saveexec_b64 s[0:1], s[8:9]
	s_cbranch_execz .LBB118_117
; %bb.112:
	s_mov_b32 s0, 0x7f800000
	v_and_b32_e32 v0, 0x7f800000, v10
	v_cmp_ne_u32_e32 vcc, s0, v0
                                        ; implicit-def: $vgpr0
	s_and_saveexec_b64 s[0:1], vcc
	s_xor_b64 s[0:1], exec, s[0:1]
; %bb.113:
	v_bfe_u32 v0, v10, 16, 1
	s_movk_i32 s2, 0x7fff
	v_add3_u32 v0, v10, v0, s2
                                        ; implicit-def: $vgpr10
; %bb.114:
	s_andn2_saveexec_b64 s[0:1], s[0:1]
; %bb.115:
	v_mov_b32_e32 v0, 0
	v_or_b32_e32 v1, 0x10000, v10
	v_cmp_eq_u32_sdwa vcc, v10, v0 src0_sel:WORD_0 src1_sel:DWORD
	s_nop 1
	v_cndmask_b32_e32 v0, v1, v10, vcc
; %bb.116:
	s_or_b64 exec, exec, s[0:1]
	s_mul_i32 s0, s16, s12
	s_mul_i32 s0, s0, s5
	s_lshl_b32 s0, s0, 6
	s_ashr_i32 s1, s0, 31
	s_lshl_b64 s[0:1], s[0:1], 1
	s_add_u32 s2, s20, s0
	s_mul_i32 s0, s12, s18
	s_addc_u32 s3, s21, s1
	s_ashr_i32 s1, s0, 31
	s_lshl_b64 s[0:1], s[0:1], 1
	s_add_u32 s2, s2, s0
	s_addc_u32 s3, s3, s1
	s_lshl_b32 s0, s4, 6
	s_ashr_i32 s1, s0, 31
	s_lshl_b64 s[0:1], s[0:1], 1
	s_add_u32 s0, s2, s0
	s_addc_u32 s1, s3, s1
	v_lshlrev_b32_e32 v1, 1, v16
	global_store_short_d16_hi v1, v0, s[0:1]
.LBB118_117:
	s_endpgm
	.section	.rodata,"a",@progbits
	.p2align	6, 0x0
	.amdhsa_kernel _ZN4vllm25paged_attention_v1_kernelI14__hip_bfloat16S1_Li64ELi8ELi128ELNS_18Fp8KVCacheDataTypeE0ELb0EEEvPT_PKS3_PKT0_S9_ifPKiSB_iPKfiiiSD_SD_iiiii
		.amdhsa_group_segment_fixed_size 144
		.amdhsa_private_segment_fixed_size 0
		.amdhsa_kernarg_size 384
		.amdhsa_user_sgpr_count 2
		.amdhsa_user_sgpr_dispatch_ptr 0
		.amdhsa_user_sgpr_queue_ptr 0
		.amdhsa_user_sgpr_kernarg_segment_ptr 1
		.amdhsa_user_sgpr_dispatch_id 0
		.amdhsa_user_sgpr_kernarg_preload_length 0
		.amdhsa_user_sgpr_kernarg_preload_offset 0
		.amdhsa_user_sgpr_private_segment_size 0
		.amdhsa_uses_dynamic_stack 0
		.amdhsa_enable_private_segment 0
		.amdhsa_system_sgpr_workgroup_id_x 1
		.amdhsa_system_sgpr_workgroup_id_y 1
		.amdhsa_system_sgpr_workgroup_id_z 1
		.amdhsa_system_sgpr_workgroup_info 0
		.amdhsa_system_vgpr_workitem_id 0
		.amdhsa_next_free_vgpr 34
		.amdhsa_next_free_sgpr 36
		.amdhsa_accum_offset 36
		.amdhsa_reserve_vcc 1
		.amdhsa_float_round_mode_32 0
		.amdhsa_float_round_mode_16_64 0
		.amdhsa_float_denorm_mode_32 3
		.amdhsa_float_denorm_mode_16_64 3
		.amdhsa_dx10_clamp 1
		.amdhsa_ieee_mode 1
		.amdhsa_fp16_overflow 0
		.amdhsa_tg_split 0
		.amdhsa_exception_fp_ieee_invalid_op 0
		.amdhsa_exception_fp_denorm_src 0
		.amdhsa_exception_fp_ieee_div_zero 0
		.amdhsa_exception_fp_ieee_overflow 0
		.amdhsa_exception_fp_ieee_underflow 0
		.amdhsa_exception_fp_ieee_inexact 0
		.amdhsa_exception_int_div_zero 0
	.end_amdhsa_kernel
	.section	.text._ZN4vllm25paged_attention_v1_kernelI14__hip_bfloat16S1_Li64ELi8ELi128ELNS_18Fp8KVCacheDataTypeE0ELb0EEEvPT_PKS3_PKT0_S9_ifPKiSB_iPKfiiiSD_SD_iiiii,"axG",@progbits,_ZN4vllm25paged_attention_v1_kernelI14__hip_bfloat16S1_Li64ELi8ELi128ELNS_18Fp8KVCacheDataTypeE0ELb0EEEvPT_PKS3_PKT0_S9_ifPKiSB_iPKfiiiSD_SD_iiiii,comdat
.Lfunc_end118:
	.size	_ZN4vllm25paged_attention_v1_kernelI14__hip_bfloat16S1_Li64ELi8ELi128ELNS_18Fp8KVCacheDataTypeE0ELb0EEEvPT_PKS3_PKT0_S9_ifPKiSB_iPKfiiiSD_SD_iiiii, .Lfunc_end118-_ZN4vllm25paged_attention_v1_kernelI14__hip_bfloat16S1_Li64ELi8ELi128ELNS_18Fp8KVCacheDataTypeE0ELb0EEEvPT_PKS3_PKT0_S9_ifPKiSB_iPKfiiiSD_SD_iiiii
                                        ; -- End function
	.section	.AMDGPU.csdata,"",@progbits
; Kernel info:
; codeLenInByte = 4576
; NumSgprs: 42
; NumVgprs: 34
; NumAgprs: 0
; TotalNumVgprs: 34
; ScratchSize: 0
; MemoryBound: 0
; FloatMode: 240
; IeeeMode: 1
; LDSByteSize: 144 bytes/workgroup (compile time only)
; SGPRBlocks: 5
; VGPRBlocks: 4
; NumSGPRsForWavesPerEU: 42
; NumVGPRsForWavesPerEU: 34
; AccumOffset: 36
; Occupancy: 8
; WaveLimiterHint : 1
; COMPUTE_PGM_RSRC2:SCRATCH_EN: 0
; COMPUTE_PGM_RSRC2:USER_SGPR: 2
; COMPUTE_PGM_RSRC2:TRAP_HANDLER: 0
; COMPUTE_PGM_RSRC2:TGID_X_EN: 1
; COMPUTE_PGM_RSRC2:TGID_Y_EN: 1
; COMPUTE_PGM_RSRC2:TGID_Z_EN: 1
; COMPUTE_PGM_RSRC2:TIDIG_COMP_CNT: 0
; COMPUTE_PGM_RSRC3_GFX90A:ACCUM_OFFSET: 8
; COMPUTE_PGM_RSRC3_GFX90A:TG_SPLIT: 0
	.section	.text._ZN4vllm25paged_attention_v1_kernelI14__hip_bfloat16S1_Li80ELi8ELi128ELNS_18Fp8KVCacheDataTypeE0ELb0EEEvPT_PKS3_PKT0_S9_ifPKiSB_iPKfiiiSD_SD_iiiii,"axG",@progbits,_ZN4vllm25paged_attention_v1_kernelI14__hip_bfloat16S1_Li80ELi8ELi128ELNS_18Fp8KVCacheDataTypeE0ELb0EEEvPT_PKS3_PKT0_S9_ifPKiSB_iPKfiiiSD_SD_iiiii,comdat
	.protected	_ZN4vllm25paged_attention_v1_kernelI14__hip_bfloat16S1_Li80ELi8ELi128ELNS_18Fp8KVCacheDataTypeE0ELb0EEEvPT_PKS3_PKT0_S9_ifPKiSB_iPKfiiiSD_SD_iiiii ; -- Begin function _ZN4vllm25paged_attention_v1_kernelI14__hip_bfloat16S1_Li80ELi8ELi128ELNS_18Fp8KVCacheDataTypeE0ELb0EEEvPT_PKS3_PKT0_S9_ifPKiSB_iPKfiiiSD_SD_iiiii
	.globl	_ZN4vllm25paged_attention_v1_kernelI14__hip_bfloat16S1_Li80ELi8ELi128ELNS_18Fp8KVCacheDataTypeE0ELb0EEEvPT_PKS3_PKT0_S9_ifPKiSB_iPKfiiiSD_SD_iiiii
	.p2align	8
	.type	_ZN4vllm25paged_attention_v1_kernelI14__hip_bfloat16S1_Li80ELi8ELi128ELNS_18Fp8KVCacheDataTypeE0ELb0EEEvPT_PKS3_PKT0_S9_ifPKiSB_iPKfiiiSD_SD_iiiii,@function
_ZN4vllm25paged_attention_v1_kernelI14__hip_bfloat16S1_Li80ELi8ELi128ELNS_18Fp8KVCacheDataTypeE0ELb0EEEvPT_PKS3_PKT0_S9_ifPKiSB_iPKfiiiSD_SD_iiiii: ; @_ZN4vllm25paged_attention_v1_kernelI14__hip_bfloat16S1_Li80ELi8ELi128ELNS_18Fp8KVCacheDataTypeE0ELb0EEEvPT_PKS3_PKT0_S9_ifPKiSB_iPKfiiiSD_SD_iiiii
; %bb.0:
	s_load_dword s5, s[0:1], 0x80
	s_load_dwordx2 s[6:7], s[0:1], 0x30
	s_load_dwordx2 s[10:11], s[0:1], 0x20
	s_mov_b32 s16, s3
	s_ashr_i32 s17, s3, 31
	s_lshl_b64 s[8:9], s[16:17], 2
	s_waitcnt lgkmcnt(0)
	s_add_u32 s6, s6, s8
	s_addc_u32 s7, s7, s9
	s_abs_i32 s3, s10
	v_cvt_f32_u32_e32 v1, s3
	s_xor_b32 s8, s5, s10
	s_sub_i32 s10, 0, s3
	s_abs_i32 s9, s5
	v_rcp_iflag_f32_e32 v1, v1
	s_ashr_i32 s8, s8, 31
	v_mul_f32_e32 v1, 0x4f7ffffe, v1
	v_cvt_u32_f32_e32 v1, v1
	s_nop 0
	v_readfirstlane_b32 s12, v1
	s_mul_i32 s10, s10, s12
	s_mul_hi_u32 s10, s12, s10
	s_add_i32 s12, s12, s10
	s_mul_hi_u32 s10, s9, s12
	s_mul_i32 s12, s10, s3
	s_sub_i32 s9, s9, s12
	s_add_i32 s12, s10, 1
	s_sub_i32 s13, s9, s3
	s_cmp_ge_u32 s9, s3
	s_cselect_b32 s10, s12, s10
	s_cselect_b32 s9, s13, s9
	s_add_i32 s12, s10, 1
	s_cmp_ge_u32 s9, s3
	s_cselect_b32 s3, s12, s10
	s_xor_b32 s3, s3, s8
	s_sub_i32 s12, s3, s8
	s_abs_i32 s17, s12
	v_cvt_f32_u32_e32 v1, s17
	s_load_dwordx2 s[8:9], s[0:1], 0x40
	s_sub_i32 s3, 0, s17
	s_abs_i32 s20, s2
	v_rcp_iflag_f32_e32 v1, v1
	s_mov_b32 s10, 0
	v_mul_f32_e32 v1, 0x4f7ffffe, v1
	v_cvt_u32_f32_e32 v1, v1
	s_nop 0
	v_readfirstlane_b32 s13, v1
	s_mul_i32 s3, s3, s13
	s_mul_hi_u32 s3, s13, s3
	s_add_i32 s13, s13, s3
	s_waitcnt lgkmcnt(0)
	s_cmp_eq_u64 s[8:9], 0
	s_mul_hi_u32 s21, s20, s13
	s_cbranch_scc1 .LBB119_2
; %bb.1:
	s_ashr_i32 s3, s2, 31
	s_lshl_b64 s[14:15], s[2:3], 2
	s_add_u32 s8, s8, s14
	s_addc_u32 s9, s9, s15
	s_load_dword s10, s[8:9], 0x0
.LBB119_2:
	s_load_dword s33, s[6:7], 0x0
	s_ashr_i32 s7, s12, 31
	s_load_dwordx4 s[12:15], s[0:1], 0x48
	s_movk_i32 s3, 0x50
	s_ashr_i32 s6, s2, 31
	v_and_b32_e32 v4, 7, v0
	s_mul_i32 s18, s2, 0x50
	v_cmp_gt_u32_e64 s[8:9], s3, v0
	v_lshlrev_b32_e32 v10, 1, v0
	s_and_saveexec_b64 s[2:3], s[8:9]
	s_cbranch_execz .LBB119_4
; %bb.3:
	s_load_dwordx2 s[22:23], s[0:1], 0x8
	s_waitcnt lgkmcnt(0)
	s_mul_i32 s24, s16, s12
	s_ashr_i32 s25, s24, 31
	s_lshl_b64 s[24:25], s[24:25], 1
	v_lshrrev_b32_e32 v2, 2, v0
	s_add_u32 s12, s22, s24
	s_addc_u32 s15, s23, s25
	s_ashr_i32 s19, s18, 31
	s_lshl_b64 s[22:23], s[18:19], 1
	s_add_u32 s22, s12, s22
	s_addc_u32 s23, s15, s23
	global_load_ushort v1, v10, s[22:23]
	v_and_b32_e32 v2, 0xfe, v2
	v_mad_u32_u24 v2, v4, 20, v2
	s_waitcnt vmcnt(0)
	ds_write_b16 v2, v1
.LBB119_4:
	s_or_b64 exec, exec, s[2:3]
	s_waitcnt lgkmcnt(0)
	s_add_i32 s3, s33, 7
	s_ashr_i32 s12, s3, 31
	s_lshr_b32 s12, s12, 29
	s_add_i32 s3, s3, s12
	s_ashr_i32 s19, s3, 3
	s_xor_b32 s3, s6, s7
	s_mul_i32 s6, s21, s17
	s_sub_i32 s6, s20, s6
	s_add_i32 s7, s21, 1
	s_sub_i32 s12, s6, s17
	s_load_dwordx2 s[22:23], s[0:1], 0x28
	s_load_dword s2, s[0:1], 0x38
	s_cmp_ge_u32 s6, s17
	s_cselect_b32 s7, s7, s21
	s_cselect_b32 s6, s12, s6
	s_add_i32 s12, s7, 1
	s_cmp_ge_u32 s6, s17
	s_cselect_b32 s6, s12, s7
	v_lshrrev_b32_e32 v1, 6, v0
	s_xor_b32 s6, s6, s3
	s_waitcnt lgkmcnt(0)
	s_mul_i32 s24, s16, s2
	s_sub_i32 s12, s6, s3
	s_ashr_i32 s25, s24, 31
	v_cmp_gt_i32_e64 s[2:3], s19, v1
	v_cmp_le_i32_e32 vcc, s19, v1
	v_mbcnt_lo_u32_b32 v5, -1, 0
	s_barrier
	s_waitcnt lgkmcnt(0)
                                        ; implicit-def: $sgpr15
                                        ; implicit-def: $vgpr6
                                        ; implicit-def: $vgpr8
	s_and_saveexec_b64 s[6:7], vcc
	s_xor_b64 s[6:7], exec, s[6:7]
; %bb.5:
	v_mbcnt_hi_u32_b32 v6, -1, v5
	v_and_b32_e32 v2, 64, v6
	v_add_u32_e32 v8, 64, v2
	s_mov_b32 s15, 0xff7fffff
                                        ; implicit-def: $vgpr4
                                        ; implicit-def: $vgpr5
; %bb.6:
	s_or_saveexec_b64 s[28:29], s[6:7]
	s_load_dwordx2 s[20:21], s[0:1], 0x0
	s_load_dwordx2 s[26:27], s[0:1], 0x18
	s_load_dword s17, s[0:1], 0x88
	v_mov_b32_e32 v20, s15
	s_mul_i32 s14, s12, s14
	v_lshrrev_b32_e32 v7, 4, v0
	s_xor_b64 exec, exec, s[28:29]
	s_cbranch_execz .LBB119_12
; %bb.7:
	v_mul_u32_u24_e32 v6, 20, v4
	ds_read2_b32 v[12:13], v6 offset1:1
	ds_read2_b32 v[16:17], v6 offset0:2 offset1:3
	ds_read_b32 v6, v6 offset:16
	s_load_dwordx2 s[0:1], s[0:1], 0x10
	s_ashr_i32 s15, s14, 31
	s_lshl_b64 s[6:7], s[14:15], 1
	v_bfe_u32 v20, v0, 3, 3
	s_waitcnt lgkmcnt(0)
	v_lshlrev_b32_e32 v18, 16, v6
	v_and_b32_e32 v19, 0xffff0000, v6
	v_mbcnt_hi_u32_b32 v6, -1, v5
	v_and_b32_e32 v5, 64, v6
	v_add_u32_e32 v8, 64, v5
	v_xor_b32_e32 v5, 4, v6
	v_cmp_lt_i32_e32 vcc, v5, v8
	s_add_u32 s0, s0, s6
	s_addc_u32 s1, s1, s7
	v_cndmask_b32_e32 v5, v6, v5, vcc
	v_lshlrev_b32_e32 v21, 2, v5
	v_xor_b32_e32 v5, 2, v6
	v_cmp_lt_i32_e32 vcc, v5, v8
	v_lshlrev_b32_e32 v26, 4, v20
	v_mov_b32_e32 v27, 0
	v_cndmask_b32_e32 v5, v6, v5, vcc
	v_lshlrev_b32_e32 v22, 2, v5
	v_xor_b32_e32 v5, 1, v6
	v_cmp_lt_i32_e32 vcc, v5, v8
	s_sub_i32 s15, 1, s33
	s_lshl_b64 s[6:7], s[24:25], 2
	v_lshl_add_u64 v[2:3], s[0:1], 0, v[26:27]
	v_lshlrev_b32_e32 v26, 1, v4
	v_cndmask_b32_e32 v5, v6, v5, vcc
	v_cmp_eq_u32_e32 vcc, 0, v4
	v_lshlrev_b32_e32 v4, 2, v20
	s_add_u32 s6, s22, s6
	v_lshl_add_u64 v[2:3], v[2:3], 0, v[26:27]
	v_lshl_or_b32 v4, v1, 5, v4
	v_and_b32_e32 v26, 60, v7
	s_addc_u32 s7, s23, s7
	s_mov_b32 s12, s13
	v_lshlrev_b32_e32 v9, 16, v12
	v_and_b32_e32 v11, 0xffff0000, v12
	v_lshlrev_b32_e32 v12, 16, v13
	v_and_b32_e32 v13, 0xffff0000, v13
	;; [unrolled: 2-line block ×4, first 2 shown]
	v_lshlrev_b32_e32 v23, 2, v5
	v_cmp_neq_f32_e64 s[0:1], s10, 0
	v_lshl_or_b32 v24, v1, 3, v20
	v_add_u32_e32 v25, 0xb0, v4
	v_lshl_add_u64 v[4:5], s[6:7], 0, v[26:27]
	s_mov_b64 s[30:31], 0
	v_mov_b32_e32 v20, 0xff7fffff
	v_mov_b32_e32 v26, v1
	s_branch .LBB119_9
.LBB119_8:                              ;   in Loop: Header=BB119_9 Depth=1
	s_or_b64 exec, exec, s[34:35]
	v_add_u32_e32 v26, 2, v26
	v_cmp_le_i32_e64 s[6:7], s19, v26
	v_add_u32_e32 v24, 16, v24
	v_add_u32_e32 v25, 64, v25
	s_or_b64 s[30:31], s[6:7], s[30:31]
	v_lshl_add_u64 v[4:5], v[4:5], 0, 8
	s_andn2_b64 exec, exec, s[30:31]
	s_cbranch_execz .LBB119_11
.LBB119_9:                              ; =>This Inner Loop Header: Depth=1
	global_load_dword v27, v[4:5], off
	s_waitcnt vmcnt(0) lgkmcnt(0)
	v_mad_i64_i32 v[28:29], s[6:7], v27, s12, 0
	v_lshl_add_u64 v[28:29], v[28:29], 1, v[2:3]
	global_load_ushort v27, v[28:29], off
	global_load_ushort v30, v[28:29], off offset:128
	global_load_ushort v31, v[28:29], off offset:256
	;; [unrolled: 1-line block ×9, first 2 shown]
	s_waitcnt vmcnt(9)
	v_lshlrev_b32_e32 v27, 16, v27
	s_waitcnt vmcnt(8)
	v_lshlrev_b32_e32 v28, 16, v30
	v_mul_f32_e32 v28, v11, v28
	s_waitcnt vmcnt(7)
	v_lshlrev_b32_e32 v29, 16, v31
	v_fmac_f32_e32 v28, v9, v27
	s_waitcnt vmcnt(6)
	v_lshlrev_b32_e32 v30, 16, v32
	v_fmac_f32_e32 v28, v12, v29
	;; [unrolled: 3-line block ×7, first 2 shown]
	v_fmac_f32_e32 v28, v18, v35
	s_waitcnt vmcnt(0)
	v_lshlrev_b32_e32 v27, 16, v38
	v_fmac_f32_e32 v28, v19, v27
	ds_bpermute_b32 v27, v21, v28
	s_waitcnt lgkmcnt(0)
	v_add_f32_e32 v27, v28, v27
	ds_bpermute_b32 v28, v22, v27
	s_waitcnt lgkmcnt(0)
	v_add_f32_e32 v27, v27, v28
	ds_bpermute_b32 v28, v23, v27
	s_and_saveexec_b64 s[34:35], vcc
	s_cbranch_execz .LBB119_8
; %bb.10:                               ;   in Loop: Header=BB119_9 Depth=1
	v_add_u32_e32 v29, s15, v24
	v_cvt_f32_i32_e32 v29, v29
	s_waitcnt lgkmcnt(0)
	v_add_f32_e32 v27, v27, v28
	v_cmp_gt_i32_e64 s[6:7], s33, v24
	v_max_f32_e32 v28, v20, v20
	v_mul_f32_e32 v29, s10, v29
	v_cndmask_b32_e64 v29, 0, v29, s[0:1]
	v_fmac_f32_e32 v29, s11, v27
	v_cndmask_b32_e64 v27, 0, v29, s[6:7]
	ds_write_b32 v25, v27
	v_max_f32_e32 v27, v28, v29
	v_cndmask_b32_e64 v20, v20, v27, s[6:7]
	s_branch .LBB119_8
.LBB119_11:
	s_or_b64 exec, exec, s[30:31]
.LBB119_12:
	s_or_b64 exec, exec, s[28:29]
	v_xor_b32_e32 v2, 32, v6
	v_cmp_lt_i32_e32 vcc, v2, v8
	v_xor_b32_e32 v5, 16, v6
	v_max_f32_e32 v4, v20, v20
	v_cndmask_b32_e32 v2, v6, v2, vcc
	v_lshlrev_b32_e32 v3, 2, v2
	ds_bpermute_b32 v2, v3, v20
	v_cmp_lt_i32_e32 vcc, v5, v8
	v_xor_b32_e32 v9, 8, v6
	v_and_b32_e32 v11, 63, v0
	s_waitcnt lgkmcnt(0)
	v_max_f32_e32 v2, v2, v2
	v_max_f32_e32 v2, v4, v2
	v_cndmask_b32_e32 v4, v6, v5, vcc
	v_lshlrev_b32_e32 v5, 2, v4
	ds_bpermute_b32 v4, v5, v2
	v_cmp_lt_i32_e32 vcc, v9, v8
	s_waitcnt lgkmcnt(0)
	v_max_f32_e32 v4, v4, v4
	v_max_f32_e32 v4, v2, v4
	v_cndmask_b32_e32 v2, v6, v9, vcc
	v_lshlrev_b32_e32 v12, 2, v2
	ds_bpermute_b32 v9, v12, v4
	v_cmp_eq_u32_e32 vcc, 0, v11
	v_lshlrev_b32_e32 v2, 2, v1
	s_and_saveexec_b64 s[0:1], vcc
	s_cbranch_execz .LBB119_14
; %bb.13:
	s_waitcnt lgkmcnt(0)
	v_max_f32_e32 v9, v9, v9
	v_max_f32_e32 v4, v4, v4
	;; [unrolled: 1-line block ×3, first 2 shown]
	ds_write_b32 v2, v4 offset:160
.LBB119_14:
	s_or_b64 exec, exec, s[0:1]
	v_cmp_gt_u32_e64 s[0:1], 2, v11
	v_mov_b32_e32 v13, 0xff7fffff
	v_lshlrev_b32_e32 v4, 2, v11
	s_waitcnt lgkmcnt(0)
	s_barrier
	s_and_saveexec_b64 s[6:7], s[0:1]
	s_cbranch_execz .LBB119_16
; %bb.15:
	ds_read_b32 v13, v4 offset:160
.LBB119_16:
	s_or_b64 exec, exec, s[6:7]
	v_xor_b32_e32 v9, 1, v6
	v_cmp_lt_i32_e64 s[6:7], v9, v8
	v_lshlrev_b32_e32 v15, 2, v6
	s_nop 0
	v_cndmask_b32_e64 v9, v6, v9, s[6:7]
	v_lshlrev_b32_e32 v9, 2, v9
	s_waitcnt lgkmcnt(0)
	ds_bpermute_b32 v14, v9, v13
	v_max_f32_e32 v13, v13, v13
	s_lshl_b32 s6, s19, 3
	s_min_i32 s12, s6, s33
	v_cmp_gt_i32_e64 s[6:7], s12, v0
	s_waitcnt lgkmcnt(0)
	v_max_f32_e32 v14, v14, v14
	v_max_f32_e32 v14, v13, v14
	v_and_b32_e32 v13, 0xffffff00, v15
	ds_bpermute_b32 v15, v13, v14
	v_mov_b32_e32 v14, 0
	s_and_saveexec_b64 s[28:29], s[6:7]
	s_cbranch_execz .LBB119_20
; %bb.17:
	v_mov_b32_e32 v14, 0xb0
	v_lshl_add_u32 v16, v0, 2, v14
	s_mov_b64 s[30:31], 0
	v_mov_b32_e32 v14, 0
	v_mov_b32_e32 v17, v0
.LBB119_18:                             ; =>This Inner Loop Header: Depth=1
	ds_read_b32 v18, v16
	v_add_u32_e32 v17, 0x80, v17
	v_cmp_le_i32_e64 s[10:11], s12, v17
	s_or_b64 s[30:31], s[10:11], s[30:31]
	s_waitcnt lgkmcnt(0)
	v_sub_f32_e32 v18, v18, v15
	v_mul_f32_e32 v18, 0x3fb8aa3b, v18
	v_exp_f32_e32 v18, v18
	ds_write_b32 v16, v18
	v_add_f32_e32 v14, v14, v18
	v_add_u32_e32 v16, 0x200, v16
	s_andn2_b64 exec, exec, s[30:31]
	s_cbranch_execnz .LBB119_18
; %bb.19:
	s_or_b64 exec, exec, s[30:31]
.LBB119_20:
	s_or_b64 exec, exec, s[28:29]
	ds_bpermute_b32 v3, v3, v14
	s_waitcnt lgkmcnt(0)
	v_add_f32_e32 v3, v14, v3
	ds_bpermute_b32 v5, v5, v3
	s_waitcnt lgkmcnt(0)
	v_add_f32_e32 v3, v3, v5
	ds_bpermute_b32 v5, v12, v3
	v_xor_b32_e32 v12, 4, v6
	v_cmp_lt_i32_e64 s[10:11], v12, v8
	s_waitcnt lgkmcnt(0)
	v_add_f32_e32 v3, v3, v5
	v_cndmask_b32_e64 v12, v6, v12, s[10:11]
	v_lshlrev_b32_e32 v12, 2, v12
	ds_bpermute_b32 v5, v12, v3
	v_xor_b32_e32 v12, 2, v6
	v_cmp_lt_i32_e64 s[10:11], v12, v8
	s_waitcnt lgkmcnt(0)
	v_add_f32_e32 v3, v3, v5
	v_cndmask_b32_e64 v6, v6, v12, s[10:11]
	v_lshlrev_b32_e32 v5, 2, v6
	ds_bpermute_b32 v5, v5, v3
	s_waitcnt lgkmcnt(0)
	v_add_f32_e32 v3, v3, v5
	ds_bpermute_b32 v5, v9, v3
	s_waitcnt lgkmcnt(0)
	v_add_f32_e32 v3, v3, v5
	s_and_saveexec_b64 s[10:11], vcc
	s_cbranch_execz .LBB119_22
; %bb.21:
	ds_write_b32 v2, v3 offset:168
.LBB119_22:
	s_or_b64 exec, exec, s[10:11]
	s_waitcnt lgkmcnt(0)
	s_barrier
	s_and_saveexec_b64 s[10:11], s[0:1]
	s_cbranch_execz .LBB119_24
; %bb.23:
	ds_read_b32 v3, v4 offset:168
.LBB119_24:
	s_or_b64 exec, exec, s[10:11]
	s_waitcnt lgkmcnt(0)
	ds_bpermute_b32 v2, v9, v3
	s_waitcnt lgkmcnt(0)
	v_add_f32_e32 v2, v3, v2
	ds_bpermute_b32 v2, v13, v2
	s_and_saveexec_b64 s[0:1], s[6:7]
	s_cbranch_execz .LBB119_37
; %bb.25:
	s_waitcnt lgkmcnt(0)
	v_add_f32_e32 v2, 0x358637bd, v2
	v_div_scale_f32 v3, s[6:7], v2, v2, 1.0
	v_rcp_f32_e32 v4, v3
	v_div_scale_f32 v5, vcc, 1.0, v2, 1.0
	s_movk_i32 s6, 0x7f
	v_fma_f32 v6, -v3, v4, 1.0
	v_fmac_f32_e32 v4, v6, v4
	v_mul_f32_e32 v6, v5, v4
	v_fma_f32 v8, -v3, v6, v5
	v_fmac_f32_e32 v6, v8, v4
	v_fma_f32 v3, -v3, v6, v5
	v_div_fmas_f32 v3, v3, v4, v6
	v_xad_u32 v4, v0, -1, s12
	v_div_fixup_f32 v2, v3, v2, 1.0
	v_cmp_lt_u32_e32 vcc, s6, v4
	s_mov_b64 s[10:11], -1
	v_mov_b32_e32 v3, v0
	s_and_saveexec_b64 s[6:7], vcc
	s_cbranch_execz .LBB119_34
; %bb.26:
	v_lshrrev_b32_e32 v4, 7, v4
	v_add_u32_e32 v6, -1, v4
	v_lshrrev_b32_e32 v5, 1, v6
	v_mov_b32_e32 v3, v2
	v_add_u32_e32 v5, 1, v5
	v_cmp_lt_u32_e32 vcc, 13, v6
	v_mov_b32_e32 v9, 0
	s_and_saveexec_b64 s[10:11], vcc
	s_cbranch_execz .LBB119_30
; %bb.27:
	v_mov_b32_e32 v8, 0xb0
	v_and_b32_e32 v6, -8, v5
	v_lshl_add_u32 v8, v0, 2, v8
	s_mov_b32 s15, 0
	s_mov_b64 s[28:29], 0
.LBB119_28:                             ; =>This Inner Loop Header: Depth=1
	ds_read2st64_b32 v[12:13], v8 offset1:2
	ds_read2st64_b32 v[14:15], v8 offset0:4 offset1:6
	ds_read2st64_b32 v[16:17], v8 offset0:8 offset1:10
	ds_read2st64_b32 v[18:19], v8 offset0:12 offset1:14
	v_add_u32_e32 v6, -8, v6
	s_waitcnt lgkmcnt(3)
	v_pk_mul_f32 v[12:13], v[2:3], v[12:13]
	s_waitcnt lgkmcnt(2)
	v_pk_mul_f32 v[14:15], v[2:3], v[14:15]
	ds_write2st64_b32 v8, v12, v13 offset1:2
	ds_write2st64_b32 v8, v14, v15 offset0:4 offset1:6
	ds_read2st64_b32 v[14:15], v8 offset0:16 offset1:18
	s_waitcnt lgkmcnt(4)
	v_pk_mul_f32 v[12:13], v[2:3], v[16:17]
	ds_write2st64_b32 v8, v12, v13 offset0:8 offset1:10
	s_waitcnt lgkmcnt(4)
	v_pk_mul_f32 v[12:13], v[2:3], v[18:19]
	ds_write2st64_b32 v8, v12, v13 offset0:12 offset1:14
	ds_read2st64_b32 v[12:13], v8 offset0:20 offset1:22
	s_waitcnt lgkmcnt(3)
	v_pk_mul_f32 v[14:15], v[2:3], v[14:15]
	ds_read2st64_b32 v[16:17], v8 offset0:24 offset1:26
	ds_write2st64_b32 v8, v14, v15 offset0:16 offset1:18
	ds_read2st64_b32 v[14:15], v8 offset0:28 offset1:30
	s_waitcnt lgkmcnt(3)
	v_pk_mul_f32 v[12:13], v[2:3], v[12:13]
	ds_write2st64_b32 v8, v12, v13 offset0:20 offset1:22
	s_waitcnt lgkmcnt(3)
	v_pk_mul_f32 v[12:13], v[2:3], v[16:17]
	ds_write2st64_b32 v8, v12, v13 offset0:24 offset1:26
	s_waitcnt lgkmcnt(2)
	v_pk_mul_f32 v[12:13], v[2:3], v[14:15]
	s_add_i32 s15, s15, 16
	v_cmp_eq_u32_e32 vcc, 0, v6
	ds_write2st64_b32 v8, v12, v13 offset0:28 offset1:30
	v_add_u32_e32 v8, 0x2000, v8
	s_or_b64 s[28:29], vcc, s[28:29]
	v_mov_b32_e32 v9, s15
	s_andn2_b64 exec, exec, s[28:29]
	s_cbranch_execnz .LBB119_28
; %bb.29:
	s_or_b64 exec, exec, s[28:29]
.LBB119_30:
	s_or_b64 exec, exec, s[10:11]
	v_and_b32_e32 v5, 7, v5
	v_cmp_ne_u32_e32 vcc, 0, v5
	s_and_saveexec_b64 s[10:11], vcc
	s_cbranch_execz .LBB119_33
; %bb.31:
	v_lshlrev_b32_e32 v6, 9, v9
	v_lshlrev_b32_e32 v8, 2, v0
	s_movk_i32 s15, 0xb0
	v_add3_u32 v6, v6, v8, s15
	s_mov_b64 s[28:29], 0
.LBB119_32:                             ; =>This Inner Loop Header: Depth=1
	ds_read2st64_b32 v[8:9], v6 offset1:2
	v_add_u32_e32 v5, -1, v5
	v_cmp_eq_u32_e32 vcc, 0, v5
	s_or_b64 s[28:29], vcc, s[28:29]
	s_waitcnt lgkmcnt(0)
	v_pk_mul_f32 v[8:9], v[2:3], v[8:9]
	ds_write2st64_b32 v6, v8, v9 offset1:2
	v_add_u32_e32 v6, 0x400, v6
	s_andn2_b64 exec, exec, s[28:29]
	s_cbranch_execnz .LBB119_32
.LBB119_33:
	s_or_b64 exec, exec, s[10:11]
	v_add_u32_e32 v4, 1, v4
	v_and_b32_e32 v5, 0x3fffffe, v4
	v_cmp_ne_u32_e32 vcc, v4, v5
	v_lshl_add_u32 v3, v5, 7, v0
	s_orn2_b64 s[10:11], vcc, exec
.LBB119_34:
	s_or_b64 exec, exec, s[6:7]
	s_and_b64 exec, exec, s[10:11]
	s_cbranch_execz .LBB119_37
; %bb.35:
	v_mov_b32_e32 v4, 0xb0
	v_lshl_add_u32 v4, v3, 2, v4
	s_mov_b64 s[6:7], 0
.LBB119_36:                             ; =>This Inner Loop Header: Depth=1
	ds_read_b32 v5, v4
	v_add_u32_e32 v3, 0x80, v3
	v_cmp_le_i32_e32 vcc, s12, v3
	s_or_b64 s[6:7], vcc, s[6:7]
	s_waitcnt lgkmcnt(0)
	v_mul_f32_e32 v5, v2, v5
	ds_write_b32 v4, v5
	v_add_u32_e32 v4, 0x200, v4
	s_andn2_b64 exec, exec, s[6:7]
	s_cbranch_execnz .LBB119_36
.LBB119_37:
	s_or_b64 exec, exec, s[0:1]
	v_mov_b32_e32 v13, 0
	v_mov_b32_e32 v6, v13
	s_waitcnt lgkmcnt(0)
	s_barrier
	s_and_saveexec_b64 s[6:7], s[2:3]
	s_cbranch_execz .LBB119_143
; %bb.38:
	s_ashr_i32 s15, s14, 31
	s_lshl_b64 s[0:1], s[14:15], 1
	s_add_u32 s10, s26, s0
	v_or_b32_e32 v3, 64, v11
	s_movk_i32 s0, 0x50
	s_addc_u32 s11, s27, s1
	s_add_i32 s26, s19, -1
	v_cmp_gt_u32_e32 vcc, s0, v3
	s_lshl_b64 s[0:1], s[24:25], 2
	s_add_u32 s0, s22, s0
	v_lshlrev_b32_e32 v2, 3, v11
	v_mov_b32_e32 v15, 0
	v_lshlrev_b32_e32 v4, 3, v3
	v_mov_b32_e32 v3, 0xb0
	v_and_b32_e32 v14, 60, v7
	s_addc_u32 s1, s23, s1
	s_mov_b32 s28, s13
	v_lshl_or_b32 v20, v1, 3, 7
	v_lshl_add_u32 v21, v1, 5, v3
	v_lshl_add_u64 v[16:17], s[0:1], 0, v[14:15]
	s_mov_b64 s[12:13], 0
	s_mov_b32 s24, 0x7f800000
	s_movk_i32 s25, 0x7fff
	v_lshlrev_b32_e32 v14, 1, v2
	v_lshlrev_b32_e32 v18, 1, v4
	v_mov_b32_e32 v12, v15
	v_mov_b32_e32 v13, v15
	s_branch .LBB119_41
.LBB119_39:                             ;   in Loop: Header=BB119_41 Depth=1
	s_or_b64 exec, exec, s[2:3]
	v_and_b32_e32 v23, 0xffff0000, v22
	v_and_b32_e32 v22, 0xffff0000, v9
	v_and_b32_e32 v9, 0xffff0000, v19
	v_and_b32_e32 v8, 0xffff0000, v8
	v_and_b32_e32 v3, 0xffff0000, v3
	v_and_b32_e32 v2, 0xffff0000, v2
	v_pk_add_f32 v[2:3], v[2:3], v[8:9]
	v_and_b32_e32 v5, 0xffff0000, v5
	v_and_b32_e32 v4, 0xffff0000, v4
	v_mov_b32_e32 v8, v3
	v_pk_add_f32 v[2:3], v[2:3], v[8:9]
	v_pk_add_f32 v[4:5], v[4:5], v[22:23]
	s_nop 0
	v_pk_add_f32 v[2:3], v[2:3], v[4:5]
	v_mov_b32_e32 v4, v5
	v_pk_add_f32 v[2:3], v[2:3], v[4:5]
	s_nop 0
	v_mov_b32_e32 v3, v2
	v_pk_add_f32 v[12:13], v[12:13], v[2:3]
.LBB119_40:                             ;   in Loop: Header=BB119_41 Depth=1
	s_or_b64 exec, exec, s[14:15]
	v_add_u32_e32 v1, 2, v1
	v_cmp_le_i32_e64 s[0:1], s19, v1
	v_add_u32_e32 v20, 16, v20
	v_add_u32_e32 v21, 64, v21
	v_lshl_add_u64 v[16:17], v[16:17], 0, 8
	s_or_b64 s[12:13], s[0:1], s[12:13]
	v_mov_b32_e32 v12, v6
	s_andn2_b64 exec, exec, s[12:13]
	s_cbranch_execz .LBB119_142
.LBB119_41:                             ; =>This Inner Loop Header: Depth=1
	global_load_dword v22, v[16:17], off
	ds_read2_b64 v[6:9], v21 offset1:1
	ds_read2_b64 v[2:5], v21 offset0:2 offset1:3
                                        ; implicit-def: $vgpr23
	s_waitcnt lgkmcnt(1)
	v_and_b32_e32 v19, 0x7f800000, v6
	v_cmp_ne_u32_e64 s[0:1], s24, v19
	s_and_saveexec_b64 s[2:3], s[0:1]
	s_xor_b64 s[0:1], exec, s[2:3]
; %bb.42:                               ;   in Loop: Header=BB119_41 Depth=1
	v_bfe_u32 v19, v6, 16, 1
	v_add3_u32 v23, v6, v19, s25
; %bb.43:                               ;   in Loop: Header=BB119_41 Depth=1
	s_andn2_saveexec_b64 s[2:3], s[0:1]
; %bb.44:                               ;   in Loop: Header=BB119_41 Depth=1
	v_or_b32_e32 v19, 0x10000, v6
	v_cmp_eq_u32_sdwa s[0:1], v6, v15 src0_sel:WORD_0 src1_sel:DWORD
	s_nop 1
	v_cndmask_b32_e64 v23, v19, v6, s[0:1]
; %bb.45:                               ;   in Loop: Header=BB119_41 Depth=1
	s_or_b64 exec, exec, s[2:3]
	v_and_b32_e32 v6, 0x7f800000, v7
	v_cmp_ne_u32_e64 s[0:1], s24, v6
                                        ; implicit-def: $vgpr24
	s_and_saveexec_b64 s[2:3], s[0:1]
	s_xor_b64 s[0:1], exec, s[2:3]
; %bb.46:                               ;   in Loop: Header=BB119_41 Depth=1
	v_bfe_u32 v6, v7, 16, 1
	v_add3_u32 v24, v7, v6, s25
; %bb.47:                               ;   in Loop: Header=BB119_41 Depth=1
	s_andn2_saveexec_b64 s[2:3], s[0:1]
; %bb.48:                               ;   in Loop: Header=BB119_41 Depth=1
	v_or_b32_e32 v6, 0x10000, v7
	v_cmp_eq_u32_sdwa s[0:1], v7, v15 src0_sel:WORD_0 src1_sel:DWORD
	s_nop 1
	v_cndmask_b32_e64 v24, v6, v7, s[0:1]
; %bb.49:                               ;   in Loop: Header=BB119_41 Depth=1
	s_or_b64 exec, exec, s[2:3]
	v_and_b32_e32 v6, 0x7f800000, v8
	v_cmp_ne_u32_e64 s[0:1], s24, v6
                                        ; implicit-def: $vgpr25
	s_and_saveexec_b64 s[2:3], s[0:1]
	s_xor_b64 s[0:1], exec, s[2:3]
; %bb.50:                               ;   in Loop: Header=BB119_41 Depth=1
	v_bfe_u32 v6, v8, 16, 1
	v_add3_u32 v25, v8, v6, s25
; %bb.51:                               ;   in Loop: Header=BB119_41 Depth=1
	s_andn2_saveexec_b64 s[2:3], s[0:1]
; %bb.52:                               ;   in Loop: Header=BB119_41 Depth=1
	v_or_b32_e32 v6, 0x10000, v8
	v_cmp_eq_u32_sdwa s[0:1], v8, v15 src0_sel:WORD_0 src1_sel:DWORD
	s_nop 1
	v_cndmask_b32_e64 v25, v6, v8, s[0:1]
; %bb.53:                               ;   in Loop: Header=BB119_41 Depth=1
	s_or_b64 exec, exec, s[2:3]
	v_and_b32_e32 v6, 0x7f800000, v9
	v_cmp_ne_u32_e64 s[0:1], s24, v6
                                        ; implicit-def: $vgpr26
	s_and_saveexec_b64 s[2:3], s[0:1]
	s_xor_b64 s[0:1], exec, s[2:3]
; %bb.54:                               ;   in Loop: Header=BB119_41 Depth=1
	v_bfe_u32 v6, v9, 16, 1
	v_add3_u32 v26, v9, v6, s25
                                        ; implicit-def: $vgpr6_vgpr7_vgpr8_vgpr9
; %bb.55:                               ;   in Loop: Header=BB119_41 Depth=1
	s_andn2_saveexec_b64 s[2:3], s[0:1]
; %bb.56:                               ;   in Loop: Header=BB119_41 Depth=1
	v_or_b32_e32 v6, 0x10000, v9
	v_cmp_eq_u32_sdwa s[0:1], v9, v15 src0_sel:WORD_0 src1_sel:DWORD
	s_nop 1
	v_cndmask_b32_e64 v26, v6, v9, s[0:1]
; %bb.57:                               ;   in Loop: Header=BB119_41 Depth=1
	s_or_b64 exec, exec, s[2:3]
	s_waitcnt lgkmcnt(0)
	v_and_b32_e32 v6, 0x7f800000, v2
	v_cmp_ne_u32_e64 s[0:1], s24, v6
                                        ; implicit-def: $vgpr27
	s_and_saveexec_b64 s[2:3], s[0:1]
	s_xor_b64 s[0:1], exec, s[2:3]
; %bb.58:                               ;   in Loop: Header=BB119_41 Depth=1
	v_bfe_u32 v6, v2, 16, 1
	v_add3_u32 v27, v2, v6, s25
; %bb.59:                               ;   in Loop: Header=BB119_41 Depth=1
	s_andn2_saveexec_b64 s[2:3], s[0:1]
; %bb.60:                               ;   in Loop: Header=BB119_41 Depth=1
	v_or_b32_e32 v6, 0x10000, v2
	v_cmp_eq_u32_sdwa s[0:1], v2, v15 src0_sel:WORD_0 src1_sel:DWORD
	s_nop 1
	v_cndmask_b32_e64 v27, v6, v2, s[0:1]
; %bb.61:                               ;   in Loop: Header=BB119_41 Depth=1
	s_or_b64 exec, exec, s[2:3]
	v_and_b32_e32 v2, 0x7f800000, v3
	v_cmp_ne_u32_e64 s[0:1], s24, v2
                                        ; implicit-def: $vgpr19
	s_and_saveexec_b64 s[2:3], s[0:1]
	s_xor_b64 s[0:1], exec, s[2:3]
; %bb.62:                               ;   in Loop: Header=BB119_41 Depth=1
	v_bfe_u32 v2, v3, 16, 1
	v_add3_u32 v19, v3, v2, s25
; %bb.63:                               ;   in Loop: Header=BB119_41 Depth=1
	s_andn2_saveexec_b64 s[2:3], s[0:1]
; %bb.64:                               ;   in Loop: Header=BB119_41 Depth=1
	v_or_b32_e32 v2, 0x10000, v3
	v_cmp_eq_u32_sdwa s[0:1], v3, v15 src0_sel:WORD_0 src1_sel:DWORD
	s_nop 1
	v_cndmask_b32_e64 v19, v2, v3, s[0:1]
; %bb.65:                               ;   in Loop: Header=BB119_41 Depth=1
	s_or_b64 exec, exec, s[2:3]
	v_and_b32_e32 v2, 0x7f800000, v4
	v_cmp_ne_u32_e64 s[0:1], s24, v2
                                        ; implicit-def: $vgpr7
	s_and_saveexec_b64 s[2:3], s[0:1]
	s_xor_b64 s[0:1], exec, s[2:3]
; %bb.66:                               ;   in Loop: Header=BB119_41 Depth=1
	v_bfe_u32 v2, v4, 16, 1
	v_add3_u32 v7, v4, v2, s25
; %bb.67:                               ;   in Loop: Header=BB119_41 Depth=1
	s_andn2_saveexec_b64 s[2:3], s[0:1]
; %bb.68:                               ;   in Loop: Header=BB119_41 Depth=1
	v_or_b32_e32 v2, 0x10000, v4
	v_cmp_eq_u32_sdwa s[0:1], v4, v15 src0_sel:WORD_0 src1_sel:DWORD
	s_nop 1
	v_cndmask_b32_e64 v7, v2, v4, s[0:1]
; %bb.69:                               ;   in Loop: Header=BB119_41 Depth=1
	s_or_b64 exec, exec, s[2:3]
	v_and_b32_e32 v2, 0x7f800000, v5
	v_cmp_ne_u32_e64 s[0:1], s24, v2
                                        ; implicit-def: $vgpr6
	s_and_saveexec_b64 s[2:3], s[0:1]
	s_xor_b64 s[0:1], exec, s[2:3]
; %bb.70:                               ;   in Loop: Header=BB119_41 Depth=1
	v_bfe_u32 v2, v5, 16, 1
	v_add3_u32 v6, v5, v2, s25
                                        ; implicit-def: $vgpr2_vgpr3_vgpr4_vgpr5
; %bb.71:                               ;   in Loop: Header=BB119_41 Depth=1
	s_andn2_saveexec_b64 s[2:3], s[0:1]
; %bb.72:                               ;   in Loop: Header=BB119_41 Depth=1
	v_or_b32_e32 v2, 0x10000, v5
	v_cmp_eq_u32_sdwa s[0:1], v5, v15 src0_sel:WORD_0 src1_sel:DWORD
	s_nop 1
	v_cndmask_b32_e64 v6, v2, v5, s[0:1]
; %bb.73:                               ;   in Loop: Header=BB119_41 Depth=1
	s_or_b64 exec, exec, s[2:3]
	s_waitcnt vmcnt(0)
	v_mad_i64_i32 v[2:3], s[0:1], v22, s28, 0
	v_lshl_add_u64 v[8:9], v[2:3], 1, s[10:11]
	v_lshl_add_u64 v[2:3], v[8:9], 0, v[14:15]
	global_load_dwordx4 v[2:5], v[2:3], off
	v_add_u32_e32 v22, -7, v20
	v_cmp_eq_u32_e64 s[2:3], s26, v1
	s_waitcnt vmcnt(0)
	v_lshrrev_b32_e32 v30, 16, v2
	v_lshrrev_b32_e32 v28, 16, v3
	v_lshrrev_b32_e32 v29, 16, v4
	v_lshrrev_b32_e32 v31, 16, v5
	s_and_saveexec_b64 s[14:15], s[2:3]
	s_cbranch_execz .LBB119_75
; %bb.74:                               ;   in Loop: Header=BB119_41 Depth=1
	v_cmp_gt_i32_e64 s[0:1], s33, v22
	v_add_u32_e32 v32, -6, v20
	s_nop 0
	v_cndmask_b32_e64 v2, 0, v2, s[0:1]
	v_cmp_gt_i32_e64 s[0:1], s33, v32
	v_add_u32_e32 v32, -5, v20
	s_nop 0
	v_cndmask_b32_e64 v30, 0, v30, s[0:1]
	;; [unrolled: 4-line block ×6, first 2 shown]
	v_cmp_gt_i32_e64 s[0:1], s33, v32
	s_nop 1
	v_cndmask_b32_e64 v5, 0, v5, s[0:1]
	v_cmp_gt_i32_e64 s[0:1], s33, v20
	s_nop 1
	v_cndmask_b32_e64 v31, 0, v31, s[0:1]
.LBB119_75:                             ;   in Loop: Header=BB119_41 Depth=1
	s_or_b64 exec, exec, s[14:15]
	v_and_b32_e32 v23, 0xffff0000, v23
	v_lshlrev_b32_e32 v2, 16, v2
	v_mul_f32_e32 v32, v23, v2
	v_and_b32_e32 v2, 0x7f800000, v32
	v_cmp_ne_u32_e64 s[0:1], s24, v2
                                        ; implicit-def: $vgpr2
	s_and_saveexec_b64 s[14:15], s[0:1]
	s_xor_b64 s[0:1], exec, s[14:15]
; %bb.76:                               ;   in Loop: Header=BB119_41 Depth=1
	v_bfe_u32 v2, v32, 16, 1
	v_add3_u32 v2, v32, v2, s25
                                        ; implicit-def: $vgpr32
; %bb.77:                               ;   in Loop: Header=BB119_41 Depth=1
	s_andn2_saveexec_b64 s[14:15], s[0:1]
; %bb.78:                               ;   in Loop: Header=BB119_41 Depth=1
	v_or_b32_e32 v2, 0x10000, v32
	v_cmp_eq_u32_sdwa s[0:1], v32, v15 src0_sel:WORD_0 src1_sel:DWORD
	s_nop 1
	v_cndmask_b32_e64 v2, v2, v32, s[0:1]
; %bb.79:                               ;   in Loop: Header=BB119_41 Depth=1
	s_or_b64 exec, exec, s[14:15]
	v_and_b32_e32 v24, 0xffff0000, v24
	v_lshlrev_b32_e32 v30, 16, v30
	v_mul_f32_e32 v30, v24, v30
	v_and_b32_e32 v32, 0x7f800000, v30
	v_cmp_ne_u32_e64 s[0:1], s24, v32
                                        ; implicit-def: $vgpr32
	s_and_saveexec_b64 s[14:15], s[0:1]
	s_xor_b64 s[0:1], exec, s[14:15]
; %bb.80:                               ;   in Loop: Header=BB119_41 Depth=1
	v_bfe_u32 v32, v30, 16, 1
	v_add3_u32 v32, v30, v32, s25
                                        ; implicit-def: $vgpr30
; %bb.81:                               ;   in Loop: Header=BB119_41 Depth=1
	s_andn2_saveexec_b64 s[14:15], s[0:1]
; %bb.82:                               ;   in Loop: Header=BB119_41 Depth=1
	v_or_b32_e32 v32, 0x10000, v30
	v_cmp_eq_u32_sdwa s[0:1], v30, v15 src0_sel:WORD_0 src1_sel:DWORD
	s_nop 1
	v_cndmask_b32_e64 v32, v32, v30, s[0:1]
; %bb.83:                               ;   in Loop: Header=BB119_41 Depth=1
	s_or_b64 exec, exec, s[14:15]
	v_and_b32_e32 v25, 0xffff0000, v25
	v_lshlrev_b32_e32 v3, 16, v3
	v_mul_f32_e32 v30, v25, v3
	v_and_b32_e32 v3, 0x7f800000, v30
	v_cmp_ne_u32_e64 s[0:1], s24, v3
                                        ; implicit-def: $vgpr3
	s_and_saveexec_b64 s[14:15], s[0:1]
	s_xor_b64 s[0:1], exec, s[14:15]
; %bb.84:                               ;   in Loop: Header=BB119_41 Depth=1
	v_bfe_u32 v3, v30, 16, 1
	v_add3_u32 v3, v30, v3, s25
                                        ; implicit-def: $vgpr30
; %bb.85:                               ;   in Loop: Header=BB119_41 Depth=1
	s_andn2_saveexec_b64 s[14:15], s[0:1]
; %bb.86:                               ;   in Loop: Header=BB119_41 Depth=1
	v_or_b32_e32 v3, 0x10000, v30
	v_cmp_eq_u32_sdwa s[0:1], v30, v15 src0_sel:WORD_0 src1_sel:DWORD
	s_nop 1
	v_cndmask_b32_e64 v3, v3, v30, s[0:1]
; %bb.87:                               ;   in Loop: Header=BB119_41 Depth=1
	s_or_b64 exec, exec, s[14:15]
	v_and_b32_e32 v26, 0xffff0000, v26
	v_lshlrev_b32_e32 v28, 16, v28
	v_mul_f32_e32 v28, v26, v28
	v_and_b32_e32 v30, 0x7f800000, v28
	v_cmp_ne_u32_e64 s[0:1], s24, v30
                                        ; implicit-def: $vgpr33
	s_and_saveexec_b64 s[14:15], s[0:1]
	s_xor_b64 s[0:1], exec, s[14:15]
; %bb.88:                               ;   in Loop: Header=BB119_41 Depth=1
	v_bfe_u32 v30, v28, 16, 1
	v_add3_u32 v33, v28, v30, s25
                                        ; implicit-def: $vgpr28
; %bb.89:                               ;   in Loop: Header=BB119_41 Depth=1
	s_andn2_saveexec_b64 s[14:15], s[0:1]
; %bb.90:                               ;   in Loop: Header=BB119_41 Depth=1
	v_or_b32_e32 v30, 0x10000, v28
	v_cmp_eq_u32_sdwa s[0:1], v28, v15 src0_sel:WORD_0 src1_sel:DWORD
	s_nop 1
	v_cndmask_b32_e64 v33, v30, v28, s[0:1]
; %bb.91:                               ;   in Loop: Header=BB119_41 Depth=1
	s_or_b64 exec, exec, s[14:15]
	v_and_b32_e32 v27, 0xffff0000, v27
	v_lshlrev_b32_e32 v4, 16, v4
	v_mul_f32_e32 v28, v27, v4
	v_and_b32_e32 v4, 0x7f800000, v28
	v_cmp_ne_u32_e64 s[0:1], s24, v4
                                        ; implicit-def: $vgpr4
	s_and_saveexec_b64 s[14:15], s[0:1]
	s_xor_b64 s[0:1], exec, s[14:15]
; %bb.92:                               ;   in Loop: Header=BB119_41 Depth=1
	v_bfe_u32 v4, v28, 16, 1
	v_add3_u32 v4, v28, v4, s25
                                        ; implicit-def: $vgpr28
; %bb.93:                               ;   in Loop: Header=BB119_41 Depth=1
	s_andn2_saveexec_b64 s[14:15], s[0:1]
; %bb.94:                               ;   in Loop: Header=BB119_41 Depth=1
	v_or_b32_e32 v4, 0x10000, v28
	v_cmp_eq_u32_sdwa s[0:1], v28, v15 src0_sel:WORD_0 src1_sel:DWORD
	s_nop 1
	v_cndmask_b32_e64 v4, v4, v28, s[0:1]
; %bb.95:                               ;   in Loop: Header=BB119_41 Depth=1
	s_or_b64 exec, exec, s[14:15]
	v_and_b32_e32 v28, 0xffff0000, v19
	v_lshlrev_b32_e32 v19, 16, v29
	v_mul_f32_e32 v29, v28, v19
	v_and_b32_e32 v19, 0x7f800000, v29
	v_cmp_ne_u32_e64 s[0:1], s24, v19
                                        ; implicit-def: $vgpr19
	s_and_saveexec_b64 s[14:15], s[0:1]
	s_xor_b64 s[0:1], exec, s[14:15]
; %bb.96:                               ;   in Loop: Header=BB119_41 Depth=1
	v_bfe_u32 v19, v29, 16, 1
	v_add3_u32 v19, v29, v19, s25
                                        ; implicit-def: $vgpr29
; %bb.97:                               ;   in Loop: Header=BB119_41 Depth=1
	s_andn2_saveexec_b64 s[14:15], s[0:1]
; %bb.98:                               ;   in Loop: Header=BB119_41 Depth=1
	v_or_b32_e32 v19, 0x10000, v29
	v_cmp_eq_u32_sdwa s[0:1], v29, v15 src0_sel:WORD_0 src1_sel:DWORD
	s_nop 1
	v_cndmask_b32_e64 v19, v19, v29, s[0:1]
; %bb.99:                               ;   in Loop: Header=BB119_41 Depth=1
	s_or_b64 exec, exec, s[14:15]
	v_and_b32_e32 v29, 0xffff0000, v7
	v_lshlrev_b32_e32 v5, 16, v5
	v_mul_f32_e32 v7, v29, v5
	v_and_b32_e32 v5, 0x7f800000, v7
	v_cmp_ne_u32_e64 s[0:1], s24, v5
                                        ; implicit-def: $vgpr5
	s_and_saveexec_b64 s[14:15], s[0:1]
	s_xor_b64 s[0:1], exec, s[14:15]
; %bb.100:                              ;   in Loop: Header=BB119_41 Depth=1
	v_bfe_u32 v5, v7, 16, 1
	v_add3_u32 v5, v7, v5, s25
                                        ; implicit-def: $vgpr7
; %bb.101:                              ;   in Loop: Header=BB119_41 Depth=1
	s_andn2_saveexec_b64 s[14:15], s[0:1]
; %bb.102:                              ;   in Loop: Header=BB119_41 Depth=1
	v_or_b32_e32 v5, 0x10000, v7
	v_cmp_eq_u32_sdwa s[0:1], v7, v15 src0_sel:WORD_0 src1_sel:DWORD
	s_nop 1
	v_cndmask_b32_e64 v5, v5, v7, s[0:1]
; %bb.103:                              ;   in Loop: Header=BB119_41 Depth=1
	s_or_b64 exec, exec, s[14:15]
	v_and_b32_e32 v30, 0xffff0000, v6
	v_lshlrev_b32_e32 v6, 16, v31
	v_mul_f32_e32 v6, v30, v6
	v_and_b32_e32 v7, 0x7f800000, v6
	v_cmp_ne_u32_e64 s[0:1], s24, v7
                                        ; implicit-def: $vgpr7
	s_and_saveexec_b64 s[14:15], s[0:1]
	s_xor_b64 s[0:1], exec, s[14:15]
; %bb.104:                              ;   in Loop: Header=BB119_41 Depth=1
	v_bfe_u32 v7, v6, 16, 1
	v_add3_u32 v7, v6, v7, s25
                                        ; implicit-def: $vgpr6
; %bb.105:                              ;   in Loop: Header=BB119_41 Depth=1
	s_andn2_saveexec_b64 s[14:15], s[0:1]
; %bb.106:                              ;   in Loop: Header=BB119_41 Depth=1
	v_or_b32_e32 v7, 0x10000, v6
	v_cmp_eq_u32_sdwa s[0:1], v6, v15 src0_sel:WORD_0 src1_sel:DWORD
	s_nop 1
	v_cndmask_b32_e64 v7, v7, v6, s[0:1]
; %bb.107:                              ;   in Loop: Header=BB119_41 Depth=1
	s_or_b64 exec, exec, s[14:15]
	v_and_b32_e32 v33, 0xffff0000, v33
	v_and_b32_e32 v32, 0xffff0000, v32
	;; [unrolled: 1-line block ×4, first 2 shown]
	v_pk_add_f32 v[2:3], v[2:3], v[32:33]
	v_and_b32_e32 v7, 0xffff0000, v7
	v_and_b32_e32 v6, 0xffff0000, v19
	;; [unrolled: 1-line block ×4, first 2 shown]
	v_mov_b32_e32 v32, v3
	v_pk_add_f32 v[2:3], v[2:3], v[32:33]
	v_pk_add_f32 v[4:5], v[4:5], v[6:7]
	s_nop 0
	v_pk_add_f32 v[2:3], v[2:3], v[4:5]
	v_mov_b32_e32 v4, v5
	v_pk_add_f32 v[2:3], v[2:3], v[4:5]
	s_nop 0
	v_pk_add_f32 v[6:7], v[12:13], v[2:3]
	s_and_saveexec_b64 s[14:15], vcc
	s_cbranch_execz .LBB119_40
; %bb.108:                              ;   in Loop: Header=BB119_41 Depth=1
	v_mov_b32_e32 v19, v15
	v_lshl_add_u64 v[2:3], v[8:9], 0, v[18:19]
	global_load_dwordx4 v[2:5], v[2:3], off
	s_waitcnt vmcnt(0)
	v_lshrrev_b32_e32 v8, 16, v2
	v_lshrrev_b32_e32 v19, 16, v3
	;; [unrolled: 1-line block ×4, first 2 shown]
	s_and_saveexec_b64 s[22:23], s[2:3]
	s_cbranch_execz .LBB119_110
; %bb.109:                              ;   in Loop: Header=BB119_41 Depth=1
	v_cmp_gt_i32_e64 s[0:1], s33, v22
	v_add_u32_e32 v22, -6, v20
	s_nop 0
	v_cndmask_b32_e64 v2, 0, v2, s[0:1]
	v_cmp_gt_i32_e64 s[0:1], s33, v22
	v_add_u32_e32 v22, -5, v20
	s_nop 0
	v_cndmask_b32_e64 v8, 0, v8, s[0:1]
	;; [unrolled: 4-line block ×6, first 2 shown]
	v_cmp_gt_i32_e64 s[0:1], s33, v22
	s_nop 1
	v_cndmask_b32_e64 v5, 0, v5, s[0:1]
	v_cmp_gt_i32_e64 s[0:1], s33, v20
	s_nop 1
	v_cndmask_b32_e64 v7, 0, v7, s[0:1]
.LBB119_110:                            ;   in Loop: Header=BB119_41 Depth=1
	s_or_b64 exec, exec, s[22:23]
	v_lshlrev_b32_e32 v2, 16, v2
	v_mul_f32_e32 v22, v23, v2
	v_and_b32_e32 v2, 0x7f800000, v22
	v_cmp_ne_u32_e64 s[0:1], s24, v2
                                        ; implicit-def: $vgpr2
	s_and_saveexec_b64 s[2:3], s[0:1]
	s_xor_b64 s[0:1], exec, s[2:3]
; %bb.111:                              ;   in Loop: Header=BB119_41 Depth=1
	v_bfe_u32 v2, v22, 16, 1
	v_add3_u32 v2, v22, v2, s25
                                        ; implicit-def: $vgpr22
; %bb.112:                              ;   in Loop: Header=BB119_41 Depth=1
	s_andn2_saveexec_b64 s[2:3], s[0:1]
; %bb.113:                              ;   in Loop: Header=BB119_41 Depth=1
	v_or_b32_e32 v2, 0x10000, v22
	v_cmp_eq_u32_sdwa s[0:1], v22, v15 src0_sel:WORD_0 src1_sel:DWORD
	s_nop 1
	v_cndmask_b32_e64 v2, v2, v22, s[0:1]
; %bb.114:                              ;   in Loop: Header=BB119_41 Depth=1
	s_or_b64 exec, exec, s[2:3]
	v_lshlrev_b32_e32 v8, 16, v8
	v_mul_f32_e32 v22, v24, v8
	v_and_b32_e32 v8, 0x7f800000, v22
	v_cmp_ne_u32_e64 s[0:1], s24, v8
                                        ; implicit-def: $vgpr8
	s_and_saveexec_b64 s[2:3], s[0:1]
	s_xor_b64 s[0:1], exec, s[2:3]
; %bb.115:                              ;   in Loop: Header=BB119_41 Depth=1
	v_bfe_u32 v8, v22, 16, 1
	v_add3_u32 v8, v22, v8, s25
                                        ; implicit-def: $vgpr22
; %bb.116:                              ;   in Loop: Header=BB119_41 Depth=1
	s_andn2_saveexec_b64 s[2:3], s[0:1]
; %bb.117:                              ;   in Loop: Header=BB119_41 Depth=1
	v_or_b32_e32 v8, 0x10000, v22
	v_cmp_eq_u32_sdwa s[0:1], v22, v15 src0_sel:WORD_0 src1_sel:DWORD
	s_nop 1
	v_cndmask_b32_e64 v8, v8, v22, s[0:1]
; %bb.118:                              ;   in Loop: Header=BB119_41 Depth=1
	s_or_b64 exec, exec, s[2:3]
	v_lshlrev_b32_e32 v3, 16, v3
	v_mul_f32_e32 v22, v25, v3
	v_and_b32_e32 v3, 0x7f800000, v22
	v_cmp_ne_u32_e64 s[0:1], s24, v3
                                        ; implicit-def: $vgpr3
	s_and_saveexec_b64 s[2:3], s[0:1]
	s_xor_b64 s[0:1], exec, s[2:3]
; %bb.119:                              ;   in Loop: Header=BB119_41 Depth=1
	v_bfe_u32 v3, v22, 16, 1
	v_add3_u32 v3, v22, v3, s25
                                        ; implicit-def: $vgpr22
; %bb.120:                              ;   in Loop: Header=BB119_41 Depth=1
	s_andn2_saveexec_b64 s[2:3], s[0:1]
; %bb.121:                              ;   in Loop: Header=BB119_41 Depth=1
	v_or_b32_e32 v3, 0x10000, v22
	v_cmp_eq_u32_sdwa s[0:1], v22, v15 src0_sel:WORD_0 src1_sel:DWORD
	s_nop 1
	v_cndmask_b32_e64 v3, v3, v22, s[0:1]
; %bb.122:                              ;   in Loop: Header=BB119_41 Depth=1
	s_or_b64 exec, exec, s[2:3]
	v_lshlrev_b32_e32 v19, 16, v19
	v_mul_f32_e32 v22, v26, v19
	v_and_b32_e32 v19, 0x7f800000, v22
	v_cmp_ne_u32_e64 s[0:1], s24, v19
                                        ; implicit-def: $vgpr19
	s_and_saveexec_b64 s[2:3], s[0:1]
	s_xor_b64 s[0:1], exec, s[2:3]
; %bb.123:                              ;   in Loop: Header=BB119_41 Depth=1
	v_bfe_u32 v19, v22, 16, 1
	v_add3_u32 v19, v22, v19, s25
                                        ; implicit-def: $vgpr22
; %bb.124:                              ;   in Loop: Header=BB119_41 Depth=1
	s_andn2_saveexec_b64 s[2:3], s[0:1]
; %bb.125:                              ;   in Loop: Header=BB119_41 Depth=1
	v_or_b32_e32 v19, 0x10000, v22
	v_cmp_eq_u32_sdwa s[0:1], v22, v15 src0_sel:WORD_0 src1_sel:DWORD
	s_nop 1
	v_cndmask_b32_e64 v19, v19, v22, s[0:1]
; %bb.126:                              ;   in Loop: Header=BB119_41 Depth=1
	s_or_b64 exec, exec, s[2:3]
	v_lshlrev_b32_e32 v4, 16, v4
	v_mul_f32_e32 v22, v27, v4
	v_and_b32_e32 v4, 0x7f800000, v22
	v_cmp_ne_u32_e64 s[0:1], s24, v4
                                        ; implicit-def: $vgpr4
	s_and_saveexec_b64 s[2:3], s[0:1]
	s_xor_b64 s[0:1], exec, s[2:3]
; %bb.127:                              ;   in Loop: Header=BB119_41 Depth=1
	v_bfe_u32 v4, v22, 16, 1
	v_add3_u32 v4, v22, v4, s25
                                        ; implicit-def: $vgpr22
; %bb.128:                              ;   in Loop: Header=BB119_41 Depth=1
	s_andn2_saveexec_b64 s[2:3], s[0:1]
; %bb.129:                              ;   in Loop: Header=BB119_41 Depth=1
	v_or_b32_e32 v4, 0x10000, v22
	v_cmp_eq_u32_sdwa s[0:1], v22, v15 src0_sel:WORD_0 src1_sel:DWORD
	s_nop 1
	v_cndmask_b32_e64 v4, v4, v22, s[0:1]
; %bb.130:                              ;   in Loop: Header=BB119_41 Depth=1
	s_or_b64 exec, exec, s[2:3]
	v_lshlrev_b32_e32 v9, 16, v9
	v_mul_f32_e32 v22, v28, v9
	v_and_b32_e32 v9, 0x7f800000, v22
	v_cmp_ne_u32_e64 s[0:1], s24, v9
                                        ; implicit-def: $vgpr9
	s_and_saveexec_b64 s[2:3], s[0:1]
	s_xor_b64 s[0:1], exec, s[2:3]
; %bb.131:                              ;   in Loop: Header=BB119_41 Depth=1
	v_bfe_u32 v9, v22, 16, 1
	v_add3_u32 v9, v22, v9, s25
                                        ; implicit-def: $vgpr22
; %bb.132:                              ;   in Loop: Header=BB119_41 Depth=1
	s_andn2_saveexec_b64 s[2:3], s[0:1]
; %bb.133:                              ;   in Loop: Header=BB119_41 Depth=1
	v_or_b32_e32 v9, 0x10000, v22
	v_cmp_eq_u32_sdwa s[0:1], v22, v15 src0_sel:WORD_0 src1_sel:DWORD
	s_nop 1
	v_cndmask_b32_e64 v9, v9, v22, s[0:1]
; %bb.134:                              ;   in Loop: Header=BB119_41 Depth=1
	s_or_b64 exec, exec, s[2:3]
	v_lshlrev_b32_e32 v5, 16, v5
	v_mul_f32_e32 v22, v29, v5
	v_and_b32_e32 v5, 0x7f800000, v22
	v_cmp_ne_u32_e64 s[0:1], s24, v5
                                        ; implicit-def: $vgpr5
	s_and_saveexec_b64 s[2:3], s[0:1]
	s_xor_b64 s[0:1], exec, s[2:3]
; %bb.135:                              ;   in Loop: Header=BB119_41 Depth=1
	v_bfe_u32 v5, v22, 16, 1
	v_add3_u32 v5, v22, v5, s25
                                        ; implicit-def: $vgpr22
; %bb.136:                              ;   in Loop: Header=BB119_41 Depth=1
	s_andn2_saveexec_b64 s[2:3], s[0:1]
; %bb.137:                              ;   in Loop: Header=BB119_41 Depth=1
	v_or_b32_e32 v5, 0x10000, v22
	v_cmp_eq_u32_sdwa s[0:1], v22, v15 src0_sel:WORD_0 src1_sel:DWORD
	s_nop 1
	v_cndmask_b32_e64 v5, v5, v22, s[0:1]
; %bb.138:                              ;   in Loop: Header=BB119_41 Depth=1
	s_or_b64 exec, exec, s[2:3]
	v_lshlrev_b32_e32 v7, 16, v7
	v_mul_f32_e32 v7, v30, v7
	v_and_b32_e32 v22, 0x7f800000, v7
	v_cmp_ne_u32_e64 s[0:1], s24, v22
                                        ; implicit-def: $vgpr22
	s_and_saveexec_b64 s[2:3], s[0:1]
	s_xor_b64 s[0:1], exec, s[2:3]
; %bb.139:                              ;   in Loop: Header=BB119_41 Depth=1
	v_bfe_u32 v22, v7, 16, 1
	v_add3_u32 v22, v7, v22, s25
                                        ; implicit-def: $vgpr7
; %bb.140:                              ;   in Loop: Header=BB119_41 Depth=1
	s_andn2_saveexec_b64 s[2:3], s[0:1]
	s_cbranch_execz .LBB119_39
; %bb.141:                              ;   in Loop: Header=BB119_41 Depth=1
	v_or_b32_e32 v22, 0x10000, v7
	v_cmp_eq_u32_sdwa s[0:1], v7, v15 src0_sel:WORD_0 src1_sel:DWORD
	s_nop 1
	v_cndmask_b32_e64 v22, v22, v7, s[0:1]
	s_branch .LBB119_39
.LBB119_142:
	s_or_b64 exec, exec, s[12:13]
.LBB119_143:
	s_or_b64 exec, exec, s[6:7]
	v_and_b32_e32 v1, 0x3c0, v0
	v_cmp_eq_u32_e32 vcc, 64, v1
	s_barrier
	s_and_saveexec_b64 s[0:1], vcc
	s_cbranch_execz .LBB119_146
; %bb.144:
	v_mov_b32_e32 v1, 0xb0
	v_lshl_add_u32 v2, v11, 2, v1
	ds_write_b32 v2, v6
	s_and_b64 exec, exec, s[8:9]
	s_cbranch_execz .LBB119_146
; %bb.145:
	v_lshl_add_u32 v1, v0, 2, v1
	ds_write_b32 v1, v13
.LBB119_146:
	s_or_b64 exec, exec, s[0:1]
	v_cmp_gt_u32_e32 vcc, 64, v0
	v_or_b32_e32 v1, 64, v0
	s_waitcnt lgkmcnt(0)
	s_barrier
	s_and_saveexec_b64 s[2:3], vcc
	s_cbranch_execz .LBB119_150
; %bb.147:
	v_mov_b32_e32 v2, 0xb0
	v_lshl_add_u32 v2, v0, 2, v2
	ds_read_b32 v0, v2
	s_movk_i32 s0, 0x50
	v_cmp_gt_u32_e64 s[0:1], s0, v1
	s_and_saveexec_b64 s[6:7], s[0:1]
	s_cbranch_execz .LBB119_149
; %bb.148:
	ds_read_b32 v2, v2 offset:256
	s_waitcnt lgkmcnt(0)
	v_add_f32_e32 v13, v13, v2
.LBB119_149:
	s_or_b64 exec, exec, s[6:7]
	s_waitcnt lgkmcnt(0)
	v_add_f32_e32 v6, v6, v0
.LBB119_150:
	s_or_b64 exec, exec, s[2:3]
	s_barrier
	s_and_saveexec_b64 s[0:1], vcc
	s_cbranch_execz .LBB119_161
; %bb.151:
	s_mov_b32 s0, 0x7f800000
	v_and_b32_e32 v0, 0x7f800000, v6
	v_cmp_ne_u32_e32 vcc, s0, v0
                                        ; implicit-def: $vgpr0
	s_and_saveexec_b64 s[0:1], vcc
	s_xor_b64 s[0:1], exec, s[0:1]
; %bb.152:
	v_bfe_u32 v0, v6, 16, 1
	s_movk_i32 s2, 0x7fff
	v_add3_u32 v0, v6, v0, s2
                                        ; implicit-def: $vgpr6
; %bb.153:
	s_andn2_saveexec_b64 s[0:1], s[0:1]
; %bb.154:
	v_mov_b32_e32 v0, 0
	v_or_b32_e32 v2, 0x10000, v6
	v_cmp_eq_u32_sdwa vcc, v6, v0 src0_sel:WORD_0 src1_sel:DWORD
	s_nop 1
	v_cndmask_b32_e32 v0, v2, v6, vcc
; %bb.155:
	s_or_b64 exec, exec, s[0:1]
	s_mul_i32 s0, s16, s17
	s_mul_i32 s0, s0, s5
	s_mulk_i32 s0, 0x50
	s_ashr_i32 s1, s0, 31
	s_lshl_b64 s[0:1], s[0:1], 1
	s_add_u32 s3, s20, s0
	s_mul_i32 s0, s17, s18
	s_addc_u32 s5, s21, s1
	s_ashr_i32 s1, s0, 31
	s_lshl_b64 s[0:1], s[0:1], 1
	s_add_u32 s3, s3, s0
	s_mul_i32 s0, s4, 0x50
	s_addc_u32 s5, s5, s1
	s_ashr_i32 s1, s0, 31
	s_lshl_b64 s[0:1], s[0:1], 1
	s_movk_i32 s2, 0x50
	s_add_u32 s0, s3, s0
	s_addc_u32 s1, s5, s1
	v_cmp_gt_u32_e32 vcc, s2, v1
	global_store_short_d16_hi v10, v0, s[0:1]
	s_and_b64 exec, exec, vcc
	s_cbranch_execz .LBB119_161
; %bb.156:
	s_mov_b32 s2, 0x7f800000
	v_and_b32_e32 v0, 0x7f800000, v13
	v_mov_b32_e32 v11, 0
	v_cmp_ne_u32_e32 vcc, s2, v0
                                        ; implicit-def: $vgpr2
	s_and_saveexec_b64 s[2:3], vcc
	s_xor_b64 s[2:3], exec, s[2:3]
; %bb.157:
	v_bfe_u32 v0, v13, 16, 1
	s_movk_i32 s4, 0x7fff
	v_add3_u32 v2, v13, v0, s4
                                        ; implicit-def: $vgpr13
; %bb.158:
	s_or_saveexec_b64 s[2:3], s[2:3]
	v_lshl_add_u64 v[0:1], s[0:1], 0, v[10:11]
	s_xor_b64 exec, exec, s[2:3]
; %bb.159:
	v_mov_b32_e32 v2, 0
	v_or_b32_e32 v3, 0x10000, v13
	v_cmp_eq_u32_sdwa vcc, v13, v2 src0_sel:WORD_0 src1_sel:DWORD
	s_nop 1
	v_cndmask_b32_e32 v2, v3, v13, vcc
; %bb.160:
	s_or_b64 exec, exec, s[2:3]
	global_store_short_d16_hi v[0:1], v2, off offset:128
.LBB119_161:
	s_endpgm
	.section	.rodata,"a",@progbits
	.p2align	6, 0x0
	.amdhsa_kernel _ZN4vllm25paged_attention_v1_kernelI14__hip_bfloat16S1_Li80ELi8ELi128ELNS_18Fp8KVCacheDataTypeE0ELb0EEEvPT_PKS3_PKT0_S9_ifPKiSB_iPKfiiiSD_SD_iiiii
		.amdhsa_group_segment_fixed_size 176
		.amdhsa_private_segment_fixed_size 0
		.amdhsa_kernarg_size 384
		.amdhsa_user_sgpr_count 2
		.amdhsa_user_sgpr_dispatch_ptr 0
		.amdhsa_user_sgpr_queue_ptr 0
		.amdhsa_user_sgpr_kernarg_segment_ptr 1
		.amdhsa_user_sgpr_dispatch_id 0
		.amdhsa_user_sgpr_kernarg_preload_length 0
		.amdhsa_user_sgpr_kernarg_preload_offset 0
		.amdhsa_user_sgpr_private_segment_size 0
		.amdhsa_uses_dynamic_stack 0
		.amdhsa_enable_private_segment 0
		.amdhsa_system_sgpr_workgroup_id_x 1
		.amdhsa_system_sgpr_workgroup_id_y 1
		.amdhsa_system_sgpr_workgroup_id_z 1
		.amdhsa_system_sgpr_workgroup_info 0
		.amdhsa_system_vgpr_workitem_id 0
		.amdhsa_next_free_vgpr 39
		.amdhsa_next_free_sgpr 36
		.amdhsa_accum_offset 40
		.amdhsa_reserve_vcc 1
		.amdhsa_float_round_mode_32 0
		.amdhsa_float_round_mode_16_64 0
		.amdhsa_float_denorm_mode_32 3
		.amdhsa_float_denorm_mode_16_64 3
		.amdhsa_dx10_clamp 1
		.amdhsa_ieee_mode 1
		.amdhsa_fp16_overflow 0
		.amdhsa_tg_split 0
		.amdhsa_exception_fp_ieee_invalid_op 0
		.amdhsa_exception_fp_denorm_src 0
		.amdhsa_exception_fp_ieee_div_zero 0
		.amdhsa_exception_fp_ieee_overflow 0
		.amdhsa_exception_fp_ieee_underflow 0
		.amdhsa_exception_fp_ieee_inexact 0
		.amdhsa_exception_int_div_zero 0
	.end_amdhsa_kernel
	.section	.text._ZN4vllm25paged_attention_v1_kernelI14__hip_bfloat16S1_Li80ELi8ELi128ELNS_18Fp8KVCacheDataTypeE0ELb0EEEvPT_PKS3_PKT0_S9_ifPKiSB_iPKfiiiSD_SD_iiiii,"axG",@progbits,_ZN4vllm25paged_attention_v1_kernelI14__hip_bfloat16S1_Li80ELi8ELi128ELNS_18Fp8KVCacheDataTypeE0ELb0EEEvPT_PKS3_PKT0_S9_ifPKiSB_iPKfiiiSD_SD_iiiii,comdat
.Lfunc_end119:
	.size	_ZN4vllm25paged_attention_v1_kernelI14__hip_bfloat16S1_Li80ELi8ELi128ELNS_18Fp8KVCacheDataTypeE0ELb0EEEvPT_PKS3_PKT0_S9_ifPKiSB_iPKfiiiSD_SD_iiiii, .Lfunc_end119-_ZN4vllm25paged_attention_v1_kernelI14__hip_bfloat16S1_Li80ELi8ELi128ELNS_18Fp8KVCacheDataTypeE0ELb0EEEvPT_PKS3_PKT0_S9_ifPKiSB_iPKfiiiSD_SD_iiiii
                                        ; -- End function
	.section	.AMDGPU.csdata,"",@progbits
; Kernel info:
; codeLenInByte = 6168
; NumSgprs: 42
; NumVgprs: 39
; NumAgprs: 0
; TotalNumVgprs: 39
; ScratchSize: 0
; MemoryBound: 0
; FloatMode: 240
; IeeeMode: 1
; LDSByteSize: 176 bytes/workgroup (compile time only)
; SGPRBlocks: 5
; VGPRBlocks: 4
; NumSGPRsForWavesPerEU: 42
; NumVGPRsForWavesPerEU: 39
; AccumOffset: 40
; Occupancy: 8
; WaveLimiterHint : 1
; COMPUTE_PGM_RSRC2:SCRATCH_EN: 0
; COMPUTE_PGM_RSRC2:USER_SGPR: 2
; COMPUTE_PGM_RSRC2:TRAP_HANDLER: 0
; COMPUTE_PGM_RSRC2:TGID_X_EN: 1
; COMPUTE_PGM_RSRC2:TGID_Y_EN: 1
; COMPUTE_PGM_RSRC2:TGID_Z_EN: 1
; COMPUTE_PGM_RSRC2:TIDIG_COMP_CNT: 0
; COMPUTE_PGM_RSRC3_GFX90A:ACCUM_OFFSET: 9
; COMPUTE_PGM_RSRC3_GFX90A:TG_SPLIT: 0
	.section	.text._ZN4vllm25paged_attention_v1_kernelI14__hip_bfloat16S1_Li96ELi8ELi128ELNS_18Fp8KVCacheDataTypeE0ELb0EEEvPT_PKS3_PKT0_S9_ifPKiSB_iPKfiiiSD_SD_iiiii,"axG",@progbits,_ZN4vllm25paged_attention_v1_kernelI14__hip_bfloat16S1_Li96ELi8ELi128ELNS_18Fp8KVCacheDataTypeE0ELb0EEEvPT_PKS3_PKT0_S9_ifPKiSB_iPKfiiiSD_SD_iiiii,comdat
	.protected	_ZN4vllm25paged_attention_v1_kernelI14__hip_bfloat16S1_Li96ELi8ELi128ELNS_18Fp8KVCacheDataTypeE0ELb0EEEvPT_PKS3_PKT0_S9_ifPKiSB_iPKfiiiSD_SD_iiiii ; -- Begin function _ZN4vllm25paged_attention_v1_kernelI14__hip_bfloat16S1_Li96ELi8ELi128ELNS_18Fp8KVCacheDataTypeE0ELb0EEEvPT_PKS3_PKT0_S9_ifPKiSB_iPKfiiiSD_SD_iiiii
	.globl	_ZN4vllm25paged_attention_v1_kernelI14__hip_bfloat16S1_Li96ELi8ELi128ELNS_18Fp8KVCacheDataTypeE0ELb0EEEvPT_PKS3_PKT0_S9_ifPKiSB_iPKfiiiSD_SD_iiiii
	.p2align	8
	.type	_ZN4vllm25paged_attention_v1_kernelI14__hip_bfloat16S1_Li96ELi8ELi128ELNS_18Fp8KVCacheDataTypeE0ELb0EEEvPT_PKS3_PKT0_S9_ifPKiSB_iPKfiiiSD_SD_iiiii,@function
_ZN4vllm25paged_attention_v1_kernelI14__hip_bfloat16S1_Li96ELi8ELi128ELNS_18Fp8KVCacheDataTypeE0ELb0EEEvPT_PKS3_PKT0_S9_ifPKiSB_iPKfiiiSD_SD_iiiii: ; @_ZN4vllm25paged_attention_v1_kernelI14__hip_bfloat16S1_Li96ELi8ELi128ELNS_18Fp8KVCacheDataTypeE0ELb0EEEvPT_PKS3_PKT0_S9_ifPKiSB_iPKfiiiSD_SD_iiiii
; %bb.0:
	s_load_dword s5, s[0:1], 0x80
	s_load_dwordx2 s[6:7], s[0:1], 0x30
	s_load_dwordx2 s[10:11], s[0:1], 0x20
	s_mov_b32 s16, s3
	s_ashr_i32 s17, s3, 31
	s_lshl_b64 s[8:9], s[16:17], 2
	s_waitcnt lgkmcnt(0)
	s_add_u32 s6, s6, s8
	s_addc_u32 s7, s7, s9
	s_abs_i32 s3, s10
	v_cvt_f32_u32_e32 v1, s3
	s_xor_b32 s8, s5, s10
	s_sub_i32 s10, 0, s3
	s_abs_i32 s9, s5
	v_rcp_iflag_f32_e32 v1, v1
	s_ashr_i32 s8, s8, 31
	v_mul_f32_e32 v1, 0x4f7ffffe, v1
	v_cvt_u32_f32_e32 v1, v1
	s_nop 0
	v_readfirstlane_b32 s12, v1
	s_mul_i32 s10, s10, s12
	s_mul_hi_u32 s10, s12, s10
	s_add_i32 s12, s12, s10
	s_mul_hi_u32 s10, s9, s12
	s_mul_i32 s12, s10, s3
	s_sub_i32 s9, s9, s12
	s_add_i32 s12, s10, 1
	s_sub_i32 s13, s9, s3
	s_cmp_ge_u32 s9, s3
	s_cselect_b32 s10, s12, s10
	s_cselect_b32 s9, s13, s9
	s_add_i32 s12, s10, 1
	s_cmp_ge_u32 s9, s3
	s_cselect_b32 s3, s12, s10
	s_xor_b32 s3, s3, s8
	s_sub_i32 s12, s3, s8
	s_abs_i32 s17, s12
	v_cvt_f32_u32_e32 v1, s17
	s_load_dwordx2 s[8:9], s[0:1], 0x40
	s_sub_i32 s3, 0, s17
	s_abs_i32 s20, s2
	v_rcp_iflag_f32_e32 v1, v1
	s_mov_b32 s10, 0
	v_mul_f32_e32 v1, 0x4f7ffffe, v1
	v_cvt_u32_f32_e32 v1, v1
	s_nop 0
	v_readfirstlane_b32 s13, v1
	s_mul_i32 s3, s3, s13
	s_mul_hi_u32 s3, s13, s3
	s_add_i32 s13, s13, s3
	s_waitcnt lgkmcnt(0)
	s_cmp_eq_u64 s[8:9], 0
	s_mul_hi_u32 s21, s20, s13
	s_cbranch_scc1 .LBB120_2
; %bb.1:
	s_ashr_i32 s3, s2, 31
	s_lshl_b64 s[14:15], s[2:3], 2
	s_add_u32 s8, s8, s14
	s_addc_u32 s9, s9, s15
	s_load_dword s10, s[8:9], 0x0
.LBB120_2:
	s_load_dword s33, s[6:7], 0x0
	s_ashr_i32 s7, s12, 31
	s_load_dwordx4 s[12:15], s[0:1], 0x48
	s_movk_i32 s3, 0x60
	s_ashr_i32 s6, s2, 31
	v_and_b32_e32 v4, 7, v0
	s_mul_i32 s18, s2, 0x60
	v_cmp_gt_u32_e64 s[8:9], s3, v0
	v_lshlrev_b32_e32 v10, 1, v0
	s_and_saveexec_b64 s[2:3], s[8:9]
	s_cbranch_execz .LBB120_4
; %bb.3:
	s_load_dwordx2 s[22:23], s[0:1], 0x8
	s_waitcnt lgkmcnt(0)
	s_mul_i32 s24, s16, s12
	s_ashr_i32 s25, s24, 31
	s_lshl_b64 s[24:25], s[24:25], 1
	v_lshrrev_b32_e32 v2, 2, v0
	s_add_u32 s12, s22, s24
	s_addc_u32 s15, s23, s25
	s_ashr_i32 s19, s18, 31
	s_lshl_b64 s[22:23], s[18:19], 1
	s_add_u32 s22, s12, s22
	s_addc_u32 s23, s15, s23
	global_load_ushort v1, v10, s[22:23]
	v_and_b32_e32 v2, 0xfe, v2
	v_mad_u32_u24 v2, v4, 24, v2
	s_waitcnt vmcnt(0)
	ds_write_b16 v2, v1
.LBB120_4:
	s_or_b64 exec, exec, s[2:3]
	s_waitcnt lgkmcnt(0)
	s_add_i32 s3, s33, 7
	s_ashr_i32 s12, s3, 31
	s_lshr_b32 s12, s12, 29
	s_add_i32 s3, s3, s12
	s_ashr_i32 s19, s3, 3
	s_xor_b32 s3, s6, s7
	s_mul_i32 s6, s21, s17
	s_sub_i32 s6, s20, s6
	s_add_i32 s7, s21, 1
	s_sub_i32 s12, s6, s17
	s_load_dwordx2 s[22:23], s[0:1], 0x28
	s_load_dword s2, s[0:1], 0x38
	s_cmp_ge_u32 s6, s17
	s_cselect_b32 s7, s7, s21
	s_cselect_b32 s6, s12, s6
	s_add_i32 s12, s7, 1
	s_cmp_ge_u32 s6, s17
	s_cselect_b32 s6, s12, s7
	v_lshrrev_b32_e32 v1, 6, v0
	s_xor_b32 s6, s6, s3
	s_waitcnt lgkmcnt(0)
	s_mul_i32 s24, s16, s2
	s_sub_i32 s12, s6, s3
	s_ashr_i32 s25, s24, 31
	v_cmp_gt_i32_e64 s[2:3], s19, v1
	v_cmp_le_i32_e32 vcc, s19, v1
	v_mbcnt_lo_u32_b32 v5, -1, 0
	s_barrier
	s_waitcnt lgkmcnt(0)
                                        ; implicit-def: $sgpr15
                                        ; implicit-def: $vgpr6
                                        ; implicit-def: $vgpr8
	s_and_saveexec_b64 s[6:7], vcc
	s_xor_b64 s[6:7], exec, s[6:7]
; %bb.5:
	v_mbcnt_hi_u32_b32 v6, -1, v5
	v_and_b32_e32 v2, 64, v6
	v_add_u32_e32 v8, 64, v2
	s_mov_b32 s15, 0xff7fffff
                                        ; implicit-def: $vgpr4
                                        ; implicit-def: $vgpr5
; %bb.6:
	s_or_saveexec_b64 s[28:29], s[6:7]
	s_load_dwordx2 s[20:21], s[0:1], 0x0
	s_load_dwordx2 s[26:27], s[0:1], 0x18
	s_load_dword s17, s[0:1], 0x88
	v_mov_b32_e32 v22, s15
	s_mul_i32 s14, s12, s14
	v_lshrrev_b32_e32 v7, 4, v0
	s_xor_b64 exec, exec, s[28:29]
	s_cbranch_execz .LBB120_12
; %bb.7:
	v_mul_u32_u24_e32 v6, 24, v4
	ds_read2_b64 v[14:17], v6 offset1:1
	ds_read_b64 v[20:21], v6 offset:16
	v_mbcnt_hi_u32_b32 v6, -1, v5
	v_and_b32_e32 v5, 64, v6
	v_add_u32_e32 v8, 64, v5
	v_xor_b32_e32 v5, 4, v6
	s_load_dwordx2 s[0:1], s[0:1], 0x10
	v_cmp_lt_i32_e32 vcc, v5, v8
	s_ashr_i32 s15, s14, 31
	s_lshl_b64 s[6:7], s[14:15], 1
	v_cndmask_b32_e32 v5, v6, v5, vcc
	v_lshlrev_b32_e32 v23, 2, v5
	v_xor_b32_e32 v5, 2, v6
	v_cmp_lt_i32_e32 vcc, v5, v8
	v_bfe_u32 v22, v0, 3, 3
	s_waitcnt lgkmcnt(0)
	s_add_u32 s0, s0, s6
	v_cndmask_b32_e32 v5, v6, v5, vcc
	v_lshlrev_b32_e32 v24, 2, v5
	v_xor_b32_e32 v5, 1, v6
	s_addc_u32 s1, s1, s7
	v_lshlrev_b32_e32 v28, 4, v22
	v_mov_b32_e32 v29, 0
	v_cmp_lt_i32_e32 vcc, v5, v8
	s_sub_i32 s15, 1, s33
	s_lshl_b64 s[6:7], s[24:25], 2
	v_lshl_add_u64 v[2:3], s[0:1], 0, v[28:29]
	v_lshlrev_b32_e32 v28, 1, v4
	v_cndmask_b32_e32 v5, v6, v5, vcc
	v_cmp_eq_u32_e32 vcc, 0, v4
	v_lshlrev_b32_e32 v4, 2, v22
	s_add_u32 s6, s22, s6
	v_lshl_add_u64 v[2:3], v[2:3], 0, v[28:29]
	v_lshl_or_b32 v4, v1, 5, v4
	v_and_b32_e32 v28, 60, v7
	s_addc_u32 s7, s23, s7
	s_mov_b32 s12, s13
	v_lshlrev_b32_e32 v9, 16, v14
	v_and_b32_e32 v11, 0xffff0000, v14
	v_lshlrev_b32_e32 v12, 16, v15
	v_and_b32_e32 v13, 0xffff0000, v15
	;; [unrolled: 2-line block ×6, first 2 shown]
	v_lshlrev_b32_e32 v25, 2, v5
	v_cmp_neq_f32_e64 s[0:1], s10, 0
	v_lshl_or_b32 v26, v1, 3, v22
	v_add_u32_e32 v27, 0xd0, v4
	v_lshl_add_u64 v[4:5], s[6:7], 0, v[28:29]
	s_mov_b64 s[30:31], 0
	v_mov_b32_e32 v22, 0xff7fffff
	v_mov_b32_e32 v28, v1
	s_branch .LBB120_9
.LBB120_8:                              ;   in Loop: Header=BB120_9 Depth=1
	s_or_b64 exec, exec, s[34:35]
	v_add_u32_e32 v28, 2, v28
	v_cmp_le_i32_e64 s[6:7], s19, v28
	v_add_u32_e32 v26, 16, v26
	v_add_u32_e32 v27, 64, v27
	s_or_b64 s[30:31], s[6:7], s[30:31]
	v_lshl_add_u64 v[4:5], v[4:5], 0, 8
	s_andn2_b64 exec, exec, s[30:31]
	s_cbranch_execz .LBB120_11
.LBB120_9:                              ; =>This Inner Loop Header: Depth=1
	global_load_dword v29, v[4:5], off
	s_waitcnt vmcnt(0) lgkmcnt(0)
	v_mad_i64_i32 v[30:31], s[6:7], v29, s12, 0
	v_lshl_add_u64 v[30:31], v[30:31], 1, v[2:3]
	global_load_ushort v29, v[30:31], off
	global_load_ushort v32, v[30:31], off offset:128
	global_load_ushort v33, v[30:31], off offset:256
	global_load_ushort v34, v[30:31], off offset:384
	global_load_ushort v35, v[30:31], off offset:512
	global_load_ushort v36, v[30:31], off offset:640
	global_load_ushort v37, v[30:31], off offset:768
	global_load_ushort v38, v[30:31], off offset:896
	global_load_ushort v39, v[30:31], off offset:1024
	global_load_ushort v40, v[30:31], off offset:1152
	global_load_ushort v41, v[30:31], off offset:1280
	global_load_ushort v42, v[30:31], off offset:1408
	s_waitcnt vmcnt(11)
	v_lshlrev_b32_e32 v29, 16, v29
	s_waitcnt vmcnt(10)
	v_lshlrev_b32_e32 v30, 16, v32
	v_mul_f32_e32 v30, v11, v30
	s_waitcnt vmcnt(9)
	v_lshlrev_b32_e32 v31, 16, v33
	v_fmac_f32_e32 v30, v9, v29
	s_waitcnt vmcnt(8)
	v_lshlrev_b32_e32 v32, 16, v34
	v_fmac_f32_e32 v30, v12, v31
	;; [unrolled: 3-line block ×9, first 2 shown]
	v_fmac_f32_e32 v30, v20, v39
	s_waitcnt vmcnt(0)
	v_lshlrev_b32_e32 v29, 16, v42
	v_fmac_f32_e32 v30, v21, v29
	ds_bpermute_b32 v29, v23, v30
	s_waitcnt lgkmcnt(0)
	v_add_f32_e32 v29, v30, v29
	ds_bpermute_b32 v30, v24, v29
	s_waitcnt lgkmcnt(0)
	v_add_f32_e32 v29, v29, v30
	ds_bpermute_b32 v30, v25, v29
	s_and_saveexec_b64 s[34:35], vcc
	s_cbranch_execz .LBB120_8
; %bb.10:                               ;   in Loop: Header=BB120_9 Depth=1
	v_add_u32_e32 v31, s15, v26
	v_cvt_f32_i32_e32 v31, v31
	s_waitcnt lgkmcnt(0)
	v_add_f32_e32 v29, v29, v30
	v_cmp_gt_i32_e64 s[6:7], s33, v26
	v_max_f32_e32 v30, v22, v22
	v_mul_f32_e32 v31, s10, v31
	v_cndmask_b32_e64 v31, 0, v31, s[0:1]
	v_fmac_f32_e32 v31, s11, v29
	v_cndmask_b32_e64 v29, 0, v31, s[6:7]
	ds_write_b32 v27, v29
	v_max_f32_e32 v29, v30, v31
	v_cndmask_b32_e64 v22, v22, v29, s[6:7]
	s_branch .LBB120_8
.LBB120_11:
	s_or_b64 exec, exec, s[30:31]
.LBB120_12:
	s_or_b64 exec, exec, s[28:29]
	v_xor_b32_e32 v2, 32, v6
	v_cmp_lt_i32_e32 vcc, v2, v8
	v_xor_b32_e32 v5, 16, v6
	v_max_f32_e32 v4, v22, v22
	v_cndmask_b32_e32 v2, v6, v2, vcc
	v_lshlrev_b32_e32 v3, 2, v2
	ds_bpermute_b32 v2, v3, v22
	v_cmp_lt_i32_e32 vcc, v5, v8
	v_xor_b32_e32 v9, 8, v6
	v_and_b32_e32 v11, 63, v0
	s_waitcnt lgkmcnt(0)
	v_max_f32_e32 v2, v2, v2
	v_max_f32_e32 v2, v4, v2
	v_cndmask_b32_e32 v4, v6, v5, vcc
	v_lshlrev_b32_e32 v5, 2, v4
	ds_bpermute_b32 v4, v5, v2
	v_cmp_lt_i32_e32 vcc, v9, v8
	s_waitcnt lgkmcnt(0)
	v_max_f32_e32 v4, v4, v4
	v_max_f32_e32 v4, v2, v4
	v_cndmask_b32_e32 v2, v6, v9, vcc
	v_lshlrev_b32_e32 v12, 2, v2
	ds_bpermute_b32 v9, v12, v4
	v_cmp_eq_u32_e32 vcc, 0, v11
	v_lshlrev_b32_e32 v2, 2, v1
	s_and_saveexec_b64 s[0:1], vcc
	s_cbranch_execz .LBB120_14
; %bb.13:
	s_waitcnt lgkmcnt(0)
	v_max_f32_e32 v9, v9, v9
	v_max_f32_e32 v4, v4, v4
	;; [unrolled: 1-line block ×3, first 2 shown]
	ds_write_b32 v2, v4 offset:192
.LBB120_14:
	s_or_b64 exec, exec, s[0:1]
	v_cmp_gt_u32_e64 s[0:1], 2, v11
	v_mov_b32_e32 v13, 0xff7fffff
	v_lshlrev_b32_e32 v4, 2, v11
	s_waitcnt lgkmcnt(0)
	s_barrier
	s_and_saveexec_b64 s[6:7], s[0:1]
	s_cbranch_execz .LBB120_16
; %bb.15:
	ds_read_b32 v13, v4 offset:192
.LBB120_16:
	s_or_b64 exec, exec, s[6:7]
	v_xor_b32_e32 v9, 1, v6
	v_cmp_lt_i32_e64 s[6:7], v9, v8
	v_lshlrev_b32_e32 v15, 2, v6
	s_nop 0
	v_cndmask_b32_e64 v9, v6, v9, s[6:7]
	v_lshlrev_b32_e32 v9, 2, v9
	s_waitcnt lgkmcnt(0)
	ds_bpermute_b32 v14, v9, v13
	v_max_f32_e32 v13, v13, v13
	s_lshl_b32 s6, s19, 3
	s_min_i32 s12, s6, s33
	v_cmp_gt_i32_e64 s[6:7], s12, v0
	s_waitcnt lgkmcnt(0)
	v_max_f32_e32 v14, v14, v14
	v_max_f32_e32 v14, v13, v14
	v_and_b32_e32 v13, 0xffffff00, v15
	ds_bpermute_b32 v15, v13, v14
	v_mov_b32_e32 v14, 0
	s_and_saveexec_b64 s[28:29], s[6:7]
	s_cbranch_execz .LBB120_20
; %bb.17:
	v_mov_b32_e32 v14, 0xd0
	v_lshl_add_u32 v16, v0, 2, v14
	s_mov_b64 s[30:31], 0
	v_mov_b32_e32 v14, 0
	v_mov_b32_e32 v17, v0
.LBB120_18:                             ; =>This Inner Loop Header: Depth=1
	ds_read_b32 v18, v16
	v_add_u32_e32 v17, 0x80, v17
	v_cmp_le_i32_e64 s[10:11], s12, v17
	s_or_b64 s[30:31], s[10:11], s[30:31]
	s_waitcnt lgkmcnt(0)
	v_sub_f32_e32 v18, v18, v15
	v_mul_f32_e32 v18, 0x3fb8aa3b, v18
	v_exp_f32_e32 v18, v18
	ds_write_b32 v16, v18
	v_add_f32_e32 v14, v14, v18
	v_add_u32_e32 v16, 0x200, v16
	s_andn2_b64 exec, exec, s[30:31]
	s_cbranch_execnz .LBB120_18
; %bb.19:
	s_or_b64 exec, exec, s[30:31]
.LBB120_20:
	s_or_b64 exec, exec, s[28:29]
	ds_bpermute_b32 v3, v3, v14
	s_waitcnt lgkmcnt(0)
	v_add_f32_e32 v3, v14, v3
	ds_bpermute_b32 v5, v5, v3
	s_waitcnt lgkmcnt(0)
	v_add_f32_e32 v3, v3, v5
	ds_bpermute_b32 v5, v12, v3
	v_xor_b32_e32 v12, 4, v6
	v_cmp_lt_i32_e64 s[10:11], v12, v8
	s_waitcnt lgkmcnt(0)
	v_add_f32_e32 v3, v3, v5
	v_cndmask_b32_e64 v12, v6, v12, s[10:11]
	v_lshlrev_b32_e32 v12, 2, v12
	ds_bpermute_b32 v5, v12, v3
	v_xor_b32_e32 v12, 2, v6
	v_cmp_lt_i32_e64 s[10:11], v12, v8
	s_waitcnt lgkmcnt(0)
	v_add_f32_e32 v3, v3, v5
	v_cndmask_b32_e64 v6, v6, v12, s[10:11]
	v_lshlrev_b32_e32 v5, 2, v6
	ds_bpermute_b32 v5, v5, v3
	s_waitcnt lgkmcnt(0)
	v_add_f32_e32 v3, v3, v5
	ds_bpermute_b32 v5, v9, v3
	s_waitcnt lgkmcnt(0)
	v_add_f32_e32 v3, v3, v5
	s_and_saveexec_b64 s[10:11], vcc
	s_cbranch_execz .LBB120_22
; %bb.21:
	ds_write_b32 v2, v3 offset:200
.LBB120_22:
	s_or_b64 exec, exec, s[10:11]
	s_waitcnt lgkmcnt(0)
	s_barrier
	s_and_saveexec_b64 s[10:11], s[0:1]
	s_cbranch_execz .LBB120_24
; %bb.23:
	ds_read_b32 v3, v4 offset:200
.LBB120_24:
	s_or_b64 exec, exec, s[10:11]
	s_waitcnt lgkmcnt(0)
	ds_bpermute_b32 v2, v9, v3
	s_waitcnt lgkmcnt(0)
	v_add_f32_e32 v2, v3, v2
	ds_bpermute_b32 v2, v13, v2
	s_and_saveexec_b64 s[0:1], s[6:7]
	s_cbranch_execz .LBB120_37
; %bb.25:
	s_waitcnt lgkmcnt(0)
	v_add_f32_e32 v2, 0x358637bd, v2
	v_div_scale_f32 v3, s[6:7], v2, v2, 1.0
	v_rcp_f32_e32 v4, v3
	v_div_scale_f32 v5, vcc, 1.0, v2, 1.0
	s_movk_i32 s6, 0x7f
	v_fma_f32 v6, -v3, v4, 1.0
	v_fmac_f32_e32 v4, v6, v4
	v_mul_f32_e32 v6, v5, v4
	v_fma_f32 v8, -v3, v6, v5
	v_fmac_f32_e32 v6, v8, v4
	v_fma_f32 v3, -v3, v6, v5
	v_div_fmas_f32 v3, v3, v4, v6
	v_xad_u32 v4, v0, -1, s12
	v_div_fixup_f32 v2, v3, v2, 1.0
	v_cmp_lt_u32_e32 vcc, s6, v4
	s_mov_b64 s[10:11], -1
	v_mov_b32_e32 v3, v0
	s_and_saveexec_b64 s[6:7], vcc
	s_cbranch_execz .LBB120_34
; %bb.26:
	v_lshrrev_b32_e32 v4, 7, v4
	v_add_u32_e32 v6, -1, v4
	v_lshrrev_b32_e32 v5, 1, v6
	v_mov_b32_e32 v3, v2
	v_add_u32_e32 v5, 1, v5
	v_cmp_lt_u32_e32 vcc, 13, v6
	v_mov_b32_e32 v9, 0
	s_and_saveexec_b64 s[10:11], vcc
	s_cbranch_execz .LBB120_30
; %bb.27:
	v_mov_b32_e32 v8, 0xd0
	v_and_b32_e32 v6, -8, v5
	v_lshl_add_u32 v8, v0, 2, v8
	s_mov_b32 s15, 0
	s_mov_b64 s[28:29], 0
.LBB120_28:                             ; =>This Inner Loop Header: Depth=1
	ds_read2st64_b32 v[12:13], v8 offset1:2
	ds_read2st64_b32 v[14:15], v8 offset0:4 offset1:6
	ds_read2st64_b32 v[16:17], v8 offset0:8 offset1:10
	;; [unrolled: 1-line block ×3, first 2 shown]
	v_add_u32_e32 v6, -8, v6
	s_waitcnt lgkmcnt(3)
	v_pk_mul_f32 v[12:13], v[2:3], v[12:13]
	s_waitcnt lgkmcnt(2)
	v_pk_mul_f32 v[14:15], v[2:3], v[14:15]
	ds_write2st64_b32 v8, v12, v13 offset1:2
	ds_write2st64_b32 v8, v14, v15 offset0:4 offset1:6
	ds_read2st64_b32 v[14:15], v8 offset0:16 offset1:18
	s_waitcnt lgkmcnt(4)
	v_pk_mul_f32 v[12:13], v[2:3], v[16:17]
	ds_write2st64_b32 v8, v12, v13 offset0:8 offset1:10
	s_waitcnt lgkmcnt(4)
	v_pk_mul_f32 v[12:13], v[2:3], v[18:19]
	ds_write2st64_b32 v8, v12, v13 offset0:12 offset1:14
	ds_read2st64_b32 v[12:13], v8 offset0:20 offset1:22
	s_waitcnt lgkmcnt(3)
	v_pk_mul_f32 v[14:15], v[2:3], v[14:15]
	ds_read2st64_b32 v[16:17], v8 offset0:24 offset1:26
	ds_write2st64_b32 v8, v14, v15 offset0:16 offset1:18
	ds_read2st64_b32 v[14:15], v8 offset0:28 offset1:30
	s_waitcnt lgkmcnt(3)
	v_pk_mul_f32 v[12:13], v[2:3], v[12:13]
	ds_write2st64_b32 v8, v12, v13 offset0:20 offset1:22
	s_waitcnt lgkmcnt(3)
	v_pk_mul_f32 v[12:13], v[2:3], v[16:17]
	ds_write2st64_b32 v8, v12, v13 offset0:24 offset1:26
	s_waitcnt lgkmcnt(2)
	v_pk_mul_f32 v[12:13], v[2:3], v[14:15]
	s_add_i32 s15, s15, 16
	v_cmp_eq_u32_e32 vcc, 0, v6
	ds_write2st64_b32 v8, v12, v13 offset0:28 offset1:30
	v_add_u32_e32 v8, 0x2000, v8
	s_or_b64 s[28:29], vcc, s[28:29]
	v_mov_b32_e32 v9, s15
	s_andn2_b64 exec, exec, s[28:29]
	s_cbranch_execnz .LBB120_28
; %bb.29:
	s_or_b64 exec, exec, s[28:29]
.LBB120_30:
	s_or_b64 exec, exec, s[10:11]
	v_and_b32_e32 v5, 7, v5
	v_cmp_ne_u32_e32 vcc, 0, v5
	s_and_saveexec_b64 s[10:11], vcc
	s_cbranch_execz .LBB120_33
; %bb.31:
	v_lshlrev_b32_e32 v6, 9, v9
	v_lshlrev_b32_e32 v8, 2, v0
	s_movk_i32 s15, 0xd0
	v_add3_u32 v6, v6, v8, s15
	s_mov_b64 s[28:29], 0
.LBB120_32:                             ; =>This Inner Loop Header: Depth=1
	ds_read2st64_b32 v[8:9], v6 offset1:2
	v_add_u32_e32 v5, -1, v5
	v_cmp_eq_u32_e32 vcc, 0, v5
	s_or_b64 s[28:29], vcc, s[28:29]
	s_waitcnt lgkmcnt(0)
	v_pk_mul_f32 v[8:9], v[2:3], v[8:9]
	ds_write2st64_b32 v6, v8, v9 offset1:2
	v_add_u32_e32 v6, 0x400, v6
	s_andn2_b64 exec, exec, s[28:29]
	s_cbranch_execnz .LBB120_32
.LBB120_33:
	s_or_b64 exec, exec, s[10:11]
	v_add_u32_e32 v4, 1, v4
	v_and_b32_e32 v5, 0x3fffffe, v4
	v_cmp_ne_u32_e32 vcc, v4, v5
	v_lshl_add_u32 v3, v5, 7, v0
	s_orn2_b64 s[10:11], vcc, exec
.LBB120_34:
	s_or_b64 exec, exec, s[6:7]
	s_and_b64 exec, exec, s[10:11]
	s_cbranch_execz .LBB120_37
; %bb.35:
	v_mov_b32_e32 v4, 0xd0
	v_lshl_add_u32 v4, v3, 2, v4
	s_mov_b64 s[6:7], 0
.LBB120_36:                             ; =>This Inner Loop Header: Depth=1
	ds_read_b32 v5, v4
	v_add_u32_e32 v3, 0x80, v3
	v_cmp_le_i32_e32 vcc, s12, v3
	s_or_b64 s[6:7], vcc, s[6:7]
	s_waitcnt lgkmcnt(0)
	v_mul_f32_e32 v5, v2, v5
	ds_write_b32 v4, v5
	v_add_u32_e32 v4, 0x200, v4
	s_andn2_b64 exec, exec, s[6:7]
	s_cbranch_execnz .LBB120_36
.LBB120_37:
	s_or_b64 exec, exec, s[0:1]
	v_mov_b32_e32 v13, 0
	v_mov_b32_e32 v6, v13
	s_waitcnt lgkmcnt(0)
	s_barrier
	s_and_saveexec_b64 s[6:7], s[2:3]
	s_cbranch_execz .LBB120_143
; %bb.38:
	s_ashr_i32 s15, s14, 31
	s_lshl_b64 s[0:1], s[14:15], 1
	s_add_u32 s10, s26, s0
	v_or_b32_e32 v3, 64, v11
	s_movk_i32 s0, 0x60
	s_addc_u32 s11, s27, s1
	s_add_i32 s26, s19, -1
	v_cmp_gt_u32_e32 vcc, s0, v3
	s_lshl_b64 s[0:1], s[24:25], 2
	s_add_u32 s0, s22, s0
	v_lshlrev_b32_e32 v2, 3, v11
	v_mov_b32_e32 v15, 0
	v_lshlrev_b32_e32 v4, 3, v3
	v_mov_b32_e32 v3, 0xd0
	v_and_b32_e32 v14, 60, v7
	s_addc_u32 s1, s23, s1
	s_mov_b32 s28, s13
	v_lshl_or_b32 v20, v1, 3, 7
	v_lshl_add_u32 v21, v1, 5, v3
	v_lshl_add_u64 v[16:17], s[0:1], 0, v[14:15]
	s_mov_b64 s[12:13], 0
	s_mov_b32 s24, 0x7f800000
	s_movk_i32 s25, 0x7fff
	v_lshlrev_b32_e32 v14, 1, v2
	v_lshlrev_b32_e32 v18, 1, v4
	v_mov_b32_e32 v12, v15
	v_mov_b32_e32 v13, v15
	s_branch .LBB120_41
.LBB120_39:                             ;   in Loop: Header=BB120_41 Depth=1
	s_or_b64 exec, exec, s[2:3]
	v_and_b32_e32 v23, 0xffff0000, v22
	v_and_b32_e32 v22, 0xffff0000, v9
	;; [unrolled: 1-line block ×6, first 2 shown]
	v_pk_add_f32 v[2:3], v[2:3], v[8:9]
	v_and_b32_e32 v5, 0xffff0000, v5
	v_and_b32_e32 v4, 0xffff0000, v4
	v_mov_b32_e32 v8, v3
	v_pk_add_f32 v[2:3], v[2:3], v[8:9]
	v_pk_add_f32 v[4:5], v[4:5], v[22:23]
	s_nop 0
	v_pk_add_f32 v[2:3], v[2:3], v[4:5]
	v_mov_b32_e32 v4, v5
	v_pk_add_f32 v[2:3], v[2:3], v[4:5]
	s_nop 0
	v_mov_b32_e32 v3, v2
	v_pk_add_f32 v[12:13], v[12:13], v[2:3]
.LBB120_40:                             ;   in Loop: Header=BB120_41 Depth=1
	s_or_b64 exec, exec, s[14:15]
	v_add_u32_e32 v1, 2, v1
	v_cmp_le_i32_e64 s[0:1], s19, v1
	v_add_u32_e32 v20, 16, v20
	v_add_u32_e32 v21, 64, v21
	v_lshl_add_u64 v[16:17], v[16:17], 0, 8
	s_or_b64 s[12:13], s[0:1], s[12:13]
	v_mov_b32_e32 v12, v6
	s_andn2_b64 exec, exec, s[12:13]
	s_cbranch_execz .LBB120_142
.LBB120_41:                             ; =>This Inner Loop Header: Depth=1
	global_load_dword v22, v[16:17], off
	ds_read2_b64 v[6:9], v21 offset1:1
	ds_read2_b64 v[2:5], v21 offset0:2 offset1:3
                                        ; implicit-def: $vgpr23
	s_waitcnt lgkmcnt(1)
	v_and_b32_e32 v19, 0x7f800000, v6
	v_cmp_ne_u32_e64 s[0:1], s24, v19
	s_and_saveexec_b64 s[2:3], s[0:1]
	s_xor_b64 s[0:1], exec, s[2:3]
; %bb.42:                               ;   in Loop: Header=BB120_41 Depth=1
	v_bfe_u32 v19, v6, 16, 1
	v_add3_u32 v23, v6, v19, s25
; %bb.43:                               ;   in Loop: Header=BB120_41 Depth=1
	s_andn2_saveexec_b64 s[2:3], s[0:1]
; %bb.44:                               ;   in Loop: Header=BB120_41 Depth=1
	v_or_b32_e32 v19, 0x10000, v6
	v_cmp_eq_u32_sdwa s[0:1], v6, v15 src0_sel:WORD_0 src1_sel:DWORD
	s_nop 1
	v_cndmask_b32_e64 v23, v19, v6, s[0:1]
; %bb.45:                               ;   in Loop: Header=BB120_41 Depth=1
	s_or_b64 exec, exec, s[2:3]
	v_and_b32_e32 v6, 0x7f800000, v7
	v_cmp_ne_u32_e64 s[0:1], s24, v6
                                        ; implicit-def: $vgpr24
	s_and_saveexec_b64 s[2:3], s[0:1]
	s_xor_b64 s[0:1], exec, s[2:3]
; %bb.46:                               ;   in Loop: Header=BB120_41 Depth=1
	v_bfe_u32 v6, v7, 16, 1
	v_add3_u32 v24, v7, v6, s25
; %bb.47:                               ;   in Loop: Header=BB120_41 Depth=1
	s_andn2_saveexec_b64 s[2:3], s[0:1]
; %bb.48:                               ;   in Loop: Header=BB120_41 Depth=1
	v_or_b32_e32 v6, 0x10000, v7
	v_cmp_eq_u32_sdwa s[0:1], v7, v15 src0_sel:WORD_0 src1_sel:DWORD
	s_nop 1
	v_cndmask_b32_e64 v24, v6, v7, s[0:1]
; %bb.49:                               ;   in Loop: Header=BB120_41 Depth=1
	s_or_b64 exec, exec, s[2:3]
	v_and_b32_e32 v6, 0x7f800000, v8
	v_cmp_ne_u32_e64 s[0:1], s24, v6
                                        ; implicit-def: $vgpr25
	s_and_saveexec_b64 s[2:3], s[0:1]
	s_xor_b64 s[0:1], exec, s[2:3]
; %bb.50:                               ;   in Loop: Header=BB120_41 Depth=1
	v_bfe_u32 v6, v8, 16, 1
	v_add3_u32 v25, v8, v6, s25
; %bb.51:                               ;   in Loop: Header=BB120_41 Depth=1
	s_andn2_saveexec_b64 s[2:3], s[0:1]
; %bb.52:                               ;   in Loop: Header=BB120_41 Depth=1
	v_or_b32_e32 v6, 0x10000, v8
	v_cmp_eq_u32_sdwa s[0:1], v8, v15 src0_sel:WORD_0 src1_sel:DWORD
	s_nop 1
	v_cndmask_b32_e64 v25, v6, v8, s[0:1]
; %bb.53:                               ;   in Loop: Header=BB120_41 Depth=1
	s_or_b64 exec, exec, s[2:3]
	v_and_b32_e32 v6, 0x7f800000, v9
	v_cmp_ne_u32_e64 s[0:1], s24, v6
                                        ; implicit-def: $vgpr26
	s_and_saveexec_b64 s[2:3], s[0:1]
	s_xor_b64 s[0:1], exec, s[2:3]
; %bb.54:                               ;   in Loop: Header=BB120_41 Depth=1
	v_bfe_u32 v6, v9, 16, 1
	v_add3_u32 v26, v9, v6, s25
                                        ; implicit-def: $vgpr6_vgpr7_vgpr8_vgpr9
; %bb.55:                               ;   in Loop: Header=BB120_41 Depth=1
	s_andn2_saveexec_b64 s[2:3], s[0:1]
; %bb.56:                               ;   in Loop: Header=BB120_41 Depth=1
	v_or_b32_e32 v6, 0x10000, v9
	v_cmp_eq_u32_sdwa s[0:1], v9, v15 src0_sel:WORD_0 src1_sel:DWORD
	s_nop 1
	v_cndmask_b32_e64 v26, v6, v9, s[0:1]
; %bb.57:                               ;   in Loop: Header=BB120_41 Depth=1
	s_or_b64 exec, exec, s[2:3]
	s_waitcnt lgkmcnt(0)
	v_and_b32_e32 v6, 0x7f800000, v2
	v_cmp_ne_u32_e64 s[0:1], s24, v6
                                        ; implicit-def: $vgpr27
	s_and_saveexec_b64 s[2:3], s[0:1]
	s_xor_b64 s[0:1], exec, s[2:3]
; %bb.58:                               ;   in Loop: Header=BB120_41 Depth=1
	v_bfe_u32 v6, v2, 16, 1
	v_add3_u32 v27, v2, v6, s25
; %bb.59:                               ;   in Loop: Header=BB120_41 Depth=1
	s_andn2_saveexec_b64 s[2:3], s[0:1]
; %bb.60:                               ;   in Loop: Header=BB120_41 Depth=1
	v_or_b32_e32 v6, 0x10000, v2
	v_cmp_eq_u32_sdwa s[0:1], v2, v15 src0_sel:WORD_0 src1_sel:DWORD
	s_nop 1
	v_cndmask_b32_e64 v27, v6, v2, s[0:1]
; %bb.61:                               ;   in Loop: Header=BB120_41 Depth=1
	s_or_b64 exec, exec, s[2:3]
	v_and_b32_e32 v2, 0x7f800000, v3
	v_cmp_ne_u32_e64 s[0:1], s24, v2
                                        ; implicit-def: $vgpr19
	s_and_saveexec_b64 s[2:3], s[0:1]
	s_xor_b64 s[0:1], exec, s[2:3]
; %bb.62:                               ;   in Loop: Header=BB120_41 Depth=1
	v_bfe_u32 v2, v3, 16, 1
	v_add3_u32 v19, v3, v2, s25
; %bb.63:                               ;   in Loop: Header=BB120_41 Depth=1
	s_andn2_saveexec_b64 s[2:3], s[0:1]
; %bb.64:                               ;   in Loop: Header=BB120_41 Depth=1
	v_or_b32_e32 v2, 0x10000, v3
	v_cmp_eq_u32_sdwa s[0:1], v3, v15 src0_sel:WORD_0 src1_sel:DWORD
	s_nop 1
	v_cndmask_b32_e64 v19, v2, v3, s[0:1]
; %bb.65:                               ;   in Loop: Header=BB120_41 Depth=1
	s_or_b64 exec, exec, s[2:3]
	v_and_b32_e32 v2, 0x7f800000, v4
	v_cmp_ne_u32_e64 s[0:1], s24, v2
                                        ; implicit-def: $vgpr7
	s_and_saveexec_b64 s[2:3], s[0:1]
	s_xor_b64 s[0:1], exec, s[2:3]
; %bb.66:                               ;   in Loop: Header=BB120_41 Depth=1
	v_bfe_u32 v2, v4, 16, 1
	v_add3_u32 v7, v4, v2, s25
; %bb.67:                               ;   in Loop: Header=BB120_41 Depth=1
	s_andn2_saveexec_b64 s[2:3], s[0:1]
; %bb.68:                               ;   in Loop: Header=BB120_41 Depth=1
	v_or_b32_e32 v2, 0x10000, v4
	v_cmp_eq_u32_sdwa s[0:1], v4, v15 src0_sel:WORD_0 src1_sel:DWORD
	s_nop 1
	v_cndmask_b32_e64 v7, v2, v4, s[0:1]
; %bb.69:                               ;   in Loop: Header=BB120_41 Depth=1
	s_or_b64 exec, exec, s[2:3]
	v_and_b32_e32 v2, 0x7f800000, v5
	v_cmp_ne_u32_e64 s[0:1], s24, v2
                                        ; implicit-def: $vgpr6
	s_and_saveexec_b64 s[2:3], s[0:1]
	s_xor_b64 s[0:1], exec, s[2:3]
; %bb.70:                               ;   in Loop: Header=BB120_41 Depth=1
	v_bfe_u32 v2, v5, 16, 1
	v_add3_u32 v6, v5, v2, s25
                                        ; implicit-def: $vgpr2_vgpr3_vgpr4_vgpr5
; %bb.71:                               ;   in Loop: Header=BB120_41 Depth=1
	s_andn2_saveexec_b64 s[2:3], s[0:1]
; %bb.72:                               ;   in Loop: Header=BB120_41 Depth=1
	v_or_b32_e32 v2, 0x10000, v5
	v_cmp_eq_u32_sdwa s[0:1], v5, v15 src0_sel:WORD_0 src1_sel:DWORD
	s_nop 1
	v_cndmask_b32_e64 v6, v2, v5, s[0:1]
; %bb.73:                               ;   in Loop: Header=BB120_41 Depth=1
	s_or_b64 exec, exec, s[2:3]
	s_waitcnt vmcnt(0)
	v_mad_i64_i32 v[2:3], s[0:1], v22, s28, 0
	v_lshl_add_u64 v[8:9], v[2:3], 1, s[10:11]
	v_lshl_add_u64 v[2:3], v[8:9], 0, v[14:15]
	global_load_dwordx4 v[2:5], v[2:3], off
	v_add_u32_e32 v22, -7, v20
	v_cmp_eq_u32_e64 s[2:3], s26, v1
	s_waitcnt vmcnt(0)
	v_lshrrev_b32_e32 v30, 16, v2
	v_lshrrev_b32_e32 v28, 16, v3
	;; [unrolled: 1-line block ×4, first 2 shown]
	s_and_saveexec_b64 s[14:15], s[2:3]
	s_cbranch_execz .LBB120_75
; %bb.74:                               ;   in Loop: Header=BB120_41 Depth=1
	v_cmp_gt_i32_e64 s[0:1], s33, v22
	v_add_u32_e32 v32, -6, v20
	s_nop 0
	v_cndmask_b32_e64 v2, 0, v2, s[0:1]
	v_cmp_gt_i32_e64 s[0:1], s33, v32
	v_add_u32_e32 v32, -5, v20
	s_nop 0
	v_cndmask_b32_e64 v30, 0, v30, s[0:1]
	;; [unrolled: 4-line block ×6, first 2 shown]
	v_cmp_gt_i32_e64 s[0:1], s33, v32
	s_nop 1
	v_cndmask_b32_e64 v5, 0, v5, s[0:1]
	v_cmp_gt_i32_e64 s[0:1], s33, v20
	s_nop 1
	v_cndmask_b32_e64 v31, 0, v31, s[0:1]
.LBB120_75:                             ;   in Loop: Header=BB120_41 Depth=1
	s_or_b64 exec, exec, s[14:15]
	v_and_b32_e32 v23, 0xffff0000, v23
	v_lshlrev_b32_e32 v2, 16, v2
	v_mul_f32_e32 v32, v23, v2
	v_and_b32_e32 v2, 0x7f800000, v32
	v_cmp_ne_u32_e64 s[0:1], s24, v2
                                        ; implicit-def: $vgpr2
	s_and_saveexec_b64 s[14:15], s[0:1]
	s_xor_b64 s[0:1], exec, s[14:15]
; %bb.76:                               ;   in Loop: Header=BB120_41 Depth=1
	v_bfe_u32 v2, v32, 16, 1
	v_add3_u32 v2, v32, v2, s25
                                        ; implicit-def: $vgpr32
; %bb.77:                               ;   in Loop: Header=BB120_41 Depth=1
	s_andn2_saveexec_b64 s[14:15], s[0:1]
; %bb.78:                               ;   in Loop: Header=BB120_41 Depth=1
	v_or_b32_e32 v2, 0x10000, v32
	v_cmp_eq_u32_sdwa s[0:1], v32, v15 src0_sel:WORD_0 src1_sel:DWORD
	s_nop 1
	v_cndmask_b32_e64 v2, v2, v32, s[0:1]
; %bb.79:                               ;   in Loop: Header=BB120_41 Depth=1
	s_or_b64 exec, exec, s[14:15]
	v_and_b32_e32 v24, 0xffff0000, v24
	v_lshlrev_b32_e32 v30, 16, v30
	v_mul_f32_e32 v30, v24, v30
	v_and_b32_e32 v32, 0x7f800000, v30
	v_cmp_ne_u32_e64 s[0:1], s24, v32
                                        ; implicit-def: $vgpr32
	s_and_saveexec_b64 s[14:15], s[0:1]
	s_xor_b64 s[0:1], exec, s[14:15]
; %bb.80:                               ;   in Loop: Header=BB120_41 Depth=1
	v_bfe_u32 v32, v30, 16, 1
	v_add3_u32 v32, v30, v32, s25
                                        ; implicit-def: $vgpr30
; %bb.81:                               ;   in Loop: Header=BB120_41 Depth=1
	s_andn2_saveexec_b64 s[14:15], s[0:1]
; %bb.82:                               ;   in Loop: Header=BB120_41 Depth=1
	v_or_b32_e32 v32, 0x10000, v30
	v_cmp_eq_u32_sdwa s[0:1], v30, v15 src0_sel:WORD_0 src1_sel:DWORD
	s_nop 1
	v_cndmask_b32_e64 v32, v32, v30, s[0:1]
; %bb.83:                               ;   in Loop: Header=BB120_41 Depth=1
	s_or_b64 exec, exec, s[14:15]
	v_and_b32_e32 v25, 0xffff0000, v25
	v_lshlrev_b32_e32 v3, 16, v3
	v_mul_f32_e32 v30, v25, v3
	v_and_b32_e32 v3, 0x7f800000, v30
	v_cmp_ne_u32_e64 s[0:1], s24, v3
                                        ; implicit-def: $vgpr3
	s_and_saveexec_b64 s[14:15], s[0:1]
	s_xor_b64 s[0:1], exec, s[14:15]
; %bb.84:                               ;   in Loop: Header=BB120_41 Depth=1
	v_bfe_u32 v3, v30, 16, 1
	v_add3_u32 v3, v30, v3, s25
                                        ; implicit-def: $vgpr30
; %bb.85:                               ;   in Loop: Header=BB120_41 Depth=1
	s_andn2_saveexec_b64 s[14:15], s[0:1]
; %bb.86:                               ;   in Loop: Header=BB120_41 Depth=1
	v_or_b32_e32 v3, 0x10000, v30
	v_cmp_eq_u32_sdwa s[0:1], v30, v15 src0_sel:WORD_0 src1_sel:DWORD
	s_nop 1
	v_cndmask_b32_e64 v3, v3, v30, s[0:1]
; %bb.87:                               ;   in Loop: Header=BB120_41 Depth=1
	s_or_b64 exec, exec, s[14:15]
	v_and_b32_e32 v26, 0xffff0000, v26
	v_lshlrev_b32_e32 v28, 16, v28
	v_mul_f32_e32 v28, v26, v28
	v_and_b32_e32 v30, 0x7f800000, v28
	v_cmp_ne_u32_e64 s[0:1], s24, v30
                                        ; implicit-def: $vgpr33
	s_and_saveexec_b64 s[14:15], s[0:1]
	s_xor_b64 s[0:1], exec, s[14:15]
; %bb.88:                               ;   in Loop: Header=BB120_41 Depth=1
	v_bfe_u32 v30, v28, 16, 1
	v_add3_u32 v33, v28, v30, s25
                                        ; implicit-def: $vgpr28
; %bb.89:                               ;   in Loop: Header=BB120_41 Depth=1
	s_andn2_saveexec_b64 s[14:15], s[0:1]
; %bb.90:                               ;   in Loop: Header=BB120_41 Depth=1
	v_or_b32_e32 v30, 0x10000, v28
	v_cmp_eq_u32_sdwa s[0:1], v28, v15 src0_sel:WORD_0 src1_sel:DWORD
	s_nop 1
	v_cndmask_b32_e64 v33, v30, v28, s[0:1]
; %bb.91:                               ;   in Loop: Header=BB120_41 Depth=1
	s_or_b64 exec, exec, s[14:15]
	v_and_b32_e32 v27, 0xffff0000, v27
	v_lshlrev_b32_e32 v4, 16, v4
	v_mul_f32_e32 v28, v27, v4
	v_and_b32_e32 v4, 0x7f800000, v28
	v_cmp_ne_u32_e64 s[0:1], s24, v4
                                        ; implicit-def: $vgpr4
	s_and_saveexec_b64 s[14:15], s[0:1]
	s_xor_b64 s[0:1], exec, s[14:15]
; %bb.92:                               ;   in Loop: Header=BB120_41 Depth=1
	v_bfe_u32 v4, v28, 16, 1
	v_add3_u32 v4, v28, v4, s25
                                        ; implicit-def: $vgpr28
; %bb.93:                               ;   in Loop: Header=BB120_41 Depth=1
	s_andn2_saveexec_b64 s[14:15], s[0:1]
; %bb.94:                               ;   in Loop: Header=BB120_41 Depth=1
	v_or_b32_e32 v4, 0x10000, v28
	v_cmp_eq_u32_sdwa s[0:1], v28, v15 src0_sel:WORD_0 src1_sel:DWORD
	s_nop 1
	v_cndmask_b32_e64 v4, v4, v28, s[0:1]
; %bb.95:                               ;   in Loop: Header=BB120_41 Depth=1
	s_or_b64 exec, exec, s[14:15]
	v_and_b32_e32 v28, 0xffff0000, v19
	v_lshlrev_b32_e32 v19, 16, v29
	v_mul_f32_e32 v29, v28, v19
	v_and_b32_e32 v19, 0x7f800000, v29
	v_cmp_ne_u32_e64 s[0:1], s24, v19
                                        ; implicit-def: $vgpr19
	s_and_saveexec_b64 s[14:15], s[0:1]
	s_xor_b64 s[0:1], exec, s[14:15]
; %bb.96:                               ;   in Loop: Header=BB120_41 Depth=1
	v_bfe_u32 v19, v29, 16, 1
	v_add3_u32 v19, v29, v19, s25
                                        ; implicit-def: $vgpr29
; %bb.97:                               ;   in Loop: Header=BB120_41 Depth=1
	s_andn2_saveexec_b64 s[14:15], s[0:1]
; %bb.98:                               ;   in Loop: Header=BB120_41 Depth=1
	v_or_b32_e32 v19, 0x10000, v29
	v_cmp_eq_u32_sdwa s[0:1], v29, v15 src0_sel:WORD_0 src1_sel:DWORD
	s_nop 1
	v_cndmask_b32_e64 v19, v19, v29, s[0:1]
; %bb.99:                               ;   in Loop: Header=BB120_41 Depth=1
	s_or_b64 exec, exec, s[14:15]
	v_and_b32_e32 v29, 0xffff0000, v7
	v_lshlrev_b32_e32 v5, 16, v5
	v_mul_f32_e32 v7, v29, v5
	v_and_b32_e32 v5, 0x7f800000, v7
	v_cmp_ne_u32_e64 s[0:1], s24, v5
                                        ; implicit-def: $vgpr5
	s_and_saveexec_b64 s[14:15], s[0:1]
	s_xor_b64 s[0:1], exec, s[14:15]
; %bb.100:                              ;   in Loop: Header=BB120_41 Depth=1
	v_bfe_u32 v5, v7, 16, 1
	v_add3_u32 v5, v7, v5, s25
                                        ; implicit-def: $vgpr7
; %bb.101:                              ;   in Loop: Header=BB120_41 Depth=1
	s_andn2_saveexec_b64 s[14:15], s[0:1]
; %bb.102:                              ;   in Loop: Header=BB120_41 Depth=1
	v_or_b32_e32 v5, 0x10000, v7
	v_cmp_eq_u32_sdwa s[0:1], v7, v15 src0_sel:WORD_0 src1_sel:DWORD
	s_nop 1
	v_cndmask_b32_e64 v5, v5, v7, s[0:1]
; %bb.103:                              ;   in Loop: Header=BB120_41 Depth=1
	s_or_b64 exec, exec, s[14:15]
	v_and_b32_e32 v30, 0xffff0000, v6
	v_lshlrev_b32_e32 v6, 16, v31
	v_mul_f32_e32 v6, v30, v6
	v_and_b32_e32 v7, 0x7f800000, v6
	v_cmp_ne_u32_e64 s[0:1], s24, v7
                                        ; implicit-def: $vgpr7
	s_and_saveexec_b64 s[14:15], s[0:1]
	s_xor_b64 s[0:1], exec, s[14:15]
; %bb.104:                              ;   in Loop: Header=BB120_41 Depth=1
	v_bfe_u32 v7, v6, 16, 1
	v_add3_u32 v7, v6, v7, s25
                                        ; implicit-def: $vgpr6
; %bb.105:                              ;   in Loop: Header=BB120_41 Depth=1
	s_andn2_saveexec_b64 s[14:15], s[0:1]
; %bb.106:                              ;   in Loop: Header=BB120_41 Depth=1
	v_or_b32_e32 v7, 0x10000, v6
	v_cmp_eq_u32_sdwa s[0:1], v6, v15 src0_sel:WORD_0 src1_sel:DWORD
	s_nop 1
	v_cndmask_b32_e64 v7, v7, v6, s[0:1]
; %bb.107:                              ;   in Loop: Header=BB120_41 Depth=1
	s_or_b64 exec, exec, s[14:15]
	v_and_b32_e32 v33, 0xffff0000, v33
	v_and_b32_e32 v32, 0xffff0000, v32
	v_and_b32_e32 v3, 0xffff0000, v3
	v_and_b32_e32 v2, 0xffff0000, v2
	v_pk_add_f32 v[2:3], v[2:3], v[32:33]
	v_and_b32_e32 v7, 0xffff0000, v7
	v_and_b32_e32 v6, 0xffff0000, v19
	;; [unrolled: 1-line block ×4, first 2 shown]
	v_mov_b32_e32 v32, v3
	v_pk_add_f32 v[2:3], v[2:3], v[32:33]
	v_pk_add_f32 v[4:5], v[4:5], v[6:7]
	s_nop 0
	v_pk_add_f32 v[2:3], v[2:3], v[4:5]
	v_mov_b32_e32 v4, v5
	v_pk_add_f32 v[2:3], v[2:3], v[4:5]
	s_nop 0
	v_pk_add_f32 v[6:7], v[12:13], v[2:3]
	s_and_saveexec_b64 s[14:15], vcc
	s_cbranch_execz .LBB120_40
; %bb.108:                              ;   in Loop: Header=BB120_41 Depth=1
	v_mov_b32_e32 v19, v15
	v_lshl_add_u64 v[2:3], v[8:9], 0, v[18:19]
	global_load_dwordx4 v[2:5], v[2:3], off
	s_waitcnt vmcnt(0)
	v_lshrrev_b32_e32 v8, 16, v2
	v_lshrrev_b32_e32 v19, 16, v3
	;; [unrolled: 1-line block ×4, first 2 shown]
	s_and_saveexec_b64 s[22:23], s[2:3]
	s_cbranch_execz .LBB120_110
; %bb.109:                              ;   in Loop: Header=BB120_41 Depth=1
	v_cmp_gt_i32_e64 s[0:1], s33, v22
	v_add_u32_e32 v22, -6, v20
	s_nop 0
	v_cndmask_b32_e64 v2, 0, v2, s[0:1]
	v_cmp_gt_i32_e64 s[0:1], s33, v22
	v_add_u32_e32 v22, -5, v20
	s_nop 0
	v_cndmask_b32_e64 v8, 0, v8, s[0:1]
	;; [unrolled: 4-line block ×6, first 2 shown]
	v_cmp_gt_i32_e64 s[0:1], s33, v22
	s_nop 1
	v_cndmask_b32_e64 v5, 0, v5, s[0:1]
	v_cmp_gt_i32_e64 s[0:1], s33, v20
	s_nop 1
	v_cndmask_b32_e64 v7, 0, v7, s[0:1]
.LBB120_110:                            ;   in Loop: Header=BB120_41 Depth=1
	s_or_b64 exec, exec, s[22:23]
	v_lshlrev_b32_e32 v2, 16, v2
	v_mul_f32_e32 v22, v23, v2
	v_and_b32_e32 v2, 0x7f800000, v22
	v_cmp_ne_u32_e64 s[0:1], s24, v2
                                        ; implicit-def: $vgpr2
	s_and_saveexec_b64 s[2:3], s[0:1]
	s_xor_b64 s[0:1], exec, s[2:3]
; %bb.111:                              ;   in Loop: Header=BB120_41 Depth=1
	v_bfe_u32 v2, v22, 16, 1
	v_add3_u32 v2, v22, v2, s25
                                        ; implicit-def: $vgpr22
; %bb.112:                              ;   in Loop: Header=BB120_41 Depth=1
	s_andn2_saveexec_b64 s[2:3], s[0:1]
; %bb.113:                              ;   in Loop: Header=BB120_41 Depth=1
	v_or_b32_e32 v2, 0x10000, v22
	v_cmp_eq_u32_sdwa s[0:1], v22, v15 src0_sel:WORD_0 src1_sel:DWORD
	s_nop 1
	v_cndmask_b32_e64 v2, v2, v22, s[0:1]
; %bb.114:                              ;   in Loop: Header=BB120_41 Depth=1
	s_or_b64 exec, exec, s[2:3]
	v_lshlrev_b32_e32 v8, 16, v8
	v_mul_f32_e32 v22, v24, v8
	v_and_b32_e32 v8, 0x7f800000, v22
	v_cmp_ne_u32_e64 s[0:1], s24, v8
                                        ; implicit-def: $vgpr8
	s_and_saveexec_b64 s[2:3], s[0:1]
	s_xor_b64 s[0:1], exec, s[2:3]
; %bb.115:                              ;   in Loop: Header=BB120_41 Depth=1
	v_bfe_u32 v8, v22, 16, 1
	v_add3_u32 v8, v22, v8, s25
                                        ; implicit-def: $vgpr22
; %bb.116:                              ;   in Loop: Header=BB120_41 Depth=1
	s_andn2_saveexec_b64 s[2:3], s[0:1]
; %bb.117:                              ;   in Loop: Header=BB120_41 Depth=1
	v_or_b32_e32 v8, 0x10000, v22
	v_cmp_eq_u32_sdwa s[0:1], v22, v15 src0_sel:WORD_0 src1_sel:DWORD
	s_nop 1
	v_cndmask_b32_e64 v8, v8, v22, s[0:1]
; %bb.118:                              ;   in Loop: Header=BB120_41 Depth=1
	s_or_b64 exec, exec, s[2:3]
	v_lshlrev_b32_e32 v3, 16, v3
	v_mul_f32_e32 v22, v25, v3
	v_and_b32_e32 v3, 0x7f800000, v22
	v_cmp_ne_u32_e64 s[0:1], s24, v3
                                        ; implicit-def: $vgpr3
	s_and_saveexec_b64 s[2:3], s[0:1]
	s_xor_b64 s[0:1], exec, s[2:3]
; %bb.119:                              ;   in Loop: Header=BB120_41 Depth=1
	v_bfe_u32 v3, v22, 16, 1
	v_add3_u32 v3, v22, v3, s25
                                        ; implicit-def: $vgpr22
; %bb.120:                              ;   in Loop: Header=BB120_41 Depth=1
	s_andn2_saveexec_b64 s[2:3], s[0:1]
; %bb.121:                              ;   in Loop: Header=BB120_41 Depth=1
	v_or_b32_e32 v3, 0x10000, v22
	v_cmp_eq_u32_sdwa s[0:1], v22, v15 src0_sel:WORD_0 src1_sel:DWORD
	s_nop 1
	v_cndmask_b32_e64 v3, v3, v22, s[0:1]
; %bb.122:                              ;   in Loop: Header=BB120_41 Depth=1
	s_or_b64 exec, exec, s[2:3]
	v_lshlrev_b32_e32 v19, 16, v19
	v_mul_f32_e32 v22, v26, v19
	v_and_b32_e32 v19, 0x7f800000, v22
	v_cmp_ne_u32_e64 s[0:1], s24, v19
                                        ; implicit-def: $vgpr19
	s_and_saveexec_b64 s[2:3], s[0:1]
	s_xor_b64 s[0:1], exec, s[2:3]
; %bb.123:                              ;   in Loop: Header=BB120_41 Depth=1
	v_bfe_u32 v19, v22, 16, 1
	v_add3_u32 v19, v22, v19, s25
                                        ; implicit-def: $vgpr22
; %bb.124:                              ;   in Loop: Header=BB120_41 Depth=1
	s_andn2_saveexec_b64 s[2:3], s[0:1]
; %bb.125:                              ;   in Loop: Header=BB120_41 Depth=1
	v_or_b32_e32 v19, 0x10000, v22
	v_cmp_eq_u32_sdwa s[0:1], v22, v15 src0_sel:WORD_0 src1_sel:DWORD
	s_nop 1
	v_cndmask_b32_e64 v19, v19, v22, s[0:1]
; %bb.126:                              ;   in Loop: Header=BB120_41 Depth=1
	s_or_b64 exec, exec, s[2:3]
	v_lshlrev_b32_e32 v4, 16, v4
	v_mul_f32_e32 v22, v27, v4
	v_and_b32_e32 v4, 0x7f800000, v22
	v_cmp_ne_u32_e64 s[0:1], s24, v4
                                        ; implicit-def: $vgpr4
	s_and_saveexec_b64 s[2:3], s[0:1]
	s_xor_b64 s[0:1], exec, s[2:3]
; %bb.127:                              ;   in Loop: Header=BB120_41 Depth=1
	v_bfe_u32 v4, v22, 16, 1
	v_add3_u32 v4, v22, v4, s25
                                        ; implicit-def: $vgpr22
; %bb.128:                              ;   in Loop: Header=BB120_41 Depth=1
	s_andn2_saveexec_b64 s[2:3], s[0:1]
; %bb.129:                              ;   in Loop: Header=BB120_41 Depth=1
	v_or_b32_e32 v4, 0x10000, v22
	v_cmp_eq_u32_sdwa s[0:1], v22, v15 src0_sel:WORD_0 src1_sel:DWORD
	s_nop 1
	v_cndmask_b32_e64 v4, v4, v22, s[0:1]
; %bb.130:                              ;   in Loop: Header=BB120_41 Depth=1
	s_or_b64 exec, exec, s[2:3]
	v_lshlrev_b32_e32 v9, 16, v9
	v_mul_f32_e32 v22, v28, v9
	v_and_b32_e32 v9, 0x7f800000, v22
	v_cmp_ne_u32_e64 s[0:1], s24, v9
                                        ; implicit-def: $vgpr9
	s_and_saveexec_b64 s[2:3], s[0:1]
	s_xor_b64 s[0:1], exec, s[2:3]
; %bb.131:                              ;   in Loop: Header=BB120_41 Depth=1
	v_bfe_u32 v9, v22, 16, 1
	v_add3_u32 v9, v22, v9, s25
                                        ; implicit-def: $vgpr22
; %bb.132:                              ;   in Loop: Header=BB120_41 Depth=1
	s_andn2_saveexec_b64 s[2:3], s[0:1]
; %bb.133:                              ;   in Loop: Header=BB120_41 Depth=1
	v_or_b32_e32 v9, 0x10000, v22
	v_cmp_eq_u32_sdwa s[0:1], v22, v15 src0_sel:WORD_0 src1_sel:DWORD
	s_nop 1
	v_cndmask_b32_e64 v9, v9, v22, s[0:1]
; %bb.134:                              ;   in Loop: Header=BB120_41 Depth=1
	s_or_b64 exec, exec, s[2:3]
	v_lshlrev_b32_e32 v5, 16, v5
	v_mul_f32_e32 v22, v29, v5
	v_and_b32_e32 v5, 0x7f800000, v22
	v_cmp_ne_u32_e64 s[0:1], s24, v5
                                        ; implicit-def: $vgpr5
	s_and_saveexec_b64 s[2:3], s[0:1]
	s_xor_b64 s[0:1], exec, s[2:3]
; %bb.135:                              ;   in Loop: Header=BB120_41 Depth=1
	v_bfe_u32 v5, v22, 16, 1
	v_add3_u32 v5, v22, v5, s25
                                        ; implicit-def: $vgpr22
; %bb.136:                              ;   in Loop: Header=BB120_41 Depth=1
	s_andn2_saveexec_b64 s[2:3], s[0:1]
; %bb.137:                              ;   in Loop: Header=BB120_41 Depth=1
	v_or_b32_e32 v5, 0x10000, v22
	v_cmp_eq_u32_sdwa s[0:1], v22, v15 src0_sel:WORD_0 src1_sel:DWORD
	s_nop 1
	v_cndmask_b32_e64 v5, v5, v22, s[0:1]
; %bb.138:                              ;   in Loop: Header=BB120_41 Depth=1
	s_or_b64 exec, exec, s[2:3]
	v_lshlrev_b32_e32 v7, 16, v7
	v_mul_f32_e32 v7, v30, v7
	v_and_b32_e32 v22, 0x7f800000, v7
	v_cmp_ne_u32_e64 s[0:1], s24, v22
                                        ; implicit-def: $vgpr22
	s_and_saveexec_b64 s[2:3], s[0:1]
	s_xor_b64 s[0:1], exec, s[2:3]
; %bb.139:                              ;   in Loop: Header=BB120_41 Depth=1
	v_bfe_u32 v22, v7, 16, 1
	v_add3_u32 v22, v7, v22, s25
                                        ; implicit-def: $vgpr7
; %bb.140:                              ;   in Loop: Header=BB120_41 Depth=1
	s_andn2_saveexec_b64 s[2:3], s[0:1]
	s_cbranch_execz .LBB120_39
; %bb.141:                              ;   in Loop: Header=BB120_41 Depth=1
	v_or_b32_e32 v22, 0x10000, v7
	v_cmp_eq_u32_sdwa s[0:1], v7, v15 src0_sel:WORD_0 src1_sel:DWORD
	s_nop 1
	v_cndmask_b32_e64 v22, v22, v7, s[0:1]
	s_branch .LBB120_39
.LBB120_142:
	s_or_b64 exec, exec, s[12:13]
.LBB120_143:
	s_or_b64 exec, exec, s[6:7]
	v_and_b32_e32 v1, 0x3c0, v0
	v_cmp_eq_u32_e32 vcc, 64, v1
	s_barrier
	s_and_saveexec_b64 s[0:1], vcc
	s_cbranch_execz .LBB120_146
; %bb.144:
	v_mov_b32_e32 v1, 0xd0
	v_lshl_add_u32 v2, v11, 2, v1
	ds_write_b32 v2, v6
	s_and_b64 exec, exec, s[8:9]
	s_cbranch_execz .LBB120_146
; %bb.145:
	v_lshl_add_u32 v1, v0, 2, v1
	ds_write_b32 v1, v13
.LBB120_146:
	s_or_b64 exec, exec, s[0:1]
	v_cmp_gt_u32_e32 vcc, 64, v0
	v_or_b32_e32 v1, 64, v0
	s_waitcnt lgkmcnt(0)
	s_barrier
	s_and_saveexec_b64 s[2:3], vcc
	s_cbranch_execz .LBB120_150
; %bb.147:
	v_mov_b32_e32 v2, 0xd0
	v_lshl_add_u32 v2, v0, 2, v2
	ds_read_b32 v0, v2
	s_movk_i32 s0, 0x60
	v_cmp_gt_u32_e64 s[0:1], s0, v1
	s_and_saveexec_b64 s[6:7], s[0:1]
	s_cbranch_execz .LBB120_149
; %bb.148:
	ds_read_b32 v2, v2 offset:256
	s_waitcnt lgkmcnt(0)
	v_add_f32_e32 v13, v13, v2
.LBB120_149:
	s_or_b64 exec, exec, s[6:7]
	s_waitcnt lgkmcnt(0)
	v_add_f32_e32 v6, v6, v0
.LBB120_150:
	s_or_b64 exec, exec, s[2:3]
	s_barrier
	s_and_saveexec_b64 s[0:1], vcc
	s_cbranch_execz .LBB120_161
; %bb.151:
	s_mov_b32 s0, 0x7f800000
	v_and_b32_e32 v0, 0x7f800000, v6
	v_cmp_ne_u32_e32 vcc, s0, v0
                                        ; implicit-def: $vgpr0
	s_and_saveexec_b64 s[0:1], vcc
	s_xor_b64 s[0:1], exec, s[0:1]
; %bb.152:
	v_bfe_u32 v0, v6, 16, 1
	s_movk_i32 s2, 0x7fff
	v_add3_u32 v0, v6, v0, s2
                                        ; implicit-def: $vgpr6
; %bb.153:
	s_andn2_saveexec_b64 s[0:1], s[0:1]
; %bb.154:
	v_mov_b32_e32 v0, 0
	v_or_b32_e32 v2, 0x10000, v6
	v_cmp_eq_u32_sdwa vcc, v6, v0 src0_sel:WORD_0 src1_sel:DWORD
	s_nop 1
	v_cndmask_b32_e32 v0, v2, v6, vcc
; %bb.155:
	s_or_b64 exec, exec, s[0:1]
	s_mul_i32 s0, s16, s17
	s_mul_i32 s0, s0, s5
	s_mulk_i32 s0, 0x60
	s_ashr_i32 s1, s0, 31
	s_lshl_b64 s[0:1], s[0:1], 1
	s_add_u32 s3, s20, s0
	s_mul_i32 s0, s17, s18
	s_addc_u32 s5, s21, s1
	s_ashr_i32 s1, s0, 31
	s_lshl_b64 s[0:1], s[0:1], 1
	s_add_u32 s3, s3, s0
	s_mul_i32 s0, s4, 0x60
	s_addc_u32 s5, s5, s1
	s_ashr_i32 s1, s0, 31
	s_lshl_b64 s[0:1], s[0:1], 1
	s_movk_i32 s2, 0x60
	s_add_u32 s0, s3, s0
	s_addc_u32 s1, s5, s1
	v_cmp_gt_u32_e32 vcc, s2, v1
	global_store_short_d16_hi v10, v0, s[0:1]
	s_and_b64 exec, exec, vcc
	s_cbranch_execz .LBB120_161
; %bb.156:
	s_mov_b32 s2, 0x7f800000
	v_and_b32_e32 v0, 0x7f800000, v13
	v_mov_b32_e32 v11, 0
	v_cmp_ne_u32_e32 vcc, s2, v0
                                        ; implicit-def: $vgpr2
	s_and_saveexec_b64 s[2:3], vcc
	s_xor_b64 s[2:3], exec, s[2:3]
; %bb.157:
	v_bfe_u32 v0, v13, 16, 1
	s_movk_i32 s4, 0x7fff
	v_add3_u32 v2, v13, v0, s4
                                        ; implicit-def: $vgpr13
; %bb.158:
	s_or_saveexec_b64 s[2:3], s[2:3]
	v_lshl_add_u64 v[0:1], s[0:1], 0, v[10:11]
	s_xor_b64 exec, exec, s[2:3]
; %bb.159:
	v_mov_b32_e32 v2, 0
	v_or_b32_e32 v3, 0x10000, v13
	v_cmp_eq_u32_sdwa vcc, v13, v2 src0_sel:WORD_0 src1_sel:DWORD
	s_nop 1
	v_cndmask_b32_e32 v2, v3, v13, vcc
; %bb.160:
	s_or_b64 exec, exec, s[2:3]
	global_store_short_d16_hi v[0:1], v2, off offset:128
.LBB120_161:
	s_endpgm
	.section	.rodata,"a",@progbits
	.p2align	6, 0x0
	.amdhsa_kernel _ZN4vllm25paged_attention_v1_kernelI14__hip_bfloat16S1_Li96ELi8ELi128ELNS_18Fp8KVCacheDataTypeE0ELb0EEEvPT_PKS3_PKT0_S9_ifPKiSB_iPKfiiiSD_SD_iiiii
		.amdhsa_group_segment_fixed_size 208
		.amdhsa_private_segment_fixed_size 0
		.amdhsa_kernarg_size 384
		.amdhsa_user_sgpr_count 2
		.amdhsa_user_sgpr_dispatch_ptr 0
		.amdhsa_user_sgpr_queue_ptr 0
		.amdhsa_user_sgpr_kernarg_segment_ptr 1
		.amdhsa_user_sgpr_dispatch_id 0
		.amdhsa_user_sgpr_kernarg_preload_length 0
		.amdhsa_user_sgpr_kernarg_preload_offset 0
		.amdhsa_user_sgpr_private_segment_size 0
		.amdhsa_uses_dynamic_stack 0
		.amdhsa_enable_private_segment 0
		.amdhsa_system_sgpr_workgroup_id_x 1
		.amdhsa_system_sgpr_workgroup_id_y 1
		.amdhsa_system_sgpr_workgroup_id_z 1
		.amdhsa_system_sgpr_workgroup_info 0
		.amdhsa_system_vgpr_workitem_id 0
		.amdhsa_next_free_vgpr 43
		.amdhsa_next_free_sgpr 36
		.amdhsa_accum_offset 44
		.amdhsa_reserve_vcc 1
		.amdhsa_float_round_mode_32 0
		.amdhsa_float_round_mode_16_64 0
		.amdhsa_float_denorm_mode_32 3
		.amdhsa_float_denorm_mode_16_64 3
		.amdhsa_dx10_clamp 1
		.amdhsa_ieee_mode 1
		.amdhsa_fp16_overflow 0
		.amdhsa_tg_split 0
		.amdhsa_exception_fp_ieee_invalid_op 0
		.amdhsa_exception_fp_denorm_src 0
		.amdhsa_exception_fp_ieee_div_zero 0
		.amdhsa_exception_fp_ieee_overflow 0
		.amdhsa_exception_fp_ieee_underflow 0
		.amdhsa_exception_fp_ieee_inexact 0
		.amdhsa_exception_int_div_zero 0
	.end_amdhsa_kernel
	.section	.text._ZN4vllm25paged_attention_v1_kernelI14__hip_bfloat16S1_Li96ELi8ELi128ELNS_18Fp8KVCacheDataTypeE0ELb0EEEvPT_PKS3_PKT0_S9_ifPKiSB_iPKfiiiSD_SD_iiiii,"axG",@progbits,_ZN4vllm25paged_attention_v1_kernelI14__hip_bfloat16S1_Li96ELi8ELi128ELNS_18Fp8KVCacheDataTypeE0ELb0EEEvPT_PKS3_PKT0_S9_ifPKiSB_iPKfiiiSD_SD_iiiii,comdat
.Lfunc_end120:
	.size	_ZN4vllm25paged_attention_v1_kernelI14__hip_bfloat16S1_Li96ELi8ELi128ELNS_18Fp8KVCacheDataTypeE0ELb0EEEvPT_PKS3_PKT0_S9_ifPKiSB_iPKfiiiSD_SD_iiiii, .Lfunc_end120-_ZN4vllm25paged_attention_v1_kernelI14__hip_bfloat16S1_Li96ELi8ELi128ELNS_18Fp8KVCacheDataTypeE0ELb0EEEvPT_PKS3_PKT0_S9_ifPKiSB_iPKfiiiSD_SD_iiiii
                                        ; -- End function
	.section	.AMDGPU.csdata,"",@progbits
; Kernel info:
; codeLenInByte = 6212
; NumSgprs: 42
; NumVgprs: 43
; NumAgprs: 0
; TotalNumVgprs: 43
; ScratchSize: 0
; MemoryBound: 0
; FloatMode: 240
; IeeeMode: 1
; LDSByteSize: 208 bytes/workgroup (compile time only)
; SGPRBlocks: 5
; VGPRBlocks: 5
; NumSGPRsForWavesPerEU: 42
; NumVGPRsForWavesPerEU: 43
; AccumOffset: 44
; Occupancy: 8
; WaveLimiterHint : 1
; COMPUTE_PGM_RSRC2:SCRATCH_EN: 0
; COMPUTE_PGM_RSRC2:USER_SGPR: 2
; COMPUTE_PGM_RSRC2:TRAP_HANDLER: 0
; COMPUTE_PGM_RSRC2:TGID_X_EN: 1
; COMPUTE_PGM_RSRC2:TGID_Y_EN: 1
; COMPUTE_PGM_RSRC2:TGID_Z_EN: 1
; COMPUTE_PGM_RSRC2:TIDIG_COMP_CNT: 0
; COMPUTE_PGM_RSRC3_GFX90A:ACCUM_OFFSET: 10
; COMPUTE_PGM_RSRC3_GFX90A:TG_SPLIT: 0
	.section	.text._ZN4vllm25paged_attention_v1_kernelI14__hip_bfloat16S1_Li112ELi8ELi128ELNS_18Fp8KVCacheDataTypeE0ELb0EEEvPT_PKS3_PKT0_S9_ifPKiSB_iPKfiiiSD_SD_iiiii,"axG",@progbits,_ZN4vllm25paged_attention_v1_kernelI14__hip_bfloat16S1_Li112ELi8ELi128ELNS_18Fp8KVCacheDataTypeE0ELb0EEEvPT_PKS3_PKT0_S9_ifPKiSB_iPKfiiiSD_SD_iiiii,comdat
	.protected	_ZN4vllm25paged_attention_v1_kernelI14__hip_bfloat16S1_Li112ELi8ELi128ELNS_18Fp8KVCacheDataTypeE0ELb0EEEvPT_PKS3_PKT0_S9_ifPKiSB_iPKfiiiSD_SD_iiiii ; -- Begin function _ZN4vllm25paged_attention_v1_kernelI14__hip_bfloat16S1_Li112ELi8ELi128ELNS_18Fp8KVCacheDataTypeE0ELb0EEEvPT_PKS3_PKT0_S9_ifPKiSB_iPKfiiiSD_SD_iiiii
	.globl	_ZN4vllm25paged_attention_v1_kernelI14__hip_bfloat16S1_Li112ELi8ELi128ELNS_18Fp8KVCacheDataTypeE0ELb0EEEvPT_PKS3_PKT0_S9_ifPKiSB_iPKfiiiSD_SD_iiiii
	.p2align	8
	.type	_ZN4vllm25paged_attention_v1_kernelI14__hip_bfloat16S1_Li112ELi8ELi128ELNS_18Fp8KVCacheDataTypeE0ELb0EEEvPT_PKS3_PKT0_S9_ifPKiSB_iPKfiiiSD_SD_iiiii,@function
_ZN4vllm25paged_attention_v1_kernelI14__hip_bfloat16S1_Li112ELi8ELi128ELNS_18Fp8KVCacheDataTypeE0ELb0EEEvPT_PKS3_PKT0_S9_ifPKiSB_iPKfiiiSD_SD_iiiii: ; @_ZN4vllm25paged_attention_v1_kernelI14__hip_bfloat16S1_Li112ELi8ELi128ELNS_18Fp8KVCacheDataTypeE0ELb0EEEvPT_PKS3_PKT0_S9_ifPKiSB_iPKfiiiSD_SD_iiiii
; %bb.0:
	s_load_dword s5, s[0:1], 0x80
	s_load_dwordx2 s[6:7], s[0:1], 0x30
	s_load_dwordx2 s[10:11], s[0:1], 0x20
	s_mov_b32 s16, s3
	s_ashr_i32 s17, s3, 31
	s_lshl_b64 s[8:9], s[16:17], 2
	s_waitcnt lgkmcnt(0)
	s_add_u32 s6, s6, s8
	s_addc_u32 s7, s7, s9
	s_abs_i32 s3, s10
	v_cvt_f32_u32_e32 v1, s3
	s_xor_b32 s8, s5, s10
	s_sub_i32 s10, 0, s3
	s_abs_i32 s9, s5
	v_rcp_iflag_f32_e32 v1, v1
	s_ashr_i32 s8, s8, 31
	v_mul_f32_e32 v1, 0x4f7ffffe, v1
	v_cvt_u32_f32_e32 v1, v1
	s_nop 0
	v_readfirstlane_b32 s12, v1
	s_mul_i32 s10, s10, s12
	s_mul_hi_u32 s10, s12, s10
	s_add_i32 s12, s12, s10
	s_mul_hi_u32 s10, s9, s12
	s_mul_i32 s12, s10, s3
	s_sub_i32 s9, s9, s12
	s_add_i32 s12, s10, 1
	s_sub_i32 s13, s9, s3
	s_cmp_ge_u32 s9, s3
	s_cselect_b32 s10, s12, s10
	s_cselect_b32 s9, s13, s9
	s_add_i32 s12, s10, 1
	s_cmp_ge_u32 s9, s3
	s_cselect_b32 s3, s12, s10
	s_xor_b32 s3, s3, s8
	s_sub_i32 s12, s3, s8
	s_abs_i32 s17, s12
	v_cvt_f32_u32_e32 v1, s17
	s_load_dwordx2 s[8:9], s[0:1], 0x40
	s_sub_i32 s3, 0, s17
	s_abs_i32 s20, s2
	v_rcp_iflag_f32_e32 v1, v1
	s_mov_b32 s10, 0
	v_mul_f32_e32 v1, 0x4f7ffffe, v1
	v_cvt_u32_f32_e32 v1, v1
	s_nop 0
	v_readfirstlane_b32 s13, v1
	s_mul_i32 s3, s3, s13
	s_mul_hi_u32 s3, s13, s3
	s_add_i32 s13, s13, s3
	s_waitcnt lgkmcnt(0)
	s_cmp_eq_u64 s[8:9], 0
	s_mul_hi_u32 s21, s20, s13
	s_cbranch_scc1 .LBB121_2
; %bb.1:
	s_ashr_i32 s3, s2, 31
	s_lshl_b64 s[14:15], s[2:3], 2
	s_add_u32 s8, s8, s14
	s_addc_u32 s9, s9, s15
	s_load_dword s10, s[8:9], 0x0
.LBB121_2:
	s_load_dword s33, s[6:7], 0x0
	s_ashr_i32 s7, s12, 31
	s_load_dwordx4 s[12:15], s[0:1], 0x48
	s_movk_i32 s3, 0x70
	s_ashr_i32 s6, s2, 31
	v_and_b32_e32 v4, 7, v0
	s_mul_i32 s18, s2, 0x70
	v_cmp_gt_u32_e64 s[8:9], s3, v0
	v_lshlrev_b32_e32 v10, 1, v0
	s_and_saveexec_b64 s[2:3], s[8:9]
	s_cbranch_execz .LBB121_4
; %bb.3:
	s_load_dwordx2 s[22:23], s[0:1], 0x8
	s_waitcnt lgkmcnt(0)
	s_mul_i32 s24, s16, s12
	s_ashr_i32 s25, s24, 31
	s_lshl_b64 s[24:25], s[24:25], 1
	v_lshrrev_b32_e32 v2, 2, v0
	s_add_u32 s12, s22, s24
	s_addc_u32 s15, s23, s25
	s_ashr_i32 s19, s18, 31
	s_lshl_b64 s[22:23], s[18:19], 1
	s_add_u32 s22, s12, s22
	s_addc_u32 s23, s15, s23
	global_load_ushort v1, v10, s[22:23]
	v_and_b32_e32 v2, 0xfe, v2
	v_mad_u32_u24 v2, v4, 28, v2
	s_waitcnt vmcnt(0)
	ds_write_b16 v2, v1
.LBB121_4:
	s_or_b64 exec, exec, s[2:3]
	s_waitcnt lgkmcnt(0)
	s_add_i32 s3, s33, 7
	s_ashr_i32 s12, s3, 31
	s_lshr_b32 s12, s12, 29
	s_add_i32 s3, s3, s12
	s_ashr_i32 s19, s3, 3
	s_xor_b32 s3, s6, s7
	s_mul_i32 s6, s21, s17
	s_sub_i32 s6, s20, s6
	s_add_i32 s7, s21, 1
	s_sub_i32 s12, s6, s17
	s_load_dwordx2 s[22:23], s[0:1], 0x28
	s_load_dword s2, s[0:1], 0x38
	s_cmp_ge_u32 s6, s17
	s_cselect_b32 s7, s7, s21
	s_cselect_b32 s6, s12, s6
	s_add_i32 s12, s7, 1
	s_cmp_ge_u32 s6, s17
	s_cselect_b32 s6, s12, s7
	v_lshrrev_b32_e32 v1, 6, v0
	s_xor_b32 s6, s6, s3
	s_waitcnt lgkmcnt(0)
	s_mul_i32 s24, s16, s2
	s_sub_i32 s12, s6, s3
	s_ashr_i32 s25, s24, 31
	v_cmp_gt_i32_e64 s[2:3], s19, v1
	v_cmp_le_i32_e32 vcc, s19, v1
	v_mbcnt_lo_u32_b32 v5, -1, 0
	s_barrier
	s_waitcnt lgkmcnt(0)
                                        ; implicit-def: $sgpr15
                                        ; implicit-def: $vgpr6
                                        ; implicit-def: $vgpr8
	s_and_saveexec_b64 s[6:7], vcc
	s_xor_b64 s[6:7], exec, s[6:7]
; %bb.5:
	v_mbcnt_hi_u32_b32 v6, -1, v5
	v_and_b32_e32 v2, 64, v6
	v_add_u32_e32 v8, 64, v2
	s_mov_b32 s15, 0xff7fffff
                                        ; implicit-def: $vgpr4
                                        ; implicit-def: $vgpr5
; %bb.6:
	s_or_saveexec_b64 s[28:29], s[6:7]
	s_load_dwordx2 s[20:21], s[0:1], 0x0
	s_load_dwordx2 s[26:27], s[0:1], 0x18
	s_load_dword s17, s[0:1], 0x88
	v_mov_b32_e32 v24, s15
	s_mul_i32 s14, s12, s14
	v_lshrrev_b32_e32 v7, 4, v0
	s_xor_b64 exec, exec, s[28:29]
	s_cbranch_execz .LBB121_12
; %bb.7:
	v_mul_u32_u24_e32 v6, 28, v4
	ds_read2_b32 v[12:13], v6 offset1:1
	ds_read2_b32 v[16:17], v6 offset0:2 offset1:3
	ds_read2_b32 v[20:21], v6 offset0:4 offset1:5
	ds_read_b32 v6, v6 offset:24
	s_load_dwordx2 s[0:1], s[0:1], 0x10
	s_ashr_i32 s15, s14, 31
	s_lshl_b64 s[6:7], s[14:15], 1
	v_bfe_u32 v24, v0, 3, 3
	s_waitcnt lgkmcnt(0)
	v_lshlrev_b32_e32 v22, 16, v6
	v_and_b32_e32 v23, 0xffff0000, v6
	v_mbcnt_hi_u32_b32 v6, -1, v5
	v_and_b32_e32 v5, 64, v6
	v_add_u32_e32 v8, 64, v5
	v_xor_b32_e32 v5, 4, v6
	v_cmp_lt_i32_e32 vcc, v5, v8
	s_add_u32 s0, s0, s6
	s_addc_u32 s1, s1, s7
	v_cndmask_b32_e32 v5, v6, v5, vcc
	v_lshlrev_b32_e32 v25, 2, v5
	v_xor_b32_e32 v5, 2, v6
	v_cmp_lt_i32_e32 vcc, v5, v8
	v_lshlrev_b32_e32 v30, 4, v24
	v_mov_b32_e32 v31, 0
	v_cndmask_b32_e32 v5, v6, v5, vcc
	v_lshlrev_b32_e32 v26, 2, v5
	v_xor_b32_e32 v5, 1, v6
	v_cmp_lt_i32_e32 vcc, v5, v8
	s_sub_i32 s15, 1, s33
	s_lshl_b64 s[6:7], s[24:25], 2
	v_lshl_add_u64 v[2:3], s[0:1], 0, v[30:31]
	v_lshlrev_b32_e32 v30, 1, v4
	v_cndmask_b32_e32 v5, v6, v5, vcc
	v_cmp_eq_u32_e32 vcc, 0, v4
	v_lshlrev_b32_e32 v4, 2, v24
	s_add_u32 s6, s22, s6
	v_lshl_add_u64 v[2:3], v[2:3], 0, v[30:31]
	v_lshl_or_b32 v4, v1, 5, v4
	v_and_b32_e32 v30, 60, v7
	s_addc_u32 s7, s23, s7
	s_mov_b32 s12, s13
	v_lshlrev_b32_e32 v9, 16, v12
	v_and_b32_e32 v11, 0xffff0000, v12
	v_lshlrev_b32_e32 v12, 16, v13
	v_and_b32_e32 v13, 0xffff0000, v13
	;; [unrolled: 2-line block ×6, first 2 shown]
	v_lshlrev_b32_e32 v27, 2, v5
	v_cmp_neq_f32_e64 s[0:1], s10, 0
	v_lshl_or_b32 v28, v1, 3, v24
	v_add_u32_e32 v29, 0xf0, v4
	v_lshl_add_u64 v[4:5], s[6:7], 0, v[30:31]
	s_mov_b64 s[30:31], 0
	v_mov_b32_e32 v24, 0xff7fffff
	v_mov_b32_e32 v30, v1
	s_branch .LBB121_9
.LBB121_8:                              ;   in Loop: Header=BB121_9 Depth=1
	s_or_b64 exec, exec, s[34:35]
	v_add_u32_e32 v30, 2, v30
	v_cmp_le_i32_e64 s[6:7], s19, v30
	v_add_u32_e32 v28, 16, v28
	v_add_u32_e32 v29, 64, v29
	s_or_b64 s[30:31], s[6:7], s[30:31]
	v_lshl_add_u64 v[4:5], v[4:5], 0, 8
	s_andn2_b64 exec, exec, s[30:31]
	s_cbranch_execz .LBB121_11
.LBB121_9:                              ; =>This Inner Loop Header: Depth=1
	global_load_dword v31, v[4:5], off
	s_waitcnt vmcnt(0) lgkmcnt(0)
	v_mad_i64_i32 v[32:33], s[6:7], v31, s12, 0
	v_lshl_add_u64 v[32:33], v[32:33], 1, v[2:3]
	global_load_ushort v31, v[32:33], off
	global_load_ushort v34, v[32:33], off offset:128
	global_load_ushort v35, v[32:33], off offset:256
	;; [unrolled: 1-line block ×13, first 2 shown]
	s_waitcnt vmcnt(13)
	v_lshlrev_b32_e32 v31, 16, v31
	s_waitcnt vmcnt(12)
	v_lshlrev_b32_e32 v32, 16, v34
	v_mul_f32_e32 v32, v11, v32
	s_waitcnt vmcnt(11)
	v_lshlrev_b32_e32 v33, 16, v35
	v_fmac_f32_e32 v32, v9, v31
	s_waitcnt vmcnt(10)
	v_lshlrev_b32_e32 v34, 16, v36
	v_fmac_f32_e32 v32, v12, v33
	;; [unrolled: 3-line block ×11, first 2 shown]
	v_fmac_f32_e32 v32, v22, v43
	s_waitcnt vmcnt(0)
	v_lshlrev_b32_e32 v31, 16, v46
	v_fmac_f32_e32 v32, v23, v31
	ds_bpermute_b32 v31, v25, v32
	s_waitcnt lgkmcnt(0)
	v_add_f32_e32 v31, v32, v31
	ds_bpermute_b32 v32, v26, v31
	s_waitcnt lgkmcnt(0)
	v_add_f32_e32 v31, v31, v32
	ds_bpermute_b32 v32, v27, v31
	s_and_saveexec_b64 s[34:35], vcc
	s_cbranch_execz .LBB121_8
; %bb.10:                               ;   in Loop: Header=BB121_9 Depth=1
	v_add_u32_e32 v33, s15, v28
	v_cvt_f32_i32_e32 v33, v33
	s_waitcnt lgkmcnt(0)
	v_add_f32_e32 v31, v31, v32
	v_cmp_gt_i32_e64 s[6:7], s33, v28
	v_max_f32_e32 v32, v24, v24
	v_mul_f32_e32 v33, s10, v33
	v_cndmask_b32_e64 v33, 0, v33, s[0:1]
	v_fmac_f32_e32 v33, s11, v31
	v_cndmask_b32_e64 v31, 0, v33, s[6:7]
	ds_write_b32 v29, v31
	v_max_f32_e32 v31, v32, v33
	v_cndmask_b32_e64 v24, v24, v31, s[6:7]
	s_branch .LBB121_8
.LBB121_11:
	s_or_b64 exec, exec, s[30:31]
.LBB121_12:
	s_or_b64 exec, exec, s[28:29]
	v_xor_b32_e32 v2, 32, v6
	v_cmp_lt_i32_e32 vcc, v2, v8
	v_xor_b32_e32 v5, 16, v6
	v_max_f32_e32 v4, v24, v24
	v_cndmask_b32_e32 v2, v6, v2, vcc
	v_lshlrev_b32_e32 v3, 2, v2
	ds_bpermute_b32 v2, v3, v24
	v_cmp_lt_i32_e32 vcc, v5, v8
	v_xor_b32_e32 v9, 8, v6
	v_and_b32_e32 v11, 63, v0
	s_waitcnt lgkmcnt(0)
	v_max_f32_e32 v2, v2, v2
	v_max_f32_e32 v2, v4, v2
	v_cndmask_b32_e32 v4, v6, v5, vcc
	v_lshlrev_b32_e32 v5, 2, v4
	ds_bpermute_b32 v4, v5, v2
	v_cmp_lt_i32_e32 vcc, v9, v8
	s_waitcnt lgkmcnt(0)
	v_max_f32_e32 v4, v4, v4
	v_max_f32_e32 v4, v2, v4
	v_cndmask_b32_e32 v2, v6, v9, vcc
	v_lshlrev_b32_e32 v12, 2, v2
	ds_bpermute_b32 v9, v12, v4
	v_cmp_eq_u32_e32 vcc, 0, v11
	v_lshlrev_b32_e32 v2, 2, v1
	s_and_saveexec_b64 s[0:1], vcc
	s_cbranch_execz .LBB121_14
; %bb.13:
	s_waitcnt lgkmcnt(0)
	v_max_f32_e32 v9, v9, v9
	v_max_f32_e32 v4, v4, v4
	;; [unrolled: 1-line block ×3, first 2 shown]
	ds_write_b32 v2, v4 offset:224
.LBB121_14:
	s_or_b64 exec, exec, s[0:1]
	v_cmp_gt_u32_e64 s[0:1], 2, v11
	v_mov_b32_e32 v13, 0xff7fffff
	v_lshlrev_b32_e32 v4, 2, v11
	s_waitcnt lgkmcnt(0)
	s_barrier
	s_and_saveexec_b64 s[6:7], s[0:1]
	s_cbranch_execz .LBB121_16
; %bb.15:
	ds_read_b32 v13, v4 offset:224
.LBB121_16:
	s_or_b64 exec, exec, s[6:7]
	v_xor_b32_e32 v9, 1, v6
	v_cmp_lt_i32_e64 s[6:7], v9, v8
	v_lshlrev_b32_e32 v15, 2, v6
	s_nop 0
	v_cndmask_b32_e64 v9, v6, v9, s[6:7]
	v_lshlrev_b32_e32 v9, 2, v9
	s_waitcnt lgkmcnt(0)
	ds_bpermute_b32 v14, v9, v13
	v_max_f32_e32 v13, v13, v13
	s_lshl_b32 s6, s19, 3
	s_min_i32 s12, s6, s33
	v_cmp_gt_i32_e64 s[6:7], s12, v0
	s_waitcnt lgkmcnt(0)
	v_max_f32_e32 v14, v14, v14
	v_max_f32_e32 v14, v13, v14
	v_and_b32_e32 v13, 0xffffff00, v15
	ds_bpermute_b32 v15, v13, v14
	v_mov_b32_e32 v14, 0
	s_and_saveexec_b64 s[28:29], s[6:7]
	s_cbranch_execz .LBB121_20
; %bb.17:
	v_mov_b32_e32 v14, 0xf0
	v_lshl_add_u32 v16, v0, 2, v14
	s_mov_b64 s[30:31], 0
	v_mov_b32_e32 v14, 0
	v_mov_b32_e32 v17, v0
.LBB121_18:                             ; =>This Inner Loop Header: Depth=1
	ds_read_b32 v18, v16
	v_add_u32_e32 v17, 0x80, v17
	v_cmp_le_i32_e64 s[10:11], s12, v17
	s_or_b64 s[30:31], s[10:11], s[30:31]
	s_waitcnt lgkmcnt(0)
	v_sub_f32_e32 v18, v18, v15
	v_mul_f32_e32 v18, 0x3fb8aa3b, v18
	v_exp_f32_e32 v18, v18
	ds_write_b32 v16, v18
	v_add_f32_e32 v14, v14, v18
	v_add_u32_e32 v16, 0x200, v16
	s_andn2_b64 exec, exec, s[30:31]
	s_cbranch_execnz .LBB121_18
; %bb.19:
	s_or_b64 exec, exec, s[30:31]
.LBB121_20:
	s_or_b64 exec, exec, s[28:29]
	ds_bpermute_b32 v3, v3, v14
	s_waitcnt lgkmcnt(0)
	v_add_f32_e32 v3, v14, v3
	ds_bpermute_b32 v5, v5, v3
	s_waitcnt lgkmcnt(0)
	v_add_f32_e32 v3, v3, v5
	ds_bpermute_b32 v5, v12, v3
	v_xor_b32_e32 v12, 4, v6
	v_cmp_lt_i32_e64 s[10:11], v12, v8
	s_waitcnt lgkmcnt(0)
	v_add_f32_e32 v3, v3, v5
	v_cndmask_b32_e64 v12, v6, v12, s[10:11]
	v_lshlrev_b32_e32 v12, 2, v12
	ds_bpermute_b32 v5, v12, v3
	v_xor_b32_e32 v12, 2, v6
	v_cmp_lt_i32_e64 s[10:11], v12, v8
	s_waitcnt lgkmcnt(0)
	v_add_f32_e32 v3, v3, v5
	v_cndmask_b32_e64 v6, v6, v12, s[10:11]
	v_lshlrev_b32_e32 v5, 2, v6
	ds_bpermute_b32 v5, v5, v3
	s_waitcnt lgkmcnt(0)
	v_add_f32_e32 v3, v3, v5
	ds_bpermute_b32 v5, v9, v3
	s_waitcnt lgkmcnt(0)
	v_add_f32_e32 v3, v3, v5
	s_and_saveexec_b64 s[10:11], vcc
	s_cbranch_execz .LBB121_22
; %bb.21:
	ds_write_b32 v2, v3 offset:232
.LBB121_22:
	s_or_b64 exec, exec, s[10:11]
	s_waitcnt lgkmcnt(0)
	s_barrier
	s_and_saveexec_b64 s[10:11], s[0:1]
	s_cbranch_execz .LBB121_24
; %bb.23:
	ds_read_b32 v3, v4 offset:232
.LBB121_24:
	s_or_b64 exec, exec, s[10:11]
	s_waitcnt lgkmcnt(0)
	ds_bpermute_b32 v2, v9, v3
	s_waitcnt lgkmcnt(0)
	v_add_f32_e32 v2, v3, v2
	ds_bpermute_b32 v2, v13, v2
	s_and_saveexec_b64 s[0:1], s[6:7]
	s_cbranch_execz .LBB121_37
; %bb.25:
	s_waitcnt lgkmcnt(0)
	v_add_f32_e32 v2, 0x358637bd, v2
	v_div_scale_f32 v3, s[6:7], v2, v2, 1.0
	v_rcp_f32_e32 v4, v3
	v_div_scale_f32 v5, vcc, 1.0, v2, 1.0
	s_movk_i32 s6, 0x7f
	v_fma_f32 v6, -v3, v4, 1.0
	v_fmac_f32_e32 v4, v6, v4
	v_mul_f32_e32 v6, v5, v4
	v_fma_f32 v8, -v3, v6, v5
	v_fmac_f32_e32 v6, v8, v4
	v_fma_f32 v3, -v3, v6, v5
	v_div_fmas_f32 v3, v3, v4, v6
	v_xad_u32 v4, v0, -1, s12
	v_div_fixup_f32 v2, v3, v2, 1.0
	v_cmp_lt_u32_e32 vcc, s6, v4
	s_mov_b64 s[10:11], -1
	v_mov_b32_e32 v3, v0
	s_and_saveexec_b64 s[6:7], vcc
	s_cbranch_execz .LBB121_34
; %bb.26:
	v_lshrrev_b32_e32 v4, 7, v4
	v_add_u32_e32 v6, -1, v4
	v_lshrrev_b32_e32 v5, 1, v6
	v_mov_b32_e32 v3, v2
	v_add_u32_e32 v5, 1, v5
	v_cmp_lt_u32_e32 vcc, 13, v6
	v_mov_b32_e32 v9, 0
	s_and_saveexec_b64 s[10:11], vcc
	s_cbranch_execz .LBB121_30
; %bb.27:
	v_mov_b32_e32 v8, 0xf0
	v_and_b32_e32 v6, -8, v5
	v_lshl_add_u32 v8, v0, 2, v8
	s_mov_b32 s15, 0
	s_mov_b64 s[28:29], 0
.LBB121_28:                             ; =>This Inner Loop Header: Depth=1
	ds_read2st64_b32 v[12:13], v8 offset1:2
	ds_read2st64_b32 v[14:15], v8 offset0:4 offset1:6
	ds_read2st64_b32 v[16:17], v8 offset0:8 offset1:10
	;; [unrolled: 1-line block ×3, first 2 shown]
	v_add_u32_e32 v6, -8, v6
	s_waitcnt lgkmcnt(3)
	v_pk_mul_f32 v[12:13], v[2:3], v[12:13]
	s_waitcnt lgkmcnt(2)
	v_pk_mul_f32 v[14:15], v[2:3], v[14:15]
	ds_write2st64_b32 v8, v12, v13 offset1:2
	ds_write2st64_b32 v8, v14, v15 offset0:4 offset1:6
	ds_read2st64_b32 v[14:15], v8 offset0:16 offset1:18
	s_waitcnt lgkmcnt(4)
	v_pk_mul_f32 v[12:13], v[2:3], v[16:17]
	ds_write2st64_b32 v8, v12, v13 offset0:8 offset1:10
	s_waitcnt lgkmcnt(4)
	v_pk_mul_f32 v[12:13], v[2:3], v[18:19]
	ds_write2st64_b32 v8, v12, v13 offset0:12 offset1:14
	ds_read2st64_b32 v[12:13], v8 offset0:20 offset1:22
	s_waitcnt lgkmcnt(3)
	v_pk_mul_f32 v[14:15], v[2:3], v[14:15]
	ds_read2st64_b32 v[16:17], v8 offset0:24 offset1:26
	ds_write2st64_b32 v8, v14, v15 offset0:16 offset1:18
	ds_read2st64_b32 v[14:15], v8 offset0:28 offset1:30
	s_waitcnt lgkmcnt(3)
	v_pk_mul_f32 v[12:13], v[2:3], v[12:13]
	ds_write2st64_b32 v8, v12, v13 offset0:20 offset1:22
	s_waitcnt lgkmcnt(3)
	v_pk_mul_f32 v[12:13], v[2:3], v[16:17]
	ds_write2st64_b32 v8, v12, v13 offset0:24 offset1:26
	s_waitcnt lgkmcnt(2)
	v_pk_mul_f32 v[12:13], v[2:3], v[14:15]
	s_add_i32 s15, s15, 16
	v_cmp_eq_u32_e32 vcc, 0, v6
	ds_write2st64_b32 v8, v12, v13 offset0:28 offset1:30
	v_add_u32_e32 v8, 0x2000, v8
	s_or_b64 s[28:29], vcc, s[28:29]
	v_mov_b32_e32 v9, s15
	s_andn2_b64 exec, exec, s[28:29]
	s_cbranch_execnz .LBB121_28
; %bb.29:
	s_or_b64 exec, exec, s[28:29]
.LBB121_30:
	s_or_b64 exec, exec, s[10:11]
	v_and_b32_e32 v5, 7, v5
	v_cmp_ne_u32_e32 vcc, 0, v5
	s_and_saveexec_b64 s[10:11], vcc
	s_cbranch_execz .LBB121_33
; %bb.31:
	v_lshlrev_b32_e32 v6, 9, v9
	v_lshlrev_b32_e32 v8, 2, v0
	s_movk_i32 s15, 0xf0
	v_add3_u32 v6, v6, v8, s15
	s_mov_b64 s[28:29], 0
.LBB121_32:                             ; =>This Inner Loop Header: Depth=1
	ds_read2st64_b32 v[8:9], v6 offset1:2
	v_add_u32_e32 v5, -1, v5
	v_cmp_eq_u32_e32 vcc, 0, v5
	s_or_b64 s[28:29], vcc, s[28:29]
	s_waitcnt lgkmcnt(0)
	v_pk_mul_f32 v[8:9], v[2:3], v[8:9]
	ds_write2st64_b32 v6, v8, v9 offset1:2
	v_add_u32_e32 v6, 0x400, v6
	s_andn2_b64 exec, exec, s[28:29]
	s_cbranch_execnz .LBB121_32
.LBB121_33:
	s_or_b64 exec, exec, s[10:11]
	v_add_u32_e32 v4, 1, v4
	v_and_b32_e32 v5, 0x3fffffe, v4
	v_cmp_ne_u32_e32 vcc, v4, v5
	v_lshl_add_u32 v3, v5, 7, v0
	s_orn2_b64 s[10:11], vcc, exec
.LBB121_34:
	s_or_b64 exec, exec, s[6:7]
	s_and_b64 exec, exec, s[10:11]
	s_cbranch_execz .LBB121_37
; %bb.35:
	v_mov_b32_e32 v4, 0xf0
	v_lshl_add_u32 v4, v3, 2, v4
	s_mov_b64 s[6:7], 0
.LBB121_36:                             ; =>This Inner Loop Header: Depth=1
	ds_read_b32 v5, v4
	v_add_u32_e32 v3, 0x80, v3
	v_cmp_le_i32_e32 vcc, s12, v3
	s_or_b64 s[6:7], vcc, s[6:7]
	s_waitcnt lgkmcnt(0)
	v_mul_f32_e32 v5, v2, v5
	ds_write_b32 v4, v5
	v_add_u32_e32 v4, 0x200, v4
	s_andn2_b64 exec, exec, s[6:7]
	s_cbranch_execnz .LBB121_36
.LBB121_37:
	s_or_b64 exec, exec, s[0:1]
	v_mov_b32_e32 v13, 0
	v_mov_b32_e32 v6, v13
	s_waitcnt lgkmcnt(0)
	s_barrier
	s_and_saveexec_b64 s[6:7], s[2:3]
	s_cbranch_execz .LBB121_143
; %bb.38:
	s_ashr_i32 s15, s14, 31
	s_lshl_b64 s[0:1], s[14:15], 1
	s_add_u32 s10, s26, s0
	v_or_b32_e32 v3, 64, v11
	s_movk_i32 s0, 0x70
	s_addc_u32 s11, s27, s1
	s_add_i32 s26, s19, -1
	v_cmp_gt_u32_e32 vcc, s0, v3
	s_lshl_b64 s[0:1], s[24:25], 2
	s_add_u32 s0, s22, s0
	v_lshlrev_b32_e32 v2, 3, v11
	v_mov_b32_e32 v15, 0
	v_lshlrev_b32_e32 v4, 3, v3
	v_mov_b32_e32 v3, 0xf0
	v_and_b32_e32 v14, 60, v7
	s_addc_u32 s1, s23, s1
	s_mov_b32 s28, s13
	v_lshl_or_b32 v20, v1, 3, 7
	v_lshl_add_u32 v21, v1, 5, v3
	v_lshl_add_u64 v[16:17], s[0:1], 0, v[14:15]
	s_mov_b64 s[12:13], 0
	s_mov_b32 s24, 0x7f800000
	s_movk_i32 s25, 0x7fff
	v_lshlrev_b32_e32 v14, 1, v2
	v_lshlrev_b32_e32 v18, 1, v4
	v_mov_b32_e32 v12, v15
	v_mov_b32_e32 v13, v15
	s_branch .LBB121_41
.LBB121_39:                             ;   in Loop: Header=BB121_41 Depth=1
	s_or_b64 exec, exec, s[2:3]
	v_and_b32_e32 v23, 0xffff0000, v22
	v_and_b32_e32 v22, 0xffff0000, v9
	;; [unrolled: 1-line block ×6, first 2 shown]
	v_pk_add_f32 v[2:3], v[2:3], v[8:9]
	v_and_b32_e32 v5, 0xffff0000, v5
	v_and_b32_e32 v4, 0xffff0000, v4
	v_mov_b32_e32 v8, v3
	v_pk_add_f32 v[2:3], v[2:3], v[8:9]
	v_pk_add_f32 v[4:5], v[4:5], v[22:23]
	s_nop 0
	v_pk_add_f32 v[2:3], v[2:3], v[4:5]
	v_mov_b32_e32 v4, v5
	v_pk_add_f32 v[2:3], v[2:3], v[4:5]
	s_nop 0
	v_mov_b32_e32 v3, v2
	v_pk_add_f32 v[12:13], v[12:13], v[2:3]
.LBB121_40:                             ;   in Loop: Header=BB121_41 Depth=1
	s_or_b64 exec, exec, s[14:15]
	v_add_u32_e32 v1, 2, v1
	v_cmp_le_i32_e64 s[0:1], s19, v1
	v_add_u32_e32 v20, 16, v20
	v_add_u32_e32 v21, 64, v21
	v_lshl_add_u64 v[16:17], v[16:17], 0, 8
	s_or_b64 s[12:13], s[0:1], s[12:13]
	v_mov_b32_e32 v12, v6
	s_andn2_b64 exec, exec, s[12:13]
	s_cbranch_execz .LBB121_142
.LBB121_41:                             ; =>This Inner Loop Header: Depth=1
	global_load_dword v22, v[16:17], off
	ds_read2_b64 v[6:9], v21 offset1:1
	ds_read2_b64 v[2:5], v21 offset0:2 offset1:3
                                        ; implicit-def: $vgpr23
	s_waitcnt lgkmcnt(1)
	v_and_b32_e32 v19, 0x7f800000, v6
	v_cmp_ne_u32_e64 s[0:1], s24, v19
	s_and_saveexec_b64 s[2:3], s[0:1]
	s_xor_b64 s[0:1], exec, s[2:3]
; %bb.42:                               ;   in Loop: Header=BB121_41 Depth=1
	v_bfe_u32 v19, v6, 16, 1
	v_add3_u32 v23, v6, v19, s25
; %bb.43:                               ;   in Loop: Header=BB121_41 Depth=1
	s_andn2_saveexec_b64 s[2:3], s[0:1]
; %bb.44:                               ;   in Loop: Header=BB121_41 Depth=1
	v_or_b32_e32 v19, 0x10000, v6
	v_cmp_eq_u32_sdwa s[0:1], v6, v15 src0_sel:WORD_0 src1_sel:DWORD
	s_nop 1
	v_cndmask_b32_e64 v23, v19, v6, s[0:1]
; %bb.45:                               ;   in Loop: Header=BB121_41 Depth=1
	s_or_b64 exec, exec, s[2:3]
	v_and_b32_e32 v6, 0x7f800000, v7
	v_cmp_ne_u32_e64 s[0:1], s24, v6
                                        ; implicit-def: $vgpr24
	s_and_saveexec_b64 s[2:3], s[0:1]
	s_xor_b64 s[0:1], exec, s[2:3]
; %bb.46:                               ;   in Loop: Header=BB121_41 Depth=1
	v_bfe_u32 v6, v7, 16, 1
	v_add3_u32 v24, v7, v6, s25
; %bb.47:                               ;   in Loop: Header=BB121_41 Depth=1
	s_andn2_saveexec_b64 s[2:3], s[0:1]
; %bb.48:                               ;   in Loop: Header=BB121_41 Depth=1
	v_or_b32_e32 v6, 0x10000, v7
	v_cmp_eq_u32_sdwa s[0:1], v7, v15 src0_sel:WORD_0 src1_sel:DWORD
	s_nop 1
	v_cndmask_b32_e64 v24, v6, v7, s[0:1]
; %bb.49:                               ;   in Loop: Header=BB121_41 Depth=1
	s_or_b64 exec, exec, s[2:3]
	v_and_b32_e32 v6, 0x7f800000, v8
	v_cmp_ne_u32_e64 s[0:1], s24, v6
                                        ; implicit-def: $vgpr25
	s_and_saveexec_b64 s[2:3], s[0:1]
	s_xor_b64 s[0:1], exec, s[2:3]
; %bb.50:                               ;   in Loop: Header=BB121_41 Depth=1
	v_bfe_u32 v6, v8, 16, 1
	v_add3_u32 v25, v8, v6, s25
; %bb.51:                               ;   in Loop: Header=BB121_41 Depth=1
	s_andn2_saveexec_b64 s[2:3], s[0:1]
; %bb.52:                               ;   in Loop: Header=BB121_41 Depth=1
	v_or_b32_e32 v6, 0x10000, v8
	v_cmp_eq_u32_sdwa s[0:1], v8, v15 src0_sel:WORD_0 src1_sel:DWORD
	s_nop 1
	v_cndmask_b32_e64 v25, v6, v8, s[0:1]
; %bb.53:                               ;   in Loop: Header=BB121_41 Depth=1
	s_or_b64 exec, exec, s[2:3]
	v_and_b32_e32 v6, 0x7f800000, v9
	v_cmp_ne_u32_e64 s[0:1], s24, v6
                                        ; implicit-def: $vgpr26
	s_and_saveexec_b64 s[2:3], s[0:1]
	s_xor_b64 s[0:1], exec, s[2:3]
; %bb.54:                               ;   in Loop: Header=BB121_41 Depth=1
	v_bfe_u32 v6, v9, 16, 1
	v_add3_u32 v26, v9, v6, s25
                                        ; implicit-def: $vgpr6_vgpr7_vgpr8_vgpr9
; %bb.55:                               ;   in Loop: Header=BB121_41 Depth=1
	s_andn2_saveexec_b64 s[2:3], s[0:1]
; %bb.56:                               ;   in Loop: Header=BB121_41 Depth=1
	v_or_b32_e32 v6, 0x10000, v9
	v_cmp_eq_u32_sdwa s[0:1], v9, v15 src0_sel:WORD_0 src1_sel:DWORD
	s_nop 1
	v_cndmask_b32_e64 v26, v6, v9, s[0:1]
; %bb.57:                               ;   in Loop: Header=BB121_41 Depth=1
	s_or_b64 exec, exec, s[2:3]
	s_waitcnt lgkmcnt(0)
	v_and_b32_e32 v6, 0x7f800000, v2
	v_cmp_ne_u32_e64 s[0:1], s24, v6
                                        ; implicit-def: $vgpr27
	s_and_saveexec_b64 s[2:3], s[0:1]
	s_xor_b64 s[0:1], exec, s[2:3]
; %bb.58:                               ;   in Loop: Header=BB121_41 Depth=1
	v_bfe_u32 v6, v2, 16, 1
	v_add3_u32 v27, v2, v6, s25
; %bb.59:                               ;   in Loop: Header=BB121_41 Depth=1
	s_andn2_saveexec_b64 s[2:3], s[0:1]
; %bb.60:                               ;   in Loop: Header=BB121_41 Depth=1
	v_or_b32_e32 v6, 0x10000, v2
	v_cmp_eq_u32_sdwa s[0:1], v2, v15 src0_sel:WORD_0 src1_sel:DWORD
	s_nop 1
	v_cndmask_b32_e64 v27, v6, v2, s[0:1]
; %bb.61:                               ;   in Loop: Header=BB121_41 Depth=1
	s_or_b64 exec, exec, s[2:3]
	v_and_b32_e32 v2, 0x7f800000, v3
	v_cmp_ne_u32_e64 s[0:1], s24, v2
                                        ; implicit-def: $vgpr19
	s_and_saveexec_b64 s[2:3], s[0:1]
	s_xor_b64 s[0:1], exec, s[2:3]
; %bb.62:                               ;   in Loop: Header=BB121_41 Depth=1
	v_bfe_u32 v2, v3, 16, 1
	v_add3_u32 v19, v3, v2, s25
; %bb.63:                               ;   in Loop: Header=BB121_41 Depth=1
	s_andn2_saveexec_b64 s[2:3], s[0:1]
; %bb.64:                               ;   in Loop: Header=BB121_41 Depth=1
	v_or_b32_e32 v2, 0x10000, v3
	v_cmp_eq_u32_sdwa s[0:1], v3, v15 src0_sel:WORD_0 src1_sel:DWORD
	s_nop 1
	v_cndmask_b32_e64 v19, v2, v3, s[0:1]
; %bb.65:                               ;   in Loop: Header=BB121_41 Depth=1
	s_or_b64 exec, exec, s[2:3]
	v_and_b32_e32 v2, 0x7f800000, v4
	v_cmp_ne_u32_e64 s[0:1], s24, v2
                                        ; implicit-def: $vgpr7
	s_and_saveexec_b64 s[2:3], s[0:1]
	s_xor_b64 s[0:1], exec, s[2:3]
; %bb.66:                               ;   in Loop: Header=BB121_41 Depth=1
	v_bfe_u32 v2, v4, 16, 1
	v_add3_u32 v7, v4, v2, s25
; %bb.67:                               ;   in Loop: Header=BB121_41 Depth=1
	s_andn2_saveexec_b64 s[2:3], s[0:1]
; %bb.68:                               ;   in Loop: Header=BB121_41 Depth=1
	v_or_b32_e32 v2, 0x10000, v4
	v_cmp_eq_u32_sdwa s[0:1], v4, v15 src0_sel:WORD_0 src1_sel:DWORD
	s_nop 1
	v_cndmask_b32_e64 v7, v2, v4, s[0:1]
; %bb.69:                               ;   in Loop: Header=BB121_41 Depth=1
	s_or_b64 exec, exec, s[2:3]
	v_and_b32_e32 v2, 0x7f800000, v5
	v_cmp_ne_u32_e64 s[0:1], s24, v2
                                        ; implicit-def: $vgpr6
	s_and_saveexec_b64 s[2:3], s[0:1]
	s_xor_b64 s[0:1], exec, s[2:3]
; %bb.70:                               ;   in Loop: Header=BB121_41 Depth=1
	v_bfe_u32 v2, v5, 16, 1
	v_add3_u32 v6, v5, v2, s25
                                        ; implicit-def: $vgpr2_vgpr3_vgpr4_vgpr5
; %bb.71:                               ;   in Loop: Header=BB121_41 Depth=1
	s_andn2_saveexec_b64 s[2:3], s[0:1]
; %bb.72:                               ;   in Loop: Header=BB121_41 Depth=1
	v_or_b32_e32 v2, 0x10000, v5
	v_cmp_eq_u32_sdwa s[0:1], v5, v15 src0_sel:WORD_0 src1_sel:DWORD
	s_nop 1
	v_cndmask_b32_e64 v6, v2, v5, s[0:1]
; %bb.73:                               ;   in Loop: Header=BB121_41 Depth=1
	s_or_b64 exec, exec, s[2:3]
	s_waitcnt vmcnt(0)
	v_mad_i64_i32 v[2:3], s[0:1], v22, s28, 0
	v_lshl_add_u64 v[8:9], v[2:3], 1, s[10:11]
	v_lshl_add_u64 v[2:3], v[8:9], 0, v[14:15]
	global_load_dwordx4 v[2:5], v[2:3], off
	v_add_u32_e32 v22, -7, v20
	v_cmp_eq_u32_e64 s[2:3], s26, v1
	s_waitcnt vmcnt(0)
	v_lshrrev_b32_e32 v30, 16, v2
	v_lshrrev_b32_e32 v28, 16, v3
	;; [unrolled: 1-line block ×4, first 2 shown]
	s_and_saveexec_b64 s[14:15], s[2:3]
	s_cbranch_execz .LBB121_75
; %bb.74:                               ;   in Loop: Header=BB121_41 Depth=1
	v_cmp_gt_i32_e64 s[0:1], s33, v22
	v_add_u32_e32 v32, -6, v20
	s_nop 0
	v_cndmask_b32_e64 v2, 0, v2, s[0:1]
	v_cmp_gt_i32_e64 s[0:1], s33, v32
	v_add_u32_e32 v32, -5, v20
	s_nop 0
	v_cndmask_b32_e64 v30, 0, v30, s[0:1]
	;; [unrolled: 4-line block ×6, first 2 shown]
	v_cmp_gt_i32_e64 s[0:1], s33, v32
	s_nop 1
	v_cndmask_b32_e64 v5, 0, v5, s[0:1]
	v_cmp_gt_i32_e64 s[0:1], s33, v20
	s_nop 1
	v_cndmask_b32_e64 v31, 0, v31, s[0:1]
.LBB121_75:                             ;   in Loop: Header=BB121_41 Depth=1
	s_or_b64 exec, exec, s[14:15]
	v_and_b32_e32 v23, 0xffff0000, v23
	v_lshlrev_b32_e32 v2, 16, v2
	v_mul_f32_e32 v32, v23, v2
	v_and_b32_e32 v2, 0x7f800000, v32
	v_cmp_ne_u32_e64 s[0:1], s24, v2
                                        ; implicit-def: $vgpr2
	s_and_saveexec_b64 s[14:15], s[0:1]
	s_xor_b64 s[0:1], exec, s[14:15]
; %bb.76:                               ;   in Loop: Header=BB121_41 Depth=1
	v_bfe_u32 v2, v32, 16, 1
	v_add3_u32 v2, v32, v2, s25
                                        ; implicit-def: $vgpr32
; %bb.77:                               ;   in Loop: Header=BB121_41 Depth=1
	s_andn2_saveexec_b64 s[14:15], s[0:1]
; %bb.78:                               ;   in Loop: Header=BB121_41 Depth=1
	v_or_b32_e32 v2, 0x10000, v32
	v_cmp_eq_u32_sdwa s[0:1], v32, v15 src0_sel:WORD_0 src1_sel:DWORD
	s_nop 1
	v_cndmask_b32_e64 v2, v2, v32, s[0:1]
; %bb.79:                               ;   in Loop: Header=BB121_41 Depth=1
	s_or_b64 exec, exec, s[14:15]
	v_and_b32_e32 v24, 0xffff0000, v24
	v_lshlrev_b32_e32 v30, 16, v30
	v_mul_f32_e32 v30, v24, v30
	v_and_b32_e32 v32, 0x7f800000, v30
	v_cmp_ne_u32_e64 s[0:1], s24, v32
                                        ; implicit-def: $vgpr32
	s_and_saveexec_b64 s[14:15], s[0:1]
	s_xor_b64 s[0:1], exec, s[14:15]
; %bb.80:                               ;   in Loop: Header=BB121_41 Depth=1
	v_bfe_u32 v32, v30, 16, 1
	v_add3_u32 v32, v30, v32, s25
                                        ; implicit-def: $vgpr30
; %bb.81:                               ;   in Loop: Header=BB121_41 Depth=1
	s_andn2_saveexec_b64 s[14:15], s[0:1]
; %bb.82:                               ;   in Loop: Header=BB121_41 Depth=1
	v_or_b32_e32 v32, 0x10000, v30
	v_cmp_eq_u32_sdwa s[0:1], v30, v15 src0_sel:WORD_0 src1_sel:DWORD
	s_nop 1
	v_cndmask_b32_e64 v32, v32, v30, s[0:1]
; %bb.83:                               ;   in Loop: Header=BB121_41 Depth=1
	s_or_b64 exec, exec, s[14:15]
	v_and_b32_e32 v25, 0xffff0000, v25
	v_lshlrev_b32_e32 v3, 16, v3
	v_mul_f32_e32 v30, v25, v3
	v_and_b32_e32 v3, 0x7f800000, v30
	v_cmp_ne_u32_e64 s[0:1], s24, v3
                                        ; implicit-def: $vgpr3
	s_and_saveexec_b64 s[14:15], s[0:1]
	s_xor_b64 s[0:1], exec, s[14:15]
; %bb.84:                               ;   in Loop: Header=BB121_41 Depth=1
	v_bfe_u32 v3, v30, 16, 1
	v_add3_u32 v3, v30, v3, s25
                                        ; implicit-def: $vgpr30
; %bb.85:                               ;   in Loop: Header=BB121_41 Depth=1
	s_andn2_saveexec_b64 s[14:15], s[0:1]
; %bb.86:                               ;   in Loop: Header=BB121_41 Depth=1
	v_or_b32_e32 v3, 0x10000, v30
	v_cmp_eq_u32_sdwa s[0:1], v30, v15 src0_sel:WORD_0 src1_sel:DWORD
	s_nop 1
	v_cndmask_b32_e64 v3, v3, v30, s[0:1]
; %bb.87:                               ;   in Loop: Header=BB121_41 Depth=1
	s_or_b64 exec, exec, s[14:15]
	v_and_b32_e32 v26, 0xffff0000, v26
	v_lshlrev_b32_e32 v28, 16, v28
	v_mul_f32_e32 v28, v26, v28
	v_and_b32_e32 v30, 0x7f800000, v28
	v_cmp_ne_u32_e64 s[0:1], s24, v30
                                        ; implicit-def: $vgpr33
	s_and_saveexec_b64 s[14:15], s[0:1]
	s_xor_b64 s[0:1], exec, s[14:15]
; %bb.88:                               ;   in Loop: Header=BB121_41 Depth=1
	v_bfe_u32 v30, v28, 16, 1
	v_add3_u32 v33, v28, v30, s25
                                        ; implicit-def: $vgpr28
; %bb.89:                               ;   in Loop: Header=BB121_41 Depth=1
	s_andn2_saveexec_b64 s[14:15], s[0:1]
; %bb.90:                               ;   in Loop: Header=BB121_41 Depth=1
	v_or_b32_e32 v30, 0x10000, v28
	v_cmp_eq_u32_sdwa s[0:1], v28, v15 src0_sel:WORD_0 src1_sel:DWORD
	s_nop 1
	v_cndmask_b32_e64 v33, v30, v28, s[0:1]
; %bb.91:                               ;   in Loop: Header=BB121_41 Depth=1
	s_or_b64 exec, exec, s[14:15]
	v_and_b32_e32 v27, 0xffff0000, v27
	v_lshlrev_b32_e32 v4, 16, v4
	v_mul_f32_e32 v28, v27, v4
	v_and_b32_e32 v4, 0x7f800000, v28
	v_cmp_ne_u32_e64 s[0:1], s24, v4
                                        ; implicit-def: $vgpr4
	s_and_saveexec_b64 s[14:15], s[0:1]
	s_xor_b64 s[0:1], exec, s[14:15]
; %bb.92:                               ;   in Loop: Header=BB121_41 Depth=1
	v_bfe_u32 v4, v28, 16, 1
	v_add3_u32 v4, v28, v4, s25
                                        ; implicit-def: $vgpr28
; %bb.93:                               ;   in Loop: Header=BB121_41 Depth=1
	s_andn2_saveexec_b64 s[14:15], s[0:1]
; %bb.94:                               ;   in Loop: Header=BB121_41 Depth=1
	v_or_b32_e32 v4, 0x10000, v28
	v_cmp_eq_u32_sdwa s[0:1], v28, v15 src0_sel:WORD_0 src1_sel:DWORD
	s_nop 1
	v_cndmask_b32_e64 v4, v4, v28, s[0:1]
; %bb.95:                               ;   in Loop: Header=BB121_41 Depth=1
	s_or_b64 exec, exec, s[14:15]
	v_and_b32_e32 v28, 0xffff0000, v19
	v_lshlrev_b32_e32 v19, 16, v29
	v_mul_f32_e32 v29, v28, v19
	v_and_b32_e32 v19, 0x7f800000, v29
	v_cmp_ne_u32_e64 s[0:1], s24, v19
                                        ; implicit-def: $vgpr19
	s_and_saveexec_b64 s[14:15], s[0:1]
	s_xor_b64 s[0:1], exec, s[14:15]
; %bb.96:                               ;   in Loop: Header=BB121_41 Depth=1
	v_bfe_u32 v19, v29, 16, 1
	v_add3_u32 v19, v29, v19, s25
                                        ; implicit-def: $vgpr29
; %bb.97:                               ;   in Loop: Header=BB121_41 Depth=1
	s_andn2_saveexec_b64 s[14:15], s[0:1]
; %bb.98:                               ;   in Loop: Header=BB121_41 Depth=1
	v_or_b32_e32 v19, 0x10000, v29
	v_cmp_eq_u32_sdwa s[0:1], v29, v15 src0_sel:WORD_0 src1_sel:DWORD
	s_nop 1
	v_cndmask_b32_e64 v19, v19, v29, s[0:1]
; %bb.99:                               ;   in Loop: Header=BB121_41 Depth=1
	s_or_b64 exec, exec, s[14:15]
	v_and_b32_e32 v29, 0xffff0000, v7
	v_lshlrev_b32_e32 v5, 16, v5
	v_mul_f32_e32 v7, v29, v5
	v_and_b32_e32 v5, 0x7f800000, v7
	v_cmp_ne_u32_e64 s[0:1], s24, v5
                                        ; implicit-def: $vgpr5
	s_and_saveexec_b64 s[14:15], s[0:1]
	s_xor_b64 s[0:1], exec, s[14:15]
; %bb.100:                              ;   in Loop: Header=BB121_41 Depth=1
	v_bfe_u32 v5, v7, 16, 1
	v_add3_u32 v5, v7, v5, s25
                                        ; implicit-def: $vgpr7
; %bb.101:                              ;   in Loop: Header=BB121_41 Depth=1
	s_andn2_saveexec_b64 s[14:15], s[0:1]
; %bb.102:                              ;   in Loop: Header=BB121_41 Depth=1
	v_or_b32_e32 v5, 0x10000, v7
	v_cmp_eq_u32_sdwa s[0:1], v7, v15 src0_sel:WORD_0 src1_sel:DWORD
	s_nop 1
	v_cndmask_b32_e64 v5, v5, v7, s[0:1]
; %bb.103:                              ;   in Loop: Header=BB121_41 Depth=1
	s_or_b64 exec, exec, s[14:15]
	v_and_b32_e32 v30, 0xffff0000, v6
	v_lshlrev_b32_e32 v6, 16, v31
	v_mul_f32_e32 v6, v30, v6
	v_and_b32_e32 v7, 0x7f800000, v6
	v_cmp_ne_u32_e64 s[0:1], s24, v7
                                        ; implicit-def: $vgpr7
	s_and_saveexec_b64 s[14:15], s[0:1]
	s_xor_b64 s[0:1], exec, s[14:15]
; %bb.104:                              ;   in Loop: Header=BB121_41 Depth=1
	v_bfe_u32 v7, v6, 16, 1
	v_add3_u32 v7, v6, v7, s25
                                        ; implicit-def: $vgpr6
; %bb.105:                              ;   in Loop: Header=BB121_41 Depth=1
	s_andn2_saveexec_b64 s[14:15], s[0:1]
; %bb.106:                              ;   in Loop: Header=BB121_41 Depth=1
	v_or_b32_e32 v7, 0x10000, v6
	v_cmp_eq_u32_sdwa s[0:1], v6, v15 src0_sel:WORD_0 src1_sel:DWORD
	s_nop 1
	v_cndmask_b32_e64 v7, v7, v6, s[0:1]
; %bb.107:                              ;   in Loop: Header=BB121_41 Depth=1
	s_or_b64 exec, exec, s[14:15]
	v_and_b32_e32 v33, 0xffff0000, v33
	v_and_b32_e32 v32, 0xffff0000, v32
	;; [unrolled: 1-line block ×4, first 2 shown]
	v_pk_add_f32 v[2:3], v[2:3], v[32:33]
	v_and_b32_e32 v7, 0xffff0000, v7
	v_and_b32_e32 v6, 0xffff0000, v19
	;; [unrolled: 1-line block ×4, first 2 shown]
	v_mov_b32_e32 v32, v3
	v_pk_add_f32 v[2:3], v[2:3], v[32:33]
	v_pk_add_f32 v[4:5], v[4:5], v[6:7]
	s_nop 0
	v_pk_add_f32 v[2:3], v[2:3], v[4:5]
	v_mov_b32_e32 v4, v5
	v_pk_add_f32 v[2:3], v[2:3], v[4:5]
	s_nop 0
	v_pk_add_f32 v[6:7], v[12:13], v[2:3]
	s_and_saveexec_b64 s[14:15], vcc
	s_cbranch_execz .LBB121_40
; %bb.108:                              ;   in Loop: Header=BB121_41 Depth=1
	v_mov_b32_e32 v19, v15
	v_lshl_add_u64 v[2:3], v[8:9], 0, v[18:19]
	global_load_dwordx4 v[2:5], v[2:3], off
	s_waitcnt vmcnt(0)
	v_lshrrev_b32_e32 v8, 16, v2
	v_lshrrev_b32_e32 v19, 16, v3
	;; [unrolled: 1-line block ×4, first 2 shown]
	s_and_saveexec_b64 s[22:23], s[2:3]
	s_cbranch_execz .LBB121_110
; %bb.109:                              ;   in Loop: Header=BB121_41 Depth=1
	v_cmp_gt_i32_e64 s[0:1], s33, v22
	v_add_u32_e32 v22, -6, v20
	s_nop 0
	v_cndmask_b32_e64 v2, 0, v2, s[0:1]
	v_cmp_gt_i32_e64 s[0:1], s33, v22
	v_add_u32_e32 v22, -5, v20
	s_nop 0
	v_cndmask_b32_e64 v8, 0, v8, s[0:1]
	;; [unrolled: 4-line block ×6, first 2 shown]
	v_cmp_gt_i32_e64 s[0:1], s33, v22
	s_nop 1
	v_cndmask_b32_e64 v5, 0, v5, s[0:1]
	v_cmp_gt_i32_e64 s[0:1], s33, v20
	s_nop 1
	v_cndmask_b32_e64 v7, 0, v7, s[0:1]
.LBB121_110:                            ;   in Loop: Header=BB121_41 Depth=1
	s_or_b64 exec, exec, s[22:23]
	v_lshlrev_b32_e32 v2, 16, v2
	v_mul_f32_e32 v22, v23, v2
	v_and_b32_e32 v2, 0x7f800000, v22
	v_cmp_ne_u32_e64 s[0:1], s24, v2
                                        ; implicit-def: $vgpr2
	s_and_saveexec_b64 s[2:3], s[0:1]
	s_xor_b64 s[0:1], exec, s[2:3]
; %bb.111:                              ;   in Loop: Header=BB121_41 Depth=1
	v_bfe_u32 v2, v22, 16, 1
	v_add3_u32 v2, v22, v2, s25
                                        ; implicit-def: $vgpr22
; %bb.112:                              ;   in Loop: Header=BB121_41 Depth=1
	s_andn2_saveexec_b64 s[2:3], s[0:1]
; %bb.113:                              ;   in Loop: Header=BB121_41 Depth=1
	v_or_b32_e32 v2, 0x10000, v22
	v_cmp_eq_u32_sdwa s[0:1], v22, v15 src0_sel:WORD_0 src1_sel:DWORD
	s_nop 1
	v_cndmask_b32_e64 v2, v2, v22, s[0:1]
; %bb.114:                              ;   in Loop: Header=BB121_41 Depth=1
	s_or_b64 exec, exec, s[2:3]
	v_lshlrev_b32_e32 v8, 16, v8
	v_mul_f32_e32 v22, v24, v8
	v_and_b32_e32 v8, 0x7f800000, v22
	v_cmp_ne_u32_e64 s[0:1], s24, v8
                                        ; implicit-def: $vgpr8
	s_and_saveexec_b64 s[2:3], s[0:1]
	s_xor_b64 s[0:1], exec, s[2:3]
; %bb.115:                              ;   in Loop: Header=BB121_41 Depth=1
	v_bfe_u32 v8, v22, 16, 1
	v_add3_u32 v8, v22, v8, s25
                                        ; implicit-def: $vgpr22
; %bb.116:                              ;   in Loop: Header=BB121_41 Depth=1
	s_andn2_saveexec_b64 s[2:3], s[0:1]
; %bb.117:                              ;   in Loop: Header=BB121_41 Depth=1
	v_or_b32_e32 v8, 0x10000, v22
	v_cmp_eq_u32_sdwa s[0:1], v22, v15 src0_sel:WORD_0 src1_sel:DWORD
	s_nop 1
	v_cndmask_b32_e64 v8, v8, v22, s[0:1]
; %bb.118:                              ;   in Loop: Header=BB121_41 Depth=1
	s_or_b64 exec, exec, s[2:3]
	v_lshlrev_b32_e32 v3, 16, v3
	v_mul_f32_e32 v22, v25, v3
	v_and_b32_e32 v3, 0x7f800000, v22
	v_cmp_ne_u32_e64 s[0:1], s24, v3
                                        ; implicit-def: $vgpr3
	s_and_saveexec_b64 s[2:3], s[0:1]
	s_xor_b64 s[0:1], exec, s[2:3]
; %bb.119:                              ;   in Loop: Header=BB121_41 Depth=1
	v_bfe_u32 v3, v22, 16, 1
	v_add3_u32 v3, v22, v3, s25
                                        ; implicit-def: $vgpr22
; %bb.120:                              ;   in Loop: Header=BB121_41 Depth=1
	s_andn2_saveexec_b64 s[2:3], s[0:1]
; %bb.121:                              ;   in Loop: Header=BB121_41 Depth=1
	v_or_b32_e32 v3, 0x10000, v22
	v_cmp_eq_u32_sdwa s[0:1], v22, v15 src0_sel:WORD_0 src1_sel:DWORD
	s_nop 1
	v_cndmask_b32_e64 v3, v3, v22, s[0:1]
; %bb.122:                              ;   in Loop: Header=BB121_41 Depth=1
	s_or_b64 exec, exec, s[2:3]
	v_lshlrev_b32_e32 v19, 16, v19
	v_mul_f32_e32 v22, v26, v19
	v_and_b32_e32 v19, 0x7f800000, v22
	v_cmp_ne_u32_e64 s[0:1], s24, v19
                                        ; implicit-def: $vgpr19
	s_and_saveexec_b64 s[2:3], s[0:1]
	s_xor_b64 s[0:1], exec, s[2:3]
; %bb.123:                              ;   in Loop: Header=BB121_41 Depth=1
	v_bfe_u32 v19, v22, 16, 1
	v_add3_u32 v19, v22, v19, s25
                                        ; implicit-def: $vgpr22
; %bb.124:                              ;   in Loop: Header=BB121_41 Depth=1
	s_andn2_saveexec_b64 s[2:3], s[0:1]
; %bb.125:                              ;   in Loop: Header=BB121_41 Depth=1
	v_or_b32_e32 v19, 0x10000, v22
	v_cmp_eq_u32_sdwa s[0:1], v22, v15 src0_sel:WORD_0 src1_sel:DWORD
	s_nop 1
	v_cndmask_b32_e64 v19, v19, v22, s[0:1]
; %bb.126:                              ;   in Loop: Header=BB121_41 Depth=1
	s_or_b64 exec, exec, s[2:3]
	v_lshlrev_b32_e32 v4, 16, v4
	v_mul_f32_e32 v22, v27, v4
	v_and_b32_e32 v4, 0x7f800000, v22
	v_cmp_ne_u32_e64 s[0:1], s24, v4
                                        ; implicit-def: $vgpr4
	s_and_saveexec_b64 s[2:3], s[0:1]
	s_xor_b64 s[0:1], exec, s[2:3]
; %bb.127:                              ;   in Loop: Header=BB121_41 Depth=1
	v_bfe_u32 v4, v22, 16, 1
	v_add3_u32 v4, v22, v4, s25
                                        ; implicit-def: $vgpr22
; %bb.128:                              ;   in Loop: Header=BB121_41 Depth=1
	s_andn2_saveexec_b64 s[2:3], s[0:1]
; %bb.129:                              ;   in Loop: Header=BB121_41 Depth=1
	v_or_b32_e32 v4, 0x10000, v22
	v_cmp_eq_u32_sdwa s[0:1], v22, v15 src0_sel:WORD_0 src1_sel:DWORD
	s_nop 1
	v_cndmask_b32_e64 v4, v4, v22, s[0:1]
; %bb.130:                              ;   in Loop: Header=BB121_41 Depth=1
	s_or_b64 exec, exec, s[2:3]
	v_lshlrev_b32_e32 v9, 16, v9
	v_mul_f32_e32 v22, v28, v9
	v_and_b32_e32 v9, 0x7f800000, v22
	v_cmp_ne_u32_e64 s[0:1], s24, v9
                                        ; implicit-def: $vgpr9
	s_and_saveexec_b64 s[2:3], s[0:1]
	s_xor_b64 s[0:1], exec, s[2:3]
; %bb.131:                              ;   in Loop: Header=BB121_41 Depth=1
	v_bfe_u32 v9, v22, 16, 1
	v_add3_u32 v9, v22, v9, s25
                                        ; implicit-def: $vgpr22
; %bb.132:                              ;   in Loop: Header=BB121_41 Depth=1
	s_andn2_saveexec_b64 s[2:3], s[0:1]
; %bb.133:                              ;   in Loop: Header=BB121_41 Depth=1
	v_or_b32_e32 v9, 0x10000, v22
	v_cmp_eq_u32_sdwa s[0:1], v22, v15 src0_sel:WORD_0 src1_sel:DWORD
	s_nop 1
	v_cndmask_b32_e64 v9, v9, v22, s[0:1]
; %bb.134:                              ;   in Loop: Header=BB121_41 Depth=1
	s_or_b64 exec, exec, s[2:3]
	v_lshlrev_b32_e32 v5, 16, v5
	v_mul_f32_e32 v22, v29, v5
	v_and_b32_e32 v5, 0x7f800000, v22
	v_cmp_ne_u32_e64 s[0:1], s24, v5
                                        ; implicit-def: $vgpr5
	s_and_saveexec_b64 s[2:3], s[0:1]
	s_xor_b64 s[0:1], exec, s[2:3]
; %bb.135:                              ;   in Loop: Header=BB121_41 Depth=1
	v_bfe_u32 v5, v22, 16, 1
	v_add3_u32 v5, v22, v5, s25
                                        ; implicit-def: $vgpr22
; %bb.136:                              ;   in Loop: Header=BB121_41 Depth=1
	s_andn2_saveexec_b64 s[2:3], s[0:1]
; %bb.137:                              ;   in Loop: Header=BB121_41 Depth=1
	v_or_b32_e32 v5, 0x10000, v22
	v_cmp_eq_u32_sdwa s[0:1], v22, v15 src0_sel:WORD_0 src1_sel:DWORD
	s_nop 1
	v_cndmask_b32_e64 v5, v5, v22, s[0:1]
; %bb.138:                              ;   in Loop: Header=BB121_41 Depth=1
	s_or_b64 exec, exec, s[2:3]
	v_lshlrev_b32_e32 v7, 16, v7
	v_mul_f32_e32 v7, v30, v7
	v_and_b32_e32 v22, 0x7f800000, v7
	v_cmp_ne_u32_e64 s[0:1], s24, v22
                                        ; implicit-def: $vgpr22
	s_and_saveexec_b64 s[2:3], s[0:1]
	s_xor_b64 s[0:1], exec, s[2:3]
; %bb.139:                              ;   in Loop: Header=BB121_41 Depth=1
	v_bfe_u32 v22, v7, 16, 1
	v_add3_u32 v22, v7, v22, s25
                                        ; implicit-def: $vgpr7
; %bb.140:                              ;   in Loop: Header=BB121_41 Depth=1
	s_andn2_saveexec_b64 s[2:3], s[0:1]
	s_cbranch_execz .LBB121_39
; %bb.141:                              ;   in Loop: Header=BB121_41 Depth=1
	v_or_b32_e32 v22, 0x10000, v7
	v_cmp_eq_u32_sdwa s[0:1], v7, v15 src0_sel:WORD_0 src1_sel:DWORD
	s_nop 1
	v_cndmask_b32_e64 v22, v22, v7, s[0:1]
	s_branch .LBB121_39
.LBB121_142:
	s_or_b64 exec, exec, s[12:13]
.LBB121_143:
	s_or_b64 exec, exec, s[6:7]
	v_and_b32_e32 v1, 0x3c0, v0
	v_cmp_eq_u32_e32 vcc, 64, v1
	s_barrier
	s_and_saveexec_b64 s[0:1], vcc
	s_cbranch_execz .LBB121_146
; %bb.144:
	v_mov_b32_e32 v1, 0xf0
	v_lshl_add_u32 v2, v11, 2, v1
	ds_write_b32 v2, v6
	s_and_b64 exec, exec, s[8:9]
	s_cbranch_execz .LBB121_146
; %bb.145:
	v_lshl_add_u32 v1, v0, 2, v1
	ds_write_b32 v1, v13
.LBB121_146:
	s_or_b64 exec, exec, s[0:1]
	v_cmp_gt_u32_e32 vcc, 64, v0
	v_or_b32_e32 v1, 64, v0
	s_waitcnt lgkmcnt(0)
	s_barrier
	s_and_saveexec_b64 s[2:3], vcc
	s_cbranch_execz .LBB121_150
; %bb.147:
	v_mov_b32_e32 v2, 0xf0
	v_lshl_add_u32 v2, v0, 2, v2
	ds_read_b32 v0, v2
	s_movk_i32 s0, 0x70
	v_cmp_gt_u32_e64 s[0:1], s0, v1
	s_and_saveexec_b64 s[6:7], s[0:1]
	s_cbranch_execz .LBB121_149
; %bb.148:
	ds_read_b32 v2, v2 offset:256
	s_waitcnt lgkmcnt(0)
	v_add_f32_e32 v13, v13, v2
.LBB121_149:
	s_or_b64 exec, exec, s[6:7]
	s_waitcnt lgkmcnt(0)
	v_add_f32_e32 v6, v6, v0
.LBB121_150:
	s_or_b64 exec, exec, s[2:3]
	s_barrier
	s_and_saveexec_b64 s[0:1], vcc
	s_cbranch_execz .LBB121_161
; %bb.151:
	s_mov_b32 s0, 0x7f800000
	v_and_b32_e32 v0, 0x7f800000, v6
	v_cmp_ne_u32_e32 vcc, s0, v0
                                        ; implicit-def: $vgpr0
	s_and_saveexec_b64 s[0:1], vcc
	s_xor_b64 s[0:1], exec, s[0:1]
; %bb.152:
	v_bfe_u32 v0, v6, 16, 1
	s_movk_i32 s2, 0x7fff
	v_add3_u32 v0, v6, v0, s2
                                        ; implicit-def: $vgpr6
; %bb.153:
	s_andn2_saveexec_b64 s[0:1], s[0:1]
; %bb.154:
	v_mov_b32_e32 v0, 0
	v_or_b32_e32 v2, 0x10000, v6
	v_cmp_eq_u32_sdwa vcc, v6, v0 src0_sel:WORD_0 src1_sel:DWORD
	s_nop 1
	v_cndmask_b32_e32 v0, v2, v6, vcc
; %bb.155:
	s_or_b64 exec, exec, s[0:1]
	s_mul_i32 s0, s16, s17
	s_mul_i32 s0, s0, s5
	s_mulk_i32 s0, 0x70
	s_ashr_i32 s1, s0, 31
	s_lshl_b64 s[0:1], s[0:1], 1
	s_add_u32 s3, s20, s0
	s_mul_i32 s0, s17, s18
	s_addc_u32 s5, s21, s1
	s_ashr_i32 s1, s0, 31
	s_lshl_b64 s[0:1], s[0:1], 1
	s_add_u32 s3, s3, s0
	s_mul_i32 s0, s4, 0x70
	s_addc_u32 s5, s5, s1
	s_ashr_i32 s1, s0, 31
	s_lshl_b64 s[0:1], s[0:1], 1
	s_movk_i32 s2, 0x70
	s_add_u32 s0, s3, s0
	s_addc_u32 s1, s5, s1
	v_cmp_gt_u32_e32 vcc, s2, v1
	global_store_short_d16_hi v10, v0, s[0:1]
	s_and_b64 exec, exec, vcc
	s_cbranch_execz .LBB121_161
; %bb.156:
	s_mov_b32 s2, 0x7f800000
	v_and_b32_e32 v0, 0x7f800000, v13
	v_mov_b32_e32 v11, 0
	v_cmp_ne_u32_e32 vcc, s2, v0
                                        ; implicit-def: $vgpr2
	s_and_saveexec_b64 s[2:3], vcc
	s_xor_b64 s[2:3], exec, s[2:3]
; %bb.157:
	v_bfe_u32 v0, v13, 16, 1
	s_movk_i32 s4, 0x7fff
	v_add3_u32 v2, v13, v0, s4
                                        ; implicit-def: $vgpr13
; %bb.158:
	s_or_saveexec_b64 s[2:3], s[2:3]
	v_lshl_add_u64 v[0:1], s[0:1], 0, v[10:11]
	s_xor_b64 exec, exec, s[2:3]
; %bb.159:
	v_mov_b32_e32 v2, 0
	v_or_b32_e32 v3, 0x10000, v13
	v_cmp_eq_u32_sdwa vcc, v13, v2 src0_sel:WORD_0 src1_sel:DWORD
	s_nop 1
	v_cndmask_b32_e32 v2, v3, v13, vcc
; %bb.160:
	s_or_b64 exec, exec, s[2:3]
	global_store_short_d16_hi v[0:1], v2, off offset:128
.LBB121_161:
	s_endpgm
	.section	.rodata,"a",@progbits
	.p2align	6, 0x0
	.amdhsa_kernel _ZN4vllm25paged_attention_v1_kernelI14__hip_bfloat16S1_Li112ELi8ELi128ELNS_18Fp8KVCacheDataTypeE0ELb0EEEvPT_PKS3_PKT0_S9_ifPKiSB_iPKfiiiSD_SD_iiiii
		.amdhsa_group_segment_fixed_size 240
		.amdhsa_private_segment_fixed_size 0
		.amdhsa_kernarg_size 384
		.amdhsa_user_sgpr_count 2
		.amdhsa_user_sgpr_dispatch_ptr 0
		.amdhsa_user_sgpr_queue_ptr 0
		.amdhsa_user_sgpr_kernarg_segment_ptr 1
		.amdhsa_user_sgpr_dispatch_id 0
		.amdhsa_user_sgpr_kernarg_preload_length 0
		.amdhsa_user_sgpr_kernarg_preload_offset 0
		.amdhsa_user_sgpr_private_segment_size 0
		.amdhsa_uses_dynamic_stack 0
		.amdhsa_enable_private_segment 0
		.amdhsa_system_sgpr_workgroup_id_x 1
		.amdhsa_system_sgpr_workgroup_id_y 1
		.amdhsa_system_sgpr_workgroup_id_z 1
		.amdhsa_system_sgpr_workgroup_info 0
		.amdhsa_system_vgpr_workitem_id 0
		.amdhsa_next_free_vgpr 47
		.amdhsa_next_free_sgpr 36
		.amdhsa_accum_offset 48
		.amdhsa_reserve_vcc 1
		.amdhsa_float_round_mode_32 0
		.amdhsa_float_round_mode_16_64 0
		.amdhsa_float_denorm_mode_32 3
		.amdhsa_float_denorm_mode_16_64 3
		.amdhsa_dx10_clamp 1
		.amdhsa_ieee_mode 1
		.amdhsa_fp16_overflow 0
		.amdhsa_tg_split 0
		.amdhsa_exception_fp_ieee_invalid_op 0
		.amdhsa_exception_fp_denorm_src 0
		.amdhsa_exception_fp_ieee_div_zero 0
		.amdhsa_exception_fp_ieee_overflow 0
		.amdhsa_exception_fp_ieee_underflow 0
		.amdhsa_exception_fp_ieee_inexact 0
		.amdhsa_exception_int_div_zero 0
	.end_amdhsa_kernel
	.section	.text._ZN4vllm25paged_attention_v1_kernelI14__hip_bfloat16S1_Li112ELi8ELi128ELNS_18Fp8KVCacheDataTypeE0ELb0EEEvPT_PKS3_PKT0_S9_ifPKiSB_iPKfiiiSD_SD_iiiii,"axG",@progbits,_ZN4vllm25paged_attention_v1_kernelI14__hip_bfloat16S1_Li112ELi8ELi128ELNS_18Fp8KVCacheDataTypeE0ELb0EEEvPT_PKS3_PKT0_S9_ifPKiSB_iPKfiiiSD_SD_iiiii,comdat
.Lfunc_end121:
	.size	_ZN4vllm25paged_attention_v1_kernelI14__hip_bfloat16S1_Li112ELi8ELi128ELNS_18Fp8KVCacheDataTypeE0ELb0EEEvPT_PKS3_PKT0_S9_ifPKiSB_iPKfiiiSD_SD_iiiii, .Lfunc_end121-_ZN4vllm25paged_attention_v1_kernelI14__hip_bfloat16S1_Li112ELi8ELi128ELNS_18Fp8KVCacheDataTypeE0ELb0EEEvPT_PKS3_PKT0_S9_ifPKiSB_iPKfiiiSD_SD_iiiii
                                        ; -- End function
	.section	.AMDGPU.csdata,"",@progbits
; Kernel info:
; codeLenInByte = 6280
; NumSgprs: 42
; NumVgprs: 47
; NumAgprs: 0
; TotalNumVgprs: 47
; ScratchSize: 0
; MemoryBound: 0
; FloatMode: 240
; IeeeMode: 1
; LDSByteSize: 240 bytes/workgroup (compile time only)
; SGPRBlocks: 5
; VGPRBlocks: 5
; NumSGPRsForWavesPerEU: 42
; NumVGPRsForWavesPerEU: 47
; AccumOffset: 48
; Occupancy: 8
; WaveLimiterHint : 1
; COMPUTE_PGM_RSRC2:SCRATCH_EN: 0
; COMPUTE_PGM_RSRC2:USER_SGPR: 2
; COMPUTE_PGM_RSRC2:TRAP_HANDLER: 0
; COMPUTE_PGM_RSRC2:TGID_X_EN: 1
; COMPUTE_PGM_RSRC2:TGID_Y_EN: 1
; COMPUTE_PGM_RSRC2:TGID_Z_EN: 1
; COMPUTE_PGM_RSRC2:TIDIG_COMP_CNT: 0
; COMPUTE_PGM_RSRC3_GFX90A:ACCUM_OFFSET: 11
; COMPUTE_PGM_RSRC3_GFX90A:TG_SPLIT: 0
	.section	.text._ZN4vllm25paged_attention_v1_kernelI14__hip_bfloat16S1_Li120ELi8ELi128ELNS_18Fp8KVCacheDataTypeE0ELb0EEEvPT_PKS3_PKT0_S9_ifPKiSB_iPKfiiiSD_SD_iiiii,"axG",@progbits,_ZN4vllm25paged_attention_v1_kernelI14__hip_bfloat16S1_Li120ELi8ELi128ELNS_18Fp8KVCacheDataTypeE0ELb0EEEvPT_PKS3_PKT0_S9_ifPKiSB_iPKfiiiSD_SD_iiiii,comdat
	.protected	_ZN4vllm25paged_attention_v1_kernelI14__hip_bfloat16S1_Li120ELi8ELi128ELNS_18Fp8KVCacheDataTypeE0ELb0EEEvPT_PKS3_PKT0_S9_ifPKiSB_iPKfiiiSD_SD_iiiii ; -- Begin function _ZN4vllm25paged_attention_v1_kernelI14__hip_bfloat16S1_Li120ELi8ELi128ELNS_18Fp8KVCacheDataTypeE0ELb0EEEvPT_PKS3_PKT0_S9_ifPKiSB_iPKfiiiSD_SD_iiiii
	.globl	_ZN4vllm25paged_attention_v1_kernelI14__hip_bfloat16S1_Li120ELi8ELi128ELNS_18Fp8KVCacheDataTypeE0ELb0EEEvPT_PKS3_PKT0_S9_ifPKiSB_iPKfiiiSD_SD_iiiii
	.p2align	8
	.type	_ZN4vllm25paged_attention_v1_kernelI14__hip_bfloat16S1_Li120ELi8ELi128ELNS_18Fp8KVCacheDataTypeE0ELb0EEEvPT_PKS3_PKT0_S9_ifPKiSB_iPKfiiiSD_SD_iiiii,@function
_ZN4vllm25paged_attention_v1_kernelI14__hip_bfloat16S1_Li120ELi8ELi128ELNS_18Fp8KVCacheDataTypeE0ELb0EEEvPT_PKS3_PKT0_S9_ifPKiSB_iPKfiiiSD_SD_iiiii: ; @_ZN4vllm25paged_attention_v1_kernelI14__hip_bfloat16S1_Li120ELi8ELi128ELNS_18Fp8KVCacheDataTypeE0ELb0EEEvPT_PKS3_PKT0_S9_ifPKiSB_iPKfiiiSD_SD_iiiii
; %bb.0:
	s_load_dword s5, s[0:1], 0x80
	s_load_dwordx2 s[6:7], s[0:1], 0x30
	s_load_dwordx2 s[10:11], s[0:1], 0x20
	s_mov_b32 s16, s3
	s_ashr_i32 s17, s3, 31
	s_lshl_b64 s[8:9], s[16:17], 2
	s_waitcnt lgkmcnt(0)
	s_add_u32 s6, s6, s8
	s_addc_u32 s7, s7, s9
	s_abs_i32 s3, s10
	v_cvt_f32_u32_e32 v1, s3
	s_xor_b32 s8, s5, s10
	s_sub_i32 s10, 0, s3
	s_abs_i32 s9, s5
	v_rcp_iflag_f32_e32 v1, v1
	s_ashr_i32 s8, s8, 31
	v_mul_f32_e32 v1, 0x4f7ffffe, v1
	v_cvt_u32_f32_e32 v1, v1
	s_nop 0
	v_readfirstlane_b32 s12, v1
	s_mul_i32 s10, s10, s12
	s_mul_hi_u32 s10, s12, s10
	s_add_i32 s12, s12, s10
	s_mul_hi_u32 s10, s9, s12
	s_mul_i32 s12, s10, s3
	s_sub_i32 s9, s9, s12
	s_add_i32 s12, s10, 1
	s_sub_i32 s13, s9, s3
	s_cmp_ge_u32 s9, s3
	s_cselect_b32 s10, s12, s10
	s_cselect_b32 s9, s13, s9
	s_add_i32 s12, s10, 1
	s_cmp_ge_u32 s9, s3
	s_cselect_b32 s3, s12, s10
	s_xor_b32 s3, s3, s8
	s_sub_i32 s12, s3, s8
	s_abs_i32 s17, s12
	v_cvt_f32_u32_e32 v1, s17
	s_load_dwordx2 s[8:9], s[0:1], 0x40
	s_sub_i32 s3, 0, s17
	s_abs_i32 s20, s2
	v_rcp_iflag_f32_e32 v1, v1
	s_mov_b32 s10, 0
	v_mul_f32_e32 v1, 0x4f7ffffe, v1
	v_cvt_u32_f32_e32 v1, v1
	s_nop 0
	v_readfirstlane_b32 s13, v1
	s_mul_i32 s3, s3, s13
	s_mul_hi_u32 s3, s13, s3
	s_add_i32 s13, s13, s3
	s_waitcnt lgkmcnt(0)
	s_cmp_eq_u64 s[8:9], 0
	s_mul_hi_u32 s21, s20, s13
	s_cbranch_scc1 .LBB122_2
; %bb.1:
	s_ashr_i32 s3, s2, 31
	s_lshl_b64 s[14:15], s[2:3], 2
	s_add_u32 s8, s8, s14
	s_addc_u32 s9, s9, s15
	s_load_dword s10, s[8:9], 0x0
.LBB122_2:
	s_load_dword s33, s[6:7], 0x0
	s_ashr_i32 s7, s12, 31
	s_load_dwordx4 s[12:15], s[0:1], 0x48
	s_movk_i32 s3, 0x78
	s_ashr_i32 s6, s2, 31
	v_and_b32_e32 v4, 7, v0
	s_mul_i32 s18, s2, 0x78
	v_cmp_gt_u32_e64 s[8:9], s3, v0
	v_lshlrev_b32_e32 v10, 1, v0
	s_and_saveexec_b64 s[2:3], s[8:9]
	s_cbranch_execz .LBB122_4
; %bb.3:
	s_load_dwordx2 s[22:23], s[0:1], 0x8
	s_waitcnt lgkmcnt(0)
	s_mul_i32 s24, s16, s12
	s_ashr_i32 s25, s24, 31
	s_lshl_b64 s[24:25], s[24:25], 1
	v_lshrrev_b32_e32 v2, 2, v0
	s_add_u32 s12, s22, s24
	s_addc_u32 s15, s23, s25
	s_ashr_i32 s19, s18, 31
	s_lshl_b64 s[22:23], s[18:19], 1
	s_add_u32 s22, s12, s22
	s_addc_u32 s23, s15, s23
	global_load_ushort v1, v10, s[22:23]
	v_and_b32_e32 v2, 0xfe, v2
	v_mad_u32_u24 v2, v4, 30, v2
	s_waitcnt vmcnt(0)
	ds_write_b16 v2, v1
.LBB122_4:
	s_or_b64 exec, exec, s[2:3]
	s_waitcnt lgkmcnt(0)
	s_add_i32 s3, s33, 7
	s_ashr_i32 s12, s3, 31
	s_lshr_b32 s12, s12, 29
	s_add_i32 s3, s3, s12
	s_ashr_i32 s19, s3, 3
	s_xor_b32 s3, s6, s7
	s_mul_i32 s6, s21, s17
	s_sub_i32 s6, s20, s6
	s_add_i32 s7, s21, 1
	s_sub_i32 s12, s6, s17
	s_load_dwordx2 s[22:23], s[0:1], 0x28
	s_load_dword s2, s[0:1], 0x38
	s_cmp_ge_u32 s6, s17
	s_cselect_b32 s7, s7, s21
	s_cselect_b32 s6, s12, s6
	s_add_i32 s12, s7, 1
	s_cmp_ge_u32 s6, s17
	s_cselect_b32 s6, s12, s7
	v_lshrrev_b32_e32 v1, 6, v0
	s_xor_b32 s6, s6, s3
	s_waitcnt lgkmcnt(0)
	s_mul_i32 s24, s16, s2
	s_sub_i32 s12, s6, s3
	s_ashr_i32 s25, s24, 31
	v_cmp_gt_i32_e64 s[2:3], s19, v1
	v_cmp_le_i32_e32 vcc, s19, v1
	v_mbcnt_lo_u32_b32 v5, -1, 0
	s_barrier
	s_waitcnt lgkmcnt(0)
                                        ; implicit-def: $sgpr15
                                        ; implicit-def: $vgpr6
                                        ; implicit-def: $vgpr8
	s_and_saveexec_b64 s[6:7], vcc
	s_xor_b64 s[6:7], exec, s[6:7]
; %bb.5:
	v_mbcnt_hi_u32_b32 v6, -1, v5
	v_and_b32_e32 v2, 64, v6
	v_add_u32_e32 v8, 64, v2
	s_mov_b32 s15, 0xff7fffff
                                        ; implicit-def: $vgpr4
                                        ; implicit-def: $vgpr5
; %bb.6:
	s_or_saveexec_b64 s[28:29], s[6:7]
	s_load_dwordx2 s[20:21], s[0:1], 0x0
	s_load_dwordx2 s[26:27], s[0:1], 0x18
	s_load_dword s17, s[0:1], 0x88
	v_mov_b32_e32 v25, s15
	s_mul_i32 s14, s12, s14
	v_lshrrev_b32_e32 v7, 4, v0
	s_xor_b64 exec, exec, s[28:29]
	s_cbranch_execz .LBB122_12
; %bb.7:
	v_mul_u32_u24_e32 v6, 30, v4
	ds_read_b128 v[14:17], v6
	ds_read_b96 v[22:24], v6 offset:16
	ds_read_u16 v6, v6 offset:28
	s_load_dwordx2 s[0:1], s[0:1], 0x10
	s_ashr_i32 s15, s14, 31
	s_lshl_b64 s[6:7], s[14:15], 1
	s_waitcnt lgkmcnt(0)
	v_lshlrev_b32_e32 v18, 16, v22
	v_and_b32_e32 v19, 0xffff0000, v22
	v_lshlrev_b32_e32 v20, 16, v23
	v_and_b32_e32 v21, 0xffff0000, v23
	;; [unrolled: 2-line block ×3, first 2 shown]
	v_lshlrev_b32_e32 v24, 16, v6
	v_mbcnt_hi_u32_b32 v6, -1, v5
	v_and_b32_e32 v5, 64, v6
	v_add_u32_e32 v8, 64, v5
	v_xor_b32_e32 v5, 4, v6
	v_cmp_lt_i32_e32 vcc, v5, v8
	v_bfe_u32 v25, v0, 3, 3
	s_add_u32 s0, s0, s6
	v_cndmask_b32_e32 v5, v6, v5, vcc
	v_lshlrev_b32_e32 v26, 2, v5
	v_xor_b32_e32 v5, 2, v6
	v_cmp_lt_i32_e32 vcc, v5, v8
	s_addc_u32 s1, s1, s7
	v_lshlrev_b32_e32 v32, 4, v25
	v_cndmask_b32_e32 v5, v6, v5, vcc
	v_lshlrev_b32_e32 v27, 2, v5
	v_xor_b32_e32 v5, 1, v6
	v_mov_b32_e32 v33, 0
	v_cmp_lt_i32_e32 vcc, v5, v8
	s_sub_i32 s15, 1, s33
	s_lshl_b64 s[6:7], s[24:25], 2
	v_lshl_add_u64 v[2:3], s[0:1], 0, v[32:33]
	v_lshlrev_b32_e32 v32, 1, v4
	v_cndmask_b32_e32 v5, v6, v5, vcc
	v_cmp_eq_u32_e32 vcc, 0, v4
	v_lshlrev_b32_e32 v4, 2, v25
	s_add_u32 s6, s22, s6
	v_lshl_add_u64 v[2:3], v[2:3], 0, v[32:33]
	v_lshl_or_b32 v4, v1, 5, v4
	v_and_b32_e32 v32, 60, v7
	s_addc_u32 s7, s23, s7
	s_mov_b32 s12, s13
	v_lshlrev_b32_e32 v9, 16, v14
	v_and_b32_e32 v11, 0xffff0000, v14
	v_lshlrev_b32_e32 v12, 16, v15
	v_and_b32_e32 v13, 0xffff0000, v15
	;; [unrolled: 2-line block ×4, first 2 shown]
	v_lshlrev_b32_e32 v28, 2, v5
	v_cmp_neq_f32_e64 s[0:1], s10, 0
	v_lshl_or_b32 v29, v1, 3, v25
	v_add_u32_e32 v30, 0x100, v4
	v_lshl_add_u64 v[4:5], s[6:7], 0, v[32:33]
	s_mov_b64 s[30:31], 0
	v_mov_b32_e32 v25, 0xff7fffff
	v_mov_b32_e32 v31, v1
	s_branch .LBB122_9
.LBB122_8:                              ;   in Loop: Header=BB122_9 Depth=1
	s_or_b64 exec, exec, s[34:35]
	v_add_u32_e32 v31, 2, v31
	v_cmp_le_i32_e64 s[6:7], s19, v31
	v_add_u32_e32 v29, 16, v29
	v_add_u32_e32 v30, 64, v30
	s_or_b64 s[30:31], s[6:7], s[30:31]
	v_lshl_add_u64 v[4:5], v[4:5], 0, 8
	s_andn2_b64 exec, exec, s[30:31]
	s_cbranch_execz .LBB122_11
.LBB122_9:                              ; =>This Inner Loop Header: Depth=1
	global_load_dword v32, v[4:5], off
	s_waitcnt vmcnt(0) lgkmcnt(0)
	v_mad_i64_i32 v[32:33], s[6:7], v32, s12, 0
	v_lshl_add_u64 v[32:33], v[32:33], 1, v[2:3]
	global_load_ushort v34, v[32:33], off
	global_load_ushort v35, v[32:33], off offset:128
	global_load_ushort v36, v[32:33], off offset:256
	;; [unrolled: 1-line block ×14, first 2 shown]
	s_waitcnt vmcnt(14)
	v_lshlrev_b32_e32 v32, 16, v34
	s_waitcnt vmcnt(13)
	v_lshlrev_b32_e32 v33, 16, v35
	v_mul_f32_e32 v33, v11, v33
	s_waitcnt vmcnt(12)
	v_lshlrev_b32_e32 v34, 16, v36
	v_fmac_f32_e32 v33, v9, v32
	s_waitcnt vmcnt(11)
	v_lshlrev_b32_e32 v35, 16, v37
	v_fmac_f32_e32 v33, v12, v34
	;; [unrolled: 3-line block ×12, first 2 shown]
	v_fmac_f32_e32 v33, v23, v45
	s_waitcnt vmcnt(0)
	v_lshlrev_b32_e32 v32, 16, v48
	v_fmac_f32_e32 v33, v24, v32
	ds_bpermute_b32 v32, v26, v33
	s_waitcnt lgkmcnt(0)
	v_add_f32_e32 v32, v33, v32
	ds_bpermute_b32 v33, v27, v32
	s_waitcnt lgkmcnt(0)
	v_add_f32_e32 v32, v32, v33
	ds_bpermute_b32 v33, v28, v32
	s_and_saveexec_b64 s[34:35], vcc
	s_cbranch_execz .LBB122_8
; %bb.10:                               ;   in Loop: Header=BB122_9 Depth=1
	v_add_u32_e32 v34, s15, v29
	v_cvt_f32_i32_e32 v34, v34
	s_waitcnt lgkmcnt(0)
	v_add_f32_e32 v32, v32, v33
	v_cmp_gt_i32_e64 s[6:7], s33, v29
	v_max_f32_e32 v33, v25, v25
	v_mul_f32_e32 v34, s10, v34
	v_cndmask_b32_e64 v34, 0, v34, s[0:1]
	v_fmac_f32_e32 v34, s11, v32
	v_cndmask_b32_e64 v32, 0, v34, s[6:7]
	ds_write_b32 v30, v32
	v_max_f32_e32 v32, v33, v34
	v_cndmask_b32_e64 v25, v25, v32, s[6:7]
	s_branch .LBB122_8
.LBB122_11:
	s_or_b64 exec, exec, s[30:31]
.LBB122_12:
	s_or_b64 exec, exec, s[28:29]
	v_xor_b32_e32 v2, 32, v6
	v_cmp_lt_i32_e32 vcc, v2, v8
	v_xor_b32_e32 v5, 16, v6
	v_max_f32_e32 v4, v25, v25
	v_cndmask_b32_e32 v2, v6, v2, vcc
	v_lshlrev_b32_e32 v3, 2, v2
	ds_bpermute_b32 v2, v3, v25
	v_cmp_lt_i32_e32 vcc, v5, v8
	v_xor_b32_e32 v9, 8, v6
	v_and_b32_e32 v11, 63, v0
	s_waitcnt lgkmcnt(0)
	v_max_f32_e32 v2, v2, v2
	v_max_f32_e32 v2, v4, v2
	v_cndmask_b32_e32 v4, v6, v5, vcc
	v_lshlrev_b32_e32 v5, 2, v4
	ds_bpermute_b32 v4, v5, v2
	v_cmp_lt_i32_e32 vcc, v9, v8
	s_waitcnt lgkmcnt(0)
	v_max_f32_e32 v4, v4, v4
	v_max_f32_e32 v4, v2, v4
	v_cndmask_b32_e32 v2, v6, v9, vcc
	v_lshlrev_b32_e32 v12, 2, v2
	ds_bpermute_b32 v9, v12, v4
	v_cmp_eq_u32_e32 vcc, 0, v11
	v_lshlrev_b32_e32 v2, 2, v1
	s_and_saveexec_b64 s[0:1], vcc
	s_cbranch_execz .LBB122_14
; %bb.13:
	s_waitcnt lgkmcnt(0)
	v_max_f32_e32 v9, v9, v9
	v_max_f32_e32 v4, v4, v4
	;; [unrolled: 1-line block ×3, first 2 shown]
	ds_write_b32 v2, v4 offset:240
.LBB122_14:
	s_or_b64 exec, exec, s[0:1]
	v_cmp_gt_u32_e64 s[0:1], 2, v11
	v_mov_b32_e32 v13, 0xff7fffff
	v_lshlrev_b32_e32 v4, 2, v11
	s_waitcnt lgkmcnt(0)
	s_barrier
	s_and_saveexec_b64 s[6:7], s[0:1]
	s_cbranch_execz .LBB122_16
; %bb.15:
	ds_read_b32 v13, v4 offset:240
.LBB122_16:
	s_or_b64 exec, exec, s[6:7]
	v_xor_b32_e32 v9, 1, v6
	v_cmp_lt_i32_e64 s[6:7], v9, v8
	v_lshlrev_b32_e32 v15, 2, v6
	s_nop 0
	v_cndmask_b32_e64 v9, v6, v9, s[6:7]
	v_lshlrev_b32_e32 v9, 2, v9
	s_waitcnt lgkmcnt(0)
	ds_bpermute_b32 v14, v9, v13
	v_max_f32_e32 v13, v13, v13
	s_lshl_b32 s6, s19, 3
	s_min_i32 s12, s6, s33
	v_cmp_gt_i32_e64 s[6:7], s12, v0
	s_waitcnt lgkmcnt(0)
	v_max_f32_e32 v14, v14, v14
	v_max_f32_e32 v14, v13, v14
	v_and_b32_e32 v13, 0xffffff00, v15
	ds_bpermute_b32 v15, v13, v14
	v_mov_b32_e32 v14, 0
	s_and_saveexec_b64 s[28:29], s[6:7]
	s_cbranch_execz .LBB122_20
; %bb.17:
	v_mov_b32_e32 v14, 0x100
	v_lshl_add_u32 v16, v0, 2, v14
	s_mov_b64 s[30:31], 0
	v_mov_b32_e32 v14, 0
	v_mov_b32_e32 v17, v0
.LBB122_18:                             ; =>This Inner Loop Header: Depth=1
	ds_read_b32 v18, v16
	v_add_u32_e32 v17, 0x80, v17
	v_cmp_le_i32_e64 s[10:11], s12, v17
	s_or_b64 s[30:31], s[10:11], s[30:31]
	s_waitcnt lgkmcnt(0)
	v_sub_f32_e32 v18, v18, v15
	v_mul_f32_e32 v18, 0x3fb8aa3b, v18
	v_exp_f32_e32 v18, v18
	ds_write_b32 v16, v18
	v_add_f32_e32 v14, v14, v18
	v_add_u32_e32 v16, 0x200, v16
	s_andn2_b64 exec, exec, s[30:31]
	s_cbranch_execnz .LBB122_18
; %bb.19:
	s_or_b64 exec, exec, s[30:31]
.LBB122_20:
	s_or_b64 exec, exec, s[28:29]
	ds_bpermute_b32 v3, v3, v14
	s_waitcnt lgkmcnt(0)
	v_add_f32_e32 v3, v14, v3
	ds_bpermute_b32 v5, v5, v3
	s_waitcnt lgkmcnt(0)
	v_add_f32_e32 v3, v3, v5
	ds_bpermute_b32 v5, v12, v3
	v_xor_b32_e32 v12, 4, v6
	v_cmp_lt_i32_e64 s[10:11], v12, v8
	s_waitcnt lgkmcnt(0)
	v_add_f32_e32 v3, v3, v5
	v_cndmask_b32_e64 v12, v6, v12, s[10:11]
	v_lshlrev_b32_e32 v12, 2, v12
	ds_bpermute_b32 v5, v12, v3
	v_xor_b32_e32 v12, 2, v6
	v_cmp_lt_i32_e64 s[10:11], v12, v8
	s_waitcnt lgkmcnt(0)
	v_add_f32_e32 v3, v3, v5
	v_cndmask_b32_e64 v6, v6, v12, s[10:11]
	v_lshlrev_b32_e32 v5, 2, v6
	ds_bpermute_b32 v5, v5, v3
	s_waitcnt lgkmcnt(0)
	v_add_f32_e32 v3, v3, v5
	ds_bpermute_b32 v5, v9, v3
	s_waitcnt lgkmcnt(0)
	v_add_f32_e32 v3, v3, v5
	s_and_saveexec_b64 s[10:11], vcc
	s_cbranch_execz .LBB122_22
; %bb.21:
	ds_write_b32 v2, v3 offset:248
.LBB122_22:
	s_or_b64 exec, exec, s[10:11]
	s_waitcnt lgkmcnt(0)
	s_barrier
	s_and_saveexec_b64 s[10:11], s[0:1]
	s_cbranch_execz .LBB122_24
; %bb.23:
	ds_read_b32 v3, v4 offset:248
.LBB122_24:
	s_or_b64 exec, exec, s[10:11]
	s_waitcnt lgkmcnt(0)
	ds_bpermute_b32 v2, v9, v3
	s_waitcnt lgkmcnt(0)
	v_add_f32_e32 v2, v3, v2
	ds_bpermute_b32 v2, v13, v2
	s_and_saveexec_b64 s[0:1], s[6:7]
	s_cbranch_execz .LBB122_37
; %bb.25:
	s_waitcnt lgkmcnt(0)
	v_add_f32_e32 v2, 0x358637bd, v2
	v_div_scale_f32 v3, s[6:7], v2, v2, 1.0
	v_rcp_f32_e32 v4, v3
	v_div_scale_f32 v5, vcc, 1.0, v2, 1.0
	s_movk_i32 s6, 0x7f
	v_fma_f32 v6, -v3, v4, 1.0
	v_fmac_f32_e32 v4, v6, v4
	v_mul_f32_e32 v6, v5, v4
	v_fma_f32 v8, -v3, v6, v5
	v_fmac_f32_e32 v6, v8, v4
	v_fma_f32 v3, -v3, v6, v5
	v_div_fmas_f32 v3, v3, v4, v6
	v_xad_u32 v4, v0, -1, s12
	v_div_fixup_f32 v2, v3, v2, 1.0
	v_cmp_lt_u32_e32 vcc, s6, v4
	s_mov_b64 s[10:11], -1
	v_mov_b32_e32 v3, v0
	s_and_saveexec_b64 s[6:7], vcc
	s_cbranch_execz .LBB122_34
; %bb.26:
	v_lshrrev_b32_e32 v4, 7, v4
	v_add_u32_e32 v6, -1, v4
	v_lshrrev_b32_e32 v5, 1, v6
	v_mov_b32_e32 v3, v2
	v_add_u32_e32 v5, 1, v5
	v_cmp_lt_u32_e32 vcc, 13, v6
	v_mov_b32_e32 v9, 0
	s_and_saveexec_b64 s[10:11], vcc
	s_cbranch_execz .LBB122_30
; %bb.27:
	v_mov_b32_e32 v8, 0x100
	v_and_b32_e32 v6, -8, v5
	v_lshl_add_u32 v8, v0, 2, v8
	s_mov_b32 s15, 0
	s_mov_b64 s[28:29], 0
.LBB122_28:                             ; =>This Inner Loop Header: Depth=1
	ds_read2st64_b32 v[12:13], v8 offset1:2
	ds_read2st64_b32 v[14:15], v8 offset0:4 offset1:6
	ds_read2st64_b32 v[16:17], v8 offset0:8 offset1:10
	;; [unrolled: 1-line block ×3, first 2 shown]
	v_add_u32_e32 v6, -8, v6
	s_waitcnt lgkmcnt(3)
	v_pk_mul_f32 v[12:13], v[2:3], v[12:13]
	s_waitcnt lgkmcnt(2)
	v_pk_mul_f32 v[14:15], v[2:3], v[14:15]
	ds_write2st64_b32 v8, v12, v13 offset1:2
	ds_write2st64_b32 v8, v14, v15 offset0:4 offset1:6
	ds_read2st64_b32 v[14:15], v8 offset0:16 offset1:18
	s_waitcnt lgkmcnt(4)
	v_pk_mul_f32 v[12:13], v[2:3], v[16:17]
	ds_write2st64_b32 v8, v12, v13 offset0:8 offset1:10
	s_waitcnt lgkmcnt(4)
	v_pk_mul_f32 v[12:13], v[2:3], v[18:19]
	ds_write2st64_b32 v8, v12, v13 offset0:12 offset1:14
	ds_read2st64_b32 v[12:13], v8 offset0:20 offset1:22
	s_waitcnt lgkmcnt(3)
	v_pk_mul_f32 v[14:15], v[2:3], v[14:15]
	ds_read2st64_b32 v[16:17], v8 offset0:24 offset1:26
	ds_write2st64_b32 v8, v14, v15 offset0:16 offset1:18
	ds_read2st64_b32 v[14:15], v8 offset0:28 offset1:30
	s_waitcnt lgkmcnt(3)
	v_pk_mul_f32 v[12:13], v[2:3], v[12:13]
	ds_write2st64_b32 v8, v12, v13 offset0:20 offset1:22
	s_waitcnt lgkmcnt(3)
	v_pk_mul_f32 v[12:13], v[2:3], v[16:17]
	ds_write2st64_b32 v8, v12, v13 offset0:24 offset1:26
	s_waitcnt lgkmcnt(2)
	v_pk_mul_f32 v[12:13], v[2:3], v[14:15]
	s_add_i32 s15, s15, 16
	v_cmp_eq_u32_e32 vcc, 0, v6
	ds_write2st64_b32 v8, v12, v13 offset0:28 offset1:30
	v_add_u32_e32 v8, 0x2000, v8
	s_or_b64 s[28:29], vcc, s[28:29]
	v_mov_b32_e32 v9, s15
	s_andn2_b64 exec, exec, s[28:29]
	s_cbranch_execnz .LBB122_28
; %bb.29:
	s_or_b64 exec, exec, s[28:29]
.LBB122_30:
	s_or_b64 exec, exec, s[10:11]
	v_and_b32_e32 v5, 7, v5
	v_cmp_ne_u32_e32 vcc, 0, v5
	s_and_saveexec_b64 s[10:11], vcc
	s_cbranch_execz .LBB122_33
; %bb.31:
	v_lshlrev_b32_e32 v6, 9, v9
	v_lshlrev_b32_e32 v8, 2, v0
	s_movk_i32 s15, 0x100
	v_add3_u32 v6, v6, v8, s15
	s_mov_b64 s[28:29], 0
.LBB122_32:                             ; =>This Inner Loop Header: Depth=1
	ds_read2st64_b32 v[8:9], v6 offset1:2
	v_add_u32_e32 v5, -1, v5
	v_cmp_eq_u32_e32 vcc, 0, v5
	s_or_b64 s[28:29], vcc, s[28:29]
	s_waitcnt lgkmcnt(0)
	v_pk_mul_f32 v[8:9], v[2:3], v[8:9]
	ds_write2st64_b32 v6, v8, v9 offset1:2
	v_add_u32_e32 v6, 0x400, v6
	s_andn2_b64 exec, exec, s[28:29]
	s_cbranch_execnz .LBB122_32
.LBB122_33:
	s_or_b64 exec, exec, s[10:11]
	v_add_u32_e32 v4, 1, v4
	v_and_b32_e32 v5, 0x3fffffe, v4
	v_cmp_ne_u32_e32 vcc, v4, v5
	v_lshl_add_u32 v3, v5, 7, v0
	s_orn2_b64 s[10:11], vcc, exec
.LBB122_34:
	s_or_b64 exec, exec, s[6:7]
	s_and_b64 exec, exec, s[10:11]
	s_cbranch_execz .LBB122_37
; %bb.35:
	v_mov_b32_e32 v4, 0x100
	v_lshl_add_u32 v4, v3, 2, v4
	s_mov_b64 s[6:7], 0
.LBB122_36:                             ; =>This Inner Loop Header: Depth=1
	ds_read_b32 v5, v4
	v_add_u32_e32 v3, 0x80, v3
	v_cmp_le_i32_e32 vcc, s12, v3
	s_or_b64 s[6:7], vcc, s[6:7]
	s_waitcnt lgkmcnt(0)
	v_mul_f32_e32 v5, v2, v5
	ds_write_b32 v4, v5
	v_add_u32_e32 v4, 0x200, v4
	s_andn2_b64 exec, exec, s[6:7]
	s_cbranch_execnz .LBB122_36
.LBB122_37:
	s_or_b64 exec, exec, s[0:1]
	v_mov_b32_e32 v13, 0
	v_mov_b32_e32 v6, v13
	s_waitcnt lgkmcnt(0)
	s_barrier
	s_and_saveexec_b64 s[6:7], s[2:3]
	s_cbranch_execz .LBB122_143
; %bb.38:
	s_ashr_i32 s15, s14, 31
	s_lshl_b64 s[0:1], s[14:15], 1
	s_add_u32 s10, s26, s0
	v_or_b32_e32 v3, 64, v11
	s_movk_i32 s0, 0x78
	s_addc_u32 s11, s27, s1
	s_add_i32 s26, s19, -1
	v_cmp_gt_u32_e32 vcc, s0, v3
	s_lshl_b64 s[0:1], s[24:25], 2
	s_add_u32 s0, s22, s0
	v_lshlrev_b32_e32 v2, 3, v11
	v_mov_b32_e32 v15, 0
	v_lshlrev_b32_e32 v4, 3, v3
	v_mov_b32_e32 v3, 0x100
	v_and_b32_e32 v14, 60, v7
	s_addc_u32 s1, s23, s1
	s_mov_b32 s28, s13
	v_lshl_or_b32 v20, v1, 3, 7
	v_lshl_add_u32 v21, v1, 5, v3
	v_lshl_add_u64 v[16:17], s[0:1], 0, v[14:15]
	s_mov_b64 s[12:13], 0
	s_mov_b32 s24, 0x7f800000
	s_movk_i32 s25, 0x7fff
	v_lshlrev_b32_e32 v14, 1, v2
	v_lshlrev_b32_e32 v18, 1, v4
	v_mov_b32_e32 v12, v15
	v_mov_b32_e32 v13, v15
	s_branch .LBB122_41
.LBB122_39:                             ;   in Loop: Header=BB122_41 Depth=1
	s_or_b64 exec, exec, s[2:3]
	v_and_b32_e32 v23, 0xffff0000, v22
	v_and_b32_e32 v22, 0xffff0000, v9
	;; [unrolled: 1-line block ×6, first 2 shown]
	v_pk_add_f32 v[2:3], v[2:3], v[8:9]
	v_and_b32_e32 v5, 0xffff0000, v5
	v_and_b32_e32 v4, 0xffff0000, v4
	v_mov_b32_e32 v8, v3
	v_pk_add_f32 v[2:3], v[2:3], v[8:9]
	v_pk_add_f32 v[4:5], v[4:5], v[22:23]
	s_nop 0
	v_pk_add_f32 v[2:3], v[2:3], v[4:5]
	v_mov_b32_e32 v4, v5
	v_pk_add_f32 v[2:3], v[2:3], v[4:5]
	s_nop 0
	v_mov_b32_e32 v3, v2
	v_pk_add_f32 v[12:13], v[12:13], v[2:3]
.LBB122_40:                             ;   in Loop: Header=BB122_41 Depth=1
	s_or_b64 exec, exec, s[14:15]
	v_add_u32_e32 v1, 2, v1
	v_cmp_le_i32_e64 s[0:1], s19, v1
	v_add_u32_e32 v20, 16, v20
	v_add_u32_e32 v21, 64, v21
	v_lshl_add_u64 v[16:17], v[16:17], 0, 8
	s_or_b64 s[12:13], s[0:1], s[12:13]
	v_mov_b32_e32 v12, v6
	s_andn2_b64 exec, exec, s[12:13]
	s_cbranch_execz .LBB122_142
.LBB122_41:                             ; =>This Inner Loop Header: Depth=1
	global_load_dword v22, v[16:17], off
	ds_read2_b64 v[6:9], v21 offset1:1
	ds_read2_b64 v[2:5], v21 offset0:2 offset1:3
                                        ; implicit-def: $vgpr23
	s_waitcnt lgkmcnt(1)
	v_and_b32_e32 v19, 0x7f800000, v6
	v_cmp_ne_u32_e64 s[0:1], s24, v19
	s_and_saveexec_b64 s[2:3], s[0:1]
	s_xor_b64 s[0:1], exec, s[2:3]
; %bb.42:                               ;   in Loop: Header=BB122_41 Depth=1
	v_bfe_u32 v19, v6, 16, 1
	v_add3_u32 v23, v6, v19, s25
; %bb.43:                               ;   in Loop: Header=BB122_41 Depth=1
	s_andn2_saveexec_b64 s[2:3], s[0:1]
; %bb.44:                               ;   in Loop: Header=BB122_41 Depth=1
	v_or_b32_e32 v19, 0x10000, v6
	v_cmp_eq_u32_sdwa s[0:1], v6, v15 src0_sel:WORD_0 src1_sel:DWORD
	s_nop 1
	v_cndmask_b32_e64 v23, v19, v6, s[0:1]
; %bb.45:                               ;   in Loop: Header=BB122_41 Depth=1
	s_or_b64 exec, exec, s[2:3]
	v_and_b32_e32 v6, 0x7f800000, v7
	v_cmp_ne_u32_e64 s[0:1], s24, v6
                                        ; implicit-def: $vgpr24
	s_and_saveexec_b64 s[2:3], s[0:1]
	s_xor_b64 s[0:1], exec, s[2:3]
; %bb.46:                               ;   in Loop: Header=BB122_41 Depth=1
	v_bfe_u32 v6, v7, 16, 1
	v_add3_u32 v24, v7, v6, s25
; %bb.47:                               ;   in Loop: Header=BB122_41 Depth=1
	s_andn2_saveexec_b64 s[2:3], s[0:1]
; %bb.48:                               ;   in Loop: Header=BB122_41 Depth=1
	v_or_b32_e32 v6, 0x10000, v7
	v_cmp_eq_u32_sdwa s[0:1], v7, v15 src0_sel:WORD_0 src1_sel:DWORD
	s_nop 1
	v_cndmask_b32_e64 v24, v6, v7, s[0:1]
; %bb.49:                               ;   in Loop: Header=BB122_41 Depth=1
	s_or_b64 exec, exec, s[2:3]
	v_and_b32_e32 v6, 0x7f800000, v8
	v_cmp_ne_u32_e64 s[0:1], s24, v6
                                        ; implicit-def: $vgpr25
	s_and_saveexec_b64 s[2:3], s[0:1]
	s_xor_b64 s[0:1], exec, s[2:3]
; %bb.50:                               ;   in Loop: Header=BB122_41 Depth=1
	v_bfe_u32 v6, v8, 16, 1
	v_add3_u32 v25, v8, v6, s25
; %bb.51:                               ;   in Loop: Header=BB122_41 Depth=1
	s_andn2_saveexec_b64 s[2:3], s[0:1]
; %bb.52:                               ;   in Loop: Header=BB122_41 Depth=1
	v_or_b32_e32 v6, 0x10000, v8
	v_cmp_eq_u32_sdwa s[0:1], v8, v15 src0_sel:WORD_0 src1_sel:DWORD
	s_nop 1
	v_cndmask_b32_e64 v25, v6, v8, s[0:1]
; %bb.53:                               ;   in Loop: Header=BB122_41 Depth=1
	s_or_b64 exec, exec, s[2:3]
	v_and_b32_e32 v6, 0x7f800000, v9
	v_cmp_ne_u32_e64 s[0:1], s24, v6
                                        ; implicit-def: $vgpr26
	s_and_saveexec_b64 s[2:3], s[0:1]
	s_xor_b64 s[0:1], exec, s[2:3]
; %bb.54:                               ;   in Loop: Header=BB122_41 Depth=1
	v_bfe_u32 v6, v9, 16, 1
	v_add3_u32 v26, v9, v6, s25
                                        ; implicit-def: $vgpr6_vgpr7_vgpr8_vgpr9
; %bb.55:                               ;   in Loop: Header=BB122_41 Depth=1
	s_andn2_saveexec_b64 s[2:3], s[0:1]
; %bb.56:                               ;   in Loop: Header=BB122_41 Depth=1
	v_or_b32_e32 v6, 0x10000, v9
	v_cmp_eq_u32_sdwa s[0:1], v9, v15 src0_sel:WORD_0 src1_sel:DWORD
	s_nop 1
	v_cndmask_b32_e64 v26, v6, v9, s[0:1]
; %bb.57:                               ;   in Loop: Header=BB122_41 Depth=1
	s_or_b64 exec, exec, s[2:3]
	s_waitcnt lgkmcnt(0)
	v_and_b32_e32 v6, 0x7f800000, v2
	v_cmp_ne_u32_e64 s[0:1], s24, v6
                                        ; implicit-def: $vgpr27
	s_and_saveexec_b64 s[2:3], s[0:1]
	s_xor_b64 s[0:1], exec, s[2:3]
; %bb.58:                               ;   in Loop: Header=BB122_41 Depth=1
	v_bfe_u32 v6, v2, 16, 1
	v_add3_u32 v27, v2, v6, s25
; %bb.59:                               ;   in Loop: Header=BB122_41 Depth=1
	s_andn2_saveexec_b64 s[2:3], s[0:1]
; %bb.60:                               ;   in Loop: Header=BB122_41 Depth=1
	v_or_b32_e32 v6, 0x10000, v2
	v_cmp_eq_u32_sdwa s[0:1], v2, v15 src0_sel:WORD_0 src1_sel:DWORD
	s_nop 1
	v_cndmask_b32_e64 v27, v6, v2, s[0:1]
; %bb.61:                               ;   in Loop: Header=BB122_41 Depth=1
	s_or_b64 exec, exec, s[2:3]
	v_and_b32_e32 v2, 0x7f800000, v3
	v_cmp_ne_u32_e64 s[0:1], s24, v2
                                        ; implicit-def: $vgpr19
	s_and_saveexec_b64 s[2:3], s[0:1]
	s_xor_b64 s[0:1], exec, s[2:3]
; %bb.62:                               ;   in Loop: Header=BB122_41 Depth=1
	v_bfe_u32 v2, v3, 16, 1
	v_add3_u32 v19, v3, v2, s25
; %bb.63:                               ;   in Loop: Header=BB122_41 Depth=1
	s_andn2_saveexec_b64 s[2:3], s[0:1]
; %bb.64:                               ;   in Loop: Header=BB122_41 Depth=1
	v_or_b32_e32 v2, 0x10000, v3
	v_cmp_eq_u32_sdwa s[0:1], v3, v15 src0_sel:WORD_0 src1_sel:DWORD
	s_nop 1
	v_cndmask_b32_e64 v19, v2, v3, s[0:1]
; %bb.65:                               ;   in Loop: Header=BB122_41 Depth=1
	s_or_b64 exec, exec, s[2:3]
	v_and_b32_e32 v2, 0x7f800000, v4
	v_cmp_ne_u32_e64 s[0:1], s24, v2
                                        ; implicit-def: $vgpr7
	s_and_saveexec_b64 s[2:3], s[0:1]
	s_xor_b64 s[0:1], exec, s[2:3]
; %bb.66:                               ;   in Loop: Header=BB122_41 Depth=1
	v_bfe_u32 v2, v4, 16, 1
	v_add3_u32 v7, v4, v2, s25
; %bb.67:                               ;   in Loop: Header=BB122_41 Depth=1
	s_andn2_saveexec_b64 s[2:3], s[0:1]
; %bb.68:                               ;   in Loop: Header=BB122_41 Depth=1
	v_or_b32_e32 v2, 0x10000, v4
	v_cmp_eq_u32_sdwa s[0:1], v4, v15 src0_sel:WORD_0 src1_sel:DWORD
	s_nop 1
	v_cndmask_b32_e64 v7, v2, v4, s[0:1]
; %bb.69:                               ;   in Loop: Header=BB122_41 Depth=1
	s_or_b64 exec, exec, s[2:3]
	v_and_b32_e32 v2, 0x7f800000, v5
	v_cmp_ne_u32_e64 s[0:1], s24, v2
                                        ; implicit-def: $vgpr6
	s_and_saveexec_b64 s[2:3], s[0:1]
	s_xor_b64 s[0:1], exec, s[2:3]
; %bb.70:                               ;   in Loop: Header=BB122_41 Depth=1
	v_bfe_u32 v2, v5, 16, 1
	v_add3_u32 v6, v5, v2, s25
                                        ; implicit-def: $vgpr2_vgpr3_vgpr4_vgpr5
; %bb.71:                               ;   in Loop: Header=BB122_41 Depth=1
	s_andn2_saveexec_b64 s[2:3], s[0:1]
; %bb.72:                               ;   in Loop: Header=BB122_41 Depth=1
	v_or_b32_e32 v2, 0x10000, v5
	v_cmp_eq_u32_sdwa s[0:1], v5, v15 src0_sel:WORD_0 src1_sel:DWORD
	s_nop 1
	v_cndmask_b32_e64 v6, v2, v5, s[0:1]
; %bb.73:                               ;   in Loop: Header=BB122_41 Depth=1
	s_or_b64 exec, exec, s[2:3]
	s_waitcnt vmcnt(0)
	v_mad_i64_i32 v[2:3], s[0:1], v22, s28, 0
	v_lshl_add_u64 v[8:9], v[2:3], 1, s[10:11]
	v_lshl_add_u64 v[2:3], v[8:9], 0, v[14:15]
	global_load_dwordx4 v[2:5], v[2:3], off
	v_add_u32_e32 v22, -7, v20
	v_cmp_eq_u32_e64 s[2:3], s26, v1
	s_waitcnt vmcnt(0)
	v_lshrrev_b32_e32 v30, 16, v2
	v_lshrrev_b32_e32 v28, 16, v3
	;; [unrolled: 1-line block ×4, first 2 shown]
	s_and_saveexec_b64 s[14:15], s[2:3]
	s_cbranch_execz .LBB122_75
; %bb.74:                               ;   in Loop: Header=BB122_41 Depth=1
	v_cmp_gt_i32_e64 s[0:1], s33, v22
	v_add_u32_e32 v32, -6, v20
	s_nop 0
	v_cndmask_b32_e64 v2, 0, v2, s[0:1]
	v_cmp_gt_i32_e64 s[0:1], s33, v32
	v_add_u32_e32 v32, -5, v20
	s_nop 0
	v_cndmask_b32_e64 v30, 0, v30, s[0:1]
	;; [unrolled: 4-line block ×6, first 2 shown]
	v_cmp_gt_i32_e64 s[0:1], s33, v32
	s_nop 1
	v_cndmask_b32_e64 v5, 0, v5, s[0:1]
	v_cmp_gt_i32_e64 s[0:1], s33, v20
	s_nop 1
	v_cndmask_b32_e64 v31, 0, v31, s[0:1]
.LBB122_75:                             ;   in Loop: Header=BB122_41 Depth=1
	s_or_b64 exec, exec, s[14:15]
	v_and_b32_e32 v23, 0xffff0000, v23
	v_lshlrev_b32_e32 v2, 16, v2
	v_mul_f32_e32 v32, v23, v2
	v_and_b32_e32 v2, 0x7f800000, v32
	v_cmp_ne_u32_e64 s[0:1], s24, v2
                                        ; implicit-def: $vgpr2
	s_and_saveexec_b64 s[14:15], s[0:1]
	s_xor_b64 s[0:1], exec, s[14:15]
; %bb.76:                               ;   in Loop: Header=BB122_41 Depth=1
	v_bfe_u32 v2, v32, 16, 1
	v_add3_u32 v2, v32, v2, s25
                                        ; implicit-def: $vgpr32
; %bb.77:                               ;   in Loop: Header=BB122_41 Depth=1
	s_andn2_saveexec_b64 s[14:15], s[0:1]
; %bb.78:                               ;   in Loop: Header=BB122_41 Depth=1
	v_or_b32_e32 v2, 0x10000, v32
	v_cmp_eq_u32_sdwa s[0:1], v32, v15 src0_sel:WORD_0 src1_sel:DWORD
	s_nop 1
	v_cndmask_b32_e64 v2, v2, v32, s[0:1]
; %bb.79:                               ;   in Loop: Header=BB122_41 Depth=1
	s_or_b64 exec, exec, s[14:15]
	v_and_b32_e32 v24, 0xffff0000, v24
	v_lshlrev_b32_e32 v30, 16, v30
	v_mul_f32_e32 v30, v24, v30
	v_and_b32_e32 v32, 0x7f800000, v30
	v_cmp_ne_u32_e64 s[0:1], s24, v32
                                        ; implicit-def: $vgpr32
	s_and_saveexec_b64 s[14:15], s[0:1]
	s_xor_b64 s[0:1], exec, s[14:15]
; %bb.80:                               ;   in Loop: Header=BB122_41 Depth=1
	v_bfe_u32 v32, v30, 16, 1
	v_add3_u32 v32, v30, v32, s25
                                        ; implicit-def: $vgpr30
; %bb.81:                               ;   in Loop: Header=BB122_41 Depth=1
	s_andn2_saveexec_b64 s[14:15], s[0:1]
; %bb.82:                               ;   in Loop: Header=BB122_41 Depth=1
	v_or_b32_e32 v32, 0x10000, v30
	v_cmp_eq_u32_sdwa s[0:1], v30, v15 src0_sel:WORD_0 src1_sel:DWORD
	s_nop 1
	v_cndmask_b32_e64 v32, v32, v30, s[0:1]
; %bb.83:                               ;   in Loop: Header=BB122_41 Depth=1
	s_or_b64 exec, exec, s[14:15]
	v_and_b32_e32 v25, 0xffff0000, v25
	v_lshlrev_b32_e32 v3, 16, v3
	v_mul_f32_e32 v30, v25, v3
	v_and_b32_e32 v3, 0x7f800000, v30
	v_cmp_ne_u32_e64 s[0:1], s24, v3
                                        ; implicit-def: $vgpr3
	s_and_saveexec_b64 s[14:15], s[0:1]
	s_xor_b64 s[0:1], exec, s[14:15]
; %bb.84:                               ;   in Loop: Header=BB122_41 Depth=1
	v_bfe_u32 v3, v30, 16, 1
	v_add3_u32 v3, v30, v3, s25
                                        ; implicit-def: $vgpr30
; %bb.85:                               ;   in Loop: Header=BB122_41 Depth=1
	s_andn2_saveexec_b64 s[14:15], s[0:1]
; %bb.86:                               ;   in Loop: Header=BB122_41 Depth=1
	v_or_b32_e32 v3, 0x10000, v30
	v_cmp_eq_u32_sdwa s[0:1], v30, v15 src0_sel:WORD_0 src1_sel:DWORD
	s_nop 1
	v_cndmask_b32_e64 v3, v3, v30, s[0:1]
; %bb.87:                               ;   in Loop: Header=BB122_41 Depth=1
	s_or_b64 exec, exec, s[14:15]
	v_and_b32_e32 v26, 0xffff0000, v26
	v_lshlrev_b32_e32 v28, 16, v28
	v_mul_f32_e32 v28, v26, v28
	v_and_b32_e32 v30, 0x7f800000, v28
	v_cmp_ne_u32_e64 s[0:1], s24, v30
                                        ; implicit-def: $vgpr33
	s_and_saveexec_b64 s[14:15], s[0:1]
	s_xor_b64 s[0:1], exec, s[14:15]
; %bb.88:                               ;   in Loop: Header=BB122_41 Depth=1
	v_bfe_u32 v30, v28, 16, 1
	v_add3_u32 v33, v28, v30, s25
                                        ; implicit-def: $vgpr28
; %bb.89:                               ;   in Loop: Header=BB122_41 Depth=1
	s_andn2_saveexec_b64 s[14:15], s[0:1]
; %bb.90:                               ;   in Loop: Header=BB122_41 Depth=1
	v_or_b32_e32 v30, 0x10000, v28
	v_cmp_eq_u32_sdwa s[0:1], v28, v15 src0_sel:WORD_0 src1_sel:DWORD
	s_nop 1
	v_cndmask_b32_e64 v33, v30, v28, s[0:1]
; %bb.91:                               ;   in Loop: Header=BB122_41 Depth=1
	s_or_b64 exec, exec, s[14:15]
	v_and_b32_e32 v27, 0xffff0000, v27
	v_lshlrev_b32_e32 v4, 16, v4
	v_mul_f32_e32 v28, v27, v4
	v_and_b32_e32 v4, 0x7f800000, v28
	v_cmp_ne_u32_e64 s[0:1], s24, v4
                                        ; implicit-def: $vgpr4
	s_and_saveexec_b64 s[14:15], s[0:1]
	s_xor_b64 s[0:1], exec, s[14:15]
; %bb.92:                               ;   in Loop: Header=BB122_41 Depth=1
	v_bfe_u32 v4, v28, 16, 1
	v_add3_u32 v4, v28, v4, s25
                                        ; implicit-def: $vgpr28
; %bb.93:                               ;   in Loop: Header=BB122_41 Depth=1
	s_andn2_saveexec_b64 s[14:15], s[0:1]
; %bb.94:                               ;   in Loop: Header=BB122_41 Depth=1
	v_or_b32_e32 v4, 0x10000, v28
	v_cmp_eq_u32_sdwa s[0:1], v28, v15 src0_sel:WORD_0 src1_sel:DWORD
	s_nop 1
	v_cndmask_b32_e64 v4, v4, v28, s[0:1]
; %bb.95:                               ;   in Loop: Header=BB122_41 Depth=1
	s_or_b64 exec, exec, s[14:15]
	v_and_b32_e32 v28, 0xffff0000, v19
	v_lshlrev_b32_e32 v19, 16, v29
	v_mul_f32_e32 v29, v28, v19
	v_and_b32_e32 v19, 0x7f800000, v29
	v_cmp_ne_u32_e64 s[0:1], s24, v19
                                        ; implicit-def: $vgpr19
	s_and_saveexec_b64 s[14:15], s[0:1]
	s_xor_b64 s[0:1], exec, s[14:15]
; %bb.96:                               ;   in Loop: Header=BB122_41 Depth=1
	v_bfe_u32 v19, v29, 16, 1
	v_add3_u32 v19, v29, v19, s25
                                        ; implicit-def: $vgpr29
; %bb.97:                               ;   in Loop: Header=BB122_41 Depth=1
	s_andn2_saveexec_b64 s[14:15], s[0:1]
; %bb.98:                               ;   in Loop: Header=BB122_41 Depth=1
	v_or_b32_e32 v19, 0x10000, v29
	v_cmp_eq_u32_sdwa s[0:1], v29, v15 src0_sel:WORD_0 src1_sel:DWORD
	s_nop 1
	v_cndmask_b32_e64 v19, v19, v29, s[0:1]
; %bb.99:                               ;   in Loop: Header=BB122_41 Depth=1
	s_or_b64 exec, exec, s[14:15]
	v_and_b32_e32 v29, 0xffff0000, v7
	v_lshlrev_b32_e32 v5, 16, v5
	v_mul_f32_e32 v7, v29, v5
	v_and_b32_e32 v5, 0x7f800000, v7
	v_cmp_ne_u32_e64 s[0:1], s24, v5
                                        ; implicit-def: $vgpr5
	s_and_saveexec_b64 s[14:15], s[0:1]
	s_xor_b64 s[0:1], exec, s[14:15]
; %bb.100:                              ;   in Loop: Header=BB122_41 Depth=1
	v_bfe_u32 v5, v7, 16, 1
	v_add3_u32 v5, v7, v5, s25
                                        ; implicit-def: $vgpr7
; %bb.101:                              ;   in Loop: Header=BB122_41 Depth=1
	s_andn2_saveexec_b64 s[14:15], s[0:1]
; %bb.102:                              ;   in Loop: Header=BB122_41 Depth=1
	v_or_b32_e32 v5, 0x10000, v7
	v_cmp_eq_u32_sdwa s[0:1], v7, v15 src0_sel:WORD_0 src1_sel:DWORD
	s_nop 1
	v_cndmask_b32_e64 v5, v5, v7, s[0:1]
; %bb.103:                              ;   in Loop: Header=BB122_41 Depth=1
	s_or_b64 exec, exec, s[14:15]
	v_and_b32_e32 v30, 0xffff0000, v6
	v_lshlrev_b32_e32 v6, 16, v31
	v_mul_f32_e32 v6, v30, v6
	v_and_b32_e32 v7, 0x7f800000, v6
	v_cmp_ne_u32_e64 s[0:1], s24, v7
                                        ; implicit-def: $vgpr7
	s_and_saveexec_b64 s[14:15], s[0:1]
	s_xor_b64 s[0:1], exec, s[14:15]
; %bb.104:                              ;   in Loop: Header=BB122_41 Depth=1
	v_bfe_u32 v7, v6, 16, 1
	v_add3_u32 v7, v6, v7, s25
                                        ; implicit-def: $vgpr6
; %bb.105:                              ;   in Loop: Header=BB122_41 Depth=1
	s_andn2_saveexec_b64 s[14:15], s[0:1]
; %bb.106:                              ;   in Loop: Header=BB122_41 Depth=1
	v_or_b32_e32 v7, 0x10000, v6
	v_cmp_eq_u32_sdwa s[0:1], v6, v15 src0_sel:WORD_0 src1_sel:DWORD
	s_nop 1
	v_cndmask_b32_e64 v7, v7, v6, s[0:1]
; %bb.107:                              ;   in Loop: Header=BB122_41 Depth=1
	s_or_b64 exec, exec, s[14:15]
	v_and_b32_e32 v33, 0xffff0000, v33
	v_and_b32_e32 v32, 0xffff0000, v32
	;; [unrolled: 1-line block ×4, first 2 shown]
	v_pk_add_f32 v[2:3], v[2:3], v[32:33]
	v_and_b32_e32 v7, 0xffff0000, v7
	v_and_b32_e32 v6, 0xffff0000, v19
	;; [unrolled: 1-line block ×4, first 2 shown]
	v_mov_b32_e32 v32, v3
	v_pk_add_f32 v[2:3], v[2:3], v[32:33]
	v_pk_add_f32 v[4:5], v[4:5], v[6:7]
	s_nop 0
	v_pk_add_f32 v[2:3], v[2:3], v[4:5]
	v_mov_b32_e32 v4, v5
	v_pk_add_f32 v[2:3], v[2:3], v[4:5]
	s_nop 0
	v_pk_add_f32 v[6:7], v[12:13], v[2:3]
	s_and_saveexec_b64 s[14:15], vcc
	s_cbranch_execz .LBB122_40
; %bb.108:                              ;   in Loop: Header=BB122_41 Depth=1
	v_mov_b32_e32 v19, v15
	v_lshl_add_u64 v[2:3], v[8:9], 0, v[18:19]
	global_load_dwordx4 v[2:5], v[2:3], off
	s_waitcnt vmcnt(0)
	v_lshrrev_b32_e32 v8, 16, v2
	v_lshrrev_b32_e32 v19, 16, v3
	;; [unrolled: 1-line block ×4, first 2 shown]
	s_and_saveexec_b64 s[22:23], s[2:3]
	s_cbranch_execz .LBB122_110
; %bb.109:                              ;   in Loop: Header=BB122_41 Depth=1
	v_cmp_gt_i32_e64 s[0:1], s33, v22
	v_add_u32_e32 v22, -6, v20
	s_nop 0
	v_cndmask_b32_e64 v2, 0, v2, s[0:1]
	v_cmp_gt_i32_e64 s[0:1], s33, v22
	v_add_u32_e32 v22, -5, v20
	s_nop 0
	v_cndmask_b32_e64 v8, 0, v8, s[0:1]
	;; [unrolled: 4-line block ×6, first 2 shown]
	v_cmp_gt_i32_e64 s[0:1], s33, v22
	s_nop 1
	v_cndmask_b32_e64 v5, 0, v5, s[0:1]
	v_cmp_gt_i32_e64 s[0:1], s33, v20
	s_nop 1
	v_cndmask_b32_e64 v7, 0, v7, s[0:1]
.LBB122_110:                            ;   in Loop: Header=BB122_41 Depth=1
	s_or_b64 exec, exec, s[22:23]
	v_lshlrev_b32_e32 v2, 16, v2
	v_mul_f32_e32 v22, v23, v2
	v_and_b32_e32 v2, 0x7f800000, v22
	v_cmp_ne_u32_e64 s[0:1], s24, v2
                                        ; implicit-def: $vgpr2
	s_and_saveexec_b64 s[2:3], s[0:1]
	s_xor_b64 s[0:1], exec, s[2:3]
; %bb.111:                              ;   in Loop: Header=BB122_41 Depth=1
	v_bfe_u32 v2, v22, 16, 1
	v_add3_u32 v2, v22, v2, s25
                                        ; implicit-def: $vgpr22
; %bb.112:                              ;   in Loop: Header=BB122_41 Depth=1
	s_andn2_saveexec_b64 s[2:3], s[0:1]
; %bb.113:                              ;   in Loop: Header=BB122_41 Depth=1
	v_or_b32_e32 v2, 0x10000, v22
	v_cmp_eq_u32_sdwa s[0:1], v22, v15 src0_sel:WORD_0 src1_sel:DWORD
	s_nop 1
	v_cndmask_b32_e64 v2, v2, v22, s[0:1]
; %bb.114:                              ;   in Loop: Header=BB122_41 Depth=1
	s_or_b64 exec, exec, s[2:3]
	v_lshlrev_b32_e32 v8, 16, v8
	v_mul_f32_e32 v22, v24, v8
	v_and_b32_e32 v8, 0x7f800000, v22
	v_cmp_ne_u32_e64 s[0:1], s24, v8
                                        ; implicit-def: $vgpr8
	s_and_saveexec_b64 s[2:3], s[0:1]
	s_xor_b64 s[0:1], exec, s[2:3]
; %bb.115:                              ;   in Loop: Header=BB122_41 Depth=1
	v_bfe_u32 v8, v22, 16, 1
	v_add3_u32 v8, v22, v8, s25
                                        ; implicit-def: $vgpr22
; %bb.116:                              ;   in Loop: Header=BB122_41 Depth=1
	s_andn2_saveexec_b64 s[2:3], s[0:1]
; %bb.117:                              ;   in Loop: Header=BB122_41 Depth=1
	v_or_b32_e32 v8, 0x10000, v22
	v_cmp_eq_u32_sdwa s[0:1], v22, v15 src0_sel:WORD_0 src1_sel:DWORD
	s_nop 1
	v_cndmask_b32_e64 v8, v8, v22, s[0:1]
; %bb.118:                              ;   in Loop: Header=BB122_41 Depth=1
	s_or_b64 exec, exec, s[2:3]
	v_lshlrev_b32_e32 v3, 16, v3
	v_mul_f32_e32 v22, v25, v3
	v_and_b32_e32 v3, 0x7f800000, v22
	v_cmp_ne_u32_e64 s[0:1], s24, v3
                                        ; implicit-def: $vgpr3
	s_and_saveexec_b64 s[2:3], s[0:1]
	s_xor_b64 s[0:1], exec, s[2:3]
; %bb.119:                              ;   in Loop: Header=BB122_41 Depth=1
	v_bfe_u32 v3, v22, 16, 1
	v_add3_u32 v3, v22, v3, s25
                                        ; implicit-def: $vgpr22
; %bb.120:                              ;   in Loop: Header=BB122_41 Depth=1
	s_andn2_saveexec_b64 s[2:3], s[0:1]
; %bb.121:                              ;   in Loop: Header=BB122_41 Depth=1
	v_or_b32_e32 v3, 0x10000, v22
	v_cmp_eq_u32_sdwa s[0:1], v22, v15 src0_sel:WORD_0 src1_sel:DWORD
	s_nop 1
	v_cndmask_b32_e64 v3, v3, v22, s[0:1]
; %bb.122:                              ;   in Loop: Header=BB122_41 Depth=1
	s_or_b64 exec, exec, s[2:3]
	v_lshlrev_b32_e32 v19, 16, v19
	v_mul_f32_e32 v22, v26, v19
	v_and_b32_e32 v19, 0x7f800000, v22
	v_cmp_ne_u32_e64 s[0:1], s24, v19
                                        ; implicit-def: $vgpr19
	s_and_saveexec_b64 s[2:3], s[0:1]
	s_xor_b64 s[0:1], exec, s[2:3]
; %bb.123:                              ;   in Loop: Header=BB122_41 Depth=1
	v_bfe_u32 v19, v22, 16, 1
	v_add3_u32 v19, v22, v19, s25
                                        ; implicit-def: $vgpr22
; %bb.124:                              ;   in Loop: Header=BB122_41 Depth=1
	s_andn2_saveexec_b64 s[2:3], s[0:1]
; %bb.125:                              ;   in Loop: Header=BB122_41 Depth=1
	v_or_b32_e32 v19, 0x10000, v22
	v_cmp_eq_u32_sdwa s[0:1], v22, v15 src0_sel:WORD_0 src1_sel:DWORD
	s_nop 1
	v_cndmask_b32_e64 v19, v19, v22, s[0:1]
; %bb.126:                              ;   in Loop: Header=BB122_41 Depth=1
	s_or_b64 exec, exec, s[2:3]
	v_lshlrev_b32_e32 v4, 16, v4
	v_mul_f32_e32 v22, v27, v4
	v_and_b32_e32 v4, 0x7f800000, v22
	v_cmp_ne_u32_e64 s[0:1], s24, v4
                                        ; implicit-def: $vgpr4
	s_and_saveexec_b64 s[2:3], s[0:1]
	s_xor_b64 s[0:1], exec, s[2:3]
; %bb.127:                              ;   in Loop: Header=BB122_41 Depth=1
	v_bfe_u32 v4, v22, 16, 1
	v_add3_u32 v4, v22, v4, s25
                                        ; implicit-def: $vgpr22
; %bb.128:                              ;   in Loop: Header=BB122_41 Depth=1
	s_andn2_saveexec_b64 s[2:3], s[0:1]
; %bb.129:                              ;   in Loop: Header=BB122_41 Depth=1
	v_or_b32_e32 v4, 0x10000, v22
	v_cmp_eq_u32_sdwa s[0:1], v22, v15 src0_sel:WORD_0 src1_sel:DWORD
	s_nop 1
	v_cndmask_b32_e64 v4, v4, v22, s[0:1]
; %bb.130:                              ;   in Loop: Header=BB122_41 Depth=1
	s_or_b64 exec, exec, s[2:3]
	v_lshlrev_b32_e32 v9, 16, v9
	v_mul_f32_e32 v22, v28, v9
	v_and_b32_e32 v9, 0x7f800000, v22
	v_cmp_ne_u32_e64 s[0:1], s24, v9
                                        ; implicit-def: $vgpr9
	s_and_saveexec_b64 s[2:3], s[0:1]
	s_xor_b64 s[0:1], exec, s[2:3]
; %bb.131:                              ;   in Loop: Header=BB122_41 Depth=1
	v_bfe_u32 v9, v22, 16, 1
	v_add3_u32 v9, v22, v9, s25
                                        ; implicit-def: $vgpr22
; %bb.132:                              ;   in Loop: Header=BB122_41 Depth=1
	s_andn2_saveexec_b64 s[2:3], s[0:1]
; %bb.133:                              ;   in Loop: Header=BB122_41 Depth=1
	v_or_b32_e32 v9, 0x10000, v22
	v_cmp_eq_u32_sdwa s[0:1], v22, v15 src0_sel:WORD_0 src1_sel:DWORD
	s_nop 1
	v_cndmask_b32_e64 v9, v9, v22, s[0:1]
; %bb.134:                              ;   in Loop: Header=BB122_41 Depth=1
	s_or_b64 exec, exec, s[2:3]
	v_lshlrev_b32_e32 v5, 16, v5
	v_mul_f32_e32 v22, v29, v5
	v_and_b32_e32 v5, 0x7f800000, v22
	v_cmp_ne_u32_e64 s[0:1], s24, v5
                                        ; implicit-def: $vgpr5
	s_and_saveexec_b64 s[2:3], s[0:1]
	s_xor_b64 s[0:1], exec, s[2:3]
; %bb.135:                              ;   in Loop: Header=BB122_41 Depth=1
	v_bfe_u32 v5, v22, 16, 1
	v_add3_u32 v5, v22, v5, s25
                                        ; implicit-def: $vgpr22
; %bb.136:                              ;   in Loop: Header=BB122_41 Depth=1
	s_andn2_saveexec_b64 s[2:3], s[0:1]
; %bb.137:                              ;   in Loop: Header=BB122_41 Depth=1
	v_or_b32_e32 v5, 0x10000, v22
	v_cmp_eq_u32_sdwa s[0:1], v22, v15 src0_sel:WORD_0 src1_sel:DWORD
	s_nop 1
	v_cndmask_b32_e64 v5, v5, v22, s[0:1]
; %bb.138:                              ;   in Loop: Header=BB122_41 Depth=1
	s_or_b64 exec, exec, s[2:3]
	v_lshlrev_b32_e32 v7, 16, v7
	v_mul_f32_e32 v7, v30, v7
	v_and_b32_e32 v22, 0x7f800000, v7
	v_cmp_ne_u32_e64 s[0:1], s24, v22
                                        ; implicit-def: $vgpr22
	s_and_saveexec_b64 s[2:3], s[0:1]
	s_xor_b64 s[0:1], exec, s[2:3]
; %bb.139:                              ;   in Loop: Header=BB122_41 Depth=1
	v_bfe_u32 v22, v7, 16, 1
	v_add3_u32 v22, v7, v22, s25
                                        ; implicit-def: $vgpr7
; %bb.140:                              ;   in Loop: Header=BB122_41 Depth=1
	s_andn2_saveexec_b64 s[2:3], s[0:1]
	s_cbranch_execz .LBB122_39
; %bb.141:                              ;   in Loop: Header=BB122_41 Depth=1
	v_or_b32_e32 v22, 0x10000, v7
	v_cmp_eq_u32_sdwa s[0:1], v7, v15 src0_sel:WORD_0 src1_sel:DWORD
	s_nop 1
	v_cndmask_b32_e64 v22, v22, v7, s[0:1]
	s_branch .LBB122_39
.LBB122_142:
	s_or_b64 exec, exec, s[12:13]
.LBB122_143:
	s_or_b64 exec, exec, s[6:7]
	v_and_b32_e32 v1, 0x3c0, v0
	v_cmp_eq_u32_e32 vcc, 64, v1
	s_barrier
	s_and_saveexec_b64 s[0:1], vcc
	s_cbranch_execz .LBB122_146
; %bb.144:
	v_mov_b32_e32 v1, 0x100
	v_lshl_add_u32 v2, v11, 2, v1
	ds_write_b32 v2, v6
	s_and_b64 exec, exec, s[8:9]
	s_cbranch_execz .LBB122_146
; %bb.145:
	v_lshl_add_u32 v1, v0, 2, v1
	ds_write_b32 v1, v13
.LBB122_146:
	s_or_b64 exec, exec, s[0:1]
	v_cmp_gt_u32_e32 vcc, 64, v0
	v_or_b32_e32 v1, 64, v0
	s_waitcnt lgkmcnt(0)
	s_barrier
	s_and_saveexec_b64 s[2:3], vcc
	s_cbranch_execz .LBB122_150
; %bb.147:
	v_mov_b32_e32 v2, 0x100
	v_lshl_add_u32 v2, v0, 2, v2
	ds_read_b32 v0, v2
	s_movk_i32 s0, 0x78
	v_cmp_gt_u32_e64 s[0:1], s0, v1
	s_and_saveexec_b64 s[6:7], s[0:1]
	s_cbranch_execz .LBB122_149
; %bb.148:
	ds_read_b32 v2, v2 offset:256
	s_waitcnt lgkmcnt(0)
	v_add_f32_e32 v13, v13, v2
.LBB122_149:
	s_or_b64 exec, exec, s[6:7]
	s_waitcnt lgkmcnt(0)
	v_add_f32_e32 v6, v6, v0
.LBB122_150:
	s_or_b64 exec, exec, s[2:3]
	s_barrier
	s_and_saveexec_b64 s[0:1], vcc
	s_cbranch_execz .LBB122_161
; %bb.151:
	s_mov_b32 s0, 0x7f800000
	v_and_b32_e32 v0, 0x7f800000, v6
	v_cmp_ne_u32_e32 vcc, s0, v0
                                        ; implicit-def: $vgpr0
	s_and_saveexec_b64 s[0:1], vcc
	s_xor_b64 s[0:1], exec, s[0:1]
; %bb.152:
	v_bfe_u32 v0, v6, 16, 1
	s_movk_i32 s2, 0x7fff
	v_add3_u32 v0, v6, v0, s2
                                        ; implicit-def: $vgpr6
; %bb.153:
	s_andn2_saveexec_b64 s[0:1], s[0:1]
; %bb.154:
	v_mov_b32_e32 v0, 0
	v_or_b32_e32 v2, 0x10000, v6
	v_cmp_eq_u32_sdwa vcc, v6, v0 src0_sel:WORD_0 src1_sel:DWORD
	s_nop 1
	v_cndmask_b32_e32 v0, v2, v6, vcc
; %bb.155:
	s_or_b64 exec, exec, s[0:1]
	s_mul_i32 s0, s16, s17
	s_mul_i32 s0, s0, s5
	s_mulk_i32 s0, 0x78
	s_ashr_i32 s1, s0, 31
	s_lshl_b64 s[0:1], s[0:1], 1
	s_add_u32 s3, s20, s0
	s_mul_i32 s0, s17, s18
	s_addc_u32 s5, s21, s1
	s_ashr_i32 s1, s0, 31
	s_lshl_b64 s[0:1], s[0:1], 1
	s_add_u32 s3, s3, s0
	s_mul_i32 s0, s4, 0x78
	s_addc_u32 s5, s5, s1
	s_ashr_i32 s1, s0, 31
	s_lshl_b64 s[0:1], s[0:1], 1
	s_movk_i32 s2, 0x78
	s_add_u32 s0, s3, s0
	s_addc_u32 s1, s5, s1
	v_cmp_gt_u32_e32 vcc, s2, v1
	global_store_short_d16_hi v10, v0, s[0:1]
	s_and_b64 exec, exec, vcc
	s_cbranch_execz .LBB122_161
; %bb.156:
	s_mov_b32 s2, 0x7f800000
	v_and_b32_e32 v0, 0x7f800000, v13
	v_mov_b32_e32 v11, 0
	v_cmp_ne_u32_e32 vcc, s2, v0
                                        ; implicit-def: $vgpr2
	s_and_saveexec_b64 s[2:3], vcc
	s_xor_b64 s[2:3], exec, s[2:3]
; %bb.157:
	v_bfe_u32 v0, v13, 16, 1
	s_movk_i32 s4, 0x7fff
	v_add3_u32 v2, v13, v0, s4
                                        ; implicit-def: $vgpr13
; %bb.158:
	s_or_saveexec_b64 s[2:3], s[2:3]
	v_lshl_add_u64 v[0:1], s[0:1], 0, v[10:11]
	s_xor_b64 exec, exec, s[2:3]
; %bb.159:
	v_mov_b32_e32 v2, 0
	v_or_b32_e32 v3, 0x10000, v13
	v_cmp_eq_u32_sdwa vcc, v13, v2 src0_sel:WORD_0 src1_sel:DWORD
	s_nop 1
	v_cndmask_b32_e32 v2, v3, v13, vcc
; %bb.160:
	s_or_b64 exec, exec, s[2:3]
	global_store_short_d16_hi v[0:1], v2, off offset:128
.LBB122_161:
	s_endpgm
	.section	.rodata,"a",@progbits
	.p2align	6, 0x0
	.amdhsa_kernel _ZN4vllm25paged_attention_v1_kernelI14__hip_bfloat16S1_Li120ELi8ELi128ELNS_18Fp8KVCacheDataTypeE0ELb0EEEvPT_PKS3_PKT0_S9_ifPKiSB_iPKfiiiSD_SD_iiiii
		.amdhsa_group_segment_fixed_size 256
		.amdhsa_private_segment_fixed_size 0
		.amdhsa_kernarg_size 384
		.amdhsa_user_sgpr_count 2
		.amdhsa_user_sgpr_dispatch_ptr 0
		.amdhsa_user_sgpr_queue_ptr 0
		.amdhsa_user_sgpr_kernarg_segment_ptr 1
		.amdhsa_user_sgpr_dispatch_id 0
		.amdhsa_user_sgpr_kernarg_preload_length 0
		.amdhsa_user_sgpr_kernarg_preload_offset 0
		.amdhsa_user_sgpr_private_segment_size 0
		.amdhsa_uses_dynamic_stack 0
		.amdhsa_enable_private_segment 0
		.amdhsa_system_sgpr_workgroup_id_x 1
		.amdhsa_system_sgpr_workgroup_id_y 1
		.amdhsa_system_sgpr_workgroup_id_z 1
		.amdhsa_system_sgpr_workgroup_info 0
		.amdhsa_system_vgpr_workitem_id 0
		.amdhsa_next_free_vgpr 49
		.amdhsa_next_free_sgpr 36
		.amdhsa_accum_offset 52
		.amdhsa_reserve_vcc 1
		.amdhsa_float_round_mode_32 0
		.amdhsa_float_round_mode_16_64 0
		.amdhsa_float_denorm_mode_32 3
		.amdhsa_float_denorm_mode_16_64 3
		.amdhsa_dx10_clamp 1
		.amdhsa_ieee_mode 1
		.amdhsa_fp16_overflow 0
		.amdhsa_tg_split 0
		.amdhsa_exception_fp_ieee_invalid_op 0
		.amdhsa_exception_fp_denorm_src 0
		.amdhsa_exception_fp_ieee_div_zero 0
		.amdhsa_exception_fp_ieee_overflow 0
		.amdhsa_exception_fp_ieee_underflow 0
		.amdhsa_exception_fp_ieee_inexact 0
		.amdhsa_exception_int_div_zero 0
	.end_amdhsa_kernel
	.section	.text._ZN4vllm25paged_attention_v1_kernelI14__hip_bfloat16S1_Li120ELi8ELi128ELNS_18Fp8KVCacheDataTypeE0ELb0EEEvPT_PKS3_PKT0_S9_ifPKiSB_iPKfiiiSD_SD_iiiii,"axG",@progbits,_ZN4vllm25paged_attention_v1_kernelI14__hip_bfloat16S1_Li120ELi8ELi128ELNS_18Fp8KVCacheDataTypeE0ELb0EEEvPT_PKS3_PKT0_S9_ifPKiSB_iPKfiiiSD_SD_iiiii,comdat
.Lfunc_end122:
	.size	_ZN4vllm25paged_attention_v1_kernelI14__hip_bfloat16S1_Li120ELi8ELi128ELNS_18Fp8KVCacheDataTypeE0ELb0EEEvPT_PKS3_PKT0_S9_ifPKiSB_iPKfiiiSD_SD_iiiii, .Lfunc_end122-_ZN4vllm25paged_attention_v1_kernelI14__hip_bfloat16S1_Li120ELi8ELi128ELNS_18Fp8KVCacheDataTypeE0ELb0EEEvPT_PKS3_PKT0_S9_ifPKiSB_iPKfiiiSD_SD_iiiii
                                        ; -- End function
	.section	.AMDGPU.csdata,"",@progbits
; Kernel info:
; codeLenInByte = 6296
; NumSgprs: 42
; NumVgprs: 49
; NumAgprs: 0
; TotalNumVgprs: 49
; ScratchSize: 0
; MemoryBound: 0
; FloatMode: 240
; IeeeMode: 1
; LDSByteSize: 256 bytes/workgroup (compile time only)
; SGPRBlocks: 5
; VGPRBlocks: 6
; NumSGPRsForWavesPerEU: 42
; NumVGPRsForWavesPerEU: 49
; AccumOffset: 52
; Occupancy: 8
; WaveLimiterHint : 1
; COMPUTE_PGM_RSRC2:SCRATCH_EN: 0
; COMPUTE_PGM_RSRC2:USER_SGPR: 2
; COMPUTE_PGM_RSRC2:TRAP_HANDLER: 0
; COMPUTE_PGM_RSRC2:TGID_X_EN: 1
; COMPUTE_PGM_RSRC2:TGID_Y_EN: 1
; COMPUTE_PGM_RSRC2:TGID_Z_EN: 1
; COMPUTE_PGM_RSRC2:TIDIG_COMP_CNT: 0
; COMPUTE_PGM_RSRC3_GFX90A:ACCUM_OFFSET: 12
; COMPUTE_PGM_RSRC3_GFX90A:TG_SPLIT: 0
	.section	.text._ZN4vllm25paged_attention_v1_kernelI14__hip_bfloat16S1_Li128ELi8ELi128ELNS_18Fp8KVCacheDataTypeE0ELb0EEEvPT_PKS3_PKT0_S9_ifPKiSB_iPKfiiiSD_SD_iiiii,"axG",@progbits,_ZN4vllm25paged_attention_v1_kernelI14__hip_bfloat16S1_Li128ELi8ELi128ELNS_18Fp8KVCacheDataTypeE0ELb0EEEvPT_PKS3_PKT0_S9_ifPKiSB_iPKfiiiSD_SD_iiiii,comdat
	.protected	_ZN4vllm25paged_attention_v1_kernelI14__hip_bfloat16S1_Li128ELi8ELi128ELNS_18Fp8KVCacheDataTypeE0ELb0EEEvPT_PKS3_PKT0_S9_ifPKiSB_iPKfiiiSD_SD_iiiii ; -- Begin function _ZN4vllm25paged_attention_v1_kernelI14__hip_bfloat16S1_Li128ELi8ELi128ELNS_18Fp8KVCacheDataTypeE0ELb0EEEvPT_PKS3_PKT0_S9_ifPKiSB_iPKfiiiSD_SD_iiiii
	.globl	_ZN4vllm25paged_attention_v1_kernelI14__hip_bfloat16S1_Li128ELi8ELi128ELNS_18Fp8KVCacheDataTypeE0ELb0EEEvPT_PKS3_PKT0_S9_ifPKiSB_iPKfiiiSD_SD_iiiii
	.p2align	8
	.type	_ZN4vllm25paged_attention_v1_kernelI14__hip_bfloat16S1_Li128ELi8ELi128ELNS_18Fp8KVCacheDataTypeE0ELb0EEEvPT_PKS3_PKT0_S9_ifPKiSB_iPKfiiiSD_SD_iiiii,@function
_ZN4vllm25paged_attention_v1_kernelI14__hip_bfloat16S1_Li128ELi8ELi128ELNS_18Fp8KVCacheDataTypeE0ELb0EEEvPT_PKS3_PKT0_S9_ifPKiSB_iPKfiiiSD_SD_iiiii: ; @_ZN4vllm25paged_attention_v1_kernelI14__hip_bfloat16S1_Li128ELi8ELi128ELNS_18Fp8KVCacheDataTypeE0ELb0EEEvPT_PKS3_PKT0_S9_ifPKiSB_iPKfiiiSD_SD_iiiii
; %bb.0:
	s_load_dword s5, s[0:1], 0x80
	s_load_dwordx2 s[6:7], s[0:1], 0x30
	s_load_dwordx2 s[8:9], s[0:1], 0x20
	s_mov_b32 s10, s3
	s_ashr_i32 s11, s3, 31
	s_lshl_b64 s[12:13], s[10:11], 2
	s_waitcnt lgkmcnt(0)
	s_add_u32 s6, s6, s12
	s_addc_u32 s7, s7, s13
	s_abs_i32 s3, s8
	v_cvt_f32_u32_e32 v1, s3
	s_sub_i32 s12, 0, s3
	s_abs_i32 s11, s5
	s_xor_b32 s8, s5, s8
	v_rcp_iflag_f32_e32 v1, v1
	s_ashr_i32 s8, s8, 31
	v_mul_f32_e32 v1, 0x4f7ffffe, v1
	v_cvt_u32_f32_e32 v1, v1
	s_nop 0
	v_readfirstlane_b32 s13, v1
	s_mul_i32 s12, s12, s13
	s_mul_hi_u32 s12, s13, s12
	s_add_i32 s13, s13, s12
	s_mul_hi_u32 s12, s11, s13
	s_mul_i32 s13, s12, s3
	s_sub_i32 s11, s11, s13
	s_add_i32 s13, s12, 1
	s_sub_i32 s14, s11, s3
	s_cmp_ge_u32 s11, s3
	s_cselect_b32 s12, s13, s12
	s_cselect_b32 s11, s14, s11
	s_add_i32 s13, s12, 1
	s_cmp_ge_u32 s11, s3
	s_cselect_b32 s3, s13, s12
	s_xor_b32 s3, s3, s8
	s_sub_i32 s14, s3, s8
	s_abs_i32 s11, s14
	v_cvt_f32_u32_e32 v1, s11
	s_load_dwordx2 s[12:13], s[0:1], 0x40
	s_sub_i32 s3, 0, s11
	s_abs_i32 s18, s2
	v_rcp_iflag_f32_e32 v1, v1
	s_mov_b32 s8, 0
	v_mul_f32_e32 v1, 0x4f7ffffe, v1
	v_cvt_u32_f32_e32 v1, v1
	s_nop 0
	v_readfirstlane_b32 s15, v1
	s_mul_i32 s3, s3, s15
	s_mul_hi_u32 s3, s15, s3
	s_add_i32 s15, s15, s3
	s_waitcnt lgkmcnt(0)
	s_cmp_eq_u64 s[12:13], 0
	s_mul_hi_u32 s19, s18, s15
	s_cbranch_scc1 .LBB123_2
; %bb.1:
	s_ashr_i32 s3, s2, 31
	s_lshl_b64 s[16:17], s[2:3], 2
	s_add_u32 s12, s12, s16
	s_addc_u32 s13, s13, s17
	s_load_dword s8, s[12:13], 0x0
.LBB123_2:
	s_load_dword s33, s[6:7], 0x0
	s_ashr_i32 s7, s14, 31
	s_load_dwordx4 s[12:15], s[0:1], 0x48
	s_ashr_i32 s6, s2, 31
	s_lshl_b32 s16, s2, 7
	s_movk_i32 s2, 0x80
	v_and_b32_e32 v4, 7, v0
	v_cmp_gt_u32_e32 vcc, s2, v0
	v_lshlrev_b32_e32 v10, 1, v0
	s_and_saveexec_b64 s[2:3], vcc
	s_cbranch_execz .LBB123_4
; %bb.3:
	s_load_dwordx2 s[20:21], s[0:1], 0x8
	s_waitcnt lgkmcnt(0)
	s_mul_i32 s22, s10, s12
	s_ashr_i32 s23, s22, 31
	s_lshl_b64 s[22:23], s[22:23], 1
	v_lshrrev_b32_e32 v2, 2, v0
	s_add_u32 s12, s20, s22
	s_addc_u32 s15, s21, s23
	s_ashr_i32 s17, s16, 31
	s_lshl_b64 s[20:21], s[16:17], 1
	s_add_u32 s20, s12, s20
	s_addc_u32 s21, s15, s21
	global_load_ushort v1, v10, s[20:21]
	v_and_b32_e32 v2, 0xfe, v2
	v_lshl_add_u32 v2, v4, 5, v2
	s_waitcnt vmcnt(0)
	ds_write_b16 v2, v1
.LBB123_4:
	s_or_b64 exec, exec, s[2:3]
	s_waitcnt lgkmcnt(0)
	s_add_i32 s3, s33, 7
	s_ashr_i32 s12, s3, 31
	s_lshr_b32 s12, s12, 29
	s_add_i32 s3, s3, s12
	s_ashr_i32 s12, s3, 3
	s_xor_b32 s3, s6, s7
	s_mul_i32 s6, s19, s11
	s_sub_i32 s6, s18, s6
	s_add_i32 s7, s19, 1
	s_sub_i32 s15, s6, s11
	s_load_dwordx2 s[20:21], s[0:1], 0x28
	s_load_dword s2, s[0:1], 0x38
	s_cmp_ge_u32 s6, s11
	s_cselect_b32 s7, s7, s19
	s_cselect_b32 s6, s15, s6
	s_add_i32 s15, s7, 1
	s_cmp_ge_u32 s6, s11
	s_cselect_b32 s6, s15, s7
	v_lshrrev_b32_e32 v1, 6, v0
	s_xor_b32 s6, s6, s3
	s_waitcnt lgkmcnt(0)
	s_mul_i32 s22, s10, s2
	s_sub_i32 s15, s6, s3
	s_ashr_i32 s23, s22, 31
	v_cmp_gt_i32_e64 s[2:3], s12, v1
	v_cmp_le_i32_e32 vcc, s12, v1
	v_mbcnt_lo_u32_b32 v5, -1, 0
	s_barrier
	s_waitcnt lgkmcnt(0)
                                        ; implicit-def: $sgpr17
                                        ; implicit-def: $vgpr7
                                        ; implicit-def: $vgpr8
	s_and_saveexec_b64 s[6:7], vcc
	s_xor_b64 s[6:7], exec, s[6:7]
; %bb.5:
	v_mbcnt_hi_u32_b32 v7, -1, v5
	v_and_b32_e32 v2, 64, v7
	v_add_u32_e32 v8, 64, v2
	s_mov_b32 s17, 0xff7fffff
                                        ; implicit-def: $vgpr4
                                        ; implicit-def: $vgpr5
; %bb.6:
	s_or_saveexec_b64 s[26:27], s[6:7]
	s_load_dwordx2 s[18:19], s[0:1], 0x0
	s_load_dwordx2 s[24:25], s[0:1], 0x18
	s_load_dword s11, s[0:1], 0x88
	v_mov_b32_e32 v26, s17
	s_mul_i32 s14, s15, s14
	v_lshrrev_b32_e32 v6, 4, v0
	s_xor_b64 exec, exec, s[26:27]
	s_cbranch_execz .LBB123_12
; %bb.7:
	v_lshlrev_b32_e32 v7, 5, v4
	ds_read_b128 v[14:17], v7
	ds_read_b128 v[22:25], v7 offset:16
	v_mbcnt_hi_u32_b32 v7, -1, v5
	v_and_b32_e32 v5, 64, v7
	v_add_u32_e32 v8, 64, v5
	v_xor_b32_e32 v5, 4, v7
	s_load_dwordx2 s[0:1], s[0:1], 0x10
	v_cmp_lt_i32_e32 vcc, v5, v8
	s_ashr_i32 s15, s14, 31
	s_lshl_b64 s[6:7], s[14:15], 1
	v_cndmask_b32_e32 v5, v7, v5, vcc
	v_lshlrev_b32_e32 v27, 2, v5
	v_xor_b32_e32 v5, 2, v7
	v_cmp_lt_i32_e32 vcc, v5, v8
	v_bfe_u32 v26, v0, 3, 3
	s_waitcnt lgkmcnt(0)
	s_add_u32 s0, s0, s6
	v_cndmask_b32_e32 v5, v7, v5, vcc
	v_lshlrev_b32_e32 v28, 2, v5
	v_xor_b32_e32 v5, 1, v7
	s_addc_u32 s1, s1, s7
	v_lshlrev_b32_e32 v32, 4, v26
	v_mov_b32_e32 v33, 0
	v_cmp_lt_i32_e32 vcc, v5, v8
	s_sub_i32 s15, 1, s33
	s_lshl_b64 s[6:7], s[22:23], 2
	v_lshl_add_u64 v[2:3], s[0:1], 0, v[32:33]
	v_lshlrev_b32_e32 v32, 1, v4
	v_cndmask_b32_e32 v5, v7, v5, vcc
	v_cmp_eq_u32_e32 vcc, 0, v4
	v_lshlrev_b32_e32 v4, 2, v26
	s_add_u32 s6, s20, s6
	v_lshl_add_u64 v[2:3], v[2:3], 0, v[32:33]
	v_lshl_or_b32 v4, v1, 5, v4
	v_and_b32_e32 v32, 60, v6
	s_addc_u32 s7, s21, s7
	s_mov_b32 s17, s13
	v_lshlrev_b32_e32 v9, 16, v14
	v_and_b32_e32 v11, 0xffff0000, v14
	v_lshlrev_b32_e32 v12, 16, v15
	v_and_b32_e32 v13, 0xffff0000, v15
	v_lshlrev_b32_e32 v14, 16, v16
	v_and_b32_e32 v15, 0xffff0000, v16
	v_lshlrev_b32_e32 v16, 16, v17
	v_and_b32_e32 v17, 0xffff0000, v17
	v_lshlrev_b32_e32 v18, 16, v22
	v_and_b32_e32 v19, 0xffff0000, v22
	v_lshlrev_b32_e32 v20, 16, v23
	v_and_b32_e32 v21, 0xffff0000, v23
	v_lshlrev_b32_e32 v22, 16, v24
	v_and_b32_e32 v23, 0xffff0000, v24
	v_lshlrev_b32_e32 v24, 16, v25
	v_and_b32_e32 v25, 0xffff0000, v25
	v_lshlrev_b32_e32 v29, 2, v5
	v_cmp_neq_f32_e64 s[0:1], s8, 0
	v_lshl_or_b32 v30, v1, 3, v26
	v_add_u32_e32 v31, 0x110, v4
	v_lshl_add_u64 v[4:5], s[6:7], 0, v[32:33]
	s_mov_b64 s[28:29], 0
	v_mov_b32_e32 v26, 0xff7fffff
	v_mov_b32_e32 v32, v1
	s_branch .LBB123_9
.LBB123_8:                              ;   in Loop: Header=BB123_9 Depth=1
	s_or_b64 exec, exec, s[30:31]
	v_add_u32_e32 v32, 2, v32
	v_cmp_le_i32_e64 s[6:7], s12, v32
	v_add_u32_e32 v30, 16, v30
	v_add_u32_e32 v31, 64, v31
	s_or_b64 s[28:29], s[6:7], s[28:29]
	v_lshl_add_u64 v[4:5], v[4:5], 0, 8
	s_andn2_b64 exec, exec, s[28:29]
	s_cbranch_execz .LBB123_11
.LBB123_9:                              ; =>This Inner Loop Header: Depth=1
	global_load_dword v33, v[4:5], off
	s_waitcnt vmcnt(0) lgkmcnt(0)
	v_mad_i64_i32 v[34:35], s[6:7], v33, s17, 0
	v_lshl_add_u64 v[34:35], v[34:35], 1, v[2:3]
	global_load_ushort v33, v[34:35], off
	global_load_ushort v36, v[34:35], off offset:128
	global_load_ushort v37, v[34:35], off offset:256
	;; [unrolled: 1-line block ×14, first 2 shown]
	s_nop 0
	global_load_ushort v34, v[34:35], off offset:1920
	s_waitcnt vmcnt(15)
	v_lshlrev_b32_e32 v33, 16, v33
	s_waitcnt vmcnt(14)
	v_lshlrev_b32_e32 v35, 16, v36
	v_mul_f32_e32 v35, v11, v35
	s_waitcnt vmcnt(13)
	v_lshlrev_b32_e32 v36, 16, v37
	v_fmac_f32_e32 v35, v9, v33
	s_waitcnt vmcnt(12)
	v_lshlrev_b32_e32 v37, 16, v38
	v_fmac_f32_e32 v35, v12, v36
	;; [unrolled: 3-line block ×13, first 2 shown]
	v_fmac_f32_e32 v35, v24, v48
	s_waitcnt vmcnt(0)
	v_lshlrev_b32_e32 v33, 16, v34
	v_fmac_f32_e32 v35, v25, v33
	ds_bpermute_b32 v33, v27, v35
	s_waitcnt lgkmcnt(0)
	v_add_f32_e32 v33, v35, v33
	ds_bpermute_b32 v34, v28, v33
	s_waitcnt lgkmcnt(0)
	v_add_f32_e32 v33, v33, v34
	ds_bpermute_b32 v34, v29, v33
	s_and_saveexec_b64 s[30:31], vcc
	s_cbranch_execz .LBB123_8
; %bb.10:                               ;   in Loop: Header=BB123_9 Depth=1
	v_add_u32_e32 v35, s15, v30
	v_cvt_f32_i32_e32 v35, v35
	s_waitcnt lgkmcnt(0)
	v_add_f32_e32 v33, v33, v34
	v_cmp_gt_i32_e64 s[6:7], s33, v30
	v_max_f32_e32 v34, v26, v26
	v_mul_f32_e32 v35, s8, v35
	v_cndmask_b32_e64 v35, 0, v35, s[0:1]
	v_fmac_f32_e32 v35, s9, v33
	v_cndmask_b32_e64 v33, 0, v35, s[6:7]
	ds_write_b32 v31, v33
	v_max_f32_e32 v33, v34, v35
	v_cndmask_b32_e64 v26, v26, v33, s[6:7]
	s_branch .LBB123_8
.LBB123_11:
	s_or_b64 exec, exec, s[28:29]
.LBB123_12:
	s_or_b64 exec, exec, s[26:27]
	v_xor_b32_e32 v2, 32, v7
	v_cmp_lt_i32_e32 vcc, v2, v8
	v_xor_b32_e32 v5, 16, v7
	v_max_f32_e32 v4, v26, v26
	v_cndmask_b32_e32 v2, v7, v2, vcc
	v_lshlrev_b32_e32 v3, 2, v2
	ds_bpermute_b32 v2, v3, v26
	v_cmp_lt_i32_e32 vcc, v5, v8
	v_xor_b32_e32 v9, 8, v7
	v_and_b32_e32 v11, 63, v0
	s_waitcnt lgkmcnt(0)
	v_max_f32_e32 v2, v2, v2
	v_max_f32_e32 v2, v4, v2
	v_cndmask_b32_e32 v4, v7, v5, vcc
	v_lshlrev_b32_e32 v5, 2, v4
	ds_bpermute_b32 v4, v5, v2
	v_cmp_lt_i32_e32 vcc, v9, v8
	s_waitcnt lgkmcnt(0)
	v_max_f32_e32 v4, v4, v4
	v_max_f32_e32 v4, v2, v4
	v_cndmask_b32_e32 v2, v7, v9, vcc
	v_lshlrev_b32_e32 v12, 2, v2
	ds_bpermute_b32 v9, v12, v4
	v_cmp_eq_u32_e32 vcc, 0, v11
	v_lshlrev_b32_e32 v2, 2, v1
	s_and_saveexec_b64 s[0:1], vcc
	s_cbranch_execz .LBB123_14
; %bb.13:
	s_waitcnt lgkmcnt(0)
	v_max_f32_e32 v9, v9, v9
	v_max_f32_e32 v4, v4, v4
	;; [unrolled: 1-line block ×3, first 2 shown]
	ds_write_b32 v2, v4 offset:256
.LBB123_14:
	s_or_b64 exec, exec, s[0:1]
	v_cmp_gt_u32_e64 s[0:1], 2, v11
	v_mov_b32_e32 v13, 0xff7fffff
	v_lshlrev_b32_e32 v4, 2, v11
	s_waitcnt lgkmcnt(0)
	s_barrier
	s_and_saveexec_b64 s[6:7], s[0:1]
	s_cbranch_execz .LBB123_16
; %bb.15:
	ds_read_b32 v13, v4 offset:256
.LBB123_16:
	s_or_b64 exec, exec, s[6:7]
	v_xor_b32_e32 v9, 1, v7
	v_cmp_lt_i32_e64 s[6:7], v9, v8
	v_lshlrev_b32_e32 v15, 2, v7
	s_nop 0
	v_cndmask_b32_e64 v9, v7, v9, s[6:7]
	v_lshlrev_b32_e32 v9, 2, v9
	s_waitcnt lgkmcnt(0)
	ds_bpermute_b32 v14, v9, v13
	v_max_f32_e32 v13, v13, v13
	s_lshl_b32 s6, s12, 3
	s_min_i32 s15, s6, s33
	v_cmp_gt_i32_e64 s[6:7], s15, v0
	s_waitcnt lgkmcnt(0)
	v_max_f32_e32 v14, v14, v14
	v_max_f32_e32 v14, v13, v14
	v_and_b32_e32 v13, 0xffffff00, v15
	ds_bpermute_b32 v15, v13, v14
	v_mov_b32_e32 v14, 0
	s_and_saveexec_b64 s[26:27], s[6:7]
	s_cbranch_execz .LBB123_20
; %bb.17:
	v_mov_b32_e32 v14, 0x110
	v_lshl_add_u32 v16, v0, 2, v14
	s_mov_b64 s[28:29], 0
	v_mov_b32_e32 v14, 0
	v_mov_b32_e32 v17, v0
.LBB123_18:                             ; =>This Inner Loop Header: Depth=1
	ds_read_b32 v18, v16
	v_add_u32_e32 v17, 0x80, v17
	v_cmp_le_i32_e64 s[8:9], s15, v17
	s_or_b64 s[28:29], s[8:9], s[28:29]
	s_waitcnt lgkmcnt(0)
	v_sub_f32_e32 v18, v18, v15
	v_mul_f32_e32 v18, 0x3fb8aa3b, v18
	v_exp_f32_e32 v18, v18
	ds_write_b32 v16, v18
	v_add_f32_e32 v14, v14, v18
	v_add_u32_e32 v16, 0x200, v16
	s_andn2_b64 exec, exec, s[28:29]
	s_cbranch_execnz .LBB123_18
; %bb.19:
	s_or_b64 exec, exec, s[28:29]
.LBB123_20:
	s_or_b64 exec, exec, s[26:27]
	ds_bpermute_b32 v3, v3, v14
	s_waitcnt lgkmcnt(0)
	v_add_f32_e32 v3, v14, v3
	ds_bpermute_b32 v5, v5, v3
	s_waitcnt lgkmcnt(0)
	v_add_f32_e32 v3, v3, v5
	ds_bpermute_b32 v5, v12, v3
	v_xor_b32_e32 v12, 4, v7
	v_cmp_lt_i32_e64 s[8:9], v12, v8
	s_waitcnt lgkmcnt(0)
	v_add_f32_e32 v3, v3, v5
	v_cndmask_b32_e64 v12, v7, v12, s[8:9]
	v_lshlrev_b32_e32 v12, 2, v12
	ds_bpermute_b32 v5, v12, v3
	v_xor_b32_e32 v12, 2, v7
	v_cmp_lt_i32_e64 s[8:9], v12, v8
	s_waitcnt lgkmcnt(0)
	v_add_f32_e32 v3, v3, v5
	v_cndmask_b32_e64 v7, v7, v12, s[8:9]
	v_lshlrev_b32_e32 v5, 2, v7
	ds_bpermute_b32 v5, v5, v3
	s_waitcnt lgkmcnt(0)
	v_add_f32_e32 v3, v3, v5
	ds_bpermute_b32 v5, v9, v3
	s_waitcnt lgkmcnt(0)
	v_add_f32_e32 v3, v3, v5
	s_and_saveexec_b64 s[8:9], vcc
	s_cbranch_execz .LBB123_22
; %bb.21:
	ds_write_b32 v2, v3 offset:264
.LBB123_22:
	s_or_b64 exec, exec, s[8:9]
	s_waitcnt lgkmcnt(0)
	s_barrier
	s_and_saveexec_b64 s[8:9], s[0:1]
	s_cbranch_execz .LBB123_24
; %bb.23:
	ds_read_b32 v3, v4 offset:264
.LBB123_24:
	s_or_b64 exec, exec, s[8:9]
	s_waitcnt lgkmcnt(0)
	ds_bpermute_b32 v2, v9, v3
	s_waitcnt lgkmcnt(0)
	v_add_f32_e32 v2, v3, v2
	ds_bpermute_b32 v2, v13, v2
	s_and_saveexec_b64 s[0:1], s[6:7]
	s_cbranch_execz .LBB123_37
; %bb.25:
	s_waitcnt lgkmcnt(0)
	v_add_f32_e32 v2, 0x358637bd, v2
	v_div_scale_f32 v3, s[6:7], v2, v2, 1.0
	v_rcp_f32_e32 v4, v3
	v_div_scale_f32 v5, vcc, 1.0, v2, 1.0
	s_movk_i32 s6, 0x7f
	v_fma_f32 v7, -v3, v4, 1.0
	v_fmac_f32_e32 v4, v7, v4
	v_mul_f32_e32 v7, v5, v4
	v_fma_f32 v8, -v3, v7, v5
	v_fmac_f32_e32 v7, v8, v4
	v_fma_f32 v3, -v3, v7, v5
	v_div_fmas_f32 v3, v3, v4, v7
	v_xad_u32 v4, v0, -1, s15
	v_div_fixup_f32 v2, v3, v2, 1.0
	v_cmp_lt_u32_e32 vcc, s6, v4
	s_mov_b64 s[8:9], -1
	v_mov_b32_e32 v3, v0
	s_and_saveexec_b64 s[6:7], vcc
	s_cbranch_execz .LBB123_34
; %bb.26:
	v_lshrrev_b32_e32 v4, 7, v4
	v_add_u32_e32 v7, -1, v4
	v_lshrrev_b32_e32 v5, 1, v7
	v_mov_b32_e32 v3, v2
	v_add_u32_e32 v5, 1, v5
	v_cmp_lt_u32_e32 vcc, 13, v7
	v_mov_b32_e32 v9, 0
	s_and_saveexec_b64 s[8:9], vcc
	s_cbranch_execz .LBB123_30
; %bb.27:
	v_mov_b32_e32 v8, 0x110
	v_and_b32_e32 v7, -8, v5
	v_lshl_add_u32 v8, v0, 2, v8
	s_mov_b32 s17, 0
	s_mov_b64 s[26:27], 0
.LBB123_28:                             ; =>This Inner Loop Header: Depth=1
	ds_read2st64_b32 v[12:13], v8 offset1:2
	ds_read2st64_b32 v[14:15], v8 offset0:4 offset1:6
	ds_read2st64_b32 v[16:17], v8 offset0:8 offset1:10
	;; [unrolled: 1-line block ×3, first 2 shown]
	v_add_u32_e32 v7, -8, v7
	s_waitcnt lgkmcnt(3)
	v_pk_mul_f32 v[12:13], v[2:3], v[12:13]
	s_waitcnt lgkmcnt(2)
	v_pk_mul_f32 v[14:15], v[2:3], v[14:15]
	ds_write2st64_b32 v8, v12, v13 offset1:2
	ds_write2st64_b32 v8, v14, v15 offset0:4 offset1:6
	ds_read2st64_b32 v[14:15], v8 offset0:16 offset1:18
	s_waitcnt lgkmcnt(4)
	v_pk_mul_f32 v[12:13], v[2:3], v[16:17]
	ds_write2st64_b32 v8, v12, v13 offset0:8 offset1:10
	s_waitcnt lgkmcnt(4)
	v_pk_mul_f32 v[12:13], v[2:3], v[18:19]
	ds_write2st64_b32 v8, v12, v13 offset0:12 offset1:14
	ds_read2st64_b32 v[12:13], v8 offset0:20 offset1:22
	s_waitcnt lgkmcnt(3)
	v_pk_mul_f32 v[14:15], v[2:3], v[14:15]
	ds_read2st64_b32 v[16:17], v8 offset0:24 offset1:26
	ds_write2st64_b32 v8, v14, v15 offset0:16 offset1:18
	ds_read2st64_b32 v[14:15], v8 offset0:28 offset1:30
	s_waitcnt lgkmcnt(3)
	v_pk_mul_f32 v[12:13], v[2:3], v[12:13]
	ds_write2st64_b32 v8, v12, v13 offset0:20 offset1:22
	s_waitcnt lgkmcnt(3)
	v_pk_mul_f32 v[12:13], v[2:3], v[16:17]
	ds_write2st64_b32 v8, v12, v13 offset0:24 offset1:26
	s_waitcnt lgkmcnt(2)
	v_pk_mul_f32 v[12:13], v[2:3], v[14:15]
	s_add_i32 s17, s17, 16
	v_cmp_eq_u32_e32 vcc, 0, v7
	ds_write2st64_b32 v8, v12, v13 offset0:28 offset1:30
	v_add_u32_e32 v8, 0x2000, v8
	s_or_b64 s[26:27], vcc, s[26:27]
	v_mov_b32_e32 v9, s17
	s_andn2_b64 exec, exec, s[26:27]
	s_cbranch_execnz .LBB123_28
; %bb.29:
	s_or_b64 exec, exec, s[26:27]
.LBB123_30:
	s_or_b64 exec, exec, s[8:9]
	v_and_b32_e32 v5, 7, v5
	v_cmp_ne_u32_e32 vcc, 0, v5
	s_and_saveexec_b64 s[8:9], vcc
	s_cbranch_execz .LBB123_33
; %bb.31:
	v_lshlrev_b32_e32 v7, 9, v9
	v_lshlrev_b32_e32 v8, 2, v0
	s_movk_i32 s17, 0x110
	v_add3_u32 v7, v7, v8, s17
	s_mov_b64 s[26:27], 0
.LBB123_32:                             ; =>This Inner Loop Header: Depth=1
	ds_read2st64_b32 v[8:9], v7 offset1:2
	v_add_u32_e32 v5, -1, v5
	v_cmp_eq_u32_e32 vcc, 0, v5
	s_or_b64 s[26:27], vcc, s[26:27]
	s_waitcnt lgkmcnt(0)
	v_pk_mul_f32 v[8:9], v[2:3], v[8:9]
	ds_write2st64_b32 v7, v8, v9 offset1:2
	v_add_u32_e32 v7, 0x400, v7
	s_andn2_b64 exec, exec, s[26:27]
	s_cbranch_execnz .LBB123_32
.LBB123_33:
	s_or_b64 exec, exec, s[8:9]
	v_add_u32_e32 v4, 1, v4
	v_and_b32_e32 v5, 0x3fffffe, v4
	v_cmp_ne_u32_e32 vcc, v4, v5
	v_lshl_add_u32 v3, v5, 7, v0
	s_orn2_b64 s[8:9], vcc, exec
.LBB123_34:
	s_or_b64 exec, exec, s[6:7]
	s_and_b64 exec, exec, s[8:9]
	s_cbranch_execz .LBB123_37
; %bb.35:
	v_mov_b32_e32 v4, 0x110
	v_lshl_add_u32 v4, v3, 2, v4
	s_mov_b64 s[6:7], 0
.LBB123_36:                             ; =>This Inner Loop Header: Depth=1
	ds_read_b32 v5, v4
	v_add_u32_e32 v3, 0x80, v3
	v_cmp_le_i32_e32 vcc, s15, v3
	s_or_b64 s[6:7], vcc, s[6:7]
	s_waitcnt lgkmcnt(0)
	v_mul_f32_e32 v5, v2, v5
	ds_write_b32 v4, v5
	v_add_u32_e32 v4, 0x200, v4
	s_andn2_b64 exec, exec, s[6:7]
	s_cbranch_execnz .LBB123_36
.LBB123_37:
	s_or_b64 exec, exec, s[0:1]
	s_mov_b32 s0, 0
	s_mov_b32 s1, s0
	s_waitcnt lgkmcnt(0)
	v_mov_b64_e32 v[2:3], s[0:1]
	s_barrier
	s_and_saveexec_b64 s[6:7], s[2:3]
	s_cbranch_execz .LBB123_141
; %bb.38:
	s_ashr_i32 s15, s14, 31
	s_lshl_b64 s[0:1], s[14:15], 1
	s_add_u32 s0, s24, s0
	s_addc_u32 s1, s25, s1
	v_lshlrev_b32_e32 v12, 4, v11
	v_mov_b32_e32 v13, 0
	s_add_i32 s14, s12, -1
	v_lshl_add_u64 v[14:15], s[0:1], 0, v[12:13]
	s_lshl_b64 s[0:1], s[22:23], 2
	s_add_u32 s0, s20, s0
	v_mov_b32_e32 v2, 0x110
	v_and_b32_e32 v12, 60, v6
	s_addc_u32 s1, s21, s1
	v_lshl_or_b32 v20, v1, 3, 7
	v_lshl_add_u32 v21, v1, 5, v2
	v_lshl_add_u64 v[16:17], s[0:1], 0, v[12:13]
	s_mov_b64 s[2:3], 0
	s_mov_b32 s15, 0x7f800000
	s_movk_i32 s17, 0x7fff
	v_mov_b32_e32 v18, 0
	v_mov_b32_e32 v19, v13
	s_branch .LBB123_40
.LBB123_39:                             ;   in Loop: Header=BB123_40 Depth=1
	s_or_b64 exec, exec, s[0:1]
	v_and_b32_e32 v2, 0xffff0000, v24
	v_and_b32_e32 v24, 0xffff0000, v23
	;; [unrolled: 1-line block ×6, first 2 shown]
	v_pk_add_f32 v[8:9], v[8:9], v[22:23]
	v_and_b32_e32 v3, 0xffff0000, v33
	v_and_b32_e32 v25, 0xffff0000, v25
	v_mov_b32_e32 v12, v9
	v_pk_add_f32 v[8:9], v[8:9], v[12:13]
	v_pk_add_f32 v[2:3], v[24:25], v[2:3]
	v_and_b32_e32 v23, 0xffff0000, v28
	v_pk_add_f32 v[8:9], v[8:9], v[2:3]
	v_mov_b32_e32 v2, v3
	v_pk_add_f32 v[2:3], v[8:9], v[2:3]
	v_and_b32_e32 v9, 0xffff0000, v7
	v_and_b32_e32 v22, 0xffff0000, v26
	;; [unrolled: 1-line block ×4, first 2 shown]
	v_pk_add_f32 v[6:7], v[6:7], v[22:23]
	v_and_b32_e32 v8, 0xffff0000, v29
	v_and_b32_e32 v5, 0xffff0000, v5
	;; [unrolled: 1-line block ×3, first 2 shown]
	v_mov_b32_e32 v12, v7
	v_pk_add_f32 v[6:7], v[6:7], v[12:13]
	v_pk_add_f32 v[4:5], v[4:5], v[8:9]
	;; [unrolled: 1-line block ×4, first 2 shown]
	v_mov_b32_e32 v4, v5
	v_pk_add_f32 v[4:5], v[6:7], v[4:5]
	v_add_u32_e32 v1, 2, v1
	v_mov_b32_e32 v3, v4
	v_pk_add_f32 v[18:19], v[18:19], v[2:3]
	v_cmp_le_i32_e32 vcc, s12, v1
	v_add_u32_e32 v20, 16, v20
	v_add_u32_e32 v21, 64, v21
	v_lshl_add_u64 v[16:17], v[16:17], 0, 8
	s_or_b64 s[2:3], vcc, s[2:3]
	v_mov_b32_e32 v18, v2
	s_andn2_b64 exec, exec, s[2:3]
	s_cbranch_execz .LBB123_140
.LBB123_40:                             ; =>This Inner Loop Header: Depth=1
	global_load_dword v26, v[16:17], off
	ds_read2_b64 v[6:9], v21 offset1:1
	ds_read2_b64 v[2:5], v21 offset0:2 offset1:3
                                        ; implicit-def: $vgpr34
	s_waitcnt lgkmcnt(1)
	v_and_b32_e32 v12, 0x7f800000, v6
	v_cmp_ne_u32_e32 vcc, s15, v12
	s_and_saveexec_b64 s[0:1], vcc
	s_xor_b64 s[0:1], exec, s[0:1]
; %bb.41:                               ;   in Loop: Header=BB123_40 Depth=1
	v_bfe_u32 v12, v6, 16, 1
	v_add3_u32 v34, v6, v12, s17
; %bb.42:                               ;   in Loop: Header=BB123_40 Depth=1
	s_andn2_saveexec_b64 s[0:1], s[0:1]
; %bb.43:                               ;   in Loop: Header=BB123_40 Depth=1
	v_or_b32_e32 v12, 0x10000, v6
	v_cmp_eq_u32_sdwa vcc, v6, v13 src0_sel:WORD_0 src1_sel:DWORD
	s_nop 1
	v_cndmask_b32_e32 v34, v12, v6, vcc
; %bb.44:                               ;   in Loop: Header=BB123_40 Depth=1
	s_or_b64 exec, exec, s[0:1]
	v_and_b32_e32 v6, 0x7f800000, v7
	v_cmp_ne_u32_e32 vcc, s15, v6
                                        ; implicit-def: $vgpr35
	s_and_saveexec_b64 s[0:1], vcc
	s_xor_b64 s[0:1], exec, s[0:1]
; %bb.45:                               ;   in Loop: Header=BB123_40 Depth=1
	v_bfe_u32 v6, v7, 16, 1
	v_add3_u32 v35, v7, v6, s17
; %bb.46:                               ;   in Loop: Header=BB123_40 Depth=1
	s_andn2_saveexec_b64 s[0:1], s[0:1]
; %bb.47:                               ;   in Loop: Header=BB123_40 Depth=1
	v_or_b32_e32 v6, 0x10000, v7
	v_cmp_eq_u32_sdwa vcc, v7, v13 src0_sel:WORD_0 src1_sel:DWORD
	s_nop 1
	v_cndmask_b32_e32 v35, v6, v7, vcc
; %bb.48:                               ;   in Loop: Header=BB123_40 Depth=1
	s_or_b64 exec, exec, s[0:1]
	v_and_b32_e32 v6, 0x7f800000, v8
	v_cmp_ne_u32_e32 vcc, s15, v6
                                        ; implicit-def: $vgpr12
	s_and_saveexec_b64 s[0:1], vcc
	s_xor_b64 s[0:1], exec, s[0:1]
; %bb.49:                               ;   in Loop: Header=BB123_40 Depth=1
	v_bfe_u32 v6, v8, 16, 1
	v_add3_u32 v12, v8, v6, s17
; %bb.50:                               ;   in Loop: Header=BB123_40 Depth=1
	s_andn2_saveexec_b64 s[0:1], s[0:1]
; %bb.51:                               ;   in Loop: Header=BB123_40 Depth=1
	v_or_b32_e32 v6, 0x10000, v8
	v_cmp_eq_u32_sdwa vcc, v8, v13 src0_sel:WORD_0 src1_sel:DWORD
	s_nop 1
	v_cndmask_b32_e32 v12, v6, v8, vcc
; %bb.52:                               ;   in Loop: Header=BB123_40 Depth=1
	s_or_b64 exec, exec, s[0:1]
	v_and_b32_e32 v6, 0x7f800000, v9
	v_cmp_ne_u32_e32 vcc, s15, v6
                                        ; implicit-def: $vgpr22
	s_and_saveexec_b64 s[0:1], vcc
	s_xor_b64 s[0:1], exec, s[0:1]
; %bb.53:                               ;   in Loop: Header=BB123_40 Depth=1
	v_bfe_u32 v6, v9, 16, 1
	v_add3_u32 v22, v9, v6, s17
                                        ; implicit-def: $vgpr6_vgpr7_vgpr8_vgpr9
; %bb.54:                               ;   in Loop: Header=BB123_40 Depth=1
	s_andn2_saveexec_b64 s[0:1], s[0:1]
; %bb.55:                               ;   in Loop: Header=BB123_40 Depth=1
	v_or_b32_e32 v6, 0x10000, v9
	v_cmp_eq_u32_sdwa vcc, v9, v13 src0_sel:WORD_0 src1_sel:DWORD
	s_nop 1
	v_cndmask_b32_e32 v22, v6, v9, vcc
; %bb.56:                               ;   in Loop: Header=BB123_40 Depth=1
	s_or_b64 exec, exec, s[0:1]
	s_waitcnt lgkmcnt(0)
	v_and_b32_e32 v6, 0x7f800000, v2
	v_cmp_ne_u32_e32 vcc, s15, v6
                                        ; implicit-def: $vgpr23
	s_and_saveexec_b64 s[0:1], vcc
	s_xor_b64 s[0:1], exec, s[0:1]
; %bb.57:                               ;   in Loop: Header=BB123_40 Depth=1
	v_bfe_u32 v6, v2, 16, 1
	v_add3_u32 v23, v2, v6, s17
; %bb.58:                               ;   in Loop: Header=BB123_40 Depth=1
	s_andn2_saveexec_b64 s[0:1], s[0:1]
; %bb.59:                               ;   in Loop: Header=BB123_40 Depth=1
	v_or_b32_e32 v6, 0x10000, v2
	v_cmp_eq_u32_sdwa vcc, v2, v13 src0_sel:WORD_0 src1_sel:DWORD
	s_nop 1
	v_cndmask_b32_e32 v23, v6, v2, vcc
; %bb.60:                               ;   in Loop: Header=BB123_40 Depth=1
	s_or_b64 exec, exec, s[0:1]
	v_and_b32_e32 v2, 0x7f800000, v3
	v_cmp_ne_u32_e32 vcc, s15, v2
                                        ; implicit-def: $vgpr24
	s_and_saveexec_b64 s[0:1], vcc
	s_xor_b64 s[0:1], exec, s[0:1]
; %bb.61:                               ;   in Loop: Header=BB123_40 Depth=1
	v_bfe_u32 v2, v3, 16, 1
	v_add3_u32 v24, v3, v2, s17
; %bb.62:                               ;   in Loop: Header=BB123_40 Depth=1
	s_andn2_saveexec_b64 s[0:1], s[0:1]
; %bb.63:                               ;   in Loop: Header=BB123_40 Depth=1
	v_or_b32_e32 v2, 0x10000, v3
	v_cmp_eq_u32_sdwa vcc, v3, v13 src0_sel:WORD_0 src1_sel:DWORD
	s_nop 1
	v_cndmask_b32_e32 v24, v2, v3, vcc
; %bb.64:                               ;   in Loop: Header=BB123_40 Depth=1
	s_or_b64 exec, exec, s[0:1]
	v_and_b32_e32 v2, 0x7f800000, v4
	v_cmp_ne_u32_e32 vcc, s15, v2
                                        ; implicit-def: $vgpr25
	s_and_saveexec_b64 s[0:1], vcc
	s_xor_b64 s[0:1], exec, s[0:1]
; %bb.65:                               ;   in Loop: Header=BB123_40 Depth=1
	v_bfe_u32 v2, v4, 16, 1
	v_add3_u32 v25, v4, v2, s17
; %bb.66:                               ;   in Loop: Header=BB123_40 Depth=1
	s_andn2_saveexec_b64 s[0:1], s[0:1]
; %bb.67:                               ;   in Loop: Header=BB123_40 Depth=1
	v_or_b32_e32 v2, 0x10000, v4
	v_cmp_eq_u32_sdwa vcc, v4, v13 src0_sel:WORD_0 src1_sel:DWORD
	s_nop 1
	v_cndmask_b32_e32 v25, v2, v4, vcc
; %bb.68:                               ;   in Loop: Header=BB123_40 Depth=1
	s_or_b64 exec, exec, s[0:1]
	v_and_b32_e32 v2, 0x7f800000, v5
	v_cmp_ne_u32_e32 vcc, s15, v2
                                        ; implicit-def: $vgpr33
	s_and_saveexec_b64 s[0:1], vcc
	s_xor_b64 s[0:1], exec, s[0:1]
; %bb.69:                               ;   in Loop: Header=BB123_40 Depth=1
	v_bfe_u32 v2, v5, 16, 1
	v_add3_u32 v33, v5, v2, s17
                                        ; implicit-def: $vgpr2_vgpr3_vgpr4_vgpr5
; %bb.70:                               ;   in Loop: Header=BB123_40 Depth=1
	s_andn2_saveexec_b64 s[0:1], s[0:1]
; %bb.71:                               ;   in Loop: Header=BB123_40 Depth=1
	v_or_b32_e32 v2, 0x10000, v5
	v_cmp_eq_u32_sdwa vcc, v5, v13 src0_sel:WORD_0 src1_sel:DWORD
	s_nop 1
	v_cndmask_b32_e32 v33, v2, v5, vcc
; %bb.72:                               ;   in Loop: Header=BB123_40 Depth=1
	s_or_b64 exec, exec, s[0:1]
	s_waitcnt vmcnt(0)
	v_mad_i64_i32 v[2:3], s[0:1], v26, s13, 0
	v_lshl_add_u64 v[6:7], v[2:3], 1, v[14:15]
	global_load_dwordx4 v[2:5], v[6:7], off
	v_add_u32_e32 v26, -7, v20
	v_cmp_eq_u32_e32 vcc, s14, v1
	v_add_u32_e32 v32, -6, v20
	v_add_u32_e32 v30, -5, v20
	;; [unrolled: 1-line block ×6, first 2 shown]
	s_waitcnt vmcnt(0)
	v_lshrrev_b32_e32 v9, 16, v2
	v_lshrrev_b32_e32 v38, 16, v3
	;; [unrolled: 1-line block ×4, first 2 shown]
	s_and_saveexec_b64 s[8:9], vcc
	s_cbranch_execz .LBB123_74
; %bb.73:                               ;   in Loop: Header=BB123_40 Depth=1
	v_cmp_gt_i32_e64 s[0:1], s33, v26
	s_nop 1
	v_cndmask_b32_e64 v2, 0, v2, s[0:1]
	v_cmp_gt_i32_e64 s[0:1], s33, v32
	s_nop 1
	v_cndmask_b32_e64 v9, 0, v9, s[0:1]
	;; [unrolled: 3-line block ×8, first 2 shown]
.LBB123_74:                             ;   in Loop: Header=BB123_40 Depth=1
	s_or_b64 exec, exec, s[8:9]
	v_and_b32_e32 v34, 0xffff0000, v34
	v_lshlrev_b32_e32 v2, 16, v2
	v_mul_f32_e32 v2, v34, v2
	v_and_b32_e32 v8, 0x7f800000, v2
	v_cmp_ne_u32_e64 s[0:1], s15, v8
                                        ; implicit-def: $vgpr8
	s_and_saveexec_b64 s[8:9], s[0:1]
	s_xor_b64 s[0:1], exec, s[8:9]
; %bb.75:                               ;   in Loop: Header=BB123_40 Depth=1
	v_bfe_u32 v8, v2, 16, 1
	v_add3_u32 v8, v2, v8, s17
                                        ; implicit-def: $vgpr2
; %bb.76:                               ;   in Loop: Header=BB123_40 Depth=1
	s_andn2_saveexec_b64 s[8:9], s[0:1]
; %bb.77:                               ;   in Loop: Header=BB123_40 Depth=1
	v_or_b32_e32 v8, 0x10000, v2
	v_cmp_eq_u32_sdwa s[0:1], v2, v13 src0_sel:WORD_0 src1_sel:DWORD
	s_nop 1
	v_cndmask_b32_e64 v8, v8, v2, s[0:1]
; %bb.78:                               ;   in Loop: Header=BB123_40 Depth=1
	s_or_b64 exec, exec, s[8:9]
	v_and_b32_e32 v35, 0xffff0000, v35
	v_lshlrev_b32_e32 v2, 16, v9
	v_mul_f32_e32 v2, v35, v2
	v_and_b32_e32 v9, 0x7f800000, v2
	v_cmp_ne_u32_e64 s[0:1], s15, v9
                                        ; implicit-def: $vgpr9
	s_and_saveexec_b64 s[8:9], s[0:1]
	s_xor_b64 s[0:1], exec, s[8:9]
; %bb.79:                               ;   in Loop: Header=BB123_40 Depth=1
	v_bfe_u32 v9, v2, 16, 1
	v_add3_u32 v9, v2, v9, s17
                                        ; implicit-def: $vgpr2
; %bb.80:                               ;   in Loop: Header=BB123_40 Depth=1
	s_andn2_saveexec_b64 s[8:9], s[0:1]
; %bb.81:                               ;   in Loop: Header=BB123_40 Depth=1
	v_or_b32_e32 v9, 0x10000, v2
	v_cmp_eq_u32_sdwa s[0:1], v2, v13 src0_sel:WORD_0 src1_sel:DWORD
	s_nop 1
	v_cndmask_b32_e64 v9, v9, v2, s[0:1]
; %bb.82:                               ;   in Loop: Header=BB123_40 Depth=1
	s_or_b64 exec, exec, s[8:9]
	v_and_b32_e32 v36, 0xffff0000, v12
	v_lshlrev_b32_e32 v2, 16, v3
	v_mul_f32_e32 v2, v36, v2
	v_and_b32_e32 v3, 0x7f800000, v2
	v_cmp_ne_u32_e64 s[0:1], s15, v3
                                        ; implicit-def: $vgpr12
	s_and_saveexec_b64 s[8:9], s[0:1]
	s_xor_b64 s[0:1], exec, s[8:9]
; %bb.83:                               ;   in Loop: Header=BB123_40 Depth=1
	v_bfe_u32 v3, v2, 16, 1
	v_add3_u32 v12, v2, v3, s17
                                        ; implicit-def: $vgpr2
; %bb.84:                               ;   in Loop: Header=BB123_40 Depth=1
	s_andn2_saveexec_b64 s[8:9], s[0:1]
; %bb.85:                               ;   in Loop: Header=BB123_40 Depth=1
	v_or_b32_e32 v3, 0x10000, v2
	v_cmp_eq_u32_sdwa s[0:1], v2, v13 src0_sel:WORD_0 src1_sel:DWORD
	s_nop 1
	v_cndmask_b32_e64 v12, v3, v2, s[0:1]
; %bb.86:                               ;   in Loop: Header=BB123_40 Depth=1
	s_or_b64 exec, exec, s[8:9]
	v_and_b32_e32 v37, 0xffff0000, v22
	v_lshlrev_b32_e32 v2, 16, v38
	v_mul_f32_e32 v2, v37, v2
	v_and_b32_e32 v3, 0x7f800000, v2
	v_cmp_ne_u32_e64 s[0:1], s15, v3
                                        ; implicit-def: $vgpr22
	s_and_saveexec_b64 s[8:9], s[0:1]
	s_xor_b64 s[0:1], exec, s[8:9]
; %bb.87:                               ;   in Loop: Header=BB123_40 Depth=1
	v_bfe_u32 v3, v2, 16, 1
	v_add3_u32 v22, v2, v3, s17
                                        ; implicit-def: $vgpr2
; %bb.88:                               ;   in Loop: Header=BB123_40 Depth=1
	s_andn2_saveexec_b64 s[8:9], s[0:1]
; %bb.89:                               ;   in Loop: Header=BB123_40 Depth=1
	v_or_b32_e32 v3, 0x10000, v2
	v_cmp_eq_u32_sdwa s[0:1], v2, v13 src0_sel:WORD_0 src1_sel:DWORD
	s_nop 1
	v_cndmask_b32_e64 v22, v3, v2, s[0:1]
; %bb.90:                               ;   in Loop: Header=BB123_40 Depth=1
	s_or_b64 exec, exec, s[8:9]
	v_and_b32_e32 v38, 0xffff0000, v23
	v_lshlrev_b32_e32 v2, 16, v4
	v_mul_f32_e32 v2, v38, v2
	v_and_b32_e32 v3, 0x7f800000, v2
	v_cmp_ne_u32_e64 s[0:1], s15, v3
                                        ; implicit-def: $vgpr23
	s_and_saveexec_b64 s[8:9], s[0:1]
	s_xor_b64 s[0:1], exec, s[8:9]
; %bb.91:                               ;   in Loop: Header=BB123_40 Depth=1
	v_bfe_u32 v3, v2, 16, 1
	v_add3_u32 v23, v2, v3, s17
                                        ; implicit-def: $vgpr2
; %bb.92:                               ;   in Loop: Header=BB123_40 Depth=1
	s_andn2_saveexec_b64 s[8:9], s[0:1]
; %bb.93:                               ;   in Loop: Header=BB123_40 Depth=1
	v_or_b32_e32 v3, 0x10000, v2
	v_cmp_eq_u32_sdwa s[0:1], v2, v13 src0_sel:WORD_0 src1_sel:DWORD
	s_nop 1
	v_cndmask_b32_e64 v23, v3, v2, s[0:1]
; %bb.94:                               ;   in Loop: Header=BB123_40 Depth=1
	s_or_b64 exec, exec, s[8:9]
	v_and_b32_e32 v39, 0xffff0000, v24
	v_lshlrev_b32_e32 v2, 16, v40
	v_mul_f32_e32 v2, v39, v2
	v_and_b32_e32 v3, 0x7f800000, v2
	v_cmp_ne_u32_e64 s[0:1], s15, v3
                                        ; implicit-def: $vgpr24
	s_and_saveexec_b64 s[8:9], s[0:1]
	s_xor_b64 s[0:1], exec, s[8:9]
; %bb.95:                               ;   in Loop: Header=BB123_40 Depth=1
	v_bfe_u32 v3, v2, 16, 1
	v_add3_u32 v24, v2, v3, s17
                                        ; implicit-def: $vgpr2
; %bb.96:                               ;   in Loop: Header=BB123_40 Depth=1
	s_andn2_saveexec_b64 s[8:9], s[0:1]
; %bb.97:                               ;   in Loop: Header=BB123_40 Depth=1
	v_or_b32_e32 v3, 0x10000, v2
	v_cmp_eq_u32_sdwa s[0:1], v2, v13 src0_sel:WORD_0 src1_sel:DWORD
	s_nop 1
	v_cndmask_b32_e64 v24, v3, v2, s[0:1]
; %bb.98:                               ;   in Loop: Header=BB123_40 Depth=1
	s_or_b64 exec, exec, s[8:9]
	v_and_b32_e32 v40, 0xffff0000, v25
	v_lshlrev_b32_e32 v2, 16, v5
	v_mul_f32_e32 v2, v40, v2
	v_and_b32_e32 v3, 0x7f800000, v2
	v_cmp_ne_u32_e64 s[0:1], s15, v3
                                        ; implicit-def: $vgpr25
	s_and_saveexec_b64 s[8:9], s[0:1]
	s_xor_b64 s[0:1], exec, s[8:9]
; %bb.99:                               ;   in Loop: Header=BB123_40 Depth=1
	v_bfe_u32 v3, v2, 16, 1
	v_add3_u32 v25, v2, v3, s17
                                        ; implicit-def: $vgpr2
; %bb.100:                              ;   in Loop: Header=BB123_40 Depth=1
	s_andn2_saveexec_b64 s[8:9], s[0:1]
; %bb.101:                              ;   in Loop: Header=BB123_40 Depth=1
	v_or_b32_e32 v3, 0x10000, v2
	v_cmp_eq_u32_sdwa s[0:1], v2, v13 src0_sel:WORD_0 src1_sel:DWORD
	s_nop 1
	v_cndmask_b32_e64 v25, v3, v2, s[0:1]
; %bb.102:                              ;   in Loop: Header=BB123_40 Depth=1
	s_or_b64 exec, exec, s[8:9]
	v_and_b32_e32 v41, 0xffff0000, v33
	v_lshlrev_b32_e32 v2, 16, v42
	v_mul_f32_e32 v2, v41, v2
	v_and_b32_e32 v3, 0x7f800000, v2
	v_cmp_ne_u32_e64 s[0:1], s15, v3
                                        ; implicit-def: $vgpr33
	s_and_saveexec_b64 s[8:9], s[0:1]
	s_xor_b64 s[0:1], exec, s[8:9]
; %bb.103:                              ;   in Loop: Header=BB123_40 Depth=1
	v_bfe_u32 v3, v2, 16, 1
	v_add3_u32 v33, v2, v3, s17
                                        ; implicit-def: $vgpr2
; %bb.104:                              ;   in Loop: Header=BB123_40 Depth=1
	s_andn2_saveexec_b64 s[8:9], s[0:1]
; %bb.105:                              ;   in Loop: Header=BB123_40 Depth=1
	v_or_b32_e32 v3, 0x10000, v2
	v_cmp_eq_u32_sdwa s[0:1], v2, v13 src0_sel:WORD_0 src1_sel:DWORD
	s_nop 1
	v_cndmask_b32_e64 v33, v3, v2, s[0:1]
; %bb.106:                              ;   in Loop: Header=BB123_40 Depth=1
	s_or_b64 exec, exec, s[8:9]
	global_load_dwordx4 v[2:5], v[6:7], off offset:1024
	s_waitcnt vmcnt(0)
	v_lshrrev_b32_e32 v44, 16, v2
	v_lshrrev_b32_e32 v43, 16, v3
	;; [unrolled: 1-line block ×4, first 2 shown]
	s_and_saveexec_b64 s[0:1], vcc
	s_cbranch_execz .LBB123_108
; %bb.107:                              ;   in Loop: Header=BB123_40 Depth=1
	v_cmp_gt_i32_e32 vcc, s33, v26
	s_nop 1
	v_cndmask_b32_e32 v2, 0, v2, vcc
	v_cmp_gt_i32_e32 vcc, s33, v32
	s_nop 1
	v_cndmask_b32_e32 v44, 0, v44, vcc
	;; [unrolled: 3-line block ×8, first 2 shown]
.LBB123_108:                            ;   in Loop: Header=BB123_40 Depth=1
	s_or_b64 exec, exec, s[0:1]
	v_lshlrev_b32_e32 v2, 16, v2
	v_mul_f32_e32 v2, v34, v2
	v_and_b32_e32 v6, 0x7f800000, v2
	v_cmp_ne_u32_e32 vcc, s15, v6
                                        ; implicit-def: $vgpr6
	s_and_saveexec_b64 s[0:1], vcc
	s_xor_b64 s[0:1], exec, s[0:1]
; %bb.109:                              ;   in Loop: Header=BB123_40 Depth=1
	v_bfe_u32 v6, v2, 16, 1
	v_add3_u32 v6, v2, v6, s17
                                        ; implicit-def: $vgpr2
; %bb.110:                              ;   in Loop: Header=BB123_40 Depth=1
	s_andn2_saveexec_b64 s[0:1], s[0:1]
; %bb.111:                              ;   in Loop: Header=BB123_40 Depth=1
	v_or_b32_e32 v6, 0x10000, v2
	v_cmp_eq_u32_sdwa vcc, v2, v13 src0_sel:WORD_0 src1_sel:DWORD
	s_nop 1
	v_cndmask_b32_e32 v6, v6, v2, vcc
; %bb.112:                              ;   in Loop: Header=BB123_40 Depth=1
	s_or_b64 exec, exec, s[0:1]
	v_lshlrev_b32_e32 v2, 16, v44
	v_mul_f32_e32 v2, v35, v2
	v_and_b32_e32 v26, 0x7f800000, v2
	v_cmp_ne_u32_e32 vcc, s15, v26
                                        ; implicit-def: $vgpr26
	s_and_saveexec_b64 s[0:1], vcc
	s_xor_b64 s[0:1], exec, s[0:1]
; %bb.113:                              ;   in Loop: Header=BB123_40 Depth=1
	v_bfe_u32 v26, v2, 16, 1
	v_add3_u32 v26, v2, v26, s17
                                        ; implicit-def: $vgpr2
; %bb.114:                              ;   in Loop: Header=BB123_40 Depth=1
	s_andn2_saveexec_b64 s[0:1], s[0:1]
; %bb.115:                              ;   in Loop: Header=BB123_40 Depth=1
	v_or_b32_e32 v26, 0x10000, v2
	v_cmp_eq_u32_sdwa vcc, v2, v13 src0_sel:WORD_0 src1_sel:DWORD
	s_nop 1
	v_cndmask_b32_e32 v26, v26, v2, vcc
; %bb.116:                              ;   in Loop: Header=BB123_40 Depth=1
	s_or_b64 exec, exec, s[0:1]
	v_lshlrev_b32_e32 v2, 16, v3
	v_mul_f32_e32 v2, v36, v2
	v_and_b32_e32 v3, 0x7f800000, v2
	v_cmp_ne_u32_e32 vcc, s15, v3
                                        ; implicit-def: $vgpr27
	s_and_saveexec_b64 s[0:1], vcc
	s_xor_b64 s[0:1], exec, s[0:1]
; %bb.117:                              ;   in Loop: Header=BB123_40 Depth=1
	v_bfe_u32 v3, v2, 16, 1
	v_add3_u32 v27, v2, v3, s17
                                        ; implicit-def: $vgpr2
; %bb.118:                              ;   in Loop: Header=BB123_40 Depth=1
	s_andn2_saveexec_b64 s[0:1], s[0:1]
; %bb.119:                              ;   in Loop: Header=BB123_40 Depth=1
	v_or_b32_e32 v3, 0x10000, v2
	v_cmp_eq_u32_sdwa vcc, v2, v13 src0_sel:WORD_0 src1_sel:DWORD
	s_nop 1
	v_cndmask_b32_e32 v27, v3, v2, vcc
; %bb.120:                              ;   in Loop: Header=BB123_40 Depth=1
	s_or_b64 exec, exec, s[0:1]
	v_lshlrev_b32_e32 v2, 16, v43
	v_mul_f32_e32 v2, v37, v2
	v_and_b32_e32 v3, 0x7f800000, v2
	v_cmp_ne_u32_e32 vcc, s15, v3
                                        ; implicit-def: $vgpr28
	s_and_saveexec_b64 s[0:1], vcc
	s_xor_b64 s[0:1], exec, s[0:1]
; %bb.121:                              ;   in Loop: Header=BB123_40 Depth=1
	v_bfe_u32 v3, v2, 16, 1
	v_add3_u32 v28, v2, v3, s17
                                        ; implicit-def: $vgpr2
; %bb.122:                              ;   in Loop: Header=BB123_40 Depth=1
	s_andn2_saveexec_b64 s[0:1], s[0:1]
; %bb.123:                              ;   in Loop: Header=BB123_40 Depth=1
	v_or_b32_e32 v3, 0x10000, v2
	v_cmp_eq_u32_sdwa vcc, v2, v13 src0_sel:WORD_0 src1_sel:DWORD
	s_nop 1
	v_cndmask_b32_e32 v28, v3, v2, vcc
; %bb.124:                              ;   in Loop: Header=BB123_40 Depth=1
	s_or_b64 exec, exec, s[0:1]
	v_lshlrev_b32_e32 v2, 16, v4
	v_mul_f32_e32 v2, v38, v2
	v_and_b32_e32 v3, 0x7f800000, v2
	v_cmp_ne_u32_e32 vcc, s15, v3
                                        ; implicit-def: $vgpr4
	s_and_saveexec_b64 s[0:1], vcc
	s_xor_b64 s[0:1], exec, s[0:1]
; %bb.125:                              ;   in Loop: Header=BB123_40 Depth=1
	v_bfe_u32 v3, v2, 16, 1
	v_add3_u32 v4, v2, v3, s17
                                        ; implicit-def: $vgpr2
; %bb.126:                              ;   in Loop: Header=BB123_40 Depth=1
	s_andn2_saveexec_b64 s[0:1], s[0:1]
; %bb.127:                              ;   in Loop: Header=BB123_40 Depth=1
	v_or_b32_e32 v3, 0x10000, v2
	v_cmp_eq_u32_sdwa vcc, v2, v13 src0_sel:WORD_0 src1_sel:DWORD
	s_nop 1
	v_cndmask_b32_e32 v4, v3, v2, vcc
; %bb.128:                              ;   in Loop: Header=BB123_40 Depth=1
	s_or_b64 exec, exec, s[0:1]
	v_lshlrev_b32_e32 v2, 16, v42
	v_mul_f32_e32 v2, v39, v2
	v_and_b32_e32 v3, 0x7f800000, v2
	v_cmp_ne_u32_e32 vcc, s15, v3
                                        ; implicit-def: $vgpr29
	s_and_saveexec_b64 s[0:1], vcc
	s_xor_b64 s[0:1], exec, s[0:1]
; %bb.129:                              ;   in Loop: Header=BB123_40 Depth=1
	v_bfe_u32 v3, v2, 16, 1
	v_add3_u32 v29, v2, v3, s17
                                        ; implicit-def: $vgpr2
; %bb.130:                              ;   in Loop: Header=BB123_40 Depth=1
	s_andn2_saveexec_b64 s[0:1], s[0:1]
; %bb.131:                              ;   in Loop: Header=BB123_40 Depth=1
	v_or_b32_e32 v3, 0x10000, v2
	v_cmp_eq_u32_sdwa vcc, v2, v13 src0_sel:WORD_0 src1_sel:DWORD
	s_nop 1
	v_cndmask_b32_e32 v29, v3, v2, vcc
; %bb.132:                              ;   in Loop: Header=BB123_40 Depth=1
	s_or_b64 exec, exec, s[0:1]
	v_lshlrev_b32_e32 v2, 16, v5
	v_mul_f32_e32 v2, v40, v2
	v_and_b32_e32 v3, 0x7f800000, v2
	v_cmp_ne_u32_e32 vcc, s15, v3
                                        ; implicit-def: $vgpr5
	s_and_saveexec_b64 s[0:1], vcc
	s_xor_b64 s[0:1], exec, s[0:1]
; %bb.133:                              ;   in Loop: Header=BB123_40 Depth=1
	v_bfe_u32 v3, v2, 16, 1
	v_add3_u32 v5, v2, v3, s17
                                        ; implicit-def: $vgpr2
; %bb.134:                              ;   in Loop: Header=BB123_40 Depth=1
	s_andn2_saveexec_b64 s[0:1], s[0:1]
; %bb.135:                              ;   in Loop: Header=BB123_40 Depth=1
	v_or_b32_e32 v3, 0x10000, v2
	v_cmp_eq_u32_sdwa vcc, v2, v13 src0_sel:WORD_0 src1_sel:DWORD
	s_nop 1
	v_cndmask_b32_e32 v5, v3, v2, vcc
; %bb.136:                              ;   in Loop: Header=BB123_40 Depth=1
	s_or_b64 exec, exec, s[0:1]
	v_lshlrev_b32_e32 v2, 16, v7
	v_mul_f32_e32 v2, v41, v2
	v_and_b32_e32 v3, 0x7f800000, v2
	v_cmp_ne_u32_e32 vcc, s15, v3
                                        ; implicit-def: $vgpr7
	s_and_saveexec_b64 s[0:1], vcc
	s_xor_b64 s[0:1], exec, s[0:1]
; %bb.137:                              ;   in Loop: Header=BB123_40 Depth=1
	v_bfe_u32 v3, v2, 16, 1
	v_add3_u32 v7, v2, v3, s17
                                        ; implicit-def: $vgpr2
; %bb.138:                              ;   in Loop: Header=BB123_40 Depth=1
	s_andn2_saveexec_b64 s[0:1], s[0:1]
	s_cbranch_execz .LBB123_39
; %bb.139:                              ;   in Loop: Header=BB123_40 Depth=1
	v_or_b32_e32 v3, 0x10000, v2
	v_cmp_eq_u32_sdwa vcc, v2, v13 src0_sel:WORD_0 src1_sel:DWORD
	s_nop 1
	v_cndmask_b32_e32 v7, v3, v2, vcc
	s_branch .LBB123_39
.LBB123_140:
	s_or_b64 exec, exec, s[2:3]
	v_mov_b32_e32 v3, v19
.LBB123_141:
	s_or_b64 exec, exec, s[6:7]
	v_and_b32_e32 v1, 0x3c0, v0
	v_cmp_eq_u32_e32 vcc, 64, v1
	s_barrier
	s_and_saveexec_b64 s[0:1], vcc
	s_cbranch_execz .LBB123_143
; %bb.142:
	v_mov_b32_e32 v1, 0x110
	v_lshl_add_u32 v4, v0, 2, v1
	v_lshl_add_u32 v1, v11, 2, v1
	ds_write_b32 v1, v2
	ds_write_b32 v4, v3
.LBB123_143:
	s_or_b64 exec, exec, s[0:1]
	v_cmp_gt_u32_e32 vcc, 64, v0
	s_waitcnt lgkmcnt(0)
	s_barrier
	s_and_saveexec_b64 s[0:1], vcc
	s_cbranch_execz .LBB123_145
; %bb.144:
	v_mov_b32_e32 v1, 0x110
	v_lshl_add_u32 v0, v0, 2, v1
	ds_read2st64_b32 v[0:1], v0 offset1:1
	s_waitcnt lgkmcnt(0)
	v_pk_add_f32 v[2:3], v[2:3], v[0:1]
.LBB123_145:
	s_or_b64 exec, exec, s[0:1]
	s_barrier
	s_and_saveexec_b64 s[0:1], vcc
	s_cbranch_execz .LBB123_155
; %bb.146:
	s_mov_b32 s0, 0x7f800000
	v_and_b32_e32 v0, 0x7f800000, v2
	v_cmp_ne_u32_e32 vcc, s0, v0
                                        ; implicit-def: $vgpr0
	s_and_saveexec_b64 s[0:1], vcc
	s_xor_b64 s[0:1], exec, s[0:1]
; %bb.147:
	v_bfe_u32 v0, v2, 16, 1
	s_movk_i32 s2, 0x7fff
	v_add3_u32 v0, v2, v0, s2
; %bb.148:
	s_andn2_saveexec_b64 s[0:1], s[0:1]
; %bb.149:
	v_mov_b32_e32 v0, 0
	v_or_b32_e32 v1, 0x10000, v2
	v_cmp_eq_u32_sdwa vcc, v2, v0 src0_sel:WORD_0 src1_sel:DWORD
	s_nop 1
	v_cndmask_b32_e32 v0, v1, v2, vcc
; %bb.150:
	s_or_b64 exec, exec, s[0:1]
	s_mul_i32 s0, s10, s11
	s_mul_i32 s0, s0, s5
	s_lshl_b32 s0, s0, 7
	s_ashr_i32 s1, s0, 31
	s_lshl_b64 s[0:1], s[0:1], 1
	s_add_u32 s2, s18, s0
	s_mul_i32 s0, s11, s16
	s_addc_u32 s3, s19, s1
	s_ashr_i32 s1, s0, 31
	s_lshl_b64 s[0:1], s[0:1], 1
	s_add_u32 s2, s2, s0
	s_addc_u32 s3, s3, s1
	s_lshl_b32 s0, s4, 7
	s_ashr_i32 s1, s0, 31
	s_lshl_b64 s[0:1], s[0:1], 1
	s_add_u32 s0, s2, s0
	s_addc_u32 s1, s3, s1
	global_store_short_d16_hi v10, v0, s[0:1]
	s_mov_b32 s2, 0x7f800000
	v_and_b32_e32 v0, 0x7f800000, v3
	v_mov_b32_e32 v11, 0
	v_cmp_ne_u32_e32 vcc, s2, v0
                                        ; implicit-def: $vgpr4
	s_and_saveexec_b64 s[2:3], vcc
	s_xor_b64 s[2:3], exec, s[2:3]
; %bb.151:
	v_bfe_u32 v0, v3, 16, 1
	s_movk_i32 s4, 0x7fff
	v_add3_u32 v4, v3, v0, s4
                                        ; implicit-def: $vgpr2_vgpr3
; %bb.152:
	s_or_saveexec_b64 s[2:3], s[2:3]
	v_lshl_add_u64 v[0:1], s[0:1], 0, v[10:11]
	s_xor_b64 exec, exec, s[2:3]
; %bb.153:
	v_mov_b32_e32 v2, 0
	v_or_b32_e32 v4, 0x10000, v3
	v_cmp_eq_u32_sdwa vcc, v3, v2 src0_sel:WORD_0 src1_sel:DWORD
	s_nop 1
	v_cndmask_b32_e32 v4, v4, v3, vcc
; %bb.154:
	s_or_b64 exec, exec, s[2:3]
	global_store_short_d16_hi v[0:1], v4, off offset:128
.LBB123_155:
	s_endpgm
	.section	.rodata,"a",@progbits
	.p2align	6, 0x0
	.amdhsa_kernel _ZN4vllm25paged_attention_v1_kernelI14__hip_bfloat16S1_Li128ELi8ELi128ELNS_18Fp8KVCacheDataTypeE0ELb0EEEvPT_PKS3_PKT0_S9_ifPKiSB_iPKfiiiSD_SD_iiiii
		.amdhsa_group_segment_fixed_size 272
		.amdhsa_private_segment_fixed_size 0
		.amdhsa_kernarg_size 384
		.amdhsa_user_sgpr_count 2
		.amdhsa_user_sgpr_dispatch_ptr 0
		.amdhsa_user_sgpr_queue_ptr 0
		.amdhsa_user_sgpr_kernarg_segment_ptr 1
		.amdhsa_user_sgpr_dispatch_id 0
		.amdhsa_user_sgpr_kernarg_preload_length 0
		.amdhsa_user_sgpr_kernarg_preload_offset 0
		.amdhsa_user_sgpr_private_segment_size 0
		.amdhsa_uses_dynamic_stack 0
		.amdhsa_enable_private_segment 0
		.amdhsa_system_sgpr_workgroup_id_x 1
		.amdhsa_system_sgpr_workgroup_id_y 1
		.amdhsa_system_sgpr_workgroup_id_z 1
		.amdhsa_system_sgpr_workgroup_info 0
		.amdhsa_system_vgpr_workitem_id 0
		.amdhsa_next_free_vgpr 50
		.amdhsa_next_free_sgpr 34
		.amdhsa_accum_offset 52
		.amdhsa_reserve_vcc 1
		.amdhsa_float_round_mode_32 0
		.amdhsa_float_round_mode_16_64 0
		.amdhsa_float_denorm_mode_32 3
		.amdhsa_float_denorm_mode_16_64 3
		.amdhsa_dx10_clamp 1
		.amdhsa_ieee_mode 1
		.amdhsa_fp16_overflow 0
		.amdhsa_tg_split 0
		.amdhsa_exception_fp_ieee_invalid_op 0
		.amdhsa_exception_fp_denorm_src 0
		.amdhsa_exception_fp_ieee_div_zero 0
		.amdhsa_exception_fp_ieee_overflow 0
		.amdhsa_exception_fp_ieee_underflow 0
		.amdhsa_exception_fp_ieee_inexact 0
		.amdhsa_exception_int_div_zero 0
	.end_amdhsa_kernel
	.section	.text._ZN4vllm25paged_attention_v1_kernelI14__hip_bfloat16S1_Li128ELi8ELi128ELNS_18Fp8KVCacheDataTypeE0ELb0EEEvPT_PKS3_PKT0_S9_ifPKiSB_iPKfiiiSD_SD_iiiii,"axG",@progbits,_ZN4vllm25paged_attention_v1_kernelI14__hip_bfloat16S1_Li128ELi8ELi128ELNS_18Fp8KVCacheDataTypeE0ELb0EEEvPT_PKS3_PKT0_S9_ifPKiSB_iPKfiiiSD_SD_iiiii,comdat
.Lfunc_end123:
	.size	_ZN4vllm25paged_attention_v1_kernelI14__hip_bfloat16S1_Li128ELi8ELi128ELNS_18Fp8KVCacheDataTypeE0ELb0EEEvPT_PKS3_PKT0_S9_ifPKiSB_iPKfiiiSD_SD_iiiii, .Lfunc_end123-_ZN4vllm25paged_attention_v1_kernelI14__hip_bfloat16S1_Li128ELi8ELi128ELNS_18Fp8KVCacheDataTypeE0ELb0EEEvPT_PKS3_PKT0_S9_ifPKiSB_iPKfiiiSD_SD_iiiii
                                        ; -- End function
	.section	.AMDGPU.csdata,"",@progbits
; Kernel info:
; codeLenInByte = 5960
; NumSgprs: 40
; NumVgprs: 50
; NumAgprs: 0
; TotalNumVgprs: 50
; ScratchSize: 0
; MemoryBound: 0
; FloatMode: 240
; IeeeMode: 1
; LDSByteSize: 272 bytes/workgroup (compile time only)
; SGPRBlocks: 4
; VGPRBlocks: 6
; NumSGPRsForWavesPerEU: 40
; NumVGPRsForWavesPerEU: 50
; AccumOffset: 52
; Occupancy: 8
; WaveLimiterHint : 1
; COMPUTE_PGM_RSRC2:SCRATCH_EN: 0
; COMPUTE_PGM_RSRC2:USER_SGPR: 2
; COMPUTE_PGM_RSRC2:TRAP_HANDLER: 0
; COMPUTE_PGM_RSRC2:TGID_X_EN: 1
; COMPUTE_PGM_RSRC2:TGID_Y_EN: 1
; COMPUTE_PGM_RSRC2:TGID_Z_EN: 1
; COMPUTE_PGM_RSRC2:TIDIG_COMP_CNT: 0
; COMPUTE_PGM_RSRC3_GFX90A:ACCUM_OFFSET: 12
; COMPUTE_PGM_RSRC3_GFX90A:TG_SPLIT: 0
	.section	.text._ZN4vllm25paged_attention_v1_kernelI14__hip_bfloat16S1_Li192ELi8ELi128ELNS_18Fp8KVCacheDataTypeE0ELb0EEEvPT_PKS3_PKT0_S9_ifPKiSB_iPKfiiiSD_SD_iiiii,"axG",@progbits,_ZN4vllm25paged_attention_v1_kernelI14__hip_bfloat16S1_Li192ELi8ELi128ELNS_18Fp8KVCacheDataTypeE0ELb0EEEvPT_PKS3_PKT0_S9_ifPKiSB_iPKfiiiSD_SD_iiiii,comdat
	.protected	_ZN4vllm25paged_attention_v1_kernelI14__hip_bfloat16S1_Li192ELi8ELi128ELNS_18Fp8KVCacheDataTypeE0ELb0EEEvPT_PKS3_PKT0_S9_ifPKiSB_iPKfiiiSD_SD_iiiii ; -- Begin function _ZN4vllm25paged_attention_v1_kernelI14__hip_bfloat16S1_Li192ELi8ELi128ELNS_18Fp8KVCacheDataTypeE0ELb0EEEvPT_PKS3_PKT0_S9_ifPKiSB_iPKfiiiSD_SD_iiiii
	.globl	_ZN4vllm25paged_attention_v1_kernelI14__hip_bfloat16S1_Li192ELi8ELi128ELNS_18Fp8KVCacheDataTypeE0ELb0EEEvPT_PKS3_PKT0_S9_ifPKiSB_iPKfiiiSD_SD_iiiii
	.p2align	8
	.type	_ZN4vllm25paged_attention_v1_kernelI14__hip_bfloat16S1_Li192ELi8ELi128ELNS_18Fp8KVCacheDataTypeE0ELb0EEEvPT_PKS3_PKT0_S9_ifPKiSB_iPKfiiiSD_SD_iiiii,@function
_ZN4vllm25paged_attention_v1_kernelI14__hip_bfloat16S1_Li192ELi8ELi128ELNS_18Fp8KVCacheDataTypeE0ELb0EEEvPT_PKS3_PKT0_S9_ifPKiSB_iPKfiiiSD_SD_iiiii: ; @_ZN4vllm25paged_attention_v1_kernelI14__hip_bfloat16S1_Li192ELi8ELi128ELNS_18Fp8KVCacheDataTypeE0ELb0EEEvPT_PKS3_PKT0_S9_ifPKiSB_iPKfiiiSD_SD_iiiii
; %bb.0:
	s_load_dword s5, s[0:1], 0x80
	s_load_dwordx2 s[6:7], s[0:1], 0x30
	s_load_dwordx2 s[26:27], s[0:1], 0x20
	s_mov_b32 s16, s3
	s_ashr_i32 s17, s3, 31
	s_lshl_b64 s[8:9], s[16:17], 2
	s_waitcnt lgkmcnt(0)
	s_add_u32 s6, s6, s8
	s_addc_u32 s7, s7, s9
	s_abs_i32 s3, s26
	v_cvt_f32_u32_e32 v1, s3
	s_sub_i32 s10, 0, s3
	s_abs_i32 s9, s5
	s_xor_b32 s8, s5, s26
	v_rcp_iflag_f32_e32 v1, v1
	s_ashr_i32 s8, s8, 31
	s_mov_b32 s26, 0
	v_mul_f32_e32 v1, 0x4f7ffffe, v1
	v_cvt_u32_f32_e32 v1, v1
	s_nop 0
	v_readfirstlane_b32 s11, v1
	s_mul_i32 s10, s10, s11
	s_mul_hi_u32 s10, s11, s10
	s_add_i32 s11, s11, s10
	s_mul_hi_u32 s10, s9, s11
	s_mul_i32 s11, s10, s3
	s_sub_i32 s9, s9, s11
	s_add_i32 s11, s10, 1
	s_sub_i32 s12, s9, s3
	s_cmp_ge_u32 s9, s3
	s_cselect_b32 s10, s11, s10
	s_cselect_b32 s9, s12, s9
	s_add_i32 s11, s10, 1
	s_cmp_ge_u32 s9, s3
	s_cselect_b32 s3, s11, s10
	s_xor_b32 s3, s3, s8
	s_sub_i32 s34, s3, s8
	s_abs_i32 s30, s34
	v_cvt_f32_u32_e32 v1, s30
	s_load_dwordx2 s[8:9], s[0:1], 0x40
	s_sub_i32 s3, 0, s30
	s_abs_i32 s31, s2
	v_rcp_iflag_f32_e32 v1, v1
	s_nop 0
	v_mul_f32_e32 v1, 0x4f7ffffe, v1
	v_cvt_u32_f32_e32 v1, v1
	s_nop 0
	v_readfirstlane_b32 s12, v1
	s_mul_i32 s3, s3, s12
	s_mul_hi_u32 s3, s12, s3
	s_add_i32 s12, s12, s3
	s_waitcnt lgkmcnt(0)
	s_cmp_eq_u64 s[8:9], 0
	s_cbranch_scc1 .LBB124_2
; %bb.1:
	s_ashr_i32 s3, s2, 31
	s_lshl_b64 s[10:11], s[2:3], 2
	s_add_u32 s8, s8, s10
	s_addc_u32 s9, s9, s11
	s_load_dword s26, s[8:9], 0x0
.LBB124_2:
	s_load_dwordx2 s[18:19], s[0:1], 0x0
	s_nop 0
	s_load_dwordx4 s[8:11], s[0:1], 0x10
	s_mul_hi_u32 s3, s31, s12
	s_load_dword s17, s[0:1], 0x88
	s_load_dword s33, s[6:7], 0x0
	s_load_dwordx2 s[22:23], s[0:1], 0x28
	s_load_dwordx4 s[12:15], s[0:1], 0x48
	v_and_b32_e32 v37, 7, v0
	s_movk_i32 s6, 0xc0
	s_mul_i32 s20, s2, 0xc0
	s_ashr_i32 s21, s20, 31
	v_cmp_gt_u32_e32 vcc, s6, v0
	v_lshlrev_b32_e32 v2, 1, v37
	s_and_saveexec_b64 s[6:7], vcc
	s_cbranch_execz .LBB124_5
; %bb.3:
	s_load_dwordx2 s[24:25], s[0:1], 0x8
	s_waitcnt lgkmcnt(0)
	s_mul_i32 s28, s16, s12
	s_ashr_i32 s29, s28, 31
	s_lshl_b64 s[28:29], s[28:29], 1
	s_lshl_b64 s[36:37], s[20:21], 1
	s_add_u32 s12, s28, s36
	s_addc_u32 s15, s29, s37
	v_lshrrev_b32_e32 v4, 3, v0
	s_add_u32 s24, s24, s12
	v_add_u32_e32 v1, -16, v4
	v_lshlrev_b32_e32 v3, 1, v4
	v_lshl_or_b32 v4, v4, 4, v2
	v_mov_b32_e32 v5, 0
	s_addc_u32 s25, s25, s15
	v_mad_u32_u24 v3, v37, 48, v3
	v_lshl_add_u64 v[4:5], s[24:25], 0, v[4:5]
	s_mov_b64 s[24:25], 0
	s_mov_b64 s[28:29], 0x100
.LBB124_4:                              ; =>This Inner Loop Header: Depth=1
	global_load_ushort v6, v[4:5], off
	v_add_u32_e32 v1, 16, v1
	v_cmp_lt_u32_e32 vcc, 7, v1
	v_lshl_add_u64 v[4:5], v[4:5], 0, s[28:29]
	s_or_b64 s[24:25], vcc, s[24:25]
	s_waitcnt vmcnt(0)
	ds_write_b16 v3, v6
	v_add_u32_e32 v3, 32, v3
	s_andn2_b64 exec, exec, s[24:25]
	s_cbranch_execnz .LBB124_4
.LBB124_5:
	s_or_b64 exec, exec, s[6:7]
	s_load_dword s0, s[0:1], 0x38
	s_waitcnt lgkmcnt(0)
	s_add_i32 s1, s33, 7
	s_ashr_i32 s7, s1, 31
	s_lshr_b32 s7, s7, 29
	s_ashr_i32 s2, s2, 31
	s_ashr_i32 s6, s34, 31
	s_add_i32 s1, s1, s7
	s_ashr_i32 s12, s1, 3
	s_xor_b32 s1, s2, s6
	s_mul_i32 s2, s3, s30
	s_sub_i32 s2, s31, s2
	s_add_i32 s6, s3, 1
	s_sub_i32 s7, s2, s30
	s_cmp_ge_u32 s2, s30
	s_cselect_b32 s3, s6, s3
	s_cselect_b32 s2, s7, s2
	s_add_i32 s6, s3, 1
	s_cmp_ge_u32 s2, s30
	s_cselect_b32 s2, s6, s3
	v_lshrrev_b32_e32 v1, 6, v0
	s_xor_b32 s2, s2, s1
	s_mul_i32 s24, s16, s0
	s_sub_i32 s6, s2, s1
	s_ashr_i32 s25, s24, 31
	v_cmp_gt_i32_e64 s[0:1], s12, v1
	v_cmp_le_i32_e32 vcc, s12, v1
	v_mbcnt_lo_u32_b32 v4, -1, 0
	s_barrier
	s_waitcnt lgkmcnt(0)
                                        ; implicit-def: $sgpr7
                                        ; implicit-def: $vgpr7
                                        ; implicit-def: $vgpr8
	s_and_saveexec_b64 s[2:3], vcc
	s_xor_b64 s[2:3], exec, s[2:3]
; %bb.6:
	v_mbcnt_hi_u32_b32 v7, -1, v4
	v_and_b32_e32 v2, 64, v7
	v_add_u32_e32 v8, 64, v2
	s_mov_b32 s7, 0xff7fffff
                                        ; implicit-def: $vgpr2
                                        ; implicit-def: $vgpr37
                                        ; implicit-def: $vgpr4
; %bb.7:
	s_or_saveexec_b64 s[28:29], s[2:3]
	v_mov_b32_e32 v33, s7
	s_mul_i32 s14, s6, s14
	v_lshrrev_b32_e32 v6, 4, v0
	s_xor_b64 exec, exec, s[28:29]
	s_cbranch_execz .LBB124_13
; %bb.8:
	s_ashr_i32 s15, s14, 31
	s_lshl_b64 s[2:3], s[14:15], 1
	v_bfe_u32 v5, v0, 3, 3
	s_add_u32 s2, s8, s2
	v_mul_u32_u24_e32 v7, 48, v37
	s_addc_u32 s3, s9, s3
	v_lshlrev_b32_e32 v40, 4, v5
	v_mov_b32_e32 v41, 0
	ds_read_b128 v[14:17], v7
	ds_read_b128 v[22:25], v7 offset:16
	ds_read_b128 v[30:33], v7 offset:32
	v_mbcnt_hi_u32_b32 v7, -1, v4
	v_lshl_add_u64 v[8:9], s[2:3], 0, v[40:41]
	v_mov_b32_e32 v3, v41
	v_and_b32_e32 v4, 64, v7
	v_lshl_add_u64 v[2:3], v[8:9], 0, v[2:3]
	v_add_u32_e32 v8, 64, v4
	v_xor_b32_e32 v4, 4, v7
	v_cmp_lt_i32_e32 vcc, v4, v8
	s_sub_i32 s15, 1, s33
	s_lshl_b64 s[6:7], s[24:25], 2
	v_cndmask_b32_e32 v4, v7, v4, vcc
	v_lshlrev_b32_e32 v34, 2, v4
	v_xor_b32_e32 v4, 2, v7
	v_cmp_lt_i32_e32 vcc, v4, v8
	s_add_u32 s6, s22, s6
	v_and_b32_e32 v40, 60, v6
	v_cndmask_b32_e32 v4, v7, v4, vcc
	v_lshlrev_b32_e32 v35, 2, v4
	v_xor_b32_e32 v4, 1, v7
	v_cmp_lt_i32_e32 vcc, v4, v8
	s_addc_u32 s7, s23, s7
	s_mov_b32 s21, s13
	v_cndmask_b32_e32 v4, v7, v4, vcc
	v_lshlrev_b32_e32 v36, 2, v4
	v_lshlrev_b32_e32 v4, 2, v5
	v_lshl_or_b32 v4, v1, 5, v4
	s_waitcnt lgkmcnt(2)
	v_lshlrev_b32_e32 v9, 16, v14
	v_and_b32_e32 v10, 0xffff0000, v14
	v_lshlrev_b32_e32 v11, 16, v15
	v_and_b32_e32 v12, 0xffff0000, v15
	v_lshlrev_b32_e32 v13, 16, v16
	v_and_b32_e32 v14, 0xffff0000, v16
	v_lshlrev_b32_e32 v15, 16, v17
	v_and_b32_e32 v16, 0xffff0000, v17
	s_waitcnt lgkmcnt(1)
	v_lshlrev_b32_e32 v17, 16, v22
	v_and_b32_e32 v18, 0xffff0000, v22
	v_lshlrev_b32_e32 v19, 16, v23
	v_and_b32_e32 v20, 0xffff0000, v23
	v_lshlrev_b32_e32 v21, 16, v24
	v_and_b32_e32 v22, 0xffff0000, v24
	v_lshlrev_b32_e32 v23, 16, v25
	v_and_b32_e32 v24, 0xffff0000, v25
	s_waitcnt lgkmcnt(0)
	v_lshlrev_b32_e32 v25, 16, v30
	v_and_b32_e32 v26, 0xffff0000, v30
	v_lshlrev_b32_e32 v27, 16, v31
	v_and_b32_e32 v28, 0xffff0000, v31
	v_lshlrev_b32_e32 v29, 16, v32
	v_and_b32_e32 v30, 0xffff0000, v32
	v_lshlrev_b32_e32 v31, 16, v33
	v_and_b32_e32 v32, 0xffff0000, v33
	v_cmp_eq_u32_e32 vcc, 0, v37
	v_cmp_neq_f32_e64 s[2:3], s26, 0
	v_lshl_or_b32 v37, v1, 3, v5
	v_add_u32_e32 v38, 0x190, v4
	v_lshl_add_u64 v[4:5], s[6:7], 0, v[40:41]
	s_mov_b64 s[8:9], 0
	v_mov_b32_e32 v33, 0xff7fffff
	v_mov_b32_e32 v39, v1
	s_branch .LBB124_10
.LBB124_9:                              ;   in Loop: Header=BB124_10 Depth=1
	s_or_b64 exec, exec, s[30:31]
	v_add_u32_e32 v39, 2, v39
	v_cmp_le_i32_e64 s[6:7], s12, v39
	v_add_u32_e32 v37, 16, v37
	v_add_u32_e32 v38, 64, v38
	s_or_b64 s[8:9], s[6:7], s[8:9]
	v_lshl_add_u64 v[4:5], v[4:5], 0, 8
	s_andn2_b64 exec, exec, s[8:9]
	s_cbranch_execz .LBB124_12
.LBB124_10:                             ; =>This Inner Loop Header: Depth=1
	global_load_dword v40, v[4:5], off
	s_waitcnt vmcnt(0) lgkmcnt(0)
	v_mad_i64_i32 v[40:41], s[6:7], v40, s21, 0
	v_lshl_add_u64 v[40:41], v[40:41], 1, v[2:3]
	global_load_ushort v42, v[40:41], off
	global_load_ushort v43, v[40:41], off offset:128
	global_load_ushort v44, v[40:41], off offset:256
	;; [unrolled: 1-line block ×22, first 2 shown]
	s_nop 0
	global_load_ushort v40, v[40:41], off offset:2944
	s_waitcnt vmcnt(23)
	v_lshlrev_b32_e32 v41, 16, v42
	s_waitcnt vmcnt(22)
	v_lshlrev_b32_e32 v42, 16, v43
	v_mul_f32_e32 v42, v10, v42
	s_waitcnt vmcnt(21)
	v_lshlrev_b32_e32 v43, 16, v44
	v_fmac_f32_e32 v42, v9, v41
	s_waitcnt vmcnt(20)
	v_lshlrev_b32_e32 v44, 16, v45
	v_fmac_f32_e32 v42, v11, v43
	;; [unrolled: 3-line block ×21, first 2 shown]
	v_fmac_f32_e32 v42, v31, v63
	s_waitcnt vmcnt(0)
	v_lshlrev_b32_e32 v40, 16, v40
	v_fmac_f32_e32 v42, v32, v40
	ds_bpermute_b32 v40, v34, v42
	s_waitcnt lgkmcnt(0)
	v_add_f32_e32 v40, v42, v40
	ds_bpermute_b32 v41, v35, v40
	s_waitcnt lgkmcnt(0)
	v_add_f32_e32 v40, v40, v41
	ds_bpermute_b32 v41, v36, v40
	s_and_saveexec_b64 s[30:31], vcc
	s_cbranch_execz .LBB124_9
; %bb.11:                               ;   in Loop: Header=BB124_10 Depth=1
	v_add_u32_e32 v42, s15, v37
	v_cvt_f32_i32_e32 v42, v42
	s_waitcnt lgkmcnt(0)
	v_add_f32_e32 v40, v40, v41
	v_cmp_gt_i32_e64 s[6:7], s33, v37
	v_max_f32_e32 v41, v33, v33
	v_mul_f32_e32 v42, s26, v42
	v_cndmask_b32_e64 v42, 0, v42, s[2:3]
	v_fmac_f32_e32 v42, s27, v40
	v_cndmask_b32_e64 v40, 0, v42, s[6:7]
	ds_write_b32 v38, v40
	v_max_f32_e32 v40, v41, v42
	v_cndmask_b32_e64 v33, v33, v40, s[6:7]
	s_branch .LBB124_9
.LBB124_12:
	s_or_b64 exec, exec, s[8:9]
.LBB124_13:
	s_or_b64 exec, exec, s[28:29]
	v_xor_b32_e32 v2, 32, v7
	v_cmp_lt_i32_e32 vcc, v2, v8
	v_xor_b32_e32 v5, 16, v7
	v_max_f32_e32 v4, v33, v33
	v_cndmask_b32_e32 v2, v7, v2, vcc
	v_lshlrev_b32_e32 v3, 2, v2
	ds_bpermute_b32 v2, v3, v33
	v_cmp_lt_i32_e32 vcc, v5, v8
	v_xor_b32_e32 v9, 8, v7
	v_and_b32_e32 v18, 63, v0
	s_waitcnt lgkmcnt(0)
	v_max_f32_e32 v2, v2, v2
	v_max_f32_e32 v2, v4, v2
	v_cndmask_b32_e32 v4, v7, v5, vcc
	v_lshlrev_b32_e32 v5, 2, v4
	ds_bpermute_b32 v4, v5, v2
	v_cmp_lt_i32_e32 vcc, v9, v8
	s_waitcnt lgkmcnt(0)
	v_max_f32_e32 v4, v4, v4
	v_max_f32_e32 v4, v2, v4
	v_cndmask_b32_e32 v2, v7, v9, vcc
	v_lshlrev_b32_e32 v10, 2, v2
	ds_bpermute_b32 v9, v10, v4
	v_cmp_eq_u32_e32 vcc, 0, v18
	v_lshlrev_b32_e32 v2, 2, v1
	s_and_saveexec_b64 s[2:3], vcc
	s_cbranch_execz .LBB124_15
; %bb.14:
	s_waitcnt lgkmcnt(0)
	v_max_f32_e32 v9, v9, v9
	v_max_f32_e32 v4, v4, v4
	;; [unrolled: 1-line block ×3, first 2 shown]
	ds_write_b32 v2, v4 offset:384
.LBB124_15:
	s_or_b64 exec, exec, s[2:3]
	v_cmp_gt_u32_e64 s[2:3], 2, v18
	v_mov_b32_e32 v11, 0xff7fffff
	v_lshlrev_b32_e32 v4, 2, v18
	s_waitcnt lgkmcnt(0)
	s_barrier
	s_and_saveexec_b64 s[6:7], s[2:3]
	s_cbranch_execz .LBB124_17
; %bb.16:
	ds_read_b32 v11, v4 offset:384
.LBB124_17:
	s_or_b64 exec, exec, s[6:7]
	v_xor_b32_e32 v9, 1, v7
	v_cmp_lt_i32_e64 s[6:7], v9, v8
	v_lshlrev_b32_e32 v13, 2, v7
	s_nop 0
	v_cndmask_b32_e64 v9, v7, v9, s[6:7]
	v_lshlrev_b32_e32 v9, 2, v9
	s_waitcnt lgkmcnt(0)
	ds_bpermute_b32 v12, v9, v11
	v_max_f32_e32 v11, v11, v11
	s_lshl_b32 s6, s12, 3
	s_min_i32 s15, s6, s33
	v_cmp_gt_i32_e64 s[6:7], s15, v0
	s_waitcnt lgkmcnt(0)
	v_max_f32_e32 v12, v12, v12
	v_max_f32_e32 v12, v11, v12
	v_and_b32_e32 v11, 0xffffff00, v13
	ds_bpermute_b32 v13, v11, v12
	v_mov_b32_e32 v12, 0
	s_and_saveexec_b64 s[26:27], s[6:7]
	s_cbranch_execz .LBB124_21
; %bb.18:
	v_mov_b32_e32 v12, 0x190
	v_lshl_add_u32 v14, v0, 2, v12
	s_mov_b64 s[28:29], 0
	v_mov_b32_e32 v12, 0
	v_mov_b32_e32 v15, v0
.LBB124_19:                             ; =>This Inner Loop Header: Depth=1
	ds_read_b32 v16, v14
	v_add_u32_e32 v15, 0x80, v15
	v_cmp_le_i32_e64 s[8:9], s15, v15
	s_or_b64 s[28:29], s[8:9], s[28:29]
	s_waitcnt lgkmcnt(0)
	v_sub_f32_e32 v16, v16, v13
	v_mul_f32_e32 v16, 0x3fb8aa3b, v16
	v_exp_f32_e32 v16, v16
	ds_write_b32 v14, v16
	v_add_f32_e32 v12, v12, v16
	v_add_u32_e32 v14, 0x200, v14
	s_andn2_b64 exec, exec, s[28:29]
	s_cbranch_execnz .LBB124_19
; %bb.20:
	s_or_b64 exec, exec, s[28:29]
.LBB124_21:
	s_or_b64 exec, exec, s[26:27]
	ds_bpermute_b32 v3, v3, v12
	s_waitcnt lgkmcnt(0)
	v_add_f32_e32 v3, v12, v3
	ds_bpermute_b32 v5, v5, v3
	s_waitcnt lgkmcnt(0)
	v_add_f32_e32 v3, v3, v5
	ds_bpermute_b32 v5, v10, v3
	v_xor_b32_e32 v10, 4, v7
	v_cmp_lt_i32_e64 s[8:9], v10, v8
	s_waitcnt lgkmcnt(0)
	v_add_f32_e32 v3, v3, v5
	v_cndmask_b32_e64 v10, v7, v10, s[8:9]
	v_lshlrev_b32_e32 v10, 2, v10
	ds_bpermute_b32 v5, v10, v3
	v_xor_b32_e32 v10, 2, v7
	v_cmp_lt_i32_e64 s[8:9], v10, v8
	s_waitcnt lgkmcnt(0)
	v_add_f32_e32 v3, v3, v5
	v_cndmask_b32_e64 v7, v7, v10, s[8:9]
	v_lshlrev_b32_e32 v5, 2, v7
	ds_bpermute_b32 v5, v5, v3
	s_waitcnt lgkmcnt(0)
	v_add_f32_e32 v3, v3, v5
	ds_bpermute_b32 v5, v9, v3
	s_waitcnt lgkmcnt(0)
	v_add_f32_e32 v3, v3, v5
	s_and_saveexec_b64 s[8:9], vcc
	s_cbranch_execz .LBB124_23
; %bb.22:
	ds_write_b32 v2, v3 offset:392
.LBB124_23:
	s_or_b64 exec, exec, s[8:9]
	s_waitcnt lgkmcnt(0)
	s_barrier
	s_and_saveexec_b64 s[8:9], s[2:3]
	s_cbranch_execz .LBB124_25
; %bb.24:
	ds_read_b32 v3, v4 offset:392
.LBB124_25:
	s_or_b64 exec, exec, s[8:9]
	s_waitcnt lgkmcnt(0)
	ds_bpermute_b32 v2, v9, v3
	s_waitcnt lgkmcnt(0)
	v_add_f32_e32 v2, v3, v2
	ds_bpermute_b32 v2, v11, v2
	s_and_saveexec_b64 s[2:3], s[6:7]
	s_cbranch_execz .LBB124_38
; %bb.26:
	s_waitcnt lgkmcnt(0)
	v_add_f32_e32 v2, 0x358637bd, v2
	v_div_scale_f32 v3, s[6:7], v2, v2, 1.0
	v_rcp_f32_e32 v4, v3
	v_div_scale_f32 v5, vcc, 1.0, v2, 1.0
	s_movk_i32 s6, 0x7f
	v_fma_f32 v7, -v3, v4, 1.0
	v_fmac_f32_e32 v4, v7, v4
	v_mul_f32_e32 v7, v5, v4
	v_fma_f32 v8, -v3, v7, v5
	v_fmac_f32_e32 v7, v8, v4
	v_fma_f32 v3, -v3, v7, v5
	v_div_fmas_f32 v3, v3, v4, v7
	v_xad_u32 v4, v0, -1, s15
	v_div_fixup_f32 v2, v3, v2, 1.0
	v_cmp_lt_u32_e32 vcc, s6, v4
	s_mov_b64 s[8:9], -1
	v_mov_b32_e32 v3, v0
	s_and_saveexec_b64 s[6:7], vcc
	s_cbranch_execz .LBB124_35
; %bb.27:
	v_lshrrev_b32_e32 v4, 7, v4
	v_add_u32_e32 v7, -1, v4
	v_lshrrev_b32_e32 v5, 1, v7
	v_mov_b32_e32 v3, v2
	v_add_u32_e32 v5, 1, v5
	v_cmp_lt_u32_e32 vcc, 13, v7
	v_mov_b32_e32 v9, 0
	s_and_saveexec_b64 s[8:9], vcc
	s_cbranch_execz .LBB124_31
; %bb.28:
	v_mov_b32_e32 v8, 0x190
	v_and_b32_e32 v7, -8, v5
	v_lshl_add_u32 v8, v0, 2, v8
	s_mov_b32 s21, 0
	s_mov_b64 s[26:27], 0
.LBB124_29:                             ; =>This Inner Loop Header: Depth=1
	ds_read2st64_b32 v[10:11], v8 offset1:2
	ds_read2st64_b32 v[12:13], v8 offset0:4 offset1:6
	ds_read2st64_b32 v[14:15], v8 offset0:8 offset1:10
	;; [unrolled: 1-line block ×3, first 2 shown]
	v_add_u32_e32 v7, -8, v7
	s_waitcnt lgkmcnt(3)
	v_pk_mul_f32 v[10:11], v[2:3], v[10:11]
	s_waitcnt lgkmcnt(2)
	v_pk_mul_f32 v[12:13], v[2:3], v[12:13]
	ds_write2st64_b32 v8, v10, v11 offset1:2
	ds_write2st64_b32 v8, v12, v13 offset0:4 offset1:6
	ds_read2st64_b32 v[12:13], v8 offset0:16 offset1:18
	s_waitcnt lgkmcnt(4)
	v_pk_mul_f32 v[10:11], v[2:3], v[14:15]
	ds_write2st64_b32 v8, v10, v11 offset0:8 offset1:10
	s_waitcnt lgkmcnt(4)
	v_pk_mul_f32 v[10:11], v[2:3], v[16:17]
	ds_write2st64_b32 v8, v10, v11 offset0:12 offset1:14
	ds_read2st64_b32 v[10:11], v8 offset0:20 offset1:22
	s_waitcnt lgkmcnt(3)
	v_pk_mul_f32 v[12:13], v[2:3], v[12:13]
	ds_read2st64_b32 v[14:15], v8 offset0:24 offset1:26
	ds_write2st64_b32 v8, v12, v13 offset0:16 offset1:18
	ds_read2st64_b32 v[12:13], v8 offset0:28 offset1:30
	s_waitcnt lgkmcnt(3)
	v_pk_mul_f32 v[10:11], v[2:3], v[10:11]
	ds_write2st64_b32 v8, v10, v11 offset0:20 offset1:22
	s_waitcnt lgkmcnt(3)
	v_pk_mul_f32 v[10:11], v[2:3], v[14:15]
	ds_write2st64_b32 v8, v10, v11 offset0:24 offset1:26
	s_waitcnt lgkmcnt(2)
	v_pk_mul_f32 v[10:11], v[2:3], v[12:13]
	s_add_i32 s21, s21, 16
	v_cmp_eq_u32_e32 vcc, 0, v7
	ds_write2st64_b32 v8, v10, v11 offset0:28 offset1:30
	v_add_u32_e32 v8, 0x2000, v8
	s_or_b64 s[26:27], vcc, s[26:27]
	v_mov_b32_e32 v9, s21
	s_andn2_b64 exec, exec, s[26:27]
	s_cbranch_execnz .LBB124_29
; %bb.30:
	s_or_b64 exec, exec, s[26:27]
.LBB124_31:
	s_or_b64 exec, exec, s[8:9]
	v_and_b32_e32 v5, 7, v5
	v_cmp_ne_u32_e32 vcc, 0, v5
	s_and_saveexec_b64 s[8:9], vcc
	s_cbranch_execz .LBB124_34
; %bb.32:
	v_lshlrev_b32_e32 v7, 9, v9
	v_lshlrev_b32_e32 v8, 2, v0
	s_movk_i32 s21, 0x190
	v_add3_u32 v7, v7, v8, s21
	s_mov_b64 s[26:27], 0
.LBB124_33:                             ; =>This Inner Loop Header: Depth=1
	ds_read2st64_b32 v[8:9], v7 offset1:2
	v_add_u32_e32 v5, -1, v5
	v_cmp_eq_u32_e32 vcc, 0, v5
	s_or_b64 s[26:27], vcc, s[26:27]
	s_waitcnt lgkmcnt(0)
	v_pk_mul_f32 v[8:9], v[2:3], v[8:9]
	ds_write2st64_b32 v7, v8, v9 offset1:2
	v_add_u32_e32 v7, 0x400, v7
	s_andn2_b64 exec, exec, s[26:27]
	s_cbranch_execnz .LBB124_33
.LBB124_34:
	s_or_b64 exec, exec, s[8:9]
	v_add_u32_e32 v4, 1, v4
	v_and_b32_e32 v5, 0x3fffffe, v4
	v_cmp_ne_u32_e32 vcc, v4, v5
	v_lshl_add_u32 v3, v5, 7, v0
	s_orn2_b64 s[8:9], vcc, exec
.LBB124_35:
	s_or_b64 exec, exec, s[6:7]
	s_and_b64 exec, exec, s[8:9]
	s_cbranch_execz .LBB124_38
; %bb.36:
	v_mov_b32_e32 v4, 0x190
	v_lshl_add_u32 v4, v3, 2, v4
	s_mov_b64 s[6:7], 0
.LBB124_37:                             ; =>This Inner Loop Header: Depth=1
	ds_read_b32 v5, v4
	v_add_u32_e32 v3, 0x80, v3
	v_cmp_le_i32_e32 vcc, s15, v3
	s_or_b64 s[6:7], vcc, s[6:7]
	s_waitcnt lgkmcnt(0)
	v_mul_f32_e32 v5, v2, v5
	ds_write_b32 v4, v5
	v_add_u32_e32 v4, 0x200, v4
	s_andn2_b64 exec, exec, s[6:7]
	s_cbranch_execnz .LBB124_37
.LBB124_38:
	s_or_b64 exec, exec, s[2:3]
	v_mov_b32_e32 v10, 0
	v_mov_b32_e32 v13, v10
	;; [unrolled: 1-line block ×3, first 2 shown]
	s_waitcnt lgkmcnt(0)
	s_barrier
	s_and_saveexec_b64 s[2:3], s[0:1]
	s_cbranch_execz .LBB124_176
; %bb.39:
	s_ashr_i32 s15, s14, 31
	s_lshl_b64 s[0:1], s[14:15], 1
	s_add_u32 s0, s10, s0
	s_addc_u32 s1, s11, s1
	v_lshlrev_b32_e32 v10, 4, v18
	v_mov_b32_e32 v11, 0
	s_add_i32 s10, s12, -1
	v_lshl_add_u64 v[14:15], s[0:1], 0, v[10:11]
	s_lshl_b64 s[0:1], s[24:25], 2
	s_add_u32 s0, s22, s0
	v_mov_b32_e32 v2, 0x190
	v_and_b32_e32 v10, 60, v6
	s_addc_u32 s1, s23, s1
	v_lshl_or_b32 v19, v1, 3, 7
	v_lshl_add_u32 v20, v1, 5, v2
	v_lshl_add_u64 v[16:17], s[0:1], 0, v[10:11]
	s_mov_b64 s[6:7], 0
	s_mov_b32 s11, 0x7f800000
	s_movk_i32 s14, 0x7fff
	v_mov_b32_e32 v12, 0
	v_mov_b32_e32 v13, 0
	;; [unrolled: 1-line block ×3, first 2 shown]
	s_branch .LBB124_41
.LBB124_40:                             ;   in Loop: Header=BB124_41 Depth=1
	s_or_b64 exec, exec, s[0:1]
	v_and_b32_e32 v28, 0xffff0000, v24
	v_and_b32_e32 v24, 0xffff0000, v23
	;; [unrolled: 1-line block ×8, first 2 shown]
	v_pk_add_f32 v[8:9], v[8:9], v[22:23]
	v_pk_add_f32 v[22:23], v[24:25], v[28:29]
	v_add_f32_e32 v8, v8, v9
	v_add_f32_e32 v8, v8, v22
	;; [unrolled: 1-line block ×3, first 2 shown]
	v_and_b32_e32 v25, 0xffff0000, v45
	v_and_b32_e32 v24, 0xffff0000, v43
	v_and_b32_e32 v29, 0xffff0000, v44
	v_and_b32_e32 v28, 0xffff0000, v42
	v_add_f32_e32 v12, v12, v8
	v_and_b32_e32 v9, 0xffff0000, v49
	v_and_b32_e32 v8, 0xffff0000, v47
	;; [unrolled: 1-line block ×4, first 2 shown]
	v_pk_add_f32 v[24:25], v[28:29], v[24:25]
	v_pk_add_f32 v[8:9], v[22:23], v[8:9]
	v_add_f32_e32 v21, v24, v25
	v_add_f32_e32 v8, v21, v8
	;; [unrolled: 1-line block ×3, first 2 shown]
	v_and_b32_e32 v23, 0xffff0000, v26
	v_and_b32_e32 v22, 0xffff0000, v7
	;; [unrolled: 1-line block ×4, first 2 shown]
	v_add_f32_e32 v13, v13, v8
	v_and_b32_e32 v9, 0xffff0000, v6
	v_and_b32_e32 v8, 0xffff0000, v27
	;; [unrolled: 1-line block ×4, first 2 shown]
	v_pk_add_f32 v[2:3], v[2:3], v[22:23]
	v_pk_add_f32 v[4:5], v[4:5], v[8:9]
	v_add_f32_e32 v2, v2, v3
	v_add_f32_e32 v2, v2, v4
	v_add_u32_e32 v1, 2, v1
	v_add_f32_e32 v2, v2, v5
	v_cmp_le_i32_e32 vcc, s12, v1
	v_add_f32_e32 v10, v10, v2
	v_add_u32_e32 v19, 16, v19
	v_add_u32_e32 v20, 64, v20
	s_or_b64 s[6:7], vcc, s[6:7]
	v_lshl_add_u64 v[16:17], v[16:17], 0, 8
	s_andn2_b64 exec, exec, s[6:7]
	s_cbranch_execz .LBB124_175
.LBB124_41:                             ; =>This Inner Loop Header: Depth=1
	global_load_dword v26, v[16:17], off
	ds_read2_b64 v[6:9], v20 offset1:1
	ds_read2_b64 v[2:5], v20 offset0:2 offset1:3
                                        ; implicit-def: $vgpr34
	s_waitcnt lgkmcnt(1)
	v_and_b32_e32 v21, 0x7f800000, v6
	v_cmp_ne_u32_e32 vcc, s11, v21
	s_and_saveexec_b64 s[0:1], vcc
	s_xor_b64 s[0:1], exec, s[0:1]
; %bb.42:                               ;   in Loop: Header=BB124_41 Depth=1
	v_bfe_u32 v21, v6, 16, 1
	v_add3_u32 v34, v6, v21, s14
; %bb.43:                               ;   in Loop: Header=BB124_41 Depth=1
	s_andn2_saveexec_b64 s[0:1], s[0:1]
; %bb.44:                               ;   in Loop: Header=BB124_41 Depth=1
	v_or_b32_e32 v21, 0x10000, v6
	v_cmp_eq_u32_sdwa vcc, v6, v11 src0_sel:WORD_0 src1_sel:DWORD
	s_nop 1
	v_cndmask_b32_e32 v34, v21, v6, vcc
; %bb.45:                               ;   in Loop: Header=BB124_41 Depth=1
	s_or_b64 exec, exec, s[0:1]
	v_and_b32_e32 v6, 0x7f800000, v7
	v_cmp_ne_u32_e32 vcc, s11, v6
                                        ; implicit-def: $vgpr35
	s_and_saveexec_b64 s[0:1], vcc
	s_xor_b64 s[0:1], exec, s[0:1]
; %bb.46:                               ;   in Loop: Header=BB124_41 Depth=1
	v_bfe_u32 v6, v7, 16, 1
	v_add3_u32 v35, v7, v6, s14
; %bb.47:                               ;   in Loop: Header=BB124_41 Depth=1
	s_andn2_saveexec_b64 s[0:1], s[0:1]
; %bb.48:                               ;   in Loop: Header=BB124_41 Depth=1
	v_or_b32_e32 v6, 0x10000, v7
	v_cmp_eq_u32_sdwa vcc, v7, v11 src0_sel:WORD_0 src1_sel:DWORD
	s_nop 1
	v_cndmask_b32_e32 v35, v6, v7, vcc
; %bb.49:                               ;   in Loop: Header=BB124_41 Depth=1
	s_or_b64 exec, exec, s[0:1]
	v_and_b32_e32 v6, 0x7f800000, v8
	v_cmp_ne_u32_e32 vcc, s11, v6
                                        ; implicit-def: $vgpr21
	s_and_saveexec_b64 s[0:1], vcc
	s_xor_b64 s[0:1], exec, s[0:1]
; %bb.50:                               ;   in Loop: Header=BB124_41 Depth=1
	v_bfe_u32 v6, v8, 16, 1
	v_add3_u32 v21, v8, v6, s14
; %bb.51:                               ;   in Loop: Header=BB124_41 Depth=1
	s_andn2_saveexec_b64 s[0:1], s[0:1]
; %bb.52:                               ;   in Loop: Header=BB124_41 Depth=1
	v_or_b32_e32 v6, 0x10000, v8
	v_cmp_eq_u32_sdwa vcc, v8, v11 src0_sel:WORD_0 src1_sel:DWORD
	s_nop 1
	v_cndmask_b32_e32 v21, v6, v8, vcc
; %bb.53:                               ;   in Loop: Header=BB124_41 Depth=1
	s_or_b64 exec, exec, s[0:1]
	v_and_b32_e32 v6, 0x7f800000, v9
	v_cmp_ne_u32_e32 vcc, s11, v6
                                        ; implicit-def: $vgpr22
	s_and_saveexec_b64 s[0:1], vcc
	s_xor_b64 s[0:1], exec, s[0:1]
; %bb.54:                               ;   in Loop: Header=BB124_41 Depth=1
	v_bfe_u32 v6, v9, 16, 1
	v_add3_u32 v22, v9, v6, s14
                                        ; implicit-def: $vgpr6_vgpr7_vgpr8_vgpr9
; %bb.55:                               ;   in Loop: Header=BB124_41 Depth=1
	s_andn2_saveexec_b64 s[0:1], s[0:1]
; %bb.56:                               ;   in Loop: Header=BB124_41 Depth=1
	v_or_b32_e32 v6, 0x10000, v9
	v_cmp_eq_u32_sdwa vcc, v9, v11 src0_sel:WORD_0 src1_sel:DWORD
	s_nop 1
	v_cndmask_b32_e32 v22, v6, v9, vcc
; %bb.57:                               ;   in Loop: Header=BB124_41 Depth=1
	s_or_b64 exec, exec, s[0:1]
	s_waitcnt lgkmcnt(0)
	v_and_b32_e32 v6, 0x7f800000, v2
	v_cmp_ne_u32_e32 vcc, s11, v6
                                        ; implicit-def: $vgpr23
	s_and_saveexec_b64 s[0:1], vcc
	s_xor_b64 s[0:1], exec, s[0:1]
; %bb.58:                               ;   in Loop: Header=BB124_41 Depth=1
	v_bfe_u32 v6, v2, 16, 1
	v_add3_u32 v23, v2, v6, s14
; %bb.59:                               ;   in Loop: Header=BB124_41 Depth=1
	s_andn2_saveexec_b64 s[0:1], s[0:1]
; %bb.60:                               ;   in Loop: Header=BB124_41 Depth=1
	v_or_b32_e32 v6, 0x10000, v2
	v_cmp_eq_u32_sdwa vcc, v2, v11 src0_sel:WORD_0 src1_sel:DWORD
	s_nop 1
	v_cndmask_b32_e32 v23, v6, v2, vcc
; %bb.61:                               ;   in Loop: Header=BB124_41 Depth=1
	s_or_b64 exec, exec, s[0:1]
	v_and_b32_e32 v2, 0x7f800000, v3
	v_cmp_ne_u32_e32 vcc, s11, v2
                                        ; implicit-def: $vgpr24
	s_and_saveexec_b64 s[0:1], vcc
	s_xor_b64 s[0:1], exec, s[0:1]
; %bb.62:                               ;   in Loop: Header=BB124_41 Depth=1
	v_bfe_u32 v2, v3, 16, 1
	v_add3_u32 v24, v3, v2, s14
; %bb.63:                               ;   in Loop: Header=BB124_41 Depth=1
	s_andn2_saveexec_b64 s[0:1], s[0:1]
; %bb.64:                               ;   in Loop: Header=BB124_41 Depth=1
	v_or_b32_e32 v2, 0x10000, v3
	v_cmp_eq_u32_sdwa vcc, v3, v11 src0_sel:WORD_0 src1_sel:DWORD
	s_nop 1
	v_cndmask_b32_e32 v24, v2, v3, vcc
; %bb.65:                               ;   in Loop: Header=BB124_41 Depth=1
	s_or_b64 exec, exec, s[0:1]
	v_and_b32_e32 v2, 0x7f800000, v4
	v_cmp_ne_u32_e32 vcc, s11, v2
                                        ; implicit-def: $vgpr25
	s_and_saveexec_b64 s[0:1], vcc
	s_xor_b64 s[0:1], exec, s[0:1]
; %bb.66:                               ;   in Loop: Header=BB124_41 Depth=1
	v_bfe_u32 v2, v4, 16, 1
	v_add3_u32 v25, v4, v2, s14
; %bb.67:                               ;   in Loop: Header=BB124_41 Depth=1
	s_andn2_saveexec_b64 s[0:1], s[0:1]
; %bb.68:                               ;   in Loop: Header=BB124_41 Depth=1
	v_or_b32_e32 v2, 0x10000, v4
	v_cmp_eq_u32_sdwa vcc, v4, v11 src0_sel:WORD_0 src1_sel:DWORD
	s_nop 1
	v_cndmask_b32_e32 v25, v2, v4, vcc
; %bb.69:                               ;   in Loop: Header=BB124_41 Depth=1
	s_or_b64 exec, exec, s[0:1]
	v_and_b32_e32 v2, 0x7f800000, v5
	v_cmp_ne_u32_e32 vcc, s11, v2
                                        ; implicit-def: $vgpr33
	s_and_saveexec_b64 s[0:1], vcc
	s_xor_b64 s[0:1], exec, s[0:1]
; %bb.70:                               ;   in Loop: Header=BB124_41 Depth=1
	v_bfe_u32 v2, v5, 16, 1
	v_add3_u32 v33, v5, v2, s14
                                        ; implicit-def: $vgpr2_vgpr3_vgpr4_vgpr5
; %bb.71:                               ;   in Loop: Header=BB124_41 Depth=1
	s_andn2_saveexec_b64 s[0:1], s[0:1]
; %bb.72:                               ;   in Loop: Header=BB124_41 Depth=1
	v_or_b32_e32 v2, 0x10000, v5
	v_cmp_eq_u32_sdwa vcc, v5, v11 src0_sel:WORD_0 src1_sel:DWORD
	s_nop 1
	v_cndmask_b32_e32 v33, v2, v5, vcc
; %bb.73:                               ;   in Loop: Header=BB124_41 Depth=1
	s_or_b64 exec, exec, s[0:1]
	s_waitcnt vmcnt(0)
	v_mad_i64_i32 v[2:3], s[0:1], v26, s13, 0
	v_lshl_add_u64 v[6:7], v[2:3], 1, v[14:15]
	global_load_dwordx4 v[2:5], v[6:7], off
	v_add_u32_e32 v26, -7, v19
	v_cmp_eq_u32_e32 vcc, s10, v1
	v_add_u32_e32 v32, -6, v19
	v_add_u32_e32 v30, -5, v19
	;; [unrolled: 1-line block ×6, first 2 shown]
	s_waitcnt vmcnt(0)
	v_lshrrev_b32_e32 v9, 16, v2
	v_lshrrev_b32_e32 v38, 16, v3
	v_lshrrev_b32_e32 v40, 16, v4
	v_lshrrev_b32_e32 v42, 16, v5
	s_and_saveexec_b64 s[8:9], vcc
	s_cbranch_execz .LBB124_75
; %bb.74:                               ;   in Loop: Header=BB124_41 Depth=1
	v_cmp_gt_i32_e64 s[0:1], s33, v26
	s_nop 1
	v_cndmask_b32_e64 v2, 0, v2, s[0:1]
	v_cmp_gt_i32_e64 s[0:1], s33, v32
	s_nop 1
	v_cndmask_b32_e64 v9, 0, v9, s[0:1]
	;; [unrolled: 3-line block ×8, first 2 shown]
.LBB124_75:                             ;   in Loop: Header=BB124_41 Depth=1
	s_or_b64 exec, exec, s[8:9]
	v_and_b32_e32 v34, 0xffff0000, v34
	v_lshlrev_b32_e32 v2, 16, v2
	v_mul_f32_e32 v2, v34, v2
	v_and_b32_e32 v8, 0x7f800000, v2
	v_cmp_ne_u32_e64 s[0:1], s11, v8
                                        ; implicit-def: $vgpr8
	s_and_saveexec_b64 s[8:9], s[0:1]
	s_xor_b64 s[0:1], exec, s[8:9]
; %bb.76:                               ;   in Loop: Header=BB124_41 Depth=1
	v_bfe_u32 v8, v2, 16, 1
	v_add3_u32 v8, v2, v8, s14
                                        ; implicit-def: $vgpr2
; %bb.77:                               ;   in Loop: Header=BB124_41 Depth=1
	s_andn2_saveexec_b64 s[8:9], s[0:1]
; %bb.78:                               ;   in Loop: Header=BB124_41 Depth=1
	v_or_b32_e32 v8, 0x10000, v2
	v_cmp_eq_u32_sdwa s[0:1], v2, v11 src0_sel:WORD_0 src1_sel:DWORD
	s_nop 1
	v_cndmask_b32_e64 v8, v8, v2, s[0:1]
; %bb.79:                               ;   in Loop: Header=BB124_41 Depth=1
	s_or_b64 exec, exec, s[8:9]
	v_and_b32_e32 v35, 0xffff0000, v35
	v_lshlrev_b32_e32 v2, 16, v9
	v_mul_f32_e32 v2, v35, v2
	v_and_b32_e32 v9, 0x7f800000, v2
	v_cmp_ne_u32_e64 s[0:1], s11, v9
                                        ; implicit-def: $vgpr9
	s_and_saveexec_b64 s[8:9], s[0:1]
	s_xor_b64 s[0:1], exec, s[8:9]
; %bb.80:                               ;   in Loop: Header=BB124_41 Depth=1
	v_bfe_u32 v9, v2, 16, 1
	v_add3_u32 v9, v2, v9, s14
                                        ; implicit-def: $vgpr2
; %bb.81:                               ;   in Loop: Header=BB124_41 Depth=1
	s_andn2_saveexec_b64 s[8:9], s[0:1]
; %bb.82:                               ;   in Loop: Header=BB124_41 Depth=1
	v_or_b32_e32 v9, 0x10000, v2
	v_cmp_eq_u32_sdwa s[0:1], v2, v11 src0_sel:WORD_0 src1_sel:DWORD
	s_nop 1
	v_cndmask_b32_e64 v9, v9, v2, s[0:1]
; %bb.83:                               ;   in Loop: Header=BB124_41 Depth=1
	s_or_b64 exec, exec, s[8:9]
	v_and_b32_e32 v36, 0xffff0000, v21
	v_lshlrev_b32_e32 v2, 16, v3
	v_mul_f32_e32 v2, v36, v2
	v_and_b32_e32 v3, 0x7f800000, v2
	v_cmp_ne_u32_e64 s[0:1], s11, v3
                                        ; implicit-def: $vgpr21
	s_and_saveexec_b64 s[8:9], s[0:1]
	s_xor_b64 s[0:1], exec, s[8:9]
; %bb.84:                               ;   in Loop: Header=BB124_41 Depth=1
	v_bfe_u32 v3, v2, 16, 1
	v_add3_u32 v21, v2, v3, s14
                                        ; implicit-def: $vgpr2
; %bb.85:                               ;   in Loop: Header=BB124_41 Depth=1
	s_andn2_saveexec_b64 s[8:9], s[0:1]
; %bb.86:                               ;   in Loop: Header=BB124_41 Depth=1
	v_or_b32_e32 v3, 0x10000, v2
	v_cmp_eq_u32_sdwa s[0:1], v2, v11 src0_sel:WORD_0 src1_sel:DWORD
	s_nop 1
	v_cndmask_b32_e64 v21, v3, v2, s[0:1]
; %bb.87:                               ;   in Loop: Header=BB124_41 Depth=1
	s_or_b64 exec, exec, s[8:9]
	v_and_b32_e32 v37, 0xffff0000, v22
	v_lshlrev_b32_e32 v2, 16, v38
	v_mul_f32_e32 v2, v37, v2
	v_and_b32_e32 v3, 0x7f800000, v2
	v_cmp_ne_u32_e64 s[0:1], s11, v3
                                        ; implicit-def: $vgpr22
	s_and_saveexec_b64 s[8:9], s[0:1]
	s_xor_b64 s[0:1], exec, s[8:9]
; %bb.88:                               ;   in Loop: Header=BB124_41 Depth=1
	v_bfe_u32 v3, v2, 16, 1
	v_add3_u32 v22, v2, v3, s14
                                        ; implicit-def: $vgpr2
; %bb.89:                               ;   in Loop: Header=BB124_41 Depth=1
	s_andn2_saveexec_b64 s[8:9], s[0:1]
; %bb.90:                               ;   in Loop: Header=BB124_41 Depth=1
	v_or_b32_e32 v3, 0x10000, v2
	v_cmp_eq_u32_sdwa s[0:1], v2, v11 src0_sel:WORD_0 src1_sel:DWORD
	s_nop 1
	v_cndmask_b32_e64 v22, v3, v2, s[0:1]
; %bb.91:                               ;   in Loop: Header=BB124_41 Depth=1
	s_or_b64 exec, exec, s[8:9]
	v_and_b32_e32 v38, 0xffff0000, v23
	v_lshlrev_b32_e32 v2, 16, v4
	v_mul_f32_e32 v2, v38, v2
	v_and_b32_e32 v3, 0x7f800000, v2
	v_cmp_ne_u32_e64 s[0:1], s11, v3
                                        ; implicit-def: $vgpr23
	s_and_saveexec_b64 s[8:9], s[0:1]
	s_xor_b64 s[0:1], exec, s[8:9]
; %bb.92:                               ;   in Loop: Header=BB124_41 Depth=1
	v_bfe_u32 v3, v2, 16, 1
	v_add3_u32 v23, v2, v3, s14
                                        ; implicit-def: $vgpr2
; %bb.93:                               ;   in Loop: Header=BB124_41 Depth=1
	s_andn2_saveexec_b64 s[8:9], s[0:1]
; %bb.94:                               ;   in Loop: Header=BB124_41 Depth=1
	v_or_b32_e32 v3, 0x10000, v2
	v_cmp_eq_u32_sdwa s[0:1], v2, v11 src0_sel:WORD_0 src1_sel:DWORD
	s_nop 1
	v_cndmask_b32_e64 v23, v3, v2, s[0:1]
; %bb.95:                               ;   in Loop: Header=BB124_41 Depth=1
	s_or_b64 exec, exec, s[8:9]
	v_and_b32_e32 v39, 0xffff0000, v24
	v_lshlrev_b32_e32 v2, 16, v40
	v_mul_f32_e32 v2, v39, v2
	v_and_b32_e32 v3, 0x7f800000, v2
	v_cmp_ne_u32_e64 s[0:1], s11, v3
                                        ; implicit-def: $vgpr24
	s_and_saveexec_b64 s[8:9], s[0:1]
	s_xor_b64 s[0:1], exec, s[8:9]
; %bb.96:                               ;   in Loop: Header=BB124_41 Depth=1
	v_bfe_u32 v3, v2, 16, 1
	v_add3_u32 v24, v2, v3, s14
                                        ; implicit-def: $vgpr2
; %bb.97:                               ;   in Loop: Header=BB124_41 Depth=1
	s_andn2_saveexec_b64 s[8:9], s[0:1]
; %bb.98:                               ;   in Loop: Header=BB124_41 Depth=1
	v_or_b32_e32 v3, 0x10000, v2
	v_cmp_eq_u32_sdwa s[0:1], v2, v11 src0_sel:WORD_0 src1_sel:DWORD
	s_nop 1
	v_cndmask_b32_e64 v24, v3, v2, s[0:1]
; %bb.99:                               ;   in Loop: Header=BB124_41 Depth=1
	s_or_b64 exec, exec, s[8:9]
	v_and_b32_e32 v40, 0xffff0000, v25
	v_lshlrev_b32_e32 v2, 16, v5
	v_mul_f32_e32 v2, v40, v2
	v_and_b32_e32 v3, 0x7f800000, v2
	v_cmp_ne_u32_e64 s[0:1], s11, v3
                                        ; implicit-def: $vgpr25
	s_and_saveexec_b64 s[8:9], s[0:1]
	s_xor_b64 s[0:1], exec, s[8:9]
; %bb.100:                              ;   in Loop: Header=BB124_41 Depth=1
	v_bfe_u32 v3, v2, 16, 1
	v_add3_u32 v25, v2, v3, s14
                                        ; implicit-def: $vgpr2
; %bb.101:                              ;   in Loop: Header=BB124_41 Depth=1
	s_andn2_saveexec_b64 s[8:9], s[0:1]
; %bb.102:                              ;   in Loop: Header=BB124_41 Depth=1
	v_or_b32_e32 v3, 0x10000, v2
	v_cmp_eq_u32_sdwa s[0:1], v2, v11 src0_sel:WORD_0 src1_sel:DWORD
	s_nop 1
	v_cndmask_b32_e64 v25, v3, v2, s[0:1]
; %bb.103:                              ;   in Loop: Header=BB124_41 Depth=1
	s_or_b64 exec, exec, s[8:9]
	v_and_b32_e32 v41, 0xffff0000, v33
	v_lshlrev_b32_e32 v2, 16, v42
	v_mul_f32_e32 v2, v41, v2
	v_and_b32_e32 v3, 0x7f800000, v2
	v_cmp_ne_u32_e64 s[0:1], s11, v3
                                        ; implicit-def: $vgpr33
	s_and_saveexec_b64 s[8:9], s[0:1]
	s_xor_b64 s[0:1], exec, s[8:9]
; %bb.104:                              ;   in Loop: Header=BB124_41 Depth=1
	v_bfe_u32 v3, v2, 16, 1
	v_add3_u32 v33, v2, v3, s14
                                        ; implicit-def: $vgpr2
; %bb.105:                              ;   in Loop: Header=BB124_41 Depth=1
	s_andn2_saveexec_b64 s[8:9], s[0:1]
; %bb.106:                              ;   in Loop: Header=BB124_41 Depth=1
	v_or_b32_e32 v3, 0x10000, v2
	v_cmp_eq_u32_sdwa s[0:1], v2, v11 src0_sel:WORD_0 src1_sel:DWORD
	s_nop 1
	v_cndmask_b32_e64 v33, v3, v2, s[0:1]
; %bb.107:                              ;   in Loop: Header=BB124_41 Depth=1
	s_or_b64 exec, exec, s[8:9]
	global_load_dwordx4 v[2:5], v[6:7], off offset:1024
	s_waitcnt vmcnt(0)
	v_lshrrev_b32_e32 v43, 16, v2
	v_lshrrev_b32_e32 v45, 16, v3
	;; [unrolled: 1-line block ×4, first 2 shown]
	s_and_saveexec_b64 s[8:9], vcc
	s_cbranch_execz .LBB124_109
; %bb.108:                              ;   in Loop: Header=BB124_41 Depth=1
	v_cmp_gt_i32_e64 s[0:1], s33, v26
	s_nop 1
	v_cndmask_b32_e64 v2, 0, v2, s[0:1]
	v_cmp_gt_i32_e64 s[0:1], s33, v32
	s_nop 1
	v_cndmask_b32_e64 v43, 0, v43, s[0:1]
	;; [unrolled: 3-line block ×8, first 2 shown]
.LBB124_109:                            ;   in Loop: Header=BB124_41 Depth=1
	s_or_b64 exec, exec, s[8:9]
	v_lshlrev_b32_e32 v2, 16, v2
	v_mul_f32_e32 v2, v34, v2
	v_and_b32_e32 v42, 0x7f800000, v2
	v_cmp_ne_u32_e64 s[0:1], s11, v42
                                        ; implicit-def: $vgpr42
	s_and_saveexec_b64 s[8:9], s[0:1]
	s_xor_b64 s[0:1], exec, s[8:9]
; %bb.110:                              ;   in Loop: Header=BB124_41 Depth=1
	v_bfe_u32 v42, v2, 16, 1
	v_add3_u32 v42, v2, v42, s14
                                        ; implicit-def: $vgpr2
; %bb.111:                              ;   in Loop: Header=BB124_41 Depth=1
	s_andn2_saveexec_b64 s[8:9], s[0:1]
; %bb.112:                              ;   in Loop: Header=BB124_41 Depth=1
	v_or_b32_e32 v42, 0x10000, v2
	v_cmp_eq_u32_sdwa s[0:1], v2, v11 src0_sel:WORD_0 src1_sel:DWORD
	s_nop 1
	v_cndmask_b32_e64 v42, v42, v2, s[0:1]
; %bb.113:                              ;   in Loop: Header=BB124_41 Depth=1
	s_or_b64 exec, exec, s[8:9]
	v_lshlrev_b32_e32 v2, 16, v43
	v_mul_f32_e32 v2, v35, v2
	v_and_b32_e32 v43, 0x7f800000, v2
	v_cmp_ne_u32_e64 s[0:1], s11, v43
                                        ; implicit-def: $vgpr43
	s_and_saveexec_b64 s[8:9], s[0:1]
	s_xor_b64 s[0:1], exec, s[8:9]
; %bb.114:                              ;   in Loop: Header=BB124_41 Depth=1
	v_bfe_u32 v43, v2, 16, 1
	v_add3_u32 v43, v2, v43, s14
                                        ; implicit-def: $vgpr2
; %bb.115:                              ;   in Loop: Header=BB124_41 Depth=1
	s_andn2_saveexec_b64 s[8:9], s[0:1]
; %bb.116:                              ;   in Loop: Header=BB124_41 Depth=1
	v_or_b32_e32 v43, 0x10000, v2
	v_cmp_eq_u32_sdwa s[0:1], v2, v11 src0_sel:WORD_0 src1_sel:DWORD
	s_nop 1
	v_cndmask_b32_e64 v43, v43, v2, s[0:1]
; %bb.117:                              ;   in Loop: Header=BB124_41 Depth=1
	s_or_b64 exec, exec, s[8:9]
	v_lshlrev_b32_e32 v2, 16, v3
	v_mul_f32_e32 v2, v36, v2
	v_and_b32_e32 v3, 0x7f800000, v2
	v_cmp_ne_u32_e64 s[0:1], s11, v3
                                        ; implicit-def: $vgpr44
	s_and_saveexec_b64 s[8:9], s[0:1]
	s_xor_b64 s[0:1], exec, s[8:9]
; %bb.118:                              ;   in Loop: Header=BB124_41 Depth=1
	v_bfe_u32 v3, v2, 16, 1
	v_add3_u32 v44, v2, v3, s14
                                        ; implicit-def: $vgpr2
; %bb.119:                              ;   in Loop: Header=BB124_41 Depth=1
	s_andn2_saveexec_b64 s[8:9], s[0:1]
; %bb.120:                              ;   in Loop: Header=BB124_41 Depth=1
	v_or_b32_e32 v3, 0x10000, v2
	v_cmp_eq_u32_sdwa s[0:1], v2, v11 src0_sel:WORD_0 src1_sel:DWORD
	s_nop 1
	v_cndmask_b32_e64 v44, v3, v2, s[0:1]
; %bb.121:                              ;   in Loop: Header=BB124_41 Depth=1
	s_or_b64 exec, exec, s[8:9]
	v_lshlrev_b32_e32 v2, 16, v45
	v_mul_f32_e32 v2, v37, v2
	v_and_b32_e32 v3, 0x7f800000, v2
	v_cmp_ne_u32_e64 s[0:1], s11, v3
                                        ; implicit-def: $vgpr45
	s_and_saveexec_b64 s[8:9], s[0:1]
	s_xor_b64 s[0:1], exec, s[8:9]
; %bb.122:                              ;   in Loop: Header=BB124_41 Depth=1
	v_bfe_u32 v3, v2, 16, 1
	v_add3_u32 v45, v2, v3, s14
                                        ; implicit-def: $vgpr2
; %bb.123:                              ;   in Loop: Header=BB124_41 Depth=1
	s_andn2_saveexec_b64 s[8:9], s[0:1]
; %bb.124:                              ;   in Loop: Header=BB124_41 Depth=1
	v_or_b32_e32 v3, 0x10000, v2
	v_cmp_eq_u32_sdwa s[0:1], v2, v11 src0_sel:WORD_0 src1_sel:DWORD
	s_nop 1
	v_cndmask_b32_e64 v45, v3, v2, s[0:1]
; %bb.125:                              ;   in Loop: Header=BB124_41 Depth=1
	s_or_b64 exec, exec, s[8:9]
	v_lshlrev_b32_e32 v2, 16, v4
	v_mul_f32_e32 v2, v38, v2
	v_and_b32_e32 v3, 0x7f800000, v2
	v_cmp_ne_u32_e64 s[0:1], s11, v3
                                        ; implicit-def: $vgpr46
	s_and_saveexec_b64 s[8:9], s[0:1]
	s_xor_b64 s[0:1], exec, s[8:9]
; %bb.126:                              ;   in Loop: Header=BB124_41 Depth=1
	v_bfe_u32 v3, v2, 16, 1
	v_add3_u32 v46, v2, v3, s14
                                        ; implicit-def: $vgpr2
; %bb.127:                              ;   in Loop: Header=BB124_41 Depth=1
	s_andn2_saveexec_b64 s[8:9], s[0:1]
; %bb.128:                              ;   in Loop: Header=BB124_41 Depth=1
	v_or_b32_e32 v3, 0x10000, v2
	v_cmp_eq_u32_sdwa s[0:1], v2, v11 src0_sel:WORD_0 src1_sel:DWORD
	s_nop 1
	v_cndmask_b32_e64 v46, v3, v2, s[0:1]
; %bb.129:                              ;   in Loop: Header=BB124_41 Depth=1
	s_or_b64 exec, exec, s[8:9]
	v_lshlrev_b32_e32 v2, 16, v47
	v_mul_f32_e32 v2, v39, v2
	v_and_b32_e32 v3, 0x7f800000, v2
	v_cmp_ne_u32_e64 s[0:1], s11, v3
                                        ; implicit-def: $vgpr47
	s_and_saveexec_b64 s[8:9], s[0:1]
	s_xor_b64 s[0:1], exec, s[8:9]
; %bb.130:                              ;   in Loop: Header=BB124_41 Depth=1
	v_bfe_u32 v3, v2, 16, 1
	v_add3_u32 v47, v2, v3, s14
                                        ; implicit-def: $vgpr2
; %bb.131:                              ;   in Loop: Header=BB124_41 Depth=1
	s_andn2_saveexec_b64 s[8:9], s[0:1]
; %bb.132:                              ;   in Loop: Header=BB124_41 Depth=1
	v_or_b32_e32 v3, 0x10000, v2
	v_cmp_eq_u32_sdwa s[0:1], v2, v11 src0_sel:WORD_0 src1_sel:DWORD
	s_nop 1
	v_cndmask_b32_e64 v47, v3, v2, s[0:1]
; %bb.133:                              ;   in Loop: Header=BB124_41 Depth=1
	s_or_b64 exec, exec, s[8:9]
	v_lshlrev_b32_e32 v2, 16, v5
	v_mul_f32_e32 v2, v40, v2
	v_and_b32_e32 v3, 0x7f800000, v2
	v_cmp_ne_u32_e64 s[0:1], s11, v3
                                        ; implicit-def: $vgpr48
	s_and_saveexec_b64 s[8:9], s[0:1]
	s_xor_b64 s[0:1], exec, s[8:9]
; %bb.134:                              ;   in Loop: Header=BB124_41 Depth=1
	v_bfe_u32 v3, v2, 16, 1
	v_add3_u32 v48, v2, v3, s14
                                        ; implicit-def: $vgpr2
; %bb.135:                              ;   in Loop: Header=BB124_41 Depth=1
	s_andn2_saveexec_b64 s[8:9], s[0:1]
; %bb.136:                              ;   in Loop: Header=BB124_41 Depth=1
	v_or_b32_e32 v3, 0x10000, v2
	v_cmp_eq_u32_sdwa s[0:1], v2, v11 src0_sel:WORD_0 src1_sel:DWORD
	s_nop 1
	v_cndmask_b32_e64 v48, v3, v2, s[0:1]
; %bb.137:                              ;   in Loop: Header=BB124_41 Depth=1
	s_or_b64 exec, exec, s[8:9]
	v_lshlrev_b32_e32 v2, 16, v49
	v_mul_f32_e32 v2, v41, v2
	v_and_b32_e32 v3, 0x7f800000, v2
	v_cmp_ne_u32_e64 s[0:1], s11, v3
                                        ; implicit-def: $vgpr49
	s_and_saveexec_b64 s[8:9], s[0:1]
	s_xor_b64 s[0:1], exec, s[8:9]
; %bb.138:                              ;   in Loop: Header=BB124_41 Depth=1
	v_bfe_u32 v3, v2, 16, 1
	v_add3_u32 v49, v2, v3, s14
                                        ; implicit-def: $vgpr2
; %bb.139:                              ;   in Loop: Header=BB124_41 Depth=1
	s_andn2_saveexec_b64 s[8:9], s[0:1]
; %bb.140:                              ;   in Loop: Header=BB124_41 Depth=1
	v_or_b32_e32 v3, 0x10000, v2
	v_cmp_eq_u32_sdwa s[0:1], v2, v11 src0_sel:WORD_0 src1_sel:DWORD
	s_nop 1
	v_cndmask_b32_e64 v49, v3, v2, s[0:1]
; %bb.141:                              ;   in Loop: Header=BB124_41 Depth=1
	s_or_b64 exec, exec, s[8:9]
	global_load_dwordx4 v[2:5], v[6:7], off offset:2048
	s_waitcnt vmcnt(0)
	v_lshrrev_b32_e32 v7, 16, v2
	v_lshrrev_b32_e32 v51, 16, v3
	;; [unrolled: 1-line block ×4, first 2 shown]
	s_and_saveexec_b64 s[0:1], vcc
	s_cbranch_execz .LBB124_143
; %bb.142:                              ;   in Loop: Header=BB124_41 Depth=1
	v_cmp_gt_i32_e32 vcc, s33, v26
	s_nop 1
	v_cndmask_b32_e32 v2, 0, v2, vcc
	v_cmp_gt_i32_e32 vcc, s33, v32
	s_nop 1
	v_cndmask_b32_e32 v7, 0, v7, vcc
	;; [unrolled: 3-line block ×8, first 2 shown]
.LBB124_143:                            ;   in Loop: Header=BB124_41 Depth=1
	s_or_b64 exec, exec, s[0:1]
	v_lshlrev_b32_e32 v2, 16, v2
	v_mul_f32_e32 v26, v34, v2
	v_and_b32_e32 v2, 0x7f800000, v26
	v_cmp_ne_u32_e32 vcc, s11, v2
                                        ; implicit-def: $vgpr2
	s_and_saveexec_b64 s[0:1], vcc
	s_xor_b64 s[0:1], exec, s[0:1]
; %bb.144:                              ;   in Loop: Header=BB124_41 Depth=1
	v_bfe_u32 v2, v26, 16, 1
	v_add3_u32 v2, v26, v2, s14
                                        ; implicit-def: $vgpr26
; %bb.145:                              ;   in Loop: Header=BB124_41 Depth=1
	s_andn2_saveexec_b64 s[0:1], s[0:1]
; %bb.146:                              ;   in Loop: Header=BB124_41 Depth=1
	v_or_b32_e32 v2, 0x10000, v26
	v_cmp_eq_u32_sdwa vcc, v26, v11 src0_sel:WORD_0 src1_sel:DWORD
	s_nop 1
	v_cndmask_b32_e32 v2, v2, v26, vcc
; %bb.147:                              ;   in Loop: Header=BB124_41 Depth=1
	s_or_b64 exec, exec, s[0:1]
	v_lshlrev_b32_e32 v7, 16, v7
	v_mul_f32_e32 v26, v35, v7
	v_and_b32_e32 v7, 0x7f800000, v26
	v_cmp_ne_u32_e32 vcc, s11, v7
                                        ; implicit-def: $vgpr7
	s_and_saveexec_b64 s[0:1], vcc
	s_xor_b64 s[0:1], exec, s[0:1]
; %bb.148:                              ;   in Loop: Header=BB124_41 Depth=1
	v_bfe_u32 v7, v26, 16, 1
	v_add3_u32 v7, v26, v7, s14
                                        ; implicit-def: $vgpr26
; %bb.149:                              ;   in Loop: Header=BB124_41 Depth=1
	s_andn2_saveexec_b64 s[0:1], s[0:1]
; %bb.150:                              ;   in Loop: Header=BB124_41 Depth=1
	v_or_b32_e32 v7, 0x10000, v26
	v_cmp_eq_u32_sdwa vcc, v26, v11 src0_sel:WORD_0 src1_sel:DWORD
	s_nop 1
	v_cndmask_b32_e32 v7, v7, v26, vcc
; %bb.151:                              ;   in Loop: Header=BB124_41 Depth=1
	s_or_b64 exec, exec, s[0:1]
	v_lshlrev_b32_e32 v3, 16, v3
	v_mul_f32_e32 v26, v36, v3
	v_and_b32_e32 v3, 0x7f800000, v26
	v_cmp_ne_u32_e32 vcc, s11, v3
                                        ; implicit-def: $vgpr3
	s_and_saveexec_b64 s[0:1], vcc
	s_xor_b64 s[0:1], exec, s[0:1]
; %bb.152:                              ;   in Loop: Header=BB124_41 Depth=1
	v_bfe_u32 v3, v26, 16, 1
	v_add3_u32 v3, v26, v3, s14
                                        ; implicit-def: $vgpr26
; %bb.153:                              ;   in Loop: Header=BB124_41 Depth=1
	s_andn2_saveexec_b64 s[0:1], s[0:1]
; %bb.154:                              ;   in Loop: Header=BB124_41 Depth=1
	v_or_b32_e32 v3, 0x10000, v26
	v_cmp_eq_u32_sdwa vcc, v26, v11 src0_sel:WORD_0 src1_sel:DWORD
	s_nop 1
	v_cndmask_b32_e32 v3, v3, v26, vcc
; %bb.155:                              ;   in Loop: Header=BB124_41 Depth=1
	s_or_b64 exec, exec, s[0:1]
	v_lshlrev_b32_e32 v26, 16, v51
	v_mul_f32_e32 v27, v37, v26
	v_and_b32_e32 v26, 0x7f800000, v27
	v_cmp_ne_u32_e32 vcc, s11, v26
                                        ; implicit-def: $vgpr26
	s_and_saveexec_b64 s[0:1], vcc
	s_xor_b64 s[0:1], exec, s[0:1]
; %bb.156:                              ;   in Loop: Header=BB124_41 Depth=1
	v_bfe_u32 v26, v27, 16, 1
	v_add3_u32 v26, v27, v26, s14
                                        ; implicit-def: $vgpr27
; %bb.157:                              ;   in Loop: Header=BB124_41 Depth=1
	s_andn2_saveexec_b64 s[0:1], s[0:1]
; %bb.158:                              ;   in Loop: Header=BB124_41 Depth=1
	v_or_b32_e32 v26, 0x10000, v27
	v_cmp_eq_u32_sdwa vcc, v27, v11 src0_sel:WORD_0 src1_sel:DWORD
	s_nop 1
	v_cndmask_b32_e32 v26, v26, v27, vcc
; %bb.159:                              ;   in Loop: Header=BB124_41 Depth=1
	s_or_b64 exec, exec, s[0:1]
	v_lshlrev_b32_e32 v4, 16, v4
	v_mul_f32_e32 v27, v38, v4
	v_and_b32_e32 v4, 0x7f800000, v27
	v_cmp_ne_u32_e32 vcc, s11, v4
                                        ; implicit-def: $vgpr4
	s_and_saveexec_b64 s[0:1], vcc
	s_xor_b64 s[0:1], exec, s[0:1]
; %bb.160:                              ;   in Loop: Header=BB124_41 Depth=1
	v_bfe_u32 v4, v27, 16, 1
	v_add3_u32 v4, v27, v4, s14
                                        ; implicit-def: $vgpr27
; %bb.161:                              ;   in Loop: Header=BB124_41 Depth=1
	s_andn2_saveexec_b64 s[0:1], s[0:1]
; %bb.162:                              ;   in Loop: Header=BB124_41 Depth=1
	v_or_b32_e32 v4, 0x10000, v27
	v_cmp_eq_u32_sdwa vcc, v27, v11 src0_sel:WORD_0 src1_sel:DWORD
	s_nop 1
	v_cndmask_b32_e32 v4, v4, v27, vcc
; %bb.163:                              ;   in Loop: Header=BB124_41 Depth=1
	s_or_b64 exec, exec, s[0:1]
	v_lshlrev_b32_e32 v27, 16, v50
	v_mul_f32_e32 v28, v39, v27
	v_and_b32_e32 v27, 0x7f800000, v28
	v_cmp_ne_u32_e32 vcc, s11, v27
                                        ; implicit-def: $vgpr27
	s_and_saveexec_b64 s[0:1], vcc
	s_xor_b64 s[0:1], exec, s[0:1]
; %bb.164:                              ;   in Loop: Header=BB124_41 Depth=1
	v_bfe_u32 v27, v28, 16, 1
	v_add3_u32 v27, v28, v27, s14
                                        ; implicit-def: $vgpr28
; %bb.165:                              ;   in Loop: Header=BB124_41 Depth=1
	s_andn2_saveexec_b64 s[0:1], s[0:1]
; %bb.166:                              ;   in Loop: Header=BB124_41 Depth=1
	v_or_b32_e32 v27, 0x10000, v28
	v_cmp_eq_u32_sdwa vcc, v28, v11 src0_sel:WORD_0 src1_sel:DWORD
	s_nop 1
	v_cndmask_b32_e32 v27, v27, v28, vcc
; %bb.167:                              ;   in Loop: Header=BB124_41 Depth=1
	s_or_b64 exec, exec, s[0:1]
	v_lshlrev_b32_e32 v5, 16, v5
	v_mul_f32_e32 v28, v40, v5
	v_and_b32_e32 v5, 0x7f800000, v28
	v_cmp_ne_u32_e32 vcc, s11, v5
                                        ; implicit-def: $vgpr5
	s_and_saveexec_b64 s[0:1], vcc
	s_xor_b64 s[0:1], exec, s[0:1]
; %bb.168:                              ;   in Loop: Header=BB124_41 Depth=1
	v_bfe_u32 v5, v28, 16, 1
	v_add3_u32 v5, v28, v5, s14
                                        ; implicit-def: $vgpr28
; %bb.169:                              ;   in Loop: Header=BB124_41 Depth=1
	s_andn2_saveexec_b64 s[0:1], s[0:1]
; %bb.170:                              ;   in Loop: Header=BB124_41 Depth=1
	v_or_b32_e32 v5, 0x10000, v28
	v_cmp_eq_u32_sdwa vcc, v28, v11 src0_sel:WORD_0 src1_sel:DWORD
	s_nop 1
	v_cndmask_b32_e32 v5, v5, v28, vcc
; %bb.171:                              ;   in Loop: Header=BB124_41 Depth=1
	s_or_b64 exec, exec, s[0:1]
	v_lshlrev_b32_e32 v6, 16, v6
	v_mul_f32_e32 v28, v41, v6
	v_and_b32_e32 v6, 0x7f800000, v28
	v_cmp_ne_u32_e32 vcc, s11, v6
                                        ; implicit-def: $vgpr6
	s_and_saveexec_b64 s[0:1], vcc
	s_xor_b64 s[0:1], exec, s[0:1]
; %bb.172:                              ;   in Loop: Header=BB124_41 Depth=1
	v_bfe_u32 v6, v28, 16, 1
	v_add3_u32 v6, v28, v6, s14
                                        ; implicit-def: $vgpr28
; %bb.173:                              ;   in Loop: Header=BB124_41 Depth=1
	s_andn2_saveexec_b64 s[0:1], s[0:1]
	s_cbranch_execz .LBB124_40
; %bb.174:                              ;   in Loop: Header=BB124_41 Depth=1
	v_or_b32_e32 v6, 0x10000, v28
	v_cmp_eq_u32_sdwa vcc, v28, v11 src0_sel:WORD_0 src1_sel:DWORD
	s_nop 1
	v_cndmask_b32_e32 v6, v6, v28, vcc
	s_branch .LBB124_40
.LBB124_175:
	s_or_b64 exec, exec, s[6:7]
.LBB124_176:
	s_or_b64 exec, exec, s[2:3]
	v_and_b32_e32 v1, 0x3c0, v0
	v_cmp_eq_u32_e32 vcc, 64, v1
	s_barrier
	s_and_saveexec_b64 s[0:1], vcc
	s_cbranch_execz .LBB124_178
; %bb.177:
	v_mov_b32_e32 v1, 0x190
	v_lshl_add_u32 v2, v18, 2, v1
	v_lshl_add_u32 v1, v0, 2, v1
	ds_write_b32 v2, v12
	ds_write_b32 v1, v13
	ds_write_b32 v2, v10 offset:512
.LBB124_178:
	s_or_b64 exec, exec, s[0:1]
	v_cmp_gt_u32_e32 vcc, 64, v0
	s_waitcnt lgkmcnt(0)
	s_barrier
	s_and_saveexec_b64 s[0:1], vcc
	s_cbranch_execz .LBB124_180
; %bb.179:
	v_mov_b32_e32 v1, 0x190
	v_lshl_add_u32 v1, v0, 2, v1
	ds_read2st64_b32 v[2:3], v1 offset1:1
	ds_read_b32 v1, v1 offset:512
	s_waitcnt lgkmcnt(1)
	v_pk_add_f32 v[12:13], v[12:13], v[2:3]
	s_waitcnt lgkmcnt(0)
	v_add_f32_e32 v10, v10, v1
.LBB124_180:
	s_or_b64 exec, exec, s[0:1]
	s_barrier
	s_and_saveexec_b64 s[0:1], vcc
	s_cbranch_execz .LBB124_194
; %bb.181:
	s_mov_b32 s0, 0x7f800000
	v_and_b32_e32 v1, 0x7f800000, v12
	v_cmp_ne_u32_e32 vcc, s0, v1
                                        ; implicit-def: $vgpr2
	s_and_saveexec_b64 s[0:1], vcc
	s_xor_b64 s[0:1], exec, s[0:1]
; %bb.182:
	v_bfe_u32 v1, v12, 16, 1
	s_movk_i32 s2, 0x7fff
	v_add3_u32 v2, v12, v1, s2
; %bb.183:
	s_andn2_saveexec_b64 s[0:1], s[0:1]
; %bb.184:
	v_mov_b32_e32 v1, 0
	v_or_b32_e32 v2, 0x10000, v12
	v_cmp_eq_u32_sdwa vcc, v12, v1 src0_sel:WORD_0 src1_sel:DWORD
	s_nop 1
	v_cndmask_b32_e32 v2, v2, v12, vcc
; %bb.185:
	s_or_b64 exec, exec, s[0:1]
	s_mul_i32 s0, s16, s17
	s_mul_i32 s0, s0, s5
	s_mulk_i32 s0, 0xc0
	s_ashr_i32 s1, s0, 31
	s_lshl_b64 s[0:1], s[0:1], 1
	s_add_u32 s2, s18, s0
	s_mul_i32 s0, s17, s20
	s_addc_u32 s3, s19, s1
	s_ashr_i32 s1, s0, 31
	s_lshl_b64 s[0:1], s[0:1], 1
	s_add_u32 s2, s2, s0
	s_mul_i32 s0, s4, 0xc0
	s_addc_u32 s3, s3, s1
	s_ashr_i32 s1, s0, 31
	s_lshl_b64 s[0:1], s[0:1], 1
	s_add_u32 s0, s2, s0
	s_addc_u32 s1, s3, s1
	v_lshlrev_b32_e32 v0, 1, v0
	global_store_short_d16_hi v0, v2, s[0:1]
	s_mov_b32 s2, 0x7f800000
	v_and_b32_e32 v2, 0x7f800000, v13
	v_mov_b32_e32 v1, 0
	v_cmp_ne_u32_e32 vcc, s2, v2
                                        ; implicit-def: $vgpr2
	s_and_saveexec_b64 s[2:3], vcc
	s_xor_b64 s[2:3], exec, s[2:3]
; %bb.186:
	v_bfe_u32 v2, v13, 16, 1
	s_movk_i32 s4, 0x7fff
	v_add3_u32 v2, v13, v2, s4
; %bb.187:
	s_or_saveexec_b64 s[2:3], s[2:3]
	v_lshl_add_u64 v[0:1], s[0:1], 0, v[0:1]
	s_xor_b64 exec, exec, s[2:3]
; %bb.188:
	v_mov_b32_e32 v2, 0
	v_or_b32_e32 v3, 0x10000, v13
	v_cmp_eq_u32_sdwa vcc, v13, v2 src0_sel:WORD_0 src1_sel:DWORD
	s_nop 1
	v_cndmask_b32_e32 v2, v3, v13, vcc
; %bb.189:
	s_or_b64 exec, exec, s[2:3]
	global_store_short_d16_hi v[0:1], v2, off offset:128
	s_mov_b32 s0, 0x7f800000
	v_and_b32_e32 v2, 0x7f800000, v10
	v_cmp_ne_u32_e32 vcc, s0, v2
                                        ; implicit-def: $vgpr2
	s_and_saveexec_b64 s[0:1], vcc
	s_xor_b64 s[0:1], exec, s[0:1]
; %bb.190:
	v_bfe_u32 v2, v10, 16, 1
	s_movk_i32 s2, 0x7fff
	v_add3_u32 v2, v10, v2, s2
                                        ; implicit-def: $vgpr8_vgpr9_vgpr10
; %bb.191:
	s_andn2_saveexec_b64 s[0:1], s[0:1]
; %bb.192:
	v_mov_b32_e32 v2, 0
	v_or_b32_e32 v3, 0x10000, v10
	v_cmp_eq_u32_sdwa vcc, v10, v2 src0_sel:WORD_0 src1_sel:DWORD
	s_nop 1
	v_cndmask_b32_e32 v2, v3, v10, vcc
; %bb.193:
	s_or_b64 exec, exec, s[0:1]
	global_store_short_d16_hi v[0:1], v2, off offset:256
.LBB124_194:
	s_endpgm
	.section	.rodata,"a",@progbits
	.p2align	6, 0x0
	.amdhsa_kernel _ZN4vllm25paged_attention_v1_kernelI14__hip_bfloat16S1_Li192ELi8ELi128ELNS_18Fp8KVCacheDataTypeE0ELb0EEEvPT_PKS3_PKT0_S9_ifPKiSB_iPKfiiiSD_SD_iiiii
		.amdhsa_group_segment_fixed_size 400
		.amdhsa_private_segment_fixed_size 0
		.amdhsa_kernarg_size 384
		.amdhsa_user_sgpr_count 2
		.amdhsa_user_sgpr_dispatch_ptr 0
		.amdhsa_user_sgpr_queue_ptr 0
		.amdhsa_user_sgpr_kernarg_segment_ptr 1
		.amdhsa_user_sgpr_dispatch_id 0
		.amdhsa_user_sgpr_kernarg_preload_length 0
		.amdhsa_user_sgpr_kernarg_preload_offset 0
		.amdhsa_user_sgpr_private_segment_size 0
		.amdhsa_uses_dynamic_stack 0
		.amdhsa_enable_private_segment 0
		.amdhsa_system_sgpr_workgroup_id_x 1
		.amdhsa_system_sgpr_workgroup_id_y 1
		.amdhsa_system_sgpr_workgroup_id_z 1
		.amdhsa_system_sgpr_workgroup_info 0
		.amdhsa_system_vgpr_workitem_id 0
		.amdhsa_next_free_vgpr 65
		.amdhsa_next_free_sgpr 38
		.amdhsa_accum_offset 68
		.amdhsa_reserve_vcc 1
		.amdhsa_float_round_mode_32 0
		.amdhsa_float_round_mode_16_64 0
		.amdhsa_float_denorm_mode_32 3
		.amdhsa_float_denorm_mode_16_64 3
		.amdhsa_dx10_clamp 1
		.amdhsa_ieee_mode 1
		.amdhsa_fp16_overflow 0
		.amdhsa_tg_split 0
		.amdhsa_exception_fp_ieee_invalid_op 0
		.amdhsa_exception_fp_denorm_src 0
		.amdhsa_exception_fp_ieee_div_zero 0
		.amdhsa_exception_fp_ieee_overflow 0
		.amdhsa_exception_fp_ieee_underflow 0
		.amdhsa_exception_fp_ieee_inexact 0
		.amdhsa_exception_int_div_zero 0
	.end_amdhsa_kernel
	.section	.text._ZN4vllm25paged_attention_v1_kernelI14__hip_bfloat16S1_Li192ELi8ELi128ELNS_18Fp8KVCacheDataTypeE0ELb0EEEvPT_PKS3_PKT0_S9_ifPKiSB_iPKfiiiSD_SD_iiiii,"axG",@progbits,_ZN4vllm25paged_attention_v1_kernelI14__hip_bfloat16S1_Li192ELi8ELi128ELNS_18Fp8KVCacheDataTypeE0ELb0EEEvPT_PKS3_PKT0_S9_ifPKiSB_iPKfiiiSD_SD_iiiii,comdat
.Lfunc_end124:
	.size	_ZN4vllm25paged_attention_v1_kernelI14__hip_bfloat16S1_Li192ELi8ELi128ELNS_18Fp8KVCacheDataTypeE0ELb0EEEvPT_PKS3_PKT0_S9_ifPKiSB_iPKfiiiSD_SD_iiiii, .Lfunc_end124-_ZN4vllm25paged_attention_v1_kernelI14__hip_bfloat16S1_Li192ELi8ELi128ELNS_18Fp8KVCacheDataTypeE0ELb0EEEvPT_PKS3_PKT0_S9_ifPKiSB_iPKfiiiSD_SD_iiiii
                                        ; -- End function
	.section	.AMDGPU.csdata,"",@progbits
; Kernel info:
; codeLenInByte = 7284
; NumSgprs: 44
; NumVgprs: 65
; NumAgprs: 0
; TotalNumVgprs: 65
; ScratchSize: 0
; MemoryBound: 0
; FloatMode: 240
; IeeeMode: 1
; LDSByteSize: 400 bytes/workgroup (compile time only)
; SGPRBlocks: 5
; VGPRBlocks: 8
; NumSGPRsForWavesPerEU: 44
; NumVGPRsForWavesPerEU: 65
; AccumOffset: 68
; Occupancy: 7
; WaveLimiterHint : 1
; COMPUTE_PGM_RSRC2:SCRATCH_EN: 0
; COMPUTE_PGM_RSRC2:USER_SGPR: 2
; COMPUTE_PGM_RSRC2:TRAP_HANDLER: 0
; COMPUTE_PGM_RSRC2:TGID_X_EN: 1
; COMPUTE_PGM_RSRC2:TGID_Y_EN: 1
; COMPUTE_PGM_RSRC2:TGID_Z_EN: 1
; COMPUTE_PGM_RSRC2:TIDIG_COMP_CNT: 0
; COMPUTE_PGM_RSRC3_GFX90A:ACCUM_OFFSET: 16
; COMPUTE_PGM_RSRC3_GFX90A:TG_SPLIT: 0
	.section	.text._ZN4vllm25paged_attention_v1_kernelI14__hip_bfloat16S1_Li256ELi8ELi128ELNS_18Fp8KVCacheDataTypeE0ELb0EEEvPT_PKS3_PKT0_S9_ifPKiSB_iPKfiiiSD_SD_iiiii,"axG",@progbits,_ZN4vllm25paged_attention_v1_kernelI14__hip_bfloat16S1_Li256ELi8ELi128ELNS_18Fp8KVCacheDataTypeE0ELb0EEEvPT_PKS3_PKT0_S9_ifPKiSB_iPKfiiiSD_SD_iiiii,comdat
	.protected	_ZN4vllm25paged_attention_v1_kernelI14__hip_bfloat16S1_Li256ELi8ELi128ELNS_18Fp8KVCacheDataTypeE0ELb0EEEvPT_PKS3_PKT0_S9_ifPKiSB_iPKfiiiSD_SD_iiiii ; -- Begin function _ZN4vllm25paged_attention_v1_kernelI14__hip_bfloat16S1_Li256ELi8ELi128ELNS_18Fp8KVCacheDataTypeE0ELb0EEEvPT_PKS3_PKT0_S9_ifPKiSB_iPKfiiiSD_SD_iiiii
	.globl	_ZN4vllm25paged_attention_v1_kernelI14__hip_bfloat16S1_Li256ELi8ELi128ELNS_18Fp8KVCacheDataTypeE0ELb0EEEvPT_PKS3_PKT0_S9_ifPKiSB_iPKfiiiSD_SD_iiiii
	.p2align	8
	.type	_ZN4vllm25paged_attention_v1_kernelI14__hip_bfloat16S1_Li256ELi8ELi128ELNS_18Fp8KVCacheDataTypeE0ELb0EEEvPT_PKS3_PKT0_S9_ifPKiSB_iPKfiiiSD_SD_iiiii,@function
_ZN4vllm25paged_attention_v1_kernelI14__hip_bfloat16S1_Li256ELi8ELi128ELNS_18Fp8KVCacheDataTypeE0ELb0EEEvPT_PKS3_PKT0_S9_ifPKiSB_iPKfiiiSD_SD_iiiii: ; @_ZN4vllm25paged_attention_v1_kernelI14__hip_bfloat16S1_Li256ELi8ELi128ELNS_18Fp8KVCacheDataTypeE0ELb0EEEvPT_PKS3_PKT0_S9_ifPKiSB_iPKfiiiSD_SD_iiiii
; %bb.0:
	s_load_dword s5, s[0:1], 0x80
	s_load_dwordx2 s[6:7], s[0:1], 0x30
	s_load_dwordx2 s[26:27], s[0:1], 0x20
	s_mov_b32 s16, s3
	s_ashr_i32 s17, s3, 31
	s_lshl_b64 s[8:9], s[16:17], 2
	s_waitcnt lgkmcnt(0)
	s_add_u32 s6, s6, s8
	s_addc_u32 s7, s7, s9
	s_abs_i32 s3, s26
	v_cvt_f32_u32_e32 v1, s3
	s_sub_i32 s10, 0, s3
	s_abs_i32 s9, s5
	s_xor_b32 s8, s5, s26
	v_rcp_iflag_f32_e32 v1, v1
	s_ashr_i32 s8, s8, 31
	s_mov_b32 s26, 0
	v_mul_f32_e32 v1, 0x4f7ffffe, v1
	v_cvt_u32_f32_e32 v1, v1
	s_nop 0
	v_readfirstlane_b32 s11, v1
	s_mul_i32 s10, s10, s11
	s_mul_hi_u32 s10, s11, s10
	s_add_i32 s11, s11, s10
	s_mul_hi_u32 s10, s9, s11
	s_mul_i32 s11, s10, s3
	s_sub_i32 s9, s9, s11
	s_add_i32 s11, s10, 1
	s_sub_i32 s12, s9, s3
	s_cmp_ge_u32 s9, s3
	s_cselect_b32 s10, s11, s10
	s_cselect_b32 s9, s12, s9
	s_add_i32 s11, s10, 1
	s_cmp_ge_u32 s9, s3
	s_cselect_b32 s3, s11, s10
	s_xor_b32 s3, s3, s8
	s_sub_i32 s34, s3, s8
	s_abs_i32 s30, s34
	v_cvt_f32_u32_e32 v1, s30
	s_load_dwordx2 s[8:9], s[0:1], 0x40
	s_sub_i32 s3, 0, s30
	s_abs_i32 s31, s2
	v_rcp_iflag_f32_e32 v1, v1
	s_nop 0
	v_mul_f32_e32 v1, 0x4f7ffffe, v1
	v_cvt_u32_f32_e32 v1, v1
	s_nop 0
	v_readfirstlane_b32 s12, v1
	s_mul_i32 s3, s3, s12
	s_mul_hi_u32 s3, s12, s3
	s_add_i32 s12, s12, s3
	s_waitcnt lgkmcnt(0)
	s_cmp_eq_u64 s[8:9], 0
	s_cbranch_scc1 .LBB125_2
; %bb.1:
	s_ashr_i32 s3, s2, 31
	s_lshl_b64 s[10:11], s[2:3], 2
	s_add_u32 s8, s8, s10
	s_addc_u32 s9, s9, s11
	s_load_dword s26, s[8:9], 0x0
.LBB125_2:
	s_load_dwordx2 s[18:19], s[0:1], 0x0
	s_nop 0
	s_load_dwordx4 s[8:11], s[0:1], 0x10
	s_mul_hi_u32 s3, s31, s12
	s_load_dword s17, s[0:1], 0x88
	s_load_dword s33, s[6:7], 0x0
	s_load_dwordx2 s[22:23], s[0:1], 0x28
	s_load_dwordx4 s[12:15], s[0:1], 0x48
	v_and_b32_e32 v45, 7, v0
	s_lshl_b32 s20, s2, 8
	s_movk_i32 s6, 0x100
	s_ashr_i32 s21, s20, 31
	v_cmp_gt_u32_e32 vcc, s6, v0
	v_lshlrev_b32_e32 v2, 1, v45
	s_and_saveexec_b64 s[6:7], vcc
	s_cbranch_execz .LBB125_5
; %bb.3:
	s_load_dwordx2 s[24:25], s[0:1], 0x8
	s_waitcnt lgkmcnt(0)
	s_mul_i32 s28, s16, s12
	s_ashr_i32 s29, s28, 31
	s_lshl_b64 s[28:29], s[28:29], 1
	s_lshl_b64 s[36:37], s[20:21], 1
	s_add_u32 s12, s28, s36
	s_addc_u32 s15, s29, s37
	v_lshrrev_b32_e32 v4, 3, v0
	s_add_u32 s24, s24, s12
	v_add_u32_e32 v1, -16, v4
	v_lshlrev_b32_e32 v3, 1, v4
	v_lshl_or_b32 v4, v4, 4, v2
	v_mov_b32_e32 v5, 0
	s_addc_u32 s25, s25, s15
	v_lshl_add_u32 v3, v45, 6, v3
	v_lshl_add_u64 v[4:5], s[24:25], 0, v[4:5]
	s_mov_b64 s[24:25], 0
	s_mov_b64 s[28:29], 0x100
.LBB125_4:                              ; =>This Inner Loop Header: Depth=1
	global_load_ushort v6, v[4:5], off
	v_add_co_u32_e32 v1, vcc, 16, v1
	s_xor_b64 s[36:37], vcc, -1
	s_and_b64 s[36:37], exec, s[36:37]
	v_lshl_add_u64 v[4:5], v[4:5], 0, s[28:29]
	s_or_b64 s[24:25], s[36:37], s[24:25]
	s_waitcnt vmcnt(0)
	ds_write_b16 v3, v6
	v_add_u32_e32 v3, 32, v3
	s_andn2_b64 exec, exec, s[24:25]
	s_cbranch_execnz .LBB125_4
.LBB125_5:
	s_or_b64 exec, exec, s[6:7]
	s_load_dword s0, s[0:1], 0x38
	s_waitcnt lgkmcnt(0)
	s_add_i32 s1, s33, 7
	s_ashr_i32 s7, s1, 31
	s_lshr_b32 s7, s7, 29
	s_ashr_i32 s2, s2, 31
	s_ashr_i32 s6, s34, 31
	s_add_i32 s1, s1, s7
	s_ashr_i32 s12, s1, 3
	s_xor_b32 s1, s2, s6
	s_mul_i32 s2, s3, s30
	s_sub_i32 s2, s31, s2
	s_add_i32 s6, s3, 1
	s_sub_i32 s7, s2, s30
	s_cmp_ge_u32 s2, s30
	s_cselect_b32 s3, s6, s3
	s_cselect_b32 s2, s7, s2
	s_add_i32 s6, s3, 1
	s_cmp_ge_u32 s2, s30
	s_cselect_b32 s2, s6, s3
	v_lshrrev_b32_e32 v1, 6, v0
	s_xor_b32 s2, s2, s1
	s_mul_i32 s24, s16, s0
	s_sub_i32 s6, s2, s1
	s_ashr_i32 s25, s24, 31
	v_cmp_gt_i32_e64 s[0:1], s12, v1
	v_cmp_le_i32_e32 vcc, s12, v1
	v_mbcnt_lo_u32_b32 v4, -1, 0
	s_barrier
	s_waitcnt lgkmcnt(0)
                                        ; implicit-def: $sgpr7
                                        ; implicit-def: $vgpr7
                                        ; implicit-def: $vgpr8
	s_and_saveexec_b64 s[2:3], vcc
	s_xor_b64 s[2:3], exec, s[2:3]
; %bb.6:
	v_mbcnt_hi_u32_b32 v7, -1, v4
	v_and_b32_e32 v2, 64, v7
	v_add_u32_e32 v8, 64, v2
	s_mov_b32 s7, 0xff7fffff
                                        ; implicit-def: $vgpr2
                                        ; implicit-def: $vgpr45
                                        ; implicit-def: $vgpr4
; %bb.7:
	s_or_saveexec_b64 s[28:29], s[2:3]
	v_mov_b32_e32 v41, s7
	s_mul_i32 s14, s6, s14
	v_lshrrev_b32_e32 v6, 4, v0
	s_xor_b64 exec, exec, s[28:29]
	s_cbranch_execz .LBB125_13
; %bb.8:
	s_ashr_i32 s15, s14, 31
	s_lshl_b64 s[2:3], s[14:15], 1
	v_bfe_u32 v5, v0, 3, 3
	s_add_u32 s2, s8, s2
	v_lshlrev_b32_e32 v7, 6, v45
	s_addc_u32 s3, s9, s3
	v_lshlrev_b32_e32 v48, 4, v5
	v_mov_b32_e32 v49, 0
	ds_read_b128 v[14:17], v7
	ds_read_b128 v[22:25], v7 offset:16
	ds_read_b128 v[30:33], v7 offset:32
	;; [unrolled: 1-line block ×3, first 2 shown]
	v_mbcnt_hi_u32_b32 v7, -1, v4
	v_lshl_add_u64 v[8:9], s[2:3], 0, v[48:49]
	v_mov_b32_e32 v3, v49
	v_and_b32_e32 v4, 64, v7
	v_lshl_add_u64 v[2:3], v[8:9], 0, v[2:3]
	v_add_u32_e32 v8, 64, v4
	v_xor_b32_e32 v4, 4, v7
	v_cmp_lt_i32_e32 vcc, v4, v8
	s_sub_i32 s15, 1, s33
	s_lshl_b64 s[6:7], s[24:25], 2
	v_cndmask_b32_e32 v4, v7, v4, vcc
	v_lshlrev_b32_e32 v42, 2, v4
	v_xor_b32_e32 v4, 2, v7
	v_cmp_lt_i32_e32 vcc, v4, v8
	s_add_u32 s6, s22, s6
	v_and_b32_e32 v48, 60, v6
	v_cndmask_b32_e32 v4, v7, v4, vcc
	v_lshlrev_b32_e32 v43, 2, v4
	v_xor_b32_e32 v4, 1, v7
	v_cmp_lt_i32_e32 vcc, v4, v8
	s_addc_u32 s7, s23, s7
	s_mov_b32 s21, s13
	v_cndmask_b32_e32 v4, v7, v4, vcc
	v_lshlrev_b32_e32 v44, 2, v4
	v_lshlrev_b32_e32 v4, 2, v5
	v_lshl_or_b32 v4, v1, 5, v4
	s_waitcnt lgkmcnt(3)
	v_lshlrev_b32_e32 v9, 16, v14
	v_and_b32_e32 v10, 0xffff0000, v14
	v_lshlrev_b32_e32 v11, 16, v15
	v_and_b32_e32 v12, 0xffff0000, v15
	v_lshlrev_b32_e32 v13, 16, v16
	v_and_b32_e32 v14, 0xffff0000, v16
	v_lshlrev_b32_e32 v15, 16, v17
	v_and_b32_e32 v16, 0xffff0000, v17
	s_waitcnt lgkmcnt(2)
	v_lshlrev_b32_e32 v17, 16, v22
	v_and_b32_e32 v18, 0xffff0000, v22
	v_lshlrev_b32_e32 v19, 16, v23
	v_and_b32_e32 v20, 0xffff0000, v23
	v_lshlrev_b32_e32 v21, 16, v24
	v_and_b32_e32 v22, 0xffff0000, v24
	v_lshlrev_b32_e32 v23, 16, v25
	v_and_b32_e32 v24, 0xffff0000, v25
	;; [unrolled: 9-line block ×4, first 2 shown]
	v_cmp_eq_u32_e32 vcc, 0, v45
	v_cmp_neq_f32_e64 s[2:3], s26, 0
	v_lshl_or_b32 v45, v1, 3, v5
	v_add_u32_e32 v46, 0x210, v4
	v_lshl_add_u64 v[4:5], s[6:7], 0, v[48:49]
	s_mov_b64 s[8:9], 0
	v_mov_b32_e32 v41, 0xff7fffff
	v_mov_b32_e32 v47, v1
	s_branch .LBB125_10
.LBB125_9:                              ;   in Loop: Header=BB125_10 Depth=1
	s_or_b64 exec, exec, s[30:31]
	v_add_u32_e32 v47, 2, v47
	v_cmp_le_i32_e64 s[6:7], s12, v47
	v_add_u32_e32 v45, 16, v45
	v_add_u32_e32 v46, 64, v46
	s_or_b64 s[8:9], s[6:7], s[8:9]
	v_lshl_add_u64 v[4:5], v[4:5], 0, 8
	s_andn2_b64 exec, exec, s[8:9]
	s_cbranch_execz .LBB125_12
.LBB125_10:                             ; =>This Inner Loop Header: Depth=1
	global_load_dword v48, v[4:5], off
	s_waitcnt vmcnt(0) lgkmcnt(0)
	v_mad_i64_i32 v[48:49], s[6:7], v48, s21, 0
	v_lshl_add_u64 v[48:49], v[48:49], 1, v[2:3]
	global_load_ushort v50, v[48:49], off
	global_load_ushort v51, v[48:49], off offset:128
	global_load_ushort v52, v[48:49], off offset:256
	;; [unrolled: 1-line block ×30, first 2 shown]
	s_nop 0
	global_load_ushort v48, v[48:49], off offset:3968
	s_waitcnt vmcnt(31)
	v_lshlrev_b32_e32 v49, 16, v50
	s_waitcnt vmcnt(30)
	v_lshlrev_b32_e32 v50, 16, v51
	v_mul_f32_e32 v50, v10, v50
	s_waitcnt vmcnt(29)
	v_lshlrev_b32_e32 v51, 16, v52
	v_fmac_f32_e32 v50, v9, v49
	s_waitcnt vmcnt(28)
	v_lshlrev_b32_e32 v52, 16, v53
	v_fmac_f32_e32 v50, v11, v51
	;; [unrolled: 3-line block ×29, first 2 shown]
	v_fmac_f32_e32 v50, v39, v79
	s_waitcnt vmcnt(0)
	v_lshlrev_b32_e32 v48, 16, v48
	v_fmac_f32_e32 v50, v40, v48
	ds_bpermute_b32 v48, v42, v50
	s_waitcnt lgkmcnt(0)
	v_add_f32_e32 v48, v50, v48
	ds_bpermute_b32 v49, v43, v48
	s_waitcnt lgkmcnt(0)
	v_add_f32_e32 v48, v48, v49
	ds_bpermute_b32 v49, v44, v48
	s_and_saveexec_b64 s[30:31], vcc
	s_cbranch_execz .LBB125_9
; %bb.11:                               ;   in Loop: Header=BB125_10 Depth=1
	v_add_u32_e32 v50, s15, v45
	v_cvt_f32_i32_e32 v50, v50
	s_waitcnt lgkmcnt(0)
	v_add_f32_e32 v48, v48, v49
	v_cmp_gt_i32_e64 s[6:7], s33, v45
	v_max_f32_e32 v49, v41, v41
	v_mul_f32_e32 v50, s26, v50
	v_cndmask_b32_e64 v50, 0, v50, s[2:3]
	v_fmac_f32_e32 v50, s27, v48
	v_cndmask_b32_e64 v48, 0, v50, s[6:7]
	ds_write_b32 v46, v48
	v_max_f32_e32 v48, v49, v50
	v_cndmask_b32_e64 v41, v41, v48, s[6:7]
	s_branch .LBB125_9
.LBB125_12:
	s_or_b64 exec, exec, s[8:9]
.LBB125_13:
	s_or_b64 exec, exec, s[28:29]
	v_xor_b32_e32 v2, 32, v7
	v_cmp_lt_i32_e32 vcc, v2, v8
	v_xor_b32_e32 v5, 16, v7
	v_max_f32_e32 v4, v41, v41
	v_cndmask_b32_e32 v2, v7, v2, vcc
	v_lshlrev_b32_e32 v3, 2, v2
	ds_bpermute_b32 v2, v3, v41
	v_cmp_lt_i32_e32 vcc, v5, v8
	v_xor_b32_e32 v9, 8, v7
	v_and_b32_e32 v20, 63, v0
	s_waitcnt lgkmcnt(0)
	v_max_f32_e32 v2, v2, v2
	v_max_f32_e32 v2, v4, v2
	v_cndmask_b32_e32 v4, v7, v5, vcc
	v_lshlrev_b32_e32 v5, 2, v4
	ds_bpermute_b32 v4, v5, v2
	v_cmp_lt_i32_e32 vcc, v9, v8
	s_waitcnt lgkmcnt(0)
	v_max_f32_e32 v4, v4, v4
	v_max_f32_e32 v4, v2, v4
	v_cndmask_b32_e32 v2, v7, v9, vcc
	v_lshlrev_b32_e32 v10, 2, v2
	ds_bpermute_b32 v9, v10, v4
	v_cmp_eq_u32_e32 vcc, 0, v20
	v_lshlrev_b32_e32 v2, 2, v1
	s_and_saveexec_b64 s[2:3], vcc
	s_cbranch_execz .LBB125_15
; %bb.14:
	s_waitcnt lgkmcnt(0)
	v_max_f32_e32 v9, v9, v9
	v_max_f32_e32 v4, v4, v4
	;; [unrolled: 1-line block ×3, first 2 shown]
	ds_write_b32 v2, v4 offset:512
.LBB125_15:
	s_or_b64 exec, exec, s[2:3]
	v_cmp_gt_u32_e64 s[2:3], 2, v20
	v_mov_b32_e32 v11, 0xff7fffff
	v_lshlrev_b32_e32 v4, 2, v20
	s_waitcnt lgkmcnt(0)
	s_barrier
	s_and_saveexec_b64 s[6:7], s[2:3]
	s_cbranch_execz .LBB125_17
; %bb.16:
	ds_read_b32 v11, v4 offset:512
.LBB125_17:
	s_or_b64 exec, exec, s[6:7]
	v_xor_b32_e32 v9, 1, v7
	v_cmp_lt_i32_e64 s[6:7], v9, v8
	v_lshlrev_b32_e32 v13, 2, v7
	s_nop 0
	v_cndmask_b32_e64 v9, v7, v9, s[6:7]
	v_lshlrev_b32_e32 v9, 2, v9
	s_waitcnt lgkmcnt(0)
	ds_bpermute_b32 v12, v9, v11
	v_max_f32_e32 v11, v11, v11
	s_lshl_b32 s6, s12, 3
	s_min_i32 s15, s6, s33
	v_cmp_gt_i32_e64 s[6:7], s15, v0
	s_waitcnt lgkmcnt(0)
	v_max_f32_e32 v12, v12, v12
	v_max_f32_e32 v12, v11, v12
	v_and_b32_e32 v11, 0xffffff00, v13
	ds_bpermute_b32 v13, v11, v12
	v_mov_b32_e32 v12, 0
	s_and_saveexec_b64 s[26:27], s[6:7]
	s_cbranch_execz .LBB125_21
; %bb.18:
	v_mov_b32_e32 v12, 0x210
	v_lshl_add_u32 v14, v0, 2, v12
	s_mov_b64 s[28:29], 0
	v_mov_b32_e32 v12, 0
	v_mov_b32_e32 v15, v0
.LBB125_19:                             ; =>This Inner Loop Header: Depth=1
	ds_read_b32 v16, v14
	v_add_u32_e32 v15, 0x80, v15
	v_cmp_le_i32_e64 s[8:9], s15, v15
	s_or_b64 s[28:29], s[8:9], s[28:29]
	s_waitcnt lgkmcnt(0)
	v_sub_f32_e32 v16, v16, v13
	v_mul_f32_e32 v16, 0x3fb8aa3b, v16
	v_exp_f32_e32 v16, v16
	ds_write_b32 v14, v16
	v_add_f32_e32 v12, v12, v16
	v_add_u32_e32 v14, 0x200, v14
	s_andn2_b64 exec, exec, s[28:29]
	s_cbranch_execnz .LBB125_19
; %bb.20:
	s_or_b64 exec, exec, s[28:29]
.LBB125_21:
	s_or_b64 exec, exec, s[26:27]
	ds_bpermute_b32 v3, v3, v12
	s_waitcnt lgkmcnt(0)
	v_add_f32_e32 v3, v12, v3
	ds_bpermute_b32 v5, v5, v3
	s_waitcnt lgkmcnt(0)
	v_add_f32_e32 v3, v3, v5
	ds_bpermute_b32 v5, v10, v3
	v_xor_b32_e32 v10, 4, v7
	v_cmp_lt_i32_e64 s[8:9], v10, v8
	s_waitcnt lgkmcnt(0)
	v_add_f32_e32 v3, v3, v5
	v_cndmask_b32_e64 v10, v7, v10, s[8:9]
	v_lshlrev_b32_e32 v10, 2, v10
	ds_bpermute_b32 v5, v10, v3
	v_xor_b32_e32 v10, 2, v7
	v_cmp_lt_i32_e64 s[8:9], v10, v8
	s_waitcnt lgkmcnt(0)
	v_add_f32_e32 v3, v3, v5
	v_cndmask_b32_e64 v7, v7, v10, s[8:9]
	v_lshlrev_b32_e32 v5, 2, v7
	ds_bpermute_b32 v5, v5, v3
	s_waitcnt lgkmcnt(0)
	v_add_f32_e32 v3, v3, v5
	ds_bpermute_b32 v5, v9, v3
	s_waitcnt lgkmcnt(0)
	v_add_f32_e32 v3, v3, v5
	s_and_saveexec_b64 s[8:9], vcc
	s_cbranch_execz .LBB125_23
; %bb.22:
	ds_write_b32 v2, v3 offset:520
.LBB125_23:
	s_or_b64 exec, exec, s[8:9]
	s_waitcnt lgkmcnt(0)
	s_barrier
	s_and_saveexec_b64 s[8:9], s[2:3]
	s_cbranch_execz .LBB125_25
; %bb.24:
	ds_read_b32 v3, v4 offset:520
.LBB125_25:
	s_or_b64 exec, exec, s[8:9]
	s_waitcnt lgkmcnt(0)
	ds_bpermute_b32 v2, v9, v3
	s_waitcnt lgkmcnt(0)
	v_add_f32_e32 v2, v3, v2
	ds_bpermute_b32 v2, v11, v2
	s_and_saveexec_b64 s[2:3], s[6:7]
	s_cbranch_execz .LBB125_38
; %bb.26:
	s_waitcnt lgkmcnt(0)
	v_add_f32_e32 v2, 0x358637bd, v2
	v_div_scale_f32 v3, s[6:7], v2, v2, 1.0
	v_rcp_f32_e32 v4, v3
	v_div_scale_f32 v5, vcc, 1.0, v2, 1.0
	s_movk_i32 s6, 0x7f
	v_fma_f32 v7, -v3, v4, 1.0
	v_fmac_f32_e32 v4, v7, v4
	v_mul_f32_e32 v7, v5, v4
	v_fma_f32 v8, -v3, v7, v5
	v_fmac_f32_e32 v7, v8, v4
	v_fma_f32 v3, -v3, v7, v5
	v_div_fmas_f32 v3, v3, v4, v7
	v_xad_u32 v4, v0, -1, s15
	v_div_fixup_f32 v2, v3, v2, 1.0
	v_cmp_lt_u32_e32 vcc, s6, v4
	s_mov_b64 s[8:9], -1
	v_mov_b32_e32 v3, v0
	s_and_saveexec_b64 s[6:7], vcc
	s_cbranch_execz .LBB125_35
; %bb.27:
	v_lshrrev_b32_e32 v4, 7, v4
	v_add_u32_e32 v7, -1, v4
	v_lshrrev_b32_e32 v5, 1, v7
	v_mov_b32_e32 v3, v2
	v_add_u32_e32 v5, 1, v5
	v_cmp_lt_u32_e32 vcc, 13, v7
	v_mov_b32_e32 v9, 0
	s_and_saveexec_b64 s[8:9], vcc
	s_cbranch_execz .LBB125_31
; %bb.28:
	v_mov_b32_e32 v8, 0x210
	v_and_b32_e32 v7, -8, v5
	v_lshl_add_u32 v8, v0, 2, v8
	s_mov_b32 s21, 0
	s_mov_b64 s[26:27], 0
.LBB125_29:                             ; =>This Inner Loop Header: Depth=1
	ds_read2st64_b32 v[10:11], v8 offset1:2
	ds_read2st64_b32 v[12:13], v8 offset0:4 offset1:6
	ds_read2st64_b32 v[14:15], v8 offset0:8 offset1:10
	;; [unrolled: 1-line block ×3, first 2 shown]
	v_add_u32_e32 v7, -8, v7
	s_waitcnt lgkmcnt(3)
	v_pk_mul_f32 v[10:11], v[2:3], v[10:11]
	s_waitcnt lgkmcnt(2)
	v_pk_mul_f32 v[12:13], v[2:3], v[12:13]
	ds_write2st64_b32 v8, v10, v11 offset1:2
	ds_write2st64_b32 v8, v12, v13 offset0:4 offset1:6
	ds_read2st64_b32 v[12:13], v8 offset0:16 offset1:18
	s_waitcnt lgkmcnt(4)
	v_pk_mul_f32 v[10:11], v[2:3], v[14:15]
	ds_write2st64_b32 v8, v10, v11 offset0:8 offset1:10
	s_waitcnt lgkmcnt(4)
	v_pk_mul_f32 v[10:11], v[2:3], v[16:17]
	ds_write2st64_b32 v8, v10, v11 offset0:12 offset1:14
	ds_read2st64_b32 v[10:11], v8 offset0:20 offset1:22
	s_waitcnt lgkmcnt(3)
	v_pk_mul_f32 v[12:13], v[2:3], v[12:13]
	ds_read2st64_b32 v[14:15], v8 offset0:24 offset1:26
	ds_write2st64_b32 v8, v12, v13 offset0:16 offset1:18
	ds_read2st64_b32 v[12:13], v8 offset0:28 offset1:30
	s_waitcnt lgkmcnt(3)
	v_pk_mul_f32 v[10:11], v[2:3], v[10:11]
	ds_write2st64_b32 v8, v10, v11 offset0:20 offset1:22
	s_waitcnt lgkmcnt(3)
	v_pk_mul_f32 v[10:11], v[2:3], v[14:15]
	ds_write2st64_b32 v8, v10, v11 offset0:24 offset1:26
	s_waitcnt lgkmcnt(2)
	v_pk_mul_f32 v[10:11], v[2:3], v[12:13]
	s_add_i32 s21, s21, 16
	v_cmp_eq_u32_e32 vcc, 0, v7
	ds_write2st64_b32 v8, v10, v11 offset0:28 offset1:30
	v_add_u32_e32 v8, 0x2000, v8
	s_or_b64 s[26:27], vcc, s[26:27]
	v_mov_b32_e32 v9, s21
	s_andn2_b64 exec, exec, s[26:27]
	s_cbranch_execnz .LBB125_29
; %bb.30:
	s_or_b64 exec, exec, s[26:27]
.LBB125_31:
	s_or_b64 exec, exec, s[8:9]
	v_and_b32_e32 v5, 7, v5
	v_cmp_ne_u32_e32 vcc, 0, v5
	s_and_saveexec_b64 s[8:9], vcc
	s_cbranch_execz .LBB125_34
; %bb.32:
	v_lshlrev_b32_e32 v7, 9, v9
	v_lshlrev_b32_e32 v8, 2, v0
	s_movk_i32 s21, 0x210
	v_add3_u32 v7, v7, v8, s21
	s_mov_b64 s[26:27], 0
.LBB125_33:                             ; =>This Inner Loop Header: Depth=1
	ds_read2st64_b32 v[8:9], v7 offset1:2
	v_add_u32_e32 v5, -1, v5
	v_cmp_eq_u32_e32 vcc, 0, v5
	s_or_b64 s[26:27], vcc, s[26:27]
	s_waitcnt lgkmcnt(0)
	v_pk_mul_f32 v[8:9], v[2:3], v[8:9]
	ds_write2st64_b32 v7, v8, v9 offset1:2
	v_add_u32_e32 v7, 0x400, v7
	s_andn2_b64 exec, exec, s[26:27]
	s_cbranch_execnz .LBB125_33
.LBB125_34:
	s_or_b64 exec, exec, s[8:9]
	v_add_u32_e32 v4, 1, v4
	v_and_b32_e32 v5, 0x3fffffe, v4
	v_cmp_ne_u32_e32 vcc, v4, v5
	v_lshl_add_u32 v3, v5, 7, v0
	s_orn2_b64 s[8:9], vcc, exec
.LBB125_35:
	s_or_b64 exec, exec, s[6:7]
	s_and_b64 exec, exec, s[8:9]
	s_cbranch_execz .LBB125_38
; %bb.36:
	v_mov_b32_e32 v4, 0x210
	v_lshl_add_u32 v4, v3, 2, v4
	s_mov_b64 s[6:7], 0
.LBB125_37:                             ; =>This Inner Loop Header: Depth=1
	ds_read_b32 v5, v4
	v_add_u32_e32 v3, 0x80, v3
	v_cmp_le_i32_e32 vcc, s15, v3
	s_or_b64 s[6:7], vcc, s[6:7]
	s_waitcnt lgkmcnt(0)
	v_mul_f32_e32 v5, v2, v5
	ds_write_b32 v4, v5
	v_add_u32_e32 v4, 0x200, v4
	s_andn2_b64 exec, exec, s[6:7]
	s_cbranch_execnz .LBB125_37
.LBB125_38:
	s_or_b64 exec, exec, s[2:3]
	s_mov_b32 s28, 0
	s_mov_b32 s29, s28
	;; [unrolled: 1-line block ×4, first 2 shown]
	s_waitcnt lgkmcnt(0)
	v_mov_b64_e32 v[2:3], s[28:29]
	v_mov_b64_e32 v[4:5], s[30:31]
	s_barrier
	s_and_saveexec_b64 s[2:3], s[0:1]
	s_cbranch_execz .LBB125_210
; %bb.39:
	s_ashr_i32 s15, s14, 31
	s_lshl_b64 s[0:1], s[14:15], 1
	s_add_u32 s0, s10, s0
	s_addc_u32 s1, s11, s1
	v_lshlrev_b32_e32 v14, 4, v20
	v_mov_b32_e32 v15, 0
	s_add_i32 s10, s12, -1
	v_lshl_add_u64 v[16:17], s[0:1], 0, v[14:15]
	s_lshl_b64 s[0:1], s[24:25], 2
	s_add_u32 s0, s22, s0
	v_mov_b32_e32 v2, 0x210
	v_and_b32_e32 v14, 60, v6
	s_addc_u32 s1, s23, s1
	v_lshl_or_b32 v21, v1, 3, 7
	v_lshl_add_u32 v22, v1, 5, v2
	v_lshl_add_u64 v[18:19], s[0:1], 0, v[14:15]
	s_mov_b64 s[6:7], 0
	s_mov_b32 s11, 0x7f800000
	s_movk_i32 s14, 0x7fff
	v_mov_b32_e32 v2, 0
	v_mov_b32_e32 v3, 0
	;; [unrolled: 1-line block ×4, first 2 shown]
	s_branch .LBB125_41
.LBB125_40:                             ;   in Loop: Header=BB125_41 Depth=1
	s_or_b64 exec, exec, s[0:1]
	v_and_b32_e32 v33, 0xffff0000, v23
	v_and_b32_e32 v32, 0xffff0000, v13
	v_and_b32_e32 v13, 0xffff0000, v14
	v_and_b32_e32 v12, 0xffff0000, v12
	v_and_b32_e32 v31, 0xffff0000, v34
	v_and_b32_e32 v30, 0xffff0000, v25
	v_and_b32_e32 v25, 0xffff0000, v26
	v_and_b32_e32 v24, 0xffff0000, v24
	v_pk_add_f32 v[12:13], v[12:13], v[32:33]
	v_pk_add_f32 v[24:25], v[24:25], v[30:31]
	v_add_f32_e32 v12, v12, v13
	v_add_f32_e32 v12, v12, v24
	;; [unrolled: 1-line block ×3, first 2 shown]
	v_and_b32_e32 v31, 0xffff0000, v46
	v_and_b32_e32 v30, 0xffff0000, v44
	;; [unrolled: 1-line block ×4, first 2 shown]
	v_add_f32_e32 v2, v2, v12
	v_and_b32_e32 v13, 0xffff0000, v50
	v_and_b32_e32 v12, 0xffff0000, v48
	;; [unrolled: 1-line block ×4, first 2 shown]
	v_pk_add_f32 v[30:31], v[32:33], v[30:31]
	v_pk_add_f32 v[12:13], v[24:25], v[12:13]
	v_add_f32_e32 v14, v30, v31
	v_add_f32_e32 v12, v14, v12
	;; [unrolled: 1-line block ×3, first 2 shown]
	v_and_b32_e32 v31, 0xffff0000, v54
	v_and_b32_e32 v30, 0xffff0000, v52
	;; [unrolled: 1-line block ×4, first 2 shown]
	v_add_f32_e32 v3, v3, v12
	v_and_b32_e32 v13, 0xffff0000, v58
	v_and_b32_e32 v12, 0xffff0000, v56
	;; [unrolled: 1-line block ×4, first 2 shown]
	v_pk_add_f32 v[30:31], v[32:33], v[30:31]
	v_pk_add_f32 v[12:13], v[24:25], v[12:13]
	v_add_f32_e32 v14, v30, v31
	v_add_f32_e32 v12, v14, v12
	;; [unrolled: 1-line block ×3, first 2 shown]
	v_and_b32_e32 v13, 0xffff0000, v11
	v_and_b32_e32 v11, 0xffff0000, v27
	;; [unrolled: 1-line block ×5, first 2 shown]
	v_add_f32_e32 v4, v4, v12
	v_and_b32_e32 v12, 0xffff0000, v28
	v_and_b32_e32 v9, 0xffff0000, v9
	;; [unrolled: 1-line block ×3, first 2 shown]
	v_pk_add_f32 v[6:7], v[6:7], v[10:11]
	v_pk_add_f32 v[8:9], v[8:9], v[12:13]
	v_add_f32_e32 v6, v6, v7
	v_add_f32_e32 v6, v6, v8
	v_add_u32_e32 v1, 2, v1
	v_add_f32_e32 v6, v6, v9
	v_cmp_le_i32_e32 vcc, s12, v1
	v_add_f32_e32 v5, v5, v6
	v_add_u32_e32 v21, 16, v21
	v_add_u32_e32 v22, 64, v22
	s_or_b64 s[6:7], vcc, s[6:7]
	v_lshl_add_u64 v[18:19], v[18:19], 0, 8
	s_andn2_b64 exec, exec, s[6:7]
	s_cbranch_execz .LBB125_209
.LBB125_41:                             ; =>This Inner Loop Header: Depth=1
	global_load_dword v27, v[18:19], off
	ds_read2_b64 v[10:13], v22 offset1:1
	ds_read2_b64 v[6:9], v22 offset0:2 offset1:3
                                        ; implicit-def: $vgpr35
	s_waitcnt lgkmcnt(1)
	v_and_b32_e32 v14, 0x7f800000, v10
	v_cmp_ne_u32_e32 vcc, s11, v14
	s_and_saveexec_b64 s[0:1], vcc
	s_xor_b64 s[0:1], exec, s[0:1]
; %bb.42:                               ;   in Loop: Header=BB125_41 Depth=1
	v_bfe_u32 v14, v10, 16, 1
	v_add3_u32 v35, v10, v14, s14
; %bb.43:                               ;   in Loop: Header=BB125_41 Depth=1
	s_andn2_saveexec_b64 s[0:1], s[0:1]
; %bb.44:                               ;   in Loop: Header=BB125_41 Depth=1
	v_or_b32_e32 v14, 0x10000, v10
	v_cmp_eq_u32_sdwa vcc, v10, v15 src0_sel:WORD_0 src1_sel:DWORD
	s_nop 1
	v_cndmask_b32_e32 v35, v14, v10, vcc
; %bb.45:                               ;   in Loop: Header=BB125_41 Depth=1
	s_or_b64 exec, exec, s[0:1]
	v_and_b32_e32 v10, 0x7f800000, v11
	v_cmp_ne_u32_e32 vcc, s11, v10
                                        ; implicit-def: $vgpr36
	s_and_saveexec_b64 s[0:1], vcc
	s_xor_b64 s[0:1], exec, s[0:1]
; %bb.46:                               ;   in Loop: Header=BB125_41 Depth=1
	v_bfe_u32 v10, v11, 16, 1
	v_add3_u32 v36, v11, v10, s14
; %bb.47:                               ;   in Loop: Header=BB125_41 Depth=1
	s_andn2_saveexec_b64 s[0:1], s[0:1]
; %bb.48:                               ;   in Loop: Header=BB125_41 Depth=1
	v_or_b32_e32 v10, 0x10000, v11
	v_cmp_eq_u32_sdwa vcc, v11, v15 src0_sel:WORD_0 src1_sel:DWORD
	s_nop 1
	v_cndmask_b32_e32 v36, v10, v11, vcc
; %bb.49:                               ;   in Loop: Header=BB125_41 Depth=1
	s_or_b64 exec, exec, s[0:1]
	v_and_b32_e32 v10, 0x7f800000, v12
	v_cmp_ne_u32_e32 vcc, s11, v10
                                        ; implicit-def: $vgpr14
	s_and_saveexec_b64 s[0:1], vcc
	s_xor_b64 s[0:1], exec, s[0:1]
; %bb.50:                               ;   in Loop: Header=BB125_41 Depth=1
	v_bfe_u32 v10, v12, 16, 1
	v_add3_u32 v14, v12, v10, s14
; %bb.51:                               ;   in Loop: Header=BB125_41 Depth=1
	s_andn2_saveexec_b64 s[0:1], s[0:1]
; %bb.52:                               ;   in Loop: Header=BB125_41 Depth=1
	v_or_b32_e32 v10, 0x10000, v12
	v_cmp_eq_u32_sdwa vcc, v12, v15 src0_sel:WORD_0 src1_sel:DWORD
	s_nop 1
	v_cndmask_b32_e32 v14, v10, v12, vcc
; %bb.53:                               ;   in Loop: Header=BB125_41 Depth=1
	s_or_b64 exec, exec, s[0:1]
	v_and_b32_e32 v10, 0x7f800000, v13
	v_cmp_ne_u32_e32 vcc, s11, v10
                                        ; implicit-def: $vgpr23
	s_and_saveexec_b64 s[0:1], vcc
	s_xor_b64 s[0:1], exec, s[0:1]
; %bb.54:                               ;   in Loop: Header=BB125_41 Depth=1
	v_bfe_u32 v10, v13, 16, 1
	v_add3_u32 v23, v13, v10, s14
                                        ; implicit-def: $vgpr10_vgpr11_vgpr12_vgpr13
; %bb.55:                               ;   in Loop: Header=BB125_41 Depth=1
	s_andn2_saveexec_b64 s[0:1], s[0:1]
; %bb.56:                               ;   in Loop: Header=BB125_41 Depth=1
	v_or_b32_e32 v10, 0x10000, v13
	v_cmp_eq_u32_sdwa vcc, v13, v15 src0_sel:WORD_0 src1_sel:DWORD
	s_nop 1
	v_cndmask_b32_e32 v23, v10, v13, vcc
; %bb.57:                               ;   in Loop: Header=BB125_41 Depth=1
	s_or_b64 exec, exec, s[0:1]
	s_waitcnt lgkmcnt(0)
	v_and_b32_e32 v10, 0x7f800000, v6
	v_cmp_ne_u32_e32 vcc, s11, v10
                                        ; implicit-def: $vgpr24
	s_and_saveexec_b64 s[0:1], vcc
	s_xor_b64 s[0:1], exec, s[0:1]
; %bb.58:                               ;   in Loop: Header=BB125_41 Depth=1
	v_bfe_u32 v10, v6, 16, 1
	v_add3_u32 v24, v6, v10, s14
; %bb.59:                               ;   in Loop: Header=BB125_41 Depth=1
	s_andn2_saveexec_b64 s[0:1], s[0:1]
; %bb.60:                               ;   in Loop: Header=BB125_41 Depth=1
	v_or_b32_e32 v10, 0x10000, v6
	v_cmp_eq_u32_sdwa vcc, v6, v15 src0_sel:WORD_0 src1_sel:DWORD
	s_nop 1
	v_cndmask_b32_e32 v24, v10, v6, vcc
; %bb.61:                               ;   in Loop: Header=BB125_41 Depth=1
	s_or_b64 exec, exec, s[0:1]
	v_and_b32_e32 v6, 0x7f800000, v7
	v_cmp_ne_u32_e32 vcc, s11, v6
                                        ; implicit-def: $vgpr25
	s_and_saveexec_b64 s[0:1], vcc
	s_xor_b64 s[0:1], exec, s[0:1]
; %bb.62:                               ;   in Loop: Header=BB125_41 Depth=1
	v_bfe_u32 v6, v7, 16, 1
	v_add3_u32 v25, v7, v6, s14
; %bb.63:                               ;   in Loop: Header=BB125_41 Depth=1
	s_andn2_saveexec_b64 s[0:1], s[0:1]
; %bb.64:                               ;   in Loop: Header=BB125_41 Depth=1
	v_or_b32_e32 v6, 0x10000, v7
	v_cmp_eq_u32_sdwa vcc, v7, v15 src0_sel:WORD_0 src1_sel:DWORD
	s_nop 1
	v_cndmask_b32_e32 v25, v6, v7, vcc
; %bb.65:                               ;   in Loop: Header=BB125_41 Depth=1
	s_or_b64 exec, exec, s[0:1]
	v_and_b32_e32 v6, 0x7f800000, v8
	v_cmp_ne_u32_e32 vcc, s11, v6
                                        ; implicit-def: $vgpr26
	s_and_saveexec_b64 s[0:1], vcc
	s_xor_b64 s[0:1], exec, s[0:1]
; %bb.66:                               ;   in Loop: Header=BB125_41 Depth=1
	v_bfe_u32 v6, v8, 16, 1
	v_add3_u32 v26, v8, v6, s14
; %bb.67:                               ;   in Loop: Header=BB125_41 Depth=1
	s_andn2_saveexec_b64 s[0:1], s[0:1]
; %bb.68:                               ;   in Loop: Header=BB125_41 Depth=1
	v_or_b32_e32 v6, 0x10000, v8
	v_cmp_eq_u32_sdwa vcc, v8, v15 src0_sel:WORD_0 src1_sel:DWORD
	s_nop 1
	v_cndmask_b32_e32 v26, v6, v8, vcc
; %bb.69:                               ;   in Loop: Header=BB125_41 Depth=1
	s_or_b64 exec, exec, s[0:1]
	v_and_b32_e32 v6, 0x7f800000, v9
	v_cmp_ne_u32_e32 vcc, s11, v6
                                        ; implicit-def: $vgpr34
	s_and_saveexec_b64 s[0:1], vcc
	s_xor_b64 s[0:1], exec, s[0:1]
; %bb.70:                               ;   in Loop: Header=BB125_41 Depth=1
	v_bfe_u32 v6, v9, 16, 1
	v_add3_u32 v34, v9, v6, s14
                                        ; implicit-def: $vgpr6_vgpr7_vgpr8_vgpr9
; %bb.71:                               ;   in Loop: Header=BB125_41 Depth=1
	s_andn2_saveexec_b64 s[0:1], s[0:1]
; %bb.72:                               ;   in Loop: Header=BB125_41 Depth=1
	v_or_b32_e32 v6, 0x10000, v9
	v_cmp_eq_u32_sdwa vcc, v9, v15 src0_sel:WORD_0 src1_sel:DWORD
	s_nop 1
	v_cndmask_b32_e32 v34, v6, v9, vcc
; %bb.73:                               ;   in Loop: Header=BB125_41 Depth=1
	s_or_b64 exec, exec, s[0:1]
	s_waitcnt vmcnt(0)
	v_mad_i64_i32 v[6:7], s[0:1], v27, s13, 0
	v_lshl_add_u64 v[10:11], v[6:7], 1, v[16:17]
	global_load_dwordx4 v[6:9], v[10:11], off
	v_add_u32_e32 v27, -7, v21
	v_cmp_eq_u32_e32 vcc, s10, v1
	v_add_u32_e32 v33, -6, v21
	v_add_u32_e32 v31, -5, v21
	;; [unrolled: 1-line block ×6, first 2 shown]
	s_waitcnt vmcnt(0)
	v_lshrrev_b32_e32 v13, 16, v6
	v_lshrrev_b32_e32 v39, 16, v7
	;; [unrolled: 1-line block ×4, first 2 shown]
	s_and_saveexec_b64 s[8:9], vcc
	s_cbranch_execz .LBB125_75
; %bb.74:                               ;   in Loop: Header=BB125_41 Depth=1
	v_cmp_gt_i32_e64 s[0:1], s33, v27
	s_nop 1
	v_cndmask_b32_e64 v6, 0, v6, s[0:1]
	v_cmp_gt_i32_e64 s[0:1], s33, v33
	s_nop 1
	v_cndmask_b32_e64 v13, 0, v13, s[0:1]
	;; [unrolled: 3-line block ×8, first 2 shown]
.LBB125_75:                             ;   in Loop: Header=BB125_41 Depth=1
	s_or_b64 exec, exec, s[8:9]
	v_and_b32_e32 v35, 0xffff0000, v35
	v_lshlrev_b32_e32 v6, 16, v6
	v_mul_f32_e32 v6, v35, v6
	v_and_b32_e32 v12, 0x7f800000, v6
	v_cmp_ne_u32_e64 s[0:1], s11, v12
                                        ; implicit-def: $vgpr12
	s_and_saveexec_b64 s[8:9], s[0:1]
	s_xor_b64 s[0:1], exec, s[8:9]
; %bb.76:                               ;   in Loop: Header=BB125_41 Depth=1
	v_bfe_u32 v12, v6, 16, 1
	v_add3_u32 v12, v6, v12, s14
                                        ; implicit-def: $vgpr6
; %bb.77:                               ;   in Loop: Header=BB125_41 Depth=1
	s_andn2_saveexec_b64 s[8:9], s[0:1]
; %bb.78:                               ;   in Loop: Header=BB125_41 Depth=1
	v_or_b32_e32 v12, 0x10000, v6
	v_cmp_eq_u32_sdwa s[0:1], v6, v15 src0_sel:WORD_0 src1_sel:DWORD
	s_nop 1
	v_cndmask_b32_e64 v12, v12, v6, s[0:1]
; %bb.79:                               ;   in Loop: Header=BB125_41 Depth=1
	s_or_b64 exec, exec, s[8:9]
	v_and_b32_e32 v36, 0xffff0000, v36
	v_lshlrev_b32_e32 v6, 16, v13
	v_mul_f32_e32 v6, v36, v6
	v_and_b32_e32 v13, 0x7f800000, v6
	v_cmp_ne_u32_e64 s[0:1], s11, v13
                                        ; implicit-def: $vgpr13
	s_and_saveexec_b64 s[8:9], s[0:1]
	s_xor_b64 s[0:1], exec, s[8:9]
; %bb.80:                               ;   in Loop: Header=BB125_41 Depth=1
	v_bfe_u32 v13, v6, 16, 1
	v_add3_u32 v13, v6, v13, s14
                                        ; implicit-def: $vgpr6
; %bb.81:                               ;   in Loop: Header=BB125_41 Depth=1
	s_andn2_saveexec_b64 s[8:9], s[0:1]
; %bb.82:                               ;   in Loop: Header=BB125_41 Depth=1
	v_or_b32_e32 v13, 0x10000, v6
	v_cmp_eq_u32_sdwa s[0:1], v6, v15 src0_sel:WORD_0 src1_sel:DWORD
	s_nop 1
	v_cndmask_b32_e64 v13, v13, v6, s[0:1]
; %bb.83:                               ;   in Loop: Header=BB125_41 Depth=1
	s_or_b64 exec, exec, s[8:9]
	v_and_b32_e32 v37, 0xffff0000, v14
	v_lshlrev_b32_e32 v6, 16, v7
	v_mul_f32_e32 v6, v37, v6
	v_and_b32_e32 v7, 0x7f800000, v6
	v_cmp_ne_u32_e64 s[0:1], s11, v7
                                        ; implicit-def: $vgpr14
	s_and_saveexec_b64 s[8:9], s[0:1]
	s_xor_b64 s[0:1], exec, s[8:9]
; %bb.84:                               ;   in Loop: Header=BB125_41 Depth=1
	v_bfe_u32 v7, v6, 16, 1
	v_add3_u32 v14, v6, v7, s14
                                        ; implicit-def: $vgpr6
; %bb.85:                               ;   in Loop: Header=BB125_41 Depth=1
	s_andn2_saveexec_b64 s[8:9], s[0:1]
; %bb.86:                               ;   in Loop: Header=BB125_41 Depth=1
	v_or_b32_e32 v7, 0x10000, v6
	v_cmp_eq_u32_sdwa s[0:1], v6, v15 src0_sel:WORD_0 src1_sel:DWORD
	s_nop 1
	v_cndmask_b32_e64 v14, v7, v6, s[0:1]
; %bb.87:                               ;   in Loop: Header=BB125_41 Depth=1
	s_or_b64 exec, exec, s[8:9]
	v_and_b32_e32 v38, 0xffff0000, v23
	v_lshlrev_b32_e32 v6, 16, v39
	v_mul_f32_e32 v6, v38, v6
	v_and_b32_e32 v7, 0x7f800000, v6
	v_cmp_ne_u32_e64 s[0:1], s11, v7
                                        ; implicit-def: $vgpr23
	s_and_saveexec_b64 s[8:9], s[0:1]
	s_xor_b64 s[0:1], exec, s[8:9]
; %bb.88:                               ;   in Loop: Header=BB125_41 Depth=1
	v_bfe_u32 v7, v6, 16, 1
	v_add3_u32 v23, v6, v7, s14
                                        ; implicit-def: $vgpr6
; %bb.89:                               ;   in Loop: Header=BB125_41 Depth=1
	s_andn2_saveexec_b64 s[8:9], s[0:1]
; %bb.90:                               ;   in Loop: Header=BB125_41 Depth=1
	v_or_b32_e32 v7, 0x10000, v6
	v_cmp_eq_u32_sdwa s[0:1], v6, v15 src0_sel:WORD_0 src1_sel:DWORD
	s_nop 1
	v_cndmask_b32_e64 v23, v7, v6, s[0:1]
; %bb.91:                               ;   in Loop: Header=BB125_41 Depth=1
	s_or_b64 exec, exec, s[8:9]
	v_and_b32_e32 v39, 0xffff0000, v24
	v_lshlrev_b32_e32 v6, 16, v8
	v_mul_f32_e32 v6, v39, v6
	v_and_b32_e32 v7, 0x7f800000, v6
	v_cmp_ne_u32_e64 s[0:1], s11, v7
                                        ; implicit-def: $vgpr24
	s_and_saveexec_b64 s[8:9], s[0:1]
	s_xor_b64 s[0:1], exec, s[8:9]
; %bb.92:                               ;   in Loop: Header=BB125_41 Depth=1
	v_bfe_u32 v7, v6, 16, 1
	v_add3_u32 v24, v6, v7, s14
                                        ; implicit-def: $vgpr6
; %bb.93:                               ;   in Loop: Header=BB125_41 Depth=1
	s_andn2_saveexec_b64 s[8:9], s[0:1]
; %bb.94:                               ;   in Loop: Header=BB125_41 Depth=1
	v_or_b32_e32 v7, 0x10000, v6
	v_cmp_eq_u32_sdwa s[0:1], v6, v15 src0_sel:WORD_0 src1_sel:DWORD
	s_nop 1
	v_cndmask_b32_e64 v24, v7, v6, s[0:1]
; %bb.95:                               ;   in Loop: Header=BB125_41 Depth=1
	s_or_b64 exec, exec, s[8:9]
	v_and_b32_e32 v40, 0xffff0000, v25
	v_lshlrev_b32_e32 v6, 16, v41
	v_mul_f32_e32 v6, v40, v6
	v_and_b32_e32 v7, 0x7f800000, v6
	v_cmp_ne_u32_e64 s[0:1], s11, v7
                                        ; implicit-def: $vgpr25
	s_and_saveexec_b64 s[8:9], s[0:1]
	s_xor_b64 s[0:1], exec, s[8:9]
; %bb.96:                               ;   in Loop: Header=BB125_41 Depth=1
	v_bfe_u32 v7, v6, 16, 1
	v_add3_u32 v25, v6, v7, s14
                                        ; implicit-def: $vgpr6
; %bb.97:                               ;   in Loop: Header=BB125_41 Depth=1
	s_andn2_saveexec_b64 s[8:9], s[0:1]
; %bb.98:                               ;   in Loop: Header=BB125_41 Depth=1
	v_or_b32_e32 v7, 0x10000, v6
	v_cmp_eq_u32_sdwa s[0:1], v6, v15 src0_sel:WORD_0 src1_sel:DWORD
	s_nop 1
	v_cndmask_b32_e64 v25, v7, v6, s[0:1]
; %bb.99:                               ;   in Loop: Header=BB125_41 Depth=1
	s_or_b64 exec, exec, s[8:9]
	v_and_b32_e32 v41, 0xffff0000, v26
	v_lshlrev_b32_e32 v6, 16, v9
	v_mul_f32_e32 v6, v41, v6
	v_and_b32_e32 v7, 0x7f800000, v6
	v_cmp_ne_u32_e64 s[0:1], s11, v7
                                        ; implicit-def: $vgpr26
	s_and_saveexec_b64 s[8:9], s[0:1]
	s_xor_b64 s[0:1], exec, s[8:9]
; %bb.100:                              ;   in Loop: Header=BB125_41 Depth=1
	v_bfe_u32 v7, v6, 16, 1
	v_add3_u32 v26, v6, v7, s14
                                        ; implicit-def: $vgpr6
; %bb.101:                              ;   in Loop: Header=BB125_41 Depth=1
	s_andn2_saveexec_b64 s[8:9], s[0:1]
; %bb.102:                              ;   in Loop: Header=BB125_41 Depth=1
	v_or_b32_e32 v7, 0x10000, v6
	v_cmp_eq_u32_sdwa s[0:1], v6, v15 src0_sel:WORD_0 src1_sel:DWORD
	s_nop 1
	v_cndmask_b32_e64 v26, v7, v6, s[0:1]
; %bb.103:                              ;   in Loop: Header=BB125_41 Depth=1
	s_or_b64 exec, exec, s[8:9]
	v_and_b32_e32 v42, 0xffff0000, v34
	v_lshlrev_b32_e32 v6, 16, v43
	v_mul_f32_e32 v6, v42, v6
	v_and_b32_e32 v7, 0x7f800000, v6
	v_cmp_ne_u32_e64 s[0:1], s11, v7
                                        ; implicit-def: $vgpr34
	s_and_saveexec_b64 s[8:9], s[0:1]
	s_xor_b64 s[0:1], exec, s[8:9]
; %bb.104:                              ;   in Loop: Header=BB125_41 Depth=1
	v_bfe_u32 v7, v6, 16, 1
	v_add3_u32 v34, v6, v7, s14
                                        ; implicit-def: $vgpr6
; %bb.105:                              ;   in Loop: Header=BB125_41 Depth=1
	s_andn2_saveexec_b64 s[8:9], s[0:1]
; %bb.106:                              ;   in Loop: Header=BB125_41 Depth=1
	v_or_b32_e32 v7, 0x10000, v6
	v_cmp_eq_u32_sdwa s[0:1], v6, v15 src0_sel:WORD_0 src1_sel:DWORD
	s_nop 1
	v_cndmask_b32_e64 v34, v7, v6, s[0:1]
; %bb.107:                              ;   in Loop: Header=BB125_41 Depth=1
	s_or_b64 exec, exec, s[8:9]
	global_load_dwordx4 v[6:9], v[10:11], off offset:1024
	s_waitcnt vmcnt(0)
	v_lshrrev_b32_e32 v44, 16, v6
	v_lshrrev_b32_e32 v46, 16, v7
	;; [unrolled: 1-line block ×4, first 2 shown]
	s_and_saveexec_b64 s[8:9], vcc
	s_cbranch_execz .LBB125_109
; %bb.108:                              ;   in Loop: Header=BB125_41 Depth=1
	v_cmp_gt_i32_e64 s[0:1], s33, v27
	s_nop 1
	v_cndmask_b32_e64 v6, 0, v6, s[0:1]
	v_cmp_gt_i32_e64 s[0:1], s33, v33
	s_nop 1
	v_cndmask_b32_e64 v44, 0, v44, s[0:1]
	;; [unrolled: 3-line block ×8, first 2 shown]
.LBB125_109:                            ;   in Loop: Header=BB125_41 Depth=1
	s_or_b64 exec, exec, s[8:9]
	v_lshlrev_b32_e32 v6, 16, v6
	v_mul_f32_e32 v6, v35, v6
	v_and_b32_e32 v43, 0x7f800000, v6
	v_cmp_ne_u32_e64 s[0:1], s11, v43
                                        ; implicit-def: $vgpr43
	s_and_saveexec_b64 s[8:9], s[0:1]
	s_xor_b64 s[0:1], exec, s[8:9]
; %bb.110:                              ;   in Loop: Header=BB125_41 Depth=1
	v_bfe_u32 v43, v6, 16, 1
	v_add3_u32 v43, v6, v43, s14
                                        ; implicit-def: $vgpr6
; %bb.111:                              ;   in Loop: Header=BB125_41 Depth=1
	s_andn2_saveexec_b64 s[8:9], s[0:1]
; %bb.112:                              ;   in Loop: Header=BB125_41 Depth=1
	v_or_b32_e32 v43, 0x10000, v6
	v_cmp_eq_u32_sdwa s[0:1], v6, v15 src0_sel:WORD_0 src1_sel:DWORD
	s_nop 1
	v_cndmask_b32_e64 v43, v43, v6, s[0:1]
; %bb.113:                              ;   in Loop: Header=BB125_41 Depth=1
	s_or_b64 exec, exec, s[8:9]
	v_lshlrev_b32_e32 v6, 16, v44
	v_mul_f32_e32 v6, v36, v6
	v_and_b32_e32 v44, 0x7f800000, v6
	v_cmp_ne_u32_e64 s[0:1], s11, v44
                                        ; implicit-def: $vgpr44
	s_and_saveexec_b64 s[8:9], s[0:1]
	s_xor_b64 s[0:1], exec, s[8:9]
; %bb.114:                              ;   in Loop: Header=BB125_41 Depth=1
	v_bfe_u32 v44, v6, 16, 1
	v_add3_u32 v44, v6, v44, s14
                                        ; implicit-def: $vgpr6
; %bb.115:                              ;   in Loop: Header=BB125_41 Depth=1
	s_andn2_saveexec_b64 s[8:9], s[0:1]
; %bb.116:                              ;   in Loop: Header=BB125_41 Depth=1
	v_or_b32_e32 v44, 0x10000, v6
	v_cmp_eq_u32_sdwa s[0:1], v6, v15 src0_sel:WORD_0 src1_sel:DWORD
	s_nop 1
	v_cndmask_b32_e64 v44, v44, v6, s[0:1]
; %bb.117:                              ;   in Loop: Header=BB125_41 Depth=1
	s_or_b64 exec, exec, s[8:9]
	v_lshlrev_b32_e32 v6, 16, v7
	v_mul_f32_e32 v6, v37, v6
	v_and_b32_e32 v7, 0x7f800000, v6
	v_cmp_ne_u32_e64 s[0:1], s11, v7
                                        ; implicit-def: $vgpr45
	s_and_saveexec_b64 s[8:9], s[0:1]
	s_xor_b64 s[0:1], exec, s[8:9]
; %bb.118:                              ;   in Loop: Header=BB125_41 Depth=1
	v_bfe_u32 v7, v6, 16, 1
	v_add3_u32 v45, v6, v7, s14
                                        ; implicit-def: $vgpr6
; %bb.119:                              ;   in Loop: Header=BB125_41 Depth=1
	s_andn2_saveexec_b64 s[8:9], s[0:1]
; %bb.120:                              ;   in Loop: Header=BB125_41 Depth=1
	v_or_b32_e32 v7, 0x10000, v6
	v_cmp_eq_u32_sdwa s[0:1], v6, v15 src0_sel:WORD_0 src1_sel:DWORD
	s_nop 1
	v_cndmask_b32_e64 v45, v7, v6, s[0:1]
; %bb.121:                              ;   in Loop: Header=BB125_41 Depth=1
	s_or_b64 exec, exec, s[8:9]
	v_lshlrev_b32_e32 v6, 16, v46
	v_mul_f32_e32 v6, v38, v6
	v_and_b32_e32 v7, 0x7f800000, v6
	v_cmp_ne_u32_e64 s[0:1], s11, v7
                                        ; implicit-def: $vgpr46
	s_and_saveexec_b64 s[8:9], s[0:1]
	s_xor_b64 s[0:1], exec, s[8:9]
; %bb.122:                              ;   in Loop: Header=BB125_41 Depth=1
	v_bfe_u32 v7, v6, 16, 1
	v_add3_u32 v46, v6, v7, s14
                                        ; implicit-def: $vgpr6
; %bb.123:                              ;   in Loop: Header=BB125_41 Depth=1
	s_andn2_saveexec_b64 s[8:9], s[0:1]
; %bb.124:                              ;   in Loop: Header=BB125_41 Depth=1
	v_or_b32_e32 v7, 0x10000, v6
	v_cmp_eq_u32_sdwa s[0:1], v6, v15 src0_sel:WORD_0 src1_sel:DWORD
	s_nop 1
	v_cndmask_b32_e64 v46, v7, v6, s[0:1]
; %bb.125:                              ;   in Loop: Header=BB125_41 Depth=1
	s_or_b64 exec, exec, s[8:9]
	v_lshlrev_b32_e32 v6, 16, v8
	v_mul_f32_e32 v6, v39, v6
	v_and_b32_e32 v7, 0x7f800000, v6
	v_cmp_ne_u32_e64 s[0:1], s11, v7
                                        ; implicit-def: $vgpr47
	s_and_saveexec_b64 s[8:9], s[0:1]
	s_xor_b64 s[0:1], exec, s[8:9]
; %bb.126:                              ;   in Loop: Header=BB125_41 Depth=1
	v_bfe_u32 v7, v6, 16, 1
	v_add3_u32 v47, v6, v7, s14
                                        ; implicit-def: $vgpr6
; %bb.127:                              ;   in Loop: Header=BB125_41 Depth=1
	s_andn2_saveexec_b64 s[8:9], s[0:1]
; %bb.128:                              ;   in Loop: Header=BB125_41 Depth=1
	v_or_b32_e32 v7, 0x10000, v6
	v_cmp_eq_u32_sdwa s[0:1], v6, v15 src0_sel:WORD_0 src1_sel:DWORD
	s_nop 1
	v_cndmask_b32_e64 v47, v7, v6, s[0:1]
; %bb.129:                              ;   in Loop: Header=BB125_41 Depth=1
	s_or_b64 exec, exec, s[8:9]
	v_lshlrev_b32_e32 v6, 16, v48
	v_mul_f32_e32 v6, v40, v6
	v_and_b32_e32 v7, 0x7f800000, v6
	v_cmp_ne_u32_e64 s[0:1], s11, v7
                                        ; implicit-def: $vgpr48
	s_and_saveexec_b64 s[8:9], s[0:1]
	s_xor_b64 s[0:1], exec, s[8:9]
; %bb.130:                              ;   in Loop: Header=BB125_41 Depth=1
	v_bfe_u32 v7, v6, 16, 1
	v_add3_u32 v48, v6, v7, s14
                                        ; implicit-def: $vgpr6
; %bb.131:                              ;   in Loop: Header=BB125_41 Depth=1
	s_andn2_saveexec_b64 s[8:9], s[0:1]
; %bb.132:                              ;   in Loop: Header=BB125_41 Depth=1
	v_or_b32_e32 v7, 0x10000, v6
	v_cmp_eq_u32_sdwa s[0:1], v6, v15 src0_sel:WORD_0 src1_sel:DWORD
	s_nop 1
	v_cndmask_b32_e64 v48, v7, v6, s[0:1]
; %bb.133:                              ;   in Loop: Header=BB125_41 Depth=1
	s_or_b64 exec, exec, s[8:9]
	v_lshlrev_b32_e32 v6, 16, v9
	v_mul_f32_e32 v6, v41, v6
	v_and_b32_e32 v7, 0x7f800000, v6
	v_cmp_ne_u32_e64 s[0:1], s11, v7
                                        ; implicit-def: $vgpr49
	s_and_saveexec_b64 s[8:9], s[0:1]
	s_xor_b64 s[0:1], exec, s[8:9]
; %bb.134:                              ;   in Loop: Header=BB125_41 Depth=1
	v_bfe_u32 v7, v6, 16, 1
	v_add3_u32 v49, v6, v7, s14
                                        ; implicit-def: $vgpr6
; %bb.135:                              ;   in Loop: Header=BB125_41 Depth=1
	s_andn2_saveexec_b64 s[8:9], s[0:1]
; %bb.136:                              ;   in Loop: Header=BB125_41 Depth=1
	v_or_b32_e32 v7, 0x10000, v6
	v_cmp_eq_u32_sdwa s[0:1], v6, v15 src0_sel:WORD_0 src1_sel:DWORD
	s_nop 1
	v_cndmask_b32_e64 v49, v7, v6, s[0:1]
; %bb.137:                              ;   in Loop: Header=BB125_41 Depth=1
	s_or_b64 exec, exec, s[8:9]
	v_lshlrev_b32_e32 v6, 16, v50
	v_mul_f32_e32 v6, v42, v6
	v_and_b32_e32 v7, 0x7f800000, v6
	v_cmp_ne_u32_e64 s[0:1], s11, v7
                                        ; implicit-def: $vgpr50
	s_and_saveexec_b64 s[8:9], s[0:1]
	s_xor_b64 s[0:1], exec, s[8:9]
; %bb.138:                              ;   in Loop: Header=BB125_41 Depth=1
	v_bfe_u32 v7, v6, 16, 1
	v_add3_u32 v50, v6, v7, s14
                                        ; implicit-def: $vgpr6
; %bb.139:                              ;   in Loop: Header=BB125_41 Depth=1
	s_andn2_saveexec_b64 s[8:9], s[0:1]
; %bb.140:                              ;   in Loop: Header=BB125_41 Depth=1
	v_or_b32_e32 v7, 0x10000, v6
	v_cmp_eq_u32_sdwa s[0:1], v6, v15 src0_sel:WORD_0 src1_sel:DWORD
	s_nop 1
	v_cndmask_b32_e64 v50, v7, v6, s[0:1]
; %bb.141:                              ;   in Loop: Header=BB125_41 Depth=1
	s_or_b64 exec, exec, s[8:9]
	global_load_dwordx4 v[6:9], v[10:11], off offset:2048
	s_waitcnt vmcnt(0)
	v_lshrrev_b32_e32 v52, 16, v6
	v_lshrrev_b32_e32 v54, 16, v7
	;; [unrolled: 1-line block ×4, first 2 shown]
	s_and_saveexec_b64 s[8:9], vcc
	s_cbranch_execz .LBB125_143
; %bb.142:                              ;   in Loop: Header=BB125_41 Depth=1
	v_cmp_gt_i32_e64 s[0:1], s33, v27
	s_nop 1
	v_cndmask_b32_e64 v6, 0, v6, s[0:1]
	v_cmp_gt_i32_e64 s[0:1], s33, v33
	s_nop 1
	v_cndmask_b32_e64 v52, 0, v52, s[0:1]
	;; [unrolled: 3-line block ×8, first 2 shown]
.LBB125_143:                            ;   in Loop: Header=BB125_41 Depth=1
	s_or_b64 exec, exec, s[8:9]
	v_lshlrev_b32_e32 v6, 16, v6
	v_mul_f32_e32 v6, v35, v6
	v_and_b32_e32 v51, 0x7f800000, v6
	v_cmp_ne_u32_e64 s[0:1], s11, v51
                                        ; implicit-def: $vgpr51
	s_and_saveexec_b64 s[8:9], s[0:1]
	s_xor_b64 s[0:1], exec, s[8:9]
; %bb.144:                              ;   in Loop: Header=BB125_41 Depth=1
	v_bfe_u32 v51, v6, 16, 1
	v_add3_u32 v51, v6, v51, s14
                                        ; implicit-def: $vgpr6
; %bb.145:                              ;   in Loop: Header=BB125_41 Depth=1
	s_andn2_saveexec_b64 s[8:9], s[0:1]
; %bb.146:                              ;   in Loop: Header=BB125_41 Depth=1
	v_or_b32_e32 v51, 0x10000, v6
	v_cmp_eq_u32_sdwa s[0:1], v6, v15 src0_sel:WORD_0 src1_sel:DWORD
	s_nop 1
	v_cndmask_b32_e64 v51, v51, v6, s[0:1]
; %bb.147:                              ;   in Loop: Header=BB125_41 Depth=1
	s_or_b64 exec, exec, s[8:9]
	v_lshlrev_b32_e32 v6, 16, v52
	v_mul_f32_e32 v6, v36, v6
	v_and_b32_e32 v52, 0x7f800000, v6
	v_cmp_ne_u32_e64 s[0:1], s11, v52
                                        ; implicit-def: $vgpr52
	s_and_saveexec_b64 s[8:9], s[0:1]
	s_xor_b64 s[0:1], exec, s[8:9]
; %bb.148:                              ;   in Loop: Header=BB125_41 Depth=1
	v_bfe_u32 v52, v6, 16, 1
	v_add3_u32 v52, v6, v52, s14
                                        ; implicit-def: $vgpr6
; %bb.149:                              ;   in Loop: Header=BB125_41 Depth=1
	s_andn2_saveexec_b64 s[8:9], s[0:1]
; %bb.150:                              ;   in Loop: Header=BB125_41 Depth=1
	v_or_b32_e32 v52, 0x10000, v6
	v_cmp_eq_u32_sdwa s[0:1], v6, v15 src0_sel:WORD_0 src1_sel:DWORD
	s_nop 1
	v_cndmask_b32_e64 v52, v52, v6, s[0:1]
; %bb.151:                              ;   in Loop: Header=BB125_41 Depth=1
	s_or_b64 exec, exec, s[8:9]
	v_lshlrev_b32_e32 v6, 16, v7
	v_mul_f32_e32 v6, v37, v6
	v_and_b32_e32 v7, 0x7f800000, v6
	v_cmp_ne_u32_e64 s[0:1], s11, v7
                                        ; implicit-def: $vgpr53
	s_and_saveexec_b64 s[8:9], s[0:1]
	s_xor_b64 s[0:1], exec, s[8:9]
; %bb.152:                              ;   in Loop: Header=BB125_41 Depth=1
	v_bfe_u32 v7, v6, 16, 1
	v_add3_u32 v53, v6, v7, s14
                                        ; implicit-def: $vgpr6
; %bb.153:                              ;   in Loop: Header=BB125_41 Depth=1
	s_andn2_saveexec_b64 s[8:9], s[0:1]
; %bb.154:                              ;   in Loop: Header=BB125_41 Depth=1
	v_or_b32_e32 v7, 0x10000, v6
	v_cmp_eq_u32_sdwa s[0:1], v6, v15 src0_sel:WORD_0 src1_sel:DWORD
	s_nop 1
	v_cndmask_b32_e64 v53, v7, v6, s[0:1]
; %bb.155:                              ;   in Loop: Header=BB125_41 Depth=1
	s_or_b64 exec, exec, s[8:9]
	v_lshlrev_b32_e32 v6, 16, v54
	v_mul_f32_e32 v6, v38, v6
	v_and_b32_e32 v7, 0x7f800000, v6
	v_cmp_ne_u32_e64 s[0:1], s11, v7
                                        ; implicit-def: $vgpr54
	s_and_saveexec_b64 s[8:9], s[0:1]
	s_xor_b64 s[0:1], exec, s[8:9]
; %bb.156:                              ;   in Loop: Header=BB125_41 Depth=1
	v_bfe_u32 v7, v6, 16, 1
	v_add3_u32 v54, v6, v7, s14
                                        ; implicit-def: $vgpr6
; %bb.157:                              ;   in Loop: Header=BB125_41 Depth=1
	s_andn2_saveexec_b64 s[8:9], s[0:1]
; %bb.158:                              ;   in Loop: Header=BB125_41 Depth=1
	v_or_b32_e32 v7, 0x10000, v6
	v_cmp_eq_u32_sdwa s[0:1], v6, v15 src0_sel:WORD_0 src1_sel:DWORD
	s_nop 1
	v_cndmask_b32_e64 v54, v7, v6, s[0:1]
; %bb.159:                              ;   in Loop: Header=BB125_41 Depth=1
	s_or_b64 exec, exec, s[8:9]
	v_lshlrev_b32_e32 v6, 16, v8
	v_mul_f32_e32 v6, v39, v6
	v_and_b32_e32 v7, 0x7f800000, v6
	v_cmp_ne_u32_e64 s[0:1], s11, v7
                                        ; implicit-def: $vgpr55
	s_and_saveexec_b64 s[8:9], s[0:1]
	s_xor_b64 s[0:1], exec, s[8:9]
; %bb.160:                              ;   in Loop: Header=BB125_41 Depth=1
	v_bfe_u32 v7, v6, 16, 1
	v_add3_u32 v55, v6, v7, s14
                                        ; implicit-def: $vgpr6
; %bb.161:                              ;   in Loop: Header=BB125_41 Depth=1
	s_andn2_saveexec_b64 s[8:9], s[0:1]
; %bb.162:                              ;   in Loop: Header=BB125_41 Depth=1
	v_or_b32_e32 v7, 0x10000, v6
	v_cmp_eq_u32_sdwa s[0:1], v6, v15 src0_sel:WORD_0 src1_sel:DWORD
	s_nop 1
	v_cndmask_b32_e64 v55, v7, v6, s[0:1]
; %bb.163:                              ;   in Loop: Header=BB125_41 Depth=1
	s_or_b64 exec, exec, s[8:9]
	v_lshlrev_b32_e32 v6, 16, v56
	v_mul_f32_e32 v6, v40, v6
	v_and_b32_e32 v7, 0x7f800000, v6
	v_cmp_ne_u32_e64 s[0:1], s11, v7
                                        ; implicit-def: $vgpr56
	s_and_saveexec_b64 s[8:9], s[0:1]
	s_xor_b64 s[0:1], exec, s[8:9]
; %bb.164:                              ;   in Loop: Header=BB125_41 Depth=1
	v_bfe_u32 v7, v6, 16, 1
	v_add3_u32 v56, v6, v7, s14
                                        ; implicit-def: $vgpr6
; %bb.165:                              ;   in Loop: Header=BB125_41 Depth=1
	s_andn2_saveexec_b64 s[8:9], s[0:1]
; %bb.166:                              ;   in Loop: Header=BB125_41 Depth=1
	v_or_b32_e32 v7, 0x10000, v6
	v_cmp_eq_u32_sdwa s[0:1], v6, v15 src0_sel:WORD_0 src1_sel:DWORD
	s_nop 1
	v_cndmask_b32_e64 v56, v7, v6, s[0:1]
; %bb.167:                              ;   in Loop: Header=BB125_41 Depth=1
	s_or_b64 exec, exec, s[8:9]
	v_lshlrev_b32_e32 v6, 16, v9
	v_mul_f32_e32 v6, v41, v6
	v_and_b32_e32 v7, 0x7f800000, v6
	v_cmp_ne_u32_e64 s[0:1], s11, v7
                                        ; implicit-def: $vgpr57
	s_and_saveexec_b64 s[8:9], s[0:1]
	s_xor_b64 s[0:1], exec, s[8:9]
; %bb.168:                              ;   in Loop: Header=BB125_41 Depth=1
	v_bfe_u32 v7, v6, 16, 1
	v_add3_u32 v57, v6, v7, s14
                                        ; implicit-def: $vgpr6
; %bb.169:                              ;   in Loop: Header=BB125_41 Depth=1
	s_andn2_saveexec_b64 s[8:9], s[0:1]
; %bb.170:                              ;   in Loop: Header=BB125_41 Depth=1
	v_or_b32_e32 v7, 0x10000, v6
	v_cmp_eq_u32_sdwa s[0:1], v6, v15 src0_sel:WORD_0 src1_sel:DWORD
	s_nop 1
	v_cndmask_b32_e64 v57, v7, v6, s[0:1]
; %bb.171:                              ;   in Loop: Header=BB125_41 Depth=1
	s_or_b64 exec, exec, s[8:9]
	v_lshlrev_b32_e32 v6, 16, v58
	v_mul_f32_e32 v6, v42, v6
	v_and_b32_e32 v7, 0x7f800000, v6
	v_cmp_ne_u32_e64 s[0:1], s11, v7
                                        ; implicit-def: $vgpr58
	s_and_saveexec_b64 s[8:9], s[0:1]
	s_xor_b64 s[0:1], exec, s[8:9]
; %bb.172:                              ;   in Loop: Header=BB125_41 Depth=1
	v_bfe_u32 v7, v6, 16, 1
	v_add3_u32 v58, v6, v7, s14
                                        ; implicit-def: $vgpr6
; %bb.173:                              ;   in Loop: Header=BB125_41 Depth=1
	s_andn2_saveexec_b64 s[8:9], s[0:1]
; %bb.174:                              ;   in Loop: Header=BB125_41 Depth=1
	v_or_b32_e32 v7, 0x10000, v6
	v_cmp_eq_u32_sdwa s[0:1], v6, v15 src0_sel:WORD_0 src1_sel:DWORD
	s_nop 1
	v_cndmask_b32_e64 v58, v7, v6, s[0:1]
; %bb.175:                              ;   in Loop: Header=BB125_41 Depth=1
	s_or_b64 exec, exec, s[8:9]
	global_load_dwordx4 v[6:9], v[10:11], off offset:3072
	s_waitcnt vmcnt(0)
	v_lshrrev_b32_e32 v10, 16, v6
	v_lshrrev_b32_e32 v60, 16, v7
	;; [unrolled: 1-line block ×4, first 2 shown]
	s_and_saveexec_b64 s[0:1], vcc
	s_cbranch_execz .LBB125_177
; %bb.176:                              ;   in Loop: Header=BB125_41 Depth=1
	v_cmp_gt_i32_e32 vcc, s33, v27
	s_nop 1
	v_cndmask_b32_e32 v6, 0, v6, vcc
	v_cmp_gt_i32_e32 vcc, s33, v33
	s_nop 1
	v_cndmask_b32_e32 v10, 0, v10, vcc
	;; [unrolled: 3-line block ×8, first 2 shown]
.LBB125_177:                            ;   in Loop: Header=BB125_41 Depth=1
	s_or_b64 exec, exec, s[0:1]
	v_lshlrev_b32_e32 v6, 16, v6
	v_mul_f32_e32 v27, v35, v6
	v_and_b32_e32 v6, 0x7f800000, v27
	v_cmp_ne_u32_e32 vcc, s11, v6
                                        ; implicit-def: $vgpr6
	s_and_saveexec_b64 s[0:1], vcc
	s_xor_b64 s[0:1], exec, s[0:1]
; %bb.178:                              ;   in Loop: Header=BB125_41 Depth=1
	v_bfe_u32 v6, v27, 16, 1
	v_add3_u32 v6, v27, v6, s14
                                        ; implicit-def: $vgpr27
; %bb.179:                              ;   in Loop: Header=BB125_41 Depth=1
	s_andn2_saveexec_b64 s[0:1], s[0:1]
; %bb.180:                              ;   in Loop: Header=BB125_41 Depth=1
	v_or_b32_e32 v6, 0x10000, v27
	v_cmp_eq_u32_sdwa vcc, v27, v15 src0_sel:WORD_0 src1_sel:DWORD
	s_nop 1
	v_cndmask_b32_e32 v6, v6, v27, vcc
; %bb.181:                              ;   in Loop: Header=BB125_41 Depth=1
	s_or_b64 exec, exec, s[0:1]
	v_lshlrev_b32_e32 v10, 16, v10
	v_mul_f32_e32 v27, v36, v10
	v_and_b32_e32 v10, 0x7f800000, v27
	v_cmp_ne_u32_e32 vcc, s11, v10
                                        ; implicit-def: $vgpr10
	s_and_saveexec_b64 s[0:1], vcc
	s_xor_b64 s[0:1], exec, s[0:1]
; %bb.182:                              ;   in Loop: Header=BB125_41 Depth=1
	v_bfe_u32 v10, v27, 16, 1
	v_add3_u32 v10, v27, v10, s14
                                        ; implicit-def: $vgpr27
; %bb.183:                              ;   in Loop: Header=BB125_41 Depth=1
	s_andn2_saveexec_b64 s[0:1], s[0:1]
; %bb.184:                              ;   in Loop: Header=BB125_41 Depth=1
	v_or_b32_e32 v10, 0x10000, v27
	v_cmp_eq_u32_sdwa vcc, v27, v15 src0_sel:WORD_0 src1_sel:DWORD
	s_nop 1
	v_cndmask_b32_e32 v10, v10, v27, vcc
; %bb.185:                              ;   in Loop: Header=BB125_41 Depth=1
	s_or_b64 exec, exec, s[0:1]
	v_lshlrev_b32_e32 v7, 16, v7
	v_mul_f32_e32 v27, v37, v7
	v_and_b32_e32 v7, 0x7f800000, v27
	v_cmp_ne_u32_e32 vcc, s11, v7
                                        ; implicit-def: $vgpr7
	s_and_saveexec_b64 s[0:1], vcc
	s_xor_b64 s[0:1], exec, s[0:1]
; %bb.186:                              ;   in Loop: Header=BB125_41 Depth=1
	v_bfe_u32 v7, v27, 16, 1
	v_add3_u32 v7, v27, v7, s14
                                        ; implicit-def: $vgpr27
; %bb.187:                              ;   in Loop: Header=BB125_41 Depth=1
	s_andn2_saveexec_b64 s[0:1], s[0:1]
; %bb.188:                              ;   in Loop: Header=BB125_41 Depth=1
	v_or_b32_e32 v7, 0x10000, v27
	v_cmp_eq_u32_sdwa vcc, v27, v15 src0_sel:WORD_0 src1_sel:DWORD
	s_nop 1
	v_cndmask_b32_e32 v7, v7, v27, vcc
; %bb.189:                              ;   in Loop: Header=BB125_41 Depth=1
	s_or_b64 exec, exec, s[0:1]
	v_lshlrev_b32_e32 v27, 16, v60
	v_mul_f32_e32 v28, v38, v27
	v_and_b32_e32 v27, 0x7f800000, v28
	v_cmp_ne_u32_e32 vcc, s11, v27
                                        ; implicit-def: $vgpr27
	s_and_saveexec_b64 s[0:1], vcc
	s_xor_b64 s[0:1], exec, s[0:1]
; %bb.190:                              ;   in Loop: Header=BB125_41 Depth=1
	v_bfe_u32 v27, v28, 16, 1
	v_add3_u32 v27, v28, v27, s14
                                        ; implicit-def: $vgpr28
; %bb.191:                              ;   in Loop: Header=BB125_41 Depth=1
	s_andn2_saveexec_b64 s[0:1], s[0:1]
; %bb.192:                              ;   in Loop: Header=BB125_41 Depth=1
	v_or_b32_e32 v27, 0x10000, v28
	v_cmp_eq_u32_sdwa vcc, v28, v15 src0_sel:WORD_0 src1_sel:DWORD
	s_nop 1
	v_cndmask_b32_e32 v27, v27, v28, vcc
; %bb.193:                              ;   in Loop: Header=BB125_41 Depth=1
	s_or_b64 exec, exec, s[0:1]
	v_lshlrev_b32_e32 v8, 16, v8
	v_mul_f32_e32 v28, v39, v8
	v_and_b32_e32 v8, 0x7f800000, v28
	v_cmp_ne_u32_e32 vcc, s11, v8
                                        ; implicit-def: $vgpr8
	s_and_saveexec_b64 s[0:1], vcc
	s_xor_b64 s[0:1], exec, s[0:1]
; %bb.194:                              ;   in Loop: Header=BB125_41 Depth=1
	v_bfe_u32 v8, v28, 16, 1
	v_add3_u32 v8, v28, v8, s14
                                        ; implicit-def: $vgpr28
; %bb.195:                              ;   in Loop: Header=BB125_41 Depth=1
	s_andn2_saveexec_b64 s[0:1], s[0:1]
; %bb.196:                              ;   in Loop: Header=BB125_41 Depth=1
	v_or_b32_e32 v8, 0x10000, v28
	v_cmp_eq_u32_sdwa vcc, v28, v15 src0_sel:WORD_0 src1_sel:DWORD
	s_nop 1
	v_cndmask_b32_e32 v8, v8, v28, vcc
; %bb.197:                              ;   in Loop: Header=BB125_41 Depth=1
	s_or_b64 exec, exec, s[0:1]
	v_lshlrev_b32_e32 v28, 16, v59
	v_mul_f32_e32 v29, v40, v28
	v_and_b32_e32 v28, 0x7f800000, v29
	v_cmp_ne_u32_e32 vcc, s11, v28
                                        ; implicit-def: $vgpr28
	s_and_saveexec_b64 s[0:1], vcc
	s_xor_b64 s[0:1], exec, s[0:1]
; %bb.198:                              ;   in Loop: Header=BB125_41 Depth=1
	v_bfe_u32 v28, v29, 16, 1
	v_add3_u32 v28, v29, v28, s14
                                        ; implicit-def: $vgpr29
; %bb.199:                              ;   in Loop: Header=BB125_41 Depth=1
	s_andn2_saveexec_b64 s[0:1], s[0:1]
; %bb.200:                              ;   in Loop: Header=BB125_41 Depth=1
	v_or_b32_e32 v28, 0x10000, v29
	v_cmp_eq_u32_sdwa vcc, v29, v15 src0_sel:WORD_0 src1_sel:DWORD
	s_nop 1
	v_cndmask_b32_e32 v28, v28, v29, vcc
; %bb.201:                              ;   in Loop: Header=BB125_41 Depth=1
	s_or_b64 exec, exec, s[0:1]
	v_lshlrev_b32_e32 v9, 16, v9
	v_mul_f32_e32 v29, v41, v9
	v_and_b32_e32 v9, 0x7f800000, v29
	v_cmp_ne_u32_e32 vcc, s11, v9
                                        ; implicit-def: $vgpr9
	s_and_saveexec_b64 s[0:1], vcc
	s_xor_b64 s[0:1], exec, s[0:1]
; %bb.202:                              ;   in Loop: Header=BB125_41 Depth=1
	v_bfe_u32 v9, v29, 16, 1
	v_add3_u32 v9, v29, v9, s14
                                        ; implicit-def: $vgpr29
; %bb.203:                              ;   in Loop: Header=BB125_41 Depth=1
	s_andn2_saveexec_b64 s[0:1], s[0:1]
; %bb.204:                              ;   in Loop: Header=BB125_41 Depth=1
	v_or_b32_e32 v9, 0x10000, v29
	v_cmp_eq_u32_sdwa vcc, v29, v15 src0_sel:WORD_0 src1_sel:DWORD
	s_nop 1
	v_cndmask_b32_e32 v9, v9, v29, vcc
; %bb.205:                              ;   in Loop: Header=BB125_41 Depth=1
	s_or_b64 exec, exec, s[0:1]
	v_lshlrev_b32_e32 v11, 16, v11
	v_mul_f32_e32 v29, v42, v11
	v_and_b32_e32 v11, 0x7f800000, v29
	v_cmp_ne_u32_e32 vcc, s11, v11
                                        ; implicit-def: $vgpr11
	s_and_saveexec_b64 s[0:1], vcc
	s_xor_b64 s[0:1], exec, s[0:1]
; %bb.206:                              ;   in Loop: Header=BB125_41 Depth=1
	v_bfe_u32 v11, v29, 16, 1
	v_add3_u32 v11, v29, v11, s14
                                        ; implicit-def: $vgpr29
; %bb.207:                              ;   in Loop: Header=BB125_41 Depth=1
	s_andn2_saveexec_b64 s[0:1], s[0:1]
	s_cbranch_execz .LBB125_40
; %bb.208:                              ;   in Loop: Header=BB125_41 Depth=1
	v_or_b32_e32 v11, 0x10000, v29
	v_cmp_eq_u32_sdwa vcc, v29, v15 src0_sel:WORD_0 src1_sel:DWORD
	s_nop 1
	v_cndmask_b32_e32 v11, v11, v29, vcc
	s_branch .LBB125_40
.LBB125_209:
	s_or_b64 exec, exec, s[6:7]
.LBB125_210:
	s_or_b64 exec, exec, s[2:3]
	v_and_b32_e32 v1, 0x3c0, v0
	v_cmp_eq_u32_e32 vcc, 64, v1
	s_barrier
	s_and_saveexec_b64 s[0:1], vcc
	s_cbranch_execz .LBB125_212
; %bb.211:
	v_lshlrev_b32_e32 v1, 2, v0
	v_mov_b32_e32 v7, 0x210
	v_or_b32_e32 v6, 0x300, v1
	v_lshl_add_u32 v7, v20, 2, v7
	v_add_u32_e32 v6, 0x210, v6
	v_add_u32_e32 v1, 0x210, v1
	ds_write_b32 v7, v2
	ds_write_b32 v1, v3
	ds_write_b32 v7, v4 offset:512
	ds_write_b32 v6, v5
.LBB125_212:
	s_or_b64 exec, exec, s[0:1]
	v_cmp_gt_u32_e32 vcc, 64, v0
	s_waitcnt lgkmcnt(0)
	s_barrier
	s_and_saveexec_b64 s[0:1], vcc
	s_cbranch_execz .LBB125_214
; %bb.213:
	v_mov_b32_e32 v1, 0x210
	v_lshl_add_u32 v1, v0, 2, v1
	ds_read2st64_b32 v[6:7], v1 offset0:2 offset1:3
	ds_read2st64_b32 v[8:9], v1 offset1:1
	s_waitcnt lgkmcnt(1)
	v_pk_add_f32 v[4:5], v[4:5], v[6:7]
	s_waitcnt lgkmcnt(0)
	v_pk_add_f32 v[2:3], v[2:3], v[8:9]
.LBB125_214:
	s_or_b64 exec, exec, s[0:1]
	s_barrier
	s_and_saveexec_b64 s[0:1], vcc
	s_cbranch_execz .LBB125_232
; %bb.215:
	s_mov_b32 s0, 0x7f800000
	v_and_b32_e32 v1, 0x7f800000, v2
	v_cmp_ne_u32_e32 vcc, s0, v1
                                        ; implicit-def: $vgpr6
	s_and_saveexec_b64 s[0:1], vcc
	s_xor_b64 s[0:1], exec, s[0:1]
; %bb.216:
	v_bfe_u32 v1, v2, 16, 1
	s_movk_i32 s2, 0x7fff
	v_add3_u32 v6, v2, v1, s2
; %bb.217:
	s_andn2_saveexec_b64 s[0:1], s[0:1]
; %bb.218:
	v_mov_b32_e32 v1, 0
	v_or_b32_e32 v6, 0x10000, v2
	v_cmp_eq_u32_sdwa vcc, v2, v1 src0_sel:WORD_0 src1_sel:DWORD
	s_nop 1
	v_cndmask_b32_e32 v6, v6, v2, vcc
; %bb.219:
	s_or_b64 exec, exec, s[0:1]
	s_mul_i32 s0, s16, s17
	s_mul_i32 s0, s0, s5
	s_lshl_b32 s0, s0, 8
	s_ashr_i32 s1, s0, 31
	s_lshl_b64 s[0:1], s[0:1], 1
	s_add_u32 s2, s18, s0
	s_mul_i32 s0, s17, s20
	s_addc_u32 s3, s19, s1
	s_ashr_i32 s1, s0, 31
	s_lshl_b64 s[0:1], s[0:1], 1
	s_add_u32 s2, s2, s0
	s_addc_u32 s3, s3, s1
	s_lshl_b32 s0, s4, 8
	s_ashr_i32 s1, s0, 31
	s_lshl_b64 s[0:1], s[0:1], 1
	s_add_u32 s0, s2, s0
	s_mov_b32 s2, 0x7f800000
	v_and_b32_e32 v2, 0x7f800000, v3
	s_addc_u32 s1, s3, s1
	v_lshlrev_b32_e32 v0, 1, v0
	v_mov_b32_e32 v1, 0
	v_cmp_ne_u32_e32 vcc, s2, v2
	global_store_short_d16_hi v0, v6, s[0:1]
                                        ; implicit-def: $vgpr2
	s_and_saveexec_b64 s[2:3], vcc
	s_xor_b64 s[2:3], exec, s[2:3]
; %bb.220:
	v_bfe_u32 v2, v3, 16, 1
	s_movk_i32 s4, 0x7fff
	v_add3_u32 v2, v3, v2, s4
; %bb.221:
	s_or_saveexec_b64 s[2:3], s[2:3]
	v_lshl_add_u64 v[0:1], s[0:1], 0, v[0:1]
	s_xor_b64 exec, exec, s[2:3]
; %bb.222:
	v_mov_b32_e32 v2, 0
	v_or_b32_e32 v6, 0x10000, v3
	v_cmp_eq_u32_sdwa vcc, v3, v2 src0_sel:WORD_0 src1_sel:DWORD
	s_nop 1
	v_cndmask_b32_e32 v2, v6, v3, vcc
; %bb.223:
	s_or_b64 exec, exec, s[2:3]
	global_store_short_d16_hi v[0:1], v2, off offset:128
	s_mov_b32 s0, 0x7f800000
	v_and_b32_e32 v2, 0x7f800000, v4
	v_cmp_ne_u32_e32 vcc, s0, v2
                                        ; implicit-def: $vgpr2
	s_and_saveexec_b64 s[0:1], vcc
	s_xor_b64 s[0:1], exec, s[0:1]
; %bb.224:
	v_bfe_u32 v2, v4, 16, 1
	s_movk_i32 s2, 0x7fff
	v_add3_u32 v2, v4, v2, s2
; %bb.225:
	s_andn2_saveexec_b64 s[0:1], s[0:1]
; %bb.226:
	v_mov_b32_e32 v2, 0
	v_or_b32_e32 v3, 0x10000, v4
	v_cmp_eq_u32_sdwa vcc, v4, v2 src0_sel:WORD_0 src1_sel:DWORD
	s_nop 1
	v_cndmask_b32_e32 v2, v3, v4, vcc
; %bb.227:
	s_or_b64 exec, exec, s[0:1]
	global_store_short_d16_hi v[0:1], v2, off offset:256
	s_mov_b32 s0, 0x7f800000
	v_and_b32_e32 v2, 0x7f800000, v5
	v_cmp_ne_u32_e32 vcc, s0, v2
                                        ; implicit-def: $vgpr6
	s_and_saveexec_b64 s[0:1], vcc
	s_xor_b64 s[0:1], exec, s[0:1]
; %bb.228:
	v_bfe_u32 v2, v5, 16, 1
	s_movk_i32 s2, 0x7fff
	v_add3_u32 v6, v5, v2, s2
                                        ; implicit-def: $vgpr2_vgpr3_vgpr4_vgpr5
; %bb.229:
	s_andn2_saveexec_b64 s[0:1], s[0:1]
; %bb.230:
	v_mov_b32_e32 v2, 0
	v_or_b32_e32 v3, 0x10000, v5
	v_cmp_eq_u32_sdwa vcc, v5, v2 src0_sel:WORD_0 src1_sel:DWORD
	s_nop 1
	v_cndmask_b32_e32 v6, v3, v5, vcc
; %bb.231:
	s_or_b64 exec, exec, s[0:1]
	global_store_short_d16_hi v[0:1], v6, off offset:384
.LBB125_232:
	s_endpgm
	.section	.rodata,"a",@progbits
	.p2align	6, 0x0
	.amdhsa_kernel _ZN4vllm25paged_attention_v1_kernelI14__hip_bfloat16S1_Li256ELi8ELi128ELNS_18Fp8KVCacheDataTypeE0ELb0EEEvPT_PKS3_PKT0_S9_ifPKiSB_iPKfiiiSD_SD_iiiii
		.amdhsa_group_segment_fixed_size 528
		.amdhsa_private_segment_fixed_size 0
		.amdhsa_kernarg_size 384
		.amdhsa_user_sgpr_count 2
		.amdhsa_user_sgpr_dispatch_ptr 0
		.amdhsa_user_sgpr_queue_ptr 0
		.amdhsa_user_sgpr_kernarg_segment_ptr 1
		.amdhsa_user_sgpr_dispatch_id 0
		.amdhsa_user_sgpr_kernarg_preload_length 0
		.amdhsa_user_sgpr_kernarg_preload_offset 0
		.amdhsa_user_sgpr_private_segment_size 0
		.amdhsa_uses_dynamic_stack 0
		.amdhsa_enable_private_segment 0
		.amdhsa_system_sgpr_workgroup_id_x 1
		.amdhsa_system_sgpr_workgroup_id_y 1
		.amdhsa_system_sgpr_workgroup_id_z 1
		.amdhsa_system_sgpr_workgroup_info 0
		.amdhsa_system_vgpr_workitem_id 0
		.amdhsa_next_free_vgpr 81
		.amdhsa_next_free_sgpr 38
		.amdhsa_accum_offset 84
		.amdhsa_reserve_vcc 1
		.amdhsa_float_round_mode_32 0
		.amdhsa_float_round_mode_16_64 0
		.amdhsa_float_denorm_mode_32 3
		.amdhsa_float_denorm_mode_16_64 3
		.amdhsa_dx10_clamp 1
		.amdhsa_ieee_mode 1
		.amdhsa_fp16_overflow 0
		.amdhsa_tg_split 0
		.amdhsa_exception_fp_ieee_invalid_op 0
		.amdhsa_exception_fp_denorm_src 0
		.amdhsa_exception_fp_ieee_div_zero 0
		.amdhsa_exception_fp_ieee_overflow 0
		.amdhsa_exception_fp_ieee_underflow 0
		.amdhsa_exception_fp_ieee_inexact 0
		.amdhsa_exception_int_div_zero 0
	.end_amdhsa_kernel
	.section	.text._ZN4vllm25paged_attention_v1_kernelI14__hip_bfloat16S1_Li256ELi8ELi128ELNS_18Fp8KVCacheDataTypeE0ELb0EEEvPT_PKS3_PKT0_S9_ifPKiSB_iPKfiiiSD_SD_iiiii,"axG",@progbits,_ZN4vllm25paged_attention_v1_kernelI14__hip_bfloat16S1_Li256ELi8ELi128ELNS_18Fp8KVCacheDataTypeE0ELb0EEEvPT_PKS3_PKT0_S9_ifPKiSB_iPKfiiiSD_SD_iiiii,comdat
.Lfunc_end125:
	.size	_ZN4vllm25paged_attention_v1_kernelI14__hip_bfloat16S1_Li256ELi8ELi128ELNS_18Fp8KVCacheDataTypeE0ELb0EEEvPT_PKS3_PKT0_S9_ifPKiSB_iPKfiiiSD_SD_iiiii, .Lfunc_end125-_ZN4vllm25paged_attention_v1_kernelI14__hip_bfloat16S1_Li256ELi8ELi128ELNS_18Fp8KVCacheDataTypeE0ELb0EEEvPT_PKS3_PKT0_S9_ifPKiSB_iPKfiiiSD_SD_iiiii
                                        ; -- End function
	.section	.AMDGPU.csdata,"",@progbits
; Kernel info:
; codeLenInByte = 8608
; NumSgprs: 44
; NumVgprs: 81
; NumAgprs: 0
; TotalNumVgprs: 81
; ScratchSize: 0
; MemoryBound: 0
; FloatMode: 240
; IeeeMode: 1
; LDSByteSize: 528 bytes/workgroup (compile time only)
; SGPRBlocks: 5
; VGPRBlocks: 10
; NumSGPRsForWavesPerEU: 44
; NumVGPRsForWavesPerEU: 81
; AccumOffset: 84
; Occupancy: 5
; WaveLimiterHint : 1
; COMPUTE_PGM_RSRC2:SCRATCH_EN: 0
; COMPUTE_PGM_RSRC2:USER_SGPR: 2
; COMPUTE_PGM_RSRC2:TRAP_HANDLER: 0
; COMPUTE_PGM_RSRC2:TGID_X_EN: 1
; COMPUTE_PGM_RSRC2:TGID_Y_EN: 1
; COMPUTE_PGM_RSRC2:TGID_Z_EN: 1
; COMPUTE_PGM_RSRC2:TIDIG_COMP_CNT: 0
; COMPUTE_PGM_RSRC3_GFX90A:ACCUM_OFFSET: 20
; COMPUTE_PGM_RSRC3_GFX90A:TG_SPLIT: 0
	.section	.text._ZN4vllm25paged_attention_v1_kernelI14__hip_bfloat16S1_Li32ELi16ELi128ELNS_18Fp8KVCacheDataTypeE0ELb1EEEvPT_PKS3_PKT0_S9_ifPKiSB_iPKfiiiSD_SD_iiiii,"axG",@progbits,_ZN4vllm25paged_attention_v1_kernelI14__hip_bfloat16S1_Li32ELi16ELi128ELNS_18Fp8KVCacheDataTypeE0ELb1EEEvPT_PKS3_PKT0_S9_ifPKiSB_iPKfiiiSD_SD_iiiii,comdat
	.protected	_ZN4vllm25paged_attention_v1_kernelI14__hip_bfloat16S1_Li32ELi16ELi128ELNS_18Fp8KVCacheDataTypeE0ELb1EEEvPT_PKS3_PKT0_S9_ifPKiSB_iPKfiiiSD_SD_iiiii ; -- Begin function _ZN4vllm25paged_attention_v1_kernelI14__hip_bfloat16S1_Li32ELi16ELi128ELNS_18Fp8KVCacheDataTypeE0ELb1EEEvPT_PKS3_PKT0_S9_ifPKiSB_iPKfiiiSD_SD_iiiii
	.globl	_ZN4vllm25paged_attention_v1_kernelI14__hip_bfloat16S1_Li32ELi16ELi128ELNS_18Fp8KVCacheDataTypeE0ELb1EEEvPT_PKS3_PKT0_S9_ifPKiSB_iPKfiiiSD_SD_iiiii
	.p2align	8
	.type	_ZN4vllm25paged_attention_v1_kernelI14__hip_bfloat16S1_Li32ELi16ELi128ELNS_18Fp8KVCacheDataTypeE0ELb1EEEvPT_PKS3_PKT0_S9_ifPKiSB_iPKfiiiSD_SD_iiiii,@function
_ZN4vllm25paged_attention_v1_kernelI14__hip_bfloat16S1_Li32ELi16ELi128ELNS_18Fp8KVCacheDataTypeE0ELb1EEEvPT_PKS3_PKT0_S9_ifPKiSB_iPKfiiiSD_SD_iiiii: ; @_ZN4vllm25paged_attention_v1_kernelI14__hip_bfloat16S1_Li32ELi16ELi128ELNS_18Fp8KVCacheDataTypeE0ELb1EEEvPT_PKS3_PKT0_S9_ifPKiSB_iPKfiiiSD_SD_iiiii
; %bb.0:
	s_load_dword s5, s[0:1], 0x80
	s_load_dwordx2 s[6:7], s[0:1], 0x30
	s_load_dwordx2 s[30:31], s[0:1], 0x20
	s_mov_b32 s10, s3
	s_ashr_i32 s11, s3, 31
	s_lshl_b64 s[8:9], s[10:11], 2
	s_waitcnt lgkmcnt(0)
	s_add_u32 s6, s6, s8
	s_addc_u32 s7, s7, s9
	s_abs_i32 s3, s30
	v_cvt_f32_u32_e32 v1, s3
	s_sub_i32 s11, 0, s3
	s_abs_i32 s9, s5
	s_xor_b32 s8, s5, s30
	v_rcp_iflag_f32_e32 v1, v1
	s_ashr_i32 s8, s8, 31
	s_mov_b32 s42, 0
	v_mul_f32_e32 v1, 0x4f7ffffe, v1
	v_cvt_u32_f32_e32 v1, v1
	s_nop 0
	v_readfirstlane_b32 s12, v1
	s_mul_i32 s11, s11, s12
	s_mul_hi_u32 s11, s12, s11
	s_add_i32 s12, s12, s11
	s_mul_hi_u32 s11, s9, s12
	s_mul_i32 s12, s11, s3
	s_sub_i32 s9, s9, s12
	s_add_i32 s12, s11, 1
	s_sub_i32 s13, s9, s3
	s_cmp_ge_u32 s9, s3
	s_cselect_b32 s11, s12, s11
	s_cselect_b32 s9, s13, s9
	s_add_i32 s12, s11, 1
	s_cmp_ge_u32 s9, s3
	s_cselect_b32 s3, s12, s11
	s_xor_b32 s3, s3, s8
	s_sub_i32 s16, s3, s8
	s_abs_i32 s22, s16
	v_cvt_f32_u32_e32 v1, s22
	s_load_dwordx2 s[8:9], s[0:1], 0x40
	s_sub_i32 s3, 0, s22
	s_abs_i32 s23, s2
	v_rcp_iflag_f32_e32 v1, v1
	s_nop 0
	v_mul_f32_e32 v1, 0x4f7ffffe, v1
	v_cvt_u32_f32_e32 v1, v1
	s_nop 0
	v_readfirstlane_b32 s11, v1
	s_mul_i32 s3, s3, s11
	s_mul_hi_u32 s3, s11, s3
	s_add_i32 s11, s11, s3
	s_waitcnt lgkmcnt(0)
	s_cmp_eq_u64 s[8:9], 0
	s_mul_hi_u32 s24, s23, s11
	s_cbranch_scc1 .LBB126_2
; %bb.1:
	s_ashr_i32 s3, s2, 31
	s_lshl_b64 s[12:13], s[2:3], 2
	s_add_u32 s8, s8, s12
	s_addc_u32 s9, s9, s13
	s_load_dword s42, s[8:9], 0x0
.LBB126_2:
	s_load_dword s11, s[6:7], 0x0
	s_load_dwordx4 s[12:15], s[0:1], 0x48
	s_ashr_i32 s8, s2, 31
	s_ashr_i32 s9, s16, 31
	v_and_b32_e32 v4, 3, v0
	s_lshl_b32 s20, s2, 5
	v_cmp_gt_u32_e32 vcc, 16, v0
	s_and_saveexec_b64 s[6:7], vcc
	s_cbranch_execz .LBB126_4
; %bb.3:
	s_load_dwordx2 s[16:17], s[0:1], 0x8
	s_waitcnt lgkmcnt(0)
	s_mul_i32 s18, s10, s12
	s_ashr_i32 s19, s18, 31
	s_lshl_b64 s[18:19], s[18:19], 1
	v_lshlrev_b32_e32 v1, 2, v0
	s_add_u32 s3, s16, s18
	s_addc_u32 s12, s17, s19
	s_ashr_i32 s21, s20, 31
	s_lshl_b64 s[16:17], s[20:21], 1
	s_add_u32 s16, s3, s16
	s_addc_u32 s17, s12, s17
	global_load_dword v1, v1, s[16:17]
	v_and_b32_e32 v2, 0x3fc, v0
	v_lshl_add_u32 v2, v4, 4, v2
	s_waitcnt vmcnt(0)
	ds_write_b32 v2, v1
.LBB126_4:
	s_or_b64 exec, exec, s[6:7]
	s_mul_i32 s7, s24, s22
	s_sub_i32 s7, s23, s7
	s_xor_b32 s6, s8, s9
	s_add_i32 s8, s24, 1
	s_sub_i32 s9, s7, s22
	s_load_dwordx4 s[16:19], s[0:1], 0x68
	s_load_dword s3, s[0:1], 0x78
	s_cmp_ge_u32 s7, s22
	s_cselect_b32 s8, s8, s24
	s_cselect_b32 s7, s9, s7
	s_add_i32 s9, s8, 1
	s_cmp_ge_u32 s7, s22
	s_cselect_b32 s7, s9, s8
	s_waitcnt lgkmcnt(0)
	s_abs_i32 s21, s19
	v_cvt_f32_u32_e32 v1, s21
	s_xor_b32 s7, s7, s6
	s_sub_i32 s8, s7, s6
	s_sub_i32 s6, 0, s21
	v_rcp_iflag_f32_e32 v1, v1
	s_add_i32 s12, s11, -1
	s_abs_i32 s9, s12
	v_mul_f32_e32 v1, 0x4f7ffffe, v1
	v_cvt_u32_f32_e32 v1, v1
	s_barrier
	v_readfirstlane_b32 s33, v1
	s_mul_i32 s6, s6, s33
	s_mul_hi_u32 s6, s33, s6
	s_add_i32 s33, s33, s6
	s_cmp_lt_i32 s3, 0
	s_mul_hi_u32 s15, s9, s33
	s_cbranch_scc0 .LBB126_6
; %bb.5:
	s_mul_i32 s6, s16, s30
	s_add_i32 s6, s8, s6
	s_mul_i32 s6, s6, s3
	s_sub_i32 s40, 1, s6
	s_mov_b64 s[6:7], 0
	s_branch .LBB126_7
.LBB126_6:
	s_mov_b64 s[6:7], -1
                                        ; implicit-def: $sgpr40
.LBB126_7:
	s_load_dwordx2 s[24:25], s[0:1], 0x28
	s_ashr_i32 s26, s12, 31
	s_andn2_b64 vcc, exec, s[6:7]
	s_ashr_i32 s19, s19, 31
	s_cbranch_vccnz .LBB126_9
; %bb.8:
	s_mul_i32 s6, s5, s16
	s_add_i32 s2, s6, s2
	s_mul_i32 s2, s2, s3
	s_add_i32 s40, s2, 1
.LBB126_9:
	s_load_dword s2, s[0:1], 0x38
	s_load_dwordx2 s[22:23], s[0:1], 0x0
	s_load_dwordx2 s[28:29], s[0:1], 0x18
	s_load_dword s12, s[0:1], 0x88
	s_xor_b32 s3, s26, s19
	s_waitcnt lgkmcnt(0)
	s_mul_i32 s26, s10, s2
	s_mul_i32 s2, s15, s21
	s_sub_i32 s2, s9, s2
	s_ashr_i32 s27, s26, 31
	s_add_i32 s6, s15, 1
	s_sub_i32 s7, s2, s21
	s_cmp_ge_u32 s2, s21
	s_cselect_b32 s6, s6, s15
	s_cselect_b32 s2, s7, s2
	s_add_i32 s7, s6, 1
	s_cmp_ge_u32 s2, s21
	s_cselect_b32 s2, s7, s6
	s_xor_b32 s2, s2, s3
	s_sub_i32 s41, s2, s3
	s_add_i32 s2, s11, 15
	s_ashr_i32 s3, s2, 31
	s_lshr_b32 s3, s3, 28
	s_add_i32 s2, s2, s3
	s_ashr_i32 s16, s2, 4
	v_lshrrev_b32_e32 v1, 6, v0
	v_cmp_gt_i32_e64 s[2:3], s16, v1
	v_mov_b32_e32 v10, 0xff7fffff
	s_mul_i32 s14, s8, s14
	v_lshrrev_b32_e32 v6, 4, v0
	v_lshlrev_b32_e32 v16, 4, v1
	v_mbcnt_lo_u32_b32 v7, -1, 0
	s_and_saveexec_b64 s[34:35], s[2:3]
	s_cbranch_execz .LBB126_19
; %bb.10:
	s_load_dwordx2 s[0:1], s[0:1], 0x10
	s_ashr_i32 s15, s14, 31
	s_sub_i32 s30, s41, s17
	s_lshl_b64 s[6:7], s[14:15], 1
	v_bfe_u32 v8, v0, 2, 4
	s_waitcnt lgkmcnt(0)
	s_add_u32 s0, s0, s6
	s_addc_u32 s1, s1, s7
	s_abs_i32 s15, s18
	v_cvt_f32_u32_e32 v5, s15
	v_lshlrev_b32_e32 v12, 4, v8
	v_mov_b32_e32 v13, 0
	v_lshlrev_b32_e32 v9, 2, v0
	v_rcp_iflag_f32_e32 v5, v5
	s_sub_i32 s6, 0, s15
	v_cmp_eq_u32_e32 vcc, 0, v4
	v_lshl_add_u64 v[2:3], s[0:1], 0, v[12:13]
	v_mul_f32_e32 v5, 0x4f7ffffe, v5
	v_cvt_u32_f32_e32 v5, v5
	v_and_b32_e32 v12, 12, v9
	v_lshlrev_b32_e32 v9, 4, v4
	v_lshlrev_b32_e32 v10, 2, v8
	v_mul_lo_u32 v4, s6, v5
	s_lshl_b64 s[6:7], s[26:27], 2
	s_add_u32 s6, s24, s6
	v_lshl_add_u64 v[2:3], v[2:3], 0, v[12:13]
	v_mul_hi_u32 v4, v5, v4
	v_and_b32_e32 v12, 60, v6
	s_addc_u32 s7, s25, s7
	v_lshl_or_b32 v10, v1, 6, v10
	v_add_u32_e32 v11, v5, v4
	v_lshl_add_u64 v[4:5], s[6:7], 0, v[12:13]
	v_add_u32_e32 v13, 0x50, v10
	v_subrev_u32_e32 v10, s11, v8
	v_mbcnt_hi_u32_b32 v17, -1, v7
	v_add_u32_e32 v14, 1, v10
	v_and_b32_e32 v10, 64, v17
	s_mov_b32 s43, s13
	v_cmp_neq_f32_e64 s[0:1], s42, 0
	v_lshlrev_b32_e32 v12, 4, v1
	s_mov_b64 s[36:37], 0
	v_mov_b32_e32 v15, 0xff7fffff
	v_add_u32_e32 v18, 64, v10
	v_xor_b32_e32 v19, 2, v17
	v_xor_b32_e32 v20, 1, v17
	v_mov_b32_e32 v10, 0xff7fffff
	v_mov_b32_e32 v21, v1
	s_branch .LBB126_13
.LBB126_11:                             ;   in Loop: Header=BB126_13 Depth=1
	s_or_b64 exec, exec, s[38:39]
.LBB126_12:                             ;   in Loop: Header=BB126_13 Depth=1
	s_or_b64 exec, exec, s[8:9]
	v_add_u32_e32 v21, 2, v21
	v_cmp_le_i32_e64 s[6:7], s16, v21
	v_lshl_add_u64 v[4:5], v[4:5], 0, 8
	v_add_u32_e32 v12, 32, v12
	s_or_b64 s[36:37], s[6:7], s[36:37]
	v_add_u32_e32 v13, 0x80, v13
	s_andn2_b64 exec, exec, s[36:37]
	s_cbranch_execz .LBB126_18
.LBB126_13:                             ; =>This Inner Loop Header: Depth=1
	v_mul_hi_u32 v22, v12, s33
	s_waitcnt lgkmcnt(0)
	v_mul_lo_u32 v23, v22, s21
	v_sub_u32_e32 v23, v12, v23
	v_add_u32_e32 v24, 1, v22
	v_cmp_le_u32_e64 s[6:7], s21, v23
	s_nop 1
	v_cndmask_b32_e64 v22, v22, v24, s[6:7]
	v_subrev_u32_e32 v24, s21, v23
	v_cndmask_b32_e64 v23, v23, v24, s[6:7]
	v_add_u32_e32 v24, 1, v22
	v_cmp_le_u32_e64 s[6:7], s21, v23
	s_nop 1
	v_cndmask_b32_e64 v22, v22, v24, s[6:7]
	v_xor_b32_e32 v22, s19, v22
	v_subrev_u32_e32 v22, s19, v22
	v_add_u32_e32 v23, s40, v22
	v_sub_u32_e32 v25, 0, v23
	v_ashrrev_i32_e32 v24, 31, v23
	v_max_i32_e32 v23, v23, v25
	v_mul_hi_u32 v25, v23, v11
	v_mul_lo_u32 v25, v25, s15
	v_sub_u32_e32 v23, v23, v25
	v_subrev_u32_e32 v25, s15, v23
	v_cmp_le_u32_e64 s[6:7], s15, v23
	v_cmp_ge_i32_e64 s[8:9], s30, v22
	s_nop 0
	v_cndmask_b32_e64 v23, v23, v25, s[6:7]
	v_subrev_u32_e32 v25, s15, v23
	v_cmp_le_u32_e64 s[6:7], s15, v23
	s_nop 1
	v_cndmask_b32_e64 v23, v23, v25, s[6:7]
	v_xor_b32_e32 v23, v23, v24
	v_sub_u32_e32 v23, v23, v24
	v_cmp_ne_u32_e64 s[6:7], 0, v23
	s_and_b64 s[6:7], s[6:7], s[8:9]
	s_and_b64 s[38:39], vcc, s[6:7]
	s_and_saveexec_b64 s[8:9], s[38:39]
	s_cbranch_execz .LBB126_15
; %bb.14:                               ;   in Loop: Header=BB126_13 Depth=1
	ds_write_b32 v13, v15
.LBB126_15:                             ;   in Loop: Header=BB126_13 Depth=1
	s_or_b64 exec, exec, s[8:9]
	s_xor_b64 s[6:7], s[6:7], -1
	s_and_saveexec_b64 s[8:9], s[6:7]
	s_cbranch_execz .LBB126_12
; %bb.16:                               ;   in Loop: Header=BB126_13 Depth=1
	global_load_dword v22, v[4:5], off
	s_waitcnt vmcnt(0)
	v_mad_i64_i32 v[22:23], s[6:7], v22, s43, 0
	v_lshl_add_u64 v[22:23], v[22:23], 1, v[2:3]
	global_load_dword v26, v[22:23], off
	global_load_dword v27, v[22:23], off offset:256
	global_load_dword v28, v[22:23], off offset:512
	global_load_dword v29, v[22:23], off offset:768
	ds_read_b128 v[22:25], v9
	v_cmp_lt_i32_e64 s[6:7], v19, v18
	s_waitcnt lgkmcnt(0)
	v_lshlrev_b32_e32 v32, 16, v23
	v_and_b32_e32 v23, 0xffff0000, v23
	v_lshlrev_b32_e32 v31, 16, v22
	v_and_b32_e32 v22, 0xffff0000, v22
	;; [unrolled: 2-line block ×4, first 2 shown]
	v_cndmask_b32_e64 v30, v17, v19, s[6:7]
	v_lshlrev_b32_e32 v30, 2, v30
	v_cmp_lt_i32_e64 s[6:7], v20, v18
	s_waitcnt vmcnt(3)
	v_lshlrev_b32_e32 v35, 16, v26
	s_waitcnt vmcnt(2)
	v_lshlrev_b32_e32 v36, 16, v27
	v_and_b32_e32 v27, 0xffff0000, v27
	v_and_b32_e32 v26, 0xffff0000, v26
	v_mul_f32_e32 v32, v32, v36
	v_mul_f32_e32 v23, v23, v27
	s_waitcnt vmcnt(1)
	v_lshlrev_b32_e32 v37, 16, v28
	v_and_b32_e32 v28, 0xffff0000, v28
	v_fmac_f32_e32 v32, v31, v35
	v_fmac_f32_e32 v23, v22, v26
	s_waitcnt vmcnt(0)
	v_lshlrev_b32_e32 v38, 16, v29
	v_and_b32_e32 v29, 0xffff0000, v29
	v_fmac_f32_e32 v32, v33, v37
	v_fmac_f32_e32 v23, v24, v28
	;; [unrolled: 1-line block ×4, first 2 shown]
	v_add_f32_e32 v22, v32, v23
	ds_bpermute_b32 v23, v30, v22
	v_cndmask_b32_e64 v24, v17, v20, s[6:7]
	v_lshlrev_b32_e32 v24, 2, v24
	s_waitcnt lgkmcnt(0)
	v_add_f32_e32 v22, v22, v23
	ds_bpermute_b32 v23, v24, v22
	s_and_saveexec_b64 s[38:39], vcc
	s_cbranch_execz .LBB126_11
; %bb.17:                               ;   in Loop: Header=BB126_13 Depth=1
	v_add_u32_e32 v24, v14, v12
	v_cvt_f32_i32_e32 v24, v24
	s_waitcnt lgkmcnt(0)
	v_add_f32_e32 v22, v22, v23
	v_add_u32_e32 v25, v8, v12
	v_cmp_gt_i32_e64 s[6:7], s11, v25
	v_mul_f32_e32 v23, s42, v24
	v_cndmask_b32_e64 v23, 0, v23, s[0:1]
	v_fmac_f32_e32 v23, s31, v22
	v_cndmask_b32_e64 v22, 0, v23, s[6:7]
	ds_write_b32 v13, v22
	v_max_f32_e32 v22, v10, v10
	v_max_f32_e32 v22, v22, v23
	v_cndmask_b32_e64 v10, v10, v22, s[6:7]
	s_branch .LBB126_11
.LBB126_18:
	s_or_b64 exec, exec, s[36:37]
.LBB126_19:
	s_or_b64 exec, exec, s[34:35]
	v_mbcnt_hi_u32_b32 v2, -1, v7
	v_and_b32_e32 v3, 64, v2
	v_add_u32_e32 v3, 64, v3
	v_xor_b32_e32 v4, 32, v2
	v_cmp_lt_i32_e32 vcc, v4, v3
	v_xor_b32_e32 v8, 16, v2
	v_max_f32_e32 v7, v10, v10
	v_cndmask_b32_e32 v4, v2, v4, vcc
	v_lshlrev_b32_e32 v4, 2, v4
	ds_bpermute_b32 v5, v4, v10
	v_cmp_lt_i32_e32 vcc, v8, v3
	v_xor_b32_e32 v9, 8, v2
	v_xor_b32_e32 v10, 4, v2
	v_and_b32_e32 v17, 63, v0
	s_waitcnt lgkmcnt(0)
	v_max_f32_e32 v5, v5, v5
	v_max_f32_e32 v7, v7, v5
	v_cndmask_b32_e32 v5, v2, v8, vcc
	v_lshlrev_b32_e32 v5, 2, v5
	ds_bpermute_b32 v8, v5, v7
	v_cmp_lt_i32_e32 vcc, v9, v3
	s_waitcnt lgkmcnt(0)
	v_max_f32_e32 v8, v8, v8
	v_max_f32_e32 v7, v7, v8
	v_cndmask_b32_e32 v8, v2, v9, vcc
	v_lshlrev_b32_e32 v9, 2, v8
	ds_bpermute_b32 v8, v9, v7
	v_cmp_lt_i32_e32 vcc, v10, v3
	s_waitcnt lgkmcnt(0)
	v_max_f32_e32 v8, v8, v8
	v_max_f32_e32 v8, v7, v8
	v_cndmask_b32_e32 v7, v2, v10, vcc
	v_lshlrev_b32_e32 v10, 2, v7
	ds_bpermute_b32 v11, v10, v8
	v_cmp_eq_u32_e32 vcc, 0, v17
	v_lshlrev_b32_e32 v7, 2, v1
	s_and_saveexec_b64 s[0:1], vcc
	s_cbranch_execz .LBB126_21
; %bb.20:
	s_waitcnt lgkmcnt(0)
	v_max_f32_e32 v11, v11, v11
	v_max_f32_e32 v8, v8, v8
	;; [unrolled: 1-line block ×3, first 2 shown]
	ds_write_b32 v7, v8 offset:64
.LBB126_21:
	s_or_b64 exec, exec, s[0:1]
	v_cmp_gt_u32_e64 s[0:1], 2, v17
	s_waitcnt lgkmcnt(0)
	v_mov_b32_e32 v11, 0xff7fffff
	v_lshlrev_b32_e32 v8, 2, v17
	s_barrier
	s_and_saveexec_b64 s[6:7], s[0:1]
	s_cbranch_execz .LBB126_23
; %bb.22:
	ds_read_b32 v11, v8 offset:64
.LBB126_23:
	s_or_b64 exec, exec, s[6:7]
	v_xor_b32_e32 v12, 1, v2
	v_cmp_lt_i32_e64 s[6:7], v12, v3
	v_lshlrev_b32_e32 v13, 2, v2
	s_nop 0
	v_cndmask_b32_e64 v12, v2, v12, s[6:7]
	v_lshlrev_b32_e32 v18, 2, v12
	s_waitcnt lgkmcnt(0)
	ds_bpermute_b32 v12, v18, v11
	v_max_f32_e32 v11, v11, v11
	s_lshl_b32 s6, s16, 4
	s_min_i32 s15, s6, s11
	v_cmp_gt_i32_e64 s[6:7], s15, v0
	s_waitcnt lgkmcnt(0)
	v_max_f32_e32 v12, v12, v12
	v_max_f32_e32 v12, v11, v12
	v_and_b32_e32 v11, 0x100, v13
	ds_bpermute_b32 v13, v11, v12
	v_mov_b32_e32 v12, 0
	s_and_saveexec_b64 s[30:31], s[6:7]
	s_cbranch_execz .LBB126_27
; %bb.24:
	v_mov_b32_e32 v12, 0x50
	v_lshl_add_u32 v14, v0, 2, v12
	s_mov_b64 s[34:35], 0
	v_mov_b32_e32 v12, 0
	v_mov_b32_e32 v15, v0
.LBB126_25:                             ; =>This Inner Loop Header: Depth=1
	ds_read_b32 v19, v14
	v_add_u32_e32 v15, 0x80, v15
	v_cmp_le_i32_e64 s[8:9], s15, v15
	s_or_b64 s[34:35], s[8:9], s[34:35]
	s_waitcnt lgkmcnt(0)
	v_sub_f32_e32 v19, v19, v13
	v_mul_f32_e32 v19, 0x3fb8aa3b, v19
	v_exp_f32_e32 v19, v19
	ds_write_b32 v14, v19
	v_add_f32_e32 v12, v12, v19
	v_add_u32_e32 v14, 0x200, v14
	s_andn2_b64 exec, exec, s[34:35]
	s_cbranch_execnz .LBB126_25
; %bb.26:
	s_or_b64 exec, exec, s[34:35]
.LBB126_27:
	s_or_b64 exec, exec, s[30:31]
	ds_bpermute_b32 v4, v4, v12
	s_waitcnt lgkmcnt(0)
	v_add_f32_e32 v4, v12, v4
	ds_bpermute_b32 v5, v5, v4
	s_waitcnt lgkmcnt(0)
	v_add_f32_e32 v4, v4, v5
	ds_bpermute_b32 v5, v9, v4
	v_xor_b32_e32 v9, 2, v2
	v_cmp_lt_i32_e64 s[8:9], v9, v3
	s_waitcnt lgkmcnt(0)
	v_add_f32_e32 v4, v4, v5
	ds_bpermute_b32 v5, v10, v4
	v_cndmask_b32_e64 v2, v2, v9, s[8:9]
	v_lshlrev_b32_e32 v2, 2, v2
	s_waitcnt lgkmcnt(0)
	v_add_f32_e32 v3, v4, v5
	ds_bpermute_b32 v2, v2, v3
	s_waitcnt lgkmcnt(0)
	v_add_f32_e32 v2, v3, v2
	ds_bpermute_b32 v3, v18, v2
	s_waitcnt lgkmcnt(0)
	v_add_f32_e32 v2, v2, v3
	s_and_saveexec_b64 s[8:9], vcc
	s_cbranch_execz .LBB126_29
; %bb.28:
	ds_write_b32 v7, v2 offset:72
.LBB126_29:
	s_or_b64 exec, exec, s[8:9]
	s_waitcnt lgkmcnt(0)
	s_barrier
	s_and_saveexec_b64 s[8:9], s[0:1]
	s_cbranch_execz .LBB126_31
; %bb.30:
	ds_read_b32 v2, v8 offset:72
.LBB126_31:
	s_or_b64 exec, exec, s[8:9]
	s_waitcnt lgkmcnt(0)
	ds_bpermute_b32 v3, v18, v2
	s_waitcnt lgkmcnt(0)
	v_add_f32_e32 v2, v2, v3
	ds_bpermute_b32 v2, v11, v2
	s_and_saveexec_b64 s[0:1], s[6:7]
	s_cbranch_execz .LBB126_44
; %bb.32:
	s_waitcnt lgkmcnt(0)
	v_add_f32_e32 v2, 0x358637bd, v2
	v_div_scale_f32 v3, s[6:7], v2, v2, 1.0
	v_rcp_f32_e32 v4, v3
	v_div_scale_f32 v5, vcc, 1.0, v2, 1.0
	s_movk_i32 s6, 0x7f
	v_fma_f32 v7, -v3, v4, 1.0
	v_fmac_f32_e32 v4, v7, v4
	v_mul_f32_e32 v7, v5, v4
	v_fma_f32 v8, -v3, v7, v5
	v_fmac_f32_e32 v7, v8, v4
	v_fma_f32 v3, -v3, v7, v5
	v_div_fmas_f32 v3, v3, v4, v7
	v_xad_u32 v4, v0, -1, s15
	v_div_fixup_f32 v2, v3, v2, 1.0
	v_cmp_lt_u32_e32 vcc, s6, v4
	s_mov_b64 s[8:9], -1
	v_mov_b32_e32 v3, v0
	s_and_saveexec_b64 s[6:7], vcc
	s_cbranch_execz .LBB126_41
; %bb.33:
	v_lshrrev_b32_e32 v4, 7, v4
	v_add_u32_e32 v7, -1, v4
	v_lshrrev_b32_e32 v5, 1, v7
	v_mov_b32_e32 v3, v2
	v_add_u32_e32 v5, 1, v5
	v_cmp_lt_u32_e32 vcc, 13, v7
	v_mov_b32_e32 v9, 0
	s_and_saveexec_b64 s[8:9], vcc
	s_cbranch_execz .LBB126_37
; %bb.34:
	v_mov_b32_e32 v8, 0x50
	v_and_b32_e32 v7, -8, v5
	v_lshl_add_u32 v8, v0, 2, v8
	s_mov_b32 s34, 0
	s_mov_b64 s[30:31], 0
.LBB126_35:                             ; =>This Inner Loop Header: Depth=1
	ds_read2st64_b32 v[10:11], v8 offset1:2
	ds_read2st64_b32 v[12:13], v8 offset0:4 offset1:6
	ds_read2st64_b32 v[14:15], v8 offset0:8 offset1:10
	;; [unrolled: 1-line block ×3, first 2 shown]
	v_add_u32_e32 v7, -8, v7
	s_waitcnt lgkmcnt(3)
	v_pk_mul_f32 v[10:11], v[2:3], v[10:11]
	s_waitcnt lgkmcnt(2)
	v_pk_mul_f32 v[12:13], v[2:3], v[12:13]
	ds_write2st64_b32 v8, v10, v11 offset1:2
	ds_write2st64_b32 v8, v12, v13 offset0:4 offset1:6
	ds_read2st64_b32 v[12:13], v8 offset0:16 offset1:18
	s_waitcnt lgkmcnt(4)
	v_pk_mul_f32 v[10:11], v[2:3], v[14:15]
	ds_write2st64_b32 v8, v10, v11 offset0:8 offset1:10
	s_waitcnt lgkmcnt(4)
	v_pk_mul_f32 v[10:11], v[2:3], v[20:21]
	ds_write2st64_b32 v8, v10, v11 offset0:12 offset1:14
	ds_read2st64_b32 v[10:11], v8 offset0:20 offset1:22
	s_waitcnt lgkmcnt(3)
	v_pk_mul_f32 v[12:13], v[2:3], v[12:13]
	ds_read2st64_b32 v[14:15], v8 offset0:24 offset1:26
	ds_write2st64_b32 v8, v12, v13 offset0:16 offset1:18
	ds_read2st64_b32 v[12:13], v8 offset0:28 offset1:30
	s_waitcnt lgkmcnt(3)
	v_pk_mul_f32 v[10:11], v[2:3], v[10:11]
	ds_write2st64_b32 v8, v10, v11 offset0:20 offset1:22
	s_waitcnt lgkmcnt(3)
	v_pk_mul_f32 v[10:11], v[2:3], v[14:15]
	ds_write2st64_b32 v8, v10, v11 offset0:24 offset1:26
	s_waitcnt lgkmcnt(2)
	v_pk_mul_f32 v[10:11], v[2:3], v[12:13]
	s_add_i32 s34, s34, 16
	v_cmp_eq_u32_e32 vcc, 0, v7
	ds_write2st64_b32 v8, v10, v11 offset0:28 offset1:30
	v_add_u32_e32 v8, 0x2000, v8
	s_or_b64 s[30:31], vcc, s[30:31]
	v_mov_b32_e32 v9, s34
	s_andn2_b64 exec, exec, s[30:31]
	s_cbranch_execnz .LBB126_35
; %bb.36:
	s_or_b64 exec, exec, s[30:31]
.LBB126_37:
	s_or_b64 exec, exec, s[8:9]
	v_and_b32_e32 v5, 7, v5
	v_cmp_ne_u32_e32 vcc, 0, v5
	s_and_saveexec_b64 s[8:9], vcc
	s_cbranch_execz .LBB126_40
; %bb.38:
	v_lshlrev_b32_e32 v7, 9, v9
	v_lshlrev_b32_e32 v8, 2, v0
	s_movk_i32 s30, 0x50
	v_add3_u32 v7, v7, v8, s30
	s_mov_b64 s[30:31], 0
.LBB126_39:                             ; =>This Inner Loop Header: Depth=1
	ds_read2st64_b32 v[8:9], v7 offset1:2
	v_add_u32_e32 v5, -1, v5
	v_cmp_eq_u32_e32 vcc, 0, v5
	s_or_b64 s[30:31], vcc, s[30:31]
	s_waitcnt lgkmcnt(0)
	v_pk_mul_f32 v[8:9], v[2:3], v[8:9]
	ds_write2st64_b32 v7, v8, v9 offset1:2
	v_add_u32_e32 v7, 0x400, v7
	s_andn2_b64 exec, exec, s[30:31]
	s_cbranch_execnz .LBB126_39
.LBB126_40:
	s_or_b64 exec, exec, s[8:9]
	v_add_u32_e32 v4, 1, v4
	v_and_b32_e32 v5, 0x3fffffe, v4
	v_cmp_ne_u32_e32 vcc, v4, v5
	v_lshl_add_u32 v3, v5, 7, v0
	s_orn2_b64 s[8:9], vcc, exec
.LBB126_41:
	s_or_b64 exec, exec, s[6:7]
	s_and_b64 exec, exec, s[8:9]
	s_cbranch_execz .LBB126_44
; %bb.42:
	v_mov_b32_e32 v4, 0x50
	v_lshl_add_u32 v4, v3, 2, v4
	s_mov_b64 s[6:7], 0
.LBB126_43:                             ; =>This Inner Loop Header: Depth=1
	ds_read_b32 v5, v4
	v_add_u32_e32 v3, 0x80, v3
	v_cmp_le_i32_e32 vcc, s15, v3
	s_or_b64 s[6:7], vcc, s[6:7]
	s_waitcnt lgkmcnt(0)
	v_mul_f32_e32 v5, v2, v5
	ds_write_b32 v4, v5
	v_add_u32_e32 v4, 0x200, v4
	s_andn2_b64 exec, exec, s[6:7]
	s_cbranch_execnz .LBB126_43
.LBB126_44:
	s_or_b64 exec, exec, s[0:1]
	v_mov_b32_e32 v10, 0
	s_waitcnt lgkmcnt(0)
	s_barrier
	s_and_saveexec_b64 s[6:7], s[2:3]
	s_cbranch_execz .LBB126_116
; %bb.45:
	s_ashr_i32 s15, s14, 31
	s_sub_i32 s17, s41, s17
	s_lshl_b64 s[0:1], s[14:15], 1
	s_add_u32 s0, s28, s0
	s_addc_u32 s1, s29, s1
	s_abs_i32 s14, s18
	v_cvt_f32_u32_e32 v2, s14
	v_lshlrev_b32_e32 v3, 3, v0
	v_and_b32_e32 v19, 8, v3
	v_lshlrev_b32_e32 v3, 4, v0
	v_rcp_iflag_f32_e32 v2, v2
	v_and_b32_e32 v10, 0x3f0, v3
	v_mov_b32_e32 v11, 0
	v_lshl_add_u64 v[12:13], s[0:1], 0, v[10:11]
	v_mul_f32_e32 v2, 0x4f7ffffe, v2
	v_cvt_u32_f32_e32 v2, v2
	s_sub_i32 s0, 0, s14
	s_add_i32 s15, s16, -1
	v_and_b32_e32 v10, 60, v6
	v_mul_lo_u32 v3, s0, v2
	v_mul_hi_u32 v3, v2, v3
	v_add_u32_e32 v20, v2, v3
	s_lshl_b64 s[0:1], s[26:27], 2
	v_and_b32_e32 v2, 1, v0
	s_add_u32 s0, s24, s0
	v_lshlrev_b32_e32 v2, 5, v2
	s_addc_u32 s1, s25, s1
	v_lshl_or_b32 v2, v1, 6, v2
	v_lshl_add_u64 v[14:15], s[0:1], 0, v[10:11]
	v_add_u32_e32 v21, 0x50, v2
	s_mov_b64 s[2:3], 0
	s_mov_b32 s18, 0x7f800000
	s_movk_i32 s24, 0x7fff
	v_mov_b32_e32 v10, 0
	s_branch .LBB126_48
.LBB126_46:                             ;   in Loop: Header=BB126_48 Depth=1
	s_or_b64 exec, exec, s[8:9]
	v_and_b32_e32 v6, 0xffff0000, v8
	v_and_b32_e32 v9, 0xffff0000, v22
	;; [unrolled: 1-line block ×8, first 2 shown]
	v_pk_add_f32 v[2:3], v[2:3], v[8:9]
	v_pk_add_f32 v[4:5], v[4:5], v[6:7]
	v_add_f32_e32 v2, v2, v3
	v_add_f32_e32 v2, v2, v4
	;; [unrolled: 1-line block ×4, first 2 shown]
.LBB126_47:                             ;   in Loop: Header=BB126_48 Depth=1
	s_or_b64 exec, exec, s[0:1]
	v_add_u32_e32 v1, 2, v1
	v_cmp_le_i32_e32 vcc, s16, v1
	v_lshl_add_u64 v[14:15], v[14:15], 0, 8
	v_add_u32_e32 v16, 32, v16
	s_or_b64 s[2:3], vcc, s[2:3]
	v_add_u32_e32 v21, 0x80, v21
	s_andn2_b64 exec, exec, s[2:3]
	s_cbranch_execz .LBB126_115
.LBB126_48:                             ; =>This Inner Loop Header: Depth=1
	v_mul_hi_u32 v2, v16, s33
	v_mul_lo_u32 v3, v2, s21
	v_sub_u32_e32 v3, v16, v3
	v_add_u32_e32 v4, 1, v2
	v_cmp_le_u32_e32 vcc, s21, v3
	s_nop 1
	v_cndmask_b32_e32 v2, v2, v4, vcc
	v_subrev_u32_e32 v4, s21, v3
	v_cndmask_b32_e32 v3, v3, v4, vcc
	v_add_u32_e32 v4, 1, v2
	v_cmp_le_u32_e32 vcc, s21, v3
	s_nop 1
	v_cndmask_b32_e32 v2, v2, v4, vcc
	v_xor_b32_e32 v2, s19, v2
	v_subrev_u32_e32 v2, s19, v2
	v_add_u32_e32 v3, s40, v2
	v_sub_u32_e32 v5, 0, v3
	v_ashrrev_i32_e32 v4, 31, v3
	v_max_i32_e32 v3, v3, v5
	v_mul_hi_u32 v5, v3, v20
	v_mul_lo_u32 v5, v5, s14
	v_sub_u32_e32 v3, v3, v5
	v_subrev_u32_e32 v5, s14, v3
	v_cmp_le_u32_e32 vcc, s14, v3
	v_cmp_lt_i32_e64 s[0:1], s17, v2
	s_nop 0
	v_cndmask_b32_e32 v3, v3, v5, vcc
	v_subrev_u32_e32 v5, s14, v3
	v_cmp_le_u32_e32 vcc, s14, v3
	s_nop 1
	v_cndmask_b32_e32 v3, v3, v5, vcc
	v_xor_b32_e32 v3, v3, v4
	v_sub_u32_e32 v3, v3, v4
	v_cmp_eq_u32_e32 vcc, 0, v3
	s_or_b64 s[8:9], vcc, s[0:1]
	s_and_saveexec_b64 s[0:1], s[8:9]
	s_cbranch_execz .LBB126_47
; %bb.49:                               ;   in Loop: Header=BB126_48 Depth=1
	global_load_dword v26, v[14:15], off
	ds_read2_b64 v[6:9], v21 offset1:1
	ds_read2_b64 v[2:5], v21 offset0:2 offset1:3
                                        ; implicit-def: $vgpr25
	s_waitcnt lgkmcnt(1)
	v_and_b32_e32 v22, 0x7f800000, v6
	v_cmp_ne_u32_e32 vcc, s18, v22
	s_and_saveexec_b64 s[8:9], vcc
	s_xor_b64 s[8:9], exec, s[8:9]
; %bb.50:                               ;   in Loop: Header=BB126_48 Depth=1
	v_bfe_u32 v22, v6, 16, 1
	v_add3_u32 v25, v6, v22, s24
; %bb.51:                               ;   in Loop: Header=BB126_48 Depth=1
	s_andn2_saveexec_b64 s[8:9], s[8:9]
; %bb.52:                               ;   in Loop: Header=BB126_48 Depth=1
	v_or_b32_e32 v22, 0x10000, v6
	v_cmp_eq_u32_sdwa vcc, v6, v11 src0_sel:WORD_0 src1_sel:DWORD
	s_nop 1
	v_cndmask_b32_e32 v25, v22, v6, vcc
; %bb.53:                               ;   in Loop: Header=BB126_48 Depth=1
	s_or_b64 exec, exec, s[8:9]
	v_and_b32_e32 v6, 0x7f800000, v7
	v_cmp_ne_u32_e32 vcc, s18, v6
                                        ; implicit-def: $vgpr24
	s_and_saveexec_b64 s[8:9], vcc
	s_xor_b64 s[8:9], exec, s[8:9]
; %bb.54:                               ;   in Loop: Header=BB126_48 Depth=1
	v_bfe_u32 v6, v7, 16, 1
	v_add3_u32 v24, v7, v6, s24
; %bb.55:                               ;   in Loop: Header=BB126_48 Depth=1
	s_andn2_saveexec_b64 s[8:9], s[8:9]
; %bb.56:                               ;   in Loop: Header=BB126_48 Depth=1
	v_or_b32_e32 v6, 0x10000, v7
	v_cmp_eq_u32_sdwa vcc, v7, v11 src0_sel:WORD_0 src1_sel:DWORD
	s_nop 1
	v_cndmask_b32_e32 v24, v6, v7, vcc
; %bb.57:                               ;   in Loop: Header=BB126_48 Depth=1
	s_or_b64 exec, exec, s[8:9]
	v_and_b32_e32 v6, 0x7f800000, v8
	v_cmp_ne_u32_e32 vcc, s18, v6
                                        ; implicit-def: $vgpr23
	s_and_saveexec_b64 s[8:9], vcc
	s_xor_b64 s[8:9], exec, s[8:9]
; %bb.58:                               ;   in Loop: Header=BB126_48 Depth=1
	v_bfe_u32 v6, v8, 16, 1
	v_add3_u32 v23, v8, v6, s24
; %bb.59:                               ;   in Loop: Header=BB126_48 Depth=1
	s_andn2_saveexec_b64 s[8:9], s[8:9]
; %bb.60:                               ;   in Loop: Header=BB126_48 Depth=1
	v_or_b32_e32 v6, 0x10000, v8
	v_cmp_eq_u32_sdwa vcc, v8, v11 src0_sel:WORD_0 src1_sel:DWORD
	s_nop 1
	v_cndmask_b32_e32 v23, v6, v8, vcc
; %bb.61:                               ;   in Loop: Header=BB126_48 Depth=1
	s_or_b64 exec, exec, s[8:9]
	v_and_b32_e32 v6, 0x7f800000, v9
	v_cmp_ne_u32_e32 vcc, s18, v6
                                        ; implicit-def: $vgpr22
	s_and_saveexec_b64 s[8:9], vcc
	s_xor_b64 s[8:9], exec, s[8:9]
; %bb.62:                               ;   in Loop: Header=BB126_48 Depth=1
	v_bfe_u32 v6, v9, 16, 1
	v_add3_u32 v22, v9, v6, s24
                                        ; implicit-def: $vgpr6_vgpr7_vgpr8_vgpr9
; %bb.63:                               ;   in Loop: Header=BB126_48 Depth=1
	s_andn2_saveexec_b64 s[8:9], s[8:9]
; %bb.64:                               ;   in Loop: Header=BB126_48 Depth=1
	v_or_b32_e32 v6, 0x10000, v9
	v_cmp_eq_u32_sdwa vcc, v9, v11 src0_sel:WORD_0 src1_sel:DWORD
	s_nop 1
	v_cndmask_b32_e32 v22, v6, v9, vcc
; %bb.65:                               ;   in Loop: Header=BB126_48 Depth=1
	s_or_b64 exec, exec, s[8:9]
	s_waitcnt lgkmcnt(0)
	v_and_b32_e32 v6, 0x7f800000, v2
	v_cmp_ne_u32_e32 vcc, s18, v6
                                        ; implicit-def: $vgpr9
	s_and_saveexec_b64 s[8:9], vcc
	s_xor_b64 s[8:9], exec, s[8:9]
; %bb.66:                               ;   in Loop: Header=BB126_48 Depth=1
	v_bfe_u32 v6, v2, 16, 1
	v_add3_u32 v9, v2, v6, s24
; %bb.67:                               ;   in Loop: Header=BB126_48 Depth=1
	s_andn2_saveexec_b64 s[8:9], s[8:9]
; %bb.68:                               ;   in Loop: Header=BB126_48 Depth=1
	v_or_b32_e32 v6, 0x10000, v2
	v_cmp_eq_u32_sdwa vcc, v2, v11 src0_sel:WORD_0 src1_sel:DWORD
	s_nop 1
	v_cndmask_b32_e32 v9, v6, v2, vcc
; %bb.69:                               ;   in Loop: Header=BB126_48 Depth=1
	s_or_b64 exec, exec, s[8:9]
	v_and_b32_e32 v2, 0x7f800000, v3
	v_cmp_ne_u32_e32 vcc, s18, v2
                                        ; implicit-def: $vgpr8
	s_and_saveexec_b64 s[8:9], vcc
	s_xor_b64 s[8:9], exec, s[8:9]
; %bb.70:                               ;   in Loop: Header=BB126_48 Depth=1
	v_bfe_u32 v2, v3, 16, 1
	v_add3_u32 v8, v3, v2, s24
; %bb.71:                               ;   in Loop: Header=BB126_48 Depth=1
	s_andn2_saveexec_b64 s[8:9], s[8:9]
; %bb.72:                               ;   in Loop: Header=BB126_48 Depth=1
	v_or_b32_e32 v2, 0x10000, v3
	v_cmp_eq_u32_sdwa vcc, v3, v11 src0_sel:WORD_0 src1_sel:DWORD
	s_nop 1
	v_cndmask_b32_e32 v8, v2, v3, vcc
; %bb.73:                               ;   in Loop: Header=BB126_48 Depth=1
	s_or_b64 exec, exec, s[8:9]
	v_and_b32_e32 v2, 0x7f800000, v4
	v_cmp_ne_u32_e32 vcc, s18, v2
                                        ; implicit-def: $vgpr7
	s_and_saveexec_b64 s[8:9], vcc
	s_xor_b64 s[8:9], exec, s[8:9]
; %bb.74:                               ;   in Loop: Header=BB126_48 Depth=1
	v_bfe_u32 v2, v4, 16, 1
	v_add3_u32 v7, v4, v2, s24
; %bb.75:                               ;   in Loop: Header=BB126_48 Depth=1
	s_andn2_saveexec_b64 s[8:9], s[8:9]
; %bb.76:                               ;   in Loop: Header=BB126_48 Depth=1
	v_or_b32_e32 v2, 0x10000, v4
	v_cmp_eq_u32_sdwa vcc, v4, v11 src0_sel:WORD_0 src1_sel:DWORD
	s_nop 1
	v_cndmask_b32_e32 v7, v2, v4, vcc
; %bb.77:                               ;   in Loop: Header=BB126_48 Depth=1
	s_or_b64 exec, exec, s[8:9]
	v_and_b32_e32 v2, 0x7f800000, v5
	v_cmp_ne_u32_e32 vcc, s18, v2
                                        ; implicit-def: $vgpr6
	s_and_saveexec_b64 s[8:9], vcc
	s_xor_b64 s[8:9], exec, s[8:9]
; %bb.78:                               ;   in Loop: Header=BB126_48 Depth=1
	v_bfe_u32 v2, v5, 16, 1
	v_add3_u32 v6, v5, v2, s24
                                        ; implicit-def: $vgpr2_vgpr3_vgpr4_vgpr5
; %bb.79:                               ;   in Loop: Header=BB126_48 Depth=1
	s_andn2_saveexec_b64 s[8:9], s[8:9]
; %bb.80:                               ;   in Loop: Header=BB126_48 Depth=1
	v_or_b32_e32 v2, 0x10000, v5
	v_cmp_eq_u32_sdwa vcc, v5, v11 src0_sel:WORD_0 src1_sel:DWORD
	s_nop 1
	v_cndmask_b32_e32 v6, v2, v5, vcc
; %bb.81:                               ;   in Loop: Header=BB126_48 Depth=1
	s_or_b64 exec, exec, s[8:9]
	s_waitcnt vmcnt(0)
	v_mad_i64_i32 v[2:3], s[8:9], v26, s13, 0
	v_lshl_add_u64 v[2:3], v[2:3], 1, v[12:13]
	global_load_dwordx4 v[2:5], v[2:3], off
	v_cmp_eq_u32_e32 vcc, s15, v1
	s_waitcnt vmcnt(0)
	v_lshrrev_b32_e32 v29, 16, v2
	v_lshrrev_b32_e32 v28, 16, v3
	v_lshrrev_b32_e32 v27, 16, v4
	v_lshrrev_b32_e32 v26, 16, v5
	s_and_saveexec_b64 s[8:9], vcc
	s_cbranch_execz .LBB126_83
; %bb.82:                               ;   in Loop: Header=BB126_48 Depth=1
	v_add_u32_e32 v30, v19, v16
	v_cmp_gt_i32_e32 vcc, s11, v30
	v_add_u32_e32 v31, 1, v30
	s_nop 0
	v_cndmask_b32_e32 v2, 0, v2, vcc
	v_cmp_gt_i32_e32 vcc, s11, v31
	v_add_u32_e32 v31, 2, v30
	s_nop 0
	v_cndmask_b32_e32 v29, 0, v29, vcc
	;; [unrolled: 4-line block ×5, first 2 shown]
	v_cmp_gt_i32_e32 vcc, s11, v31
	v_add_u32_e32 v31, 6, v30
	v_add_u32_e32 v30, 7, v30
	v_cndmask_b32_e32 v27, 0, v27, vcc
	v_cmp_gt_i32_e32 vcc, s11, v31
	s_nop 1
	v_cndmask_b32_e32 v5, 0, v5, vcc
	v_cmp_gt_i32_e32 vcc, s11, v30
	s_nop 1
	v_cndmask_b32_e32 v26, 0, v26, vcc
.LBB126_83:                             ;   in Loop: Header=BB126_48 Depth=1
	s_or_b64 exec, exec, s[8:9]
	v_and_b32_e32 v25, 0xffff0000, v25
	v_lshlrev_b32_e32 v2, 16, v2
	v_mul_f32_e32 v25, v25, v2
	v_and_b32_e32 v2, 0x7f800000, v25
	v_cmp_ne_u32_e32 vcc, s18, v2
                                        ; implicit-def: $vgpr2
	s_and_saveexec_b64 s[8:9], vcc
	s_xor_b64 s[8:9], exec, s[8:9]
; %bb.84:                               ;   in Loop: Header=BB126_48 Depth=1
	v_bfe_u32 v2, v25, 16, 1
	v_add3_u32 v2, v25, v2, s24
                                        ; implicit-def: $vgpr25
; %bb.85:                               ;   in Loop: Header=BB126_48 Depth=1
	s_andn2_saveexec_b64 s[8:9], s[8:9]
; %bb.86:                               ;   in Loop: Header=BB126_48 Depth=1
	v_or_b32_e32 v2, 0x10000, v25
	v_cmp_eq_u32_sdwa vcc, v25, v11 src0_sel:WORD_0 src1_sel:DWORD
	s_nop 1
	v_cndmask_b32_e32 v2, v2, v25, vcc
; %bb.87:                               ;   in Loop: Header=BB126_48 Depth=1
	s_or_b64 exec, exec, s[8:9]
	v_and_b32_e32 v24, 0xffff0000, v24
	v_lshlrev_b32_e32 v25, 16, v29
	v_mul_f32_e32 v25, v24, v25
	v_and_b32_e32 v24, 0x7f800000, v25
	v_cmp_ne_u32_e32 vcc, s18, v24
                                        ; implicit-def: $vgpr24
	s_and_saveexec_b64 s[8:9], vcc
	s_xor_b64 s[8:9], exec, s[8:9]
; %bb.88:                               ;   in Loop: Header=BB126_48 Depth=1
	v_bfe_u32 v24, v25, 16, 1
	v_add3_u32 v24, v25, v24, s24
                                        ; implicit-def: $vgpr25
; %bb.89:                               ;   in Loop: Header=BB126_48 Depth=1
	s_andn2_saveexec_b64 s[8:9], s[8:9]
; %bb.90:                               ;   in Loop: Header=BB126_48 Depth=1
	v_or_b32_e32 v24, 0x10000, v25
	v_cmp_eq_u32_sdwa vcc, v25, v11 src0_sel:WORD_0 src1_sel:DWORD
	s_nop 1
	v_cndmask_b32_e32 v24, v24, v25, vcc
; %bb.91:                               ;   in Loop: Header=BB126_48 Depth=1
	s_or_b64 exec, exec, s[8:9]
	v_and_b32_e32 v23, 0xffff0000, v23
	v_lshlrev_b32_e32 v3, 16, v3
	v_mul_f32_e32 v23, v23, v3
	v_and_b32_e32 v3, 0x7f800000, v23
	v_cmp_ne_u32_e32 vcc, s18, v3
                                        ; implicit-def: $vgpr3
	s_and_saveexec_b64 s[8:9], vcc
	s_xor_b64 s[8:9], exec, s[8:9]
; %bb.92:                               ;   in Loop: Header=BB126_48 Depth=1
	v_bfe_u32 v3, v23, 16, 1
	v_add3_u32 v3, v23, v3, s24
                                        ; implicit-def: $vgpr23
; %bb.93:                               ;   in Loop: Header=BB126_48 Depth=1
	s_andn2_saveexec_b64 s[8:9], s[8:9]
; %bb.94:                               ;   in Loop: Header=BB126_48 Depth=1
	v_or_b32_e32 v3, 0x10000, v23
	v_cmp_eq_u32_sdwa vcc, v23, v11 src0_sel:WORD_0 src1_sel:DWORD
	s_nop 1
	v_cndmask_b32_e32 v3, v3, v23, vcc
; %bb.95:                               ;   in Loop: Header=BB126_48 Depth=1
	s_or_b64 exec, exec, s[8:9]
	v_and_b32_e32 v22, 0xffff0000, v22
	v_lshlrev_b32_e32 v23, 16, v28
	v_mul_f32_e32 v23, v22, v23
	v_and_b32_e32 v22, 0x7f800000, v23
	v_cmp_ne_u32_e32 vcc, s18, v22
                                        ; implicit-def: $vgpr22
	s_and_saveexec_b64 s[8:9], vcc
	s_xor_b64 s[8:9], exec, s[8:9]
; %bb.96:                               ;   in Loop: Header=BB126_48 Depth=1
	v_bfe_u32 v22, v23, 16, 1
	v_add3_u32 v22, v23, v22, s24
                                        ; implicit-def: $vgpr23
; %bb.97:                               ;   in Loop: Header=BB126_48 Depth=1
	s_andn2_saveexec_b64 s[8:9], s[8:9]
; %bb.98:                               ;   in Loop: Header=BB126_48 Depth=1
	v_or_b32_e32 v22, 0x10000, v23
	v_cmp_eq_u32_sdwa vcc, v23, v11 src0_sel:WORD_0 src1_sel:DWORD
	s_nop 1
	v_cndmask_b32_e32 v22, v22, v23, vcc
; %bb.99:                               ;   in Loop: Header=BB126_48 Depth=1
	s_or_b64 exec, exec, s[8:9]
	v_and_b32_e32 v9, 0xffff0000, v9
	v_lshlrev_b32_e32 v4, 16, v4
	v_mul_f32_e32 v9, v9, v4
	v_and_b32_e32 v4, 0x7f800000, v9
	v_cmp_ne_u32_e32 vcc, s18, v4
                                        ; implicit-def: $vgpr4
	s_and_saveexec_b64 s[8:9], vcc
	s_xor_b64 s[8:9], exec, s[8:9]
; %bb.100:                              ;   in Loop: Header=BB126_48 Depth=1
	v_bfe_u32 v4, v9, 16, 1
	v_add3_u32 v4, v9, v4, s24
                                        ; implicit-def: $vgpr9
; %bb.101:                              ;   in Loop: Header=BB126_48 Depth=1
	s_andn2_saveexec_b64 s[8:9], s[8:9]
; %bb.102:                              ;   in Loop: Header=BB126_48 Depth=1
	v_or_b32_e32 v4, 0x10000, v9
	v_cmp_eq_u32_sdwa vcc, v9, v11 src0_sel:WORD_0 src1_sel:DWORD
	s_nop 1
	v_cndmask_b32_e32 v4, v4, v9, vcc
; %bb.103:                              ;   in Loop: Header=BB126_48 Depth=1
	s_or_b64 exec, exec, s[8:9]
	v_and_b32_e32 v8, 0xffff0000, v8
	v_lshlrev_b32_e32 v9, 16, v27
	v_mul_f32_e32 v9, v8, v9
	v_and_b32_e32 v8, 0x7f800000, v9
	v_cmp_ne_u32_e32 vcc, s18, v8
                                        ; implicit-def: $vgpr8
	s_and_saveexec_b64 s[8:9], vcc
	s_xor_b64 s[8:9], exec, s[8:9]
; %bb.104:                              ;   in Loop: Header=BB126_48 Depth=1
	v_bfe_u32 v8, v9, 16, 1
	v_add3_u32 v8, v9, v8, s24
                                        ; implicit-def: $vgpr9
; %bb.105:                              ;   in Loop: Header=BB126_48 Depth=1
	s_andn2_saveexec_b64 s[8:9], s[8:9]
; %bb.106:                              ;   in Loop: Header=BB126_48 Depth=1
	v_or_b32_e32 v8, 0x10000, v9
	v_cmp_eq_u32_sdwa vcc, v9, v11 src0_sel:WORD_0 src1_sel:DWORD
	s_nop 1
	v_cndmask_b32_e32 v8, v8, v9, vcc
; %bb.107:                              ;   in Loop: Header=BB126_48 Depth=1
	s_or_b64 exec, exec, s[8:9]
	v_and_b32_e32 v7, 0xffff0000, v7
	v_lshlrev_b32_e32 v5, 16, v5
	v_mul_f32_e32 v7, v7, v5
	v_and_b32_e32 v5, 0x7f800000, v7
	v_cmp_ne_u32_e32 vcc, s18, v5
                                        ; implicit-def: $vgpr5
	s_and_saveexec_b64 s[8:9], vcc
	s_xor_b64 s[8:9], exec, s[8:9]
; %bb.108:                              ;   in Loop: Header=BB126_48 Depth=1
	v_bfe_u32 v5, v7, 16, 1
	v_add3_u32 v5, v7, v5, s24
                                        ; implicit-def: $vgpr7
; %bb.109:                              ;   in Loop: Header=BB126_48 Depth=1
	s_andn2_saveexec_b64 s[8:9], s[8:9]
; %bb.110:                              ;   in Loop: Header=BB126_48 Depth=1
	v_or_b32_e32 v5, 0x10000, v7
	v_cmp_eq_u32_sdwa vcc, v7, v11 src0_sel:WORD_0 src1_sel:DWORD
	s_nop 1
	v_cndmask_b32_e32 v5, v5, v7, vcc
; %bb.111:                              ;   in Loop: Header=BB126_48 Depth=1
	s_or_b64 exec, exec, s[8:9]
	v_and_b32_e32 v6, 0xffff0000, v6
	v_lshlrev_b32_e32 v7, 16, v26
	v_mul_f32_e32 v6, v6, v7
	v_and_b32_e32 v7, 0x7f800000, v6
	v_cmp_ne_u32_e32 vcc, s18, v7
                                        ; implicit-def: $vgpr7
	s_and_saveexec_b64 s[8:9], vcc
	s_xor_b64 s[8:9], exec, s[8:9]
; %bb.112:                              ;   in Loop: Header=BB126_48 Depth=1
	v_bfe_u32 v7, v6, 16, 1
	v_add3_u32 v7, v6, v7, s24
                                        ; implicit-def: $vgpr6
; %bb.113:                              ;   in Loop: Header=BB126_48 Depth=1
	s_andn2_saveexec_b64 s[8:9], s[8:9]
	s_cbranch_execz .LBB126_46
; %bb.114:                              ;   in Loop: Header=BB126_48 Depth=1
	v_or_b32_e32 v7, 0x10000, v6
	v_cmp_eq_u32_sdwa vcc, v6, v11 src0_sel:WORD_0 src1_sel:DWORD
	s_nop 1
	v_cndmask_b32_e32 v7, v7, v6, vcc
	s_branch .LBB126_46
.LBB126_115:
	s_or_b64 exec, exec, s[2:3]
.LBB126_116:
	s_or_b64 exec, exec, s[6:7]
	ds_bpermute_b32 v1, v18, v10
	v_and_b32_e32 v2, 0x3c1, v0
	v_cmp_eq_u32_e32 vcc, 64, v2
	s_waitcnt lgkmcnt(0)
	s_barrier
	v_add_f32_e32 v1, v10, v1
	s_and_saveexec_b64 s[0:1], vcc
	s_cbranch_execz .LBB126_118
; %bb.117:
	v_mov_b32_e32 v3, 0x50
	v_lshl_add_u32 v3, v17, 1, v3
	ds_write_b32 v3, v1
.LBB126_118:
	s_or_b64 exec, exec, s[0:1]
	v_cmp_eq_u32_e32 vcc, 0, v2
	s_waitcnt lgkmcnt(0)
	s_barrier
	s_and_saveexec_b64 s[0:1], vcc
	s_cbranch_execz .LBB126_120
; %bb.119:
	v_mov_b32_e32 v2, 0x50
	v_lshl_add_u32 v2, v0, 1, v2
	ds_read_b32 v2, v2
	s_waitcnt lgkmcnt(0)
	v_add_f32_e32 v1, v1, v2
.LBB126_120:
	s_or_b64 exec, exec, s[0:1]
	s_barrier
	s_and_saveexec_b64 s[0:1], vcc
	s_cbranch_execz .LBB126_126
; %bb.121:
	s_mov_b32 s0, 0x7f800000
	v_and_b32_e32 v2, 0x7f800000, v1
	v_cmp_ne_u32_e32 vcc, s0, v2
                                        ; implicit-def: $vgpr2
	s_and_saveexec_b64 s[0:1], vcc
	s_xor_b64 s[0:1], exec, s[0:1]
; %bb.122:
	v_bfe_u32 v2, v1, 16, 1
	s_movk_i32 s2, 0x7fff
	v_add3_u32 v2, v1, v2, s2
                                        ; implicit-def: $vgpr1
; %bb.123:
	s_andn2_saveexec_b64 s[0:1], s[0:1]
; %bb.124:
	v_mov_b32_e32 v2, 0
	v_or_b32_e32 v3, 0x10000, v1
	v_cmp_eq_u32_sdwa vcc, v1, v2 src0_sel:WORD_0 src1_sel:DWORD
	s_nop 1
	v_cndmask_b32_e32 v2, v3, v1, vcc
; %bb.125:
	s_or_b64 exec, exec, s[0:1]
	s_mul_i32 s0, s10, s12
	s_mul_i32 s0, s0, s5
	s_lshl_b32 s0, s0, 5
	s_ashr_i32 s1, s0, 31
	s_lshl_b64 s[0:1], s[0:1], 1
	s_add_u32 s2, s22, s0
	s_mul_i32 s0, s12, s20
	s_addc_u32 s3, s23, s1
	s_ashr_i32 s1, s0, 31
	s_lshl_b64 s[0:1], s[0:1], 1
	s_add_u32 s2, s2, s0
	s_addc_u32 s3, s3, s1
	s_lshl_b32 s0, s4, 5
	s_ashr_i32 s1, s0, 31
	s_lshl_b64 s[0:1], s[0:1], 1
	s_add_u32 s0, s2, s0
	s_addc_u32 s1, s3, s1
	global_store_short_d16_hi v0, v2, s[0:1]
.LBB126_126:
	s_endpgm
	.section	.rodata,"a",@progbits
	.p2align	6, 0x0
	.amdhsa_kernel _ZN4vllm25paged_attention_v1_kernelI14__hip_bfloat16S1_Li32ELi16ELi128ELNS_18Fp8KVCacheDataTypeE0ELb1EEEvPT_PKS3_PKT0_S9_ifPKiSB_iPKfiiiSD_SD_iiiii
		.amdhsa_group_segment_fixed_size 80
		.amdhsa_private_segment_fixed_size 0
		.amdhsa_kernarg_size 384
		.amdhsa_user_sgpr_count 2
		.amdhsa_user_sgpr_dispatch_ptr 0
		.amdhsa_user_sgpr_queue_ptr 0
		.amdhsa_user_sgpr_kernarg_segment_ptr 1
		.amdhsa_user_sgpr_dispatch_id 0
		.amdhsa_user_sgpr_kernarg_preload_length 0
		.amdhsa_user_sgpr_kernarg_preload_offset 0
		.amdhsa_user_sgpr_private_segment_size 0
		.amdhsa_uses_dynamic_stack 0
		.amdhsa_enable_private_segment 0
		.amdhsa_system_sgpr_workgroup_id_x 1
		.amdhsa_system_sgpr_workgroup_id_y 1
		.amdhsa_system_sgpr_workgroup_id_z 1
		.amdhsa_system_sgpr_workgroup_info 0
		.amdhsa_system_vgpr_workitem_id 0
		.amdhsa_next_free_vgpr 39
		.amdhsa_next_free_sgpr 44
		.amdhsa_accum_offset 40
		.amdhsa_reserve_vcc 1
		.amdhsa_float_round_mode_32 0
		.amdhsa_float_round_mode_16_64 0
		.amdhsa_float_denorm_mode_32 3
		.amdhsa_float_denorm_mode_16_64 3
		.amdhsa_dx10_clamp 1
		.amdhsa_ieee_mode 1
		.amdhsa_fp16_overflow 0
		.amdhsa_tg_split 0
		.amdhsa_exception_fp_ieee_invalid_op 0
		.amdhsa_exception_fp_denorm_src 0
		.amdhsa_exception_fp_ieee_div_zero 0
		.amdhsa_exception_fp_ieee_overflow 0
		.amdhsa_exception_fp_ieee_underflow 0
		.amdhsa_exception_fp_ieee_inexact 0
		.amdhsa_exception_int_div_zero 0
	.end_amdhsa_kernel
	.section	.text._ZN4vllm25paged_attention_v1_kernelI14__hip_bfloat16S1_Li32ELi16ELi128ELNS_18Fp8KVCacheDataTypeE0ELb1EEEvPT_PKS3_PKT0_S9_ifPKiSB_iPKfiiiSD_SD_iiiii,"axG",@progbits,_ZN4vllm25paged_attention_v1_kernelI14__hip_bfloat16S1_Li32ELi16ELi128ELNS_18Fp8KVCacheDataTypeE0ELb1EEEvPT_PKS3_PKT0_S9_ifPKiSB_iPKfiiiSD_SD_iiiii,comdat
.Lfunc_end126:
	.size	_ZN4vllm25paged_attention_v1_kernelI14__hip_bfloat16S1_Li32ELi16ELi128ELNS_18Fp8KVCacheDataTypeE0ELb1EEEvPT_PKS3_PKT0_S9_ifPKiSB_iPKfiiiSD_SD_iiiii, .Lfunc_end126-_ZN4vllm25paged_attention_v1_kernelI14__hip_bfloat16S1_Li32ELi16ELi128ELNS_18Fp8KVCacheDataTypeE0ELb1EEEvPT_PKS3_PKT0_S9_ifPKiSB_iPKfiiiSD_SD_iiiii
                                        ; -- End function
	.section	.AMDGPU.csdata,"",@progbits
; Kernel info:
; codeLenInByte = 5288
; NumSgprs: 50
; NumVgprs: 39
; NumAgprs: 0
; TotalNumVgprs: 39
; ScratchSize: 0
; MemoryBound: 0
; FloatMode: 240
; IeeeMode: 1
; LDSByteSize: 80 bytes/workgroup (compile time only)
; SGPRBlocks: 6
; VGPRBlocks: 4
; NumSGPRsForWavesPerEU: 50
; NumVGPRsForWavesPerEU: 39
; AccumOffset: 40
; Occupancy: 8
; WaveLimiterHint : 1
; COMPUTE_PGM_RSRC2:SCRATCH_EN: 0
; COMPUTE_PGM_RSRC2:USER_SGPR: 2
; COMPUTE_PGM_RSRC2:TRAP_HANDLER: 0
; COMPUTE_PGM_RSRC2:TGID_X_EN: 1
; COMPUTE_PGM_RSRC2:TGID_Y_EN: 1
; COMPUTE_PGM_RSRC2:TGID_Z_EN: 1
; COMPUTE_PGM_RSRC2:TIDIG_COMP_CNT: 0
; COMPUTE_PGM_RSRC3_GFX90A:ACCUM_OFFSET: 9
; COMPUTE_PGM_RSRC3_GFX90A:TG_SPLIT: 0
	.section	.text._ZN4vllm25paged_attention_v1_kernelI14__hip_bfloat16S1_Li64ELi16ELi128ELNS_18Fp8KVCacheDataTypeE0ELb1EEEvPT_PKS3_PKT0_S9_ifPKiSB_iPKfiiiSD_SD_iiiii,"axG",@progbits,_ZN4vllm25paged_attention_v1_kernelI14__hip_bfloat16S1_Li64ELi16ELi128ELNS_18Fp8KVCacheDataTypeE0ELb1EEEvPT_PKS3_PKT0_S9_ifPKiSB_iPKfiiiSD_SD_iiiii,comdat
	.protected	_ZN4vllm25paged_attention_v1_kernelI14__hip_bfloat16S1_Li64ELi16ELi128ELNS_18Fp8KVCacheDataTypeE0ELb1EEEvPT_PKS3_PKT0_S9_ifPKiSB_iPKfiiiSD_SD_iiiii ; -- Begin function _ZN4vllm25paged_attention_v1_kernelI14__hip_bfloat16S1_Li64ELi16ELi128ELNS_18Fp8KVCacheDataTypeE0ELb1EEEvPT_PKS3_PKT0_S9_ifPKiSB_iPKfiiiSD_SD_iiiii
	.globl	_ZN4vllm25paged_attention_v1_kernelI14__hip_bfloat16S1_Li64ELi16ELi128ELNS_18Fp8KVCacheDataTypeE0ELb1EEEvPT_PKS3_PKT0_S9_ifPKiSB_iPKfiiiSD_SD_iiiii
	.p2align	8
	.type	_ZN4vllm25paged_attention_v1_kernelI14__hip_bfloat16S1_Li64ELi16ELi128ELNS_18Fp8KVCacheDataTypeE0ELb1EEEvPT_PKS3_PKT0_S9_ifPKiSB_iPKfiiiSD_SD_iiiii,@function
_ZN4vllm25paged_attention_v1_kernelI14__hip_bfloat16S1_Li64ELi16ELi128ELNS_18Fp8KVCacheDataTypeE0ELb1EEEvPT_PKS3_PKT0_S9_ifPKiSB_iPKfiiiSD_SD_iiiii: ; @_ZN4vllm25paged_attention_v1_kernelI14__hip_bfloat16S1_Li64ELi16ELi128ELNS_18Fp8KVCacheDataTypeE0ELb1EEEvPT_PKS3_PKT0_S9_ifPKiSB_iPKfiiiSD_SD_iiiii
; %bb.0:
	s_load_dword s5, s[0:1], 0x80
	s_load_dwordx2 s[6:7], s[0:1], 0x30
	s_load_dwordx2 s[30:31], s[0:1], 0x20
	s_mov_b32 s10, s3
	s_ashr_i32 s11, s3, 31
	s_lshl_b64 s[8:9], s[10:11], 2
	s_waitcnt lgkmcnt(0)
	s_add_u32 s6, s6, s8
	s_addc_u32 s7, s7, s9
	s_abs_i32 s3, s30
	v_cvt_f32_u32_e32 v1, s3
	s_sub_i32 s11, 0, s3
	s_abs_i32 s9, s5
	s_xor_b32 s8, s5, s30
	v_rcp_iflag_f32_e32 v1, v1
	s_ashr_i32 s8, s8, 31
	s_mov_b32 s42, 0
	v_mul_f32_e32 v1, 0x4f7ffffe, v1
	v_cvt_u32_f32_e32 v1, v1
	s_nop 0
	v_readfirstlane_b32 s12, v1
	s_mul_i32 s11, s11, s12
	s_mul_hi_u32 s11, s12, s11
	s_add_i32 s12, s12, s11
	s_mul_hi_u32 s11, s9, s12
	s_mul_i32 s12, s11, s3
	s_sub_i32 s9, s9, s12
	s_add_i32 s12, s11, 1
	s_sub_i32 s13, s9, s3
	s_cmp_ge_u32 s9, s3
	s_cselect_b32 s11, s12, s11
	s_cselect_b32 s9, s13, s9
	s_add_i32 s12, s11, 1
	s_cmp_ge_u32 s9, s3
	s_cselect_b32 s3, s12, s11
	s_xor_b32 s3, s3, s8
	s_sub_i32 s16, s3, s8
	s_abs_i32 s11, s16
	v_cvt_f32_u32_e32 v1, s11
	s_load_dwordx2 s[8:9], s[0:1], 0x40
	s_sub_i32 s3, 0, s11
	s_abs_i32 s22, s2
	v_rcp_iflag_f32_e32 v1, v1
	s_nop 0
	v_mul_f32_e32 v1, 0x4f7ffffe, v1
	v_cvt_u32_f32_e32 v1, v1
	s_nop 0
	v_readfirstlane_b32 s12, v1
	s_mul_i32 s3, s3, s12
	s_mul_hi_u32 s3, s12, s3
	s_add_i32 s12, s12, s3
	s_waitcnt lgkmcnt(0)
	s_cmp_eq_u64 s[8:9], 0
	s_mul_hi_u32 s23, s22, s12
	s_cbranch_scc1 .LBB127_2
; %bb.1:
	s_ashr_i32 s3, s2, 31
	s_lshl_b64 s[12:13], s[2:3], 2
	s_add_u32 s8, s8, s12
	s_addc_u32 s9, s9, s13
	s_load_dword s42, s[8:9], 0x0
.LBB127_2:
	s_load_dword s33, s[6:7], 0x0
	s_load_dwordx4 s[12:15], s[0:1], 0x48
	s_ashr_i32 s3, s2, 31
	s_ashr_i32 s9, s16, 31
	v_and_b32_e32 v4, 3, v0
	s_lshl_b32 s20, s2, 6
	v_cmp_gt_u32_e32 vcc, 32, v0
	s_and_saveexec_b64 s[6:7], vcc
	s_cbranch_execz .LBB127_4
; %bb.3:
	s_load_dwordx2 s[16:17], s[0:1], 0x8
	s_waitcnt lgkmcnt(0)
	s_mul_i32 s18, s10, s12
	s_ashr_i32 s19, s18, 31
	s_lshl_b64 s[18:19], s[18:19], 1
	v_lshlrev_b32_e32 v1, 2, v0
	s_add_u32 s8, s16, s18
	s_addc_u32 s12, s17, s19
	s_ashr_i32 s21, s20, 31
	s_lshl_b64 s[16:17], s[20:21], 1
	s_add_u32 s16, s8, s16
	s_addc_u32 s17, s12, s17
	global_load_dword v1, v1, s[16:17]
	v_and_b32_e32 v2, 0x3fc, v0
	v_lshl_add_u32 v2, v4, 5, v2
	s_waitcnt vmcnt(0)
	ds_write_b32 v2, v1
.LBB127_4:
	s_or_b64 exec, exec, s[6:7]
	s_mul_i32 s6, s23, s11
	s_sub_i32 s6, s22, s6
	s_xor_b32 s3, s3, s9
	s_add_i32 s7, s23, 1
	s_sub_i32 s9, s6, s11
	s_load_dwordx4 s[16:19], s[0:1], 0x68
	s_load_dword s8, s[0:1], 0x78
	s_cmp_ge_u32 s6, s11
	s_cselect_b32 s7, s7, s23
	s_cselect_b32 s6, s9, s6
	s_add_i32 s9, s7, 1
	s_cmp_ge_u32 s6, s11
	s_cselect_b32 s6, s9, s7
	s_waitcnt lgkmcnt(0)
	s_abs_i32 s21, s19
	v_cvt_f32_u32_e32 v1, s21
	s_xor_b32 s6, s6, s3
	s_sub_i32 s3, s6, s3
	s_sub_i32 s6, 0, s21
	v_rcp_iflag_f32_e32 v1, v1
	s_add_i32 s11, s33, -1
	s_abs_i32 s9, s11
	v_mul_f32_e32 v1, 0x4f7ffffe, v1
	v_cvt_u32_f32_e32 v1, v1
	s_barrier
	v_readfirstlane_b32 s40, v1
	s_mul_i32 s6, s6, s40
	s_mul_hi_u32 s6, s40, s6
	s_add_i32 s40, s40, s6
	s_cmp_lt_i32 s8, 0
	s_mul_hi_u32 s12, s9, s40
	s_cbranch_scc0 .LBB127_6
; %bb.5:
	s_mul_i32 s6, s16, s30
	s_add_i32 s6, s3, s6
	s_mul_i32 s6, s6, s8
	s_sub_i32 s41, 1, s6
	s_mov_b64 s[6:7], 0
	s_branch .LBB127_7
.LBB127_6:
	s_mov_b64 s[6:7], -1
                                        ; implicit-def: $sgpr41
.LBB127_7:
	s_load_dwordx2 s[24:25], s[0:1], 0x28
	s_ashr_i32 s15, s11, 31
	s_andn2_b64 vcc, exec, s[6:7]
	s_ashr_i32 s19, s19, 31
	s_cbranch_vccnz .LBB127_9
; %bb.8:
	s_mul_i32 s6, s5, s16
	s_add_i32 s2, s6, s2
	s_mul_i32 s2, s2, s8
	s_add_i32 s41, s2, 1
.LBB127_9:
	s_load_dword s2, s[0:1], 0x38
	s_load_dwordx2 s[22:23], s[0:1], 0x0
	s_load_dwordx2 s[28:29], s[0:1], 0x18
	s_load_dword s11, s[0:1], 0x88
	s_xor_b32 s6, s15, s19
	s_waitcnt lgkmcnt(0)
	s_mul_i32 s26, s10, s2
	s_mul_i32 s2, s12, s21
	s_sub_i32 s2, s9, s2
	s_ashr_i32 s27, s26, 31
	s_add_i32 s7, s12, 1
	s_sub_i32 s8, s2, s21
	s_cmp_ge_u32 s2, s21
	s_cselect_b32 s7, s7, s12
	s_cselect_b32 s2, s8, s2
	s_add_i32 s8, s7, 1
	s_cmp_ge_u32 s2, s21
	s_cselect_b32 s2, s8, s7
	s_xor_b32 s2, s2, s6
	s_sub_i32 s12, s2, s6
	s_add_i32 s2, s33, 15
	s_ashr_i32 s6, s2, 31
	s_lshr_b32 s6, s6, 28
	s_add_i32 s2, s2, s6
	s_ashr_i32 s16, s2, 4
	v_lshrrev_b32_e32 v1, 6, v0
	v_cmp_gt_i32_e64 s[6:7], s16, v1
	v_mov_b32_e32 v10, 0xff7fffff
	s_mul_i32 s14, s3, s14
	v_lshrrev_b32_e32 v6, 4, v0
	v_lshlrev_b32_e32 v18, 4, v1
	v_mbcnt_lo_u32_b32 v7, -1, 0
	s_and_saveexec_b64 s[34:35], s[6:7]
	s_cbranch_execz .LBB127_19
; %bb.10:
	s_load_dwordx2 s[0:1], s[0:1], 0x10
	s_ashr_i32 s15, s14, 31
	s_sub_i32 s30, s12, s17
	s_lshl_b64 s[2:3], s[14:15], 1
	v_bfe_u32 v8, v0, 2, 4
	s_waitcnt lgkmcnt(0)
	s_add_u32 s0, s0, s2
	s_addc_u32 s1, s1, s3
	s_abs_i32 s15, s18
	v_cvt_f32_u32_e32 v5, s15
	v_lshlrev_b32_e32 v12, 4, v8
	v_mov_b32_e32 v13, 0
	v_lshl_add_u64 v[2:3], s[0:1], 0, v[12:13]
	v_rcp_iflag_f32_e32 v5, v5
	v_lshlrev_b32_e32 v9, 2, v0
	s_sub_i32 s0, 0, s15
	v_cmp_eq_u32_e32 vcc, 0, v4
	v_mul_f32_e32 v5, 0x4f7ffffe, v5
	v_cvt_u32_f32_e32 v5, v5
	v_and_b32_e32 v12, 12, v9
	v_lshlrev_b32_e32 v9, 5, v4
	v_lshlrev_b32_e32 v10, 2, v8
	v_mul_lo_u32 v4, s0, v5
	s_lshl_b64 s[0:1], s[26:27], 2
	s_add_u32 s0, s24, s0
	v_lshl_add_u64 v[2:3], v[2:3], 0, v[12:13]
	v_mul_hi_u32 v4, v5, v4
	v_and_b32_e32 v12, 60, v6
	s_addc_u32 s1, s25, s1
	v_lshl_or_b32 v10, v1, 6, v10
	v_add_u32_e32 v11, v5, v4
	v_lshl_add_u64 v[4:5], s[0:1], 0, v[12:13]
	v_add_u32_e32 v13, 0x90, v10
	v_subrev_u32_e32 v10, s33, v8
	v_mbcnt_hi_u32_b32 v16, -1, v7
	v_add_u32_e32 v14, 1, v10
	v_and_b32_e32 v10, 64, v16
	s_mov_b32 s43, s13
	v_cmp_neq_f32_e64 s[2:3], s42, 0
	v_lshlrev_b32_e32 v12, 4, v1
	s_mov_b64 s[36:37], 0
	v_mov_b32_e32 v15, 0xff7fffff
	v_add_u32_e32 v17, 64, v10
	v_xor_b32_e32 v19, 2, v16
	v_xor_b32_e32 v20, 1, v16
	v_mov_b32_e32 v10, 0xff7fffff
	v_mov_b32_e32 v21, v1
	s_branch .LBB127_13
.LBB127_11:                             ;   in Loop: Header=BB127_13 Depth=1
	s_or_b64 exec, exec, s[38:39]
.LBB127_12:                             ;   in Loop: Header=BB127_13 Depth=1
	s_or_b64 exec, exec, s[8:9]
	v_add_u32_e32 v21, 2, v21
	v_cmp_le_i32_e64 s[0:1], s16, v21
	v_lshl_add_u64 v[4:5], v[4:5], 0, 8
	v_add_u32_e32 v12, 32, v12
	s_or_b64 s[36:37], s[0:1], s[36:37]
	v_add_u32_e32 v13, 0x80, v13
	s_andn2_b64 exec, exec, s[36:37]
	s_cbranch_execz .LBB127_18
.LBB127_13:                             ; =>This Inner Loop Header: Depth=1
	v_mul_hi_u32 v22, v12, s40
	s_waitcnt lgkmcnt(0)
	v_mul_lo_u32 v23, v22, s21
	v_sub_u32_e32 v23, v12, v23
	v_add_u32_e32 v24, 1, v22
	v_cmp_le_u32_e64 s[0:1], s21, v23
	s_nop 1
	v_cndmask_b32_e64 v22, v22, v24, s[0:1]
	v_subrev_u32_e32 v24, s21, v23
	v_cndmask_b32_e64 v23, v23, v24, s[0:1]
	v_add_u32_e32 v24, 1, v22
	v_cmp_le_u32_e64 s[0:1], s21, v23
	s_nop 1
	v_cndmask_b32_e64 v22, v22, v24, s[0:1]
	v_xor_b32_e32 v22, s19, v22
	v_subrev_u32_e32 v22, s19, v22
	v_add_u32_e32 v23, s41, v22
	v_sub_u32_e32 v25, 0, v23
	v_ashrrev_i32_e32 v24, 31, v23
	v_max_i32_e32 v23, v23, v25
	v_mul_hi_u32 v25, v23, v11
	v_mul_lo_u32 v25, v25, s15
	v_sub_u32_e32 v23, v23, v25
	v_subrev_u32_e32 v25, s15, v23
	v_cmp_le_u32_e64 s[0:1], s15, v23
	v_cmp_ge_i32_e64 s[8:9], s30, v22
	s_nop 0
	v_cndmask_b32_e64 v23, v23, v25, s[0:1]
	v_subrev_u32_e32 v25, s15, v23
	v_cmp_le_u32_e64 s[0:1], s15, v23
	s_nop 1
	v_cndmask_b32_e64 v23, v23, v25, s[0:1]
	v_xor_b32_e32 v23, v23, v24
	v_sub_u32_e32 v23, v23, v24
	v_cmp_ne_u32_e64 s[0:1], 0, v23
	s_and_b64 s[0:1], s[0:1], s[8:9]
	s_and_b64 s[38:39], vcc, s[0:1]
	s_and_saveexec_b64 s[8:9], s[38:39]
	s_cbranch_execz .LBB127_15
; %bb.14:                               ;   in Loop: Header=BB127_13 Depth=1
	ds_write_b32 v13, v15
.LBB127_15:                             ;   in Loop: Header=BB127_13 Depth=1
	s_or_b64 exec, exec, s[8:9]
	s_xor_b64 s[0:1], s[0:1], -1
	s_and_saveexec_b64 s[8:9], s[0:1]
	s_cbranch_execz .LBB127_12
; %bb.16:                               ;   in Loop: Header=BB127_13 Depth=1
	global_load_dword v22, v[4:5], off
	s_waitcnt vmcnt(0)
	v_mad_i64_i32 v[22:23], s[0:1], v22, s43, 0
	v_lshl_add_u64 v[22:23], v[22:23], 1, v[2:3]
	global_load_dword v30, v[22:23], off
	global_load_dword v31, v[22:23], off offset:256
	global_load_dword v32, v[22:23], off offset:512
	;; [unrolled: 1-line block ×7, first 2 shown]
	ds_read_b128 v[22:25], v9
	ds_read_b128 v[26:29], v9 offset:16
	v_cmp_lt_i32_e64 s[0:1], v19, v17
	s_waitcnt lgkmcnt(1)
	v_lshlrev_b32_e32 v40, 16, v23
	v_and_b32_e32 v23, 0xffff0000, v23
	v_lshlrev_b32_e32 v39, 16, v22
	v_and_b32_e32 v22, 0xffff0000, v22
	;; [unrolled: 2-line block ×4, first 2 shown]
	s_waitcnt lgkmcnt(0)
	v_lshlrev_b32_e32 v43, 16, v26
	v_and_b32_e32 v26, 0xffff0000, v26
	v_lshlrev_b32_e32 v44, 16, v27
	v_and_b32_e32 v27, 0xffff0000, v27
	;; [unrolled: 2-line block ×4, first 2 shown]
	v_cndmask_b32_e64 v38, v16, v19, s[0:1]
	v_lshlrev_b32_e32 v38, 2, v38
	v_cmp_lt_i32_e64 s[0:1], v20, v17
	s_waitcnt vmcnt(7)
	v_lshlrev_b32_e32 v47, 16, v30
	s_waitcnt vmcnt(6)
	v_lshlrev_b32_e32 v48, 16, v31
	v_and_b32_e32 v31, 0xffff0000, v31
	v_and_b32_e32 v30, 0xffff0000, v30
	v_mul_f32_e32 v40, v40, v48
	v_mul_f32_e32 v23, v23, v31
	s_waitcnt vmcnt(5)
	v_lshlrev_b32_e32 v49, 16, v32
	v_and_b32_e32 v32, 0xffff0000, v32
	v_fmac_f32_e32 v40, v39, v47
	v_fmac_f32_e32 v23, v22, v30
	s_waitcnt vmcnt(4)
	v_lshlrev_b32_e32 v50, 16, v33
	v_and_b32_e32 v33, 0xffff0000, v33
	v_fmac_f32_e32 v40, v41, v49
	v_fmac_f32_e32 v23, v24, v32
	;; [unrolled: 5-line block ×6, first 2 shown]
	v_fmac_f32_e32 v40, v46, v54
	v_fmac_f32_e32 v23, v29, v37
	v_add_f32_e32 v22, v40, v23
	ds_bpermute_b32 v23, v38, v22
	v_cndmask_b32_e64 v24, v16, v20, s[0:1]
	v_lshlrev_b32_e32 v24, 2, v24
	s_waitcnt lgkmcnt(0)
	v_add_f32_e32 v22, v22, v23
	ds_bpermute_b32 v23, v24, v22
	s_and_saveexec_b64 s[38:39], vcc
	s_cbranch_execz .LBB127_11
; %bb.17:                               ;   in Loop: Header=BB127_13 Depth=1
	v_add_u32_e32 v24, v14, v12
	v_cvt_f32_i32_e32 v24, v24
	s_waitcnt lgkmcnt(0)
	v_add_f32_e32 v22, v22, v23
	v_add_u32_e32 v25, v8, v12
	v_cmp_gt_i32_e64 s[0:1], s33, v25
	v_mul_f32_e32 v23, s42, v24
	v_cndmask_b32_e64 v23, 0, v23, s[2:3]
	v_fmac_f32_e32 v23, s31, v22
	v_cndmask_b32_e64 v22, 0, v23, s[0:1]
	ds_write_b32 v13, v22
	v_max_f32_e32 v22, v10, v10
	v_max_f32_e32 v22, v22, v23
	v_cndmask_b32_e64 v10, v10, v22, s[0:1]
	s_branch .LBB127_11
.LBB127_18:
	s_or_b64 exec, exec, s[36:37]
.LBB127_19:
	s_or_b64 exec, exec, s[34:35]
	v_mbcnt_hi_u32_b32 v2, -1, v7
	v_and_b32_e32 v3, 64, v2
	v_add_u32_e32 v3, 64, v3
	v_xor_b32_e32 v4, 32, v2
	v_cmp_lt_i32_e32 vcc, v4, v3
	v_xor_b32_e32 v8, 16, v2
	v_max_f32_e32 v7, v10, v10
	v_cndmask_b32_e32 v4, v2, v4, vcc
	v_lshlrev_b32_e32 v4, 2, v4
	ds_bpermute_b32 v5, v4, v10
	v_cmp_lt_i32_e32 vcc, v8, v3
	v_xor_b32_e32 v9, 8, v2
	v_xor_b32_e32 v10, 4, v2
	v_and_b32_e32 v19, 63, v0
	s_waitcnt lgkmcnt(0)
	v_max_f32_e32 v5, v5, v5
	v_max_f32_e32 v7, v7, v5
	v_cndmask_b32_e32 v5, v2, v8, vcc
	v_lshlrev_b32_e32 v5, 2, v5
	ds_bpermute_b32 v8, v5, v7
	v_cmp_lt_i32_e32 vcc, v9, v3
	s_waitcnt lgkmcnt(0)
	v_max_f32_e32 v8, v8, v8
	v_max_f32_e32 v7, v7, v8
	v_cndmask_b32_e32 v8, v2, v9, vcc
	v_lshlrev_b32_e32 v9, 2, v8
	ds_bpermute_b32 v8, v9, v7
	v_cmp_lt_i32_e32 vcc, v10, v3
	s_waitcnt lgkmcnt(0)
	v_max_f32_e32 v8, v8, v8
	v_max_f32_e32 v8, v7, v8
	v_cndmask_b32_e32 v7, v2, v10, vcc
	v_lshlrev_b32_e32 v10, 2, v7
	ds_bpermute_b32 v11, v10, v8
	v_cmp_eq_u32_e32 vcc, 0, v19
	v_lshlrev_b32_e32 v7, 2, v1
	s_and_saveexec_b64 s[0:1], vcc
	s_cbranch_execz .LBB127_21
; %bb.20:
	s_waitcnt lgkmcnt(0)
	v_max_f32_e32 v11, v11, v11
	v_max_f32_e32 v8, v8, v8
	;; [unrolled: 1-line block ×3, first 2 shown]
	ds_write_b32 v7, v8 offset:128
.LBB127_21:
	s_or_b64 exec, exec, s[0:1]
	v_cmp_gt_u32_e64 s[0:1], 2, v19
	s_waitcnt lgkmcnt(0)
	v_mov_b32_e32 v11, 0xff7fffff
	v_lshlrev_b32_e32 v8, 2, v19
	s_barrier
	s_and_saveexec_b64 s[2:3], s[0:1]
	s_cbranch_execz .LBB127_23
; %bb.22:
	ds_read_b32 v11, v8 offset:128
.LBB127_23:
	s_or_b64 exec, exec, s[2:3]
	v_xor_b32_e32 v12, 1, v2
	v_cmp_lt_i32_e64 s[2:3], v12, v3
	v_lshlrev_b32_e32 v13, 2, v2
	s_nop 0
	v_cndmask_b32_e64 v12, v2, v12, s[2:3]
	v_lshlrev_b32_e32 v20, 2, v12
	s_waitcnt lgkmcnt(0)
	ds_bpermute_b32 v12, v20, v11
	v_max_f32_e32 v11, v11, v11
	s_lshl_b32 s2, s16, 4
	s_min_i32 s15, s2, s33
	v_cmp_gt_i32_e64 s[2:3], s15, v0
	s_waitcnt lgkmcnt(0)
	v_max_f32_e32 v12, v12, v12
	v_max_f32_e32 v12, v11, v12
	v_and_b32_e32 v11, 0x100, v13
	ds_bpermute_b32 v13, v11, v12
	v_mov_b32_e32 v12, 0
	s_and_saveexec_b64 s[30:31], s[2:3]
	s_cbranch_execz .LBB127_27
; %bb.24:
	v_mov_b32_e32 v12, 0x90
	v_lshl_add_u32 v14, v0, 2, v12
	s_mov_b64 s[34:35], 0
	v_mov_b32_e32 v12, 0
	v_mov_b32_e32 v15, v0
.LBB127_25:                             ; =>This Inner Loop Header: Depth=1
	ds_read_b32 v16, v14
	v_add_u32_e32 v15, 0x80, v15
	v_cmp_le_i32_e64 s[8:9], s15, v15
	s_or_b64 s[34:35], s[8:9], s[34:35]
	s_waitcnt lgkmcnt(0)
	v_sub_f32_e32 v16, v16, v13
	v_mul_f32_e32 v16, 0x3fb8aa3b, v16
	v_exp_f32_e32 v16, v16
	ds_write_b32 v14, v16
	v_add_f32_e32 v12, v12, v16
	v_add_u32_e32 v14, 0x200, v14
	s_andn2_b64 exec, exec, s[34:35]
	s_cbranch_execnz .LBB127_25
; %bb.26:
	s_or_b64 exec, exec, s[34:35]
.LBB127_27:
	s_or_b64 exec, exec, s[30:31]
	ds_bpermute_b32 v4, v4, v12
	s_waitcnt lgkmcnt(0)
	v_add_f32_e32 v4, v12, v4
	ds_bpermute_b32 v5, v5, v4
	s_waitcnt lgkmcnt(0)
	v_add_f32_e32 v4, v4, v5
	ds_bpermute_b32 v5, v9, v4
	v_xor_b32_e32 v9, 2, v2
	v_cmp_lt_i32_e64 s[8:9], v9, v3
	s_waitcnt lgkmcnt(0)
	v_add_f32_e32 v4, v4, v5
	ds_bpermute_b32 v5, v10, v4
	v_cndmask_b32_e64 v2, v2, v9, s[8:9]
	v_lshlrev_b32_e32 v2, 2, v2
	s_waitcnt lgkmcnt(0)
	v_add_f32_e32 v3, v4, v5
	ds_bpermute_b32 v2, v2, v3
	s_waitcnt lgkmcnt(0)
	v_add_f32_e32 v2, v3, v2
	ds_bpermute_b32 v3, v20, v2
	s_waitcnt lgkmcnt(0)
	v_add_f32_e32 v2, v2, v3
	s_and_saveexec_b64 s[8:9], vcc
	s_cbranch_execz .LBB127_29
; %bb.28:
	ds_write_b32 v7, v2 offset:136
.LBB127_29:
	s_or_b64 exec, exec, s[8:9]
	s_waitcnt lgkmcnt(0)
	s_barrier
	s_and_saveexec_b64 s[8:9], s[0:1]
	s_cbranch_execz .LBB127_31
; %bb.30:
	ds_read_b32 v2, v8 offset:136
.LBB127_31:
	s_or_b64 exec, exec, s[8:9]
	s_waitcnt lgkmcnt(0)
	ds_bpermute_b32 v3, v20, v2
	s_waitcnt lgkmcnt(0)
	v_add_f32_e32 v2, v2, v3
	ds_bpermute_b32 v2, v11, v2
	s_and_saveexec_b64 s[0:1], s[2:3]
	s_cbranch_execz .LBB127_44
; %bb.32:
	s_waitcnt lgkmcnt(0)
	v_add_f32_e32 v2, 0x358637bd, v2
	v_div_scale_f32 v3, s[2:3], v2, v2, 1.0
	v_rcp_f32_e32 v4, v3
	v_div_scale_f32 v5, vcc, 1.0, v2, 1.0
	s_movk_i32 s2, 0x7f
	v_fma_f32 v7, -v3, v4, 1.0
	v_fmac_f32_e32 v4, v7, v4
	v_mul_f32_e32 v7, v5, v4
	v_fma_f32 v8, -v3, v7, v5
	v_fmac_f32_e32 v7, v8, v4
	v_fma_f32 v3, -v3, v7, v5
	v_div_fmas_f32 v3, v3, v4, v7
	v_xad_u32 v4, v0, -1, s15
	v_div_fixup_f32 v2, v3, v2, 1.0
	v_cmp_lt_u32_e32 vcc, s2, v4
	s_mov_b64 s[8:9], -1
	v_mov_b32_e32 v3, v0
	s_and_saveexec_b64 s[2:3], vcc
	s_cbranch_execz .LBB127_41
; %bb.33:
	v_lshrrev_b32_e32 v4, 7, v4
	v_add_u32_e32 v7, -1, v4
	v_lshrrev_b32_e32 v5, 1, v7
	v_mov_b32_e32 v3, v2
	v_add_u32_e32 v5, 1, v5
	v_cmp_lt_u32_e32 vcc, 13, v7
	v_mov_b32_e32 v9, 0
	s_and_saveexec_b64 s[8:9], vcc
	s_cbranch_execz .LBB127_37
; %bb.34:
	v_mov_b32_e32 v8, 0x90
	v_and_b32_e32 v7, -8, v5
	v_lshl_add_u32 v8, v0, 2, v8
	s_mov_b32 s34, 0
	s_mov_b64 s[30:31], 0
.LBB127_35:                             ; =>This Inner Loop Header: Depth=1
	ds_read2st64_b32 v[10:11], v8 offset1:2
	ds_read2st64_b32 v[12:13], v8 offset0:4 offset1:6
	ds_read2st64_b32 v[14:15], v8 offset0:8 offset1:10
	;; [unrolled: 1-line block ×3, first 2 shown]
	v_add_u32_e32 v7, -8, v7
	s_waitcnt lgkmcnt(3)
	v_pk_mul_f32 v[10:11], v[2:3], v[10:11]
	s_waitcnt lgkmcnt(2)
	v_pk_mul_f32 v[12:13], v[2:3], v[12:13]
	ds_write2st64_b32 v8, v10, v11 offset1:2
	ds_write2st64_b32 v8, v12, v13 offset0:4 offset1:6
	ds_read2st64_b32 v[12:13], v8 offset0:16 offset1:18
	s_waitcnt lgkmcnt(4)
	v_pk_mul_f32 v[10:11], v[2:3], v[14:15]
	ds_write2st64_b32 v8, v10, v11 offset0:8 offset1:10
	s_waitcnt lgkmcnt(4)
	v_pk_mul_f32 v[10:11], v[2:3], v[16:17]
	ds_write2st64_b32 v8, v10, v11 offset0:12 offset1:14
	ds_read2st64_b32 v[10:11], v8 offset0:20 offset1:22
	s_waitcnt lgkmcnt(3)
	v_pk_mul_f32 v[12:13], v[2:3], v[12:13]
	ds_read2st64_b32 v[14:15], v8 offset0:24 offset1:26
	ds_write2st64_b32 v8, v12, v13 offset0:16 offset1:18
	ds_read2st64_b32 v[12:13], v8 offset0:28 offset1:30
	s_waitcnt lgkmcnt(3)
	v_pk_mul_f32 v[10:11], v[2:3], v[10:11]
	ds_write2st64_b32 v8, v10, v11 offset0:20 offset1:22
	s_waitcnt lgkmcnt(3)
	v_pk_mul_f32 v[10:11], v[2:3], v[14:15]
	ds_write2st64_b32 v8, v10, v11 offset0:24 offset1:26
	s_waitcnt lgkmcnt(2)
	v_pk_mul_f32 v[10:11], v[2:3], v[12:13]
	s_add_i32 s34, s34, 16
	v_cmp_eq_u32_e32 vcc, 0, v7
	ds_write2st64_b32 v8, v10, v11 offset0:28 offset1:30
	v_add_u32_e32 v8, 0x2000, v8
	s_or_b64 s[30:31], vcc, s[30:31]
	v_mov_b32_e32 v9, s34
	s_andn2_b64 exec, exec, s[30:31]
	s_cbranch_execnz .LBB127_35
; %bb.36:
	s_or_b64 exec, exec, s[30:31]
.LBB127_37:
	s_or_b64 exec, exec, s[8:9]
	v_and_b32_e32 v5, 7, v5
	v_cmp_ne_u32_e32 vcc, 0, v5
	s_and_saveexec_b64 s[8:9], vcc
	s_cbranch_execz .LBB127_40
; %bb.38:
	v_lshlrev_b32_e32 v7, 9, v9
	v_lshlrev_b32_e32 v8, 2, v0
	s_movk_i32 s30, 0x90
	v_add3_u32 v7, v7, v8, s30
	s_mov_b64 s[30:31], 0
.LBB127_39:                             ; =>This Inner Loop Header: Depth=1
	ds_read2st64_b32 v[8:9], v7 offset1:2
	v_add_u32_e32 v5, -1, v5
	v_cmp_eq_u32_e32 vcc, 0, v5
	s_or_b64 s[30:31], vcc, s[30:31]
	s_waitcnt lgkmcnt(0)
	v_pk_mul_f32 v[8:9], v[2:3], v[8:9]
	ds_write2st64_b32 v7, v8, v9 offset1:2
	v_add_u32_e32 v7, 0x400, v7
	s_andn2_b64 exec, exec, s[30:31]
	s_cbranch_execnz .LBB127_39
.LBB127_40:
	s_or_b64 exec, exec, s[8:9]
	v_add_u32_e32 v4, 1, v4
	v_and_b32_e32 v5, 0x3fffffe, v4
	v_cmp_ne_u32_e32 vcc, v4, v5
	v_lshl_add_u32 v3, v5, 7, v0
	s_orn2_b64 s[8:9], vcc, exec
.LBB127_41:
	s_or_b64 exec, exec, s[2:3]
	s_and_b64 exec, exec, s[8:9]
	s_cbranch_execz .LBB127_44
; %bb.42:
	v_mov_b32_e32 v4, 0x90
	v_lshl_add_u32 v4, v3, 2, v4
	s_mov_b64 s[2:3], 0
.LBB127_43:                             ; =>This Inner Loop Header: Depth=1
	ds_read_b32 v5, v4
	v_add_u32_e32 v3, 0x80, v3
	v_cmp_le_i32_e32 vcc, s15, v3
	s_or_b64 s[2:3], vcc, s[2:3]
	s_waitcnt lgkmcnt(0)
	v_mul_f32_e32 v5, v2, v5
	ds_write_b32 v4, v5
	v_add_u32_e32 v4, 0x200, v4
	s_andn2_b64 exec, exec, s[2:3]
	s_cbranch_execnz .LBB127_43
.LBB127_44:
	s_or_b64 exec, exec, s[0:1]
	v_mov_b32_e32 v13, 0
	v_and_b32_e32 v21, 1, v0
	v_mov_b32_e32 v12, v13
	s_waitcnt lgkmcnt(0)
	s_barrier
	s_and_saveexec_b64 s[2:3], s[6:7]
	s_cbranch_execz .LBB127_150
; %bb.45:
	s_ashr_i32 s15, s14, 31
	s_sub_i32 s17, s12, s17
	s_lshl_b64 s[0:1], s[14:15], 1
	s_add_u32 s0, s28, s0
	s_addc_u32 s1, s29, s1
	s_abs_i32 s14, s18
	v_cvt_f32_u32_e32 v2, s14
	v_lshlrev_b32_e32 v3, 3, v0
	v_lshlrev_b32_e32 v4, 4, v0
	s_sub_i32 s6, 0, s14
	v_rcp_iflag_f32_e32 v2, v2
	v_mov_b32_e32 v11, 0
	v_and_b32_e32 v22, 8, v3
	v_and_b32_e32 v10, 0x3f0, v4
	v_mul_f32_e32 v2, 0x4f7ffffe, v2
	v_cvt_u32_f32_e32 v2, v2
	s_add_i32 s18, s16, -1
	v_lshl_add_u64 v[14:15], s[0:1], 0, v[10:11]
	s_lshl_b64 s[0:1], s[26:27], 2
	v_mul_lo_u32 v3, s6, v2
	v_mul_hi_u32 v3, v2, v3
	v_add_u32_e32 v23, v2, v3
	s_add_u32 s0, s24, s0
	v_lshlrev_b32_e32 v2, 5, v21
	v_and_b32_e32 v10, 60, v6
	s_addc_u32 s1, s25, s1
	v_lshl_or_b32 v2, v1, 6, v2
	s_mov_b32 s15, s13
	v_lshl_add_u64 v[16:17], s[0:1], 0, v[10:11]
	v_add_u32_e32 v10, 0x90, v2
	s_mov_b64 s[6:7], 0
	s_mov_b32 s24, 0x7f800000
	s_movk_i32 s25, 0x7fff
	v_mov_b32_e32 v12, 0
	v_mov_b32_e32 v13, v11
	s_branch .LBB127_48
.LBB127_46:                             ;   in Loop: Header=BB127_48 Depth=1
	s_or_b64 exec, exec, s[0:1]
	v_and_b32_e32 v35, 0xffff0000, v25
	v_and_b32_e32 v34, 0xffff0000, v9
	;; [unrolled: 1-line block ×4, first 2 shown]
	v_pk_add_f32 v[8:9], v[8:9], v[34:35]
	v_and_b32_e32 v33, 0xffff0000, v37
	v_and_b32_e32 v32, 0xffff0000, v27
	;; [unrolled: 1-line block ×4, first 2 shown]
	v_mov_b32_e32 v24, v9
	v_pk_add_f32 v[8:9], v[8:9], v[24:25]
	v_pk_add_f32 v[24:25], v[26:27], v[32:33]
	v_and_b32_e32 v27, 0xffff0000, v29
	v_and_b32_e32 v26, 0xffff0000, v7
	;; [unrolled: 1-line block ×4, first 2 shown]
	v_pk_add_f32 v[8:9], v[8:9], v[24:25]
	v_mov_b32_e32 v24, v25
	v_pk_add_f32 v[2:3], v[2:3], v[26:27]
	v_pk_add_f32 v[8:9], v[8:9], v[24:25]
	v_and_b32_e32 v25, 0xffff0000, v6
	v_and_b32_e32 v24, 0xffff0000, v30
	;; [unrolled: 1-line block ×4, first 2 shown]
	v_mov_b32_e32 v6, v3
	v_pk_add_f32 v[2:3], v[2:3], v[6:7]
	v_pk_add_f32 v[4:5], v[4:5], v[24:25]
	v_pk_add_f32 v[8:9], v[12:13], v[8:9]
	v_pk_add_f32 v[2:3], v[2:3], v[4:5]
	v_mov_b32_e32 v4, v5
	v_pk_add_f32 v[2:3], v[2:3], v[4:5]
	s_nop 0
	v_mov_b32_e32 v3, v2
	v_pk_add_f32 v[2:3], v[12:13], v[2:3]
	s_nop 0
	v_mov_b32_e32 v9, v3
	v_mov_b64_e32 v[12:13], v[8:9]
.LBB127_47:                             ;   in Loop: Header=BB127_48 Depth=1
	s_or_b64 exec, exec, s[8:9]
	v_add_u32_e32 v1, 2, v1
	v_cmp_le_i32_e32 vcc, s16, v1
	v_lshl_add_u64 v[16:17], v[16:17], 0, 8
	v_add_u32_e32 v18, 32, v18
	s_or_b64 s[6:7], vcc, s[6:7]
	v_add_u32_e32 v10, 0x80, v10
	s_andn2_b64 exec, exec, s[6:7]
	s_cbranch_execz .LBB127_149
.LBB127_48:                             ; =>This Inner Loop Header: Depth=1
	v_mul_hi_u32 v2, v18, s40
	v_mul_lo_u32 v3, v2, s21
	v_sub_u32_e32 v3, v18, v3
	v_add_u32_e32 v4, 1, v2
	v_cmp_le_u32_e32 vcc, s21, v3
	s_nop 1
	v_cndmask_b32_e32 v2, v2, v4, vcc
	v_subrev_u32_e32 v4, s21, v3
	v_cndmask_b32_e32 v3, v3, v4, vcc
	v_add_u32_e32 v4, 1, v2
	v_cmp_le_u32_e32 vcc, s21, v3
	s_nop 1
	v_cndmask_b32_e32 v2, v2, v4, vcc
	v_xor_b32_e32 v2, s19, v2
	v_subrev_u32_e32 v2, s19, v2
	v_add_u32_e32 v3, s41, v2
	v_sub_u32_e32 v5, 0, v3
	v_ashrrev_i32_e32 v4, 31, v3
	v_max_i32_e32 v3, v3, v5
	v_mul_hi_u32 v5, v3, v23
	v_mul_lo_u32 v5, v5, s14
	v_sub_u32_e32 v3, v3, v5
	v_subrev_u32_e32 v5, s14, v3
	v_cmp_le_u32_e32 vcc, s14, v3
	v_cmp_lt_i32_e64 s[0:1], s17, v2
	s_nop 0
	v_cndmask_b32_e32 v3, v3, v5, vcc
	v_subrev_u32_e32 v5, s14, v3
	v_cmp_le_u32_e32 vcc, s14, v3
	s_nop 1
	v_cndmask_b32_e32 v3, v3, v5, vcc
	v_xor_b32_e32 v3, v3, v4
	v_sub_u32_e32 v3, v3, v4
	v_cmp_eq_u32_e32 vcc, 0, v3
	s_or_b64 s[0:1], vcc, s[0:1]
	s_and_saveexec_b64 s[8:9], s[0:1]
	s_cbranch_execz .LBB127_47
; %bb.49:                               ;   in Loop: Header=BB127_48 Depth=1
	global_load_dword v29, v[16:17], off
	ds_read2_b64 v[6:9], v10 offset1:1
	ds_read2_b64 v[2:5], v10 offset0:2 offset1:3
                                        ; implicit-def: $vgpr38
	s_waitcnt lgkmcnt(1)
	v_and_b32_e32 v24, 0x7f800000, v6
	v_cmp_ne_u32_e32 vcc, s24, v24
	s_and_saveexec_b64 s[0:1], vcc
	s_xor_b64 s[0:1], exec, s[0:1]
; %bb.50:                               ;   in Loop: Header=BB127_48 Depth=1
	v_bfe_u32 v24, v6, 16, 1
	v_add3_u32 v38, v6, v24, s25
; %bb.51:                               ;   in Loop: Header=BB127_48 Depth=1
	s_andn2_saveexec_b64 s[0:1], s[0:1]
; %bb.52:                               ;   in Loop: Header=BB127_48 Depth=1
	v_or_b32_e32 v24, 0x10000, v6
	v_cmp_eq_u32_sdwa vcc, v6, v11 src0_sel:WORD_0 src1_sel:DWORD
	s_nop 1
	v_cndmask_b32_e32 v38, v24, v6, vcc
; %bb.53:                               ;   in Loop: Header=BB127_48 Depth=1
	s_or_b64 exec, exec, s[0:1]
	v_and_b32_e32 v6, 0x7f800000, v7
	v_cmp_ne_u32_e32 vcc, s24, v6
                                        ; implicit-def: $vgpr39
	s_and_saveexec_b64 s[0:1], vcc
	s_xor_b64 s[0:1], exec, s[0:1]
; %bb.54:                               ;   in Loop: Header=BB127_48 Depth=1
	v_bfe_u32 v6, v7, 16, 1
	v_add3_u32 v39, v7, v6, s25
; %bb.55:                               ;   in Loop: Header=BB127_48 Depth=1
	s_andn2_saveexec_b64 s[0:1], s[0:1]
; %bb.56:                               ;   in Loop: Header=BB127_48 Depth=1
	v_or_b32_e32 v6, 0x10000, v7
	v_cmp_eq_u32_sdwa vcc, v7, v11 src0_sel:WORD_0 src1_sel:DWORD
	s_nop 1
	v_cndmask_b32_e32 v39, v6, v7, vcc
; %bb.57:                               ;   in Loop: Header=BB127_48 Depth=1
	s_or_b64 exec, exec, s[0:1]
	v_and_b32_e32 v6, 0x7f800000, v8
	v_cmp_ne_u32_e32 vcc, s24, v6
                                        ; implicit-def: $vgpr24
	s_and_saveexec_b64 s[0:1], vcc
	s_xor_b64 s[0:1], exec, s[0:1]
; %bb.58:                               ;   in Loop: Header=BB127_48 Depth=1
	v_bfe_u32 v6, v8, 16, 1
	v_add3_u32 v24, v8, v6, s25
; %bb.59:                               ;   in Loop: Header=BB127_48 Depth=1
	s_andn2_saveexec_b64 s[0:1], s[0:1]
; %bb.60:                               ;   in Loop: Header=BB127_48 Depth=1
	v_or_b32_e32 v6, 0x10000, v8
	v_cmp_eq_u32_sdwa vcc, v8, v11 src0_sel:WORD_0 src1_sel:DWORD
	s_nop 1
	v_cndmask_b32_e32 v24, v6, v8, vcc
; %bb.61:                               ;   in Loop: Header=BB127_48 Depth=1
	s_or_b64 exec, exec, s[0:1]
	v_and_b32_e32 v6, 0x7f800000, v9
	v_cmp_ne_u32_e32 vcc, s24, v6
                                        ; implicit-def: $vgpr25
	s_and_saveexec_b64 s[0:1], vcc
	s_xor_b64 s[0:1], exec, s[0:1]
; %bb.62:                               ;   in Loop: Header=BB127_48 Depth=1
	v_bfe_u32 v6, v9, 16, 1
	v_add3_u32 v25, v9, v6, s25
                                        ; implicit-def: $vgpr6_vgpr7_vgpr8_vgpr9
; %bb.63:                               ;   in Loop: Header=BB127_48 Depth=1
	s_andn2_saveexec_b64 s[0:1], s[0:1]
; %bb.64:                               ;   in Loop: Header=BB127_48 Depth=1
	v_or_b32_e32 v6, 0x10000, v9
	v_cmp_eq_u32_sdwa vcc, v9, v11 src0_sel:WORD_0 src1_sel:DWORD
	s_nop 1
	v_cndmask_b32_e32 v25, v6, v9, vcc
; %bb.65:                               ;   in Loop: Header=BB127_48 Depth=1
	s_or_b64 exec, exec, s[0:1]
	s_waitcnt lgkmcnt(0)
	v_and_b32_e32 v6, 0x7f800000, v2
	v_cmp_ne_u32_e32 vcc, s24, v6
                                        ; implicit-def: $vgpr26
	s_and_saveexec_b64 s[0:1], vcc
	s_xor_b64 s[0:1], exec, s[0:1]
; %bb.66:                               ;   in Loop: Header=BB127_48 Depth=1
	v_bfe_u32 v6, v2, 16, 1
	v_add3_u32 v26, v2, v6, s25
; %bb.67:                               ;   in Loop: Header=BB127_48 Depth=1
	s_andn2_saveexec_b64 s[0:1], s[0:1]
; %bb.68:                               ;   in Loop: Header=BB127_48 Depth=1
	v_or_b32_e32 v6, 0x10000, v2
	v_cmp_eq_u32_sdwa vcc, v2, v11 src0_sel:WORD_0 src1_sel:DWORD
	s_nop 1
	v_cndmask_b32_e32 v26, v6, v2, vcc
; %bb.69:                               ;   in Loop: Header=BB127_48 Depth=1
	s_or_b64 exec, exec, s[0:1]
	v_and_b32_e32 v2, 0x7f800000, v3
	v_cmp_ne_u32_e32 vcc, s24, v2
                                        ; implicit-def: $vgpr27
	s_and_saveexec_b64 s[0:1], vcc
	s_xor_b64 s[0:1], exec, s[0:1]
; %bb.70:                               ;   in Loop: Header=BB127_48 Depth=1
	v_bfe_u32 v2, v3, 16, 1
	v_add3_u32 v27, v3, v2, s25
; %bb.71:                               ;   in Loop: Header=BB127_48 Depth=1
	s_andn2_saveexec_b64 s[0:1], s[0:1]
; %bb.72:                               ;   in Loop: Header=BB127_48 Depth=1
	v_or_b32_e32 v2, 0x10000, v3
	v_cmp_eq_u32_sdwa vcc, v3, v11 src0_sel:WORD_0 src1_sel:DWORD
	s_nop 1
	v_cndmask_b32_e32 v27, v2, v3, vcc
; %bb.73:                               ;   in Loop: Header=BB127_48 Depth=1
	s_or_b64 exec, exec, s[0:1]
	v_and_b32_e32 v2, 0x7f800000, v4
	v_cmp_ne_u32_e32 vcc, s24, v2
                                        ; implicit-def: $vgpr28
	s_and_saveexec_b64 s[0:1], vcc
	s_xor_b64 s[0:1], exec, s[0:1]
; %bb.74:                               ;   in Loop: Header=BB127_48 Depth=1
	v_bfe_u32 v2, v4, 16, 1
	v_add3_u32 v28, v4, v2, s25
; %bb.75:                               ;   in Loop: Header=BB127_48 Depth=1
	s_andn2_saveexec_b64 s[0:1], s[0:1]
; %bb.76:                               ;   in Loop: Header=BB127_48 Depth=1
	v_or_b32_e32 v2, 0x10000, v4
	v_cmp_eq_u32_sdwa vcc, v4, v11 src0_sel:WORD_0 src1_sel:DWORD
	s_nop 1
	v_cndmask_b32_e32 v28, v2, v4, vcc
; %bb.77:                               ;   in Loop: Header=BB127_48 Depth=1
	s_or_b64 exec, exec, s[0:1]
	v_and_b32_e32 v2, 0x7f800000, v5
	v_cmp_ne_u32_e32 vcc, s24, v2
                                        ; implicit-def: $vgpr37
	s_and_saveexec_b64 s[0:1], vcc
	s_xor_b64 s[0:1], exec, s[0:1]
; %bb.78:                               ;   in Loop: Header=BB127_48 Depth=1
	v_bfe_u32 v2, v5, 16, 1
	v_add3_u32 v37, v5, v2, s25
                                        ; implicit-def: $vgpr2_vgpr3_vgpr4_vgpr5
; %bb.79:                               ;   in Loop: Header=BB127_48 Depth=1
	s_andn2_saveexec_b64 s[0:1], s[0:1]
; %bb.80:                               ;   in Loop: Header=BB127_48 Depth=1
	v_or_b32_e32 v2, 0x10000, v5
	v_cmp_eq_u32_sdwa vcc, v5, v11 src0_sel:WORD_0 src1_sel:DWORD
	s_nop 1
	v_cndmask_b32_e32 v37, v2, v5, vcc
; %bb.81:                               ;   in Loop: Header=BB127_48 Depth=1
	s_or_b64 exec, exec, s[0:1]
	s_waitcnt vmcnt(0)
	v_mad_i64_i32 v[2:3], s[0:1], v29, s15, 0
	v_lshl_add_u64 v[6:7], v[2:3], 1, v[14:15]
	global_load_dwordx4 v[2:5], v[6:7], off
	v_add_u32_e32 v29, v22, v18
	v_cmp_eq_u32_e32 vcc, s18, v1
	v_add_u32_e32 v36, 1, v29
	v_add_u32_e32 v35, 2, v29
	;; [unrolled: 1-line block ×7, first 2 shown]
	s_waitcnt vmcnt(0)
	v_lshrrev_b32_e32 v9, 16, v2
	v_lshrrev_b32_e32 v42, 16, v3
	;; [unrolled: 1-line block ×4, first 2 shown]
	s_and_saveexec_b64 s[12:13], vcc
	s_cbranch_execz .LBB127_83
; %bb.82:                               ;   in Loop: Header=BB127_48 Depth=1
	v_cmp_gt_i32_e64 s[0:1], s33, v29
	s_nop 1
	v_cndmask_b32_e64 v2, 0, v2, s[0:1]
	v_cmp_gt_i32_e64 s[0:1], s33, v36
	s_nop 1
	v_cndmask_b32_e64 v9, 0, v9, s[0:1]
	v_cmp_gt_i32_e64 s[0:1], s33, v35
	s_nop 1
	v_cndmask_b32_e64 v3, 0, v3, s[0:1]
	v_cmp_gt_i32_e64 s[0:1], s33, v33
	s_nop 1
	v_cndmask_b32_e64 v42, 0, v42, s[0:1]
	v_cmp_gt_i32_e64 s[0:1], s33, v32
	s_nop 1
	v_cndmask_b32_e64 v4, 0, v4, s[0:1]
	v_cmp_gt_i32_e64 s[0:1], s33, v31
	s_nop 1
	v_cndmask_b32_e64 v44, 0, v44, s[0:1]
	v_cmp_gt_i32_e64 s[0:1], s33, v30
	s_nop 1
	v_cndmask_b32_e64 v5, 0, v5, s[0:1]
	v_cmp_gt_i32_e64 s[0:1], s33, v34
	s_nop 1
	v_cndmask_b32_e64 v46, 0, v46, s[0:1]
.LBB127_83:                             ;   in Loop: Header=BB127_48 Depth=1
	s_or_b64 exec, exec, s[12:13]
	v_and_b32_e32 v38, 0xffff0000, v38
	v_lshlrev_b32_e32 v2, 16, v2
	v_mul_f32_e32 v2, v38, v2
	v_and_b32_e32 v8, 0x7f800000, v2
	v_cmp_ne_u32_e64 s[0:1], s24, v8
                                        ; implicit-def: $vgpr8
	s_and_saveexec_b64 s[12:13], s[0:1]
	s_xor_b64 s[0:1], exec, s[12:13]
; %bb.84:                               ;   in Loop: Header=BB127_48 Depth=1
	v_bfe_u32 v8, v2, 16, 1
	v_add3_u32 v8, v2, v8, s25
                                        ; implicit-def: $vgpr2
; %bb.85:                               ;   in Loop: Header=BB127_48 Depth=1
	s_andn2_saveexec_b64 s[12:13], s[0:1]
; %bb.86:                               ;   in Loop: Header=BB127_48 Depth=1
	v_or_b32_e32 v8, 0x10000, v2
	v_cmp_eq_u32_sdwa s[0:1], v2, v11 src0_sel:WORD_0 src1_sel:DWORD
	s_nop 1
	v_cndmask_b32_e64 v8, v8, v2, s[0:1]
; %bb.87:                               ;   in Loop: Header=BB127_48 Depth=1
	s_or_b64 exec, exec, s[12:13]
	v_and_b32_e32 v39, 0xffff0000, v39
	v_lshlrev_b32_e32 v2, 16, v9
	v_mul_f32_e32 v2, v39, v2
	v_and_b32_e32 v9, 0x7f800000, v2
	v_cmp_ne_u32_e64 s[0:1], s24, v9
                                        ; implicit-def: $vgpr9
	s_and_saveexec_b64 s[12:13], s[0:1]
	s_xor_b64 s[0:1], exec, s[12:13]
; %bb.88:                               ;   in Loop: Header=BB127_48 Depth=1
	v_bfe_u32 v9, v2, 16, 1
	v_add3_u32 v9, v2, v9, s25
                                        ; implicit-def: $vgpr2
; %bb.89:                               ;   in Loop: Header=BB127_48 Depth=1
	s_andn2_saveexec_b64 s[12:13], s[0:1]
; %bb.90:                               ;   in Loop: Header=BB127_48 Depth=1
	v_or_b32_e32 v9, 0x10000, v2
	v_cmp_eq_u32_sdwa s[0:1], v2, v11 src0_sel:WORD_0 src1_sel:DWORD
	s_nop 1
	v_cndmask_b32_e64 v9, v9, v2, s[0:1]
; %bb.91:                               ;   in Loop: Header=BB127_48 Depth=1
	s_or_b64 exec, exec, s[12:13]
	v_and_b32_e32 v40, 0xffff0000, v24
	v_lshlrev_b32_e32 v2, 16, v3
	v_mul_f32_e32 v2, v40, v2
	v_and_b32_e32 v3, 0x7f800000, v2
	v_cmp_ne_u32_e64 s[0:1], s24, v3
                                        ; implicit-def: $vgpr24
	s_and_saveexec_b64 s[12:13], s[0:1]
	s_xor_b64 s[0:1], exec, s[12:13]
; %bb.92:                               ;   in Loop: Header=BB127_48 Depth=1
	v_bfe_u32 v3, v2, 16, 1
	v_add3_u32 v24, v2, v3, s25
                                        ; implicit-def: $vgpr2
; %bb.93:                               ;   in Loop: Header=BB127_48 Depth=1
	s_andn2_saveexec_b64 s[12:13], s[0:1]
; %bb.94:                               ;   in Loop: Header=BB127_48 Depth=1
	v_or_b32_e32 v3, 0x10000, v2
	v_cmp_eq_u32_sdwa s[0:1], v2, v11 src0_sel:WORD_0 src1_sel:DWORD
	s_nop 1
	v_cndmask_b32_e64 v24, v3, v2, s[0:1]
; %bb.95:                               ;   in Loop: Header=BB127_48 Depth=1
	s_or_b64 exec, exec, s[12:13]
	v_and_b32_e32 v41, 0xffff0000, v25
	v_lshlrev_b32_e32 v2, 16, v42
	v_mul_f32_e32 v2, v41, v2
	v_and_b32_e32 v3, 0x7f800000, v2
	v_cmp_ne_u32_e64 s[0:1], s24, v3
                                        ; implicit-def: $vgpr25
	s_and_saveexec_b64 s[12:13], s[0:1]
	s_xor_b64 s[0:1], exec, s[12:13]
; %bb.96:                               ;   in Loop: Header=BB127_48 Depth=1
	v_bfe_u32 v3, v2, 16, 1
	v_add3_u32 v25, v2, v3, s25
                                        ; implicit-def: $vgpr2
; %bb.97:                               ;   in Loop: Header=BB127_48 Depth=1
	s_andn2_saveexec_b64 s[12:13], s[0:1]
; %bb.98:                               ;   in Loop: Header=BB127_48 Depth=1
	v_or_b32_e32 v3, 0x10000, v2
	v_cmp_eq_u32_sdwa s[0:1], v2, v11 src0_sel:WORD_0 src1_sel:DWORD
	s_nop 1
	v_cndmask_b32_e64 v25, v3, v2, s[0:1]
; %bb.99:                               ;   in Loop: Header=BB127_48 Depth=1
	s_or_b64 exec, exec, s[12:13]
	v_and_b32_e32 v42, 0xffff0000, v26
	v_lshlrev_b32_e32 v2, 16, v4
	v_mul_f32_e32 v2, v42, v2
	v_and_b32_e32 v3, 0x7f800000, v2
	v_cmp_ne_u32_e64 s[0:1], s24, v3
                                        ; implicit-def: $vgpr26
	s_and_saveexec_b64 s[12:13], s[0:1]
	s_xor_b64 s[0:1], exec, s[12:13]
; %bb.100:                              ;   in Loop: Header=BB127_48 Depth=1
	v_bfe_u32 v3, v2, 16, 1
	v_add3_u32 v26, v2, v3, s25
                                        ; implicit-def: $vgpr2
; %bb.101:                              ;   in Loop: Header=BB127_48 Depth=1
	s_andn2_saveexec_b64 s[12:13], s[0:1]
; %bb.102:                              ;   in Loop: Header=BB127_48 Depth=1
	v_or_b32_e32 v3, 0x10000, v2
	v_cmp_eq_u32_sdwa s[0:1], v2, v11 src0_sel:WORD_0 src1_sel:DWORD
	s_nop 1
	v_cndmask_b32_e64 v26, v3, v2, s[0:1]
; %bb.103:                              ;   in Loop: Header=BB127_48 Depth=1
	s_or_b64 exec, exec, s[12:13]
	v_and_b32_e32 v43, 0xffff0000, v27
	v_lshlrev_b32_e32 v2, 16, v44
	v_mul_f32_e32 v2, v43, v2
	v_and_b32_e32 v3, 0x7f800000, v2
	v_cmp_ne_u32_e64 s[0:1], s24, v3
                                        ; implicit-def: $vgpr27
	s_and_saveexec_b64 s[12:13], s[0:1]
	s_xor_b64 s[0:1], exec, s[12:13]
; %bb.104:                              ;   in Loop: Header=BB127_48 Depth=1
	v_bfe_u32 v3, v2, 16, 1
	v_add3_u32 v27, v2, v3, s25
                                        ; implicit-def: $vgpr2
; %bb.105:                              ;   in Loop: Header=BB127_48 Depth=1
	s_andn2_saveexec_b64 s[12:13], s[0:1]
; %bb.106:                              ;   in Loop: Header=BB127_48 Depth=1
	v_or_b32_e32 v3, 0x10000, v2
	v_cmp_eq_u32_sdwa s[0:1], v2, v11 src0_sel:WORD_0 src1_sel:DWORD
	s_nop 1
	v_cndmask_b32_e64 v27, v3, v2, s[0:1]
; %bb.107:                              ;   in Loop: Header=BB127_48 Depth=1
	s_or_b64 exec, exec, s[12:13]
	v_and_b32_e32 v44, 0xffff0000, v28
	v_lshlrev_b32_e32 v2, 16, v5
	v_mul_f32_e32 v2, v44, v2
	v_and_b32_e32 v3, 0x7f800000, v2
	v_cmp_ne_u32_e64 s[0:1], s24, v3
                                        ; implicit-def: $vgpr28
	s_and_saveexec_b64 s[12:13], s[0:1]
	s_xor_b64 s[0:1], exec, s[12:13]
; %bb.108:                              ;   in Loop: Header=BB127_48 Depth=1
	v_bfe_u32 v3, v2, 16, 1
	v_add3_u32 v28, v2, v3, s25
                                        ; implicit-def: $vgpr2
; %bb.109:                              ;   in Loop: Header=BB127_48 Depth=1
	s_andn2_saveexec_b64 s[12:13], s[0:1]
; %bb.110:                              ;   in Loop: Header=BB127_48 Depth=1
	v_or_b32_e32 v3, 0x10000, v2
	v_cmp_eq_u32_sdwa s[0:1], v2, v11 src0_sel:WORD_0 src1_sel:DWORD
	s_nop 1
	v_cndmask_b32_e64 v28, v3, v2, s[0:1]
; %bb.111:                              ;   in Loop: Header=BB127_48 Depth=1
	s_or_b64 exec, exec, s[12:13]
	v_and_b32_e32 v45, 0xffff0000, v37
	v_lshlrev_b32_e32 v2, 16, v46
	v_mul_f32_e32 v2, v45, v2
	v_and_b32_e32 v3, 0x7f800000, v2
	v_cmp_ne_u32_e64 s[0:1], s24, v3
                                        ; implicit-def: $vgpr37
	s_and_saveexec_b64 s[12:13], s[0:1]
	s_xor_b64 s[0:1], exec, s[12:13]
; %bb.112:                              ;   in Loop: Header=BB127_48 Depth=1
	v_bfe_u32 v3, v2, 16, 1
	v_add3_u32 v37, v2, v3, s25
                                        ; implicit-def: $vgpr2
; %bb.113:                              ;   in Loop: Header=BB127_48 Depth=1
	s_andn2_saveexec_b64 s[12:13], s[0:1]
; %bb.114:                              ;   in Loop: Header=BB127_48 Depth=1
	v_or_b32_e32 v3, 0x10000, v2
	v_cmp_eq_u32_sdwa s[0:1], v2, v11 src0_sel:WORD_0 src1_sel:DWORD
	s_nop 1
	v_cndmask_b32_e64 v37, v3, v2, s[0:1]
; %bb.115:                              ;   in Loop: Header=BB127_48 Depth=1
	s_or_b64 exec, exec, s[12:13]
	global_load_dwordx4 v[2:5], v[6:7], off offset:1024
	s_waitcnt vmcnt(0)
	v_lshrrev_b32_e32 v7, 16, v2
	v_lshrrev_b32_e32 v47, 16, v3
	;; [unrolled: 1-line block ×4, first 2 shown]
	s_and_saveexec_b64 s[0:1], vcc
	s_cbranch_execz .LBB127_117
; %bb.116:                              ;   in Loop: Header=BB127_48 Depth=1
	v_cmp_gt_i32_e32 vcc, s33, v29
	s_nop 1
	v_cndmask_b32_e32 v2, 0, v2, vcc
	v_cmp_gt_i32_e32 vcc, s33, v36
	s_nop 1
	v_cndmask_b32_e32 v7, 0, v7, vcc
	;; [unrolled: 3-line block ×8, first 2 shown]
.LBB127_117:                            ;   in Loop: Header=BB127_48 Depth=1
	s_or_b64 exec, exec, s[0:1]
	v_lshlrev_b32_e32 v2, 16, v2
	v_mul_f32_e32 v29, v38, v2
	v_and_b32_e32 v2, 0x7f800000, v29
	v_cmp_ne_u32_e32 vcc, s24, v2
                                        ; implicit-def: $vgpr2
	s_and_saveexec_b64 s[0:1], vcc
	s_xor_b64 s[0:1], exec, s[0:1]
; %bb.118:                              ;   in Loop: Header=BB127_48 Depth=1
	v_bfe_u32 v2, v29, 16, 1
	v_add3_u32 v2, v29, v2, s25
                                        ; implicit-def: $vgpr29
; %bb.119:                              ;   in Loop: Header=BB127_48 Depth=1
	s_andn2_saveexec_b64 s[0:1], s[0:1]
; %bb.120:                              ;   in Loop: Header=BB127_48 Depth=1
	v_or_b32_e32 v2, 0x10000, v29
	v_cmp_eq_u32_sdwa vcc, v29, v11 src0_sel:WORD_0 src1_sel:DWORD
	s_nop 1
	v_cndmask_b32_e32 v2, v2, v29, vcc
; %bb.121:                              ;   in Loop: Header=BB127_48 Depth=1
	s_or_b64 exec, exec, s[0:1]
	v_lshlrev_b32_e32 v7, 16, v7
	v_mul_f32_e32 v29, v39, v7
	v_and_b32_e32 v7, 0x7f800000, v29
	v_cmp_ne_u32_e32 vcc, s24, v7
                                        ; implicit-def: $vgpr7
	s_and_saveexec_b64 s[0:1], vcc
	s_xor_b64 s[0:1], exec, s[0:1]
; %bb.122:                              ;   in Loop: Header=BB127_48 Depth=1
	v_bfe_u32 v7, v29, 16, 1
	v_add3_u32 v7, v29, v7, s25
                                        ; implicit-def: $vgpr29
; %bb.123:                              ;   in Loop: Header=BB127_48 Depth=1
	s_andn2_saveexec_b64 s[0:1], s[0:1]
; %bb.124:                              ;   in Loop: Header=BB127_48 Depth=1
	v_or_b32_e32 v7, 0x10000, v29
	v_cmp_eq_u32_sdwa vcc, v29, v11 src0_sel:WORD_0 src1_sel:DWORD
	s_nop 1
	v_cndmask_b32_e32 v7, v7, v29, vcc
; %bb.125:                              ;   in Loop: Header=BB127_48 Depth=1
	s_or_b64 exec, exec, s[0:1]
	v_lshlrev_b32_e32 v3, 16, v3
	v_mul_f32_e32 v29, v40, v3
	v_and_b32_e32 v3, 0x7f800000, v29
	v_cmp_ne_u32_e32 vcc, s24, v3
                                        ; implicit-def: $vgpr3
	s_and_saveexec_b64 s[0:1], vcc
	s_xor_b64 s[0:1], exec, s[0:1]
; %bb.126:                              ;   in Loop: Header=BB127_48 Depth=1
	v_bfe_u32 v3, v29, 16, 1
	v_add3_u32 v3, v29, v3, s25
                                        ; implicit-def: $vgpr29
; %bb.127:                              ;   in Loop: Header=BB127_48 Depth=1
	s_andn2_saveexec_b64 s[0:1], s[0:1]
; %bb.128:                              ;   in Loop: Header=BB127_48 Depth=1
	v_or_b32_e32 v3, 0x10000, v29
	v_cmp_eq_u32_sdwa vcc, v29, v11 src0_sel:WORD_0 src1_sel:DWORD
	s_nop 1
	v_cndmask_b32_e32 v3, v3, v29, vcc
; %bb.129:                              ;   in Loop: Header=BB127_48 Depth=1
	s_or_b64 exec, exec, s[0:1]
	v_lshlrev_b32_e32 v29, 16, v47
	v_mul_f32_e32 v30, v41, v29
	v_and_b32_e32 v29, 0x7f800000, v30
	v_cmp_ne_u32_e32 vcc, s24, v29
                                        ; implicit-def: $vgpr29
	s_and_saveexec_b64 s[0:1], vcc
	s_xor_b64 s[0:1], exec, s[0:1]
; %bb.130:                              ;   in Loop: Header=BB127_48 Depth=1
	v_bfe_u32 v29, v30, 16, 1
	v_add3_u32 v29, v30, v29, s25
                                        ; implicit-def: $vgpr30
; %bb.131:                              ;   in Loop: Header=BB127_48 Depth=1
	s_andn2_saveexec_b64 s[0:1], s[0:1]
; %bb.132:                              ;   in Loop: Header=BB127_48 Depth=1
	v_or_b32_e32 v29, 0x10000, v30
	v_cmp_eq_u32_sdwa vcc, v30, v11 src0_sel:WORD_0 src1_sel:DWORD
	s_nop 1
	v_cndmask_b32_e32 v29, v29, v30, vcc
; %bb.133:                              ;   in Loop: Header=BB127_48 Depth=1
	s_or_b64 exec, exec, s[0:1]
	v_lshlrev_b32_e32 v4, 16, v4
	v_mul_f32_e32 v30, v42, v4
	v_and_b32_e32 v4, 0x7f800000, v30
	v_cmp_ne_u32_e32 vcc, s24, v4
                                        ; implicit-def: $vgpr4
	s_and_saveexec_b64 s[0:1], vcc
	s_xor_b64 s[0:1], exec, s[0:1]
; %bb.134:                              ;   in Loop: Header=BB127_48 Depth=1
	v_bfe_u32 v4, v30, 16, 1
	v_add3_u32 v4, v30, v4, s25
                                        ; implicit-def: $vgpr30
; %bb.135:                              ;   in Loop: Header=BB127_48 Depth=1
	s_andn2_saveexec_b64 s[0:1], s[0:1]
; %bb.136:                              ;   in Loop: Header=BB127_48 Depth=1
	v_or_b32_e32 v4, 0x10000, v30
	v_cmp_eq_u32_sdwa vcc, v30, v11 src0_sel:WORD_0 src1_sel:DWORD
	s_nop 1
	v_cndmask_b32_e32 v4, v4, v30, vcc
; %bb.137:                              ;   in Loop: Header=BB127_48 Depth=1
	s_or_b64 exec, exec, s[0:1]
	v_lshlrev_b32_e32 v30, 16, v46
	v_mul_f32_e32 v31, v43, v30
	v_and_b32_e32 v30, 0x7f800000, v31
	v_cmp_ne_u32_e32 vcc, s24, v30
                                        ; implicit-def: $vgpr30
	s_and_saveexec_b64 s[0:1], vcc
	s_xor_b64 s[0:1], exec, s[0:1]
; %bb.138:                              ;   in Loop: Header=BB127_48 Depth=1
	v_bfe_u32 v30, v31, 16, 1
	v_add3_u32 v30, v31, v30, s25
                                        ; implicit-def: $vgpr31
; %bb.139:                              ;   in Loop: Header=BB127_48 Depth=1
	s_andn2_saveexec_b64 s[0:1], s[0:1]
; %bb.140:                              ;   in Loop: Header=BB127_48 Depth=1
	v_or_b32_e32 v30, 0x10000, v31
	v_cmp_eq_u32_sdwa vcc, v31, v11 src0_sel:WORD_0 src1_sel:DWORD
	s_nop 1
	v_cndmask_b32_e32 v30, v30, v31, vcc
; %bb.141:                              ;   in Loop: Header=BB127_48 Depth=1
	s_or_b64 exec, exec, s[0:1]
	v_lshlrev_b32_e32 v5, 16, v5
	v_mul_f32_e32 v31, v44, v5
	v_and_b32_e32 v5, 0x7f800000, v31
	v_cmp_ne_u32_e32 vcc, s24, v5
                                        ; implicit-def: $vgpr5
	s_and_saveexec_b64 s[0:1], vcc
	s_xor_b64 s[0:1], exec, s[0:1]
; %bb.142:                              ;   in Loop: Header=BB127_48 Depth=1
	v_bfe_u32 v5, v31, 16, 1
	v_add3_u32 v5, v31, v5, s25
                                        ; implicit-def: $vgpr31
; %bb.143:                              ;   in Loop: Header=BB127_48 Depth=1
	s_andn2_saveexec_b64 s[0:1], s[0:1]
; %bb.144:                              ;   in Loop: Header=BB127_48 Depth=1
	v_or_b32_e32 v5, 0x10000, v31
	v_cmp_eq_u32_sdwa vcc, v31, v11 src0_sel:WORD_0 src1_sel:DWORD
	s_nop 1
	v_cndmask_b32_e32 v5, v5, v31, vcc
; %bb.145:                              ;   in Loop: Header=BB127_48 Depth=1
	s_or_b64 exec, exec, s[0:1]
	v_lshlrev_b32_e32 v6, 16, v6
	v_mul_f32_e32 v31, v45, v6
	v_and_b32_e32 v6, 0x7f800000, v31
	v_cmp_ne_u32_e32 vcc, s24, v6
                                        ; implicit-def: $vgpr6
	s_and_saveexec_b64 s[0:1], vcc
	s_xor_b64 s[0:1], exec, s[0:1]
; %bb.146:                              ;   in Loop: Header=BB127_48 Depth=1
	v_bfe_u32 v6, v31, 16, 1
	v_add3_u32 v6, v31, v6, s25
                                        ; implicit-def: $vgpr31
; %bb.147:                              ;   in Loop: Header=BB127_48 Depth=1
	s_andn2_saveexec_b64 s[0:1], s[0:1]
	s_cbranch_execz .LBB127_46
; %bb.148:                              ;   in Loop: Header=BB127_48 Depth=1
	v_or_b32_e32 v6, 0x10000, v31
	v_cmp_eq_u32_sdwa vcc, v31, v11 src0_sel:WORD_0 src1_sel:DWORD
	s_nop 1
	v_cndmask_b32_e32 v6, v6, v31, vcc
	s_branch .LBB127_46
.LBB127_149:
	s_or_b64 exec, exec, s[6:7]
.LBB127_150:
	s_or_b64 exec, exec, s[2:3]
	ds_bpermute_b32 v2, v20, v12
	ds_bpermute_b32 v3, v20, v13
	v_and_b32_e32 v1, 0x3c1, v0
	v_cmp_eq_u32_e32 vcc, 64, v1
	s_waitcnt lgkmcnt(0)
	s_barrier
	v_pk_add_f32 v[2:3], v[12:13], v[2:3]
	s_and_saveexec_b64 s[0:1], vcc
	s_cbranch_execz .LBB127_152
; %bb.151:
	v_mov_b32_e32 v1, 0x90
	v_lshl_add_u32 v1, v19, 1, v1
	ds_write2_b32 v1, v2, v3 offset1:32
.LBB127_152:
	s_or_b64 exec, exec, s[0:1]
	v_cmp_gt_u32_e32 vcc, 64, v0
	s_waitcnt lgkmcnt(0)
	s_barrier
	s_and_saveexec_b64 s[2:3], vcc
	s_cbranch_execz .LBB127_158
; %bb.153:
	v_cmp_eq_u32_e64 s[0:1], 0, v21
	v_lshrrev_b32_e32 v1, 1, v0
	s_and_saveexec_b64 s[6:7], s[0:1]
	s_cbranch_execz .LBB127_155
; %bb.154:
	v_mov_b32_e32 v4, 0x90
	v_lshl_add_u32 v4, v1, 2, v4
	ds_read_b32 v4, v4
	s_waitcnt lgkmcnt(0)
	v_add_f32_e32 v2, v2, v4
.LBB127_155:
	s_or_b64 exec, exec, s[6:7]
	s_and_saveexec_b64 s[6:7], s[0:1]
	s_cbranch_execz .LBB127_157
; %bb.156:
	v_mov_b32_e32 v4, 0x90
	v_lshl_add_u32 v1, v1, 2, v4
	ds_read_b32 v1, v1 offset:128
	s_waitcnt lgkmcnt(0)
	v_add_f32_e32 v3, v3, v1
.LBB127_157:
	s_or_b64 exec, exec, s[6:7]
.LBB127_158:
	s_or_b64 exec, exec, s[2:3]
	s_barrier
	s_and_saveexec_b64 s[0:1], vcc
	s_cbranch_execz .LBB127_169
; %bb.159:
	v_cmp_eq_u32_e32 vcc, 0, v21
	s_and_b64 exec, exec, vcc
	s_cbranch_execz .LBB127_169
; %bb.160:
	s_mov_b32 s0, 0x7f800000
	v_and_b32_e32 v1, 0x7f800000, v2
	v_cmp_ne_u32_e32 vcc, s0, v1
                                        ; implicit-def: $vgpr4
	s_and_saveexec_b64 s[0:1], vcc
	s_xor_b64 s[0:1], exec, s[0:1]
; %bb.161:
	v_bfe_u32 v1, v2, 16, 1
	s_movk_i32 s2, 0x7fff
	v_add3_u32 v4, v2, v1, s2
; %bb.162:
	s_andn2_saveexec_b64 s[0:1], s[0:1]
; %bb.163:
	v_mov_b32_e32 v1, 0
	v_or_b32_e32 v4, 0x10000, v2
	v_cmp_eq_u32_sdwa vcc, v2, v1 src0_sel:WORD_0 src1_sel:DWORD
	s_nop 1
	v_cndmask_b32_e32 v4, v4, v2, vcc
; %bb.164:
	s_or_b64 exec, exec, s[0:1]
	s_mul_i32 s0, s10, s11
	s_mul_i32 s0, s0, s5
	s_lshl_b32 s0, s0, 6
	s_ashr_i32 s1, s0, 31
	s_lshl_b64 s[0:1], s[0:1], 1
	s_add_u32 s2, s22, s0
	s_mul_i32 s0, s11, s20
	s_addc_u32 s3, s23, s1
	s_ashr_i32 s1, s0, 31
	s_lshl_b64 s[0:1], s[0:1], 1
	s_add_u32 s2, s2, s0
	s_addc_u32 s3, s3, s1
	s_lshl_b32 s0, s4, 6
	s_ashr_i32 s1, s0, 31
	s_lshl_b64 s[0:1], s[0:1], 1
	s_add_u32 s0, s2, s0
	s_mov_b32 s2, 0x7f800000
	v_and_b32_e32 v2, 0x7f800000, v3
	s_addc_u32 s1, s3, s1
	v_and_b32_e32 v0, 0x3fe, v0
	v_mov_b32_e32 v1, 0
	v_cmp_ne_u32_e32 vcc, s2, v2
	global_store_short_d16_hi v0, v4, s[0:1]
                                        ; implicit-def: $vgpr4
	s_and_saveexec_b64 s[2:3], vcc
	s_xor_b64 s[2:3], exec, s[2:3]
; %bb.165:
	v_bfe_u32 v2, v3, 16, 1
	s_movk_i32 s4, 0x7fff
	v_add3_u32 v4, v3, v2, s4
                                        ; implicit-def: $vgpr2_vgpr3
; %bb.166:
	s_or_saveexec_b64 s[2:3], s[2:3]
	v_lshl_add_u64 v[0:1], s[0:1], 0, v[0:1]
	s_xor_b64 exec, exec, s[2:3]
; %bb.167:
	v_mov_b32_e32 v2, 0
	v_or_b32_e32 v4, 0x10000, v3
	v_cmp_eq_u32_sdwa vcc, v3, v2 src0_sel:WORD_0 src1_sel:DWORD
	s_nop 1
	v_cndmask_b32_e32 v4, v4, v3, vcc
; %bb.168:
	s_or_b64 exec, exec, s[2:3]
	global_store_short_d16_hi v[0:1], v4, off offset:64
.LBB127_169:
	s_endpgm
	.section	.rodata,"a",@progbits
	.p2align	6, 0x0
	.amdhsa_kernel _ZN4vllm25paged_attention_v1_kernelI14__hip_bfloat16S1_Li64ELi16ELi128ELNS_18Fp8KVCacheDataTypeE0ELb1EEEvPT_PKS3_PKT0_S9_ifPKiSB_iPKfiiiSD_SD_iiiii
		.amdhsa_group_segment_fixed_size 144
		.amdhsa_private_segment_fixed_size 0
		.amdhsa_kernarg_size 384
		.amdhsa_user_sgpr_count 2
		.amdhsa_user_sgpr_dispatch_ptr 0
		.amdhsa_user_sgpr_queue_ptr 0
		.amdhsa_user_sgpr_kernarg_segment_ptr 1
		.amdhsa_user_sgpr_dispatch_id 0
		.amdhsa_user_sgpr_kernarg_preload_length 0
		.amdhsa_user_sgpr_kernarg_preload_offset 0
		.amdhsa_user_sgpr_private_segment_size 0
		.amdhsa_uses_dynamic_stack 0
		.amdhsa_enable_private_segment 0
		.amdhsa_system_sgpr_workgroup_id_x 1
		.amdhsa_system_sgpr_workgroup_id_y 1
		.amdhsa_system_sgpr_workgroup_id_z 1
		.amdhsa_system_sgpr_workgroup_info 0
		.amdhsa_system_vgpr_workitem_id 0
		.amdhsa_next_free_vgpr 55
		.amdhsa_next_free_sgpr 44
		.amdhsa_accum_offset 56
		.amdhsa_reserve_vcc 1
		.amdhsa_float_round_mode_32 0
		.amdhsa_float_round_mode_16_64 0
		.amdhsa_float_denorm_mode_32 3
		.amdhsa_float_denorm_mode_16_64 3
		.amdhsa_dx10_clamp 1
		.amdhsa_ieee_mode 1
		.amdhsa_fp16_overflow 0
		.amdhsa_tg_split 0
		.amdhsa_exception_fp_ieee_invalid_op 0
		.amdhsa_exception_fp_denorm_src 0
		.amdhsa_exception_fp_ieee_div_zero 0
		.amdhsa_exception_fp_ieee_overflow 0
		.amdhsa_exception_fp_ieee_underflow 0
		.amdhsa_exception_fp_ieee_inexact 0
		.amdhsa_exception_int_div_zero 0
	.end_amdhsa_kernel
	.section	.text._ZN4vllm25paged_attention_v1_kernelI14__hip_bfloat16S1_Li64ELi16ELi128ELNS_18Fp8KVCacheDataTypeE0ELb1EEEvPT_PKS3_PKT0_S9_ifPKiSB_iPKfiiiSD_SD_iiiii,"axG",@progbits,_ZN4vllm25paged_attention_v1_kernelI14__hip_bfloat16S1_Li64ELi16ELi128ELNS_18Fp8KVCacheDataTypeE0ELb1EEEvPT_PKS3_PKT0_S9_ifPKiSB_iPKfiiiSD_SD_iiiii,comdat
.Lfunc_end127:
	.size	_ZN4vllm25paged_attention_v1_kernelI14__hip_bfloat16S1_Li64ELi16ELi128ELNS_18Fp8KVCacheDataTypeE0ELb1EEEvPT_PKS3_PKT0_S9_ifPKiSB_iPKfiiiSD_SD_iiiii, .Lfunc_end127-_ZN4vllm25paged_attention_v1_kernelI14__hip_bfloat16S1_Li64ELi16ELi128ELNS_18Fp8KVCacheDataTypeE0ELb1EEEvPT_PKS3_PKT0_S9_ifPKiSB_iPKfiiiSD_SD_iiiii
                                        ; -- End function
	.section	.AMDGPU.csdata,"",@progbits
; Kernel info:
; codeLenInByte = 6736
; NumSgprs: 50
; NumVgprs: 55
; NumAgprs: 0
; TotalNumVgprs: 55
; ScratchSize: 0
; MemoryBound: 0
; FloatMode: 240
; IeeeMode: 1
; LDSByteSize: 144 bytes/workgroup (compile time only)
; SGPRBlocks: 6
; VGPRBlocks: 6
; NumSGPRsForWavesPerEU: 50
; NumVGPRsForWavesPerEU: 55
; AccumOffset: 56
; Occupancy: 8
; WaveLimiterHint : 1
; COMPUTE_PGM_RSRC2:SCRATCH_EN: 0
; COMPUTE_PGM_RSRC2:USER_SGPR: 2
; COMPUTE_PGM_RSRC2:TRAP_HANDLER: 0
; COMPUTE_PGM_RSRC2:TGID_X_EN: 1
; COMPUTE_PGM_RSRC2:TGID_Y_EN: 1
; COMPUTE_PGM_RSRC2:TGID_Z_EN: 1
; COMPUTE_PGM_RSRC2:TIDIG_COMP_CNT: 0
; COMPUTE_PGM_RSRC3_GFX90A:ACCUM_OFFSET: 13
; COMPUTE_PGM_RSRC3_GFX90A:TG_SPLIT: 0
	.section	.text._ZN4vllm25paged_attention_v1_kernelI14__hip_bfloat16S1_Li80ELi16ELi128ELNS_18Fp8KVCacheDataTypeE0ELb1EEEvPT_PKS3_PKT0_S9_ifPKiSB_iPKfiiiSD_SD_iiiii,"axG",@progbits,_ZN4vllm25paged_attention_v1_kernelI14__hip_bfloat16S1_Li80ELi16ELi128ELNS_18Fp8KVCacheDataTypeE0ELb1EEEvPT_PKS3_PKT0_S9_ifPKiSB_iPKfiiiSD_SD_iiiii,comdat
	.protected	_ZN4vllm25paged_attention_v1_kernelI14__hip_bfloat16S1_Li80ELi16ELi128ELNS_18Fp8KVCacheDataTypeE0ELb1EEEvPT_PKS3_PKT0_S9_ifPKiSB_iPKfiiiSD_SD_iiiii ; -- Begin function _ZN4vllm25paged_attention_v1_kernelI14__hip_bfloat16S1_Li80ELi16ELi128ELNS_18Fp8KVCacheDataTypeE0ELb1EEEvPT_PKS3_PKT0_S9_ifPKiSB_iPKfiiiSD_SD_iiiii
	.globl	_ZN4vllm25paged_attention_v1_kernelI14__hip_bfloat16S1_Li80ELi16ELi128ELNS_18Fp8KVCacheDataTypeE0ELb1EEEvPT_PKS3_PKT0_S9_ifPKiSB_iPKfiiiSD_SD_iiiii
	.p2align	8
	.type	_ZN4vllm25paged_attention_v1_kernelI14__hip_bfloat16S1_Li80ELi16ELi128ELNS_18Fp8KVCacheDataTypeE0ELb1EEEvPT_PKS3_PKT0_S9_ifPKiSB_iPKfiiiSD_SD_iiiii,@function
_ZN4vllm25paged_attention_v1_kernelI14__hip_bfloat16S1_Li80ELi16ELi128ELNS_18Fp8KVCacheDataTypeE0ELb1EEEvPT_PKS3_PKT0_S9_ifPKiSB_iPKfiiiSD_SD_iiiii: ; @_ZN4vllm25paged_attention_v1_kernelI14__hip_bfloat16S1_Li80ELi16ELi128ELNS_18Fp8KVCacheDataTypeE0ELb1EEEvPT_PKS3_PKT0_S9_ifPKiSB_iPKfiiiSD_SD_iiiii
; %bb.0:
	s_load_dword s5, s[0:1], 0x80
	s_load_dwordx2 s[6:7], s[0:1], 0x30
	s_load_dwordx2 s[30:31], s[0:1], 0x20
	s_mov_b32 s10, s3
	s_ashr_i32 s11, s3, 31
	s_lshl_b64 s[8:9], s[10:11], 2
	s_waitcnt lgkmcnt(0)
	s_add_u32 s6, s6, s8
	s_addc_u32 s7, s7, s9
	s_abs_i32 s3, s30
	v_cvt_f32_u32_e32 v1, s3
	s_sub_i32 s11, 0, s3
	s_abs_i32 s9, s5
	s_xor_b32 s8, s5, s30
	v_rcp_iflag_f32_e32 v1, v1
	s_ashr_i32 s8, s8, 31
	s_mov_b32 s43, 0
	v_mul_f32_e32 v1, 0x4f7ffffe, v1
	v_cvt_u32_f32_e32 v1, v1
	s_nop 0
	v_readfirstlane_b32 s12, v1
	s_mul_i32 s11, s11, s12
	s_mul_hi_u32 s11, s12, s11
	s_add_i32 s12, s12, s11
	s_mul_hi_u32 s11, s9, s12
	s_mul_i32 s12, s11, s3
	s_sub_i32 s9, s9, s12
	s_add_i32 s12, s11, 1
	s_sub_i32 s13, s9, s3
	s_cmp_ge_u32 s9, s3
	s_cselect_b32 s11, s12, s11
	s_cselect_b32 s9, s13, s9
	s_add_i32 s12, s11, 1
	s_cmp_ge_u32 s9, s3
	s_cselect_b32 s3, s12, s11
	s_xor_b32 s3, s3, s8
	s_sub_i32 s16, s3, s8
	s_abs_i32 s11, s16
	v_cvt_f32_u32_e32 v1, s11
	s_load_dwordx2 s[8:9], s[0:1], 0x40
	s_sub_i32 s3, 0, s11
	s_abs_i32 s22, s2
	v_rcp_iflag_f32_e32 v1, v1
	s_nop 0
	v_mul_f32_e32 v1, 0x4f7ffffe, v1
	v_cvt_u32_f32_e32 v1, v1
	s_nop 0
	v_readfirstlane_b32 s12, v1
	s_mul_i32 s3, s3, s12
	s_mul_hi_u32 s3, s12, s3
	s_add_i32 s12, s12, s3
	s_waitcnt lgkmcnt(0)
	s_cmp_eq_u64 s[8:9], 0
	s_mul_hi_u32 s23, s22, s12
	s_cbranch_scc1 .LBB128_2
; %bb.1:
	s_ashr_i32 s3, s2, 31
	s_lshl_b64 s[12:13], s[2:3], 2
	s_add_u32 s8, s8, s12
	s_addc_u32 s9, s9, s13
	s_load_dword s43, s[8:9], 0x0
.LBB128_2:
	s_load_dword s33, s[6:7], 0x0
	s_load_dwordx4 s[12:15], s[0:1], 0x48
	s_ashr_i32 s3, s2, 31
	s_ashr_i32 s9, s16, 31
	v_and_b32_e32 v4, 3, v0
	s_mul_i32 s20, s2, 0x50
	v_cmp_gt_u32_e32 vcc, 40, v0
	s_and_saveexec_b64 s[6:7], vcc
	s_cbranch_execz .LBB128_4
; %bb.3:
	s_load_dwordx2 s[16:17], s[0:1], 0x8
	s_waitcnt lgkmcnt(0)
	s_mul_i32 s18, s10, s12
	s_ashr_i32 s19, s18, 31
	s_lshl_b64 s[18:19], s[18:19], 1
	v_lshlrev_b32_e32 v1, 2, v0
	s_add_u32 s8, s16, s18
	s_addc_u32 s12, s17, s19
	s_ashr_i32 s21, s20, 31
	s_lshl_b64 s[16:17], s[20:21], 1
	s_add_u32 s16, s8, s16
	s_addc_u32 s17, s12, s17
	global_load_dword v1, v1, s[16:17]
	v_and_b32_e32 v2, 0x3fc, v0
	v_mad_u32_u24 v2, v4, 40, v2
	s_waitcnt vmcnt(0)
	ds_write_b32 v2, v1
.LBB128_4:
	s_or_b64 exec, exec, s[6:7]
	s_mul_i32 s6, s23, s11
	s_sub_i32 s6, s22, s6
	s_xor_b32 s3, s3, s9
	s_add_i32 s7, s23, 1
	s_sub_i32 s9, s6, s11
	s_load_dwordx4 s[16:19], s[0:1], 0x68
	s_load_dword s8, s[0:1], 0x78
	s_cmp_ge_u32 s6, s11
	s_cselect_b32 s7, s7, s23
	s_cselect_b32 s6, s9, s6
	s_add_i32 s9, s7, 1
	s_cmp_ge_u32 s6, s11
	s_cselect_b32 s6, s9, s7
	s_waitcnt lgkmcnt(0)
	s_abs_i32 s21, s19
	v_cvt_f32_u32_e32 v1, s21
	s_xor_b32 s6, s6, s3
	s_sub_i32 s3, s6, s3
	s_sub_i32 s6, 0, s21
	v_rcp_iflag_f32_e32 v1, v1
	s_add_i32 s11, s33, -1
	s_abs_i32 s9, s11
	v_mul_f32_e32 v1, 0x4f7ffffe, v1
	v_cvt_u32_f32_e32 v1, v1
	s_barrier
	v_readfirstlane_b32 s40, v1
	s_mul_i32 s6, s6, s40
	s_mul_hi_u32 s6, s40, s6
	s_add_i32 s40, s40, s6
	s_cmp_lt_i32 s8, 0
	s_mul_hi_u32 s12, s9, s40
	s_cbranch_scc0 .LBB128_6
; %bb.5:
	s_mul_i32 s6, s16, s30
	s_add_i32 s6, s3, s6
	s_mul_i32 s6, s6, s8
	s_sub_i32 s41, 1, s6
	s_mov_b64 s[6:7], 0
	s_branch .LBB128_7
.LBB128_6:
	s_mov_b64 s[6:7], -1
                                        ; implicit-def: $sgpr41
.LBB128_7:
	s_load_dwordx2 s[24:25], s[0:1], 0x28
	s_ashr_i32 s15, s11, 31
	s_andn2_b64 vcc, exec, s[6:7]
	s_ashr_i32 s19, s19, 31
	s_cbranch_vccnz .LBB128_9
; %bb.8:
	s_mul_i32 s6, s5, s16
	s_add_i32 s2, s6, s2
	s_mul_i32 s2, s2, s8
	s_add_i32 s41, s2, 1
.LBB128_9:
	s_load_dword s2, s[0:1], 0x38
	s_load_dwordx2 s[22:23], s[0:1], 0x0
	s_load_dwordx2 s[28:29], s[0:1], 0x18
	s_load_dword s11, s[0:1], 0x88
	s_xor_b32 s6, s15, s19
	s_waitcnt lgkmcnt(0)
	s_mul_i32 s26, s10, s2
	s_mul_i32 s2, s12, s21
	s_sub_i32 s2, s9, s2
	s_ashr_i32 s27, s26, 31
	s_add_i32 s7, s12, 1
	s_sub_i32 s8, s2, s21
	s_cmp_ge_u32 s2, s21
	s_cselect_b32 s7, s7, s12
	s_cselect_b32 s2, s8, s2
	s_add_i32 s8, s7, 1
	s_cmp_ge_u32 s2, s21
	s_cselect_b32 s2, s8, s7
	s_xor_b32 s2, s2, s6
	s_sub_i32 s12, s2, s6
	s_add_i32 s2, s33, 15
	s_ashr_i32 s6, s2, 31
	s_lshr_b32 s6, s6, 28
	s_add_i32 s2, s2, s6
	s_ashr_i32 s42, s2, 4
	v_lshrrev_b32_e32 v1, 6, v0
	v_cmp_gt_i32_e64 s[6:7], s42, v1
	v_mov_b32_e32 v10, 0xff7fffff
	s_mul_i32 s14, s3, s14
	v_lshrrev_b32_e32 v6, 4, v0
	v_lshlrev_b32_e32 v13, 4, v1
	v_mbcnt_lo_u32_b32 v7, -1, 0
	s_and_saveexec_b64 s[34:35], s[6:7]
	s_cbranch_execz .LBB128_19
; %bb.10:
	s_load_dwordx2 s[0:1], s[0:1], 0x10
	s_ashr_i32 s15, s14, 31
	s_sub_i32 s16, s12, s17
	s_lshl_b64 s[2:3], s[14:15], 1
	v_bfe_u32 v8, v0, 2, 4
	s_waitcnt lgkmcnt(0)
	s_add_u32 s0, s0, s2
	s_addc_u32 s1, s1, s3
	s_abs_i32 s15, s18
	v_cvt_f32_u32_e32 v5, s15
	v_lshlrev_b32_e32 v14, 4, v8
	v_mov_b32_e32 v15, 0
	v_lshl_add_u64 v[2:3], s[0:1], 0, v[14:15]
	v_rcp_iflag_f32_e32 v5, v5
	v_lshlrev_b32_e32 v9, 2, v0
	s_sub_i32 s0, 0, s15
	v_cmp_eq_u32_e32 vcc, 0, v4
	v_mul_f32_e32 v5, 0x4f7ffffe, v5
	v_cvt_u32_f32_e32 v5, v5
	v_and_b32_e32 v14, 12, v9
	v_mul_u32_u24_e32 v9, 40, v4
	v_lshlrev_b32_e32 v10, 2, v8
	v_mul_lo_u32 v4, s0, v5
	s_lshl_b64 s[0:1], s[26:27], 2
	s_add_u32 s0, s24, s0
	v_lshl_add_u64 v[2:3], v[2:3], 0, v[14:15]
	v_mul_hi_u32 v4, v5, v4
	v_and_b32_e32 v14, 60, v6
	s_addc_u32 s1, s25, s1
	v_lshl_or_b32 v10, v1, 6, v10
	v_add_u32_e32 v11, v5, v4
	v_lshl_add_u64 v[4:5], s[0:1], 0, v[14:15]
	v_add_u32_e32 v14, 0xb0, v10
	v_subrev_u32_e32 v10, s33, v8
	v_mbcnt_hi_u32_b32 v17, -1, v7
	v_add_u32_e32 v15, 1, v10
	v_and_b32_e32 v10, 64, v17
	s_mov_b32 s30, s13
	v_cmp_neq_f32_e64 s[2:3], s43, 0
	v_lshlrev_b32_e32 v12, 4, v1
	s_mov_b64 s[36:37], 0
	v_mov_b32_e32 v16, 0xff7fffff
	v_add_u32_e32 v18, 64, v10
	v_xor_b32_e32 v19, 2, v17
	v_xor_b32_e32 v20, 1, v17
	v_mov_b32_e32 v10, 0xff7fffff
	v_mov_b32_e32 v21, v1
	s_branch .LBB128_13
.LBB128_11:                             ;   in Loop: Header=BB128_13 Depth=1
	s_or_b64 exec, exec, s[38:39]
.LBB128_12:                             ;   in Loop: Header=BB128_13 Depth=1
	s_or_b64 exec, exec, s[8:9]
	v_add_u32_e32 v21, 2, v21
	v_cmp_le_i32_e64 s[0:1], s42, v21
	v_lshl_add_u64 v[4:5], v[4:5], 0, 8
	v_add_u32_e32 v12, 32, v12
	s_or_b64 s[36:37], s[0:1], s[36:37]
	v_add_u32_e32 v14, 0x80, v14
	s_andn2_b64 exec, exec, s[36:37]
	s_cbranch_execz .LBB128_18
.LBB128_13:                             ; =>This Inner Loop Header: Depth=1
	v_mul_hi_u32 v22, v12, s40
	s_waitcnt lgkmcnt(0)
	v_mul_lo_u32 v23, v22, s21
	v_sub_u32_e32 v23, v12, v23
	v_add_u32_e32 v24, 1, v22
	v_cmp_le_u32_e64 s[0:1], s21, v23
	s_nop 1
	v_cndmask_b32_e64 v22, v22, v24, s[0:1]
	v_subrev_u32_e32 v24, s21, v23
	v_cndmask_b32_e64 v23, v23, v24, s[0:1]
	v_add_u32_e32 v24, 1, v22
	v_cmp_le_u32_e64 s[0:1], s21, v23
	s_nop 1
	v_cndmask_b32_e64 v22, v22, v24, s[0:1]
	v_xor_b32_e32 v22, s19, v22
	v_subrev_u32_e32 v22, s19, v22
	v_add_u32_e32 v23, s41, v22
	v_sub_u32_e32 v25, 0, v23
	v_ashrrev_i32_e32 v24, 31, v23
	v_max_i32_e32 v23, v23, v25
	v_mul_hi_u32 v25, v23, v11
	v_mul_lo_u32 v25, v25, s15
	v_sub_u32_e32 v23, v23, v25
	v_subrev_u32_e32 v25, s15, v23
	v_cmp_le_u32_e64 s[0:1], s15, v23
	v_cmp_ge_i32_e64 s[8:9], s16, v22
	s_nop 0
	v_cndmask_b32_e64 v23, v23, v25, s[0:1]
	v_subrev_u32_e32 v25, s15, v23
	v_cmp_le_u32_e64 s[0:1], s15, v23
	s_nop 1
	v_cndmask_b32_e64 v23, v23, v25, s[0:1]
	v_xor_b32_e32 v23, v23, v24
	v_sub_u32_e32 v23, v23, v24
	v_cmp_ne_u32_e64 s[0:1], 0, v23
	s_and_b64 s[0:1], s[0:1], s[8:9]
	s_and_b64 s[38:39], vcc, s[0:1]
	s_and_saveexec_b64 s[8:9], s[38:39]
	s_cbranch_execz .LBB128_15
; %bb.14:                               ;   in Loop: Header=BB128_13 Depth=1
	ds_write_b32 v14, v16
.LBB128_15:                             ;   in Loop: Header=BB128_13 Depth=1
	s_or_b64 exec, exec, s[8:9]
	s_xor_b64 s[0:1], s[0:1], -1
	s_and_saveexec_b64 s[8:9], s[0:1]
	s_cbranch_execz .LBB128_12
; %bb.16:                               ;   in Loop: Header=BB128_13 Depth=1
	global_load_dword v22, v[4:5], off
	s_waitcnt vmcnt(0)
	v_mad_i64_i32 v[22:23], s[0:1], v22, s30, 0
	v_lshl_add_u64 v[22:23], v[22:23], 1, v[2:3]
	global_load_dword v32, v[22:23], off
	global_load_dword v33, v[22:23], off offset:256
	global_load_dword v34, v[22:23], off offset:512
	;; [unrolled: 1-line block ×9, first 2 shown]
	ds_read2_b64 v[22:25], v9 offset1:1
	ds_read2_b64 v[26:29], v9 offset0:2 offset1:3
	ds_read_b64 v[30:31], v9 offset:32
	v_cmp_lt_i32_e64 s[0:1], v19, v18
	s_waitcnt lgkmcnt(2)
	v_lshlrev_b32_e32 v44, 16, v23
	v_and_b32_e32 v23, 0xffff0000, v23
	v_lshlrev_b32_e32 v43, 16, v22
	v_and_b32_e32 v22, 0xffff0000, v22
	v_lshlrev_b32_e32 v45, 16, v24
	v_and_b32_e32 v24, 0xffff0000, v24
	v_lshlrev_b32_e32 v46, 16, v25
	v_and_b32_e32 v25, 0xffff0000, v25
	s_waitcnt lgkmcnt(1)
	v_lshlrev_b32_e32 v47, 16, v26
	v_and_b32_e32 v26, 0xffff0000, v26
	v_lshlrev_b32_e32 v48, 16, v27
	v_and_b32_e32 v27, 0xffff0000, v27
	;; [unrolled: 2-line block ×4, first 2 shown]
	s_waitcnt lgkmcnt(0)
	v_lshlrev_b32_e32 v51, 16, v30
	v_and_b32_e32 v30, 0xffff0000, v30
	v_lshlrev_b32_e32 v52, 16, v31
	v_and_b32_e32 v31, 0xffff0000, v31
	v_cndmask_b32_e64 v42, v17, v19, s[0:1]
	v_lshlrev_b32_e32 v42, 2, v42
	v_cmp_lt_i32_e64 s[0:1], v20, v18
	s_waitcnt vmcnt(9)
	v_lshlrev_b32_e32 v53, 16, v32
	s_waitcnt vmcnt(8)
	v_lshlrev_b32_e32 v54, 16, v33
	v_and_b32_e32 v33, 0xffff0000, v33
	v_and_b32_e32 v32, 0xffff0000, v32
	v_mul_f32_e32 v44, v44, v54
	v_mul_f32_e32 v23, v23, v33
	s_waitcnt vmcnt(7)
	v_lshlrev_b32_e32 v55, 16, v34
	v_and_b32_e32 v34, 0xffff0000, v34
	v_fmac_f32_e32 v44, v43, v53
	v_fmac_f32_e32 v23, v22, v32
	s_waitcnt vmcnt(6)
	v_lshlrev_b32_e32 v56, 16, v35
	v_and_b32_e32 v35, 0xffff0000, v35
	v_fmac_f32_e32 v44, v45, v55
	v_fmac_f32_e32 v23, v24, v34
	;; [unrolled: 5-line block ×8, first 2 shown]
	v_fmac_f32_e32 v44, v52, v62
	v_fmac_f32_e32 v23, v31, v41
	v_add_f32_e32 v22, v44, v23
	ds_bpermute_b32 v23, v42, v22
	v_cndmask_b32_e64 v24, v17, v20, s[0:1]
	v_lshlrev_b32_e32 v24, 2, v24
	s_waitcnt lgkmcnt(0)
	v_add_f32_e32 v22, v22, v23
	ds_bpermute_b32 v23, v24, v22
	s_and_saveexec_b64 s[38:39], vcc
	s_cbranch_execz .LBB128_11
; %bb.17:                               ;   in Loop: Header=BB128_13 Depth=1
	v_add_u32_e32 v24, v15, v12
	v_cvt_f32_i32_e32 v24, v24
	s_waitcnt lgkmcnt(0)
	v_add_f32_e32 v22, v22, v23
	v_add_u32_e32 v25, v8, v12
	v_cmp_gt_i32_e64 s[0:1], s33, v25
	v_mul_f32_e32 v23, s43, v24
	v_cndmask_b32_e64 v23, 0, v23, s[2:3]
	v_fmac_f32_e32 v23, s31, v22
	v_cndmask_b32_e64 v22, 0, v23, s[0:1]
	ds_write_b32 v14, v22
	v_max_f32_e32 v22, v10, v10
	v_max_f32_e32 v22, v22, v23
	v_cndmask_b32_e64 v10, v10, v22, s[0:1]
	s_branch .LBB128_11
.LBB128_18:
	s_or_b64 exec, exec, s[36:37]
.LBB128_19:
	s_or_b64 exec, exec, s[34:35]
	v_mbcnt_hi_u32_b32 v2, -1, v7
	v_and_b32_e32 v3, 64, v2
	v_add_u32_e32 v3, 64, v3
	v_xor_b32_e32 v4, 32, v2
	v_cmp_lt_i32_e32 vcc, v4, v3
	v_xor_b32_e32 v8, 16, v2
	v_max_f32_e32 v7, v10, v10
	v_cndmask_b32_e32 v4, v2, v4, vcc
	v_lshlrev_b32_e32 v5, 2, v4
	ds_bpermute_b32 v4, v5, v10
	v_cmp_lt_i32_e32 vcc, v8, v3
	v_xor_b32_e32 v9, 8, v2
	v_xor_b32_e32 v11, 4, v2
	s_waitcnt lgkmcnt(0)
	v_max_f32_e32 v4, v4, v4
	v_max_f32_e32 v4, v7, v4
	v_cndmask_b32_e32 v7, v2, v8, vcc
	v_lshlrev_b32_e32 v7, 2, v7
	ds_bpermute_b32 v8, v7, v4
	v_cmp_lt_i32_e32 vcc, v9, v3
	s_waitcnt lgkmcnt(0)
	v_max_f32_e32 v8, v8, v8
	v_max_f32_e32 v4, v4, v8
	v_cndmask_b32_e32 v8, v2, v9, vcc
	v_lshlrev_b32_e32 v10, 2, v8
	ds_bpermute_b32 v8, v10, v4
	v_cmp_lt_i32_e32 vcc, v11, v3
	s_waitcnt lgkmcnt(0)
	v_max_f32_e32 v8, v8, v8
	v_max_f32_e32 v9, v4, v8
	v_cndmask_b32_e32 v4, v2, v11, vcc
	v_lshlrev_b32_e32 v11, 2, v4
	ds_bpermute_b32 v12, v11, v9
	v_and_b32_e32 v4, 63, v0
	v_cmp_eq_u32_e32 vcc, 0, v4
	v_lshlrev_b32_e32 v8, 2, v1
	s_and_saveexec_b64 s[0:1], vcc
	s_cbranch_execz .LBB128_21
; %bb.20:
	s_waitcnt lgkmcnt(0)
	v_max_f32_e32 v12, v12, v12
	v_max_f32_e32 v9, v9, v9
	;; [unrolled: 1-line block ×3, first 2 shown]
	ds_write_b32 v8, v9 offset:160
.LBB128_21:
	s_or_b64 exec, exec, s[0:1]
	v_cmp_gt_u32_e64 s[0:1], 2, v4
	s_waitcnt lgkmcnt(0)
	v_mov_b32_e32 v12, 0xff7fffff
	v_lshlrev_b32_e32 v9, 2, v4
	s_barrier
	s_and_saveexec_b64 s[2:3], s[0:1]
	s_cbranch_execz .LBB128_23
; %bb.22:
	ds_read_b32 v12, v9 offset:160
.LBB128_23:
	s_or_b64 exec, exec, s[2:3]
	v_xor_b32_e32 v14, 1, v2
	v_cmp_lt_i32_e64 s[2:3], v14, v3
	v_lshlrev_b32_e32 v15, 2, v2
	s_nop 0
	v_cndmask_b32_e64 v14, v2, v14, s[2:3]
	v_lshlrev_b32_e32 v20, 2, v14
	s_waitcnt lgkmcnt(0)
	ds_bpermute_b32 v14, v20, v12
	v_max_f32_e32 v12, v12, v12
	s_lshl_b32 s2, s42, 4
	s_min_i32 s15, s2, s33
	v_cmp_gt_i32_e64 s[2:3], s15, v0
	s_waitcnt lgkmcnt(0)
	v_max_f32_e32 v14, v14, v14
	v_max_f32_e32 v14, v12, v14
	v_and_b32_e32 v12, 0x100, v15
	ds_bpermute_b32 v15, v12, v14
	v_mov_b32_e32 v14, 0
	s_and_saveexec_b64 s[30:31], s[2:3]
	s_cbranch_execz .LBB128_27
; %bb.24:
	v_mov_b32_e32 v14, 0xb0
	v_lshl_add_u32 v16, v0, 2, v14
	s_mov_b64 s[34:35], 0
	v_mov_b32_e32 v14, 0
	v_mov_b32_e32 v17, v0
.LBB128_25:                             ; =>This Inner Loop Header: Depth=1
	ds_read_b32 v18, v16
	v_add_u32_e32 v17, 0x80, v17
	v_cmp_le_i32_e64 s[8:9], s15, v17
	s_or_b64 s[34:35], s[8:9], s[34:35]
	s_waitcnt lgkmcnt(0)
	v_sub_f32_e32 v18, v18, v15
	v_mul_f32_e32 v18, 0x3fb8aa3b, v18
	v_exp_f32_e32 v18, v18
	ds_write_b32 v16, v18
	v_add_f32_e32 v14, v14, v18
	v_add_u32_e32 v16, 0x200, v16
	s_andn2_b64 exec, exec, s[34:35]
	s_cbranch_execnz .LBB128_25
; %bb.26:
	s_or_b64 exec, exec, s[34:35]
.LBB128_27:
	s_or_b64 exec, exec, s[30:31]
	ds_bpermute_b32 v5, v5, v14
	s_waitcnt lgkmcnt(0)
	v_add_f32_e32 v5, v14, v5
	ds_bpermute_b32 v7, v7, v5
	s_waitcnt lgkmcnt(0)
	v_add_f32_e32 v5, v5, v7
	ds_bpermute_b32 v7, v10, v5
	v_xor_b32_e32 v10, 2, v2
	v_cmp_lt_i32_e64 s[8:9], v10, v3
	s_waitcnt lgkmcnt(0)
	v_add_f32_e32 v5, v5, v7
	ds_bpermute_b32 v7, v11, v5
	v_cndmask_b32_e64 v2, v2, v10, s[8:9]
	v_lshlrev_b32_e32 v2, 2, v2
	s_waitcnt lgkmcnt(0)
	v_add_f32_e32 v3, v5, v7
	ds_bpermute_b32 v2, v2, v3
	s_waitcnt lgkmcnt(0)
	v_add_f32_e32 v2, v3, v2
	ds_bpermute_b32 v3, v20, v2
	s_waitcnt lgkmcnt(0)
	v_add_f32_e32 v2, v2, v3
	s_and_saveexec_b64 s[8:9], vcc
	s_cbranch_execz .LBB128_29
; %bb.28:
	ds_write_b32 v8, v2 offset:168
.LBB128_29:
	s_or_b64 exec, exec, s[8:9]
	s_waitcnt lgkmcnt(0)
	s_barrier
	s_and_saveexec_b64 s[8:9], s[0:1]
	s_cbranch_execz .LBB128_31
; %bb.30:
	ds_read_b32 v2, v9 offset:168
.LBB128_31:
	s_or_b64 exec, exec, s[8:9]
	s_waitcnt lgkmcnt(0)
	ds_bpermute_b32 v3, v20, v2
	s_waitcnt lgkmcnt(0)
	v_add_f32_e32 v2, v2, v3
	ds_bpermute_b32 v2, v12, v2
	s_and_saveexec_b64 s[0:1], s[2:3]
	s_cbranch_execz .LBB128_44
; %bb.32:
	s_waitcnt lgkmcnt(0)
	v_add_f32_e32 v2, 0x358637bd, v2
	v_div_scale_f32 v3, s[2:3], v2, v2, 1.0
	v_rcp_f32_e32 v5, v3
	v_div_scale_f32 v7, vcc, 1.0, v2, 1.0
	s_movk_i32 s2, 0x7f
	v_fma_f32 v8, -v3, v5, 1.0
	v_fmac_f32_e32 v5, v8, v5
	v_mul_f32_e32 v8, v7, v5
	v_fma_f32 v9, -v3, v8, v7
	v_fmac_f32_e32 v8, v9, v5
	v_fma_f32 v3, -v3, v8, v7
	v_div_fmas_f32 v3, v3, v5, v8
	v_xad_u32 v5, v0, -1, s15
	v_div_fixup_f32 v2, v3, v2, 1.0
	v_cmp_lt_u32_e32 vcc, s2, v5
	s_mov_b64 s[8:9], -1
	v_mov_b32_e32 v3, v0
	s_and_saveexec_b64 s[2:3], vcc
	s_cbranch_execz .LBB128_41
; %bb.33:
	v_lshrrev_b32_e32 v5, 7, v5
	v_add_u32_e32 v8, -1, v5
	v_lshrrev_b32_e32 v7, 1, v8
	v_mov_b32_e32 v3, v2
	v_add_u32_e32 v7, 1, v7
	v_cmp_lt_u32_e32 vcc, 13, v8
	v_mov_b32_e32 v10, 0
	s_and_saveexec_b64 s[8:9], vcc
	s_cbranch_execz .LBB128_37
; %bb.34:
	v_mov_b32_e32 v9, 0xb0
	v_and_b32_e32 v8, -8, v7
	v_lshl_add_u32 v9, v0, 2, v9
	s_mov_b32 s16, 0
	s_mov_b64 s[30:31], 0
.LBB128_35:                             ; =>This Inner Loop Header: Depth=1
	ds_read2st64_b32 v[10:11], v9 offset1:2
	ds_read2st64_b32 v[14:15], v9 offset0:4 offset1:6
	ds_read2st64_b32 v[16:17], v9 offset0:8 offset1:10
	;; [unrolled: 1-line block ×3, first 2 shown]
	v_add_u32_e32 v8, -8, v8
	s_waitcnt lgkmcnt(3)
	v_pk_mul_f32 v[10:11], v[2:3], v[10:11]
	s_waitcnt lgkmcnt(2)
	v_pk_mul_f32 v[14:15], v[2:3], v[14:15]
	ds_write2st64_b32 v9, v10, v11 offset1:2
	ds_write2st64_b32 v9, v14, v15 offset0:4 offset1:6
	ds_read2st64_b32 v[14:15], v9 offset0:16 offset1:18
	s_waitcnt lgkmcnt(4)
	v_pk_mul_f32 v[10:11], v[2:3], v[16:17]
	ds_write2st64_b32 v9, v10, v11 offset0:8 offset1:10
	s_waitcnt lgkmcnt(4)
	v_pk_mul_f32 v[10:11], v[2:3], v[18:19]
	ds_write2st64_b32 v9, v10, v11 offset0:12 offset1:14
	ds_read2st64_b32 v[10:11], v9 offset0:20 offset1:22
	s_waitcnt lgkmcnt(3)
	v_pk_mul_f32 v[14:15], v[2:3], v[14:15]
	ds_read2st64_b32 v[16:17], v9 offset0:24 offset1:26
	ds_write2st64_b32 v9, v14, v15 offset0:16 offset1:18
	ds_read2st64_b32 v[14:15], v9 offset0:28 offset1:30
	s_waitcnt lgkmcnt(3)
	v_pk_mul_f32 v[10:11], v[2:3], v[10:11]
	ds_write2st64_b32 v9, v10, v11 offset0:20 offset1:22
	s_waitcnt lgkmcnt(3)
	v_pk_mul_f32 v[10:11], v[2:3], v[16:17]
	ds_write2st64_b32 v9, v10, v11 offset0:24 offset1:26
	s_waitcnt lgkmcnt(2)
	v_pk_mul_f32 v[10:11], v[2:3], v[14:15]
	s_add_i32 s16, s16, 16
	v_cmp_eq_u32_e32 vcc, 0, v8
	ds_write2st64_b32 v9, v10, v11 offset0:28 offset1:30
	v_add_u32_e32 v9, 0x2000, v9
	s_or_b64 s[30:31], vcc, s[30:31]
	v_mov_b32_e32 v10, s16
	s_andn2_b64 exec, exec, s[30:31]
	s_cbranch_execnz .LBB128_35
; %bb.36:
	s_or_b64 exec, exec, s[30:31]
.LBB128_37:
	s_or_b64 exec, exec, s[8:9]
	v_and_b32_e32 v7, 7, v7
	v_cmp_ne_u32_e32 vcc, 0, v7
	s_and_saveexec_b64 s[8:9], vcc
	s_cbranch_execz .LBB128_40
; %bb.38:
	v_lshlrev_b32_e32 v8, 9, v10
	v_lshlrev_b32_e32 v9, 2, v0
	s_movk_i32 s16, 0xb0
	v_add3_u32 v8, v8, v9, s16
	s_mov_b64 s[30:31], 0
.LBB128_39:                             ; =>This Inner Loop Header: Depth=1
	ds_read2st64_b32 v[10:11], v8 offset1:2
	v_add_u32_e32 v7, -1, v7
	v_cmp_eq_u32_e32 vcc, 0, v7
	s_or_b64 s[30:31], vcc, s[30:31]
	s_waitcnt lgkmcnt(0)
	v_pk_mul_f32 v[10:11], v[2:3], v[10:11]
	ds_write2st64_b32 v8, v10, v11 offset1:2
	v_add_u32_e32 v8, 0x400, v8
	s_andn2_b64 exec, exec, s[30:31]
	s_cbranch_execnz .LBB128_39
.LBB128_40:
	s_or_b64 exec, exec, s[8:9]
	v_add_u32_e32 v5, 1, v5
	v_and_b32_e32 v7, 0x3fffffe, v5
	v_cmp_ne_u32_e32 vcc, v5, v7
	v_lshl_add_u32 v3, v7, 7, v0
	s_orn2_b64 s[8:9], vcc, exec
.LBB128_41:
	s_or_b64 exec, exec, s[2:3]
	s_and_b64 exec, exec, s[8:9]
	s_cbranch_execz .LBB128_44
; %bb.42:
	v_mov_b32_e32 v5, 0xb0
	v_lshl_add_u32 v5, v3, 2, v5
	s_mov_b64 s[2:3], 0
.LBB128_43:                             ; =>This Inner Loop Header: Depth=1
	ds_read_b32 v7, v5
	v_add_u32_e32 v3, 0x80, v3
	v_cmp_le_i32_e32 vcc, s15, v3
	s_or_b64 s[2:3], vcc, s[2:3]
	s_waitcnt lgkmcnt(0)
	v_mul_f32_e32 v7, v2, v7
	ds_write_b32 v5, v7
	v_add_u32_e32 v5, 0x200, v5
	s_andn2_b64 exec, exec, s[2:3]
	s_cbranch_execnz .LBB128_43
.LBB128_44:
	s_or_b64 exec, exec, s[0:1]
	s_mov_b32 s0, 0
	v_mov_b32_e32 v12, 0
	v_lshrrev_b32_e32 v22, 1, v4
	v_and_b32_e32 v21, 1, v0
	v_mov_b32_e32 v11, 0
	v_mov_b32_e32 v10, 0
	s_waitcnt lgkmcnt(0)
	s_barrier
	s_and_saveexec_b64 s[8:9], s[6:7]
	s_cbranch_execz .LBB128_186
; %bb.45:
	s_ashr_i32 s15, s14, 31
	s_sub_i32 s30, s12, s17
	s_lshl_b64 s[2:3], s[14:15], 1
	s_add_u32 s6, s28, s2
	s_addc_u32 s7, s29, s3
	s_abs_i32 s18, s18
	v_cvt_f32_u32_e32 v3, s18
	v_or_b32_e32 v4, 64, v22
	s_movk_i32 s1, 0x50
	s_add_i32 s29, s42, -1
	v_rcp_iflag_f32_e32 v3, v3
	v_cmp_gt_u32_e32 vcc, s1, v4
	s_sub_i32 s1, 0, s18
	s_lshl_b64 s[2:3], s[26:27], 2
	v_mul_f32_e32 v3, 0x4f7ffffe, v3
	v_cvt_u32_f32_e32 v3, v3
	s_add_u32 s2, s24, s2
	v_lshlrev_b32_e32 v2, 3, v0
	v_mov_b32_e32 v15, 0
	v_mul_lo_u32 v5, s1, v3
	v_mul_hi_u32 v5, v3, v5
	v_and_b32_e32 v14, 60, v6
	s_addc_u32 s3, s25, s3
	v_and_b32_e32 v23, 8, v2
	v_add_u32_e32 v24, v3, v5
	v_lshl_add_u64 v[16:17], s[2:3], 0, v[14:15]
	v_lshlrev_b32_e32 v3, 5, v21
	s_mov_b32 s2, s0
	v_lshl_or_b32 v2, v22, 4, v23
	v_lshl_or_b32 v4, v4, 4, v23
	;; [unrolled: 1-line block ×3, first 2 shown]
	s_mov_b32 s1, s0
	v_mov_b32_e32 v12, s2
	s_mov_b32 s28, s13
	v_add_u32_e32 v25, 0xb0, v3
	s_mov_b64 s[12:13], 0
	v_mov_b32_e32 v11, s1
	v_mov_b32_e32 v10, s0
	s_mov_b32 s24, 0x7f800000
	s_movk_i32 s25, 0x7fff
	v_lshlrev_b32_e32 v14, 1, v2
	v_lshlrev_b32_e32 v18, 1, v4
	s_branch .LBB128_49
.LBB128_46:                             ;   in Loop: Header=BB128_49 Depth=1
	s_or_b64 exec, exec, s[16:17]
	v_and_b32_e32 v26, 0xffff0000, v8
	v_and_b32_e32 v9, 0xffff0000, v9
	;; [unrolled: 1-line block ×8, first 2 shown]
	v_pk_add_f32 v[2:3], v[2:3], v[8:9]
	v_pk_add_f32 v[4:5], v[4:5], v[26:27]
	v_add_f32_e32 v2, v2, v3
	v_add_f32_e32 v2, v2, v4
	;; [unrolled: 1-line block ×4, first 2 shown]
.LBB128_47:                             ;   in Loop: Header=BB128_49 Depth=1
	s_or_b64 exec, exec, s[2:3]
.LBB128_48:                             ;   in Loop: Header=BB128_49 Depth=1
	s_or_b64 exec, exec, s[14:15]
	v_add_u32_e32 v1, 2, v1
	v_cmp_le_i32_e64 s[0:1], s42, v1
	v_lshl_add_u64 v[16:17], v[16:17], 0, 8
	v_add_u32_e32 v13, 32, v13
	s_or_b64 s[12:13], s[0:1], s[12:13]
	v_add_u32_e32 v25, 0x80, v25
	s_andn2_b64 exec, exec, s[12:13]
	s_cbranch_execz .LBB128_185
.LBB128_49:                             ; =>This Inner Loop Header: Depth=1
	v_mul_hi_u32 v2, v13, s40
	v_mul_lo_u32 v3, v2, s21
	v_sub_u32_e32 v3, v13, v3
	v_add_u32_e32 v4, 1, v2
	v_cmp_le_u32_e64 s[0:1], s21, v3
	s_nop 1
	v_cndmask_b32_e64 v2, v2, v4, s[0:1]
	v_subrev_u32_e32 v4, s21, v3
	v_cndmask_b32_e64 v3, v3, v4, s[0:1]
	v_add_u32_e32 v4, 1, v2
	v_cmp_le_u32_e64 s[0:1], s21, v3
	s_nop 1
	v_cndmask_b32_e64 v2, v2, v4, s[0:1]
	v_xor_b32_e32 v2, s19, v2
	v_subrev_u32_e32 v2, s19, v2
	v_add_u32_e32 v3, s41, v2
	v_sub_u32_e32 v5, 0, v3
	v_ashrrev_i32_e32 v4, 31, v3
	v_max_i32_e32 v3, v3, v5
	v_mul_hi_u32 v5, v3, v24
	v_mul_lo_u32 v5, v5, s18
	v_sub_u32_e32 v3, v3, v5
	v_subrev_u32_e32 v5, s18, v3
	v_cmp_le_u32_e64 s[0:1], s18, v3
	v_cmp_lt_i32_e64 s[2:3], s30, v2
	s_nop 0
	v_cndmask_b32_e64 v3, v3, v5, s[0:1]
	v_subrev_u32_e32 v5, s18, v3
	v_cmp_le_u32_e64 s[0:1], s18, v3
	s_nop 1
	v_cndmask_b32_e64 v3, v3, v5, s[0:1]
	v_xor_b32_e32 v3, v3, v4
	v_sub_u32_e32 v3, v3, v4
	v_cmp_eq_u32_e64 s[0:1], 0, v3
	s_or_b64 s[0:1], s[0:1], s[2:3]
	s_and_saveexec_b64 s[14:15], s[0:1]
	s_cbranch_execz .LBB128_48
; %bb.50:                               ;   in Loop: Header=BB128_49 Depth=1
	global_load_dword v26, v[16:17], off
	ds_read2_b64 v[6:9], v25 offset1:1
	ds_read2_b64 v[2:5], v25 offset0:2 offset1:3
	s_waitcnt lgkmcnt(1)
	v_and_b32_e32 v19, 0x7f800000, v6
	v_cmp_ne_u32_e64 s[0:1], s24, v19
                                        ; implicit-def: $vgpr19
	s_and_saveexec_b64 s[2:3], s[0:1]
	s_xor_b64 s[0:1], exec, s[2:3]
; %bb.51:                               ;   in Loop: Header=BB128_49 Depth=1
	v_bfe_u32 v19, v6, 16, 1
	v_add3_u32 v19, v6, v19, s25
; %bb.52:                               ;   in Loop: Header=BB128_49 Depth=1
	s_andn2_saveexec_b64 s[2:3], s[0:1]
; %bb.53:                               ;   in Loop: Header=BB128_49 Depth=1
	v_or_b32_e32 v19, 0x10000, v6
	v_cmp_eq_u32_sdwa s[0:1], v6, v15 src0_sel:WORD_0 src1_sel:DWORD
	s_nop 1
	v_cndmask_b32_e64 v19, v19, v6, s[0:1]
; %bb.54:                               ;   in Loop: Header=BB128_49 Depth=1
	s_or_b64 exec, exec, s[2:3]
	v_and_b32_e32 v6, 0x7f800000, v7
	v_cmp_ne_u32_e64 s[0:1], s24, v6
                                        ; implicit-def: $vgpr28
	s_and_saveexec_b64 s[2:3], s[0:1]
	s_xor_b64 s[0:1], exec, s[2:3]
; %bb.55:                               ;   in Loop: Header=BB128_49 Depth=1
	v_bfe_u32 v6, v7, 16, 1
	v_add3_u32 v28, v7, v6, s25
; %bb.56:                               ;   in Loop: Header=BB128_49 Depth=1
	s_andn2_saveexec_b64 s[2:3], s[0:1]
; %bb.57:                               ;   in Loop: Header=BB128_49 Depth=1
	v_or_b32_e32 v6, 0x10000, v7
	v_cmp_eq_u32_sdwa s[0:1], v7, v15 src0_sel:WORD_0 src1_sel:DWORD
	s_nop 1
	v_cndmask_b32_e64 v28, v6, v7, s[0:1]
; %bb.58:                               ;   in Loop: Header=BB128_49 Depth=1
	s_or_b64 exec, exec, s[2:3]
	v_and_b32_e32 v6, 0x7f800000, v8
	v_cmp_ne_u32_e64 s[0:1], s24, v6
                                        ; implicit-def: $vgpr29
	s_and_saveexec_b64 s[2:3], s[0:1]
	s_xor_b64 s[0:1], exec, s[2:3]
; %bb.59:                               ;   in Loop: Header=BB128_49 Depth=1
	v_bfe_u32 v6, v8, 16, 1
	v_add3_u32 v29, v8, v6, s25
; %bb.60:                               ;   in Loop: Header=BB128_49 Depth=1
	s_andn2_saveexec_b64 s[2:3], s[0:1]
; %bb.61:                               ;   in Loop: Header=BB128_49 Depth=1
	v_or_b32_e32 v6, 0x10000, v8
	v_cmp_eq_u32_sdwa s[0:1], v8, v15 src0_sel:WORD_0 src1_sel:DWORD
	s_nop 1
	v_cndmask_b32_e64 v29, v6, v8, s[0:1]
; %bb.62:                               ;   in Loop: Header=BB128_49 Depth=1
	s_or_b64 exec, exec, s[2:3]
	v_and_b32_e32 v6, 0x7f800000, v9
	v_cmp_ne_u32_e64 s[0:1], s24, v6
                                        ; implicit-def: $vgpr30
	s_and_saveexec_b64 s[2:3], s[0:1]
	s_xor_b64 s[0:1], exec, s[2:3]
; %bb.63:                               ;   in Loop: Header=BB128_49 Depth=1
	v_bfe_u32 v6, v9, 16, 1
	v_add3_u32 v30, v9, v6, s25
                                        ; implicit-def: $vgpr6_vgpr7_vgpr8_vgpr9
; %bb.64:                               ;   in Loop: Header=BB128_49 Depth=1
	s_andn2_saveexec_b64 s[2:3], s[0:1]
; %bb.65:                               ;   in Loop: Header=BB128_49 Depth=1
	v_or_b32_e32 v6, 0x10000, v9
	v_cmp_eq_u32_sdwa s[0:1], v9, v15 src0_sel:WORD_0 src1_sel:DWORD
	s_nop 1
	v_cndmask_b32_e64 v30, v6, v9, s[0:1]
; %bb.66:                               ;   in Loop: Header=BB128_49 Depth=1
	s_or_b64 exec, exec, s[2:3]
	s_waitcnt lgkmcnt(0)
	v_and_b32_e32 v6, 0x7f800000, v2
	v_cmp_ne_u32_e64 s[0:1], s24, v6
                                        ; implicit-def: $vgpr31
	s_and_saveexec_b64 s[2:3], s[0:1]
	s_xor_b64 s[0:1], exec, s[2:3]
; %bb.67:                               ;   in Loop: Header=BB128_49 Depth=1
	v_bfe_u32 v6, v2, 16, 1
	v_add3_u32 v31, v2, v6, s25
; %bb.68:                               ;   in Loop: Header=BB128_49 Depth=1
	s_andn2_saveexec_b64 s[2:3], s[0:1]
; %bb.69:                               ;   in Loop: Header=BB128_49 Depth=1
	v_or_b32_e32 v6, 0x10000, v2
	v_cmp_eq_u32_sdwa s[0:1], v2, v15 src0_sel:WORD_0 src1_sel:DWORD
	s_nop 1
	v_cndmask_b32_e64 v31, v6, v2, s[0:1]
; %bb.70:                               ;   in Loop: Header=BB128_49 Depth=1
	s_or_b64 exec, exec, s[2:3]
	v_and_b32_e32 v2, 0x7f800000, v3
	v_cmp_ne_u32_e64 s[0:1], s24, v2
                                        ; implicit-def: $vgpr32
	s_and_saveexec_b64 s[2:3], s[0:1]
	s_xor_b64 s[0:1], exec, s[2:3]
; %bb.71:                               ;   in Loop: Header=BB128_49 Depth=1
	v_bfe_u32 v2, v3, 16, 1
	v_add3_u32 v32, v3, v2, s25
; %bb.72:                               ;   in Loop: Header=BB128_49 Depth=1
	s_andn2_saveexec_b64 s[2:3], s[0:1]
; %bb.73:                               ;   in Loop: Header=BB128_49 Depth=1
	v_or_b32_e32 v2, 0x10000, v3
	v_cmp_eq_u32_sdwa s[0:1], v3, v15 src0_sel:WORD_0 src1_sel:DWORD
	s_nop 1
	v_cndmask_b32_e64 v32, v2, v3, s[0:1]
; %bb.74:                               ;   in Loop: Header=BB128_49 Depth=1
	s_or_b64 exec, exec, s[2:3]
	v_and_b32_e32 v2, 0x7f800000, v4
	v_cmp_ne_u32_e64 s[0:1], s24, v2
                                        ; implicit-def: $vgpr33
	s_and_saveexec_b64 s[2:3], s[0:1]
	s_xor_b64 s[0:1], exec, s[2:3]
; %bb.75:                               ;   in Loop: Header=BB128_49 Depth=1
	v_bfe_u32 v2, v4, 16, 1
	v_add3_u32 v33, v4, v2, s25
; %bb.76:                               ;   in Loop: Header=BB128_49 Depth=1
	s_andn2_saveexec_b64 s[2:3], s[0:1]
; %bb.77:                               ;   in Loop: Header=BB128_49 Depth=1
	v_or_b32_e32 v2, 0x10000, v4
	v_cmp_eq_u32_sdwa s[0:1], v4, v15 src0_sel:WORD_0 src1_sel:DWORD
	s_nop 1
	v_cndmask_b32_e64 v33, v2, v4, s[0:1]
; %bb.78:                               ;   in Loop: Header=BB128_49 Depth=1
	s_or_b64 exec, exec, s[2:3]
	v_and_b32_e32 v2, 0x7f800000, v5
	v_cmp_ne_u32_e64 s[0:1], s24, v2
                                        ; implicit-def: $vgpr34
	s_and_saveexec_b64 s[2:3], s[0:1]
	s_xor_b64 s[0:1], exec, s[2:3]
; %bb.79:                               ;   in Loop: Header=BB128_49 Depth=1
	v_bfe_u32 v2, v5, 16, 1
	v_add3_u32 v34, v5, v2, s25
                                        ; implicit-def: $vgpr2_vgpr3_vgpr4_vgpr5
; %bb.80:                               ;   in Loop: Header=BB128_49 Depth=1
	s_andn2_saveexec_b64 s[2:3], s[0:1]
; %bb.81:                               ;   in Loop: Header=BB128_49 Depth=1
	v_or_b32_e32 v2, 0x10000, v5
	v_cmp_eq_u32_sdwa s[0:1], v5, v15 src0_sel:WORD_0 src1_sel:DWORD
	s_nop 1
	v_cndmask_b32_e64 v34, v2, v5, s[0:1]
; %bb.82:                               ;   in Loop: Header=BB128_49 Depth=1
	s_or_b64 exec, exec, s[2:3]
	s_waitcnt vmcnt(0)
	v_mad_i64_i32 v[2:3], s[0:1], v26, s28, 0
	v_lshl_add_u64 v[6:7], v[2:3], 1, s[6:7]
	v_lshl_add_u64 v[8:9], v[6:7], 0, v[14:15]
	global_load_dwordx4 v[2:5], v[8:9], off
	v_add_u32_e32 v26, v23, v13
	v_cmp_eq_u32_e64 s[0:1], s29, v1
	s_waitcnt vmcnt(0)
	v_lshrrev_b32_e32 v35, 16, v2
	v_lshrrev_b32_e32 v37, 16, v3
	;; [unrolled: 1-line block ×4, first 2 shown]
	s_and_saveexec_b64 s[16:17], s[0:1]
	s_cbranch_execz .LBB128_84
; %bb.83:                               ;   in Loop: Header=BB128_49 Depth=1
	v_cmp_gt_i32_e64 s[2:3], s33, v26
	v_add_u32_e32 v27, 1, v26
	s_nop 0
	v_cndmask_b32_e64 v2, 0, v2, s[2:3]
	v_cmp_gt_i32_e64 s[2:3], s33, v27
	v_add_u32_e32 v27, 2, v26
	s_nop 0
	v_cndmask_b32_e64 v35, 0, v35, s[2:3]
	;; [unrolled: 4-line block ×7, first 2 shown]
	v_cmp_gt_i32_e64 s[2:3], s33, v27
	s_nop 1
	v_cndmask_b32_e64 v41, 0, v41, s[2:3]
.LBB128_84:                             ;   in Loop: Header=BB128_49 Depth=1
	s_or_b64 exec, exec, s[16:17]
	v_and_b32_e32 v27, 0xffff0000, v19
	v_lshlrev_b32_e32 v2, 16, v2
	v_mul_f32_e32 v2, v27, v2
	v_and_b32_e32 v19, 0x7f800000, v2
	v_cmp_ne_u32_e64 s[2:3], s24, v19
                                        ; implicit-def: $vgpr19
	s_and_saveexec_b64 s[16:17], s[2:3]
	s_xor_b64 s[2:3], exec, s[16:17]
; %bb.85:                               ;   in Loop: Header=BB128_49 Depth=1
	v_bfe_u32 v19, v2, 16, 1
	v_add3_u32 v19, v2, v19, s25
                                        ; implicit-def: $vgpr2
; %bb.86:                               ;   in Loop: Header=BB128_49 Depth=1
	s_andn2_saveexec_b64 s[16:17], s[2:3]
; %bb.87:                               ;   in Loop: Header=BB128_49 Depth=1
	v_or_b32_e32 v19, 0x10000, v2
	v_cmp_eq_u32_sdwa s[2:3], v2, v15 src0_sel:WORD_0 src1_sel:DWORD
	s_nop 1
	v_cndmask_b32_e64 v19, v19, v2, s[2:3]
; %bb.88:                               ;   in Loop: Header=BB128_49 Depth=1
	s_or_b64 exec, exec, s[16:17]
	v_and_b32_e32 v28, 0xffff0000, v28
	v_lshlrev_b32_e32 v2, 16, v35
	v_mul_f32_e32 v2, v28, v2
	v_and_b32_e32 v35, 0x7f800000, v2
	v_cmp_ne_u32_e64 s[2:3], s24, v35
                                        ; implicit-def: $vgpr35
	s_and_saveexec_b64 s[16:17], s[2:3]
	s_xor_b64 s[2:3], exec, s[16:17]
; %bb.89:                               ;   in Loop: Header=BB128_49 Depth=1
	v_bfe_u32 v35, v2, 16, 1
	v_add3_u32 v35, v2, v35, s25
                                        ; implicit-def: $vgpr2
; %bb.90:                               ;   in Loop: Header=BB128_49 Depth=1
	s_andn2_saveexec_b64 s[16:17], s[2:3]
; %bb.91:                               ;   in Loop: Header=BB128_49 Depth=1
	v_or_b32_e32 v35, 0x10000, v2
	v_cmp_eq_u32_sdwa s[2:3], v2, v15 src0_sel:WORD_0 src1_sel:DWORD
	s_nop 1
	v_cndmask_b32_e64 v35, v35, v2, s[2:3]
; %bb.92:                               ;   in Loop: Header=BB128_49 Depth=1
	s_or_b64 exec, exec, s[16:17]
	v_and_b32_e32 v29, 0xffff0000, v29
	v_lshlrev_b32_e32 v2, 16, v3
	v_mul_f32_e32 v2, v29, v2
	v_and_b32_e32 v3, 0x7f800000, v2
	v_cmp_ne_u32_e64 s[2:3], s24, v3
                                        ; implicit-def: $vgpr36
	s_and_saveexec_b64 s[16:17], s[2:3]
	s_xor_b64 s[2:3], exec, s[16:17]
; %bb.93:                               ;   in Loop: Header=BB128_49 Depth=1
	v_bfe_u32 v3, v2, 16, 1
	v_add3_u32 v36, v2, v3, s25
                                        ; implicit-def: $vgpr2
; %bb.94:                               ;   in Loop: Header=BB128_49 Depth=1
	s_andn2_saveexec_b64 s[16:17], s[2:3]
; %bb.95:                               ;   in Loop: Header=BB128_49 Depth=1
	v_or_b32_e32 v3, 0x10000, v2
	v_cmp_eq_u32_sdwa s[2:3], v2, v15 src0_sel:WORD_0 src1_sel:DWORD
	s_nop 1
	v_cndmask_b32_e64 v36, v3, v2, s[2:3]
; %bb.96:                               ;   in Loop: Header=BB128_49 Depth=1
	s_or_b64 exec, exec, s[16:17]
	v_and_b32_e32 v30, 0xffff0000, v30
	v_lshlrev_b32_e32 v2, 16, v37
	v_mul_f32_e32 v2, v30, v2
	v_and_b32_e32 v3, 0x7f800000, v2
	v_cmp_ne_u32_e64 s[2:3], s24, v3
                                        ; implicit-def: $vgpr37
	s_and_saveexec_b64 s[16:17], s[2:3]
	s_xor_b64 s[2:3], exec, s[16:17]
; %bb.97:                               ;   in Loop: Header=BB128_49 Depth=1
	v_bfe_u32 v3, v2, 16, 1
	v_add3_u32 v37, v2, v3, s25
                                        ; implicit-def: $vgpr2
; %bb.98:                               ;   in Loop: Header=BB128_49 Depth=1
	s_andn2_saveexec_b64 s[16:17], s[2:3]
; %bb.99:                               ;   in Loop: Header=BB128_49 Depth=1
	v_or_b32_e32 v3, 0x10000, v2
	v_cmp_eq_u32_sdwa s[2:3], v2, v15 src0_sel:WORD_0 src1_sel:DWORD
	s_nop 1
	v_cndmask_b32_e64 v37, v3, v2, s[2:3]
; %bb.100:                              ;   in Loop: Header=BB128_49 Depth=1
	s_or_b64 exec, exec, s[16:17]
	v_and_b32_e32 v31, 0xffff0000, v31
	v_lshlrev_b32_e32 v2, 16, v4
	v_mul_f32_e32 v2, v31, v2
	v_and_b32_e32 v3, 0x7f800000, v2
	v_cmp_ne_u32_e64 s[2:3], s24, v3
                                        ; implicit-def: $vgpr38
	s_and_saveexec_b64 s[16:17], s[2:3]
	s_xor_b64 s[2:3], exec, s[16:17]
; %bb.101:                              ;   in Loop: Header=BB128_49 Depth=1
	v_bfe_u32 v3, v2, 16, 1
	v_add3_u32 v38, v2, v3, s25
                                        ; implicit-def: $vgpr2
; %bb.102:                              ;   in Loop: Header=BB128_49 Depth=1
	s_andn2_saveexec_b64 s[16:17], s[2:3]
; %bb.103:                              ;   in Loop: Header=BB128_49 Depth=1
	v_or_b32_e32 v3, 0x10000, v2
	v_cmp_eq_u32_sdwa s[2:3], v2, v15 src0_sel:WORD_0 src1_sel:DWORD
	s_nop 1
	v_cndmask_b32_e64 v38, v3, v2, s[2:3]
; %bb.104:                              ;   in Loop: Header=BB128_49 Depth=1
	s_or_b64 exec, exec, s[16:17]
	v_and_b32_e32 v32, 0xffff0000, v32
	v_lshlrev_b32_e32 v2, 16, v39
	v_mul_f32_e32 v2, v32, v2
	v_and_b32_e32 v3, 0x7f800000, v2
	v_cmp_ne_u32_e64 s[2:3], s24, v3
                                        ; implicit-def: $vgpr39
	s_and_saveexec_b64 s[16:17], s[2:3]
	s_xor_b64 s[2:3], exec, s[16:17]
; %bb.105:                              ;   in Loop: Header=BB128_49 Depth=1
	v_bfe_u32 v3, v2, 16, 1
	v_add3_u32 v39, v2, v3, s25
                                        ; implicit-def: $vgpr2
; %bb.106:                              ;   in Loop: Header=BB128_49 Depth=1
	s_andn2_saveexec_b64 s[16:17], s[2:3]
; %bb.107:                              ;   in Loop: Header=BB128_49 Depth=1
	v_or_b32_e32 v3, 0x10000, v2
	v_cmp_eq_u32_sdwa s[2:3], v2, v15 src0_sel:WORD_0 src1_sel:DWORD
	s_nop 1
	v_cndmask_b32_e64 v39, v3, v2, s[2:3]
; %bb.108:                              ;   in Loop: Header=BB128_49 Depth=1
	s_or_b64 exec, exec, s[16:17]
	v_and_b32_e32 v33, 0xffff0000, v33
	v_lshlrev_b32_e32 v2, 16, v5
	v_mul_f32_e32 v2, v33, v2
	v_and_b32_e32 v3, 0x7f800000, v2
	v_cmp_ne_u32_e64 s[2:3], s24, v3
                                        ; implicit-def: $vgpr40
	s_and_saveexec_b64 s[16:17], s[2:3]
	s_xor_b64 s[2:3], exec, s[16:17]
; %bb.109:                              ;   in Loop: Header=BB128_49 Depth=1
	v_bfe_u32 v3, v2, 16, 1
	v_add3_u32 v40, v2, v3, s25
                                        ; implicit-def: $vgpr2
; %bb.110:                              ;   in Loop: Header=BB128_49 Depth=1
	s_andn2_saveexec_b64 s[16:17], s[2:3]
; %bb.111:                              ;   in Loop: Header=BB128_49 Depth=1
	v_or_b32_e32 v3, 0x10000, v2
	v_cmp_eq_u32_sdwa s[2:3], v2, v15 src0_sel:WORD_0 src1_sel:DWORD
	s_nop 1
	v_cndmask_b32_e64 v40, v3, v2, s[2:3]
; %bb.112:                              ;   in Loop: Header=BB128_49 Depth=1
	s_or_b64 exec, exec, s[16:17]
	v_and_b32_e32 v34, 0xffff0000, v34
	v_lshlrev_b32_e32 v2, 16, v41
	v_mul_f32_e32 v2, v34, v2
	v_and_b32_e32 v3, 0x7f800000, v2
	v_cmp_ne_u32_e64 s[2:3], s24, v3
                                        ; implicit-def: $vgpr41
	s_and_saveexec_b64 s[16:17], s[2:3]
	s_xor_b64 s[2:3], exec, s[16:17]
; %bb.113:                              ;   in Loop: Header=BB128_49 Depth=1
	v_bfe_u32 v3, v2, 16, 1
	v_add3_u32 v41, v2, v3, s25
                                        ; implicit-def: $vgpr2
; %bb.114:                              ;   in Loop: Header=BB128_49 Depth=1
	s_andn2_saveexec_b64 s[16:17], s[2:3]
; %bb.115:                              ;   in Loop: Header=BB128_49 Depth=1
	v_or_b32_e32 v3, 0x10000, v2
	v_cmp_eq_u32_sdwa s[2:3], v2, v15 src0_sel:WORD_0 src1_sel:DWORD
	s_nop 1
	v_cndmask_b32_e64 v41, v3, v2, s[2:3]
; %bb.116:                              ;   in Loop: Header=BB128_49 Depth=1
	s_or_b64 exec, exec, s[16:17]
	global_load_dwordx4 v[2:5], v[8:9], off offset:1024
	s_waitcnt vmcnt(0)
	v_lshrrev_b32_e32 v9, 16, v2
	v_lshrrev_b32_e32 v43, 16, v3
	;; [unrolled: 1-line block ×4, first 2 shown]
	s_and_saveexec_b64 s[16:17], s[0:1]
	s_cbranch_execz .LBB128_118
; %bb.117:                              ;   in Loop: Header=BB128_49 Depth=1
	v_cmp_gt_i32_e64 s[2:3], s33, v26
	v_add_u32_e32 v44, 1, v26
	s_nop 0
	v_cndmask_b32_e64 v2, 0, v2, s[2:3]
	v_cmp_gt_i32_e64 s[2:3], s33, v44
	v_add_u32_e32 v44, 2, v26
	s_nop 0
	v_cndmask_b32_e64 v9, 0, v9, s[2:3]
	;; [unrolled: 4-line block ×7, first 2 shown]
	v_cmp_gt_i32_e64 s[2:3], s33, v44
	s_nop 1
	v_cndmask_b32_e64 v8, 0, v8, s[2:3]
.LBB128_118:                            ;   in Loop: Header=BB128_49 Depth=1
	s_or_b64 exec, exec, s[16:17]
	v_lshlrev_b32_e32 v2, 16, v2
	v_mul_f32_e32 v44, v27, v2
	v_and_b32_e32 v2, 0x7f800000, v44
	v_cmp_ne_u32_e64 s[2:3], s24, v2
                                        ; implicit-def: $vgpr2
	s_and_saveexec_b64 s[16:17], s[2:3]
	s_xor_b64 s[2:3], exec, s[16:17]
; %bb.119:                              ;   in Loop: Header=BB128_49 Depth=1
	v_bfe_u32 v2, v44, 16, 1
	v_add3_u32 v2, v44, v2, s25
                                        ; implicit-def: $vgpr44
; %bb.120:                              ;   in Loop: Header=BB128_49 Depth=1
	s_andn2_saveexec_b64 s[16:17], s[2:3]
; %bb.121:                              ;   in Loop: Header=BB128_49 Depth=1
	v_or_b32_e32 v2, 0x10000, v44
	v_cmp_eq_u32_sdwa s[2:3], v44, v15 src0_sel:WORD_0 src1_sel:DWORD
	s_nop 1
	v_cndmask_b32_e64 v2, v2, v44, s[2:3]
; %bb.122:                              ;   in Loop: Header=BB128_49 Depth=1
	s_or_b64 exec, exec, s[16:17]
	v_lshlrev_b32_e32 v9, 16, v9
	v_mul_f32_e32 v44, v28, v9
	v_and_b32_e32 v9, 0x7f800000, v44
	v_cmp_ne_u32_e64 s[2:3], s24, v9
                                        ; implicit-def: $vgpr9
	s_and_saveexec_b64 s[16:17], s[2:3]
	s_xor_b64 s[2:3], exec, s[16:17]
; %bb.123:                              ;   in Loop: Header=BB128_49 Depth=1
	v_bfe_u32 v9, v44, 16, 1
	v_add3_u32 v9, v44, v9, s25
                                        ; implicit-def: $vgpr44
; %bb.124:                              ;   in Loop: Header=BB128_49 Depth=1
	s_andn2_saveexec_b64 s[16:17], s[2:3]
; %bb.125:                              ;   in Loop: Header=BB128_49 Depth=1
	v_or_b32_e32 v9, 0x10000, v44
	v_cmp_eq_u32_sdwa s[2:3], v44, v15 src0_sel:WORD_0 src1_sel:DWORD
	s_nop 1
	v_cndmask_b32_e64 v9, v9, v44, s[2:3]
; %bb.126:                              ;   in Loop: Header=BB128_49 Depth=1
	s_or_b64 exec, exec, s[16:17]
	v_lshlrev_b32_e32 v3, 16, v3
	v_mul_f32_e32 v44, v29, v3
	v_and_b32_e32 v3, 0x7f800000, v44
	v_cmp_ne_u32_e64 s[2:3], s24, v3
                                        ; implicit-def: $vgpr3
	s_and_saveexec_b64 s[16:17], s[2:3]
	s_xor_b64 s[2:3], exec, s[16:17]
; %bb.127:                              ;   in Loop: Header=BB128_49 Depth=1
	v_bfe_u32 v3, v44, 16, 1
	v_add3_u32 v3, v44, v3, s25
                                        ; implicit-def: $vgpr44
; %bb.128:                              ;   in Loop: Header=BB128_49 Depth=1
	s_andn2_saveexec_b64 s[16:17], s[2:3]
; %bb.129:                              ;   in Loop: Header=BB128_49 Depth=1
	v_or_b32_e32 v3, 0x10000, v44
	v_cmp_eq_u32_sdwa s[2:3], v44, v15 src0_sel:WORD_0 src1_sel:DWORD
	s_nop 1
	v_cndmask_b32_e64 v3, v3, v44, s[2:3]
; %bb.130:                              ;   in Loop: Header=BB128_49 Depth=1
	s_or_b64 exec, exec, s[16:17]
	v_lshlrev_b32_e32 v43, 16, v43
	v_mul_f32_e32 v44, v30, v43
	v_and_b32_e32 v43, 0x7f800000, v44
	v_cmp_ne_u32_e64 s[2:3], s24, v43
                                        ; implicit-def: $vgpr43
	s_and_saveexec_b64 s[16:17], s[2:3]
	s_xor_b64 s[2:3], exec, s[16:17]
; %bb.131:                              ;   in Loop: Header=BB128_49 Depth=1
	v_bfe_u32 v43, v44, 16, 1
	v_add3_u32 v43, v44, v43, s25
                                        ; implicit-def: $vgpr44
; %bb.132:                              ;   in Loop: Header=BB128_49 Depth=1
	s_andn2_saveexec_b64 s[16:17], s[2:3]
; %bb.133:                              ;   in Loop: Header=BB128_49 Depth=1
	v_or_b32_e32 v43, 0x10000, v44
	v_cmp_eq_u32_sdwa s[2:3], v44, v15 src0_sel:WORD_0 src1_sel:DWORD
	s_nop 1
	v_cndmask_b32_e64 v43, v43, v44, s[2:3]
; %bb.134:                              ;   in Loop: Header=BB128_49 Depth=1
	s_or_b64 exec, exec, s[16:17]
	v_lshlrev_b32_e32 v4, 16, v4
	v_mul_f32_e32 v44, v31, v4
	v_and_b32_e32 v4, 0x7f800000, v44
	v_cmp_ne_u32_e64 s[2:3], s24, v4
                                        ; implicit-def: $vgpr4
	s_and_saveexec_b64 s[16:17], s[2:3]
	s_xor_b64 s[2:3], exec, s[16:17]
; %bb.135:                              ;   in Loop: Header=BB128_49 Depth=1
	v_bfe_u32 v4, v44, 16, 1
	v_add3_u32 v4, v44, v4, s25
                                        ; implicit-def: $vgpr44
; %bb.136:                              ;   in Loop: Header=BB128_49 Depth=1
	s_andn2_saveexec_b64 s[16:17], s[2:3]
; %bb.137:                              ;   in Loop: Header=BB128_49 Depth=1
	v_or_b32_e32 v4, 0x10000, v44
	v_cmp_eq_u32_sdwa s[2:3], v44, v15 src0_sel:WORD_0 src1_sel:DWORD
	s_nop 1
	v_cndmask_b32_e64 v4, v4, v44, s[2:3]
; %bb.138:                              ;   in Loop: Header=BB128_49 Depth=1
	s_or_b64 exec, exec, s[16:17]
	v_lshlrev_b32_e32 v42, 16, v42
	v_mul_f32_e32 v44, v32, v42
	v_and_b32_e32 v42, 0x7f800000, v44
	v_cmp_ne_u32_e64 s[2:3], s24, v42
                                        ; implicit-def: $vgpr42
	s_and_saveexec_b64 s[16:17], s[2:3]
	s_xor_b64 s[2:3], exec, s[16:17]
; %bb.139:                              ;   in Loop: Header=BB128_49 Depth=1
	v_bfe_u32 v42, v44, 16, 1
	v_add3_u32 v42, v44, v42, s25
                                        ; implicit-def: $vgpr44
; %bb.140:                              ;   in Loop: Header=BB128_49 Depth=1
	s_andn2_saveexec_b64 s[16:17], s[2:3]
; %bb.141:                              ;   in Loop: Header=BB128_49 Depth=1
	v_or_b32_e32 v42, 0x10000, v44
	v_cmp_eq_u32_sdwa s[2:3], v44, v15 src0_sel:WORD_0 src1_sel:DWORD
	s_nop 1
	v_cndmask_b32_e64 v42, v42, v44, s[2:3]
; %bb.142:                              ;   in Loop: Header=BB128_49 Depth=1
	s_or_b64 exec, exec, s[16:17]
	v_lshlrev_b32_e32 v5, 16, v5
	v_mul_f32_e32 v44, v33, v5
	v_and_b32_e32 v5, 0x7f800000, v44
	v_cmp_ne_u32_e64 s[2:3], s24, v5
                                        ; implicit-def: $vgpr5
	s_and_saveexec_b64 s[16:17], s[2:3]
	s_xor_b64 s[2:3], exec, s[16:17]
; %bb.143:                              ;   in Loop: Header=BB128_49 Depth=1
	v_bfe_u32 v5, v44, 16, 1
	v_add3_u32 v5, v44, v5, s25
                                        ; implicit-def: $vgpr44
; %bb.144:                              ;   in Loop: Header=BB128_49 Depth=1
	s_andn2_saveexec_b64 s[16:17], s[2:3]
; %bb.145:                              ;   in Loop: Header=BB128_49 Depth=1
	v_or_b32_e32 v5, 0x10000, v44
	v_cmp_eq_u32_sdwa s[2:3], v44, v15 src0_sel:WORD_0 src1_sel:DWORD
	s_nop 1
	v_cndmask_b32_e64 v5, v5, v44, s[2:3]
; %bb.146:                              ;   in Loop: Header=BB128_49 Depth=1
	s_or_b64 exec, exec, s[16:17]
	v_lshlrev_b32_e32 v8, 16, v8
	v_mul_f32_e32 v44, v34, v8
	v_and_b32_e32 v8, 0x7f800000, v44
	v_cmp_ne_u32_e64 s[2:3], s24, v8
                                        ; implicit-def: $vgpr8
	s_and_saveexec_b64 s[16:17], s[2:3]
	s_xor_b64 s[2:3], exec, s[16:17]
; %bb.147:                              ;   in Loop: Header=BB128_49 Depth=1
	v_bfe_u32 v8, v44, 16, 1
	v_add3_u32 v8, v44, v8, s25
                                        ; implicit-def: $vgpr44
; %bb.148:                              ;   in Loop: Header=BB128_49 Depth=1
	s_andn2_saveexec_b64 s[16:17], s[2:3]
; %bb.149:                              ;   in Loop: Header=BB128_49 Depth=1
	v_or_b32_e32 v8, 0x10000, v44
	v_cmp_eq_u32_sdwa s[2:3], v44, v15 src0_sel:WORD_0 src1_sel:DWORD
	s_nop 1
	v_cndmask_b32_e64 v8, v8, v44, s[2:3]
; %bb.150:                              ;   in Loop: Header=BB128_49 Depth=1
	s_or_b64 exec, exec, s[16:17]
	v_and_b32_e32 v45, 0xffff0000, v41
	v_and_b32_e32 v44, 0xffff0000, v39
	;; [unrolled: 1-line block ×8, first 2 shown]
	v_pk_add_f32 v[36:37], v[36:37], v[40:41]
	v_pk_add_f32 v[38:39], v[38:39], v[44:45]
	v_add_f32_e32 v19, v36, v37
	v_add_f32_e32 v19, v19, v38
	;; [unrolled: 1-line block ×3, first 2 shown]
	v_and_b32_e32 v39, 0xffff0000, v43
	v_and_b32_e32 v38, 0xffff0000, v9
	v_and_b32_e32 v3, 0xffff0000, v3
	v_and_b32_e32 v2, 0xffff0000, v2
	v_and_b32_e32 v37, 0xffff0000, v8
	v_and_b32_e32 v36, 0xffff0000, v42
	v_and_b32_e32 v5, 0xffff0000, v5
	v_and_b32_e32 v4, 0xffff0000, v4
	v_pk_add_f32 v[2:3], v[2:3], v[38:39]
	v_pk_add_f32 v[4:5], v[4:5], v[36:37]
	v_add_f32_e32 v2, v2, v3
	v_add_f32_e32 v2, v2, v4
	;; [unrolled: 1-line block ×5, first 2 shown]
	s_and_saveexec_b64 s[2:3], vcc
	s_cbranch_execz .LBB128_47
; %bb.151:                              ;   in Loop: Header=BB128_49 Depth=1
	v_mov_b32_e32 v19, v15
	v_lshl_add_u64 v[2:3], v[6:7], 0, v[18:19]
	global_load_dwordx4 v[2:5], v[2:3], off
	s_waitcnt vmcnt(0)
	v_lshrrev_b32_e32 v7, 16, v2
	v_lshrrev_b32_e32 v9, 16, v3
	;; [unrolled: 1-line block ×4, first 2 shown]
	s_and_saveexec_b64 s[16:17], s[0:1]
	s_cbranch_execz .LBB128_153
; %bb.152:                              ;   in Loop: Header=BB128_49 Depth=1
	v_cmp_gt_i32_e64 s[0:1], s33, v26
	v_add_u32_e32 v19, 1, v26
	s_nop 0
	v_cndmask_b32_e64 v2, 0, v2, s[0:1]
	v_cmp_gt_i32_e64 s[0:1], s33, v19
	v_add_u32_e32 v19, 2, v26
	s_nop 0
	v_cndmask_b32_e64 v7, 0, v7, s[0:1]
	;; [unrolled: 4-line block ×7, first 2 shown]
	v_cmp_gt_i32_e64 s[0:1], s33, v19
	s_nop 1
	v_cndmask_b32_e64 v6, 0, v6, s[0:1]
.LBB128_153:                            ;   in Loop: Header=BB128_49 Depth=1
	s_or_b64 exec, exec, s[16:17]
	v_lshlrev_b32_e32 v2, 16, v2
	v_mul_f32_e32 v19, v27, v2
	v_and_b32_e32 v2, 0x7f800000, v19
	v_cmp_ne_u32_e64 s[0:1], s24, v2
                                        ; implicit-def: $vgpr2
	s_and_saveexec_b64 s[16:17], s[0:1]
	s_xor_b64 s[0:1], exec, s[16:17]
; %bb.154:                              ;   in Loop: Header=BB128_49 Depth=1
	v_bfe_u32 v2, v19, 16, 1
	v_add3_u32 v2, v19, v2, s25
                                        ; implicit-def: $vgpr19
; %bb.155:                              ;   in Loop: Header=BB128_49 Depth=1
	s_andn2_saveexec_b64 s[16:17], s[0:1]
; %bb.156:                              ;   in Loop: Header=BB128_49 Depth=1
	v_or_b32_e32 v2, 0x10000, v19
	v_cmp_eq_u32_sdwa s[0:1], v19, v15 src0_sel:WORD_0 src1_sel:DWORD
	s_nop 1
	v_cndmask_b32_e64 v2, v2, v19, s[0:1]
; %bb.157:                              ;   in Loop: Header=BB128_49 Depth=1
	s_or_b64 exec, exec, s[16:17]
	v_lshlrev_b32_e32 v7, 16, v7
	v_mul_f32_e32 v19, v28, v7
	v_and_b32_e32 v7, 0x7f800000, v19
	v_cmp_ne_u32_e64 s[0:1], s24, v7
                                        ; implicit-def: $vgpr7
	s_and_saveexec_b64 s[16:17], s[0:1]
	s_xor_b64 s[0:1], exec, s[16:17]
; %bb.158:                              ;   in Loop: Header=BB128_49 Depth=1
	v_bfe_u32 v7, v19, 16, 1
	v_add3_u32 v7, v19, v7, s25
                                        ; implicit-def: $vgpr19
; %bb.159:                              ;   in Loop: Header=BB128_49 Depth=1
	s_andn2_saveexec_b64 s[16:17], s[0:1]
; %bb.160:                              ;   in Loop: Header=BB128_49 Depth=1
	v_or_b32_e32 v7, 0x10000, v19
	v_cmp_eq_u32_sdwa s[0:1], v19, v15 src0_sel:WORD_0 src1_sel:DWORD
	s_nop 1
	v_cndmask_b32_e64 v7, v7, v19, s[0:1]
; %bb.161:                              ;   in Loop: Header=BB128_49 Depth=1
	s_or_b64 exec, exec, s[16:17]
	v_lshlrev_b32_e32 v3, 16, v3
	v_mul_f32_e32 v19, v29, v3
	v_and_b32_e32 v3, 0x7f800000, v19
	v_cmp_ne_u32_e64 s[0:1], s24, v3
                                        ; implicit-def: $vgpr3
	s_and_saveexec_b64 s[16:17], s[0:1]
	s_xor_b64 s[0:1], exec, s[16:17]
; %bb.162:                              ;   in Loop: Header=BB128_49 Depth=1
	v_bfe_u32 v3, v19, 16, 1
	v_add3_u32 v3, v19, v3, s25
                                        ; implicit-def: $vgpr19
; %bb.163:                              ;   in Loop: Header=BB128_49 Depth=1
	s_andn2_saveexec_b64 s[16:17], s[0:1]
; %bb.164:                              ;   in Loop: Header=BB128_49 Depth=1
	v_or_b32_e32 v3, 0x10000, v19
	v_cmp_eq_u32_sdwa s[0:1], v19, v15 src0_sel:WORD_0 src1_sel:DWORD
	s_nop 1
	v_cndmask_b32_e64 v3, v3, v19, s[0:1]
; %bb.165:                              ;   in Loop: Header=BB128_49 Depth=1
	s_or_b64 exec, exec, s[16:17]
	v_lshlrev_b32_e32 v9, 16, v9
	v_mul_f32_e32 v19, v30, v9
	v_and_b32_e32 v9, 0x7f800000, v19
	v_cmp_ne_u32_e64 s[0:1], s24, v9
                                        ; implicit-def: $vgpr9
	s_and_saveexec_b64 s[16:17], s[0:1]
	s_xor_b64 s[0:1], exec, s[16:17]
; %bb.166:                              ;   in Loop: Header=BB128_49 Depth=1
	v_bfe_u32 v9, v19, 16, 1
	v_add3_u32 v9, v19, v9, s25
                                        ; implicit-def: $vgpr19
; %bb.167:                              ;   in Loop: Header=BB128_49 Depth=1
	s_andn2_saveexec_b64 s[16:17], s[0:1]
; %bb.168:                              ;   in Loop: Header=BB128_49 Depth=1
	v_or_b32_e32 v9, 0x10000, v19
	v_cmp_eq_u32_sdwa s[0:1], v19, v15 src0_sel:WORD_0 src1_sel:DWORD
	s_nop 1
	v_cndmask_b32_e64 v9, v9, v19, s[0:1]
; %bb.169:                              ;   in Loop: Header=BB128_49 Depth=1
	s_or_b64 exec, exec, s[16:17]
	v_lshlrev_b32_e32 v4, 16, v4
	v_mul_f32_e32 v19, v31, v4
	v_and_b32_e32 v4, 0x7f800000, v19
	v_cmp_ne_u32_e64 s[0:1], s24, v4
                                        ; implicit-def: $vgpr4
	s_and_saveexec_b64 s[16:17], s[0:1]
	s_xor_b64 s[0:1], exec, s[16:17]
; %bb.170:                              ;   in Loop: Header=BB128_49 Depth=1
	v_bfe_u32 v4, v19, 16, 1
	v_add3_u32 v4, v19, v4, s25
                                        ; implicit-def: $vgpr19
; %bb.171:                              ;   in Loop: Header=BB128_49 Depth=1
	s_andn2_saveexec_b64 s[16:17], s[0:1]
; %bb.172:                              ;   in Loop: Header=BB128_49 Depth=1
	v_or_b32_e32 v4, 0x10000, v19
	v_cmp_eq_u32_sdwa s[0:1], v19, v15 src0_sel:WORD_0 src1_sel:DWORD
	s_nop 1
	v_cndmask_b32_e64 v4, v4, v19, s[0:1]
; %bb.173:                              ;   in Loop: Header=BB128_49 Depth=1
	s_or_b64 exec, exec, s[16:17]
	v_lshlrev_b32_e32 v8, 16, v8
	v_mul_f32_e32 v19, v32, v8
	v_and_b32_e32 v8, 0x7f800000, v19
	v_cmp_ne_u32_e64 s[0:1], s24, v8
                                        ; implicit-def: $vgpr8
	s_and_saveexec_b64 s[16:17], s[0:1]
	s_xor_b64 s[0:1], exec, s[16:17]
; %bb.174:                              ;   in Loop: Header=BB128_49 Depth=1
	v_bfe_u32 v8, v19, 16, 1
	v_add3_u32 v8, v19, v8, s25
                                        ; implicit-def: $vgpr19
; %bb.175:                              ;   in Loop: Header=BB128_49 Depth=1
	s_andn2_saveexec_b64 s[16:17], s[0:1]
; %bb.176:                              ;   in Loop: Header=BB128_49 Depth=1
	v_or_b32_e32 v8, 0x10000, v19
	v_cmp_eq_u32_sdwa s[0:1], v19, v15 src0_sel:WORD_0 src1_sel:DWORD
	s_nop 1
	v_cndmask_b32_e64 v8, v8, v19, s[0:1]
; %bb.177:                              ;   in Loop: Header=BB128_49 Depth=1
	s_or_b64 exec, exec, s[16:17]
	v_lshlrev_b32_e32 v5, 16, v5
	v_mul_f32_e32 v19, v33, v5
	v_and_b32_e32 v5, 0x7f800000, v19
	v_cmp_ne_u32_e64 s[0:1], s24, v5
                                        ; implicit-def: $vgpr5
	s_and_saveexec_b64 s[16:17], s[0:1]
	s_xor_b64 s[0:1], exec, s[16:17]
; %bb.178:                              ;   in Loop: Header=BB128_49 Depth=1
	v_bfe_u32 v5, v19, 16, 1
	v_add3_u32 v5, v19, v5, s25
                                        ; implicit-def: $vgpr19
; %bb.179:                              ;   in Loop: Header=BB128_49 Depth=1
	s_andn2_saveexec_b64 s[16:17], s[0:1]
; %bb.180:                              ;   in Loop: Header=BB128_49 Depth=1
	v_or_b32_e32 v5, 0x10000, v19
	v_cmp_eq_u32_sdwa s[0:1], v19, v15 src0_sel:WORD_0 src1_sel:DWORD
	s_nop 1
	v_cndmask_b32_e64 v5, v5, v19, s[0:1]
; %bb.181:                              ;   in Loop: Header=BB128_49 Depth=1
	s_or_b64 exec, exec, s[16:17]
	v_lshlrev_b32_e32 v6, 16, v6
	v_mul_f32_e32 v6, v34, v6
	v_and_b32_e32 v19, 0x7f800000, v6
	v_cmp_ne_u32_e64 s[0:1], s24, v19
                                        ; implicit-def: $vgpr19
	s_and_saveexec_b64 s[16:17], s[0:1]
	s_xor_b64 s[0:1], exec, s[16:17]
; %bb.182:                              ;   in Loop: Header=BB128_49 Depth=1
	v_bfe_u32 v19, v6, 16, 1
	v_add3_u32 v19, v6, v19, s25
                                        ; implicit-def: $vgpr6
; %bb.183:                              ;   in Loop: Header=BB128_49 Depth=1
	s_andn2_saveexec_b64 s[16:17], s[0:1]
	s_cbranch_execz .LBB128_46
; %bb.184:                              ;   in Loop: Header=BB128_49 Depth=1
	v_or_b32_e32 v19, 0x10000, v6
	v_cmp_eq_u32_sdwa s[0:1], v6, v15 src0_sel:WORD_0 src1_sel:DWORD
	s_nop 1
	v_cndmask_b32_e64 v19, v19, v6, s[0:1]
	s_branch .LBB128_46
.LBB128_185:
	s_or_b64 exec, exec, s[12:13]
.LBB128_186:
	s_or_b64 exec, exec, s[8:9]
	ds_bpermute_b32 v2, v20, v10
	ds_bpermute_b32 v3, v20, v11
	;; [unrolled: 1-line block ×3, first 2 shown]
	s_waitcnt lgkmcnt(0)
	s_barrier
	v_pk_add_f32 v[4:5], v[10:11], v[2:3]
	v_add_f32_e32 v2, v12, v1
	v_and_b32_e32 v1, 0x3c0, v0
	v_cmp_eq_u32_e32 vcc, 64, v1
	s_and_saveexec_b64 s[2:3], vcc
	s_cbranch_execz .LBB128_191
; %bb.187:
	v_cmp_eq_u32_e32 vcc, 0, v21
	s_and_saveexec_b64 s[0:1], vcc
	s_cbranch_execz .LBB128_189
; %bb.188:
	v_mov_b32_e32 v1, 0xb0
	v_lshl_add_u32 v1, v22, 2, v1
	ds_write2_b32 v1, v4, v5 offset1:32
.LBB128_189:
	s_or_b64 exec, exec, s[0:1]
	v_or_b32_e32 v1, 64, v22
	s_movk_i32 s0, 0x50
	v_cmp_gt_u32_e64 s[0:1], s0, v1
	s_and_b64 s[0:1], vcc, s[0:1]
	s_and_b64 exec, exec, s[0:1]
	s_cbranch_execz .LBB128_191
; %bb.190:
	v_mov_b32_e32 v1, 0xb0
	v_lshl_add_u32 v1, v22, 2, v1
	ds_write_b32 v1, v2 offset:256
.LBB128_191:
	s_or_b64 exec, exec, s[2:3]
	v_cmp_gt_u32_e32 vcc, 64, v0
	v_cmp_lt_u32_e64 s[0:1], 63, v0
	s_waitcnt lgkmcnt(0)
	s_barrier
	s_and_saveexec_b64 s[2:3], s[0:1]
	s_xor_b64 s[0:1], exec, s[2:3]
	s_or_saveexec_b64 s[6:7], s[0:1]
	v_lshrrev_b32_e32 v3, 1, v0
	s_xor_b64 exec, exec, s[6:7]
	s_cbranch_execz .LBB128_199
; %bb.192:
	v_cmp_eq_u32_e64 s[0:1], 0, v21
	s_and_saveexec_b64 s[2:3], s[0:1]
	s_cbranch_execz .LBB128_194
; %bb.193:
	v_mov_b32_e32 v0, 0xb0
	v_lshl_add_u32 v0, v3, 2, v0
	ds_read_b32 v0, v0
	s_waitcnt lgkmcnt(0)
	v_add_f32_e32 v4, v4, v0
.LBB128_194:
	s_or_b64 exec, exec, s[2:3]
	s_and_saveexec_b64 s[2:3], s[0:1]
	s_cbranch_execz .LBB128_196
; %bb.195:
	v_mov_b32_e32 v0, 0xb0
	v_lshl_add_u32 v0, v3, 2, v0
	ds_read_b32 v0, v0 offset:128
	s_waitcnt lgkmcnt(0)
	v_add_f32_e32 v5, v5, v0
.LBB128_196:
	s_or_b64 exec, exec, s[2:3]
	v_or_b32_e32 v0, 64, v3
	s_movk_i32 s2, 0x50
	v_cmp_gt_u32_e64 s[2:3], s2, v0
	s_and_b64 s[2:3], s[0:1], s[2:3]
	s_and_saveexec_b64 s[0:1], s[2:3]
	s_cbranch_execz .LBB128_198
; %bb.197:
	v_mov_b32_e32 v0, 0xb0
	v_lshl_add_u32 v0, v3, 2, v0
	ds_read_b32 v0, v0 offset:256
	s_waitcnt lgkmcnt(0)
	v_add_f32_e32 v2, v2, v0
.LBB128_198:
	s_or_b64 exec, exec, s[0:1]
.LBB128_199:
	s_or_b64 exec, exec, s[6:7]
	s_barrier
	s_and_saveexec_b64 s[0:1], vcc
	s_cbranch_execz .LBB128_216
; %bb.200:
	s_mul_i32 s0, s10, s11
	s_mul_i32 s0, s0, s5
	s_mulk_i32 s0, 0x50
	s_ashr_i32 s1, s0, 31
	s_lshl_b64 s[0:1], s[0:1], 1
	s_add_u32 s2, s22, s0
	s_mul_i32 s0, s11, s20
	s_addc_u32 s3, s23, s1
	s_ashr_i32 s1, s0, 31
	s_lshl_b64 s[0:1], s[0:1], 1
	s_add_u32 s2, s2, s0
	s_mul_i32 s0, s4, 0x50
	s_addc_u32 s3, s3, s1
	s_ashr_i32 s1, s0, 31
	s_lshl_b64 s[0:1], s[0:1], 1
	s_add_u32 s2, s2, s0
	s_addc_u32 s3, s3, s1
	v_cmp_eq_u32_e32 vcc, 0, v21
	s_and_saveexec_b64 s[4:5], vcc
	s_cbranch_execz .LBB128_210
; %bb.201:
	s_mov_b32 s0, 0x7f800000
	v_and_b32_e32 v0, 0x7f800000, v4
	v_cmp_ne_u32_e64 s[0:1], s0, v0
                                        ; implicit-def: $vgpr6
	s_and_saveexec_b64 s[6:7], s[0:1]
	s_xor_b64 s[0:1], exec, s[6:7]
; %bb.202:
	v_bfe_u32 v0, v4, 16, 1
	s_movk_i32 s6, 0x7fff
	v_add3_u32 v6, v4, v0, s6
; %bb.203:
	s_andn2_saveexec_b64 s[6:7], s[0:1]
; %bb.204:
	v_mov_b32_e32 v0, 0
	v_or_b32_e32 v1, 0x10000, v4
	v_cmp_eq_u32_sdwa s[0:1], v4, v0 src0_sel:WORD_0 src1_sel:DWORD
	s_nop 1
	v_cndmask_b32_e64 v6, v1, v4, s[0:1]
; %bb.205:
	s_or_b64 exec, exec, s[6:7]
	s_mov_b32 s0, 0x7f800000
	v_and_b32_e32 v4, 0x7f800000, v5
	v_lshlrev_b32_e32 v0, 1, v3
	v_mov_b32_e32 v1, 0
	v_cmp_ne_u32_e64 s[0:1], s0, v4
	global_store_short_d16_hi v0, v6, s[2:3]
                                        ; implicit-def: $vgpr7
	s_and_saveexec_b64 s[6:7], s[0:1]
	s_xor_b64 s[0:1], exec, s[6:7]
; %bb.206:
	v_bfe_u32 v4, v5, 16, 1
	s_movk_i32 s6, 0x7fff
	v_add3_u32 v7, v5, v4, s6
                                        ; implicit-def: $vgpr4_vgpr5_vgpr6
; %bb.207:
	s_or_saveexec_b64 s[6:7], s[0:1]
	v_lshl_add_u64 v[0:1], s[2:3], 0, v[0:1]
	s_xor_b64 exec, exec, s[6:7]
; %bb.208:
	v_mov_b32_e32 v4, 0
	v_or_b32_e32 v6, 0x10000, v5
	v_cmp_eq_u32_sdwa s[0:1], v5, v4 src0_sel:WORD_0 src1_sel:DWORD
	s_nop 1
	v_cndmask_b32_e64 v7, v6, v5, s[0:1]
; %bb.209:
	s_or_b64 exec, exec, s[6:7]
	global_store_short_d16_hi v[0:1], v7, off offset:64
.LBB128_210:
	s_or_b64 exec, exec, s[4:5]
	v_or_b32_e32 v0, 64, v3
	s_movk_i32 s0, 0x50
	v_cmp_gt_u32_e64 s[0:1], s0, v0
	s_and_b64 s[0:1], vcc, s[0:1]
	s_and_b64 exec, exec, s[0:1]
	s_cbranch_execz .LBB128_216
; %bb.211:
	s_mov_b32 s0, 0x7f800000
	v_and_b32_e32 v0, 0x7f800000, v2
	v_cmp_ne_u32_e32 vcc, s0, v0
                                        ; implicit-def: $vgpr0
	s_and_saveexec_b64 s[0:1], vcc
	s_xor_b64 s[0:1], exec, s[0:1]
; %bb.212:
	v_bfe_u32 v0, v2, 16, 1
	s_movk_i32 s4, 0x7fff
	v_add3_u32 v0, v2, v0, s4
                                        ; implicit-def: $vgpr2
; %bb.213:
	s_andn2_saveexec_b64 s[0:1], s[0:1]
; %bb.214:
	v_mov_b32_e32 v0, 0
	v_or_b32_e32 v1, 0x10000, v2
	v_cmp_eq_u32_sdwa vcc, v2, v0 src0_sel:WORD_0 src1_sel:DWORD
	s_nop 1
	v_cndmask_b32_e32 v0, v1, v2, vcc
; %bb.215:
	s_or_b64 exec, exec, s[0:1]
	v_lshlrev_b32_e32 v1, 1, v3
	global_store_short_d16_hi v1, v0, s[2:3] offset:128
.LBB128_216:
	s_endpgm
	.section	.rodata,"a",@progbits
	.p2align	6, 0x0
	.amdhsa_kernel _ZN4vllm25paged_attention_v1_kernelI14__hip_bfloat16S1_Li80ELi16ELi128ELNS_18Fp8KVCacheDataTypeE0ELb1EEEvPT_PKS3_PKT0_S9_ifPKiSB_iPKfiiiSD_SD_iiiii
		.amdhsa_group_segment_fixed_size 176
		.amdhsa_private_segment_fixed_size 0
		.amdhsa_kernarg_size 384
		.amdhsa_user_sgpr_count 2
		.amdhsa_user_sgpr_dispatch_ptr 0
		.amdhsa_user_sgpr_queue_ptr 0
		.amdhsa_user_sgpr_kernarg_segment_ptr 1
		.amdhsa_user_sgpr_dispatch_id 0
		.amdhsa_user_sgpr_kernarg_preload_length 0
		.amdhsa_user_sgpr_kernarg_preload_offset 0
		.amdhsa_user_sgpr_private_segment_size 0
		.amdhsa_uses_dynamic_stack 0
		.amdhsa_enable_private_segment 0
		.amdhsa_system_sgpr_workgroup_id_x 1
		.amdhsa_system_sgpr_workgroup_id_y 1
		.amdhsa_system_sgpr_workgroup_id_z 1
		.amdhsa_system_sgpr_workgroup_info 0
		.amdhsa_system_vgpr_workitem_id 0
		.amdhsa_next_free_vgpr 63
		.amdhsa_next_free_sgpr 44
		.amdhsa_accum_offset 64
		.amdhsa_reserve_vcc 1
		.amdhsa_float_round_mode_32 0
		.amdhsa_float_round_mode_16_64 0
		.amdhsa_float_denorm_mode_32 3
		.amdhsa_float_denorm_mode_16_64 3
		.amdhsa_dx10_clamp 1
		.amdhsa_ieee_mode 1
		.amdhsa_fp16_overflow 0
		.amdhsa_tg_split 0
		.amdhsa_exception_fp_ieee_invalid_op 0
		.amdhsa_exception_fp_denorm_src 0
		.amdhsa_exception_fp_ieee_div_zero 0
		.amdhsa_exception_fp_ieee_overflow 0
		.amdhsa_exception_fp_ieee_underflow 0
		.amdhsa_exception_fp_ieee_inexact 0
		.amdhsa_exception_int_div_zero 0
	.end_amdhsa_kernel
	.section	.text._ZN4vllm25paged_attention_v1_kernelI14__hip_bfloat16S1_Li80ELi16ELi128ELNS_18Fp8KVCacheDataTypeE0ELb1EEEvPT_PKS3_PKT0_S9_ifPKiSB_iPKfiiiSD_SD_iiiii,"axG",@progbits,_ZN4vllm25paged_attention_v1_kernelI14__hip_bfloat16S1_Li80ELi16ELi128ELNS_18Fp8KVCacheDataTypeE0ELb1EEEvPT_PKS3_PKT0_S9_ifPKiSB_iPKfiiiSD_SD_iiiii,comdat
.Lfunc_end128:
	.size	_ZN4vllm25paged_attention_v1_kernelI14__hip_bfloat16S1_Li80ELi16ELi128ELNS_18Fp8KVCacheDataTypeE0ELb1EEEvPT_PKS3_PKT0_S9_ifPKiSB_iPKfiiiSD_SD_iiiii, .Lfunc_end128-_ZN4vllm25paged_attention_v1_kernelI14__hip_bfloat16S1_Li80ELi16ELi128ELNS_18Fp8KVCacheDataTypeE0ELb1EEEvPT_PKS3_PKT0_S9_ifPKiSB_iPKfiiiSD_SD_iiiii
                                        ; -- End function
	.section	.AMDGPU.csdata,"",@progbits
; Kernel info:
; codeLenInByte = 8416
; NumSgprs: 50
; NumVgprs: 63
; NumAgprs: 0
; TotalNumVgprs: 63
; ScratchSize: 0
; MemoryBound: 0
; FloatMode: 240
; IeeeMode: 1
; LDSByteSize: 176 bytes/workgroup (compile time only)
; SGPRBlocks: 6
; VGPRBlocks: 7
; NumSGPRsForWavesPerEU: 50
; NumVGPRsForWavesPerEU: 63
; AccumOffset: 64
; Occupancy: 8
; WaveLimiterHint : 1
; COMPUTE_PGM_RSRC2:SCRATCH_EN: 0
; COMPUTE_PGM_RSRC2:USER_SGPR: 2
; COMPUTE_PGM_RSRC2:TRAP_HANDLER: 0
; COMPUTE_PGM_RSRC2:TGID_X_EN: 1
; COMPUTE_PGM_RSRC2:TGID_Y_EN: 1
; COMPUTE_PGM_RSRC2:TGID_Z_EN: 1
; COMPUTE_PGM_RSRC2:TIDIG_COMP_CNT: 0
; COMPUTE_PGM_RSRC3_GFX90A:ACCUM_OFFSET: 15
; COMPUTE_PGM_RSRC3_GFX90A:TG_SPLIT: 0
	.section	.text._ZN4vllm25paged_attention_v1_kernelI14__hip_bfloat16S1_Li96ELi16ELi128ELNS_18Fp8KVCacheDataTypeE0ELb1EEEvPT_PKS3_PKT0_S9_ifPKiSB_iPKfiiiSD_SD_iiiii,"axG",@progbits,_ZN4vllm25paged_attention_v1_kernelI14__hip_bfloat16S1_Li96ELi16ELi128ELNS_18Fp8KVCacheDataTypeE0ELb1EEEvPT_PKS3_PKT0_S9_ifPKiSB_iPKfiiiSD_SD_iiiii,comdat
	.protected	_ZN4vllm25paged_attention_v1_kernelI14__hip_bfloat16S1_Li96ELi16ELi128ELNS_18Fp8KVCacheDataTypeE0ELb1EEEvPT_PKS3_PKT0_S9_ifPKiSB_iPKfiiiSD_SD_iiiii ; -- Begin function _ZN4vllm25paged_attention_v1_kernelI14__hip_bfloat16S1_Li96ELi16ELi128ELNS_18Fp8KVCacheDataTypeE0ELb1EEEvPT_PKS3_PKT0_S9_ifPKiSB_iPKfiiiSD_SD_iiiii
	.globl	_ZN4vllm25paged_attention_v1_kernelI14__hip_bfloat16S1_Li96ELi16ELi128ELNS_18Fp8KVCacheDataTypeE0ELb1EEEvPT_PKS3_PKT0_S9_ifPKiSB_iPKfiiiSD_SD_iiiii
	.p2align	8
	.type	_ZN4vllm25paged_attention_v1_kernelI14__hip_bfloat16S1_Li96ELi16ELi128ELNS_18Fp8KVCacheDataTypeE0ELb1EEEvPT_PKS3_PKT0_S9_ifPKiSB_iPKfiiiSD_SD_iiiii,@function
_ZN4vllm25paged_attention_v1_kernelI14__hip_bfloat16S1_Li96ELi16ELi128ELNS_18Fp8KVCacheDataTypeE0ELb1EEEvPT_PKS3_PKT0_S9_ifPKiSB_iPKfiiiSD_SD_iiiii: ; @_ZN4vllm25paged_attention_v1_kernelI14__hip_bfloat16S1_Li96ELi16ELi128ELNS_18Fp8KVCacheDataTypeE0ELb1EEEvPT_PKS3_PKT0_S9_ifPKiSB_iPKfiiiSD_SD_iiiii
; %bb.0:
	s_load_dword s5, s[0:1], 0x80
	s_load_dwordx2 s[6:7], s[0:1], 0x30
	s_load_dwordx2 s[30:31], s[0:1], 0x20
	s_mov_b32 s10, s3
	s_ashr_i32 s11, s3, 31
	s_lshl_b64 s[8:9], s[10:11], 2
	s_waitcnt lgkmcnt(0)
	s_add_u32 s6, s6, s8
	s_addc_u32 s7, s7, s9
	s_abs_i32 s3, s30
	v_cvt_f32_u32_e32 v1, s3
	s_sub_i32 s11, 0, s3
	s_abs_i32 s9, s5
	s_xor_b32 s8, s5, s30
	v_rcp_iflag_f32_e32 v1, v1
	s_ashr_i32 s8, s8, 31
	s_mov_b32 s42, 0
	v_mul_f32_e32 v1, 0x4f7ffffe, v1
	v_cvt_u32_f32_e32 v1, v1
	s_nop 0
	v_readfirstlane_b32 s12, v1
	s_mul_i32 s11, s11, s12
	s_mul_hi_u32 s11, s12, s11
	s_add_i32 s12, s12, s11
	s_mul_hi_u32 s11, s9, s12
	s_mul_i32 s12, s11, s3
	s_sub_i32 s9, s9, s12
	s_add_i32 s12, s11, 1
	s_sub_i32 s13, s9, s3
	s_cmp_ge_u32 s9, s3
	s_cselect_b32 s11, s12, s11
	s_cselect_b32 s9, s13, s9
	s_add_i32 s12, s11, 1
	s_cmp_ge_u32 s9, s3
	s_cselect_b32 s3, s12, s11
	s_xor_b32 s3, s3, s8
	s_sub_i32 s16, s3, s8
	s_abs_i32 s11, s16
	v_cvt_f32_u32_e32 v1, s11
	s_load_dwordx2 s[8:9], s[0:1], 0x40
	s_sub_i32 s3, 0, s11
	s_abs_i32 s22, s2
	v_rcp_iflag_f32_e32 v1, v1
	s_nop 0
	v_mul_f32_e32 v1, 0x4f7ffffe, v1
	v_cvt_u32_f32_e32 v1, v1
	s_nop 0
	v_readfirstlane_b32 s12, v1
	s_mul_i32 s3, s3, s12
	s_mul_hi_u32 s3, s12, s3
	s_add_i32 s12, s12, s3
	s_waitcnt lgkmcnt(0)
	s_cmp_eq_u64 s[8:9], 0
	s_mul_hi_u32 s23, s22, s12
	s_cbranch_scc1 .LBB129_2
; %bb.1:
	s_ashr_i32 s3, s2, 31
	s_lshl_b64 s[12:13], s[2:3], 2
	s_add_u32 s8, s8, s12
	s_addc_u32 s9, s9, s13
	s_load_dword s42, s[8:9], 0x0
.LBB129_2:
	s_load_dword s33, s[6:7], 0x0
	s_load_dwordx4 s[12:15], s[0:1], 0x48
	s_ashr_i32 s3, s2, 31
	s_ashr_i32 s9, s16, 31
	v_and_b32_e32 v4, 3, v0
	s_mul_i32 s20, s2, 0x60
	v_cmp_gt_u32_e32 vcc, 48, v0
	s_and_saveexec_b64 s[6:7], vcc
	s_cbranch_execz .LBB129_4
; %bb.3:
	s_load_dwordx2 s[16:17], s[0:1], 0x8
	s_waitcnt lgkmcnt(0)
	s_mul_i32 s18, s10, s12
	s_ashr_i32 s19, s18, 31
	s_lshl_b64 s[18:19], s[18:19], 1
	v_lshlrev_b32_e32 v1, 2, v0
	s_add_u32 s8, s16, s18
	s_addc_u32 s12, s17, s19
	s_ashr_i32 s21, s20, 31
	s_lshl_b64 s[16:17], s[20:21], 1
	s_add_u32 s16, s8, s16
	s_addc_u32 s17, s12, s17
	global_load_dword v1, v1, s[16:17]
	v_and_b32_e32 v2, 0x3fc, v0
	v_mad_u32_u24 v2, v4, 48, v2
	s_waitcnt vmcnt(0)
	ds_write_b32 v2, v1
.LBB129_4:
	s_or_b64 exec, exec, s[6:7]
	s_mul_i32 s6, s23, s11
	s_sub_i32 s6, s22, s6
	s_xor_b32 s3, s3, s9
	s_add_i32 s7, s23, 1
	s_sub_i32 s9, s6, s11
	s_load_dwordx4 s[16:19], s[0:1], 0x68
	s_load_dword s8, s[0:1], 0x78
	s_cmp_ge_u32 s6, s11
	s_cselect_b32 s7, s7, s23
	s_cselect_b32 s6, s9, s6
	s_add_i32 s9, s7, 1
	s_cmp_ge_u32 s6, s11
	s_cselect_b32 s6, s9, s7
	s_waitcnt lgkmcnt(0)
	s_abs_i32 s21, s19
	v_cvt_f32_u32_e32 v1, s21
	s_xor_b32 s6, s6, s3
	s_sub_i32 s3, s6, s3
	s_sub_i32 s6, 0, s21
	v_rcp_iflag_f32_e32 v1, v1
	s_add_i32 s11, s33, -1
	s_abs_i32 s9, s11
	v_mul_f32_e32 v1, 0x4f7ffffe, v1
	v_cvt_u32_f32_e32 v1, v1
	s_barrier
	v_readfirstlane_b32 s40, v1
	s_mul_i32 s6, s6, s40
	s_mul_hi_u32 s6, s40, s6
	s_add_i32 s40, s40, s6
	s_cmp_lt_i32 s8, 0
	s_mul_hi_u32 s12, s9, s40
	s_cbranch_scc0 .LBB129_6
; %bb.5:
	s_mul_i32 s6, s16, s30
	s_add_i32 s6, s3, s6
	s_mul_i32 s6, s6, s8
	s_sub_i32 s41, 1, s6
	s_mov_b64 s[6:7], 0
	s_branch .LBB129_7
.LBB129_6:
	s_mov_b64 s[6:7], -1
                                        ; implicit-def: $sgpr41
.LBB129_7:
	s_load_dwordx2 s[24:25], s[0:1], 0x28
	s_ashr_i32 s15, s11, 31
	s_andn2_b64 vcc, exec, s[6:7]
	s_ashr_i32 s19, s19, 31
	s_cbranch_vccnz .LBB129_9
; %bb.8:
	s_mul_i32 s6, s5, s16
	s_add_i32 s2, s6, s2
	s_mul_i32 s2, s2, s8
	s_add_i32 s41, s2, 1
.LBB129_9:
	s_load_dword s2, s[0:1], 0x38
	s_load_dwordx2 s[22:23], s[0:1], 0x0
	s_load_dwordx2 s[28:29], s[0:1], 0x18
	s_load_dword s11, s[0:1], 0x88
	s_xor_b32 s6, s15, s19
	s_waitcnt lgkmcnt(0)
	s_mul_i32 s26, s10, s2
	s_mul_i32 s2, s12, s21
	s_sub_i32 s2, s9, s2
	s_ashr_i32 s27, s26, 31
	s_add_i32 s7, s12, 1
	s_sub_i32 s8, s2, s21
	s_cmp_ge_u32 s2, s21
	s_cselect_b32 s7, s7, s12
	s_cselect_b32 s2, s8, s2
	s_add_i32 s8, s7, 1
	s_cmp_ge_u32 s2, s21
	s_cselect_b32 s2, s8, s7
	s_xor_b32 s2, s2, s6
	s_sub_i32 s12, s2, s6
	s_add_i32 s2, s33, 15
	s_ashr_i32 s6, s2, 31
	s_lshr_b32 s6, s6, 28
	s_add_i32 s2, s2, s6
	s_ashr_i32 s16, s2, 4
	v_lshrrev_b32_e32 v1, 6, v0
	v_cmp_gt_i32_e64 s[6:7], s16, v1
	v_mov_b32_e32 v10, 0xff7fffff
	s_mul_i32 s14, s3, s14
	v_lshrrev_b32_e32 v6, 4, v0
	v_lshlrev_b32_e32 v18, 4, v1
	v_mbcnt_lo_u32_b32 v7, -1, 0
	s_and_saveexec_b64 s[34:35], s[6:7]
	s_cbranch_execz .LBB129_19
; %bb.10:
	s_load_dwordx2 s[0:1], s[0:1], 0x10
	s_ashr_i32 s15, s14, 31
	s_sub_i32 s30, s12, s17
	s_lshl_b64 s[2:3], s[14:15], 1
	v_bfe_u32 v8, v0, 2, 4
	s_waitcnt lgkmcnt(0)
	s_add_u32 s0, s0, s2
	s_addc_u32 s1, s1, s3
	s_abs_i32 s15, s18
	v_cvt_f32_u32_e32 v5, s15
	v_lshlrev_b32_e32 v12, 4, v8
	v_mov_b32_e32 v13, 0
	v_lshl_add_u64 v[2:3], s[0:1], 0, v[12:13]
	v_rcp_iflag_f32_e32 v5, v5
	v_lshlrev_b32_e32 v9, 2, v0
	s_sub_i32 s0, 0, s15
	v_cmp_eq_u32_e32 vcc, 0, v4
	v_mul_f32_e32 v5, 0x4f7ffffe, v5
	v_cvt_u32_f32_e32 v5, v5
	v_and_b32_e32 v12, 12, v9
	v_mul_u32_u24_e32 v9, 48, v4
	v_lshlrev_b32_e32 v10, 2, v8
	v_mul_lo_u32 v4, s0, v5
	s_lshl_b64 s[0:1], s[26:27], 2
	s_add_u32 s0, s24, s0
	v_lshl_add_u64 v[2:3], v[2:3], 0, v[12:13]
	v_mul_hi_u32 v4, v5, v4
	v_and_b32_e32 v12, 60, v6
	s_addc_u32 s1, s25, s1
	v_lshl_or_b32 v10, v1, 6, v10
	v_add_u32_e32 v11, v5, v4
	v_lshl_add_u64 v[4:5], s[0:1], 0, v[12:13]
	v_add_u32_e32 v13, 0xd0, v10
	v_subrev_u32_e32 v10, s33, v8
	v_mbcnt_hi_u32_b32 v16, -1, v7
	v_add_u32_e32 v14, 1, v10
	v_and_b32_e32 v10, 64, v16
	s_mov_b32 s43, s13
	v_cmp_neq_f32_e64 s[2:3], s42, 0
	v_lshlrev_b32_e32 v12, 4, v1
	s_mov_b64 s[36:37], 0
	v_mov_b32_e32 v15, 0xff7fffff
	v_add_u32_e32 v17, 64, v10
	v_xor_b32_e32 v19, 2, v16
	v_xor_b32_e32 v20, 1, v16
	v_mov_b32_e32 v10, 0xff7fffff
	v_mov_b32_e32 v21, v1
	s_branch .LBB129_13
.LBB129_11:                             ;   in Loop: Header=BB129_13 Depth=1
	s_or_b64 exec, exec, s[38:39]
.LBB129_12:                             ;   in Loop: Header=BB129_13 Depth=1
	s_or_b64 exec, exec, s[8:9]
	v_add_u32_e32 v21, 2, v21
	v_cmp_le_i32_e64 s[0:1], s16, v21
	v_lshl_add_u64 v[4:5], v[4:5], 0, 8
	v_add_u32_e32 v12, 32, v12
	s_or_b64 s[36:37], s[0:1], s[36:37]
	v_add_u32_e32 v13, 0x80, v13
	s_andn2_b64 exec, exec, s[36:37]
	s_cbranch_execz .LBB129_18
.LBB129_13:                             ; =>This Inner Loop Header: Depth=1
	v_mul_hi_u32 v22, v12, s40
	s_waitcnt lgkmcnt(0)
	v_mul_lo_u32 v23, v22, s21
	v_sub_u32_e32 v23, v12, v23
	v_add_u32_e32 v24, 1, v22
	v_cmp_le_u32_e64 s[0:1], s21, v23
	s_nop 1
	v_cndmask_b32_e64 v22, v22, v24, s[0:1]
	v_subrev_u32_e32 v24, s21, v23
	v_cndmask_b32_e64 v23, v23, v24, s[0:1]
	v_add_u32_e32 v24, 1, v22
	v_cmp_le_u32_e64 s[0:1], s21, v23
	s_nop 1
	v_cndmask_b32_e64 v22, v22, v24, s[0:1]
	v_xor_b32_e32 v22, s19, v22
	v_subrev_u32_e32 v22, s19, v22
	v_add_u32_e32 v23, s41, v22
	v_sub_u32_e32 v25, 0, v23
	v_ashrrev_i32_e32 v24, 31, v23
	v_max_i32_e32 v23, v23, v25
	v_mul_hi_u32 v25, v23, v11
	v_mul_lo_u32 v25, v25, s15
	v_sub_u32_e32 v23, v23, v25
	v_subrev_u32_e32 v25, s15, v23
	v_cmp_le_u32_e64 s[0:1], s15, v23
	v_cmp_ge_i32_e64 s[8:9], s30, v22
	s_nop 0
	v_cndmask_b32_e64 v23, v23, v25, s[0:1]
	v_subrev_u32_e32 v25, s15, v23
	v_cmp_le_u32_e64 s[0:1], s15, v23
	s_nop 1
	v_cndmask_b32_e64 v23, v23, v25, s[0:1]
	v_xor_b32_e32 v23, v23, v24
	v_sub_u32_e32 v23, v23, v24
	v_cmp_ne_u32_e64 s[0:1], 0, v23
	s_and_b64 s[0:1], s[0:1], s[8:9]
	s_and_b64 s[38:39], vcc, s[0:1]
	s_and_saveexec_b64 s[8:9], s[38:39]
	s_cbranch_execz .LBB129_15
; %bb.14:                               ;   in Loop: Header=BB129_13 Depth=1
	ds_write_b32 v13, v15
.LBB129_15:                             ;   in Loop: Header=BB129_13 Depth=1
	s_or_b64 exec, exec, s[8:9]
	s_xor_b64 s[0:1], s[0:1], -1
	s_and_saveexec_b64 s[8:9], s[0:1]
	s_cbranch_execz .LBB129_12
; %bb.16:                               ;   in Loop: Header=BB129_13 Depth=1
	global_load_dword v22, v[4:5], off
	s_waitcnt vmcnt(0)
	v_mad_i64_i32 v[22:23], s[0:1], v22, s43, 0
	v_lshl_add_u64 v[22:23], v[22:23], 1, v[2:3]
	global_load_dword v34, v[22:23], off
	global_load_dword v35, v[22:23], off offset:256
	global_load_dword v36, v[22:23], off offset:512
	;; [unrolled: 1-line block ×11, first 2 shown]
	ds_read_b128 v[22:25], v9
	ds_read_b128 v[26:29], v9 offset:16
	ds_read_b128 v[30:33], v9 offset:32
	v_cmp_lt_i32_e64 s[0:1], v19, v17
	s_waitcnt lgkmcnt(2)
	v_lshlrev_b32_e32 v48, 16, v23
	v_and_b32_e32 v23, 0xffff0000, v23
	v_lshlrev_b32_e32 v47, 16, v22
	v_and_b32_e32 v22, 0xffff0000, v22
	v_lshlrev_b32_e32 v49, 16, v24
	v_and_b32_e32 v24, 0xffff0000, v24
	v_lshlrev_b32_e32 v50, 16, v25
	v_and_b32_e32 v25, 0xffff0000, v25
	s_waitcnt lgkmcnt(1)
	v_lshlrev_b32_e32 v51, 16, v26
	v_and_b32_e32 v26, 0xffff0000, v26
	v_lshlrev_b32_e32 v52, 16, v27
	v_and_b32_e32 v27, 0xffff0000, v27
	v_lshlrev_b32_e32 v53, 16, v28
	v_and_b32_e32 v28, 0xffff0000, v28
	v_lshlrev_b32_e32 v54, 16, v29
	v_and_b32_e32 v29, 0xffff0000, v29
	;; [unrolled: 9-line block ×3, first 2 shown]
	v_cndmask_b32_e64 v46, v16, v19, s[0:1]
	v_lshlrev_b32_e32 v46, 2, v46
	v_cmp_lt_i32_e64 s[0:1], v20, v17
	s_waitcnt vmcnt(11)
	v_lshlrev_b32_e32 v59, 16, v34
	s_waitcnt vmcnt(10)
	v_lshlrev_b32_e32 v60, 16, v35
	v_and_b32_e32 v35, 0xffff0000, v35
	v_and_b32_e32 v34, 0xffff0000, v34
	v_mul_f32_e32 v48, v48, v60
	v_mul_f32_e32 v23, v23, v35
	s_waitcnt vmcnt(9)
	v_lshlrev_b32_e32 v61, 16, v36
	v_and_b32_e32 v36, 0xffff0000, v36
	v_fmac_f32_e32 v48, v47, v59
	v_fmac_f32_e32 v23, v22, v34
	s_waitcnt vmcnt(8)
	v_lshlrev_b32_e32 v62, 16, v37
	v_and_b32_e32 v37, 0xffff0000, v37
	v_fmac_f32_e32 v48, v49, v61
	v_fmac_f32_e32 v23, v24, v36
	;; [unrolled: 5-line block ×10, first 2 shown]
	v_fmac_f32_e32 v48, v58, v70
	v_fmac_f32_e32 v23, v33, v45
	v_add_f32_e32 v22, v48, v23
	ds_bpermute_b32 v23, v46, v22
	v_cndmask_b32_e64 v24, v16, v20, s[0:1]
	v_lshlrev_b32_e32 v24, 2, v24
	s_waitcnt lgkmcnt(0)
	v_add_f32_e32 v22, v22, v23
	ds_bpermute_b32 v23, v24, v22
	s_and_saveexec_b64 s[38:39], vcc
	s_cbranch_execz .LBB129_11
; %bb.17:                               ;   in Loop: Header=BB129_13 Depth=1
	v_add_u32_e32 v24, v14, v12
	v_cvt_f32_i32_e32 v24, v24
	s_waitcnt lgkmcnt(0)
	v_add_f32_e32 v22, v22, v23
	v_add_u32_e32 v25, v8, v12
	v_cmp_gt_i32_e64 s[0:1], s33, v25
	v_mul_f32_e32 v23, s42, v24
	v_cndmask_b32_e64 v23, 0, v23, s[2:3]
	v_fmac_f32_e32 v23, s31, v22
	v_cndmask_b32_e64 v22, 0, v23, s[0:1]
	ds_write_b32 v13, v22
	v_max_f32_e32 v22, v10, v10
	v_max_f32_e32 v22, v22, v23
	v_cndmask_b32_e64 v10, v10, v22, s[0:1]
	s_branch .LBB129_11
.LBB129_18:
	s_or_b64 exec, exec, s[36:37]
.LBB129_19:
	s_or_b64 exec, exec, s[34:35]
	v_mbcnt_hi_u32_b32 v2, -1, v7
	v_and_b32_e32 v3, 64, v2
	v_add_u32_e32 v3, 64, v3
	v_xor_b32_e32 v4, 32, v2
	v_cmp_lt_i32_e32 vcc, v4, v3
	v_xor_b32_e32 v8, 16, v2
	v_max_f32_e32 v7, v10, v10
	v_cndmask_b32_e32 v4, v2, v4, vcc
	v_lshlrev_b32_e32 v4, 2, v4
	ds_bpermute_b32 v5, v4, v10
	v_cmp_lt_i32_e32 vcc, v8, v3
	v_xor_b32_e32 v9, 8, v2
	v_xor_b32_e32 v10, 4, v2
	v_and_b32_e32 v19, 63, v0
	s_waitcnt lgkmcnt(0)
	v_max_f32_e32 v5, v5, v5
	v_max_f32_e32 v7, v7, v5
	v_cndmask_b32_e32 v5, v2, v8, vcc
	v_lshlrev_b32_e32 v5, 2, v5
	ds_bpermute_b32 v8, v5, v7
	v_cmp_lt_i32_e32 vcc, v9, v3
	s_waitcnt lgkmcnt(0)
	v_max_f32_e32 v8, v8, v8
	v_max_f32_e32 v7, v7, v8
	v_cndmask_b32_e32 v8, v2, v9, vcc
	v_lshlrev_b32_e32 v9, 2, v8
	ds_bpermute_b32 v8, v9, v7
	v_cmp_lt_i32_e32 vcc, v10, v3
	s_waitcnt lgkmcnt(0)
	v_max_f32_e32 v8, v8, v8
	v_max_f32_e32 v8, v7, v8
	v_cndmask_b32_e32 v7, v2, v10, vcc
	v_lshlrev_b32_e32 v10, 2, v7
	ds_bpermute_b32 v11, v10, v8
	v_cmp_eq_u32_e32 vcc, 0, v19
	v_lshlrev_b32_e32 v7, 2, v1
	s_and_saveexec_b64 s[0:1], vcc
	s_cbranch_execz .LBB129_21
; %bb.20:
	s_waitcnt lgkmcnt(0)
	v_max_f32_e32 v11, v11, v11
	v_max_f32_e32 v8, v8, v8
	;; [unrolled: 1-line block ×3, first 2 shown]
	ds_write_b32 v7, v8 offset:192
.LBB129_21:
	s_or_b64 exec, exec, s[0:1]
	v_cmp_gt_u32_e64 s[0:1], 2, v19
	s_waitcnt lgkmcnt(0)
	v_mov_b32_e32 v11, 0xff7fffff
	v_lshlrev_b32_e32 v8, 2, v19
	s_barrier
	s_and_saveexec_b64 s[2:3], s[0:1]
	s_cbranch_execz .LBB129_23
; %bb.22:
	ds_read_b32 v11, v8 offset:192
.LBB129_23:
	s_or_b64 exec, exec, s[2:3]
	v_xor_b32_e32 v12, 1, v2
	v_cmp_lt_i32_e64 s[2:3], v12, v3
	v_lshlrev_b32_e32 v13, 2, v2
	s_nop 0
	v_cndmask_b32_e64 v12, v2, v12, s[2:3]
	v_lshlrev_b32_e32 v20, 2, v12
	s_waitcnt lgkmcnt(0)
	ds_bpermute_b32 v12, v20, v11
	v_max_f32_e32 v11, v11, v11
	s_lshl_b32 s2, s16, 4
	s_min_i32 s15, s2, s33
	v_cmp_gt_i32_e64 s[2:3], s15, v0
	s_waitcnt lgkmcnt(0)
	v_max_f32_e32 v12, v12, v12
	v_max_f32_e32 v12, v11, v12
	v_and_b32_e32 v11, 0x100, v13
	ds_bpermute_b32 v13, v11, v12
	v_mov_b32_e32 v12, 0
	s_and_saveexec_b64 s[30:31], s[2:3]
	s_cbranch_execz .LBB129_27
; %bb.24:
	v_mov_b32_e32 v12, 0xd0
	v_lshl_add_u32 v14, v0, 2, v12
	s_mov_b64 s[34:35], 0
	v_mov_b32_e32 v12, 0
	v_mov_b32_e32 v15, v0
.LBB129_25:                             ; =>This Inner Loop Header: Depth=1
	ds_read_b32 v16, v14
	v_add_u32_e32 v15, 0x80, v15
	v_cmp_le_i32_e64 s[8:9], s15, v15
	s_or_b64 s[34:35], s[8:9], s[34:35]
	s_waitcnt lgkmcnt(0)
	v_sub_f32_e32 v16, v16, v13
	v_mul_f32_e32 v16, 0x3fb8aa3b, v16
	v_exp_f32_e32 v16, v16
	ds_write_b32 v14, v16
	v_add_f32_e32 v12, v12, v16
	v_add_u32_e32 v14, 0x200, v14
	s_andn2_b64 exec, exec, s[34:35]
	s_cbranch_execnz .LBB129_25
; %bb.26:
	s_or_b64 exec, exec, s[34:35]
.LBB129_27:
	s_or_b64 exec, exec, s[30:31]
	ds_bpermute_b32 v4, v4, v12
	s_waitcnt lgkmcnt(0)
	v_add_f32_e32 v4, v12, v4
	ds_bpermute_b32 v5, v5, v4
	s_waitcnt lgkmcnt(0)
	v_add_f32_e32 v4, v4, v5
	ds_bpermute_b32 v5, v9, v4
	v_xor_b32_e32 v9, 2, v2
	v_cmp_lt_i32_e64 s[8:9], v9, v3
	s_waitcnt lgkmcnt(0)
	v_add_f32_e32 v4, v4, v5
	ds_bpermute_b32 v5, v10, v4
	v_cndmask_b32_e64 v2, v2, v9, s[8:9]
	v_lshlrev_b32_e32 v2, 2, v2
	s_waitcnt lgkmcnt(0)
	v_add_f32_e32 v3, v4, v5
	ds_bpermute_b32 v2, v2, v3
	s_waitcnt lgkmcnt(0)
	v_add_f32_e32 v2, v3, v2
	ds_bpermute_b32 v3, v20, v2
	s_waitcnt lgkmcnt(0)
	v_add_f32_e32 v2, v2, v3
	s_and_saveexec_b64 s[8:9], vcc
	s_cbranch_execz .LBB129_29
; %bb.28:
	ds_write_b32 v7, v2 offset:200
.LBB129_29:
	s_or_b64 exec, exec, s[8:9]
	s_waitcnt lgkmcnt(0)
	s_barrier
	s_and_saveexec_b64 s[8:9], s[0:1]
	s_cbranch_execz .LBB129_31
; %bb.30:
	ds_read_b32 v2, v8 offset:200
.LBB129_31:
	s_or_b64 exec, exec, s[8:9]
	s_waitcnt lgkmcnt(0)
	ds_bpermute_b32 v3, v20, v2
	s_waitcnt lgkmcnt(0)
	v_add_f32_e32 v2, v2, v3
	ds_bpermute_b32 v2, v11, v2
	s_and_saveexec_b64 s[0:1], s[2:3]
	s_cbranch_execz .LBB129_44
; %bb.32:
	s_waitcnt lgkmcnt(0)
	v_add_f32_e32 v2, 0x358637bd, v2
	v_div_scale_f32 v3, s[2:3], v2, v2, 1.0
	v_rcp_f32_e32 v4, v3
	v_div_scale_f32 v5, vcc, 1.0, v2, 1.0
	s_movk_i32 s2, 0x7f
	v_fma_f32 v7, -v3, v4, 1.0
	v_fmac_f32_e32 v4, v7, v4
	v_mul_f32_e32 v7, v5, v4
	v_fma_f32 v8, -v3, v7, v5
	v_fmac_f32_e32 v7, v8, v4
	v_fma_f32 v3, -v3, v7, v5
	v_div_fmas_f32 v3, v3, v4, v7
	v_xad_u32 v4, v0, -1, s15
	v_div_fixup_f32 v2, v3, v2, 1.0
	v_cmp_lt_u32_e32 vcc, s2, v4
	s_mov_b64 s[8:9], -1
	v_mov_b32_e32 v3, v0
	s_and_saveexec_b64 s[2:3], vcc
	s_cbranch_execz .LBB129_41
; %bb.33:
	v_lshrrev_b32_e32 v4, 7, v4
	v_add_u32_e32 v7, -1, v4
	v_lshrrev_b32_e32 v5, 1, v7
	v_mov_b32_e32 v3, v2
	v_add_u32_e32 v5, 1, v5
	v_cmp_lt_u32_e32 vcc, 13, v7
	v_mov_b32_e32 v9, 0
	s_and_saveexec_b64 s[8:9], vcc
	s_cbranch_execz .LBB129_37
; %bb.34:
	v_mov_b32_e32 v8, 0xd0
	v_and_b32_e32 v7, -8, v5
	v_lshl_add_u32 v8, v0, 2, v8
	s_mov_b32 s34, 0
	s_mov_b64 s[30:31], 0
.LBB129_35:                             ; =>This Inner Loop Header: Depth=1
	ds_read2st64_b32 v[10:11], v8 offset1:2
	ds_read2st64_b32 v[12:13], v8 offset0:4 offset1:6
	ds_read2st64_b32 v[14:15], v8 offset0:8 offset1:10
	;; [unrolled: 1-line block ×3, first 2 shown]
	v_add_u32_e32 v7, -8, v7
	s_waitcnt lgkmcnt(3)
	v_pk_mul_f32 v[10:11], v[2:3], v[10:11]
	s_waitcnt lgkmcnt(2)
	v_pk_mul_f32 v[12:13], v[2:3], v[12:13]
	ds_write2st64_b32 v8, v10, v11 offset1:2
	ds_write2st64_b32 v8, v12, v13 offset0:4 offset1:6
	ds_read2st64_b32 v[12:13], v8 offset0:16 offset1:18
	s_waitcnt lgkmcnt(4)
	v_pk_mul_f32 v[10:11], v[2:3], v[14:15]
	ds_write2st64_b32 v8, v10, v11 offset0:8 offset1:10
	s_waitcnt lgkmcnt(4)
	v_pk_mul_f32 v[10:11], v[2:3], v[16:17]
	ds_write2st64_b32 v8, v10, v11 offset0:12 offset1:14
	ds_read2st64_b32 v[10:11], v8 offset0:20 offset1:22
	s_waitcnt lgkmcnt(3)
	v_pk_mul_f32 v[12:13], v[2:3], v[12:13]
	ds_read2st64_b32 v[14:15], v8 offset0:24 offset1:26
	ds_write2st64_b32 v8, v12, v13 offset0:16 offset1:18
	ds_read2st64_b32 v[12:13], v8 offset0:28 offset1:30
	s_waitcnt lgkmcnt(3)
	v_pk_mul_f32 v[10:11], v[2:3], v[10:11]
	ds_write2st64_b32 v8, v10, v11 offset0:20 offset1:22
	s_waitcnt lgkmcnt(3)
	v_pk_mul_f32 v[10:11], v[2:3], v[14:15]
	ds_write2st64_b32 v8, v10, v11 offset0:24 offset1:26
	s_waitcnt lgkmcnt(2)
	v_pk_mul_f32 v[10:11], v[2:3], v[12:13]
	s_add_i32 s34, s34, 16
	v_cmp_eq_u32_e32 vcc, 0, v7
	ds_write2st64_b32 v8, v10, v11 offset0:28 offset1:30
	v_add_u32_e32 v8, 0x2000, v8
	s_or_b64 s[30:31], vcc, s[30:31]
	v_mov_b32_e32 v9, s34
	s_andn2_b64 exec, exec, s[30:31]
	s_cbranch_execnz .LBB129_35
; %bb.36:
	s_or_b64 exec, exec, s[30:31]
.LBB129_37:
	s_or_b64 exec, exec, s[8:9]
	v_and_b32_e32 v5, 7, v5
	v_cmp_ne_u32_e32 vcc, 0, v5
	s_and_saveexec_b64 s[8:9], vcc
	s_cbranch_execz .LBB129_40
; %bb.38:
	v_lshlrev_b32_e32 v7, 9, v9
	v_lshlrev_b32_e32 v8, 2, v0
	s_movk_i32 s30, 0xd0
	v_add3_u32 v7, v7, v8, s30
	s_mov_b64 s[30:31], 0
.LBB129_39:                             ; =>This Inner Loop Header: Depth=1
	ds_read2st64_b32 v[8:9], v7 offset1:2
	v_add_u32_e32 v5, -1, v5
	v_cmp_eq_u32_e32 vcc, 0, v5
	s_or_b64 s[30:31], vcc, s[30:31]
	s_waitcnt lgkmcnt(0)
	v_pk_mul_f32 v[8:9], v[2:3], v[8:9]
	ds_write2st64_b32 v7, v8, v9 offset1:2
	v_add_u32_e32 v7, 0x400, v7
	s_andn2_b64 exec, exec, s[30:31]
	s_cbranch_execnz .LBB129_39
.LBB129_40:
	s_or_b64 exec, exec, s[8:9]
	v_add_u32_e32 v4, 1, v4
	v_and_b32_e32 v5, 0x3fffffe, v4
	v_cmp_ne_u32_e32 vcc, v4, v5
	v_lshl_add_u32 v3, v5, 7, v0
	s_orn2_b64 s[8:9], vcc, exec
.LBB129_41:
	s_or_b64 exec, exec, s[2:3]
	s_and_b64 exec, exec, s[8:9]
	s_cbranch_execz .LBB129_44
; %bb.42:
	v_mov_b32_e32 v4, 0xd0
	v_lshl_add_u32 v4, v3, 2, v4
	s_mov_b64 s[2:3], 0
.LBB129_43:                             ; =>This Inner Loop Header: Depth=1
	ds_read_b32 v5, v4
	v_add_u32_e32 v3, 0x80, v3
	v_cmp_le_i32_e32 vcc, s15, v3
	s_or_b64 s[2:3], vcc, s[2:3]
	s_waitcnt lgkmcnt(0)
	v_mul_f32_e32 v5, v2, v5
	ds_write_b32 v4, v5
	v_add_u32_e32 v4, 0x200, v4
	s_andn2_b64 exec, exec, s[2:3]
	s_cbranch_execnz .LBB129_43
.LBB129_44:
	s_or_b64 exec, exec, s[0:1]
	v_mov_b32_e32 v12, 0
	v_and_b32_e32 v21, 1, v0
	v_mov_b32_e32 v11, 0
	v_mov_b32_e32 v10, 0
	s_waitcnt lgkmcnt(0)
	s_barrier
	s_and_saveexec_b64 s[2:3], s[6:7]
	s_cbranch_execz .LBB129_184
; %bb.45:
	s_ashr_i32 s15, s14, 31
	s_sub_i32 s17, s12, s17
	s_lshl_b64 s[0:1], s[14:15], 1
	s_add_u32 s0, s28, s0
	s_addc_u32 s1, s29, s1
	s_abs_i32 s14, s18
	v_cvt_f32_u32_e32 v2, s14
	v_lshlrev_b32_e32 v3, 3, v0
	s_sub_i32 s6, 0, s14
	v_and_b32_e32 v22, 8, v3
	v_rcp_iflag_f32_e32 v2, v2
	v_mov_b32_e32 v13, 0
	s_add_i32 s18, s16, -1
	s_mov_b32 s28, 0
	v_mul_f32_e32 v2, 0x4f7ffffe, v2
	v_cvt_u32_f32_e32 v2, v2
	s_mov_b32 s29, s28
	s_mov_b32 s30, s28
	;; [unrolled: 1-line block ×3, first 2 shown]
	v_mul_lo_u32 v3, s6, v2
	v_mul_hi_u32 v3, v2, v3
	v_add_u32_e32 v23, v2, v3
	v_lshlrev_b32_e32 v2, 4, v0
	v_and_b32_e32 v12, 0x3f0, v2
	v_lshl_add_u64 v[14:15], s[0:1], 0, v[12:13]
	s_lshl_b64 s[0:1], s[26:27], 2
	s_add_u32 s0, s24, s0
	v_and_b32_e32 v12, 60, v6
	s_addc_u32 s1, s25, s1
	v_lshlrev_b32_e32 v2, 5, v21
	v_lshl_add_u64 v[16:17], s[0:1], 0, v[12:13]
	v_lshl_or_b32 v2, v1, 6, v2
	v_mov_b32_e32 v10, s28
	v_add_u32_e32 v24, 0xd0, v2
	s_mov_b64 s[6:7], 0
	v_mov_b32_e32 v11, s29
	v_mov_b32_e32 v12, s30
	s_mov_b32 s24, 0x7f800000
	s_movk_i32 s25, 0x7fff
	s_branch .LBB129_48
.LBB129_46:                             ;   in Loop: Header=BB129_48 Depth=1
	s_or_b64 exec, exec, s[0:1]
	v_and_b32_e32 v32, 0xffff0000, v28
	v_and_b32_e32 v28, 0xffff0000, v27
	v_and_b32_e32 v27, 0xffff0000, v26
	v_and_b32_e32 v26, 0xffff0000, v9
	v_and_b32_e32 v9, 0xffff0000, v25
	v_and_b32_e32 v8, 0xffff0000, v8
	v_and_b32_e32 v33, 0xffff0000, v38
	v_and_b32_e32 v29, 0xffff0000, v29
	v_pk_add_f32 v[8:9], v[8:9], v[26:27]
	v_pk_add_f32 v[26:27], v[28:29], v[32:33]
	v_add_f32_e32 v8, v8, v9
	v_add_f32_e32 v8, v8, v26
	;; [unrolled: 1-line block ×3, first 2 shown]
	v_and_b32_e32 v29, 0xffff0000, v50
	v_and_b32_e32 v28, 0xffff0000, v48
	;; [unrolled: 1-line block ×4, first 2 shown]
	v_add_f32_e32 v10, v10, v8
	v_and_b32_e32 v9, 0xffff0000, v54
	v_and_b32_e32 v8, 0xffff0000, v52
	;; [unrolled: 1-line block ×4, first 2 shown]
	v_pk_add_f32 v[28:29], v[32:33], v[28:29]
	v_pk_add_f32 v[8:9], v[26:27], v[8:9]
	v_add_f32_e32 v25, v28, v29
	v_add_f32_e32 v8, v25, v8
	;; [unrolled: 1-line block ×3, first 2 shown]
	v_and_b32_e32 v27, 0xffff0000, v30
	v_and_b32_e32 v26, 0xffff0000, v7
	;; [unrolled: 1-line block ×4, first 2 shown]
	v_add_f32_e32 v11, v11, v8
	v_and_b32_e32 v9, 0xffff0000, v6
	v_and_b32_e32 v8, 0xffff0000, v31
	;; [unrolled: 1-line block ×4, first 2 shown]
	v_pk_add_f32 v[2:3], v[2:3], v[26:27]
	v_pk_add_f32 v[4:5], v[4:5], v[8:9]
	v_add_f32_e32 v2, v2, v3
	v_add_f32_e32 v2, v2, v4
	;; [unrolled: 1-line block ×4, first 2 shown]
.LBB129_47:                             ;   in Loop: Header=BB129_48 Depth=1
	s_or_b64 exec, exec, s[8:9]
	v_add_u32_e32 v1, 2, v1
	v_cmp_le_i32_e32 vcc, s16, v1
	v_lshl_add_u64 v[16:17], v[16:17], 0, 8
	v_add_u32_e32 v18, 32, v18
	s_or_b64 s[6:7], vcc, s[6:7]
	v_add_u32_e32 v24, 0x80, v24
	s_andn2_b64 exec, exec, s[6:7]
	s_cbranch_execz .LBB129_183
.LBB129_48:                             ; =>This Inner Loop Header: Depth=1
	v_mul_hi_u32 v2, v18, s40
	v_mul_lo_u32 v3, v2, s21
	v_sub_u32_e32 v3, v18, v3
	v_add_u32_e32 v4, 1, v2
	v_cmp_le_u32_e32 vcc, s21, v3
	s_nop 1
	v_cndmask_b32_e32 v2, v2, v4, vcc
	v_subrev_u32_e32 v4, s21, v3
	v_cndmask_b32_e32 v3, v3, v4, vcc
	v_add_u32_e32 v4, 1, v2
	v_cmp_le_u32_e32 vcc, s21, v3
	s_nop 1
	v_cndmask_b32_e32 v2, v2, v4, vcc
	v_xor_b32_e32 v2, s19, v2
	v_subrev_u32_e32 v2, s19, v2
	v_add_u32_e32 v3, s41, v2
	v_sub_u32_e32 v5, 0, v3
	v_ashrrev_i32_e32 v4, 31, v3
	v_max_i32_e32 v3, v3, v5
	v_mul_hi_u32 v5, v3, v23
	v_mul_lo_u32 v5, v5, s14
	v_sub_u32_e32 v3, v3, v5
	v_subrev_u32_e32 v5, s14, v3
	v_cmp_le_u32_e32 vcc, s14, v3
	v_cmp_lt_i32_e64 s[0:1], s17, v2
	s_nop 0
	v_cndmask_b32_e32 v3, v3, v5, vcc
	v_subrev_u32_e32 v5, s14, v3
	v_cmp_le_u32_e32 vcc, s14, v3
	s_nop 1
	v_cndmask_b32_e32 v3, v3, v5, vcc
	v_xor_b32_e32 v3, v3, v4
	v_sub_u32_e32 v3, v3, v4
	v_cmp_eq_u32_e32 vcc, 0, v3
	s_or_b64 s[0:1], vcc, s[0:1]
	s_and_saveexec_b64 s[8:9], s[0:1]
	s_cbranch_execz .LBB129_47
; %bb.49:                               ;   in Loop: Header=BB129_48 Depth=1
	global_load_dword v30, v[16:17], off
	ds_read2_b64 v[6:9], v24 offset1:1
	ds_read2_b64 v[2:5], v24 offset0:2 offset1:3
                                        ; implicit-def: $vgpr39
	s_waitcnt lgkmcnt(1)
	v_and_b32_e32 v25, 0x7f800000, v6
	v_cmp_ne_u32_e32 vcc, s24, v25
	s_and_saveexec_b64 s[0:1], vcc
	s_xor_b64 s[0:1], exec, s[0:1]
; %bb.50:                               ;   in Loop: Header=BB129_48 Depth=1
	v_bfe_u32 v25, v6, 16, 1
	v_add3_u32 v39, v6, v25, s25
; %bb.51:                               ;   in Loop: Header=BB129_48 Depth=1
	s_andn2_saveexec_b64 s[0:1], s[0:1]
; %bb.52:                               ;   in Loop: Header=BB129_48 Depth=1
	v_or_b32_e32 v25, 0x10000, v6
	v_cmp_eq_u32_sdwa vcc, v6, v13 src0_sel:WORD_0 src1_sel:DWORD
	s_nop 1
	v_cndmask_b32_e32 v39, v25, v6, vcc
; %bb.53:                               ;   in Loop: Header=BB129_48 Depth=1
	s_or_b64 exec, exec, s[0:1]
	v_and_b32_e32 v6, 0x7f800000, v7
	v_cmp_ne_u32_e32 vcc, s24, v6
                                        ; implicit-def: $vgpr40
	s_and_saveexec_b64 s[0:1], vcc
	s_xor_b64 s[0:1], exec, s[0:1]
; %bb.54:                               ;   in Loop: Header=BB129_48 Depth=1
	v_bfe_u32 v6, v7, 16, 1
	v_add3_u32 v40, v7, v6, s25
; %bb.55:                               ;   in Loop: Header=BB129_48 Depth=1
	s_andn2_saveexec_b64 s[0:1], s[0:1]
; %bb.56:                               ;   in Loop: Header=BB129_48 Depth=1
	v_or_b32_e32 v6, 0x10000, v7
	v_cmp_eq_u32_sdwa vcc, v7, v13 src0_sel:WORD_0 src1_sel:DWORD
	s_nop 1
	v_cndmask_b32_e32 v40, v6, v7, vcc
; %bb.57:                               ;   in Loop: Header=BB129_48 Depth=1
	s_or_b64 exec, exec, s[0:1]
	v_and_b32_e32 v6, 0x7f800000, v8
	v_cmp_ne_u32_e32 vcc, s24, v6
                                        ; implicit-def: $vgpr25
	s_and_saveexec_b64 s[0:1], vcc
	s_xor_b64 s[0:1], exec, s[0:1]
; %bb.58:                               ;   in Loop: Header=BB129_48 Depth=1
	v_bfe_u32 v6, v8, 16, 1
	v_add3_u32 v25, v8, v6, s25
; %bb.59:                               ;   in Loop: Header=BB129_48 Depth=1
	s_andn2_saveexec_b64 s[0:1], s[0:1]
; %bb.60:                               ;   in Loop: Header=BB129_48 Depth=1
	v_or_b32_e32 v6, 0x10000, v8
	v_cmp_eq_u32_sdwa vcc, v8, v13 src0_sel:WORD_0 src1_sel:DWORD
	s_nop 1
	v_cndmask_b32_e32 v25, v6, v8, vcc
; %bb.61:                               ;   in Loop: Header=BB129_48 Depth=1
	s_or_b64 exec, exec, s[0:1]
	v_and_b32_e32 v6, 0x7f800000, v9
	v_cmp_ne_u32_e32 vcc, s24, v6
                                        ; implicit-def: $vgpr26
	s_and_saveexec_b64 s[0:1], vcc
	s_xor_b64 s[0:1], exec, s[0:1]
; %bb.62:                               ;   in Loop: Header=BB129_48 Depth=1
	v_bfe_u32 v6, v9, 16, 1
	v_add3_u32 v26, v9, v6, s25
                                        ; implicit-def: $vgpr6_vgpr7_vgpr8_vgpr9
; %bb.63:                               ;   in Loop: Header=BB129_48 Depth=1
	s_andn2_saveexec_b64 s[0:1], s[0:1]
; %bb.64:                               ;   in Loop: Header=BB129_48 Depth=1
	v_or_b32_e32 v6, 0x10000, v9
	v_cmp_eq_u32_sdwa vcc, v9, v13 src0_sel:WORD_0 src1_sel:DWORD
	s_nop 1
	v_cndmask_b32_e32 v26, v6, v9, vcc
; %bb.65:                               ;   in Loop: Header=BB129_48 Depth=1
	s_or_b64 exec, exec, s[0:1]
	s_waitcnt lgkmcnt(0)
	v_and_b32_e32 v6, 0x7f800000, v2
	v_cmp_ne_u32_e32 vcc, s24, v6
                                        ; implicit-def: $vgpr27
	s_and_saveexec_b64 s[0:1], vcc
	s_xor_b64 s[0:1], exec, s[0:1]
; %bb.66:                               ;   in Loop: Header=BB129_48 Depth=1
	v_bfe_u32 v6, v2, 16, 1
	v_add3_u32 v27, v2, v6, s25
; %bb.67:                               ;   in Loop: Header=BB129_48 Depth=1
	s_andn2_saveexec_b64 s[0:1], s[0:1]
; %bb.68:                               ;   in Loop: Header=BB129_48 Depth=1
	v_or_b32_e32 v6, 0x10000, v2
	v_cmp_eq_u32_sdwa vcc, v2, v13 src0_sel:WORD_0 src1_sel:DWORD
	s_nop 1
	v_cndmask_b32_e32 v27, v6, v2, vcc
; %bb.69:                               ;   in Loop: Header=BB129_48 Depth=1
	s_or_b64 exec, exec, s[0:1]
	v_and_b32_e32 v2, 0x7f800000, v3
	v_cmp_ne_u32_e32 vcc, s24, v2
                                        ; implicit-def: $vgpr28
	s_and_saveexec_b64 s[0:1], vcc
	s_xor_b64 s[0:1], exec, s[0:1]
; %bb.70:                               ;   in Loop: Header=BB129_48 Depth=1
	v_bfe_u32 v2, v3, 16, 1
	v_add3_u32 v28, v3, v2, s25
; %bb.71:                               ;   in Loop: Header=BB129_48 Depth=1
	s_andn2_saveexec_b64 s[0:1], s[0:1]
; %bb.72:                               ;   in Loop: Header=BB129_48 Depth=1
	v_or_b32_e32 v2, 0x10000, v3
	v_cmp_eq_u32_sdwa vcc, v3, v13 src0_sel:WORD_0 src1_sel:DWORD
	s_nop 1
	v_cndmask_b32_e32 v28, v2, v3, vcc
; %bb.73:                               ;   in Loop: Header=BB129_48 Depth=1
	s_or_b64 exec, exec, s[0:1]
	v_and_b32_e32 v2, 0x7f800000, v4
	v_cmp_ne_u32_e32 vcc, s24, v2
                                        ; implicit-def: $vgpr29
	s_and_saveexec_b64 s[0:1], vcc
	s_xor_b64 s[0:1], exec, s[0:1]
; %bb.74:                               ;   in Loop: Header=BB129_48 Depth=1
	v_bfe_u32 v2, v4, 16, 1
	v_add3_u32 v29, v4, v2, s25
; %bb.75:                               ;   in Loop: Header=BB129_48 Depth=1
	s_andn2_saveexec_b64 s[0:1], s[0:1]
; %bb.76:                               ;   in Loop: Header=BB129_48 Depth=1
	v_or_b32_e32 v2, 0x10000, v4
	v_cmp_eq_u32_sdwa vcc, v4, v13 src0_sel:WORD_0 src1_sel:DWORD
	s_nop 1
	v_cndmask_b32_e32 v29, v2, v4, vcc
; %bb.77:                               ;   in Loop: Header=BB129_48 Depth=1
	s_or_b64 exec, exec, s[0:1]
	v_and_b32_e32 v2, 0x7f800000, v5
	v_cmp_ne_u32_e32 vcc, s24, v2
                                        ; implicit-def: $vgpr38
	s_and_saveexec_b64 s[0:1], vcc
	s_xor_b64 s[0:1], exec, s[0:1]
; %bb.78:                               ;   in Loop: Header=BB129_48 Depth=1
	v_bfe_u32 v2, v5, 16, 1
	v_add3_u32 v38, v5, v2, s25
                                        ; implicit-def: $vgpr2_vgpr3_vgpr4_vgpr5
; %bb.79:                               ;   in Loop: Header=BB129_48 Depth=1
	s_andn2_saveexec_b64 s[0:1], s[0:1]
; %bb.80:                               ;   in Loop: Header=BB129_48 Depth=1
	v_or_b32_e32 v2, 0x10000, v5
	v_cmp_eq_u32_sdwa vcc, v5, v13 src0_sel:WORD_0 src1_sel:DWORD
	s_nop 1
	v_cndmask_b32_e32 v38, v2, v5, vcc
; %bb.81:                               ;   in Loop: Header=BB129_48 Depth=1
	s_or_b64 exec, exec, s[0:1]
	s_waitcnt vmcnt(0)
	v_mad_i64_i32 v[2:3], s[0:1], v30, s15, 0
	v_lshl_add_u64 v[6:7], v[2:3], 1, v[14:15]
	global_load_dwordx4 v[2:5], v[6:7], off
	v_add_u32_e32 v30, v22, v18
	v_cmp_eq_u32_e32 vcc, s18, v1
	v_add_u32_e32 v37, 1, v30
	v_add_u32_e32 v36, 2, v30
	;; [unrolled: 1-line block ×7, first 2 shown]
	s_waitcnt vmcnt(0)
	v_lshrrev_b32_e32 v9, 16, v2
	v_lshrrev_b32_e32 v43, 16, v3
	;; [unrolled: 1-line block ×4, first 2 shown]
	s_and_saveexec_b64 s[12:13], vcc
	s_cbranch_execz .LBB129_83
; %bb.82:                               ;   in Loop: Header=BB129_48 Depth=1
	v_cmp_gt_i32_e64 s[0:1], s33, v30
	s_nop 1
	v_cndmask_b32_e64 v2, 0, v2, s[0:1]
	v_cmp_gt_i32_e64 s[0:1], s33, v37
	s_nop 1
	v_cndmask_b32_e64 v9, 0, v9, s[0:1]
	;; [unrolled: 3-line block ×8, first 2 shown]
.LBB129_83:                             ;   in Loop: Header=BB129_48 Depth=1
	s_or_b64 exec, exec, s[12:13]
	v_and_b32_e32 v39, 0xffff0000, v39
	v_lshlrev_b32_e32 v2, 16, v2
	v_mul_f32_e32 v2, v39, v2
	v_and_b32_e32 v8, 0x7f800000, v2
	v_cmp_ne_u32_e64 s[0:1], s24, v8
                                        ; implicit-def: $vgpr8
	s_and_saveexec_b64 s[12:13], s[0:1]
	s_xor_b64 s[0:1], exec, s[12:13]
; %bb.84:                               ;   in Loop: Header=BB129_48 Depth=1
	v_bfe_u32 v8, v2, 16, 1
	v_add3_u32 v8, v2, v8, s25
                                        ; implicit-def: $vgpr2
; %bb.85:                               ;   in Loop: Header=BB129_48 Depth=1
	s_andn2_saveexec_b64 s[12:13], s[0:1]
; %bb.86:                               ;   in Loop: Header=BB129_48 Depth=1
	v_or_b32_e32 v8, 0x10000, v2
	v_cmp_eq_u32_sdwa s[0:1], v2, v13 src0_sel:WORD_0 src1_sel:DWORD
	s_nop 1
	v_cndmask_b32_e64 v8, v8, v2, s[0:1]
; %bb.87:                               ;   in Loop: Header=BB129_48 Depth=1
	s_or_b64 exec, exec, s[12:13]
	v_and_b32_e32 v40, 0xffff0000, v40
	v_lshlrev_b32_e32 v2, 16, v9
	v_mul_f32_e32 v2, v40, v2
	v_and_b32_e32 v9, 0x7f800000, v2
	v_cmp_ne_u32_e64 s[0:1], s24, v9
                                        ; implicit-def: $vgpr9
	s_and_saveexec_b64 s[12:13], s[0:1]
	s_xor_b64 s[0:1], exec, s[12:13]
; %bb.88:                               ;   in Loop: Header=BB129_48 Depth=1
	v_bfe_u32 v9, v2, 16, 1
	v_add3_u32 v9, v2, v9, s25
                                        ; implicit-def: $vgpr2
; %bb.89:                               ;   in Loop: Header=BB129_48 Depth=1
	s_andn2_saveexec_b64 s[12:13], s[0:1]
; %bb.90:                               ;   in Loop: Header=BB129_48 Depth=1
	v_or_b32_e32 v9, 0x10000, v2
	v_cmp_eq_u32_sdwa s[0:1], v2, v13 src0_sel:WORD_0 src1_sel:DWORD
	s_nop 1
	v_cndmask_b32_e64 v9, v9, v2, s[0:1]
; %bb.91:                               ;   in Loop: Header=BB129_48 Depth=1
	s_or_b64 exec, exec, s[12:13]
	v_and_b32_e32 v41, 0xffff0000, v25
	v_lshlrev_b32_e32 v2, 16, v3
	v_mul_f32_e32 v2, v41, v2
	v_and_b32_e32 v3, 0x7f800000, v2
	v_cmp_ne_u32_e64 s[0:1], s24, v3
                                        ; implicit-def: $vgpr25
	s_and_saveexec_b64 s[12:13], s[0:1]
	s_xor_b64 s[0:1], exec, s[12:13]
; %bb.92:                               ;   in Loop: Header=BB129_48 Depth=1
	v_bfe_u32 v3, v2, 16, 1
	v_add3_u32 v25, v2, v3, s25
                                        ; implicit-def: $vgpr2
; %bb.93:                               ;   in Loop: Header=BB129_48 Depth=1
	s_andn2_saveexec_b64 s[12:13], s[0:1]
; %bb.94:                               ;   in Loop: Header=BB129_48 Depth=1
	v_or_b32_e32 v3, 0x10000, v2
	v_cmp_eq_u32_sdwa s[0:1], v2, v13 src0_sel:WORD_0 src1_sel:DWORD
	s_nop 1
	v_cndmask_b32_e64 v25, v3, v2, s[0:1]
; %bb.95:                               ;   in Loop: Header=BB129_48 Depth=1
	s_or_b64 exec, exec, s[12:13]
	v_and_b32_e32 v42, 0xffff0000, v26
	v_lshlrev_b32_e32 v2, 16, v43
	v_mul_f32_e32 v2, v42, v2
	v_and_b32_e32 v3, 0x7f800000, v2
	v_cmp_ne_u32_e64 s[0:1], s24, v3
                                        ; implicit-def: $vgpr26
	s_and_saveexec_b64 s[12:13], s[0:1]
	s_xor_b64 s[0:1], exec, s[12:13]
; %bb.96:                               ;   in Loop: Header=BB129_48 Depth=1
	v_bfe_u32 v3, v2, 16, 1
	v_add3_u32 v26, v2, v3, s25
                                        ; implicit-def: $vgpr2
; %bb.97:                               ;   in Loop: Header=BB129_48 Depth=1
	s_andn2_saveexec_b64 s[12:13], s[0:1]
; %bb.98:                               ;   in Loop: Header=BB129_48 Depth=1
	v_or_b32_e32 v3, 0x10000, v2
	v_cmp_eq_u32_sdwa s[0:1], v2, v13 src0_sel:WORD_0 src1_sel:DWORD
	s_nop 1
	v_cndmask_b32_e64 v26, v3, v2, s[0:1]
; %bb.99:                               ;   in Loop: Header=BB129_48 Depth=1
	s_or_b64 exec, exec, s[12:13]
	v_and_b32_e32 v43, 0xffff0000, v27
	v_lshlrev_b32_e32 v2, 16, v4
	v_mul_f32_e32 v2, v43, v2
	v_and_b32_e32 v3, 0x7f800000, v2
	v_cmp_ne_u32_e64 s[0:1], s24, v3
                                        ; implicit-def: $vgpr27
	s_and_saveexec_b64 s[12:13], s[0:1]
	s_xor_b64 s[0:1], exec, s[12:13]
; %bb.100:                              ;   in Loop: Header=BB129_48 Depth=1
	v_bfe_u32 v3, v2, 16, 1
	v_add3_u32 v27, v2, v3, s25
                                        ; implicit-def: $vgpr2
; %bb.101:                              ;   in Loop: Header=BB129_48 Depth=1
	s_andn2_saveexec_b64 s[12:13], s[0:1]
; %bb.102:                              ;   in Loop: Header=BB129_48 Depth=1
	v_or_b32_e32 v3, 0x10000, v2
	v_cmp_eq_u32_sdwa s[0:1], v2, v13 src0_sel:WORD_0 src1_sel:DWORD
	s_nop 1
	v_cndmask_b32_e64 v27, v3, v2, s[0:1]
; %bb.103:                              ;   in Loop: Header=BB129_48 Depth=1
	s_or_b64 exec, exec, s[12:13]
	v_and_b32_e32 v44, 0xffff0000, v28
	v_lshlrev_b32_e32 v2, 16, v45
	v_mul_f32_e32 v2, v44, v2
	v_and_b32_e32 v3, 0x7f800000, v2
	v_cmp_ne_u32_e64 s[0:1], s24, v3
                                        ; implicit-def: $vgpr28
	s_and_saveexec_b64 s[12:13], s[0:1]
	s_xor_b64 s[0:1], exec, s[12:13]
; %bb.104:                              ;   in Loop: Header=BB129_48 Depth=1
	v_bfe_u32 v3, v2, 16, 1
	v_add3_u32 v28, v2, v3, s25
                                        ; implicit-def: $vgpr2
; %bb.105:                              ;   in Loop: Header=BB129_48 Depth=1
	s_andn2_saveexec_b64 s[12:13], s[0:1]
; %bb.106:                              ;   in Loop: Header=BB129_48 Depth=1
	v_or_b32_e32 v3, 0x10000, v2
	v_cmp_eq_u32_sdwa s[0:1], v2, v13 src0_sel:WORD_0 src1_sel:DWORD
	s_nop 1
	v_cndmask_b32_e64 v28, v3, v2, s[0:1]
; %bb.107:                              ;   in Loop: Header=BB129_48 Depth=1
	s_or_b64 exec, exec, s[12:13]
	v_and_b32_e32 v45, 0xffff0000, v29
	v_lshlrev_b32_e32 v2, 16, v5
	v_mul_f32_e32 v2, v45, v2
	v_and_b32_e32 v3, 0x7f800000, v2
	v_cmp_ne_u32_e64 s[0:1], s24, v3
                                        ; implicit-def: $vgpr29
	s_and_saveexec_b64 s[12:13], s[0:1]
	s_xor_b64 s[0:1], exec, s[12:13]
; %bb.108:                              ;   in Loop: Header=BB129_48 Depth=1
	v_bfe_u32 v3, v2, 16, 1
	v_add3_u32 v29, v2, v3, s25
                                        ; implicit-def: $vgpr2
; %bb.109:                              ;   in Loop: Header=BB129_48 Depth=1
	s_andn2_saveexec_b64 s[12:13], s[0:1]
; %bb.110:                              ;   in Loop: Header=BB129_48 Depth=1
	v_or_b32_e32 v3, 0x10000, v2
	v_cmp_eq_u32_sdwa s[0:1], v2, v13 src0_sel:WORD_0 src1_sel:DWORD
	s_nop 1
	v_cndmask_b32_e64 v29, v3, v2, s[0:1]
; %bb.111:                              ;   in Loop: Header=BB129_48 Depth=1
	s_or_b64 exec, exec, s[12:13]
	v_and_b32_e32 v46, 0xffff0000, v38
	v_lshlrev_b32_e32 v2, 16, v47
	v_mul_f32_e32 v2, v46, v2
	v_and_b32_e32 v3, 0x7f800000, v2
	v_cmp_ne_u32_e64 s[0:1], s24, v3
                                        ; implicit-def: $vgpr38
	s_and_saveexec_b64 s[12:13], s[0:1]
	s_xor_b64 s[0:1], exec, s[12:13]
; %bb.112:                              ;   in Loop: Header=BB129_48 Depth=1
	v_bfe_u32 v3, v2, 16, 1
	v_add3_u32 v38, v2, v3, s25
                                        ; implicit-def: $vgpr2
; %bb.113:                              ;   in Loop: Header=BB129_48 Depth=1
	s_andn2_saveexec_b64 s[12:13], s[0:1]
; %bb.114:                              ;   in Loop: Header=BB129_48 Depth=1
	v_or_b32_e32 v3, 0x10000, v2
	v_cmp_eq_u32_sdwa s[0:1], v2, v13 src0_sel:WORD_0 src1_sel:DWORD
	s_nop 1
	v_cndmask_b32_e64 v38, v3, v2, s[0:1]
; %bb.115:                              ;   in Loop: Header=BB129_48 Depth=1
	s_or_b64 exec, exec, s[12:13]
	global_load_dwordx4 v[2:5], v[6:7], off offset:1024
	s_waitcnt vmcnt(0)
	v_lshrrev_b32_e32 v48, 16, v2
	v_lshrrev_b32_e32 v50, 16, v3
	;; [unrolled: 1-line block ×4, first 2 shown]
	s_and_saveexec_b64 s[12:13], vcc
	s_cbranch_execz .LBB129_117
; %bb.116:                              ;   in Loop: Header=BB129_48 Depth=1
	v_cmp_gt_i32_e64 s[0:1], s33, v30
	s_nop 1
	v_cndmask_b32_e64 v2, 0, v2, s[0:1]
	v_cmp_gt_i32_e64 s[0:1], s33, v37
	s_nop 1
	v_cndmask_b32_e64 v48, 0, v48, s[0:1]
	;; [unrolled: 3-line block ×8, first 2 shown]
.LBB129_117:                            ;   in Loop: Header=BB129_48 Depth=1
	s_or_b64 exec, exec, s[12:13]
	v_lshlrev_b32_e32 v2, 16, v2
	v_mul_f32_e32 v2, v39, v2
	v_and_b32_e32 v47, 0x7f800000, v2
	v_cmp_ne_u32_e64 s[0:1], s24, v47
                                        ; implicit-def: $vgpr47
	s_and_saveexec_b64 s[12:13], s[0:1]
	s_xor_b64 s[0:1], exec, s[12:13]
; %bb.118:                              ;   in Loop: Header=BB129_48 Depth=1
	v_bfe_u32 v47, v2, 16, 1
	v_add3_u32 v47, v2, v47, s25
                                        ; implicit-def: $vgpr2
; %bb.119:                              ;   in Loop: Header=BB129_48 Depth=1
	s_andn2_saveexec_b64 s[12:13], s[0:1]
; %bb.120:                              ;   in Loop: Header=BB129_48 Depth=1
	v_or_b32_e32 v47, 0x10000, v2
	v_cmp_eq_u32_sdwa s[0:1], v2, v13 src0_sel:WORD_0 src1_sel:DWORD
	s_nop 1
	v_cndmask_b32_e64 v47, v47, v2, s[0:1]
; %bb.121:                              ;   in Loop: Header=BB129_48 Depth=1
	s_or_b64 exec, exec, s[12:13]
	v_lshlrev_b32_e32 v2, 16, v48
	v_mul_f32_e32 v2, v40, v2
	v_and_b32_e32 v48, 0x7f800000, v2
	v_cmp_ne_u32_e64 s[0:1], s24, v48
                                        ; implicit-def: $vgpr48
	s_and_saveexec_b64 s[12:13], s[0:1]
	s_xor_b64 s[0:1], exec, s[12:13]
; %bb.122:                              ;   in Loop: Header=BB129_48 Depth=1
	v_bfe_u32 v48, v2, 16, 1
	v_add3_u32 v48, v2, v48, s25
                                        ; implicit-def: $vgpr2
; %bb.123:                              ;   in Loop: Header=BB129_48 Depth=1
	s_andn2_saveexec_b64 s[12:13], s[0:1]
; %bb.124:                              ;   in Loop: Header=BB129_48 Depth=1
	v_or_b32_e32 v48, 0x10000, v2
	v_cmp_eq_u32_sdwa s[0:1], v2, v13 src0_sel:WORD_0 src1_sel:DWORD
	s_nop 1
	v_cndmask_b32_e64 v48, v48, v2, s[0:1]
; %bb.125:                              ;   in Loop: Header=BB129_48 Depth=1
	s_or_b64 exec, exec, s[12:13]
	v_lshlrev_b32_e32 v2, 16, v3
	v_mul_f32_e32 v2, v41, v2
	v_and_b32_e32 v3, 0x7f800000, v2
	v_cmp_ne_u32_e64 s[0:1], s24, v3
                                        ; implicit-def: $vgpr49
	s_and_saveexec_b64 s[12:13], s[0:1]
	s_xor_b64 s[0:1], exec, s[12:13]
; %bb.126:                              ;   in Loop: Header=BB129_48 Depth=1
	v_bfe_u32 v3, v2, 16, 1
	v_add3_u32 v49, v2, v3, s25
                                        ; implicit-def: $vgpr2
; %bb.127:                              ;   in Loop: Header=BB129_48 Depth=1
	s_andn2_saveexec_b64 s[12:13], s[0:1]
; %bb.128:                              ;   in Loop: Header=BB129_48 Depth=1
	v_or_b32_e32 v3, 0x10000, v2
	v_cmp_eq_u32_sdwa s[0:1], v2, v13 src0_sel:WORD_0 src1_sel:DWORD
	s_nop 1
	v_cndmask_b32_e64 v49, v3, v2, s[0:1]
; %bb.129:                              ;   in Loop: Header=BB129_48 Depth=1
	s_or_b64 exec, exec, s[12:13]
	v_lshlrev_b32_e32 v2, 16, v50
	v_mul_f32_e32 v2, v42, v2
	v_and_b32_e32 v3, 0x7f800000, v2
	v_cmp_ne_u32_e64 s[0:1], s24, v3
                                        ; implicit-def: $vgpr50
	s_and_saveexec_b64 s[12:13], s[0:1]
	s_xor_b64 s[0:1], exec, s[12:13]
; %bb.130:                              ;   in Loop: Header=BB129_48 Depth=1
	v_bfe_u32 v3, v2, 16, 1
	v_add3_u32 v50, v2, v3, s25
                                        ; implicit-def: $vgpr2
; %bb.131:                              ;   in Loop: Header=BB129_48 Depth=1
	s_andn2_saveexec_b64 s[12:13], s[0:1]
; %bb.132:                              ;   in Loop: Header=BB129_48 Depth=1
	v_or_b32_e32 v3, 0x10000, v2
	v_cmp_eq_u32_sdwa s[0:1], v2, v13 src0_sel:WORD_0 src1_sel:DWORD
	s_nop 1
	v_cndmask_b32_e64 v50, v3, v2, s[0:1]
; %bb.133:                              ;   in Loop: Header=BB129_48 Depth=1
	s_or_b64 exec, exec, s[12:13]
	v_lshlrev_b32_e32 v2, 16, v4
	v_mul_f32_e32 v2, v43, v2
	v_and_b32_e32 v3, 0x7f800000, v2
	v_cmp_ne_u32_e64 s[0:1], s24, v3
                                        ; implicit-def: $vgpr51
	s_and_saveexec_b64 s[12:13], s[0:1]
	s_xor_b64 s[0:1], exec, s[12:13]
; %bb.134:                              ;   in Loop: Header=BB129_48 Depth=1
	v_bfe_u32 v3, v2, 16, 1
	v_add3_u32 v51, v2, v3, s25
                                        ; implicit-def: $vgpr2
; %bb.135:                              ;   in Loop: Header=BB129_48 Depth=1
	s_andn2_saveexec_b64 s[12:13], s[0:1]
; %bb.136:                              ;   in Loop: Header=BB129_48 Depth=1
	v_or_b32_e32 v3, 0x10000, v2
	v_cmp_eq_u32_sdwa s[0:1], v2, v13 src0_sel:WORD_0 src1_sel:DWORD
	s_nop 1
	v_cndmask_b32_e64 v51, v3, v2, s[0:1]
; %bb.137:                              ;   in Loop: Header=BB129_48 Depth=1
	s_or_b64 exec, exec, s[12:13]
	v_lshlrev_b32_e32 v2, 16, v52
	v_mul_f32_e32 v2, v44, v2
	v_and_b32_e32 v3, 0x7f800000, v2
	v_cmp_ne_u32_e64 s[0:1], s24, v3
                                        ; implicit-def: $vgpr52
	s_and_saveexec_b64 s[12:13], s[0:1]
	s_xor_b64 s[0:1], exec, s[12:13]
; %bb.138:                              ;   in Loop: Header=BB129_48 Depth=1
	v_bfe_u32 v3, v2, 16, 1
	v_add3_u32 v52, v2, v3, s25
                                        ; implicit-def: $vgpr2
; %bb.139:                              ;   in Loop: Header=BB129_48 Depth=1
	s_andn2_saveexec_b64 s[12:13], s[0:1]
; %bb.140:                              ;   in Loop: Header=BB129_48 Depth=1
	v_or_b32_e32 v3, 0x10000, v2
	v_cmp_eq_u32_sdwa s[0:1], v2, v13 src0_sel:WORD_0 src1_sel:DWORD
	s_nop 1
	v_cndmask_b32_e64 v52, v3, v2, s[0:1]
; %bb.141:                              ;   in Loop: Header=BB129_48 Depth=1
	s_or_b64 exec, exec, s[12:13]
	v_lshlrev_b32_e32 v2, 16, v5
	v_mul_f32_e32 v2, v45, v2
	v_and_b32_e32 v3, 0x7f800000, v2
	v_cmp_ne_u32_e64 s[0:1], s24, v3
                                        ; implicit-def: $vgpr53
	s_and_saveexec_b64 s[12:13], s[0:1]
	s_xor_b64 s[0:1], exec, s[12:13]
; %bb.142:                              ;   in Loop: Header=BB129_48 Depth=1
	v_bfe_u32 v3, v2, 16, 1
	v_add3_u32 v53, v2, v3, s25
                                        ; implicit-def: $vgpr2
; %bb.143:                              ;   in Loop: Header=BB129_48 Depth=1
	s_andn2_saveexec_b64 s[12:13], s[0:1]
; %bb.144:                              ;   in Loop: Header=BB129_48 Depth=1
	v_or_b32_e32 v3, 0x10000, v2
	v_cmp_eq_u32_sdwa s[0:1], v2, v13 src0_sel:WORD_0 src1_sel:DWORD
	s_nop 1
	v_cndmask_b32_e64 v53, v3, v2, s[0:1]
; %bb.145:                              ;   in Loop: Header=BB129_48 Depth=1
	s_or_b64 exec, exec, s[12:13]
	v_lshlrev_b32_e32 v2, 16, v54
	v_mul_f32_e32 v2, v46, v2
	v_and_b32_e32 v3, 0x7f800000, v2
	v_cmp_ne_u32_e64 s[0:1], s24, v3
                                        ; implicit-def: $vgpr54
	s_and_saveexec_b64 s[12:13], s[0:1]
	s_xor_b64 s[0:1], exec, s[12:13]
; %bb.146:                              ;   in Loop: Header=BB129_48 Depth=1
	v_bfe_u32 v3, v2, 16, 1
	v_add3_u32 v54, v2, v3, s25
                                        ; implicit-def: $vgpr2
; %bb.147:                              ;   in Loop: Header=BB129_48 Depth=1
	s_andn2_saveexec_b64 s[12:13], s[0:1]
; %bb.148:                              ;   in Loop: Header=BB129_48 Depth=1
	v_or_b32_e32 v3, 0x10000, v2
	v_cmp_eq_u32_sdwa s[0:1], v2, v13 src0_sel:WORD_0 src1_sel:DWORD
	s_nop 1
	v_cndmask_b32_e64 v54, v3, v2, s[0:1]
; %bb.149:                              ;   in Loop: Header=BB129_48 Depth=1
	s_or_b64 exec, exec, s[12:13]
	global_load_dwordx4 v[2:5], v[6:7], off offset:2048
	s_waitcnt vmcnt(0)
	v_lshrrev_b32_e32 v7, 16, v2
	v_lshrrev_b32_e32 v56, 16, v3
	;; [unrolled: 1-line block ×4, first 2 shown]
	s_and_saveexec_b64 s[0:1], vcc
	s_cbranch_execz .LBB129_151
; %bb.150:                              ;   in Loop: Header=BB129_48 Depth=1
	v_cmp_gt_i32_e32 vcc, s33, v30
	s_nop 1
	v_cndmask_b32_e32 v2, 0, v2, vcc
	v_cmp_gt_i32_e32 vcc, s33, v37
	s_nop 1
	v_cndmask_b32_e32 v7, 0, v7, vcc
	;; [unrolled: 3-line block ×8, first 2 shown]
.LBB129_151:                            ;   in Loop: Header=BB129_48 Depth=1
	s_or_b64 exec, exec, s[0:1]
	v_lshlrev_b32_e32 v2, 16, v2
	v_mul_f32_e32 v30, v39, v2
	v_and_b32_e32 v2, 0x7f800000, v30
	v_cmp_ne_u32_e32 vcc, s24, v2
                                        ; implicit-def: $vgpr2
	s_and_saveexec_b64 s[0:1], vcc
	s_xor_b64 s[0:1], exec, s[0:1]
; %bb.152:                              ;   in Loop: Header=BB129_48 Depth=1
	v_bfe_u32 v2, v30, 16, 1
	v_add3_u32 v2, v30, v2, s25
                                        ; implicit-def: $vgpr30
; %bb.153:                              ;   in Loop: Header=BB129_48 Depth=1
	s_andn2_saveexec_b64 s[0:1], s[0:1]
; %bb.154:                              ;   in Loop: Header=BB129_48 Depth=1
	v_or_b32_e32 v2, 0x10000, v30
	v_cmp_eq_u32_sdwa vcc, v30, v13 src0_sel:WORD_0 src1_sel:DWORD
	s_nop 1
	v_cndmask_b32_e32 v2, v2, v30, vcc
; %bb.155:                              ;   in Loop: Header=BB129_48 Depth=1
	s_or_b64 exec, exec, s[0:1]
	v_lshlrev_b32_e32 v7, 16, v7
	v_mul_f32_e32 v30, v40, v7
	v_and_b32_e32 v7, 0x7f800000, v30
	v_cmp_ne_u32_e32 vcc, s24, v7
                                        ; implicit-def: $vgpr7
	s_and_saveexec_b64 s[0:1], vcc
	s_xor_b64 s[0:1], exec, s[0:1]
; %bb.156:                              ;   in Loop: Header=BB129_48 Depth=1
	v_bfe_u32 v7, v30, 16, 1
	v_add3_u32 v7, v30, v7, s25
                                        ; implicit-def: $vgpr30
; %bb.157:                              ;   in Loop: Header=BB129_48 Depth=1
	s_andn2_saveexec_b64 s[0:1], s[0:1]
; %bb.158:                              ;   in Loop: Header=BB129_48 Depth=1
	v_or_b32_e32 v7, 0x10000, v30
	v_cmp_eq_u32_sdwa vcc, v30, v13 src0_sel:WORD_0 src1_sel:DWORD
	s_nop 1
	v_cndmask_b32_e32 v7, v7, v30, vcc
; %bb.159:                              ;   in Loop: Header=BB129_48 Depth=1
	s_or_b64 exec, exec, s[0:1]
	v_lshlrev_b32_e32 v3, 16, v3
	v_mul_f32_e32 v30, v41, v3
	v_and_b32_e32 v3, 0x7f800000, v30
	v_cmp_ne_u32_e32 vcc, s24, v3
                                        ; implicit-def: $vgpr3
	s_and_saveexec_b64 s[0:1], vcc
	s_xor_b64 s[0:1], exec, s[0:1]
; %bb.160:                              ;   in Loop: Header=BB129_48 Depth=1
	v_bfe_u32 v3, v30, 16, 1
	v_add3_u32 v3, v30, v3, s25
                                        ; implicit-def: $vgpr30
; %bb.161:                              ;   in Loop: Header=BB129_48 Depth=1
	s_andn2_saveexec_b64 s[0:1], s[0:1]
; %bb.162:                              ;   in Loop: Header=BB129_48 Depth=1
	v_or_b32_e32 v3, 0x10000, v30
	v_cmp_eq_u32_sdwa vcc, v30, v13 src0_sel:WORD_0 src1_sel:DWORD
	s_nop 1
	v_cndmask_b32_e32 v3, v3, v30, vcc
; %bb.163:                              ;   in Loop: Header=BB129_48 Depth=1
	s_or_b64 exec, exec, s[0:1]
	v_lshlrev_b32_e32 v30, 16, v56
	v_mul_f32_e32 v31, v42, v30
	v_and_b32_e32 v30, 0x7f800000, v31
	v_cmp_ne_u32_e32 vcc, s24, v30
                                        ; implicit-def: $vgpr30
	s_and_saveexec_b64 s[0:1], vcc
	s_xor_b64 s[0:1], exec, s[0:1]
; %bb.164:                              ;   in Loop: Header=BB129_48 Depth=1
	v_bfe_u32 v30, v31, 16, 1
	v_add3_u32 v30, v31, v30, s25
                                        ; implicit-def: $vgpr31
; %bb.165:                              ;   in Loop: Header=BB129_48 Depth=1
	s_andn2_saveexec_b64 s[0:1], s[0:1]
; %bb.166:                              ;   in Loop: Header=BB129_48 Depth=1
	v_or_b32_e32 v30, 0x10000, v31
	v_cmp_eq_u32_sdwa vcc, v31, v13 src0_sel:WORD_0 src1_sel:DWORD
	s_nop 1
	v_cndmask_b32_e32 v30, v30, v31, vcc
; %bb.167:                              ;   in Loop: Header=BB129_48 Depth=1
	s_or_b64 exec, exec, s[0:1]
	v_lshlrev_b32_e32 v4, 16, v4
	v_mul_f32_e32 v31, v43, v4
	v_and_b32_e32 v4, 0x7f800000, v31
	v_cmp_ne_u32_e32 vcc, s24, v4
                                        ; implicit-def: $vgpr4
	s_and_saveexec_b64 s[0:1], vcc
	s_xor_b64 s[0:1], exec, s[0:1]
; %bb.168:                              ;   in Loop: Header=BB129_48 Depth=1
	v_bfe_u32 v4, v31, 16, 1
	v_add3_u32 v4, v31, v4, s25
                                        ; implicit-def: $vgpr31
; %bb.169:                              ;   in Loop: Header=BB129_48 Depth=1
	s_andn2_saveexec_b64 s[0:1], s[0:1]
; %bb.170:                              ;   in Loop: Header=BB129_48 Depth=1
	v_or_b32_e32 v4, 0x10000, v31
	v_cmp_eq_u32_sdwa vcc, v31, v13 src0_sel:WORD_0 src1_sel:DWORD
	s_nop 1
	v_cndmask_b32_e32 v4, v4, v31, vcc
; %bb.171:                              ;   in Loop: Header=BB129_48 Depth=1
	s_or_b64 exec, exec, s[0:1]
	v_lshlrev_b32_e32 v31, 16, v55
	v_mul_f32_e32 v32, v44, v31
	v_and_b32_e32 v31, 0x7f800000, v32
	v_cmp_ne_u32_e32 vcc, s24, v31
                                        ; implicit-def: $vgpr31
	s_and_saveexec_b64 s[0:1], vcc
	s_xor_b64 s[0:1], exec, s[0:1]
; %bb.172:                              ;   in Loop: Header=BB129_48 Depth=1
	v_bfe_u32 v31, v32, 16, 1
	v_add3_u32 v31, v32, v31, s25
                                        ; implicit-def: $vgpr32
; %bb.173:                              ;   in Loop: Header=BB129_48 Depth=1
	s_andn2_saveexec_b64 s[0:1], s[0:1]
; %bb.174:                              ;   in Loop: Header=BB129_48 Depth=1
	v_or_b32_e32 v31, 0x10000, v32
	v_cmp_eq_u32_sdwa vcc, v32, v13 src0_sel:WORD_0 src1_sel:DWORD
	s_nop 1
	v_cndmask_b32_e32 v31, v31, v32, vcc
; %bb.175:                              ;   in Loop: Header=BB129_48 Depth=1
	s_or_b64 exec, exec, s[0:1]
	v_lshlrev_b32_e32 v5, 16, v5
	v_mul_f32_e32 v32, v45, v5
	v_and_b32_e32 v5, 0x7f800000, v32
	v_cmp_ne_u32_e32 vcc, s24, v5
                                        ; implicit-def: $vgpr5
	s_and_saveexec_b64 s[0:1], vcc
	s_xor_b64 s[0:1], exec, s[0:1]
; %bb.176:                              ;   in Loop: Header=BB129_48 Depth=1
	v_bfe_u32 v5, v32, 16, 1
	v_add3_u32 v5, v32, v5, s25
                                        ; implicit-def: $vgpr32
; %bb.177:                              ;   in Loop: Header=BB129_48 Depth=1
	s_andn2_saveexec_b64 s[0:1], s[0:1]
; %bb.178:                              ;   in Loop: Header=BB129_48 Depth=1
	v_or_b32_e32 v5, 0x10000, v32
	v_cmp_eq_u32_sdwa vcc, v32, v13 src0_sel:WORD_0 src1_sel:DWORD
	s_nop 1
	v_cndmask_b32_e32 v5, v5, v32, vcc
; %bb.179:                              ;   in Loop: Header=BB129_48 Depth=1
	s_or_b64 exec, exec, s[0:1]
	v_lshlrev_b32_e32 v6, 16, v6
	v_mul_f32_e32 v32, v46, v6
	v_and_b32_e32 v6, 0x7f800000, v32
	v_cmp_ne_u32_e32 vcc, s24, v6
                                        ; implicit-def: $vgpr6
	s_and_saveexec_b64 s[0:1], vcc
	s_xor_b64 s[0:1], exec, s[0:1]
; %bb.180:                              ;   in Loop: Header=BB129_48 Depth=1
	v_bfe_u32 v6, v32, 16, 1
	v_add3_u32 v6, v32, v6, s25
                                        ; implicit-def: $vgpr32
; %bb.181:                              ;   in Loop: Header=BB129_48 Depth=1
	s_andn2_saveexec_b64 s[0:1], s[0:1]
	s_cbranch_execz .LBB129_46
; %bb.182:                              ;   in Loop: Header=BB129_48 Depth=1
	v_or_b32_e32 v6, 0x10000, v32
	v_cmp_eq_u32_sdwa vcc, v32, v13 src0_sel:WORD_0 src1_sel:DWORD
	s_nop 1
	v_cndmask_b32_e32 v6, v6, v32, vcc
	s_branch .LBB129_46
.LBB129_183:
	s_or_b64 exec, exec, s[6:7]
.LBB129_184:
	s_or_b64 exec, exec, s[2:3]
	ds_bpermute_b32 v2, v20, v10
	ds_bpermute_b32 v3, v20, v11
	;; [unrolled: 1-line block ×3, first 2 shown]
	s_waitcnt lgkmcnt(0)
	s_barrier
	v_pk_add_f32 v[4:5], v[10:11], v[2:3]
	v_add_f32_e32 v2, v12, v1
	v_and_b32_e32 v1, 0x3c1, v0
	v_cmp_eq_u32_e32 vcc, 64, v1
	s_and_saveexec_b64 s[0:1], vcc
	s_cbranch_execz .LBB129_186
; %bb.185:
	v_mov_b32_e32 v1, 0xd0
	v_lshl_add_u32 v1, v19, 1, v1
	ds_write2_b32 v1, v4, v5 offset1:32
	ds_write_b32 v1, v2 offset:256
.LBB129_186:
	s_or_b64 exec, exec, s[0:1]
	v_cmp_gt_u32_e32 vcc, 64, v0
	v_cmp_lt_u32_e64 s[0:1], 63, v0
	s_waitcnt lgkmcnt(0)
	s_barrier
	s_and_saveexec_b64 s[2:3], s[0:1]
	s_xor_b64 s[0:1], exec, s[2:3]
	s_andn2_saveexec_b64 s[2:3], s[0:1]
	s_cbranch_execz .LBB129_192
; %bb.187:
	v_cmp_eq_u32_e64 s[0:1], 0, v21
	v_lshrrev_b32_e32 v1, 1, v0
	s_and_saveexec_b64 s[6:7], s[0:1]
	s_cbranch_execnz .LBB129_208
; %bb.188:
	s_or_b64 exec, exec, s[6:7]
	s_and_saveexec_b64 s[6:7], s[0:1]
	s_cbranch_execnz .LBB129_209
.LBB129_189:
	s_or_b64 exec, exec, s[6:7]
	s_and_saveexec_b64 s[6:7], s[0:1]
	s_cbranch_execz .LBB129_191
.LBB129_190:
	v_mov_b32_e32 v3, 0xd0
	v_lshl_add_u32 v1, v1, 2, v3
	ds_read_b32 v1, v1 offset:256
	s_waitcnt lgkmcnt(0)
	v_add_f32_e32 v2, v2, v1
.LBB129_191:
	s_or_b64 exec, exec, s[6:7]
.LBB129_192:
	s_or_b64 exec, exec, s[2:3]
	s_barrier
	s_and_saveexec_b64 s[0:1], vcc
	s_cbranch_execz .LBB129_207
; %bb.193:
	v_cmp_eq_u32_e32 vcc, 0, v21
	s_and_b64 exec, exec, vcc
	s_cbranch_execz .LBB129_207
; %bb.194:
	s_mov_b32 s0, 0x7f800000
	v_and_b32_e32 v1, 0x7f800000, v4
	v_cmp_ne_u32_e32 vcc, s0, v1
                                        ; implicit-def: $vgpr3
	s_and_saveexec_b64 s[0:1], vcc
	s_xor_b64 s[0:1], exec, s[0:1]
; %bb.195:
	v_bfe_u32 v1, v4, 16, 1
	s_movk_i32 s2, 0x7fff
	v_add3_u32 v3, v4, v1, s2
; %bb.196:
	s_andn2_saveexec_b64 s[0:1], s[0:1]
; %bb.197:
	v_mov_b32_e32 v1, 0
	v_or_b32_e32 v3, 0x10000, v4
	v_cmp_eq_u32_sdwa vcc, v4, v1 src0_sel:WORD_0 src1_sel:DWORD
	s_nop 1
	v_cndmask_b32_e32 v3, v3, v4, vcc
; %bb.198:
	s_or_b64 exec, exec, s[0:1]
	s_mul_i32 s0, s10, s11
	s_mul_i32 s0, s0, s5
	s_mulk_i32 s0, 0x60
	s_ashr_i32 s1, s0, 31
	s_lshl_b64 s[0:1], s[0:1], 1
	s_add_u32 s2, s22, s0
	s_mul_i32 s0, s11, s20
	s_addc_u32 s3, s23, s1
	s_ashr_i32 s1, s0, 31
	s_lshl_b64 s[0:1], s[0:1], 1
	s_add_u32 s2, s2, s0
	s_mul_i32 s0, s4, 0x60
	s_addc_u32 s3, s3, s1
	s_ashr_i32 s1, s0, 31
	s_lshl_b64 s[0:1], s[0:1], 1
	s_add_u32 s0, s2, s0
	s_addc_u32 s1, s3, s1
	v_and_b32_e32 v0, 0x3fe, v0
	global_store_short_d16_hi v0, v3, s[0:1]
	s_mov_b32 s2, 0x7f800000
	v_and_b32_e32 v3, 0x7f800000, v5
	v_mov_b32_e32 v1, 0
	v_cmp_ne_u32_e32 vcc, s2, v3
                                        ; implicit-def: $vgpr3
	s_and_saveexec_b64 s[2:3], vcc
	s_xor_b64 s[2:3], exec, s[2:3]
; %bb.199:
	v_bfe_u32 v3, v5, 16, 1
	s_movk_i32 s4, 0x7fff
	v_add3_u32 v3, v5, v3, s4
                                        ; implicit-def: $vgpr4_vgpr5_vgpr6
; %bb.200:
	s_or_saveexec_b64 s[2:3], s[2:3]
	v_lshl_add_u64 v[0:1], s[0:1], 0, v[0:1]
	s_xor_b64 exec, exec, s[2:3]
; %bb.201:
	v_mov_b32_e32 v3, 0
	v_or_b32_e32 v4, 0x10000, v5
	v_cmp_eq_u32_sdwa vcc, v5, v3 src0_sel:WORD_0 src1_sel:DWORD
	s_nop 1
	v_cndmask_b32_e32 v3, v4, v5, vcc
; %bb.202:
	s_or_b64 exec, exec, s[2:3]
	global_store_short_d16_hi v[0:1], v3, off offset:64
	s_mov_b32 s0, 0x7f800000
	v_and_b32_e32 v3, 0x7f800000, v2
	v_cmp_ne_u32_e32 vcc, s0, v3
                                        ; implicit-def: $vgpr3
	s_and_saveexec_b64 s[0:1], vcc
	s_xor_b64 s[0:1], exec, s[0:1]
; %bb.203:
	v_bfe_u32 v3, v2, 16, 1
	s_movk_i32 s2, 0x7fff
	v_add3_u32 v3, v2, v3, s2
                                        ; implicit-def: $vgpr2
; %bb.204:
	s_andn2_saveexec_b64 s[0:1], s[0:1]
; %bb.205:
	v_mov_b32_e32 v3, 0
	v_or_b32_e32 v4, 0x10000, v2
	v_cmp_eq_u32_sdwa vcc, v2, v3 src0_sel:WORD_0 src1_sel:DWORD
	s_nop 1
	v_cndmask_b32_e32 v3, v4, v2, vcc
; %bb.206:
	s_or_b64 exec, exec, s[0:1]
	global_store_short_d16_hi v[0:1], v3, off offset:128
.LBB129_207:
	s_endpgm
.LBB129_208:
	v_mov_b32_e32 v3, 0xd0
	v_lshl_add_u32 v3, v1, 2, v3
	ds_read_b32 v3, v3
	s_waitcnt lgkmcnt(0)
	v_add_f32_e32 v4, v4, v3
	s_or_b64 exec, exec, s[6:7]
	s_and_saveexec_b64 s[6:7], s[0:1]
	s_cbranch_execz .LBB129_189
.LBB129_209:
	v_mov_b32_e32 v3, 0xd0
	v_lshl_add_u32 v3, v1, 2, v3
	ds_read_b32 v3, v3 offset:128
	s_waitcnt lgkmcnt(0)
	v_add_f32_e32 v5, v5, v3
	s_or_b64 exec, exec, s[6:7]
	s_and_saveexec_b64 s[6:7], s[0:1]
	s_cbranch_execnz .LBB129_190
	s_branch .LBB129_191
	.section	.rodata,"a",@progbits
	.p2align	6, 0x0
	.amdhsa_kernel _ZN4vllm25paged_attention_v1_kernelI14__hip_bfloat16S1_Li96ELi16ELi128ELNS_18Fp8KVCacheDataTypeE0ELb1EEEvPT_PKS3_PKT0_S9_ifPKiSB_iPKfiiiSD_SD_iiiii
		.amdhsa_group_segment_fixed_size 208
		.amdhsa_private_segment_fixed_size 0
		.amdhsa_kernarg_size 384
		.amdhsa_user_sgpr_count 2
		.amdhsa_user_sgpr_dispatch_ptr 0
		.amdhsa_user_sgpr_queue_ptr 0
		.amdhsa_user_sgpr_kernarg_segment_ptr 1
		.amdhsa_user_sgpr_dispatch_id 0
		.amdhsa_user_sgpr_kernarg_preload_length 0
		.amdhsa_user_sgpr_kernarg_preload_offset 0
		.amdhsa_user_sgpr_private_segment_size 0
		.amdhsa_uses_dynamic_stack 0
		.amdhsa_enable_private_segment 0
		.amdhsa_system_sgpr_workgroup_id_x 1
		.amdhsa_system_sgpr_workgroup_id_y 1
		.amdhsa_system_sgpr_workgroup_id_z 1
		.amdhsa_system_sgpr_workgroup_info 0
		.amdhsa_system_vgpr_workitem_id 0
		.amdhsa_next_free_vgpr 71
		.amdhsa_next_free_sgpr 44
		.amdhsa_accum_offset 72
		.amdhsa_reserve_vcc 1
		.amdhsa_float_round_mode_32 0
		.amdhsa_float_round_mode_16_64 0
		.amdhsa_float_denorm_mode_32 3
		.amdhsa_float_denorm_mode_16_64 3
		.amdhsa_dx10_clamp 1
		.amdhsa_ieee_mode 1
		.amdhsa_fp16_overflow 0
		.amdhsa_tg_split 0
		.amdhsa_exception_fp_ieee_invalid_op 0
		.amdhsa_exception_fp_denorm_src 0
		.amdhsa_exception_fp_ieee_div_zero 0
		.amdhsa_exception_fp_ieee_overflow 0
		.amdhsa_exception_fp_ieee_underflow 0
		.amdhsa_exception_fp_ieee_inexact 0
		.amdhsa_exception_int_div_zero 0
	.end_amdhsa_kernel
	.section	.text._ZN4vllm25paged_attention_v1_kernelI14__hip_bfloat16S1_Li96ELi16ELi128ELNS_18Fp8KVCacheDataTypeE0ELb1EEEvPT_PKS3_PKT0_S9_ifPKiSB_iPKfiiiSD_SD_iiiii,"axG",@progbits,_ZN4vllm25paged_attention_v1_kernelI14__hip_bfloat16S1_Li96ELi16ELi128ELNS_18Fp8KVCacheDataTypeE0ELb1EEEvPT_PKS3_PKT0_S9_ifPKiSB_iPKfiiiSD_SD_iiiii,comdat
.Lfunc_end129:
	.size	_ZN4vllm25paged_attention_v1_kernelI14__hip_bfloat16S1_Li96ELi16ELi128ELNS_18Fp8KVCacheDataTypeE0ELb1EEEvPT_PKS3_PKT0_S9_ifPKiSB_iPKfiiiSD_SD_iiiii, .Lfunc_end129-_ZN4vllm25paged_attention_v1_kernelI14__hip_bfloat16S1_Li96ELi16ELi128ELNS_18Fp8KVCacheDataTypeE0ELb1EEEvPT_PKS3_PKT0_S9_ifPKiSB_iPKfiiiSD_SD_iiiii
                                        ; -- End function
	.section	.AMDGPU.csdata,"",@progbits
; Kernel info:
; codeLenInByte = 8052
; NumSgprs: 50
; NumVgprs: 71
; NumAgprs: 0
; TotalNumVgprs: 71
; ScratchSize: 0
; MemoryBound: 0
; FloatMode: 240
; IeeeMode: 1
; LDSByteSize: 208 bytes/workgroup (compile time only)
; SGPRBlocks: 6
; VGPRBlocks: 8
; NumSGPRsForWavesPerEU: 50
; NumVGPRsForWavesPerEU: 71
; AccumOffset: 72
; Occupancy: 7
; WaveLimiterHint : 1
; COMPUTE_PGM_RSRC2:SCRATCH_EN: 0
; COMPUTE_PGM_RSRC2:USER_SGPR: 2
; COMPUTE_PGM_RSRC2:TRAP_HANDLER: 0
; COMPUTE_PGM_RSRC2:TGID_X_EN: 1
; COMPUTE_PGM_RSRC2:TGID_Y_EN: 1
; COMPUTE_PGM_RSRC2:TGID_Z_EN: 1
; COMPUTE_PGM_RSRC2:TIDIG_COMP_CNT: 0
; COMPUTE_PGM_RSRC3_GFX90A:ACCUM_OFFSET: 17
; COMPUTE_PGM_RSRC3_GFX90A:TG_SPLIT: 0
	.section	.text._ZN4vllm25paged_attention_v1_kernelI14__hip_bfloat16S1_Li112ELi16ELi128ELNS_18Fp8KVCacheDataTypeE0ELb1EEEvPT_PKS3_PKT0_S9_ifPKiSB_iPKfiiiSD_SD_iiiii,"axG",@progbits,_ZN4vllm25paged_attention_v1_kernelI14__hip_bfloat16S1_Li112ELi16ELi128ELNS_18Fp8KVCacheDataTypeE0ELb1EEEvPT_PKS3_PKT0_S9_ifPKiSB_iPKfiiiSD_SD_iiiii,comdat
	.protected	_ZN4vllm25paged_attention_v1_kernelI14__hip_bfloat16S1_Li112ELi16ELi128ELNS_18Fp8KVCacheDataTypeE0ELb1EEEvPT_PKS3_PKT0_S9_ifPKiSB_iPKfiiiSD_SD_iiiii ; -- Begin function _ZN4vllm25paged_attention_v1_kernelI14__hip_bfloat16S1_Li112ELi16ELi128ELNS_18Fp8KVCacheDataTypeE0ELb1EEEvPT_PKS3_PKT0_S9_ifPKiSB_iPKfiiiSD_SD_iiiii
	.globl	_ZN4vllm25paged_attention_v1_kernelI14__hip_bfloat16S1_Li112ELi16ELi128ELNS_18Fp8KVCacheDataTypeE0ELb1EEEvPT_PKS3_PKT0_S9_ifPKiSB_iPKfiiiSD_SD_iiiii
	.p2align	8
	.type	_ZN4vllm25paged_attention_v1_kernelI14__hip_bfloat16S1_Li112ELi16ELi128ELNS_18Fp8KVCacheDataTypeE0ELb1EEEvPT_PKS3_PKT0_S9_ifPKiSB_iPKfiiiSD_SD_iiiii,@function
_ZN4vllm25paged_attention_v1_kernelI14__hip_bfloat16S1_Li112ELi16ELi128ELNS_18Fp8KVCacheDataTypeE0ELb1EEEvPT_PKS3_PKT0_S9_ifPKiSB_iPKfiiiSD_SD_iiiii: ; @_ZN4vllm25paged_attention_v1_kernelI14__hip_bfloat16S1_Li112ELi16ELi128ELNS_18Fp8KVCacheDataTypeE0ELb1EEEvPT_PKS3_PKT0_S9_ifPKiSB_iPKfiiiSD_SD_iiiii
; %bb.0:
	s_load_dword s5, s[0:1], 0x80
	s_load_dwordx2 s[6:7], s[0:1], 0x30
	s_load_dwordx2 s[30:31], s[0:1], 0x20
	s_mov_b32 s10, s3
	s_ashr_i32 s11, s3, 31
	s_lshl_b64 s[8:9], s[10:11], 2
	s_waitcnt lgkmcnt(0)
	s_add_u32 s6, s6, s8
	s_addc_u32 s7, s7, s9
	s_abs_i32 s3, s30
	v_cvt_f32_u32_e32 v1, s3
	s_sub_i32 s11, 0, s3
	s_abs_i32 s9, s5
	s_xor_b32 s8, s5, s30
	v_rcp_iflag_f32_e32 v1, v1
	s_ashr_i32 s8, s8, 31
	s_mov_b32 s43, 0
	v_mul_f32_e32 v1, 0x4f7ffffe, v1
	v_cvt_u32_f32_e32 v1, v1
	s_nop 0
	v_readfirstlane_b32 s12, v1
	s_mul_i32 s11, s11, s12
	s_mul_hi_u32 s11, s12, s11
	s_add_i32 s12, s12, s11
	s_mul_hi_u32 s11, s9, s12
	s_mul_i32 s12, s11, s3
	s_sub_i32 s9, s9, s12
	s_add_i32 s12, s11, 1
	s_sub_i32 s13, s9, s3
	s_cmp_ge_u32 s9, s3
	s_cselect_b32 s11, s12, s11
	s_cselect_b32 s9, s13, s9
	s_add_i32 s12, s11, 1
	s_cmp_ge_u32 s9, s3
	s_cselect_b32 s3, s12, s11
	s_xor_b32 s3, s3, s8
	s_sub_i32 s16, s3, s8
	s_abs_i32 s11, s16
	v_cvt_f32_u32_e32 v1, s11
	s_load_dwordx2 s[8:9], s[0:1], 0x40
	s_sub_i32 s3, 0, s11
	s_abs_i32 s22, s2
	v_rcp_iflag_f32_e32 v1, v1
	s_nop 0
	v_mul_f32_e32 v1, 0x4f7ffffe, v1
	v_cvt_u32_f32_e32 v1, v1
	s_nop 0
	v_readfirstlane_b32 s12, v1
	s_mul_i32 s3, s3, s12
	s_mul_hi_u32 s3, s12, s3
	s_add_i32 s12, s12, s3
	s_waitcnt lgkmcnt(0)
	s_cmp_eq_u64 s[8:9], 0
	s_mul_hi_u32 s23, s22, s12
	s_cbranch_scc1 .LBB130_2
; %bb.1:
	s_ashr_i32 s3, s2, 31
	s_lshl_b64 s[12:13], s[2:3], 2
	s_add_u32 s8, s8, s12
	s_addc_u32 s9, s9, s13
	s_load_dword s43, s[8:9], 0x0
.LBB130_2:
	s_load_dword s33, s[6:7], 0x0
	s_load_dwordx4 s[12:15], s[0:1], 0x48
	s_ashr_i32 s3, s2, 31
	s_ashr_i32 s9, s16, 31
	v_and_b32_e32 v4, 3, v0
	s_mul_i32 s20, s2, 0x70
	v_cmp_gt_u32_e32 vcc, 56, v0
	s_and_saveexec_b64 s[6:7], vcc
	s_cbranch_execz .LBB130_4
; %bb.3:
	s_load_dwordx2 s[16:17], s[0:1], 0x8
	s_waitcnt lgkmcnt(0)
	s_mul_i32 s18, s10, s12
	s_ashr_i32 s19, s18, 31
	s_lshl_b64 s[18:19], s[18:19], 1
	v_lshlrev_b32_e32 v1, 2, v0
	s_add_u32 s8, s16, s18
	s_addc_u32 s12, s17, s19
	s_ashr_i32 s21, s20, 31
	s_lshl_b64 s[16:17], s[20:21], 1
	s_add_u32 s16, s8, s16
	s_addc_u32 s17, s12, s17
	global_load_dword v1, v1, s[16:17]
	v_and_b32_e32 v2, 0x3fc, v0
	v_mad_u32_u24 v2, v4, 56, v2
	s_waitcnt vmcnt(0)
	ds_write_b32 v2, v1
.LBB130_4:
	s_or_b64 exec, exec, s[6:7]
	s_mul_i32 s6, s23, s11
	s_sub_i32 s6, s22, s6
	s_xor_b32 s3, s3, s9
	s_add_i32 s7, s23, 1
	s_sub_i32 s9, s6, s11
	s_load_dwordx4 s[16:19], s[0:1], 0x68
	s_load_dword s8, s[0:1], 0x78
	s_cmp_ge_u32 s6, s11
	s_cselect_b32 s7, s7, s23
	s_cselect_b32 s6, s9, s6
	s_add_i32 s9, s7, 1
	s_cmp_ge_u32 s6, s11
	s_cselect_b32 s6, s9, s7
	s_waitcnt lgkmcnt(0)
	s_abs_i32 s21, s19
	v_cvt_f32_u32_e32 v1, s21
	s_xor_b32 s6, s6, s3
	s_sub_i32 s3, s6, s3
	s_sub_i32 s6, 0, s21
	v_rcp_iflag_f32_e32 v1, v1
	s_add_i32 s11, s33, -1
	s_abs_i32 s9, s11
	v_mul_f32_e32 v1, 0x4f7ffffe, v1
	v_cvt_u32_f32_e32 v1, v1
	s_barrier
	v_readfirstlane_b32 s40, v1
	s_mul_i32 s6, s6, s40
	s_mul_hi_u32 s6, s40, s6
	s_add_i32 s40, s40, s6
	s_cmp_lt_i32 s8, 0
	s_mul_hi_u32 s12, s9, s40
	s_cbranch_scc0 .LBB130_6
; %bb.5:
	s_mul_i32 s6, s16, s30
	s_add_i32 s6, s3, s6
	s_mul_i32 s6, s6, s8
	s_sub_i32 s41, 1, s6
	s_mov_b64 s[6:7], 0
	s_branch .LBB130_7
.LBB130_6:
	s_mov_b64 s[6:7], -1
                                        ; implicit-def: $sgpr41
.LBB130_7:
	s_load_dwordx2 s[24:25], s[0:1], 0x28
	s_ashr_i32 s15, s11, 31
	s_andn2_b64 vcc, exec, s[6:7]
	s_ashr_i32 s19, s19, 31
	s_cbranch_vccnz .LBB130_9
; %bb.8:
	s_mul_i32 s6, s5, s16
	s_add_i32 s2, s6, s2
	s_mul_i32 s2, s2, s8
	s_add_i32 s41, s2, 1
.LBB130_9:
	s_load_dword s2, s[0:1], 0x38
	s_load_dwordx2 s[22:23], s[0:1], 0x0
	s_load_dwordx2 s[28:29], s[0:1], 0x18
	s_load_dword s11, s[0:1], 0x88
	s_xor_b32 s6, s15, s19
	s_waitcnt lgkmcnt(0)
	s_mul_i32 s26, s10, s2
	s_mul_i32 s2, s12, s21
	s_sub_i32 s2, s9, s2
	s_ashr_i32 s27, s26, 31
	s_add_i32 s7, s12, 1
	s_sub_i32 s8, s2, s21
	s_cmp_ge_u32 s2, s21
	s_cselect_b32 s7, s7, s12
	s_cselect_b32 s2, s8, s2
	s_add_i32 s8, s7, 1
	s_cmp_ge_u32 s2, s21
	s_cselect_b32 s2, s8, s7
	s_xor_b32 s2, s2, s6
	s_sub_i32 s12, s2, s6
	s_add_i32 s2, s33, 15
	s_ashr_i32 s6, s2, 31
	s_lshr_b32 s6, s6, 28
	s_add_i32 s2, s2, s6
	s_ashr_i32 s42, s2, 4
	v_lshrrev_b32_e32 v1, 6, v0
	v_cmp_gt_i32_e64 s[6:7], s42, v1
	v_mov_b32_e32 v10, 0xff7fffff
	s_mul_i32 s14, s3, s14
	v_lshrrev_b32_e32 v6, 4, v0
	v_lshlrev_b32_e32 v20, 4, v1
	v_mbcnt_lo_u32_b32 v7, -1, 0
	s_and_saveexec_b64 s[34:35], s[6:7]
	s_cbranch_execz .LBB130_19
; %bb.10:
	s_load_dwordx2 s[0:1], s[0:1], 0x10
	s_ashr_i32 s15, s14, 31
	s_sub_i32 s16, s12, s17
	s_lshl_b64 s[2:3], s[14:15], 1
	v_bfe_u32 v8, v0, 2, 4
	s_waitcnt lgkmcnt(0)
	s_add_u32 s0, s0, s2
	s_addc_u32 s1, s1, s3
	s_abs_i32 s15, s18
	v_cvt_f32_u32_e32 v5, s15
	v_lshlrev_b32_e32 v12, 4, v8
	v_mov_b32_e32 v13, 0
	v_lshl_add_u64 v[2:3], s[0:1], 0, v[12:13]
	v_rcp_iflag_f32_e32 v5, v5
	v_lshlrev_b32_e32 v9, 2, v0
	s_sub_i32 s0, 0, s15
	v_cmp_eq_u32_e32 vcc, 0, v4
	v_mul_f32_e32 v5, 0x4f7ffffe, v5
	v_cvt_u32_f32_e32 v5, v5
	v_and_b32_e32 v12, 12, v9
	v_mul_u32_u24_e32 v9, 56, v4
	v_lshlrev_b32_e32 v10, 2, v8
	v_mul_lo_u32 v4, s0, v5
	s_lshl_b64 s[0:1], s[26:27], 2
	s_add_u32 s0, s24, s0
	v_lshl_add_u64 v[2:3], v[2:3], 0, v[12:13]
	v_mul_hi_u32 v4, v5, v4
	v_and_b32_e32 v12, 60, v6
	s_addc_u32 s1, s25, s1
	v_lshl_or_b32 v10, v1, 6, v10
	v_add_u32_e32 v11, v5, v4
	v_lshl_add_u64 v[4:5], s[0:1], 0, v[12:13]
	v_add_u32_e32 v13, 0xf0, v10
	v_subrev_u32_e32 v10, s33, v8
	v_mbcnt_hi_u32_b32 v16, -1, v7
	v_add_u32_e32 v14, 1, v10
	v_and_b32_e32 v10, 64, v16
	s_mov_b32 s30, s13
	v_cmp_neq_f32_e64 s[2:3], s43, 0
	v_lshlrev_b32_e32 v12, 4, v1
	s_mov_b64 s[36:37], 0
	v_mov_b32_e32 v15, 0xff7fffff
	v_add_u32_e32 v17, 64, v10
	v_xor_b32_e32 v18, 2, v16
	v_xor_b32_e32 v19, 1, v16
	v_mov_b32_e32 v10, 0xff7fffff
	v_mov_b32_e32 v21, v1
	s_branch .LBB130_13
.LBB130_11:                             ;   in Loop: Header=BB130_13 Depth=1
	s_or_b64 exec, exec, s[38:39]
.LBB130_12:                             ;   in Loop: Header=BB130_13 Depth=1
	s_or_b64 exec, exec, s[8:9]
	v_add_u32_e32 v21, 2, v21
	v_cmp_le_i32_e64 s[0:1], s42, v21
	v_lshl_add_u64 v[4:5], v[4:5], 0, 8
	v_add_u32_e32 v12, 32, v12
	s_or_b64 s[36:37], s[0:1], s[36:37]
	v_add_u32_e32 v13, 0x80, v13
	s_andn2_b64 exec, exec, s[36:37]
	s_cbranch_execz .LBB130_18
.LBB130_13:                             ; =>This Inner Loop Header: Depth=1
	v_mul_hi_u32 v22, v12, s40
	s_waitcnt lgkmcnt(0)
	v_mul_lo_u32 v23, v22, s21
	v_sub_u32_e32 v23, v12, v23
	v_add_u32_e32 v24, 1, v22
	v_cmp_le_u32_e64 s[0:1], s21, v23
	s_nop 1
	v_cndmask_b32_e64 v22, v22, v24, s[0:1]
	v_subrev_u32_e32 v24, s21, v23
	v_cndmask_b32_e64 v23, v23, v24, s[0:1]
	v_add_u32_e32 v24, 1, v22
	v_cmp_le_u32_e64 s[0:1], s21, v23
	s_nop 1
	v_cndmask_b32_e64 v22, v22, v24, s[0:1]
	v_xor_b32_e32 v22, s19, v22
	v_subrev_u32_e32 v22, s19, v22
	v_add_u32_e32 v23, s41, v22
	v_sub_u32_e32 v25, 0, v23
	v_ashrrev_i32_e32 v24, 31, v23
	v_max_i32_e32 v23, v23, v25
	v_mul_hi_u32 v25, v23, v11
	v_mul_lo_u32 v25, v25, s15
	v_sub_u32_e32 v23, v23, v25
	v_subrev_u32_e32 v25, s15, v23
	v_cmp_le_u32_e64 s[0:1], s15, v23
	v_cmp_ge_i32_e64 s[8:9], s16, v22
	s_nop 0
	v_cndmask_b32_e64 v23, v23, v25, s[0:1]
	v_subrev_u32_e32 v25, s15, v23
	v_cmp_le_u32_e64 s[0:1], s15, v23
	s_nop 1
	v_cndmask_b32_e64 v23, v23, v25, s[0:1]
	v_xor_b32_e32 v23, v23, v24
	v_sub_u32_e32 v23, v23, v24
	v_cmp_ne_u32_e64 s[0:1], 0, v23
	s_and_b64 s[0:1], s[0:1], s[8:9]
	s_and_b64 s[38:39], vcc, s[0:1]
	s_and_saveexec_b64 s[8:9], s[38:39]
	s_cbranch_execz .LBB130_15
; %bb.14:                               ;   in Loop: Header=BB130_13 Depth=1
	ds_write_b32 v13, v15
.LBB130_15:                             ;   in Loop: Header=BB130_13 Depth=1
	s_or_b64 exec, exec, s[8:9]
	s_xor_b64 s[0:1], s[0:1], -1
	s_and_saveexec_b64 s[8:9], s[0:1]
	s_cbranch_execz .LBB130_12
; %bb.16:                               ;   in Loop: Header=BB130_13 Depth=1
	global_load_dword v22, v[4:5], off
	s_waitcnt vmcnt(0)
	v_mad_i64_i32 v[22:23], s[0:1], v22, s30, 0
	v_lshl_add_u64 v[22:23], v[22:23], 1, v[2:3]
	global_load_dword v36, v[22:23], off
	global_load_dword v37, v[22:23], off offset:256
	global_load_dword v38, v[22:23], off offset:512
	;; [unrolled: 1-line block ×13, first 2 shown]
	ds_read2_b64 v[22:25], v9 offset1:1
	ds_read2_b64 v[26:29], v9 offset0:2 offset1:3
	ds_read2_b64 v[30:33], v9 offset0:4 offset1:5
	ds_read_b64 v[34:35], v9 offset:48
	v_cmp_lt_i32_e64 s[0:1], v18, v17
	s_waitcnt lgkmcnt(3)
	v_lshlrev_b32_e32 v52, 16, v23
	v_and_b32_e32 v23, 0xffff0000, v23
	v_lshlrev_b32_e32 v51, 16, v22
	v_and_b32_e32 v22, 0xffff0000, v22
	v_lshlrev_b32_e32 v53, 16, v24
	v_and_b32_e32 v24, 0xffff0000, v24
	v_lshlrev_b32_e32 v54, 16, v25
	v_and_b32_e32 v25, 0xffff0000, v25
	s_waitcnt lgkmcnt(2)
	v_lshlrev_b32_e32 v55, 16, v26
	v_and_b32_e32 v26, 0xffff0000, v26
	v_lshlrev_b32_e32 v56, 16, v27
	v_and_b32_e32 v27, 0xffff0000, v27
	v_lshlrev_b32_e32 v57, 16, v28
	v_and_b32_e32 v28, 0xffff0000, v28
	v_lshlrev_b32_e32 v58, 16, v29
	v_and_b32_e32 v29, 0xffff0000, v29
	;; [unrolled: 9-line block ×3, first 2 shown]
	s_waitcnt lgkmcnt(0)
	v_lshlrev_b32_e32 v63, 16, v34
	v_and_b32_e32 v34, 0xffff0000, v34
	v_lshlrev_b32_e32 v64, 16, v35
	v_and_b32_e32 v35, 0xffff0000, v35
	v_cndmask_b32_e64 v50, v16, v18, s[0:1]
	v_lshlrev_b32_e32 v50, 2, v50
	v_cmp_lt_i32_e64 s[0:1], v19, v17
	s_waitcnt vmcnt(13)
	v_lshlrev_b32_e32 v65, 16, v36
	s_waitcnt vmcnt(12)
	v_lshlrev_b32_e32 v66, 16, v37
	v_and_b32_e32 v37, 0xffff0000, v37
	v_and_b32_e32 v36, 0xffff0000, v36
	v_mul_f32_e32 v52, v52, v66
	v_mul_f32_e32 v23, v23, v37
	s_waitcnt vmcnt(11)
	v_lshlrev_b32_e32 v67, 16, v38
	v_and_b32_e32 v38, 0xffff0000, v38
	v_fmac_f32_e32 v52, v51, v65
	v_fmac_f32_e32 v23, v22, v36
	s_waitcnt vmcnt(10)
	v_lshlrev_b32_e32 v68, 16, v39
	v_and_b32_e32 v39, 0xffff0000, v39
	v_fmac_f32_e32 v52, v53, v67
	v_fmac_f32_e32 v23, v24, v38
	;; [unrolled: 5-line block ×12, first 2 shown]
	v_fmac_f32_e32 v52, v64, v78
	v_fmac_f32_e32 v23, v35, v49
	v_add_f32_e32 v22, v52, v23
	ds_bpermute_b32 v23, v50, v22
	v_cndmask_b32_e64 v24, v16, v19, s[0:1]
	v_lshlrev_b32_e32 v24, 2, v24
	s_waitcnt lgkmcnt(0)
	v_add_f32_e32 v22, v22, v23
	ds_bpermute_b32 v23, v24, v22
	s_and_saveexec_b64 s[38:39], vcc
	s_cbranch_execz .LBB130_11
; %bb.17:                               ;   in Loop: Header=BB130_13 Depth=1
	v_add_u32_e32 v24, v14, v12
	v_cvt_f32_i32_e32 v24, v24
	s_waitcnt lgkmcnt(0)
	v_add_f32_e32 v22, v22, v23
	v_add_u32_e32 v25, v8, v12
	v_cmp_gt_i32_e64 s[0:1], s33, v25
	v_mul_f32_e32 v23, s43, v24
	v_cndmask_b32_e64 v23, 0, v23, s[2:3]
	v_fmac_f32_e32 v23, s31, v22
	v_cndmask_b32_e64 v22, 0, v23, s[0:1]
	ds_write_b32 v13, v22
	v_max_f32_e32 v22, v10, v10
	v_max_f32_e32 v22, v22, v23
	v_cndmask_b32_e64 v10, v10, v22, s[0:1]
	s_branch .LBB130_11
.LBB130_18:
	s_or_b64 exec, exec, s[36:37]
.LBB130_19:
	s_or_b64 exec, exec, s[34:35]
	v_mbcnt_hi_u32_b32 v2, -1, v7
	v_and_b32_e32 v3, 64, v2
	v_add_u32_e32 v3, 64, v3
	v_xor_b32_e32 v4, 32, v2
	v_cmp_lt_i32_e32 vcc, v4, v3
	v_xor_b32_e32 v8, 16, v2
	v_max_f32_e32 v7, v10, v10
	v_cndmask_b32_e32 v4, v2, v4, vcc
	v_lshlrev_b32_e32 v5, 2, v4
	ds_bpermute_b32 v4, v5, v10
	v_cmp_lt_i32_e32 vcc, v8, v3
	v_xor_b32_e32 v9, 8, v2
	v_xor_b32_e32 v11, 4, v2
	s_waitcnt lgkmcnt(0)
	v_max_f32_e32 v4, v4, v4
	v_max_f32_e32 v4, v7, v4
	v_cndmask_b32_e32 v7, v2, v8, vcc
	v_lshlrev_b32_e32 v7, 2, v7
	ds_bpermute_b32 v8, v7, v4
	v_cmp_lt_i32_e32 vcc, v9, v3
	s_waitcnt lgkmcnt(0)
	v_max_f32_e32 v8, v8, v8
	v_max_f32_e32 v4, v4, v8
	v_cndmask_b32_e32 v8, v2, v9, vcc
	v_lshlrev_b32_e32 v10, 2, v8
	ds_bpermute_b32 v8, v10, v4
	v_cmp_lt_i32_e32 vcc, v11, v3
	s_waitcnt lgkmcnt(0)
	v_max_f32_e32 v8, v8, v8
	v_max_f32_e32 v9, v4, v8
	v_cndmask_b32_e32 v4, v2, v11, vcc
	v_lshlrev_b32_e32 v11, 2, v4
	ds_bpermute_b32 v12, v11, v9
	v_and_b32_e32 v4, 63, v0
	v_cmp_eq_u32_e32 vcc, 0, v4
	v_lshlrev_b32_e32 v8, 2, v1
	s_and_saveexec_b64 s[0:1], vcc
	s_cbranch_execz .LBB130_21
; %bb.20:
	s_waitcnt lgkmcnt(0)
	v_max_f32_e32 v12, v12, v12
	v_max_f32_e32 v9, v9, v9
	;; [unrolled: 1-line block ×3, first 2 shown]
	ds_write_b32 v8, v9 offset:224
.LBB130_21:
	s_or_b64 exec, exec, s[0:1]
	v_cmp_gt_u32_e64 s[0:1], 2, v4
	s_waitcnt lgkmcnt(0)
	v_mov_b32_e32 v12, 0xff7fffff
	v_lshlrev_b32_e32 v9, 2, v4
	s_barrier
	s_and_saveexec_b64 s[2:3], s[0:1]
	s_cbranch_execz .LBB130_23
; %bb.22:
	ds_read_b32 v12, v9 offset:224
.LBB130_23:
	s_or_b64 exec, exec, s[2:3]
	v_xor_b32_e32 v13, 1, v2
	v_cmp_lt_i32_e64 s[2:3], v13, v3
	v_lshlrev_b32_e32 v14, 2, v2
	s_nop 0
	v_cndmask_b32_e64 v13, v2, v13, s[2:3]
	v_lshlrev_b32_e32 v21, 2, v13
	s_waitcnt lgkmcnt(0)
	ds_bpermute_b32 v13, v21, v12
	v_max_f32_e32 v12, v12, v12
	s_lshl_b32 s2, s42, 4
	s_min_i32 s15, s2, s33
	v_cmp_gt_i32_e64 s[2:3], s15, v0
	s_waitcnt lgkmcnt(0)
	v_max_f32_e32 v13, v13, v13
	v_max_f32_e32 v13, v12, v13
	v_and_b32_e32 v12, 0x100, v14
	ds_bpermute_b32 v14, v12, v13
	v_mov_b32_e32 v13, 0
	s_and_saveexec_b64 s[30:31], s[2:3]
	s_cbranch_execz .LBB130_27
; %bb.24:
	v_mov_b32_e32 v13, 0xf0
	v_lshl_add_u32 v15, v0, 2, v13
	s_mov_b64 s[34:35], 0
	v_mov_b32_e32 v13, 0
	v_mov_b32_e32 v16, v0
.LBB130_25:                             ; =>This Inner Loop Header: Depth=1
	ds_read_b32 v17, v15
	v_add_u32_e32 v16, 0x80, v16
	v_cmp_le_i32_e64 s[8:9], s15, v16
	s_or_b64 s[34:35], s[8:9], s[34:35]
	s_waitcnt lgkmcnt(0)
	v_sub_f32_e32 v17, v17, v14
	v_mul_f32_e32 v17, 0x3fb8aa3b, v17
	v_exp_f32_e32 v17, v17
	ds_write_b32 v15, v17
	v_add_f32_e32 v13, v13, v17
	v_add_u32_e32 v15, 0x200, v15
	s_andn2_b64 exec, exec, s[34:35]
	s_cbranch_execnz .LBB130_25
; %bb.26:
	s_or_b64 exec, exec, s[34:35]
.LBB130_27:
	s_or_b64 exec, exec, s[30:31]
	ds_bpermute_b32 v5, v5, v13
	s_waitcnt lgkmcnt(0)
	v_add_f32_e32 v5, v13, v5
	ds_bpermute_b32 v7, v7, v5
	s_waitcnt lgkmcnt(0)
	v_add_f32_e32 v5, v5, v7
	ds_bpermute_b32 v7, v10, v5
	v_xor_b32_e32 v10, 2, v2
	v_cmp_lt_i32_e64 s[8:9], v10, v3
	s_waitcnt lgkmcnt(0)
	v_add_f32_e32 v5, v5, v7
	ds_bpermute_b32 v7, v11, v5
	v_cndmask_b32_e64 v2, v2, v10, s[8:9]
	v_lshlrev_b32_e32 v2, 2, v2
	s_waitcnt lgkmcnt(0)
	v_add_f32_e32 v3, v5, v7
	ds_bpermute_b32 v2, v2, v3
	s_waitcnt lgkmcnt(0)
	v_add_f32_e32 v2, v3, v2
	ds_bpermute_b32 v3, v21, v2
	s_waitcnt lgkmcnt(0)
	v_add_f32_e32 v2, v2, v3
	s_and_saveexec_b64 s[8:9], vcc
	s_cbranch_execz .LBB130_29
; %bb.28:
	ds_write_b32 v8, v2 offset:232
.LBB130_29:
	s_or_b64 exec, exec, s[8:9]
	s_waitcnt lgkmcnt(0)
	s_barrier
	s_and_saveexec_b64 s[8:9], s[0:1]
	s_cbranch_execz .LBB130_31
; %bb.30:
	ds_read_b32 v2, v9 offset:232
.LBB130_31:
	s_or_b64 exec, exec, s[8:9]
	s_waitcnt lgkmcnt(0)
	ds_bpermute_b32 v3, v21, v2
	s_waitcnt lgkmcnt(0)
	v_add_f32_e32 v2, v2, v3
	ds_bpermute_b32 v2, v12, v2
	s_and_saveexec_b64 s[0:1], s[2:3]
	s_cbranch_execz .LBB130_44
; %bb.32:
	s_waitcnt lgkmcnt(0)
	v_add_f32_e32 v2, 0x358637bd, v2
	v_div_scale_f32 v3, s[2:3], v2, v2, 1.0
	v_rcp_f32_e32 v5, v3
	v_div_scale_f32 v7, vcc, 1.0, v2, 1.0
	s_movk_i32 s2, 0x7f
	v_fma_f32 v8, -v3, v5, 1.0
	v_fmac_f32_e32 v5, v8, v5
	v_mul_f32_e32 v8, v7, v5
	v_fma_f32 v9, -v3, v8, v7
	v_fmac_f32_e32 v8, v9, v5
	v_fma_f32 v3, -v3, v8, v7
	v_div_fmas_f32 v3, v3, v5, v8
	v_xad_u32 v5, v0, -1, s15
	v_div_fixup_f32 v2, v3, v2, 1.0
	v_cmp_lt_u32_e32 vcc, s2, v5
	s_mov_b64 s[8:9], -1
	v_mov_b32_e32 v3, v0
	s_and_saveexec_b64 s[2:3], vcc
	s_cbranch_execz .LBB130_41
; %bb.33:
	v_lshrrev_b32_e32 v5, 7, v5
	v_add_u32_e32 v8, -1, v5
	v_lshrrev_b32_e32 v7, 1, v8
	v_mov_b32_e32 v3, v2
	v_add_u32_e32 v7, 1, v7
	v_cmp_lt_u32_e32 vcc, 13, v8
	v_mov_b32_e32 v10, 0
	s_and_saveexec_b64 s[8:9], vcc
	s_cbranch_execz .LBB130_37
; %bb.34:
	v_mov_b32_e32 v9, 0xf0
	v_and_b32_e32 v8, -8, v7
	v_lshl_add_u32 v9, v0, 2, v9
	s_mov_b32 s16, 0
	s_mov_b64 s[30:31], 0
.LBB130_35:                             ; =>This Inner Loop Header: Depth=1
	ds_read2st64_b32 v[10:11], v9 offset1:2
	ds_read2st64_b32 v[12:13], v9 offset0:4 offset1:6
	ds_read2st64_b32 v[14:15], v9 offset0:8 offset1:10
	;; [unrolled: 1-line block ×3, first 2 shown]
	v_add_u32_e32 v8, -8, v8
	s_waitcnt lgkmcnt(3)
	v_pk_mul_f32 v[10:11], v[2:3], v[10:11]
	s_waitcnt lgkmcnt(2)
	v_pk_mul_f32 v[12:13], v[2:3], v[12:13]
	ds_write2st64_b32 v9, v10, v11 offset1:2
	ds_write2st64_b32 v9, v12, v13 offset0:4 offset1:6
	ds_read2st64_b32 v[12:13], v9 offset0:16 offset1:18
	s_waitcnt lgkmcnt(4)
	v_pk_mul_f32 v[10:11], v[2:3], v[14:15]
	ds_write2st64_b32 v9, v10, v11 offset0:8 offset1:10
	s_waitcnt lgkmcnt(4)
	v_pk_mul_f32 v[10:11], v[2:3], v[16:17]
	ds_write2st64_b32 v9, v10, v11 offset0:12 offset1:14
	ds_read2st64_b32 v[10:11], v9 offset0:20 offset1:22
	s_waitcnt lgkmcnt(3)
	v_pk_mul_f32 v[12:13], v[2:3], v[12:13]
	ds_read2st64_b32 v[14:15], v9 offset0:24 offset1:26
	ds_write2st64_b32 v9, v12, v13 offset0:16 offset1:18
	ds_read2st64_b32 v[12:13], v9 offset0:28 offset1:30
	s_waitcnt lgkmcnt(3)
	v_pk_mul_f32 v[10:11], v[2:3], v[10:11]
	ds_write2st64_b32 v9, v10, v11 offset0:20 offset1:22
	s_waitcnt lgkmcnt(3)
	v_pk_mul_f32 v[10:11], v[2:3], v[14:15]
	ds_write2st64_b32 v9, v10, v11 offset0:24 offset1:26
	s_waitcnt lgkmcnt(2)
	v_pk_mul_f32 v[10:11], v[2:3], v[12:13]
	s_add_i32 s16, s16, 16
	v_cmp_eq_u32_e32 vcc, 0, v8
	ds_write2st64_b32 v9, v10, v11 offset0:28 offset1:30
	v_add_u32_e32 v9, 0x2000, v9
	s_or_b64 s[30:31], vcc, s[30:31]
	v_mov_b32_e32 v10, s16
	s_andn2_b64 exec, exec, s[30:31]
	s_cbranch_execnz .LBB130_35
; %bb.36:
	s_or_b64 exec, exec, s[30:31]
.LBB130_37:
	s_or_b64 exec, exec, s[8:9]
	v_and_b32_e32 v7, 7, v7
	v_cmp_ne_u32_e32 vcc, 0, v7
	s_and_saveexec_b64 s[8:9], vcc
	s_cbranch_execz .LBB130_40
; %bb.38:
	v_lshlrev_b32_e32 v8, 9, v10
	v_lshlrev_b32_e32 v9, 2, v0
	s_movk_i32 s16, 0xf0
	v_add3_u32 v8, v8, v9, s16
	s_mov_b64 s[30:31], 0
.LBB130_39:                             ; =>This Inner Loop Header: Depth=1
	ds_read2st64_b32 v[10:11], v8 offset1:2
	v_add_u32_e32 v7, -1, v7
	v_cmp_eq_u32_e32 vcc, 0, v7
	s_or_b64 s[30:31], vcc, s[30:31]
	s_waitcnt lgkmcnt(0)
	v_pk_mul_f32 v[10:11], v[2:3], v[10:11]
	ds_write2st64_b32 v8, v10, v11 offset1:2
	v_add_u32_e32 v8, 0x400, v8
	s_andn2_b64 exec, exec, s[30:31]
	s_cbranch_execnz .LBB130_39
.LBB130_40:
	s_or_b64 exec, exec, s[8:9]
	v_add_u32_e32 v5, 1, v5
	v_and_b32_e32 v7, 0x3fffffe, v5
	v_cmp_ne_u32_e32 vcc, v5, v7
	v_lshl_add_u32 v3, v7, 7, v0
	s_orn2_b64 s[8:9], vcc, exec
.LBB130_41:
	s_or_b64 exec, exec, s[2:3]
	s_and_b64 exec, exec, s[8:9]
	s_cbranch_execz .LBB130_44
; %bb.42:
	v_mov_b32_e32 v5, 0xf0
	v_lshl_add_u32 v5, v3, 2, v5
	s_mov_b64 s[2:3], 0
.LBB130_43:                             ; =>This Inner Loop Header: Depth=1
	ds_read_b32 v7, v5
	v_add_u32_e32 v3, 0x80, v3
	v_cmp_le_i32_e32 vcc, s15, v3
	s_or_b64 s[2:3], vcc, s[2:3]
	s_waitcnt lgkmcnt(0)
	v_mul_f32_e32 v7, v2, v7
	ds_write_b32 v5, v7
	v_add_u32_e32 v5, 0x200, v5
	s_andn2_b64 exec, exec, s[2:3]
	s_cbranch_execnz .LBB130_43
.LBB130_44:
	s_or_b64 exec, exec, s[0:1]
	v_mov_b32_e32 v11, 0
	v_lshrrev_b32_e32 v23, 1, v4
	v_and_b32_e32 v22, 1, v0
	v_mov_b32_e32 v10, 0
	v_mov_b32_e32 v15, 0
	;; [unrolled: 1-line block ×3, first 2 shown]
	s_waitcnt lgkmcnt(0)
	s_barrier
	s_and_saveexec_b64 s[8:9], s[6:7]
	s_cbranch_execz .LBB130_220
; %bb.45:
	s_ashr_i32 s15, s14, 31
	s_sub_i32 s30, s12, s17
	s_lshl_b64 s[0:1], s[14:15], 1
	s_add_u32 s6, s28, s0
	s_addc_u32 s7, s29, s1
	s_abs_i32 s18, s18
	v_cvt_f32_u32_e32 v3, s18
	v_or_b32_e32 v4, 0x60, v23
	s_movk_i32 s0, 0x70
	v_cmp_gt_u32_e32 vcc, s0, v4
	v_rcp_iflag_f32_e32 v3, v3
	s_sub_i32 s0, 0, s18
	v_lshlrev_b32_e32 v2, 3, v0
	s_add_i32 s29, s42, -1
	v_mul_f32_e32 v3, 0x4f7ffffe, v3
	v_cvt_u32_f32_e32 v3, v3
	v_and_b32_e32 v24, 8, v2
	v_lshl_or_b32 v2, v23, 4, v24
	v_mov_b32_e32 v13, 0
	v_mul_lo_u32 v5, s0, v3
	v_mul_hi_u32 v5, v3, v5
	s_lshl_b64 s[0:1], s[26:27], 2
	v_add_u32_e32 v25, v3, v5
	s_add_u32 s0, s24, s0
	v_lshlrev_b32_e32 v3, 5, v22
	v_lshl_or_b32 v4, v4, 4, v24
	v_and_b32_e32 v12, 60, v6
	s_addc_u32 s1, s25, s1
	v_lshl_or_b32 v3, v1, 6, v3
	s_mov_b32 s28, s13
	v_lshl_add_u64 v[16:17], s[0:1], 0, v[12:13]
	v_add_u32_e32 v26, 0xf0, v3
	s_mov_b64 s[12:13], 0
	s_mov_b32 s24, 0x7f800000
	s_movk_i32 s25, 0x7fff
	v_lshlrev_b32_e32 v12, 1, v2
	v_lshlrev_b32_e32 v18, 1, v4
	v_mov_b32_e32 v14, v13
	v_mov_b32_e32 v15, v13
	;; [unrolled: 1-line block ×4, first 2 shown]
	s_branch .LBB130_49
.LBB130_46:                             ;   in Loop: Header=BB130_49 Depth=1
	s_or_b64 exec, exec, s[16:17]
	v_and_b32_e32 v39, 0xffff0000, v34
	v_and_b32_e32 v38, 0xffff0000, v7
	;; [unrolled: 1-line block ×8, first 2 shown]
	v_pk_add_f32 v[2:3], v[2:3], v[38:39]
	v_pk_add_f32 v[4:5], v[4:5], v[36:37]
	v_add_f32_e32 v2, v2, v3
	v_add_f32_e32 v2, v2, v4
	;; [unrolled: 1-line block ×4, first 2 shown]
.LBB130_47:                             ;   in Loop: Header=BB130_49 Depth=1
	s_or_b64 exec, exec, s[2:3]
	v_and_b32_e32 v7, 0xffff0000, v30
	v_and_b32_e32 v6, 0xffff0000, v28
	;; [unrolled: 1-line block ×8, first 2 shown]
	v_pk_add_f32 v[6:7], v[28:29], v[6:7]
	v_pk_add_f32 v[2:3], v[4:5], v[2:3]
	v_add_f32_e32 v4, v6, v7
	v_add_f32_e32 v2, v4, v2
	;; [unrolled: 1-line block ×3, first 2 shown]
	v_and_b32_e32 v7, 0xffff0000, v47
	v_and_b32_e32 v6, 0xffff0000, v45
	;; [unrolled: 1-line block ×4, first 2 shown]
	v_add_f32_e32 v14, v14, v2
	v_and_b32_e32 v3, 0xffff0000, v51
	v_and_b32_e32 v2, 0xffff0000, v49
	;; [unrolled: 1-line block ×4, first 2 shown]
	v_pk_add_f32 v[6:7], v[28:29], v[6:7]
	v_pk_add_f32 v[2:3], v[4:5], v[2:3]
	v_add_f32_e32 v4, v6, v7
	v_add_f32_e32 v2, v4, v2
	;; [unrolled: 1-line block ×3, first 2 shown]
	v_and_b32_e32 v7, 0xffff0000, v53
	v_and_b32_e32 v6, 0xffff0000, v9
	;; [unrolled: 1-line block ×4, first 2 shown]
	v_add_f32_e32 v15, v15, v2
	v_and_b32_e32 v3, 0xffff0000, v57
	v_and_b32_e32 v2, 0xffff0000, v55
	;; [unrolled: 1-line block ×4, first 2 shown]
	v_pk_add_f32 v[6:7], v[8:9], v[6:7]
	v_pk_add_f32 v[2:3], v[4:5], v[2:3]
	v_add_f32_e32 v4, v6, v7
	v_add_f32_e32 v2, v4, v2
	;; [unrolled: 1-line block ×4, first 2 shown]
.LBB130_48:                             ;   in Loop: Header=BB130_49 Depth=1
	s_or_b64 exec, exec, s[14:15]
	v_add_u32_e32 v1, 2, v1
	v_cmp_le_i32_e64 s[0:1], s42, v1
	v_lshl_add_u64 v[16:17], v[16:17], 0, 8
	v_add_u32_e32 v20, 32, v20
	s_or_b64 s[12:13], s[0:1], s[12:13]
	v_add_u32_e32 v26, 0x80, v26
	s_andn2_b64 exec, exec, s[12:13]
	s_cbranch_execz .LBB130_219
.LBB130_49:                             ; =>This Inner Loop Header: Depth=1
	v_mul_hi_u32 v2, v20, s40
	v_mul_lo_u32 v3, v2, s21
	v_sub_u32_e32 v3, v20, v3
	v_add_u32_e32 v4, 1, v2
	v_cmp_le_u32_e64 s[0:1], s21, v3
	s_nop 1
	v_cndmask_b32_e64 v2, v2, v4, s[0:1]
	v_subrev_u32_e32 v4, s21, v3
	v_cndmask_b32_e64 v3, v3, v4, s[0:1]
	v_add_u32_e32 v4, 1, v2
	v_cmp_le_u32_e64 s[0:1], s21, v3
	s_nop 1
	v_cndmask_b32_e64 v2, v2, v4, s[0:1]
	v_xor_b32_e32 v2, s19, v2
	v_subrev_u32_e32 v2, s19, v2
	v_add_u32_e32 v3, s41, v2
	v_sub_u32_e32 v5, 0, v3
	v_ashrrev_i32_e32 v4, 31, v3
	v_max_i32_e32 v3, v3, v5
	v_mul_hi_u32 v5, v3, v25
	v_mul_lo_u32 v5, v5, s18
	v_sub_u32_e32 v3, v3, v5
	v_subrev_u32_e32 v5, s18, v3
	v_cmp_le_u32_e64 s[0:1], s18, v3
	v_cmp_lt_i32_e64 s[2:3], s30, v2
	s_nop 0
	v_cndmask_b32_e64 v3, v3, v5, s[0:1]
	v_subrev_u32_e32 v5, s18, v3
	v_cmp_le_u32_e64 s[0:1], s18, v3
	s_nop 1
	v_cndmask_b32_e64 v3, v3, v5, s[0:1]
	v_xor_b32_e32 v3, v3, v4
	v_sub_u32_e32 v3, v3, v4
	v_cmp_eq_u32_e64 s[0:1], 0, v3
	s_or_b64 s[0:1], s[0:1], s[2:3]
	s_and_saveexec_b64 s[14:15], s[0:1]
	s_cbranch_execz .LBB130_48
; %bb.50:                               ;   in Loop: Header=BB130_49 Depth=1
	global_load_dword v34, v[16:17], off
	ds_read2_b64 v[6:9], v26 offset1:1
	ds_read2_b64 v[2:5], v26 offset0:2 offset1:3
                                        ; implicit-def: $vgpr27
	s_waitcnt lgkmcnt(1)
	v_and_b32_e32 v19, 0x7f800000, v6
	v_cmp_ne_u32_e64 s[0:1], s24, v19
	s_and_saveexec_b64 s[2:3], s[0:1]
	s_xor_b64 s[0:1], exec, s[2:3]
; %bb.51:                               ;   in Loop: Header=BB130_49 Depth=1
	v_bfe_u32 v19, v6, 16, 1
	v_add3_u32 v27, v6, v19, s25
; %bb.52:                               ;   in Loop: Header=BB130_49 Depth=1
	s_andn2_saveexec_b64 s[2:3], s[0:1]
; %bb.53:                               ;   in Loop: Header=BB130_49 Depth=1
	v_or_b32_e32 v19, 0x10000, v6
	v_cmp_eq_u32_sdwa s[0:1], v6, v13 src0_sel:WORD_0 src1_sel:DWORD
	s_nop 1
	v_cndmask_b32_e64 v27, v19, v6, s[0:1]
; %bb.54:                               ;   in Loop: Header=BB130_49 Depth=1
	s_or_b64 exec, exec, s[2:3]
	v_and_b32_e32 v6, 0x7f800000, v7
	v_cmp_ne_u32_e64 s[0:1], s24, v6
                                        ; implicit-def: $vgpr28
	s_and_saveexec_b64 s[2:3], s[0:1]
	s_xor_b64 s[0:1], exec, s[2:3]
; %bb.55:                               ;   in Loop: Header=BB130_49 Depth=1
	v_bfe_u32 v6, v7, 16, 1
	v_add3_u32 v28, v7, v6, s25
; %bb.56:                               ;   in Loop: Header=BB130_49 Depth=1
	s_andn2_saveexec_b64 s[2:3], s[0:1]
; %bb.57:                               ;   in Loop: Header=BB130_49 Depth=1
	v_or_b32_e32 v6, 0x10000, v7
	v_cmp_eq_u32_sdwa s[0:1], v7, v13 src0_sel:WORD_0 src1_sel:DWORD
	s_nop 1
	v_cndmask_b32_e64 v28, v6, v7, s[0:1]
; %bb.58:                               ;   in Loop: Header=BB130_49 Depth=1
	s_or_b64 exec, exec, s[2:3]
	v_and_b32_e32 v6, 0x7f800000, v8
	v_cmp_ne_u32_e64 s[0:1], s24, v6
                                        ; implicit-def: $vgpr29
	s_and_saveexec_b64 s[2:3], s[0:1]
	s_xor_b64 s[0:1], exec, s[2:3]
; %bb.59:                               ;   in Loop: Header=BB130_49 Depth=1
	v_bfe_u32 v6, v8, 16, 1
	v_add3_u32 v29, v8, v6, s25
; %bb.60:                               ;   in Loop: Header=BB130_49 Depth=1
	s_andn2_saveexec_b64 s[2:3], s[0:1]
; %bb.61:                               ;   in Loop: Header=BB130_49 Depth=1
	v_or_b32_e32 v6, 0x10000, v8
	v_cmp_eq_u32_sdwa s[0:1], v8, v13 src0_sel:WORD_0 src1_sel:DWORD
	s_nop 1
	v_cndmask_b32_e64 v29, v6, v8, s[0:1]
; %bb.62:                               ;   in Loop: Header=BB130_49 Depth=1
	s_or_b64 exec, exec, s[2:3]
	v_and_b32_e32 v6, 0x7f800000, v9
	v_cmp_ne_u32_e64 s[0:1], s24, v6
                                        ; implicit-def: $vgpr30
	s_and_saveexec_b64 s[2:3], s[0:1]
	s_xor_b64 s[0:1], exec, s[2:3]
; %bb.63:                               ;   in Loop: Header=BB130_49 Depth=1
	v_bfe_u32 v6, v9, 16, 1
	v_add3_u32 v30, v9, v6, s25
                                        ; implicit-def: $vgpr6_vgpr7_vgpr8_vgpr9
; %bb.64:                               ;   in Loop: Header=BB130_49 Depth=1
	s_andn2_saveexec_b64 s[2:3], s[0:1]
; %bb.65:                               ;   in Loop: Header=BB130_49 Depth=1
	v_or_b32_e32 v6, 0x10000, v9
	v_cmp_eq_u32_sdwa s[0:1], v9, v13 src0_sel:WORD_0 src1_sel:DWORD
	s_nop 1
	v_cndmask_b32_e64 v30, v6, v9, s[0:1]
; %bb.66:                               ;   in Loop: Header=BB130_49 Depth=1
	s_or_b64 exec, exec, s[2:3]
	s_waitcnt lgkmcnt(0)
	v_and_b32_e32 v6, 0x7f800000, v2
	v_cmp_ne_u32_e64 s[0:1], s24, v6
                                        ; implicit-def: $vgpr31
	s_and_saveexec_b64 s[2:3], s[0:1]
	s_xor_b64 s[0:1], exec, s[2:3]
; %bb.67:                               ;   in Loop: Header=BB130_49 Depth=1
	v_bfe_u32 v6, v2, 16, 1
	v_add3_u32 v31, v2, v6, s25
; %bb.68:                               ;   in Loop: Header=BB130_49 Depth=1
	s_andn2_saveexec_b64 s[2:3], s[0:1]
; %bb.69:                               ;   in Loop: Header=BB130_49 Depth=1
	v_or_b32_e32 v6, 0x10000, v2
	v_cmp_eq_u32_sdwa s[0:1], v2, v13 src0_sel:WORD_0 src1_sel:DWORD
	s_nop 1
	v_cndmask_b32_e64 v31, v6, v2, s[0:1]
; %bb.70:                               ;   in Loop: Header=BB130_49 Depth=1
	s_or_b64 exec, exec, s[2:3]
	v_and_b32_e32 v2, 0x7f800000, v3
	v_cmp_ne_u32_e64 s[0:1], s24, v2
                                        ; implicit-def: $vgpr32
	s_and_saveexec_b64 s[2:3], s[0:1]
	s_xor_b64 s[0:1], exec, s[2:3]
; %bb.71:                               ;   in Loop: Header=BB130_49 Depth=1
	v_bfe_u32 v2, v3, 16, 1
	v_add3_u32 v32, v3, v2, s25
; %bb.72:                               ;   in Loop: Header=BB130_49 Depth=1
	s_andn2_saveexec_b64 s[2:3], s[0:1]
; %bb.73:                               ;   in Loop: Header=BB130_49 Depth=1
	v_or_b32_e32 v2, 0x10000, v3
	v_cmp_eq_u32_sdwa s[0:1], v3, v13 src0_sel:WORD_0 src1_sel:DWORD
	s_nop 1
	v_cndmask_b32_e64 v32, v2, v3, s[0:1]
; %bb.74:                               ;   in Loop: Header=BB130_49 Depth=1
	s_or_b64 exec, exec, s[2:3]
	v_and_b32_e32 v2, 0x7f800000, v4
	v_cmp_ne_u32_e64 s[0:1], s24, v2
                                        ; implicit-def: $vgpr33
	s_and_saveexec_b64 s[2:3], s[0:1]
	s_xor_b64 s[0:1], exec, s[2:3]
; %bb.75:                               ;   in Loop: Header=BB130_49 Depth=1
	v_bfe_u32 v2, v4, 16, 1
	v_add3_u32 v33, v4, v2, s25
; %bb.76:                               ;   in Loop: Header=BB130_49 Depth=1
	s_andn2_saveexec_b64 s[2:3], s[0:1]
; %bb.77:                               ;   in Loop: Header=BB130_49 Depth=1
	v_or_b32_e32 v2, 0x10000, v4
	v_cmp_eq_u32_sdwa s[0:1], v4, v13 src0_sel:WORD_0 src1_sel:DWORD
	s_nop 1
	v_cndmask_b32_e64 v33, v2, v4, s[0:1]
; %bb.78:                               ;   in Loop: Header=BB130_49 Depth=1
	s_or_b64 exec, exec, s[2:3]
	v_and_b32_e32 v2, 0x7f800000, v5
	v_cmp_ne_u32_e64 s[0:1], s24, v2
                                        ; implicit-def: $vgpr19
	s_and_saveexec_b64 s[2:3], s[0:1]
	s_xor_b64 s[0:1], exec, s[2:3]
; %bb.79:                               ;   in Loop: Header=BB130_49 Depth=1
	v_bfe_u32 v2, v5, 16, 1
	v_add3_u32 v19, v5, v2, s25
                                        ; implicit-def: $vgpr2_vgpr3_vgpr4_vgpr5
; %bb.80:                               ;   in Loop: Header=BB130_49 Depth=1
	s_andn2_saveexec_b64 s[2:3], s[0:1]
; %bb.81:                               ;   in Loop: Header=BB130_49 Depth=1
	v_or_b32_e32 v2, 0x10000, v5
	v_cmp_eq_u32_sdwa s[0:1], v5, v13 src0_sel:WORD_0 src1_sel:DWORD
	s_nop 1
	v_cndmask_b32_e64 v19, v2, v5, s[0:1]
; %bb.82:                               ;   in Loop: Header=BB130_49 Depth=1
	s_or_b64 exec, exec, s[2:3]
	s_waitcnt vmcnt(0)
	v_mad_i64_i32 v[2:3], s[0:1], v34, s28, 0
	v_lshl_add_u64 v[6:7], v[2:3], 1, s[6:7]
	v_lshl_add_u64 v[8:9], v[6:7], 0, v[12:13]
	global_load_dwordx4 v[2:5], v[8:9], off
	v_add_u32_e32 v34, v24, v20
	v_cmp_eq_u32_e64 s[0:1], s29, v1
	s_waitcnt vmcnt(0)
	v_lshrrev_b32_e32 v38, 16, v2
	v_lshrrev_b32_e32 v40, 16, v3
	;; [unrolled: 1-line block ×4, first 2 shown]
	s_and_saveexec_b64 s[16:17], s[0:1]
	s_cbranch_execz .LBB130_84
; %bb.83:                               ;   in Loop: Header=BB130_49 Depth=1
	v_cmp_gt_i32_e64 s[2:3], s33, v34
	v_add_u32_e32 v36, 1, v34
	s_nop 0
	v_cndmask_b32_e64 v2, 0, v2, s[2:3]
	v_cmp_gt_i32_e64 s[2:3], s33, v36
	v_add_u32_e32 v36, 2, v34
	s_nop 0
	v_cndmask_b32_e64 v38, 0, v38, s[2:3]
	v_cmp_gt_i32_e64 s[2:3], s33, v36
	v_add_u32_e32 v36, 3, v34
	s_nop 0
	v_cndmask_b32_e64 v3, 0, v3, s[2:3]
	v_cmp_gt_i32_e64 s[2:3], s33, v36
	v_add_u32_e32 v36, 4, v34
	s_nop 0
	v_cndmask_b32_e64 v40, 0, v40, s[2:3]
	v_cmp_gt_i32_e64 s[2:3], s33, v36
	v_add_u32_e32 v36, 5, v34
	s_nop 0
	v_cndmask_b32_e64 v4, 0, v4, s[2:3]
	v_cmp_gt_i32_e64 s[2:3], s33, v36
	v_add_u32_e32 v36, 6, v34
	s_nop 0
	v_cndmask_b32_e64 v42, 0, v42, s[2:3]
	v_cmp_gt_i32_e64 s[2:3], s33, v36
	v_add_u32_e32 v36, 7, v34
	s_nop 0
	v_cndmask_b32_e64 v5, 0, v5, s[2:3]
	v_cmp_gt_i32_e64 s[2:3], s33, v36
	s_nop 1
	v_cndmask_b32_e64 v35, 0, v35, s[2:3]
.LBB130_84:                             ;   in Loop: Header=BB130_49 Depth=1
	s_or_b64 exec, exec, s[16:17]
	v_and_b32_e32 v36, 0xffff0000, v27
	v_lshlrev_b32_e32 v2, 16, v2
	v_mul_f32_e32 v2, v36, v2
	v_and_b32_e32 v27, 0x7f800000, v2
	v_cmp_ne_u32_e64 s[2:3], s24, v27
                                        ; implicit-def: $vgpr27
	s_and_saveexec_b64 s[16:17], s[2:3]
	s_xor_b64 s[2:3], exec, s[16:17]
; %bb.85:                               ;   in Loop: Header=BB130_49 Depth=1
	v_bfe_u32 v27, v2, 16, 1
	v_add3_u32 v27, v2, v27, s25
                                        ; implicit-def: $vgpr2
; %bb.86:                               ;   in Loop: Header=BB130_49 Depth=1
	s_andn2_saveexec_b64 s[16:17], s[2:3]
; %bb.87:                               ;   in Loop: Header=BB130_49 Depth=1
	v_or_b32_e32 v27, 0x10000, v2
	v_cmp_eq_u32_sdwa s[2:3], v2, v13 src0_sel:WORD_0 src1_sel:DWORD
	s_nop 1
	v_cndmask_b32_e64 v27, v27, v2, s[2:3]
; %bb.88:                               ;   in Loop: Header=BB130_49 Depth=1
	s_or_b64 exec, exec, s[16:17]
	v_and_b32_e32 v37, 0xffff0000, v28
	v_lshlrev_b32_e32 v2, 16, v38
	v_mul_f32_e32 v2, v37, v2
	v_and_b32_e32 v28, 0x7f800000, v2
	v_cmp_ne_u32_e64 s[2:3], s24, v28
                                        ; implicit-def: $vgpr28
	s_and_saveexec_b64 s[16:17], s[2:3]
	s_xor_b64 s[2:3], exec, s[16:17]
; %bb.89:                               ;   in Loop: Header=BB130_49 Depth=1
	v_bfe_u32 v28, v2, 16, 1
	v_add3_u32 v28, v2, v28, s25
                                        ; implicit-def: $vgpr2
; %bb.90:                               ;   in Loop: Header=BB130_49 Depth=1
	s_andn2_saveexec_b64 s[16:17], s[2:3]
; %bb.91:                               ;   in Loop: Header=BB130_49 Depth=1
	v_or_b32_e32 v28, 0x10000, v2
	v_cmp_eq_u32_sdwa s[2:3], v2, v13 src0_sel:WORD_0 src1_sel:DWORD
	s_nop 1
	v_cndmask_b32_e64 v28, v28, v2, s[2:3]
; %bb.92:                               ;   in Loop: Header=BB130_49 Depth=1
	s_or_b64 exec, exec, s[16:17]
	v_and_b32_e32 v38, 0xffff0000, v29
	v_lshlrev_b32_e32 v2, 16, v3
	v_mul_f32_e32 v2, v38, v2
	v_and_b32_e32 v3, 0x7f800000, v2
	v_cmp_ne_u32_e64 s[2:3], s24, v3
                                        ; implicit-def: $vgpr29
	s_and_saveexec_b64 s[16:17], s[2:3]
	s_xor_b64 s[2:3], exec, s[16:17]
; %bb.93:                               ;   in Loop: Header=BB130_49 Depth=1
	v_bfe_u32 v3, v2, 16, 1
	v_add3_u32 v29, v2, v3, s25
                                        ; implicit-def: $vgpr2
; %bb.94:                               ;   in Loop: Header=BB130_49 Depth=1
	s_andn2_saveexec_b64 s[16:17], s[2:3]
; %bb.95:                               ;   in Loop: Header=BB130_49 Depth=1
	v_or_b32_e32 v3, 0x10000, v2
	v_cmp_eq_u32_sdwa s[2:3], v2, v13 src0_sel:WORD_0 src1_sel:DWORD
	s_nop 1
	v_cndmask_b32_e64 v29, v3, v2, s[2:3]
; %bb.96:                               ;   in Loop: Header=BB130_49 Depth=1
	s_or_b64 exec, exec, s[16:17]
	v_and_b32_e32 v39, 0xffff0000, v30
	v_lshlrev_b32_e32 v2, 16, v40
	v_mul_f32_e32 v2, v39, v2
	v_and_b32_e32 v3, 0x7f800000, v2
	v_cmp_ne_u32_e64 s[2:3], s24, v3
                                        ; implicit-def: $vgpr30
	s_and_saveexec_b64 s[16:17], s[2:3]
	s_xor_b64 s[2:3], exec, s[16:17]
; %bb.97:                               ;   in Loop: Header=BB130_49 Depth=1
	v_bfe_u32 v3, v2, 16, 1
	v_add3_u32 v30, v2, v3, s25
                                        ; implicit-def: $vgpr2
; %bb.98:                               ;   in Loop: Header=BB130_49 Depth=1
	s_andn2_saveexec_b64 s[16:17], s[2:3]
; %bb.99:                               ;   in Loop: Header=BB130_49 Depth=1
	v_or_b32_e32 v3, 0x10000, v2
	v_cmp_eq_u32_sdwa s[2:3], v2, v13 src0_sel:WORD_0 src1_sel:DWORD
	s_nop 1
	v_cndmask_b32_e64 v30, v3, v2, s[2:3]
; %bb.100:                              ;   in Loop: Header=BB130_49 Depth=1
	s_or_b64 exec, exec, s[16:17]
	v_and_b32_e32 v40, 0xffff0000, v31
	v_lshlrev_b32_e32 v2, 16, v4
	v_mul_f32_e32 v2, v40, v2
	v_and_b32_e32 v3, 0x7f800000, v2
	v_cmp_ne_u32_e64 s[2:3], s24, v3
                                        ; implicit-def: $vgpr31
	s_and_saveexec_b64 s[16:17], s[2:3]
	s_xor_b64 s[2:3], exec, s[16:17]
; %bb.101:                              ;   in Loop: Header=BB130_49 Depth=1
	v_bfe_u32 v3, v2, 16, 1
	v_add3_u32 v31, v2, v3, s25
                                        ; implicit-def: $vgpr2
; %bb.102:                              ;   in Loop: Header=BB130_49 Depth=1
	s_andn2_saveexec_b64 s[16:17], s[2:3]
; %bb.103:                              ;   in Loop: Header=BB130_49 Depth=1
	v_or_b32_e32 v3, 0x10000, v2
	v_cmp_eq_u32_sdwa s[2:3], v2, v13 src0_sel:WORD_0 src1_sel:DWORD
	s_nop 1
	v_cndmask_b32_e64 v31, v3, v2, s[2:3]
; %bb.104:                              ;   in Loop: Header=BB130_49 Depth=1
	s_or_b64 exec, exec, s[16:17]
	v_and_b32_e32 v41, 0xffff0000, v32
	v_lshlrev_b32_e32 v2, 16, v42
	v_mul_f32_e32 v2, v41, v2
	v_and_b32_e32 v3, 0x7f800000, v2
	v_cmp_ne_u32_e64 s[2:3], s24, v3
                                        ; implicit-def: $vgpr32
	s_and_saveexec_b64 s[16:17], s[2:3]
	s_xor_b64 s[2:3], exec, s[16:17]
; %bb.105:                              ;   in Loop: Header=BB130_49 Depth=1
	v_bfe_u32 v3, v2, 16, 1
	v_add3_u32 v32, v2, v3, s25
                                        ; implicit-def: $vgpr2
; %bb.106:                              ;   in Loop: Header=BB130_49 Depth=1
	s_andn2_saveexec_b64 s[16:17], s[2:3]
; %bb.107:                              ;   in Loop: Header=BB130_49 Depth=1
	v_or_b32_e32 v3, 0x10000, v2
	v_cmp_eq_u32_sdwa s[2:3], v2, v13 src0_sel:WORD_0 src1_sel:DWORD
	s_nop 1
	v_cndmask_b32_e64 v32, v3, v2, s[2:3]
; %bb.108:                              ;   in Loop: Header=BB130_49 Depth=1
	s_or_b64 exec, exec, s[16:17]
	v_and_b32_e32 v42, 0xffff0000, v33
	v_lshlrev_b32_e32 v2, 16, v5
	v_mul_f32_e32 v2, v42, v2
	v_and_b32_e32 v3, 0x7f800000, v2
	v_cmp_ne_u32_e64 s[2:3], s24, v3
                                        ; implicit-def: $vgpr33
	s_and_saveexec_b64 s[16:17], s[2:3]
	s_xor_b64 s[2:3], exec, s[16:17]
; %bb.109:                              ;   in Loop: Header=BB130_49 Depth=1
	v_bfe_u32 v3, v2, 16, 1
	v_add3_u32 v33, v2, v3, s25
                                        ; implicit-def: $vgpr2
; %bb.110:                              ;   in Loop: Header=BB130_49 Depth=1
	s_andn2_saveexec_b64 s[16:17], s[2:3]
; %bb.111:                              ;   in Loop: Header=BB130_49 Depth=1
	v_or_b32_e32 v3, 0x10000, v2
	v_cmp_eq_u32_sdwa s[2:3], v2, v13 src0_sel:WORD_0 src1_sel:DWORD
	s_nop 1
	v_cndmask_b32_e64 v33, v3, v2, s[2:3]
; %bb.112:                              ;   in Loop: Header=BB130_49 Depth=1
	s_or_b64 exec, exec, s[16:17]
	v_and_b32_e32 v43, 0xffff0000, v19
	v_lshlrev_b32_e32 v2, 16, v35
	v_mul_f32_e32 v2, v43, v2
	v_and_b32_e32 v3, 0x7f800000, v2
	v_cmp_ne_u32_e64 s[2:3], s24, v3
                                        ; implicit-def: $vgpr35
	s_and_saveexec_b64 s[16:17], s[2:3]
	s_xor_b64 s[2:3], exec, s[16:17]
; %bb.113:                              ;   in Loop: Header=BB130_49 Depth=1
	v_bfe_u32 v3, v2, 16, 1
	v_add3_u32 v35, v2, v3, s25
                                        ; implicit-def: $vgpr2
; %bb.114:                              ;   in Loop: Header=BB130_49 Depth=1
	s_andn2_saveexec_b64 s[16:17], s[2:3]
; %bb.115:                              ;   in Loop: Header=BB130_49 Depth=1
	v_or_b32_e32 v3, 0x10000, v2
	v_cmp_eq_u32_sdwa s[2:3], v2, v13 src0_sel:WORD_0 src1_sel:DWORD
	s_nop 1
	v_cndmask_b32_e64 v35, v3, v2, s[2:3]
; %bb.116:                              ;   in Loop: Header=BB130_49 Depth=1
	s_or_b64 exec, exec, s[16:17]
	global_load_dwordx4 v[2:5], v[8:9], off offset:1024
	s_waitcnt vmcnt(0)
	v_lshrrev_b32_e32 v45, 16, v2
	v_lshrrev_b32_e32 v47, 16, v3
	;; [unrolled: 1-line block ×4, first 2 shown]
	s_and_saveexec_b64 s[16:17], s[0:1]
	s_cbranch_execz .LBB130_118
; %bb.117:                              ;   in Loop: Header=BB130_49 Depth=1
	v_cmp_gt_i32_e64 s[2:3], s33, v34
	v_add_u32_e32 v44, 1, v34
	s_nop 0
	v_cndmask_b32_e64 v2, 0, v2, s[2:3]
	v_cmp_gt_i32_e64 s[2:3], s33, v44
	v_add_u32_e32 v44, 2, v34
	s_nop 0
	v_cndmask_b32_e64 v45, 0, v45, s[2:3]
	v_cmp_gt_i32_e64 s[2:3], s33, v44
	v_add_u32_e32 v44, 3, v34
	s_nop 0
	v_cndmask_b32_e64 v3, 0, v3, s[2:3]
	v_cmp_gt_i32_e64 s[2:3], s33, v44
	v_add_u32_e32 v44, 4, v34
	s_nop 0
	v_cndmask_b32_e64 v47, 0, v47, s[2:3]
	v_cmp_gt_i32_e64 s[2:3], s33, v44
	v_add_u32_e32 v44, 5, v34
	s_nop 0
	v_cndmask_b32_e64 v4, 0, v4, s[2:3]
	v_cmp_gt_i32_e64 s[2:3], s33, v44
	v_add_u32_e32 v44, 6, v34
	s_nop 0
	v_cndmask_b32_e64 v49, 0, v49, s[2:3]
	v_cmp_gt_i32_e64 s[2:3], s33, v44
	v_add_u32_e32 v44, 7, v34
	s_nop 0
	v_cndmask_b32_e64 v5, 0, v5, s[2:3]
	v_cmp_gt_i32_e64 s[2:3], s33, v44
	s_nop 1
	v_cndmask_b32_e64 v19, 0, v19, s[2:3]
.LBB130_118:                            ;   in Loop: Header=BB130_49 Depth=1
	s_or_b64 exec, exec, s[16:17]
	v_lshlrev_b32_e32 v2, 16, v2
	v_mul_f32_e32 v2, v36, v2
	v_and_b32_e32 v44, 0x7f800000, v2
	v_cmp_ne_u32_e64 s[2:3], s24, v44
                                        ; implicit-def: $vgpr44
	s_and_saveexec_b64 s[16:17], s[2:3]
	s_xor_b64 s[2:3], exec, s[16:17]
; %bb.119:                              ;   in Loop: Header=BB130_49 Depth=1
	v_bfe_u32 v44, v2, 16, 1
	v_add3_u32 v44, v2, v44, s25
                                        ; implicit-def: $vgpr2
; %bb.120:                              ;   in Loop: Header=BB130_49 Depth=1
	s_andn2_saveexec_b64 s[16:17], s[2:3]
; %bb.121:                              ;   in Loop: Header=BB130_49 Depth=1
	v_or_b32_e32 v44, 0x10000, v2
	v_cmp_eq_u32_sdwa s[2:3], v2, v13 src0_sel:WORD_0 src1_sel:DWORD
	s_nop 1
	v_cndmask_b32_e64 v44, v44, v2, s[2:3]
; %bb.122:                              ;   in Loop: Header=BB130_49 Depth=1
	s_or_b64 exec, exec, s[16:17]
	v_lshlrev_b32_e32 v2, 16, v45
	v_mul_f32_e32 v2, v37, v2
	v_and_b32_e32 v45, 0x7f800000, v2
	v_cmp_ne_u32_e64 s[2:3], s24, v45
                                        ; implicit-def: $vgpr45
	s_and_saveexec_b64 s[16:17], s[2:3]
	s_xor_b64 s[2:3], exec, s[16:17]
; %bb.123:                              ;   in Loop: Header=BB130_49 Depth=1
	v_bfe_u32 v45, v2, 16, 1
	v_add3_u32 v45, v2, v45, s25
                                        ; implicit-def: $vgpr2
; %bb.124:                              ;   in Loop: Header=BB130_49 Depth=1
	s_andn2_saveexec_b64 s[16:17], s[2:3]
; %bb.125:                              ;   in Loop: Header=BB130_49 Depth=1
	v_or_b32_e32 v45, 0x10000, v2
	v_cmp_eq_u32_sdwa s[2:3], v2, v13 src0_sel:WORD_0 src1_sel:DWORD
	s_nop 1
	v_cndmask_b32_e64 v45, v45, v2, s[2:3]
; %bb.126:                              ;   in Loop: Header=BB130_49 Depth=1
	s_or_b64 exec, exec, s[16:17]
	v_lshlrev_b32_e32 v2, 16, v3
	v_mul_f32_e32 v2, v38, v2
	v_and_b32_e32 v3, 0x7f800000, v2
	v_cmp_ne_u32_e64 s[2:3], s24, v3
                                        ; implicit-def: $vgpr46
	s_and_saveexec_b64 s[16:17], s[2:3]
	s_xor_b64 s[2:3], exec, s[16:17]
; %bb.127:                              ;   in Loop: Header=BB130_49 Depth=1
	v_bfe_u32 v3, v2, 16, 1
	v_add3_u32 v46, v2, v3, s25
                                        ; implicit-def: $vgpr2
; %bb.128:                              ;   in Loop: Header=BB130_49 Depth=1
	s_andn2_saveexec_b64 s[16:17], s[2:3]
; %bb.129:                              ;   in Loop: Header=BB130_49 Depth=1
	v_or_b32_e32 v3, 0x10000, v2
	v_cmp_eq_u32_sdwa s[2:3], v2, v13 src0_sel:WORD_0 src1_sel:DWORD
	s_nop 1
	v_cndmask_b32_e64 v46, v3, v2, s[2:3]
; %bb.130:                              ;   in Loop: Header=BB130_49 Depth=1
	s_or_b64 exec, exec, s[16:17]
	v_lshlrev_b32_e32 v2, 16, v47
	v_mul_f32_e32 v2, v39, v2
	v_and_b32_e32 v3, 0x7f800000, v2
	v_cmp_ne_u32_e64 s[2:3], s24, v3
                                        ; implicit-def: $vgpr47
	s_and_saveexec_b64 s[16:17], s[2:3]
	s_xor_b64 s[2:3], exec, s[16:17]
; %bb.131:                              ;   in Loop: Header=BB130_49 Depth=1
	v_bfe_u32 v3, v2, 16, 1
	v_add3_u32 v47, v2, v3, s25
                                        ; implicit-def: $vgpr2
; %bb.132:                              ;   in Loop: Header=BB130_49 Depth=1
	s_andn2_saveexec_b64 s[16:17], s[2:3]
; %bb.133:                              ;   in Loop: Header=BB130_49 Depth=1
	v_or_b32_e32 v3, 0x10000, v2
	v_cmp_eq_u32_sdwa s[2:3], v2, v13 src0_sel:WORD_0 src1_sel:DWORD
	s_nop 1
	v_cndmask_b32_e64 v47, v3, v2, s[2:3]
; %bb.134:                              ;   in Loop: Header=BB130_49 Depth=1
	s_or_b64 exec, exec, s[16:17]
	v_lshlrev_b32_e32 v2, 16, v4
	v_mul_f32_e32 v2, v40, v2
	v_and_b32_e32 v3, 0x7f800000, v2
	v_cmp_ne_u32_e64 s[2:3], s24, v3
                                        ; implicit-def: $vgpr48
	s_and_saveexec_b64 s[16:17], s[2:3]
	s_xor_b64 s[2:3], exec, s[16:17]
; %bb.135:                              ;   in Loop: Header=BB130_49 Depth=1
	v_bfe_u32 v3, v2, 16, 1
	v_add3_u32 v48, v2, v3, s25
                                        ; implicit-def: $vgpr2
; %bb.136:                              ;   in Loop: Header=BB130_49 Depth=1
	s_andn2_saveexec_b64 s[16:17], s[2:3]
; %bb.137:                              ;   in Loop: Header=BB130_49 Depth=1
	v_or_b32_e32 v3, 0x10000, v2
	v_cmp_eq_u32_sdwa s[2:3], v2, v13 src0_sel:WORD_0 src1_sel:DWORD
	s_nop 1
	v_cndmask_b32_e64 v48, v3, v2, s[2:3]
; %bb.138:                              ;   in Loop: Header=BB130_49 Depth=1
	s_or_b64 exec, exec, s[16:17]
	v_lshlrev_b32_e32 v2, 16, v49
	v_mul_f32_e32 v2, v41, v2
	v_and_b32_e32 v3, 0x7f800000, v2
	v_cmp_ne_u32_e64 s[2:3], s24, v3
                                        ; implicit-def: $vgpr49
	s_and_saveexec_b64 s[16:17], s[2:3]
	s_xor_b64 s[2:3], exec, s[16:17]
; %bb.139:                              ;   in Loop: Header=BB130_49 Depth=1
	v_bfe_u32 v3, v2, 16, 1
	v_add3_u32 v49, v2, v3, s25
                                        ; implicit-def: $vgpr2
; %bb.140:                              ;   in Loop: Header=BB130_49 Depth=1
	s_andn2_saveexec_b64 s[16:17], s[2:3]
; %bb.141:                              ;   in Loop: Header=BB130_49 Depth=1
	v_or_b32_e32 v3, 0x10000, v2
	v_cmp_eq_u32_sdwa s[2:3], v2, v13 src0_sel:WORD_0 src1_sel:DWORD
	s_nop 1
	v_cndmask_b32_e64 v49, v3, v2, s[2:3]
; %bb.142:                              ;   in Loop: Header=BB130_49 Depth=1
	s_or_b64 exec, exec, s[16:17]
	v_lshlrev_b32_e32 v2, 16, v5
	v_mul_f32_e32 v2, v42, v2
	v_and_b32_e32 v3, 0x7f800000, v2
	v_cmp_ne_u32_e64 s[2:3], s24, v3
                                        ; implicit-def: $vgpr50
	s_and_saveexec_b64 s[16:17], s[2:3]
	s_xor_b64 s[2:3], exec, s[16:17]
; %bb.143:                              ;   in Loop: Header=BB130_49 Depth=1
	v_bfe_u32 v3, v2, 16, 1
	v_add3_u32 v50, v2, v3, s25
                                        ; implicit-def: $vgpr2
; %bb.144:                              ;   in Loop: Header=BB130_49 Depth=1
	s_andn2_saveexec_b64 s[16:17], s[2:3]
; %bb.145:                              ;   in Loop: Header=BB130_49 Depth=1
	v_or_b32_e32 v3, 0x10000, v2
	v_cmp_eq_u32_sdwa s[2:3], v2, v13 src0_sel:WORD_0 src1_sel:DWORD
	s_nop 1
	v_cndmask_b32_e64 v50, v3, v2, s[2:3]
; %bb.146:                              ;   in Loop: Header=BB130_49 Depth=1
	s_or_b64 exec, exec, s[16:17]
	v_lshlrev_b32_e32 v2, 16, v19
	v_mul_f32_e32 v2, v43, v2
	v_and_b32_e32 v3, 0x7f800000, v2
	v_cmp_ne_u32_e64 s[2:3], s24, v3
                                        ; implicit-def: $vgpr51
	s_and_saveexec_b64 s[16:17], s[2:3]
	s_xor_b64 s[2:3], exec, s[16:17]
; %bb.147:                              ;   in Loop: Header=BB130_49 Depth=1
	v_bfe_u32 v3, v2, 16, 1
	v_add3_u32 v51, v2, v3, s25
                                        ; implicit-def: $vgpr2
; %bb.148:                              ;   in Loop: Header=BB130_49 Depth=1
	s_andn2_saveexec_b64 s[16:17], s[2:3]
; %bb.149:                              ;   in Loop: Header=BB130_49 Depth=1
	v_or_b32_e32 v3, 0x10000, v2
	v_cmp_eq_u32_sdwa s[2:3], v2, v13 src0_sel:WORD_0 src1_sel:DWORD
	s_nop 1
	v_cndmask_b32_e64 v51, v3, v2, s[2:3]
; %bb.150:                              ;   in Loop: Header=BB130_49 Depth=1
	s_or_b64 exec, exec, s[16:17]
	global_load_dwordx4 v[2:5], v[8:9], off offset:2048
	s_waitcnt vmcnt(0)
	v_lshrrev_b32_e32 v9, 16, v2
	v_lshrrev_b32_e32 v53, 16, v3
	v_lshrrev_b32_e32 v55, 16, v4
	v_lshrrev_b32_e32 v19, 16, v5
	s_and_saveexec_b64 s[16:17], s[0:1]
	s_cbranch_execz .LBB130_152
; %bb.151:                              ;   in Loop: Header=BB130_49 Depth=1
	v_cmp_gt_i32_e64 s[2:3], s33, v34
	v_add_u32_e32 v8, 1, v34
	s_nop 0
	v_cndmask_b32_e64 v2, 0, v2, s[2:3]
	v_cmp_gt_i32_e64 s[2:3], s33, v8
	v_add_u32_e32 v8, 2, v34
	s_nop 0
	v_cndmask_b32_e64 v9, 0, v9, s[2:3]
	;; [unrolled: 4-line block ×7, first 2 shown]
	v_cmp_gt_i32_e64 s[2:3], s33, v8
	s_nop 1
	v_cndmask_b32_e64 v19, 0, v19, s[2:3]
.LBB130_152:                            ;   in Loop: Header=BB130_49 Depth=1
	s_or_b64 exec, exec, s[16:17]
	v_lshlrev_b32_e32 v2, 16, v2
	v_mul_f32_e32 v2, v36, v2
	v_and_b32_e32 v8, 0x7f800000, v2
	v_cmp_ne_u32_e64 s[2:3], s24, v8
                                        ; implicit-def: $vgpr8
	s_and_saveexec_b64 s[16:17], s[2:3]
	s_xor_b64 s[2:3], exec, s[16:17]
; %bb.153:                              ;   in Loop: Header=BB130_49 Depth=1
	v_bfe_u32 v8, v2, 16, 1
	v_add3_u32 v8, v2, v8, s25
                                        ; implicit-def: $vgpr2
; %bb.154:                              ;   in Loop: Header=BB130_49 Depth=1
	s_andn2_saveexec_b64 s[16:17], s[2:3]
; %bb.155:                              ;   in Loop: Header=BB130_49 Depth=1
	v_or_b32_e32 v8, 0x10000, v2
	v_cmp_eq_u32_sdwa s[2:3], v2, v13 src0_sel:WORD_0 src1_sel:DWORD
	s_nop 1
	v_cndmask_b32_e64 v8, v8, v2, s[2:3]
; %bb.156:                              ;   in Loop: Header=BB130_49 Depth=1
	s_or_b64 exec, exec, s[16:17]
	v_lshlrev_b32_e32 v2, 16, v9
	v_mul_f32_e32 v2, v37, v2
	v_and_b32_e32 v9, 0x7f800000, v2
	v_cmp_ne_u32_e64 s[2:3], s24, v9
                                        ; implicit-def: $vgpr9
	s_and_saveexec_b64 s[16:17], s[2:3]
	s_xor_b64 s[2:3], exec, s[16:17]
; %bb.157:                              ;   in Loop: Header=BB130_49 Depth=1
	v_bfe_u32 v9, v2, 16, 1
	v_add3_u32 v9, v2, v9, s25
                                        ; implicit-def: $vgpr2
; %bb.158:                              ;   in Loop: Header=BB130_49 Depth=1
	s_andn2_saveexec_b64 s[16:17], s[2:3]
; %bb.159:                              ;   in Loop: Header=BB130_49 Depth=1
	v_or_b32_e32 v9, 0x10000, v2
	v_cmp_eq_u32_sdwa s[2:3], v2, v13 src0_sel:WORD_0 src1_sel:DWORD
	s_nop 1
	v_cndmask_b32_e64 v9, v9, v2, s[2:3]
; %bb.160:                              ;   in Loop: Header=BB130_49 Depth=1
	s_or_b64 exec, exec, s[16:17]
	v_lshlrev_b32_e32 v2, 16, v3
	v_mul_f32_e32 v2, v38, v2
	v_and_b32_e32 v3, 0x7f800000, v2
	v_cmp_ne_u32_e64 s[2:3], s24, v3
                                        ; implicit-def: $vgpr52
	s_and_saveexec_b64 s[16:17], s[2:3]
	s_xor_b64 s[2:3], exec, s[16:17]
; %bb.161:                              ;   in Loop: Header=BB130_49 Depth=1
	v_bfe_u32 v3, v2, 16, 1
	v_add3_u32 v52, v2, v3, s25
                                        ; implicit-def: $vgpr2
; %bb.162:                              ;   in Loop: Header=BB130_49 Depth=1
	s_andn2_saveexec_b64 s[16:17], s[2:3]
; %bb.163:                              ;   in Loop: Header=BB130_49 Depth=1
	v_or_b32_e32 v3, 0x10000, v2
	v_cmp_eq_u32_sdwa s[2:3], v2, v13 src0_sel:WORD_0 src1_sel:DWORD
	s_nop 1
	v_cndmask_b32_e64 v52, v3, v2, s[2:3]
; %bb.164:                              ;   in Loop: Header=BB130_49 Depth=1
	s_or_b64 exec, exec, s[16:17]
	v_lshlrev_b32_e32 v2, 16, v53
	v_mul_f32_e32 v2, v39, v2
	v_and_b32_e32 v3, 0x7f800000, v2
	v_cmp_ne_u32_e64 s[2:3], s24, v3
                                        ; implicit-def: $vgpr53
	s_and_saveexec_b64 s[16:17], s[2:3]
	s_xor_b64 s[2:3], exec, s[16:17]
; %bb.165:                              ;   in Loop: Header=BB130_49 Depth=1
	v_bfe_u32 v3, v2, 16, 1
	v_add3_u32 v53, v2, v3, s25
                                        ; implicit-def: $vgpr2
; %bb.166:                              ;   in Loop: Header=BB130_49 Depth=1
	s_andn2_saveexec_b64 s[16:17], s[2:3]
; %bb.167:                              ;   in Loop: Header=BB130_49 Depth=1
	v_or_b32_e32 v3, 0x10000, v2
	v_cmp_eq_u32_sdwa s[2:3], v2, v13 src0_sel:WORD_0 src1_sel:DWORD
	s_nop 1
	v_cndmask_b32_e64 v53, v3, v2, s[2:3]
; %bb.168:                              ;   in Loop: Header=BB130_49 Depth=1
	s_or_b64 exec, exec, s[16:17]
	v_lshlrev_b32_e32 v2, 16, v4
	v_mul_f32_e32 v2, v40, v2
	v_and_b32_e32 v3, 0x7f800000, v2
	v_cmp_ne_u32_e64 s[2:3], s24, v3
                                        ; implicit-def: $vgpr54
	s_and_saveexec_b64 s[16:17], s[2:3]
	s_xor_b64 s[2:3], exec, s[16:17]
; %bb.169:                              ;   in Loop: Header=BB130_49 Depth=1
	v_bfe_u32 v3, v2, 16, 1
	v_add3_u32 v54, v2, v3, s25
                                        ; implicit-def: $vgpr2
; %bb.170:                              ;   in Loop: Header=BB130_49 Depth=1
	s_andn2_saveexec_b64 s[16:17], s[2:3]
; %bb.171:                              ;   in Loop: Header=BB130_49 Depth=1
	v_or_b32_e32 v3, 0x10000, v2
	v_cmp_eq_u32_sdwa s[2:3], v2, v13 src0_sel:WORD_0 src1_sel:DWORD
	s_nop 1
	v_cndmask_b32_e64 v54, v3, v2, s[2:3]
; %bb.172:                              ;   in Loop: Header=BB130_49 Depth=1
	s_or_b64 exec, exec, s[16:17]
	v_lshlrev_b32_e32 v2, 16, v55
	v_mul_f32_e32 v2, v41, v2
	v_and_b32_e32 v3, 0x7f800000, v2
	v_cmp_ne_u32_e64 s[2:3], s24, v3
                                        ; implicit-def: $vgpr55
	s_and_saveexec_b64 s[16:17], s[2:3]
	s_xor_b64 s[2:3], exec, s[16:17]
; %bb.173:                              ;   in Loop: Header=BB130_49 Depth=1
	v_bfe_u32 v3, v2, 16, 1
	v_add3_u32 v55, v2, v3, s25
                                        ; implicit-def: $vgpr2
; %bb.174:                              ;   in Loop: Header=BB130_49 Depth=1
	s_andn2_saveexec_b64 s[16:17], s[2:3]
; %bb.175:                              ;   in Loop: Header=BB130_49 Depth=1
	v_or_b32_e32 v3, 0x10000, v2
	v_cmp_eq_u32_sdwa s[2:3], v2, v13 src0_sel:WORD_0 src1_sel:DWORD
	s_nop 1
	v_cndmask_b32_e64 v55, v3, v2, s[2:3]
; %bb.176:                              ;   in Loop: Header=BB130_49 Depth=1
	s_or_b64 exec, exec, s[16:17]
	v_lshlrev_b32_e32 v2, 16, v5
	v_mul_f32_e32 v2, v42, v2
	v_and_b32_e32 v3, 0x7f800000, v2
	v_cmp_ne_u32_e64 s[2:3], s24, v3
                                        ; implicit-def: $vgpr56
	s_and_saveexec_b64 s[16:17], s[2:3]
	s_xor_b64 s[2:3], exec, s[16:17]
; %bb.177:                              ;   in Loop: Header=BB130_49 Depth=1
	v_bfe_u32 v3, v2, 16, 1
	v_add3_u32 v56, v2, v3, s25
                                        ; implicit-def: $vgpr2
; %bb.178:                              ;   in Loop: Header=BB130_49 Depth=1
	s_andn2_saveexec_b64 s[16:17], s[2:3]
; %bb.179:                              ;   in Loop: Header=BB130_49 Depth=1
	v_or_b32_e32 v3, 0x10000, v2
	v_cmp_eq_u32_sdwa s[2:3], v2, v13 src0_sel:WORD_0 src1_sel:DWORD
	s_nop 1
	v_cndmask_b32_e64 v56, v3, v2, s[2:3]
; %bb.180:                              ;   in Loop: Header=BB130_49 Depth=1
	s_or_b64 exec, exec, s[16:17]
	v_lshlrev_b32_e32 v2, 16, v19
	v_mul_f32_e32 v2, v43, v2
	v_and_b32_e32 v3, 0x7f800000, v2
	v_cmp_ne_u32_e64 s[2:3], s24, v3
                                        ; implicit-def: $vgpr57
	s_and_saveexec_b64 s[16:17], s[2:3]
	s_xor_b64 s[2:3], exec, s[16:17]
	s_cbranch_execnz .LBB130_183
; %bb.181:                              ;   in Loop: Header=BB130_49 Depth=1
	s_andn2_saveexec_b64 s[16:17], s[2:3]
	s_cbranch_execnz .LBB130_184
.LBB130_182:                            ;   in Loop: Header=BB130_49 Depth=1
	s_or_b64 exec, exec, s[16:17]
	s_and_saveexec_b64 s[2:3], vcc
	s_cbranch_execz .LBB130_47
	s_branch .LBB130_185
.LBB130_183:                            ;   in Loop: Header=BB130_49 Depth=1
	v_bfe_u32 v3, v2, 16, 1
	v_add3_u32 v57, v2, v3, s25
                                        ; implicit-def: $vgpr2
	s_andn2_saveexec_b64 s[16:17], s[2:3]
	s_cbranch_execz .LBB130_182
.LBB130_184:                            ;   in Loop: Header=BB130_49 Depth=1
	v_or_b32_e32 v3, 0x10000, v2
	v_cmp_eq_u32_sdwa s[2:3], v2, v13 src0_sel:WORD_0 src1_sel:DWORD
	s_nop 1
	v_cndmask_b32_e64 v57, v3, v2, s[2:3]
	s_or_b64 exec, exec, s[16:17]
	s_and_saveexec_b64 s[2:3], vcc
	s_cbranch_execz .LBB130_47
.LBB130_185:                            ;   in Loop: Header=BB130_49 Depth=1
	v_mov_b32_e32 v19, v13
	v_lshl_add_u64 v[2:3], v[6:7], 0, v[18:19]
	global_load_dwordx4 v[2:5], v[2:3], off
	s_waitcnt vmcnt(0)
	v_lshrrev_b32_e32 v7, 16, v2
	v_lshrrev_b32_e32 v58, 16, v3
	;; [unrolled: 1-line block ×4, first 2 shown]
	s_and_saveexec_b64 s[16:17], s[0:1]
	s_cbranch_execz .LBB130_187
; %bb.186:                              ;   in Loop: Header=BB130_49 Depth=1
	v_cmp_gt_i32_e64 s[0:1], s33, v34
	v_add_u32_e32 v59, 1, v34
	s_nop 0
	v_cndmask_b32_e64 v2, 0, v2, s[0:1]
	v_cmp_gt_i32_e64 s[0:1], s33, v59
	v_add_u32_e32 v59, 2, v34
	s_nop 0
	v_cndmask_b32_e64 v7, 0, v7, s[0:1]
	;; [unrolled: 4-line block ×5, first 2 shown]
	v_cmp_gt_i32_e64 s[0:1], s33, v59
	v_add_u32_e32 v59, 6, v34
	v_add_u32_e32 v34, 7, v34
	v_cndmask_b32_e64 v19, 0, v19, s[0:1]
	v_cmp_gt_i32_e64 s[0:1], s33, v59
	s_nop 1
	v_cndmask_b32_e64 v5, 0, v5, s[0:1]
	v_cmp_gt_i32_e64 s[0:1], s33, v34
	s_nop 1
	v_cndmask_b32_e64 v6, 0, v6, s[0:1]
.LBB130_187:                            ;   in Loop: Header=BB130_49 Depth=1
	s_or_b64 exec, exec, s[16:17]
	v_lshlrev_b32_e32 v2, 16, v2
	v_mul_f32_e32 v34, v36, v2
	v_and_b32_e32 v2, 0x7f800000, v34
	v_cmp_ne_u32_e64 s[0:1], s24, v2
                                        ; implicit-def: $vgpr2
	s_and_saveexec_b64 s[16:17], s[0:1]
	s_xor_b64 s[0:1], exec, s[16:17]
; %bb.188:                              ;   in Loop: Header=BB130_49 Depth=1
	v_bfe_u32 v2, v34, 16, 1
	v_add3_u32 v2, v34, v2, s25
                                        ; implicit-def: $vgpr34
; %bb.189:                              ;   in Loop: Header=BB130_49 Depth=1
	s_andn2_saveexec_b64 s[16:17], s[0:1]
; %bb.190:                              ;   in Loop: Header=BB130_49 Depth=1
	v_or_b32_e32 v2, 0x10000, v34
	v_cmp_eq_u32_sdwa s[0:1], v34, v13 src0_sel:WORD_0 src1_sel:DWORD
	s_nop 1
	v_cndmask_b32_e64 v2, v2, v34, s[0:1]
; %bb.191:                              ;   in Loop: Header=BB130_49 Depth=1
	s_or_b64 exec, exec, s[16:17]
	v_lshlrev_b32_e32 v7, 16, v7
	v_mul_f32_e32 v34, v37, v7
	v_and_b32_e32 v7, 0x7f800000, v34
	v_cmp_ne_u32_e64 s[0:1], s24, v7
                                        ; implicit-def: $vgpr7
	s_and_saveexec_b64 s[16:17], s[0:1]
	s_xor_b64 s[0:1], exec, s[16:17]
; %bb.192:                              ;   in Loop: Header=BB130_49 Depth=1
	v_bfe_u32 v7, v34, 16, 1
	v_add3_u32 v7, v34, v7, s25
                                        ; implicit-def: $vgpr34
; %bb.193:                              ;   in Loop: Header=BB130_49 Depth=1
	s_andn2_saveexec_b64 s[16:17], s[0:1]
; %bb.194:                              ;   in Loop: Header=BB130_49 Depth=1
	v_or_b32_e32 v7, 0x10000, v34
	v_cmp_eq_u32_sdwa s[0:1], v34, v13 src0_sel:WORD_0 src1_sel:DWORD
	s_nop 1
	v_cndmask_b32_e64 v7, v7, v34, s[0:1]
; %bb.195:                              ;   in Loop: Header=BB130_49 Depth=1
	s_or_b64 exec, exec, s[16:17]
	v_lshlrev_b32_e32 v3, 16, v3
	v_mul_f32_e32 v34, v38, v3
	v_and_b32_e32 v3, 0x7f800000, v34
	v_cmp_ne_u32_e64 s[0:1], s24, v3
                                        ; implicit-def: $vgpr3
	s_and_saveexec_b64 s[16:17], s[0:1]
	s_xor_b64 s[0:1], exec, s[16:17]
; %bb.196:                              ;   in Loop: Header=BB130_49 Depth=1
	v_bfe_u32 v3, v34, 16, 1
	v_add3_u32 v3, v34, v3, s25
                                        ; implicit-def: $vgpr34
; %bb.197:                              ;   in Loop: Header=BB130_49 Depth=1
	s_andn2_saveexec_b64 s[16:17], s[0:1]
; %bb.198:                              ;   in Loop: Header=BB130_49 Depth=1
	v_or_b32_e32 v3, 0x10000, v34
	v_cmp_eq_u32_sdwa s[0:1], v34, v13 src0_sel:WORD_0 src1_sel:DWORD
	s_nop 1
	v_cndmask_b32_e64 v3, v3, v34, s[0:1]
; %bb.199:                              ;   in Loop: Header=BB130_49 Depth=1
	s_or_b64 exec, exec, s[16:17]
	v_lshlrev_b32_e32 v34, 16, v58
	v_mul_f32_e32 v36, v39, v34
	v_and_b32_e32 v34, 0x7f800000, v36
	v_cmp_ne_u32_e64 s[0:1], s24, v34
                                        ; implicit-def: $vgpr34
	s_and_saveexec_b64 s[16:17], s[0:1]
	s_xor_b64 s[0:1], exec, s[16:17]
; %bb.200:                              ;   in Loop: Header=BB130_49 Depth=1
	v_bfe_u32 v34, v36, 16, 1
	v_add3_u32 v34, v36, v34, s25
                                        ; implicit-def: $vgpr36
; %bb.201:                              ;   in Loop: Header=BB130_49 Depth=1
	s_andn2_saveexec_b64 s[16:17], s[0:1]
; %bb.202:                              ;   in Loop: Header=BB130_49 Depth=1
	v_or_b32_e32 v34, 0x10000, v36
	v_cmp_eq_u32_sdwa s[0:1], v36, v13 src0_sel:WORD_0 src1_sel:DWORD
	s_nop 1
	v_cndmask_b32_e64 v34, v34, v36, s[0:1]
; %bb.203:                              ;   in Loop: Header=BB130_49 Depth=1
	s_or_b64 exec, exec, s[16:17]
	v_lshlrev_b32_e32 v4, 16, v4
	v_mul_f32_e32 v36, v40, v4
	v_and_b32_e32 v4, 0x7f800000, v36
	v_cmp_ne_u32_e64 s[0:1], s24, v4
                                        ; implicit-def: $vgpr4
	s_and_saveexec_b64 s[16:17], s[0:1]
	s_xor_b64 s[0:1], exec, s[16:17]
; %bb.204:                              ;   in Loop: Header=BB130_49 Depth=1
	v_bfe_u32 v4, v36, 16, 1
	v_add3_u32 v4, v36, v4, s25
                                        ; implicit-def: $vgpr36
; %bb.205:                              ;   in Loop: Header=BB130_49 Depth=1
	s_andn2_saveexec_b64 s[16:17], s[0:1]
; %bb.206:                              ;   in Loop: Header=BB130_49 Depth=1
	v_or_b32_e32 v4, 0x10000, v36
	v_cmp_eq_u32_sdwa s[0:1], v36, v13 src0_sel:WORD_0 src1_sel:DWORD
	s_nop 1
	v_cndmask_b32_e64 v4, v4, v36, s[0:1]
; %bb.207:                              ;   in Loop: Header=BB130_49 Depth=1
	s_or_b64 exec, exec, s[16:17]
	v_lshlrev_b32_e32 v19, 16, v19
	v_mul_f32_e32 v36, v41, v19
	v_and_b32_e32 v19, 0x7f800000, v36
	v_cmp_ne_u32_e64 s[0:1], s24, v19
                                        ; implicit-def: $vgpr19
	s_and_saveexec_b64 s[16:17], s[0:1]
	s_xor_b64 s[0:1], exec, s[16:17]
; %bb.208:                              ;   in Loop: Header=BB130_49 Depth=1
	v_bfe_u32 v19, v36, 16, 1
	v_add3_u32 v19, v36, v19, s25
                                        ; implicit-def: $vgpr36
; %bb.209:                              ;   in Loop: Header=BB130_49 Depth=1
	s_andn2_saveexec_b64 s[16:17], s[0:1]
; %bb.210:                              ;   in Loop: Header=BB130_49 Depth=1
	v_or_b32_e32 v19, 0x10000, v36
	v_cmp_eq_u32_sdwa s[0:1], v36, v13 src0_sel:WORD_0 src1_sel:DWORD
	s_nop 1
	v_cndmask_b32_e64 v19, v19, v36, s[0:1]
; %bb.211:                              ;   in Loop: Header=BB130_49 Depth=1
	s_or_b64 exec, exec, s[16:17]
	v_lshlrev_b32_e32 v5, 16, v5
	v_mul_f32_e32 v36, v42, v5
	v_and_b32_e32 v5, 0x7f800000, v36
	v_cmp_ne_u32_e64 s[0:1], s24, v5
                                        ; implicit-def: $vgpr5
	s_and_saveexec_b64 s[16:17], s[0:1]
	s_xor_b64 s[0:1], exec, s[16:17]
; %bb.212:                              ;   in Loop: Header=BB130_49 Depth=1
	v_bfe_u32 v5, v36, 16, 1
	v_add3_u32 v5, v36, v5, s25
                                        ; implicit-def: $vgpr36
; %bb.213:                              ;   in Loop: Header=BB130_49 Depth=1
	s_andn2_saveexec_b64 s[16:17], s[0:1]
; %bb.214:                              ;   in Loop: Header=BB130_49 Depth=1
	v_or_b32_e32 v5, 0x10000, v36
	v_cmp_eq_u32_sdwa s[0:1], v36, v13 src0_sel:WORD_0 src1_sel:DWORD
	s_nop 1
	v_cndmask_b32_e64 v5, v5, v36, s[0:1]
; %bb.215:                              ;   in Loop: Header=BB130_49 Depth=1
	s_or_b64 exec, exec, s[16:17]
	v_lshlrev_b32_e32 v6, 16, v6
	v_mul_f32_e32 v6, v43, v6
	v_and_b32_e32 v36, 0x7f800000, v6
	v_cmp_ne_u32_e64 s[0:1], s24, v36
                                        ; implicit-def: $vgpr36
	s_and_saveexec_b64 s[16:17], s[0:1]
	s_xor_b64 s[0:1], exec, s[16:17]
; %bb.216:                              ;   in Loop: Header=BB130_49 Depth=1
	v_bfe_u32 v36, v6, 16, 1
	v_add3_u32 v36, v6, v36, s25
                                        ; implicit-def: $vgpr6
; %bb.217:                              ;   in Loop: Header=BB130_49 Depth=1
	s_andn2_saveexec_b64 s[16:17], s[0:1]
	s_cbranch_execz .LBB130_46
; %bb.218:                              ;   in Loop: Header=BB130_49 Depth=1
	v_or_b32_e32 v36, 0x10000, v6
	v_cmp_eq_u32_sdwa s[0:1], v6, v13 src0_sel:WORD_0 src1_sel:DWORD
	s_nop 1
	v_cndmask_b32_e64 v36, v36, v6, s[0:1]
	s_branch .LBB130_46
.LBB130_219:
	s_or_b64 exec, exec, s[12:13]
.LBB130_220:
	s_or_b64 exec, exec, s[8:9]
	ds_bpermute_b32 v2, v21, v14
	ds_bpermute_b32 v3, v21, v15
	;; [unrolled: 1-line block ×4, first 2 shown]
	v_and_b32_e32 v1, 0x3c0, v0
	v_cmp_eq_u32_e32 vcc, 64, v1
	s_waitcnt lgkmcnt(2)
	v_pk_add_f32 v[4:5], v[14:15], v[2:3]
	s_waitcnt lgkmcnt(0)
	v_pk_add_f32 v[2:3], v[10:11], v[6:7]
	s_barrier
	s_and_saveexec_b64 s[2:3], vcc
	s_cbranch_execz .LBB130_225
; %bb.221:
	v_cmp_eq_u32_e32 vcc, 0, v22
	s_and_saveexec_b64 s[0:1], vcc
	s_cbranch_execz .LBB130_223
; %bb.222:
	v_mov_b32_e32 v1, 0xf0
	v_lshl_add_u32 v1, v23, 2, v1
	ds_write2_b32 v1, v4, v5 offset1:32
	ds_write_b32 v1, v2 offset:256
.LBB130_223:
	s_or_b64 exec, exec, s[0:1]
	v_or_b32_e32 v1, 0x60, v23
	s_movk_i32 s0, 0x70
	v_cmp_gt_u32_e64 s[0:1], s0, v1
	s_and_b64 s[0:1], vcc, s[0:1]
	s_and_b64 exec, exec, s[0:1]
	s_cbranch_execz .LBB130_225
; %bb.224:
	v_mov_b32_e32 v1, 0xf0
	v_lshl_add_u32 v1, v23, 2, v1
	ds_write_b32 v1, v3 offset:384
.LBB130_225:
	s_or_b64 exec, exec, s[2:3]
	v_cmp_gt_u32_e32 vcc, 64, v0
	v_lshrrev_b32_e32 v6, 1, v0
	s_waitcnt lgkmcnt(0)
	s_barrier
	s_and_saveexec_b64 s[6:7], vcc
	s_cbranch_execz .LBB130_233
; %bb.226:
	v_cmp_eq_u32_e64 s[0:1], 0, v22
	s_and_saveexec_b64 s[2:3], s[0:1]
	s_cbranch_execnz .LBB130_255
; %bb.227:
	s_or_b64 exec, exec, s[2:3]
	s_and_saveexec_b64 s[2:3], s[0:1]
	s_cbranch_execnz .LBB130_256
.LBB130_228:
	s_or_b64 exec, exec, s[2:3]
	s_and_saveexec_b64 s[2:3], s[0:1]
	s_cbranch_execz .LBB130_230
.LBB130_229:
	v_mov_b32_e32 v0, 0xf0
	v_lshl_add_u32 v0, v6, 2, v0
	ds_read_b32 v0, v0 offset:256
	s_waitcnt lgkmcnt(0)
	v_add_f32_e32 v2, v2, v0
.LBB130_230:
	s_or_b64 exec, exec, s[2:3]
	v_or_b32_e32 v0, 0x60, v6
	s_movk_i32 s2, 0x70
	v_cmp_gt_u32_e64 s[2:3], s2, v0
	s_and_b64 s[2:3], s[0:1], s[2:3]
	s_and_saveexec_b64 s[0:1], s[2:3]
	s_cbranch_execz .LBB130_232
; %bb.231:
	v_mov_b32_e32 v0, 0xf0
	v_lshl_add_u32 v0, v6, 2, v0
	ds_read_b32 v0, v0 offset:384
	s_waitcnt lgkmcnt(0)
	v_add_f32_e32 v3, v3, v0
.LBB130_232:
	s_or_b64 exec, exec, s[0:1]
.LBB130_233:
	s_or_b64 exec, exec, s[6:7]
	s_barrier
	s_and_saveexec_b64 s[0:1], vcc
	s_cbranch_execz .LBB130_254
; %bb.234:
	s_mul_i32 s0, s10, s11
	s_mul_i32 s0, s0, s5
	s_mulk_i32 s0, 0x70
	s_ashr_i32 s1, s0, 31
	s_lshl_b64 s[0:1], s[0:1], 1
	s_add_u32 s2, s22, s0
	s_mul_i32 s0, s11, s20
	s_addc_u32 s3, s23, s1
	s_ashr_i32 s1, s0, 31
	s_lshl_b64 s[0:1], s[0:1], 1
	s_add_u32 s2, s2, s0
	s_mul_i32 s0, s4, 0x70
	s_addc_u32 s3, s3, s1
	s_ashr_i32 s1, s0, 31
	s_lshl_b64 s[0:1], s[0:1], 1
	s_add_u32 s2, s2, s0
	s_addc_u32 s3, s3, s1
	v_cmp_eq_u32_e32 vcc, 0, v22
	s_and_saveexec_b64 s[4:5], vcc
	s_cbranch_execz .LBB130_248
; %bb.235:
	s_mov_b32 s0, 0x7f800000
	v_and_b32_e32 v0, 0x7f800000, v4
	v_cmp_ne_u32_e64 s[0:1], s0, v0
                                        ; implicit-def: $vgpr7
	s_and_saveexec_b64 s[6:7], s[0:1]
	s_xor_b64 s[0:1], exec, s[6:7]
; %bb.236:
	v_bfe_u32 v0, v4, 16, 1
	s_movk_i32 s6, 0x7fff
	v_add3_u32 v7, v4, v0, s6
; %bb.237:
	s_andn2_saveexec_b64 s[6:7], s[0:1]
; %bb.238:
	v_mov_b32_e32 v0, 0
	v_or_b32_e32 v1, 0x10000, v4
	v_cmp_eq_u32_sdwa s[0:1], v4, v0 src0_sel:WORD_0 src1_sel:DWORD
	s_nop 1
	v_cndmask_b32_e64 v7, v1, v4, s[0:1]
; %bb.239:
	s_or_b64 exec, exec, s[6:7]
	s_mov_b32 s0, 0x7f800000
	v_and_b32_e32 v4, 0x7f800000, v5
	v_lshlrev_b32_e32 v0, 1, v6
	v_mov_b32_e32 v1, 0
	v_cmp_ne_u32_e64 s[0:1], s0, v4
	global_store_short_d16_hi v0, v7, s[2:3]
                                        ; implicit-def: $vgpr4
	s_and_saveexec_b64 s[6:7], s[0:1]
	s_xor_b64 s[0:1], exec, s[6:7]
; %bb.240:
	v_bfe_u32 v4, v5, 16, 1
	s_movk_i32 s6, 0x7fff
	v_add3_u32 v4, v5, v4, s6
; %bb.241:
	s_or_saveexec_b64 s[6:7], s[0:1]
	v_lshl_add_u64 v[0:1], s[2:3], 0, v[0:1]
	s_xor_b64 exec, exec, s[6:7]
; %bb.242:
	v_mov_b32_e32 v4, 0
	v_or_b32_e32 v7, 0x10000, v5
	v_cmp_eq_u32_sdwa s[0:1], v5, v4 src0_sel:WORD_0 src1_sel:DWORD
	s_nop 1
	v_cndmask_b32_e64 v4, v7, v5, s[0:1]
; %bb.243:
	s_or_b64 exec, exec, s[6:7]
	global_store_short_d16_hi v[0:1], v4, off offset:64
	s_mov_b32 s0, 0x7f800000
	v_and_b32_e32 v4, 0x7f800000, v2
	v_cmp_ne_u32_e64 s[0:1], s0, v4
                                        ; implicit-def: $vgpr4
	s_and_saveexec_b64 s[6:7], s[0:1]
	s_xor_b64 s[0:1], exec, s[6:7]
; %bb.244:
	v_bfe_u32 v4, v2, 16, 1
	s_movk_i32 s6, 0x7fff
	v_add3_u32 v4, v2, v4, s6
; %bb.245:
	s_andn2_saveexec_b64 s[6:7], s[0:1]
; %bb.246:
	v_mov_b32_e32 v4, 0
	v_or_b32_e32 v5, 0x10000, v2
	v_cmp_eq_u32_sdwa s[0:1], v2, v4 src0_sel:WORD_0 src1_sel:DWORD
	s_nop 1
	v_cndmask_b32_e64 v4, v5, v2, s[0:1]
; %bb.247:
	s_or_b64 exec, exec, s[6:7]
	global_store_short_d16_hi v[0:1], v4, off offset:128
.LBB130_248:
	s_or_b64 exec, exec, s[4:5]
	v_or_b32_e32 v0, 0x60, v6
	s_movk_i32 s0, 0x70
	v_cmp_gt_u32_e64 s[0:1], s0, v0
	s_and_b64 s[0:1], vcc, s[0:1]
	s_and_b64 exec, exec, s[0:1]
	s_cbranch_execz .LBB130_254
; %bb.249:
	s_mov_b32 s0, 0x7f800000
	v_and_b32_e32 v0, 0x7f800000, v3
	v_cmp_ne_u32_e32 vcc, s0, v0
                                        ; implicit-def: $vgpr4
	s_and_saveexec_b64 s[0:1], vcc
	s_xor_b64 s[0:1], exec, s[0:1]
; %bb.250:
	v_bfe_u32 v0, v3, 16, 1
	s_movk_i32 s4, 0x7fff
	v_add3_u32 v4, v3, v0, s4
                                        ; implicit-def: $vgpr0_vgpr1_vgpr2_vgpr3
; %bb.251:
	s_andn2_saveexec_b64 s[0:1], s[0:1]
; %bb.252:
	v_mov_b32_e32 v0, 0
	v_or_b32_e32 v1, 0x10000, v3
	v_cmp_eq_u32_sdwa vcc, v3, v0 src0_sel:WORD_0 src1_sel:DWORD
	s_nop 1
	v_cndmask_b32_e32 v4, v1, v3, vcc
; %bb.253:
	s_or_b64 exec, exec, s[0:1]
	v_lshlrev_b32_e32 v0, 1, v6
	global_store_short_d16_hi v0, v4, s[2:3] offset:192
.LBB130_254:
	s_endpgm
.LBB130_255:
	v_mov_b32_e32 v0, 0xf0
	v_lshl_add_u32 v0, v6, 2, v0
	ds_read_b32 v0, v0
	s_waitcnt lgkmcnt(0)
	v_add_f32_e32 v4, v4, v0
	s_or_b64 exec, exec, s[2:3]
	s_and_saveexec_b64 s[2:3], s[0:1]
	s_cbranch_execz .LBB130_228
.LBB130_256:
	v_mov_b32_e32 v0, 0xf0
	v_lshl_add_u32 v0, v6, 2, v0
	ds_read_b32 v0, v0 offset:128
	s_waitcnt lgkmcnt(0)
	v_add_f32_e32 v5, v5, v0
	s_or_b64 exec, exec, s[2:3]
	s_and_saveexec_b64 s[2:3], s[0:1]
	s_cbranch_execnz .LBB130_229
	s_branch .LBB130_230
	.section	.rodata,"a",@progbits
	.p2align	6, 0x0
	.amdhsa_kernel _ZN4vllm25paged_attention_v1_kernelI14__hip_bfloat16S1_Li112ELi16ELi128ELNS_18Fp8KVCacheDataTypeE0ELb1EEEvPT_PKS3_PKT0_S9_ifPKiSB_iPKfiiiSD_SD_iiiii
		.amdhsa_group_segment_fixed_size 240
		.amdhsa_private_segment_fixed_size 0
		.amdhsa_kernarg_size 384
		.amdhsa_user_sgpr_count 2
		.amdhsa_user_sgpr_dispatch_ptr 0
		.amdhsa_user_sgpr_queue_ptr 0
		.amdhsa_user_sgpr_kernarg_segment_ptr 1
		.amdhsa_user_sgpr_dispatch_id 0
		.amdhsa_user_sgpr_kernarg_preload_length 0
		.amdhsa_user_sgpr_kernarg_preload_offset 0
		.amdhsa_user_sgpr_private_segment_size 0
		.amdhsa_uses_dynamic_stack 0
		.amdhsa_enable_private_segment 0
		.amdhsa_system_sgpr_workgroup_id_x 1
		.amdhsa_system_sgpr_workgroup_id_y 1
		.amdhsa_system_sgpr_workgroup_id_z 1
		.amdhsa_system_sgpr_workgroup_info 0
		.amdhsa_system_vgpr_workitem_id 0
		.amdhsa_next_free_vgpr 79
		.amdhsa_next_free_sgpr 44
		.amdhsa_accum_offset 80
		.amdhsa_reserve_vcc 1
		.amdhsa_float_round_mode_32 0
		.amdhsa_float_round_mode_16_64 0
		.amdhsa_float_denorm_mode_32 3
		.amdhsa_float_denorm_mode_16_64 3
		.amdhsa_dx10_clamp 1
		.amdhsa_ieee_mode 1
		.amdhsa_fp16_overflow 0
		.amdhsa_tg_split 0
		.amdhsa_exception_fp_ieee_invalid_op 0
		.amdhsa_exception_fp_denorm_src 0
		.amdhsa_exception_fp_ieee_div_zero 0
		.amdhsa_exception_fp_ieee_overflow 0
		.amdhsa_exception_fp_ieee_underflow 0
		.amdhsa_exception_fp_ieee_inexact 0
		.amdhsa_exception_int_div_zero 0
	.end_amdhsa_kernel
	.section	.text._ZN4vllm25paged_attention_v1_kernelI14__hip_bfloat16S1_Li112ELi16ELi128ELNS_18Fp8KVCacheDataTypeE0ELb1EEEvPT_PKS3_PKT0_S9_ifPKiSB_iPKfiiiSD_SD_iiiii,"axG",@progbits,_ZN4vllm25paged_attention_v1_kernelI14__hip_bfloat16S1_Li112ELi16ELi128ELNS_18Fp8KVCacheDataTypeE0ELb1EEEvPT_PKS3_PKT0_S9_ifPKiSB_iPKfiiiSD_SD_iiiii,comdat
.Lfunc_end130:
	.size	_ZN4vllm25paged_attention_v1_kernelI14__hip_bfloat16S1_Li112ELi16ELi128ELNS_18Fp8KVCacheDataTypeE0ELb1EEEvPT_PKS3_PKT0_S9_ifPKiSB_iPKfiiiSD_SD_iiiii, .Lfunc_end130-_ZN4vllm25paged_attention_v1_kernelI14__hip_bfloat16S1_Li112ELi16ELi128ELNS_18Fp8KVCacheDataTypeE0ELb1EEEvPT_PKS3_PKT0_S9_ifPKiSB_iPKfiiiSD_SD_iiiii
                                        ; -- End function
	.section	.AMDGPU.csdata,"",@progbits
; Kernel info:
; codeLenInByte = 9816
; NumSgprs: 50
; NumVgprs: 79
; NumAgprs: 0
; TotalNumVgprs: 79
; ScratchSize: 0
; MemoryBound: 0
; FloatMode: 240
; IeeeMode: 1
; LDSByteSize: 240 bytes/workgroup (compile time only)
; SGPRBlocks: 6
; VGPRBlocks: 9
; NumSGPRsForWavesPerEU: 50
; NumVGPRsForWavesPerEU: 79
; AccumOffset: 80
; Occupancy: 6
; WaveLimiterHint : 1
; COMPUTE_PGM_RSRC2:SCRATCH_EN: 0
; COMPUTE_PGM_RSRC2:USER_SGPR: 2
; COMPUTE_PGM_RSRC2:TRAP_HANDLER: 0
; COMPUTE_PGM_RSRC2:TGID_X_EN: 1
; COMPUTE_PGM_RSRC2:TGID_Y_EN: 1
; COMPUTE_PGM_RSRC2:TGID_Z_EN: 1
; COMPUTE_PGM_RSRC2:TIDIG_COMP_CNT: 0
; COMPUTE_PGM_RSRC3_GFX90A:ACCUM_OFFSET: 19
; COMPUTE_PGM_RSRC3_GFX90A:TG_SPLIT: 0
	.section	.text._ZN4vllm25paged_attention_v1_kernelI14__hip_bfloat16S1_Li120ELi16ELi128ELNS_18Fp8KVCacheDataTypeE0ELb1EEEvPT_PKS3_PKT0_S9_ifPKiSB_iPKfiiiSD_SD_iiiii,"axG",@progbits,_ZN4vllm25paged_attention_v1_kernelI14__hip_bfloat16S1_Li120ELi16ELi128ELNS_18Fp8KVCacheDataTypeE0ELb1EEEvPT_PKS3_PKT0_S9_ifPKiSB_iPKfiiiSD_SD_iiiii,comdat
	.protected	_ZN4vllm25paged_attention_v1_kernelI14__hip_bfloat16S1_Li120ELi16ELi128ELNS_18Fp8KVCacheDataTypeE0ELb1EEEvPT_PKS3_PKT0_S9_ifPKiSB_iPKfiiiSD_SD_iiiii ; -- Begin function _ZN4vllm25paged_attention_v1_kernelI14__hip_bfloat16S1_Li120ELi16ELi128ELNS_18Fp8KVCacheDataTypeE0ELb1EEEvPT_PKS3_PKT0_S9_ifPKiSB_iPKfiiiSD_SD_iiiii
	.globl	_ZN4vllm25paged_attention_v1_kernelI14__hip_bfloat16S1_Li120ELi16ELi128ELNS_18Fp8KVCacheDataTypeE0ELb1EEEvPT_PKS3_PKT0_S9_ifPKiSB_iPKfiiiSD_SD_iiiii
	.p2align	8
	.type	_ZN4vllm25paged_attention_v1_kernelI14__hip_bfloat16S1_Li120ELi16ELi128ELNS_18Fp8KVCacheDataTypeE0ELb1EEEvPT_PKS3_PKT0_S9_ifPKiSB_iPKfiiiSD_SD_iiiii,@function
_ZN4vllm25paged_attention_v1_kernelI14__hip_bfloat16S1_Li120ELi16ELi128ELNS_18Fp8KVCacheDataTypeE0ELb1EEEvPT_PKS3_PKT0_S9_ifPKiSB_iPKfiiiSD_SD_iiiii: ; @_ZN4vllm25paged_attention_v1_kernelI14__hip_bfloat16S1_Li120ELi16ELi128ELNS_18Fp8KVCacheDataTypeE0ELb1EEEvPT_PKS3_PKT0_S9_ifPKiSB_iPKfiiiSD_SD_iiiii
; %bb.0:
	s_load_dword s5, s[0:1], 0x80
	s_load_dwordx2 s[6:7], s[0:1], 0x30
	s_load_dwordx2 s[30:31], s[0:1], 0x20
	s_mov_b32 s10, s3
	s_ashr_i32 s11, s3, 31
	s_lshl_b64 s[8:9], s[10:11], 2
	s_waitcnt lgkmcnt(0)
	s_add_u32 s6, s6, s8
	s_addc_u32 s7, s7, s9
	s_abs_i32 s3, s30
	v_cvt_f32_u32_e32 v1, s3
	s_sub_i32 s11, 0, s3
	s_abs_i32 s9, s5
	s_xor_b32 s8, s5, s30
	v_rcp_iflag_f32_e32 v1, v1
	s_ashr_i32 s8, s8, 31
	s_mov_b32 s43, 0
	v_mul_f32_e32 v1, 0x4f7ffffe, v1
	v_cvt_u32_f32_e32 v1, v1
	s_nop 0
	v_readfirstlane_b32 s12, v1
	s_mul_i32 s11, s11, s12
	s_mul_hi_u32 s11, s12, s11
	s_add_i32 s12, s12, s11
	s_mul_hi_u32 s11, s9, s12
	s_mul_i32 s12, s11, s3
	s_sub_i32 s9, s9, s12
	s_add_i32 s12, s11, 1
	s_sub_i32 s13, s9, s3
	s_cmp_ge_u32 s9, s3
	s_cselect_b32 s11, s12, s11
	s_cselect_b32 s9, s13, s9
	s_add_i32 s12, s11, 1
	s_cmp_ge_u32 s9, s3
	s_cselect_b32 s3, s12, s11
	s_xor_b32 s3, s3, s8
	s_sub_i32 s16, s3, s8
	s_abs_i32 s11, s16
	v_cvt_f32_u32_e32 v1, s11
	s_load_dwordx2 s[8:9], s[0:1], 0x40
	s_sub_i32 s3, 0, s11
	s_abs_i32 s22, s2
	v_rcp_iflag_f32_e32 v1, v1
	s_nop 0
	v_mul_f32_e32 v1, 0x4f7ffffe, v1
	v_cvt_u32_f32_e32 v1, v1
	s_nop 0
	v_readfirstlane_b32 s12, v1
	s_mul_i32 s3, s3, s12
	s_mul_hi_u32 s3, s12, s3
	s_add_i32 s12, s12, s3
	s_waitcnt lgkmcnt(0)
	s_cmp_eq_u64 s[8:9], 0
	s_mul_hi_u32 s23, s22, s12
	s_cbranch_scc1 .LBB131_2
; %bb.1:
	s_ashr_i32 s3, s2, 31
	s_lshl_b64 s[12:13], s[2:3], 2
	s_add_u32 s8, s8, s12
	s_addc_u32 s9, s9, s13
	s_load_dword s43, s[8:9], 0x0
.LBB131_2:
	s_load_dword s33, s[6:7], 0x0
	s_load_dwordx4 s[12:15], s[0:1], 0x48
	s_ashr_i32 s3, s2, 31
	s_ashr_i32 s9, s16, 31
	v_and_b32_e32 v4, 3, v0
	s_mul_i32 s20, s2, 0x78
	v_cmp_gt_u32_e32 vcc, 60, v0
	s_and_saveexec_b64 s[6:7], vcc
	s_cbranch_execz .LBB131_4
; %bb.3:
	s_load_dwordx2 s[16:17], s[0:1], 0x8
	s_waitcnt lgkmcnt(0)
	s_mul_i32 s18, s10, s12
	s_ashr_i32 s19, s18, 31
	s_lshl_b64 s[18:19], s[18:19], 1
	v_lshlrev_b32_e32 v1, 2, v0
	s_add_u32 s8, s16, s18
	s_addc_u32 s12, s17, s19
	s_ashr_i32 s21, s20, 31
	s_lshl_b64 s[16:17], s[20:21], 1
	s_add_u32 s16, s8, s16
	s_addc_u32 s17, s12, s17
	global_load_dword v1, v1, s[16:17]
	v_and_b32_e32 v2, 0x3fc, v0
	v_mad_u32_u24 v2, v4, 60, v2
	s_waitcnt vmcnt(0)
	ds_write_b32 v2, v1
.LBB131_4:
	s_or_b64 exec, exec, s[6:7]
	s_mul_i32 s6, s23, s11
	s_sub_i32 s6, s22, s6
	s_xor_b32 s3, s3, s9
	s_add_i32 s7, s23, 1
	s_sub_i32 s9, s6, s11
	s_load_dwordx4 s[16:19], s[0:1], 0x68
	s_load_dword s8, s[0:1], 0x78
	s_cmp_ge_u32 s6, s11
	s_cselect_b32 s7, s7, s23
	s_cselect_b32 s6, s9, s6
	s_add_i32 s9, s7, 1
	s_cmp_ge_u32 s6, s11
	s_cselect_b32 s6, s9, s7
	s_waitcnt lgkmcnt(0)
	s_abs_i32 s21, s19
	v_cvt_f32_u32_e32 v1, s21
	s_xor_b32 s6, s6, s3
	s_sub_i32 s3, s6, s3
	s_sub_i32 s6, 0, s21
	v_rcp_iflag_f32_e32 v1, v1
	s_add_i32 s11, s33, -1
	s_abs_i32 s9, s11
	v_mul_f32_e32 v1, 0x4f7ffffe, v1
	v_cvt_u32_f32_e32 v1, v1
	s_barrier
	v_readfirstlane_b32 s40, v1
	s_mul_i32 s6, s6, s40
	s_mul_hi_u32 s6, s40, s6
	s_add_i32 s40, s40, s6
	s_cmp_lt_i32 s8, 0
	s_mul_hi_u32 s12, s9, s40
	s_cbranch_scc0 .LBB131_6
; %bb.5:
	s_mul_i32 s6, s16, s30
	s_add_i32 s6, s3, s6
	s_mul_i32 s6, s6, s8
	s_sub_i32 s41, 1, s6
	s_mov_b64 s[6:7], 0
	s_branch .LBB131_7
.LBB131_6:
	s_mov_b64 s[6:7], -1
                                        ; implicit-def: $sgpr41
.LBB131_7:
	s_load_dwordx2 s[24:25], s[0:1], 0x28
	s_ashr_i32 s15, s11, 31
	s_andn2_b64 vcc, exec, s[6:7]
	s_ashr_i32 s19, s19, 31
	s_cbranch_vccnz .LBB131_9
; %bb.8:
	s_mul_i32 s6, s5, s16
	s_add_i32 s2, s6, s2
	s_mul_i32 s2, s2, s8
	s_add_i32 s41, s2, 1
.LBB131_9:
	s_load_dword s2, s[0:1], 0x38
	s_load_dwordx2 s[22:23], s[0:1], 0x0
	s_load_dwordx2 s[28:29], s[0:1], 0x18
	s_load_dword s11, s[0:1], 0x88
	s_xor_b32 s6, s15, s19
	s_waitcnt lgkmcnt(0)
	s_mul_i32 s26, s10, s2
	s_mul_i32 s2, s12, s21
	s_sub_i32 s2, s9, s2
	s_ashr_i32 s27, s26, 31
	s_add_i32 s7, s12, 1
	s_sub_i32 s8, s2, s21
	s_cmp_ge_u32 s2, s21
	s_cselect_b32 s7, s7, s12
	s_cselect_b32 s2, s8, s2
	s_add_i32 s8, s7, 1
	s_cmp_ge_u32 s2, s21
	s_cselect_b32 s2, s8, s7
	s_xor_b32 s2, s2, s6
	s_sub_i32 s12, s2, s6
	s_add_i32 s2, s33, 15
	s_ashr_i32 s6, s2, 31
	s_lshr_b32 s6, s6, 28
	s_add_i32 s2, s2, s6
	s_ashr_i32 s42, s2, 4
	v_lshrrev_b32_e32 v1, 6, v0
	v_cmp_gt_i32_e64 s[6:7], s42, v1
	v_mov_b32_e32 v10, 0xff7fffff
	s_mul_i32 s14, s3, s14
	v_lshrrev_b32_e32 v6, 4, v0
	v_lshlrev_b32_e32 v20, 4, v1
	v_mbcnt_lo_u32_b32 v7, -1, 0
	s_and_saveexec_b64 s[34:35], s[6:7]
	s_cbranch_execz .LBB131_19
; %bb.10:
	s_load_dwordx2 s[0:1], s[0:1], 0x10
	s_ashr_i32 s15, s14, 31
	s_sub_i32 s16, s12, s17
	s_lshl_b64 s[2:3], s[14:15], 1
	v_bfe_u32 v8, v0, 2, 4
	s_waitcnt lgkmcnt(0)
	s_add_u32 s0, s0, s2
	s_addc_u32 s1, s1, s3
	s_abs_i32 s15, s18
	v_cvt_f32_u32_e32 v5, s15
	v_lshlrev_b32_e32 v12, 4, v8
	v_mov_b32_e32 v13, 0
	v_lshl_add_u64 v[2:3], s[0:1], 0, v[12:13]
	v_rcp_iflag_f32_e32 v5, v5
	v_lshlrev_b32_e32 v9, 2, v0
	s_sub_i32 s0, 0, s15
	v_cmp_eq_u32_e32 vcc, 0, v4
	v_mul_f32_e32 v5, 0x4f7ffffe, v5
	v_cvt_u32_f32_e32 v5, v5
	v_and_b32_e32 v12, 12, v9
	v_mul_u32_u24_e32 v9, 60, v4
	v_lshlrev_b32_e32 v10, 2, v8
	v_mul_lo_u32 v4, s0, v5
	s_lshl_b64 s[0:1], s[26:27], 2
	s_add_u32 s0, s24, s0
	v_lshl_add_u64 v[2:3], v[2:3], 0, v[12:13]
	v_mul_hi_u32 v4, v5, v4
	v_and_b32_e32 v12, 60, v6
	s_addc_u32 s1, s25, s1
	v_lshl_or_b32 v10, v1, 6, v10
	v_add_u32_e32 v11, v5, v4
	v_lshl_add_u64 v[4:5], s[0:1], 0, v[12:13]
	v_add_u32_e32 v13, 0x100, v10
	v_subrev_u32_e32 v10, s33, v8
	v_mbcnt_hi_u32_b32 v16, -1, v7
	v_add_u32_e32 v14, 1, v10
	v_and_b32_e32 v10, 64, v16
	s_mov_b32 s30, s13
	v_cmp_neq_f32_e64 s[2:3], s43, 0
	v_lshlrev_b32_e32 v12, 4, v1
	s_mov_b64 s[36:37], 0
	v_mov_b32_e32 v15, 0xff7fffff
	v_add_u32_e32 v17, 64, v10
	v_xor_b32_e32 v18, 2, v16
	v_xor_b32_e32 v19, 1, v16
	v_mov_b32_e32 v10, 0xff7fffff
	v_mov_b32_e32 v21, v1
	s_branch .LBB131_13
.LBB131_11:                             ;   in Loop: Header=BB131_13 Depth=1
	s_or_b64 exec, exec, s[38:39]
.LBB131_12:                             ;   in Loop: Header=BB131_13 Depth=1
	s_or_b64 exec, exec, s[8:9]
	v_add_u32_e32 v21, 2, v21
	v_cmp_le_i32_e64 s[0:1], s42, v21
	v_lshl_add_u64 v[4:5], v[4:5], 0, 8
	v_add_u32_e32 v12, 32, v12
	s_or_b64 s[36:37], s[0:1], s[36:37]
	v_add_u32_e32 v13, 0x80, v13
	s_andn2_b64 exec, exec, s[36:37]
	s_cbranch_execz .LBB131_18
.LBB131_13:                             ; =>This Inner Loop Header: Depth=1
	v_mul_hi_u32 v22, v12, s40
	s_waitcnt lgkmcnt(0)
	v_mul_lo_u32 v23, v22, s21
	v_sub_u32_e32 v23, v12, v23
	v_add_u32_e32 v24, 1, v22
	v_cmp_le_u32_e64 s[0:1], s21, v23
	s_nop 1
	v_cndmask_b32_e64 v22, v22, v24, s[0:1]
	v_subrev_u32_e32 v24, s21, v23
	v_cndmask_b32_e64 v23, v23, v24, s[0:1]
	v_add_u32_e32 v24, 1, v22
	v_cmp_le_u32_e64 s[0:1], s21, v23
	s_nop 1
	v_cndmask_b32_e64 v22, v22, v24, s[0:1]
	v_xor_b32_e32 v22, s19, v22
	v_subrev_u32_e32 v22, s19, v22
	v_add_u32_e32 v23, s41, v22
	v_sub_u32_e32 v25, 0, v23
	v_ashrrev_i32_e32 v24, 31, v23
	v_max_i32_e32 v23, v23, v25
	v_mul_hi_u32 v25, v23, v11
	v_mul_lo_u32 v25, v25, s15
	v_sub_u32_e32 v23, v23, v25
	v_subrev_u32_e32 v25, s15, v23
	v_cmp_le_u32_e64 s[0:1], s15, v23
	v_cmp_ge_i32_e64 s[8:9], s16, v22
	s_nop 0
	v_cndmask_b32_e64 v23, v23, v25, s[0:1]
	v_subrev_u32_e32 v25, s15, v23
	v_cmp_le_u32_e64 s[0:1], s15, v23
	s_nop 1
	v_cndmask_b32_e64 v23, v23, v25, s[0:1]
	v_xor_b32_e32 v23, v23, v24
	v_sub_u32_e32 v23, v23, v24
	v_cmp_ne_u32_e64 s[0:1], 0, v23
	s_and_b64 s[0:1], s[0:1], s[8:9]
	s_and_b64 s[38:39], vcc, s[0:1]
	s_and_saveexec_b64 s[8:9], s[38:39]
	s_cbranch_execz .LBB131_15
; %bb.14:                               ;   in Loop: Header=BB131_13 Depth=1
	ds_write_b32 v13, v15
.LBB131_15:                             ;   in Loop: Header=BB131_13 Depth=1
	s_or_b64 exec, exec, s[8:9]
	s_xor_b64 s[0:1], s[0:1], -1
	s_and_saveexec_b64 s[8:9], s[0:1]
	s_cbranch_execz .LBB131_12
; %bb.16:                               ;   in Loop: Header=BB131_13 Depth=1
	global_load_dword v22, v[4:5], off
	s_waitcnt vmcnt(0)
	v_mad_i64_i32 v[22:23], s[0:1], v22, s30, 0
	v_lshl_add_u64 v[22:23], v[22:23], 1, v[2:3]
	global_load_dword v36, v[22:23], off
	global_load_dword v37, v[22:23], off offset:256
	global_load_dword v38, v[22:23], off offset:512
	;; [unrolled: 1-line block ×14, first 2 shown]
	ds_read2_b32 v[22:23], v9 offset1:1
	ds_read2_b32 v[24:25], v9 offset0:2 offset1:3
	ds_read2_b32 v[26:27], v9 offset0:4 offset1:5
	;; [unrolled: 1-line block ×6, first 2 shown]
	ds_read_b32 v51, v9 offset:56
	s_waitcnt lgkmcnt(7)
	v_lshlrev_b32_e32 v54, 16, v23
	v_and_b32_e32 v23, 0xffff0000, v23
	v_lshlrev_b32_e32 v53, 16, v22
	v_and_b32_e32 v22, 0xffff0000, v22
	s_waitcnt lgkmcnt(6)
	v_lshlrev_b32_e32 v55, 16, v24
	v_and_b32_e32 v24, 0xffff0000, v24
	v_lshlrev_b32_e32 v56, 16, v25
	v_and_b32_e32 v25, 0xffff0000, v25
	;; [unrolled: 5-line block ×7, first 2 shown]
	v_cmp_lt_i32_e64 s[0:1], v18, v17
	s_waitcnt lgkmcnt(0)
	v_lshlrev_b32_e32 v67, 16, v51
	v_and_b32_e32 v51, 0xffff0000, v51
	v_cndmask_b32_e64 v52, v16, v18, s[0:1]
	v_lshlrev_b32_e32 v52, 2, v52
	v_cmp_lt_i32_e64 s[0:1], v19, v17
	s_waitcnt vmcnt(14)
	v_lshlrev_b32_e32 v68, 16, v36
	s_waitcnt vmcnt(13)
	v_lshlrev_b32_e32 v69, 16, v37
	v_and_b32_e32 v37, 0xffff0000, v37
	v_and_b32_e32 v36, 0xffff0000, v36
	v_mul_f32_e32 v54, v54, v69
	v_mul_f32_e32 v23, v23, v37
	s_waitcnt vmcnt(12)
	v_lshlrev_b32_e32 v70, 16, v38
	v_and_b32_e32 v38, 0xffff0000, v38
	v_fmac_f32_e32 v54, v53, v68
	v_fmac_f32_e32 v23, v22, v36
	s_waitcnt vmcnt(11)
	v_lshlrev_b32_e32 v71, 16, v39
	v_and_b32_e32 v39, 0xffff0000, v39
	v_fmac_f32_e32 v54, v55, v70
	v_fmac_f32_e32 v23, v24, v38
	;; [unrolled: 5-line block ×13, first 2 shown]
	v_fmac_f32_e32 v54, v67, v82
	v_fmac_f32_e32 v23, v51, v50
	v_add_f32_e32 v22, v54, v23
	ds_bpermute_b32 v23, v52, v22
	v_cndmask_b32_e64 v24, v16, v19, s[0:1]
	v_lshlrev_b32_e32 v24, 2, v24
	s_waitcnt lgkmcnt(0)
	v_add_f32_e32 v22, v22, v23
	ds_bpermute_b32 v23, v24, v22
	s_and_saveexec_b64 s[38:39], vcc
	s_cbranch_execz .LBB131_11
; %bb.17:                               ;   in Loop: Header=BB131_13 Depth=1
	v_add_u32_e32 v24, v14, v12
	v_cvt_f32_i32_e32 v24, v24
	s_waitcnt lgkmcnt(0)
	v_add_f32_e32 v22, v22, v23
	v_add_u32_e32 v25, v8, v12
	v_cmp_gt_i32_e64 s[0:1], s33, v25
	v_mul_f32_e32 v23, s43, v24
	v_cndmask_b32_e64 v23, 0, v23, s[2:3]
	v_fmac_f32_e32 v23, s31, v22
	v_cndmask_b32_e64 v22, 0, v23, s[0:1]
	ds_write_b32 v13, v22
	v_max_f32_e32 v22, v10, v10
	v_max_f32_e32 v22, v22, v23
	v_cndmask_b32_e64 v10, v10, v22, s[0:1]
	s_branch .LBB131_11
.LBB131_18:
	s_or_b64 exec, exec, s[36:37]
.LBB131_19:
	s_or_b64 exec, exec, s[34:35]
	v_mbcnt_hi_u32_b32 v2, -1, v7
	v_and_b32_e32 v3, 64, v2
	v_add_u32_e32 v3, 64, v3
	v_xor_b32_e32 v4, 32, v2
	v_cmp_lt_i32_e32 vcc, v4, v3
	v_xor_b32_e32 v8, 16, v2
	v_max_f32_e32 v7, v10, v10
	v_cndmask_b32_e32 v4, v2, v4, vcc
	v_lshlrev_b32_e32 v5, 2, v4
	ds_bpermute_b32 v4, v5, v10
	v_cmp_lt_i32_e32 vcc, v8, v3
	v_xor_b32_e32 v9, 8, v2
	v_xor_b32_e32 v11, 4, v2
	s_waitcnt lgkmcnt(0)
	v_max_f32_e32 v4, v4, v4
	v_max_f32_e32 v4, v7, v4
	v_cndmask_b32_e32 v7, v2, v8, vcc
	v_lshlrev_b32_e32 v7, 2, v7
	ds_bpermute_b32 v8, v7, v4
	v_cmp_lt_i32_e32 vcc, v9, v3
	s_waitcnt lgkmcnt(0)
	v_max_f32_e32 v8, v8, v8
	v_max_f32_e32 v4, v4, v8
	v_cndmask_b32_e32 v8, v2, v9, vcc
	v_lshlrev_b32_e32 v10, 2, v8
	ds_bpermute_b32 v8, v10, v4
	v_cmp_lt_i32_e32 vcc, v11, v3
	s_waitcnt lgkmcnt(0)
	v_max_f32_e32 v8, v8, v8
	v_max_f32_e32 v9, v4, v8
	v_cndmask_b32_e32 v4, v2, v11, vcc
	v_lshlrev_b32_e32 v11, 2, v4
	ds_bpermute_b32 v12, v11, v9
	v_and_b32_e32 v4, 63, v0
	v_cmp_eq_u32_e32 vcc, 0, v4
	v_lshlrev_b32_e32 v8, 2, v1
	s_and_saveexec_b64 s[0:1], vcc
	s_cbranch_execz .LBB131_21
; %bb.20:
	s_waitcnt lgkmcnt(0)
	v_max_f32_e32 v12, v12, v12
	v_max_f32_e32 v9, v9, v9
	;; [unrolled: 1-line block ×3, first 2 shown]
	ds_write_b32 v8, v9 offset:240
.LBB131_21:
	s_or_b64 exec, exec, s[0:1]
	v_cmp_gt_u32_e64 s[0:1], 2, v4
	s_waitcnt lgkmcnt(0)
	v_mov_b32_e32 v12, 0xff7fffff
	v_lshlrev_b32_e32 v9, 2, v4
	s_barrier
	s_and_saveexec_b64 s[2:3], s[0:1]
	s_cbranch_execz .LBB131_23
; %bb.22:
	ds_read_b32 v12, v9 offset:240
.LBB131_23:
	s_or_b64 exec, exec, s[2:3]
	v_xor_b32_e32 v13, 1, v2
	v_cmp_lt_i32_e64 s[2:3], v13, v3
	v_lshlrev_b32_e32 v14, 2, v2
	s_nop 0
	v_cndmask_b32_e64 v13, v2, v13, s[2:3]
	v_lshlrev_b32_e32 v21, 2, v13
	s_waitcnt lgkmcnt(0)
	ds_bpermute_b32 v13, v21, v12
	v_max_f32_e32 v12, v12, v12
	s_lshl_b32 s2, s42, 4
	s_min_i32 s15, s2, s33
	v_cmp_gt_i32_e64 s[2:3], s15, v0
	s_waitcnt lgkmcnt(0)
	v_max_f32_e32 v13, v13, v13
	v_max_f32_e32 v13, v12, v13
	v_and_b32_e32 v12, 0x100, v14
	ds_bpermute_b32 v14, v12, v13
	v_mov_b32_e32 v13, 0
	s_and_saveexec_b64 s[30:31], s[2:3]
	s_cbranch_execz .LBB131_27
; %bb.24:
	v_mov_b32_e32 v13, 0x100
	v_lshl_add_u32 v15, v0, 2, v13
	s_mov_b64 s[34:35], 0
	v_mov_b32_e32 v13, 0
	v_mov_b32_e32 v16, v0
.LBB131_25:                             ; =>This Inner Loop Header: Depth=1
	ds_read_b32 v17, v15
	v_add_u32_e32 v16, 0x80, v16
	v_cmp_le_i32_e64 s[8:9], s15, v16
	s_or_b64 s[34:35], s[8:9], s[34:35]
	s_waitcnt lgkmcnt(0)
	v_sub_f32_e32 v17, v17, v14
	v_mul_f32_e32 v17, 0x3fb8aa3b, v17
	v_exp_f32_e32 v17, v17
	ds_write_b32 v15, v17
	v_add_f32_e32 v13, v13, v17
	v_add_u32_e32 v15, 0x200, v15
	s_andn2_b64 exec, exec, s[34:35]
	s_cbranch_execnz .LBB131_25
; %bb.26:
	s_or_b64 exec, exec, s[34:35]
.LBB131_27:
	s_or_b64 exec, exec, s[30:31]
	ds_bpermute_b32 v5, v5, v13
	s_waitcnt lgkmcnt(0)
	v_add_f32_e32 v5, v13, v5
	ds_bpermute_b32 v7, v7, v5
	s_waitcnt lgkmcnt(0)
	v_add_f32_e32 v5, v5, v7
	ds_bpermute_b32 v7, v10, v5
	v_xor_b32_e32 v10, 2, v2
	v_cmp_lt_i32_e64 s[8:9], v10, v3
	s_waitcnt lgkmcnt(0)
	v_add_f32_e32 v5, v5, v7
	ds_bpermute_b32 v7, v11, v5
	v_cndmask_b32_e64 v2, v2, v10, s[8:9]
	v_lshlrev_b32_e32 v2, 2, v2
	s_waitcnt lgkmcnt(0)
	v_add_f32_e32 v3, v5, v7
	ds_bpermute_b32 v2, v2, v3
	s_waitcnt lgkmcnt(0)
	v_add_f32_e32 v2, v3, v2
	ds_bpermute_b32 v3, v21, v2
	s_waitcnt lgkmcnt(0)
	v_add_f32_e32 v2, v2, v3
	s_and_saveexec_b64 s[8:9], vcc
	s_cbranch_execz .LBB131_29
; %bb.28:
	ds_write_b32 v8, v2 offset:248
.LBB131_29:
	s_or_b64 exec, exec, s[8:9]
	s_waitcnt lgkmcnt(0)
	s_barrier
	s_and_saveexec_b64 s[8:9], s[0:1]
	s_cbranch_execz .LBB131_31
; %bb.30:
	ds_read_b32 v2, v9 offset:248
.LBB131_31:
	s_or_b64 exec, exec, s[8:9]
	s_waitcnt lgkmcnt(0)
	ds_bpermute_b32 v3, v21, v2
	s_waitcnt lgkmcnt(0)
	v_add_f32_e32 v2, v2, v3
	ds_bpermute_b32 v2, v12, v2
	s_and_saveexec_b64 s[0:1], s[2:3]
	s_cbranch_execz .LBB131_44
; %bb.32:
	s_waitcnt lgkmcnt(0)
	v_add_f32_e32 v2, 0x358637bd, v2
	v_div_scale_f32 v3, s[2:3], v2, v2, 1.0
	v_rcp_f32_e32 v5, v3
	v_div_scale_f32 v7, vcc, 1.0, v2, 1.0
	s_movk_i32 s2, 0x7f
	v_fma_f32 v8, -v3, v5, 1.0
	v_fmac_f32_e32 v5, v8, v5
	v_mul_f32_e32 v8, v7, v5
	v_fma_f32 v9, -v3, v8, v7
	v_fmac_f32_e32 v8, v9, v5
	v_fma_f32 v3, -v3, v8, v7
	v_div_fmas_f32 v3, v3, v5, v8
	v_xad_u32 v5, v0, -1, s15
	v_div_fixup_f32 v2, v3, v2, 1.0
	v_cmp_lt_u32_e32 vcc, s2, v5
	s_mov_b64 s[8:9], -1
	v_mov_b32_e32 v3, v0
	s_and_saveexec_b64 s[2:3], vcc
	s_cbranch_execz .LBB131_41
; %bb.33:
	v_lshrrev_b32_e32 v5, 7, v5
	v_add_u32_e32 v8, -1, v5
	v_lshrrev_b32_e32 v7, 1, v8
	v_mov_b32_e32 v3, v2
	v_add_u32_e32 v7, 1, v7
	v_cmp_lt_u32_e32 vcc, 13, v8
	v_mov_b32_e32 v10, 0
	s_and_saveexec_b64 s[8:9], vcc
	s_cbranch_execz .LBB131_37
; %bb.34:
	v_mov_b32_e32 v9, 0x100
	v_and_b32_e32 v8, -8, v7
	v_lshl_add_u32 v9, v0, 2, v9
	s_mov_b32 s16, 0
	s_mov_b64 s[30:31], 0
.LBB131_35:                             ; =>This Inner Loop Header: Depth=1
	ds_read2st64_b32 v[10:11], v9 offset1:2
	ds_read2st64_b32 v[12:13], v9 offset0:4 offset1:6
	ds_read2st64_b32 v[14:15], v9 offset0:8 offset1:10
	;; [unrolled: 1-line block ×3, first 2 shown]
	v_add_u32_e32 v8, -8, v8
	s_waitcnt lgkmcnt(3)
	v_pk_mul_f32 v[10:11], v[2:3], v[10:11]
	s_waitcnt lgkmcnt(2)
	v_pk_mul_f32 v[12:13], v[2:3], v[12:13]
	ds_write2st64_b32 v9, v10, v11 offset1:2
	ds_write2st64_b32 v9, v12, v13 offset0:4 offset1:6
	ds_read2st64_b32 v[12:13], v9 offset0:16 offset1:18
	s_waitcnt lgkmcnt(4)
	v_pk_mul_f32 v[10:11], v[2:3], v[14:15]
	ds_write2st64_b32 v9, v10, v11 offset0:8 offset1:10
	s_waitcnt lgkmcnt(4)
	v_pk_mul_f32 v[10:11], v[2:3], v[16:17]
	ds_write2st64_b32 v9, v10, v11 offset0:12 offset1:14
	ds_read2st64_b32 v[10:11], v9 offset0:20 offset1:22
	s_waitcnt lgkmcnt(3)
	v_pk_mul_f32 v[12:13], v[2:3], v[12:13]
	ds_read2st64_b32 v[14:15], v9 offset0:24 offset1:26
	ds_write2st64_b32 v9, v12, v13 offset0:16 offset1:18
	ds_read2st64_b32 v[12:13], v9 offset0:28 offset1:30
	s_waitcnt lgkmcnt(3)
	v_pk_mul_f32 v[10:11], v[2:3], v[10:11]
	ds_write2st64_b32 v9, v10, v11 offset0:20 offset1:22
	s_waitcnt lgkmcnt(3)
	v_pk_mul_f32 v[10:11], v[2:3], v[14:15]
	ds_write2st64_b32 v9, v10, v11 offset0:24 offset1:26
	s_waitcnt lgkmcnt(2)
	v_pk_mul_f32 v[10:11], v[2:3], v[12:13]
	s_add_i32 s16, s16, 16
	v_cmp_eq_u32_e32 vcc, 0, v8
	ds_write2st64_b32 v9, v10, v11 offset0:28 offset1:30
	v_add_u32_e32 v9, 0x2000, v9
	s_or_b64 s[30:31], vcc, s[30:31]
	v_mov_b32_e32 v10, s16
	s_andn2_b64 exec, exec, s[30:31]
	s_cbranch_execnz .LBB131_35
; %bb.36:
	s_or_b64 exec, exec, s[30:31]
.LBB131_37:
	s_or_b64 exec, exec, s[8:9]
	v_and_b32_e32 v7, 7, v7
	v_cmp_ne_u32_e32 vcc, 0, v7
	s_and_saveexec_b64 s[8:9], vcc
	s_cbranch_execz .LBB131_40
; %bb.38:
	v_lshlrev_b32_e32 v8, 9, v10
	v_lshlrev_b32_e32 v9, 2, v0
	s_movk_i32 s16, 0x100
	v_add3_u32 v8, v8, v9, s16
	s_mov_b64 s[30:31], 0
.LBB131_39:                             ; =>This Inner Loop Header: Depth=1
	ds_read2st64_b32 v[10:11], v8 offset1:2
	v_add_u32_e32 v7, -1, v7
	v_cmp_eq_u32_e32 vcc, 0, v7
	s_or_b64 s[30:31], vcc, s[30:31]
	s_waitcnt lgkmcnt(0)
	v_pk_mul_f32 v[10:11], v[2:3], v[10:11]
	ds_write2st64_b32 v8, v10, v11 offset1:2
	v_add_u32_e32 v8, 0x400, v8
	s_andn2_b64 exec, exec, s[30:31]
	s_cbranch_execnz .LBB131_39
.LBB131_40:
	s_or_b64 exec, exec, s[8:9]
	v_add_u32_e32 v5, 1, v5
	v_and_b32_e32 v7, 0x3fffffe, v5
	v_cmp_ne_u32_e32 vcc, v5, v7
	v_lshl_add_u32 v3, v7, 7, v0
	s_orn2_b64 s[8:9], vcc, exec
.LBB131_41:
	s_or_b64 exec, exec, s[2:3]
	s_and_b64 exec, exec, s[8:9]
	s_cbranch_execz .LBB131_44
; %bb.42:
	v_mov_b32_e32 v5, 0x100
	v_lshl_add_u32 v5, v3, 2, v5
	s_mov_b64 s[2:3], 0
.LBB131_43:                             ; =>This Inner Loop Header: Depth=1
	ds_read_b32 v7, v5
	v_add_u32_e32 v3, 0x80, v3
	v_cmp_le_i32_e32 vcc, s15, v3
	s_or_b64 s[2:3], vcc, s[2:3]
	s_waitcnt lgkmcnt(0)
	v_mul_f32_e32 v7, v2, v7
	ds_write_b32 v5, v7
	v_add_u32_e32 v5, 0x200, v5
	s_andn2_b64 exec, exec, s[2:3]
	s_cbranch_execnz .LBB131_43
.LBB131_44:
	s_or_b64 exec, exec, s[0:1]
	v_mov_b32_e32 v11, 0
	v_lshrrev_b32_e32 v23, 1, v4
	v_and_b32_e32 v22, 1, v0
	v_mov_b32_e32 v10, 0
	v_mov_b32_e32 v15, 0
	;; [unrolled: 1-line block ×3, first 2 shown]
	s_waitcnt lgkmcnt(0)
	s_barrier
	s_and_saveexec_b64 s[8:9], s[6:7]
	s_cbranch_execz .LBB131_220
; %bb.45:
	s_ashr_i32 s15, s14, 31
	s_sub_i32 s30, s12, s17
	s_lshl_b64 s[0:1], s[14:15], 1
	s_add_u32 s6, s28, s0
	s_addc_u32 s7, s29, s1
	s_abs_i32 s18, s18
	v_cvt_f32_u32_e32 v3, s18
	v_or_b32_e32 v4, 0x60, v23
	s_movk_i32 s0, 0x78
	v_cmp_gt_u32_e32 vcc, s0, v4
	v_rcp_iflag_f32_e32 v3, v3
	s_sub_i32 s0, 0, s18
	v_lshlrev_b32_e32 v2, 3, v0
	s_add_i32 s29, s42, -1
	v_mul_f32_e32 v3, 0x4f7ffffe, v3
	v_cvt_u32_f32_e32 v3, v3
	v_and_b32_e32 v24, 8, v2
	v_lshl_or_b32 v2, v23, 4, v24
	v_mov_b32_e32 v13, 0
	v_mul_lo_u32 v5, s0, v3
	v_mul_hi_u32 v5, v3, v5
	s_lshl_b64 s[0:1], s[26:27], 2
	v_add_u32_e32 v25, v3, v5
	s_add_u32 s0, s24, s0
	v_lshlrev_b32_e32 v3, 5, v22
	v_lshl_or_b32 v4, v4, 4, v24
	v_and_b32_e32 v12, 60, v6
	s_addc_u32 s1, s25, s1
	v_lshl_or_b32 v3, v1, 6, v3
	s_mov_b32 s28, s13
	v_lshl_add_u64 v[16:17], s[0:1], 0, v[12:13]
	v_add_u32_e32 v26, 0x100, v3
	s_mov_b64 s[12:13], 0
	s_mov_b32 s24, 0x7f800000
	s_movk_i32 s25, 0x7fff
	v_lshlrev_b32_e32 v12, 1, v2
	v_lshlrev_b32_e32 v18, 1, v4
	v_mov_b32_e32 v14, v13
	v_mov_b32_e32 v15, v13
	;; [unrolled: 1-line block ×4, first 2 shown]
	s_branch .LBB131_49
.LBB131_46:                             ;   in Loop: Header=BB131_49 Depth=1
	s_or_b64 exec, exec, s[16:17]
	v_and_b32_e32 v39, 0xffff0000, v34
	v_and_b32_e32 v38, 0xffff0000, v7
	;; [unrolled: 1-line block ×8, first 2 shown]
	v_pk_add_f32 v[2:3], v[2:3], v[38:39]
	v_pk_add_f32 v[4:5], v[4:5], v[36:37]
	v_add_f32_e32 v2, v2, v3
	v_add_f32_e32 v2, v2, v4
	;; [unrolled: 1-line block ×4, first 2 shown]
.LBB131_47:                             ;   in Loop: Header=BB131_49 Depth=1
	s_or_b64 exec, exec, s[2:3]
	v_and_b32_e32 v7, 0xffff0000, v30
	v_and_b32_e32 v6, 0xffff0000, v28
	;; [unrolled: 1-line block ×8, first 2 shown]
	v_pk_add_f32 v[6:7], v[28:29], v[6:7]
	v_pk_add_f32 v[2:3], v[4:5], v[2:3]
	v_add_f32_e32 v4, v6, v7
	v_add_f32_e32 v2, v4, v2
	;; [unrolled: 1-line block ×3, first 2 shown]
	v_and_b32_e32 v7, 0xffff0000, v47
	v_and_b32_e32 v6, 0xffff0000, v45
	;; [unrolled: 1-line block ×4, first 2 shown]
	v_add_f32_e32 v14, v14, v2
	v_and_b32_e32 v3, 0xffff0000, v51
	v_and_b32_e32 v2, 0xffff0000, v49
	;; [unrolled: 1-line block ×4, first 2 shown]
	v_pk_add_f32 v[6:7], v[28:29], v[6:7]
	v_pk_add_f32 v[2:3], v[4:5], v[2:3]
	v_add_f32_e32 v4, v6, v7
	v_add_f32_e32 v2, v4, v2
	;; [unrolled: 1-line block ×3, first 2 shown]
	v_and_b32_e32 v7, 0xffff0000, v53
	v_and_b32_e32 v6, 0xffff0000, v9
	;; [unrolled: 1-line block ×4, first 2 shown]
	v_add_f32_e32 v15, v15, v2
	v_and_b32_e32 v3, 0xffff0000, v57
	v_and_b32_e32 v2, 0xffff0000, v55
	;; [unrolled: 1-line block ×4, first 2 shown]
	v_pk_add_f32 v[6:7], v[8:9], v[6:7]
	v_pk_add_f32 v[2:3], v[4:5], v[2:3]
	v_add_f32_e32 v4, v6, v7
	v_add_f32_e32 v2, v4, v2
	;; [unrolled: 1-line block ×4, first 2 shown]
.LBB131_48:                             ;   in Loop: Header=BB131_49 Depth=1
	s_or_b64 exec, exec, s[14:15]
	v_add_u32_e32 v1, 2, v1
	v_cmp_le_i32_e64 s[0:1], s42, v1
	v_lshl_add_u64 v[16:17], v[16:17], 0, 8
	v_add_u32_e32 v20, 32, v20
	s_or_b64 s[12:13], s[0:1], s[12:13]
	v_add_u32_e32 v26, 0x80, v26
	s_andn2_b64 exec, exec, s[12:13]
	s_cbranch_execz .LBB131_219
.LBB131_49:                             ; =>This Inner Loop Header: Depth=1
	v_mul_hi_u32 v2, v20, s40
	v_mul_lo_u32 v3, v2, s21
	v_sub_u32_e32 v3, v20, v3
	v_add_u32_e32 v4, 1, v2
	v_cmp_le_u32_e64 s[0:1], s21, v3
	s_nop 1
	v_cndmask_b32_e64 v2, v2, v4, s[0:1]
	v_subrev_u32_e32 v4, s21, v3
	v_cndmask_b32_e64 v3, v3, v4, s[0:1]
	v_add_u32_e32 v4, 1, v2
	v_cmp_le_u32_e64 s[0:1], s21, v3
	s_nop 1
	v_cndmask_b32_e64 v2, v2, v4, s[0:1]
	v_xor_b32_e32 v2, s19, v2
	v_subrev_u32_e32 v2, s19, v2
	v_add_u32_e32 v3, s41, v2
	v_sub_u32_e32 v5, 0, v3
	v_ashrrev_i32_e32 v4, 31, v3
	v_max_i32_e32 v3, v3, v5
	v_mul_hi_u32 v5, v3, v25
	v_mul_lo_u32 v5, v5, s18
	v_sub_u32_e32 v3, v3, v5
	v_subrev_u32_e32 v5, s18, v3
	v_cmp_le_u32_e64 s[0:1], s18, v3
	v_cmp_lt_i32_e64 s[2:3], s30, v2
	s_nop 0
	v_cndmask_b32_e64 v3, v3, v5, s[0:1]
	v_subrev_u32_e32 v5, s18, v3
	v_cmp_le_u32_e64 s[0:1], s18, v3
	s_nop 1
	v_cndmask_b32_e64 v3, v3, v5, s[0:1]
	v_xor_b32_e32 v3, v3, v4
	v_sub_u32_e32 v3, v3, v4
	v_cmp_eq_u32_e64 s[0:1], 0, v3
	s_or_b64 s[0:1], s[0:1], s[2:3]
	s_and_saveexec_b64 s[14:15], s[0:1]
	s_cbranch_execz .LBB131_48
; %bb.50:                               ;   in Loop: Header=BB131_49 Depth=1
	global_load_dword v34, v[16:17], off
	ds_read2_b64 v[6:9], v26 offset1:1
	ds_read2_b64 v[2:5], v26 offset0:2 offset1:3
                                        ; implicit-def: $vgpr27
	s_waitcnt lgkmcnt(1)
	v_and_b32_e32 v19, 0x7f800000, v6
	v_cmp_ne_u32_e64 s[0:1], s24, v19
	s_and_saveexec_b64 s[2:3], s[0:1]
	s_xor_b64 s[0:1], exec, s[2:3]
; %bb.51:                               ;   in Loop: Header=BB131_49 Depth=1
	v_bfe_u32 v19, v6, 16, 1
	v_add3_u32 v27, v6, v19, s25
; %bb.52:                               ;   in Loop: Header=BB131_49 Depth=1
	s_andn2_saveexec_b64 s[2:3], s[0:1]
; %bb.53:                               ;   in Loop: Header=BB131_49 Depth=1
	v_or_b32_e32 v19, 0x10000, v6
	v_cmp_eq_u32_sdwa s[0:1], v6, v13 src0_sel:WORD_0 src1_sel:DWORD
	s_nop 1
	v_cndmask_b32_e64 v27, v19, v6, s[0:1]
; %bb.54:                               ;   in Loop: Header=BB131_49 Depth=1
	s_or_b64 exec, exec, s[2:3]
	v_and_b32_e32 v6, 0x7f800000, v7
	v_cmp_ne_u32_e64 s[0:1], s24, v6
                                        ; implicit-def: $vgpr28
	s_and_saveexec_b64 s[2:3], s[0:1]
	s_xor_b64 s[0:1], exec, s[2:3]
; %bb.55:                               ;   in Loop: Header=BB131_49 Depth=1
	v_bfe_u32 v6, v7, 16, 1
	v_add3_u32 v28, v7, v6, s25
; %bb.56:                               ;   in Loop: Header=BB131_49 Depth=1
	s_andn2_saveexec_b64 s[2:3], s[0:1]
; %bb.57:                               ;   in Loop: Header=BB131_49 Depth=1
	v_or_b32_e32 v6, 0x10000, v7
	v_cmp_eq_u32_sdwa s[0:1], v7, v13 src0_sel:WORD_0 src1_sel:DWORD
	s_nop 1
	v_cndmask_b32_e64 v28, v6, v7, s[0:1]
; %bb.58:                               ;   in Loop: Header=BB131_49 Depth=1
	s_or_b64 exec, exec, s[2:3]
	v_and_b32_e32 v6, 0x7f800000, v8
	v_cmp_ne_u32_e64 s[0:1], s24, v6
                                        ; implicit-def: $vgpr29
	s_and_saveexec_b64 s[2:3], s[0:1]
	s_xor_b64 s[0:1], exec, s[2:3]
; %bb.59:                               ;   in Loop: Header=BB131_49 Depth=1
	v_bfe_u32 v6, v8, 16, 1
	v_add3_u32 v29, v8, v6, s25
; %bb.60:                               ;   in Loop: Header=BB131_49 Depth=1
	s_andn2_saveexec_b64 s[2:3], s[0:1]
; %bb.61:                               ;   in Loop: Header=BB131_49 Depth=1
	v_or_b32_e32 v6, 0x10000, v8
	v_cmp_eq_u32_sdwa s[0:1], v8, v13 src0_sel:WORD_0 src1_sel:DWORD
	s_nop 1
	v_cndmask_b32_e64 v29, v6, v8, s[0:1]
; %bb.62:                               ;   in Loop: Header=BB131_49 Depth=1
	s_or_b64 exec, exec, s[2:3]
	v_and_b32_e32 v6, 0x7f800000, v9
	v_cmp_ne_u32_e64 s[0:1], s24, v6
                                        ; implicit-def: $vgpr30
	s_and_saveexec_b64 s[2:3], s[0:1]
	s_xor_b64 s[0:1], exec, s[2:3]
; %bb.63:                               ;   in Loop: Header=BB131_49 Depth=1
	v_bfe_u32 v6, v9, 16, 1
	v_add3_u32 v30, v9, v6, s25
                                        ; implicit-def: $vgpr6_vgpr7_vgpr8_vgpr9
; %bb.64:                               ;   in Loop: Header=BB131_49 Depth=1
	s_andn2_saveexec_b64 s[2:3], s[0:1]
; %bb.65:                               ;   in Loop: Header=BB131_49 Depth=1
	v_or_b32_e32 v6, 0x10000, v9
	v_cmp_eq_u32_sdwa s[0:1], v9, v13 src0_sel:WORD_0 src1_sel:DWORD
	s_nop 1
	v_cndmask_b32_e64 v30, v6, v9, s[0:1]
; %bb.66:                               ;   in Loop: Header=BB131_49 Depth=1
	s_or_b64 exec, exec, s[2:3]
	s_waitcnt lgkmcnt(0)
	v_and_b32_e32 v6, 0x7f800000, v2
	v_cmp_ne_u32_e64 s[0:1], s24, v6
                                        ; implicit-def: $vgpr31
	s_and_saveexec_b64 s[2:3], s[0:1]
	s_xor_b64 s[0:1], exec, s[2:3]
; %bb.67:                               ;   in Loop: Header=BB131_49 Depth=1
	v_bfe_u32 v6, v2, 16, 1
	v_add3_u32 v31, v2, v6, s25
; %bb.68:                               ;   in Loop: Header=BB131_49 Depth=1
	s_andn2_saveexec_b64 s[2:3], s[0:1]
; %bb.69:                               ;   in Loop: Header=BB131_49 Depth=1
	v_or_b32_e32 v6, 0x10000, v2
	v_cmp_eq_u32_sdwa s[0:1], v2, v13 src0_sel:WORD_0 src1_sel:DWORD
	s_nop 1
	v_cndmask_b32_e64 v31, v6, v2, s[0:1]
; %bb.70:                               ;   in Loop: Header=BB131_49 Depth=1
	s_or_b64 exec, exec, s[2:3]
	v_and_b32_e32 v2, 0x7f800000, v3
	v_cmp_ne_u32_e64 s[0:1], s24, v2
                                        ; implicit-def: $vgpr32
	s_and_saveexec_b64 s[2:3], s[0:1]
	s_xor_b64 s[0:1], exec, s[2:3]
; %bb.71:                               ;   in Loop: Header=BB131_49 Depth=1
	v_bfe_u32 v2, v3, 16, 1
	v_add3_u32 v32, v3, v2, s25
; %bb.72:                               ;   in Loop: Header=BB131_49 Depth=1
	s_andn2_saveexec_b64 s[2:3], s[0:1]
; %bb.73:                               ;   in Loop: Header=BB131_49 Depth=1
	v_or_b32_e32 v2, 0x10000, v3
	v_cmp_eq_u32_sdwa s[0:1], v3, v13 src0_sel:WORD_0 src1_sel:DWORD
	s_nop 1
	v_cndmask_b32_e64 v32, v2, v3, s[0:1]
; %bb.74:                               ;   in Loop: Header=BB131_49 Depth=1
	s_or_b64 exec, exec, s[2:3]
	v_and_b32_e32 v2, 0x7f800000, v4
	v_cmp_ne_u32_e64 s[0:1], s24, v2
                                        ; implicit-def: $vgpr33
	s_and_saveexec_b64 s[2:3], s[0:1]
	s_xor_b64 s[0:1], exec, s[2:3]
; %bb.75:                               ;   in Loop: Header=BB131_49 Depth=1
	v_bfe_u32 v2, v4, 16, 1
	v_add3_u32 v33, v4, v2, s25
; %bb.76:                               ;   in Loop: Header=BB131_49 Depth=1
	s_andn2_saveexec_b64 s[2:3], s[0:1]
; %bb.77:                               ;   in Loop: Header=BB131_49 Depth=1
	v_or_b32_e32 v2, 0x10000, v4
	v_cmp_eq_u32_sdwa s[0:1], v4, v13 src0_sel:WORD_0 src1_sel:DWORD
	s_nop 1
	v_cndmask_b32_e64 v33, v2, v4, s[0:1]
; %bb.78:                               ;   in Loop: Header=BB131_49 Depth=1
	s_or_b64 exec, exec, s[2:3]
	v_and_b32_e32 v2, 0x7f800000, v5
	v_cmp_ne_u32_e64 s[0:1], s24, v2
                                        ; implicit-def: $vgpr19
	s_and_saveexec_b64 s[2:3], s[0:1]
	s_xor_b64 s[0:1], exec, s[2:3]
; %bb.79:                               ;   in Loop: Header=BB131_49 Depth=1
	v_bfe_u32 v2, v5, 16, 1
	v_add3_u32 v19, v5, v2, s25
                                        ; implicit-def: $vgpr2_vgpr3_vgpr4_vgpr5
; %bb.80:                               ;   in Loop: Header=BB131_49 Depth=1
	s_andn2_saveexec_b64 s[2:3], s[0:1]
; %bb.81:                               ;   in Loop: Header=BB131_49 Depth=1
	v_or_b32_e32 v2, 0x10000, v5
	v_cmp_eq_u32_sdwa s[0:1], v5, v13 src0_sel:WORD_0 src1_sel:DWORD
	s_nop 1
	v_cndmask_b32_e64 v19, v2, v5, s[0:1]
; %bb.82:                               ;   in Loop: Header=BB131_49 Depth=1
	s_or_b64 exec, exec, s[2:3]
	s_waitcnt vmcnt(0)
	v_mad_i64_i32 v[2:3], s[0:1], v34, s28, 0
	v_lshl_add_u64 v[6:7], v[2:3], 1, s[6:7]
	v_lshl_add_u64 v[8:9], v[6:7], 0, v[12:13]
	global_load_dwordx4 v[2:5], v[8:9], off
	v_add_u32_e32 v34, v24, v20
	v_cmp_eq_u32_e64 s[0:1], s29, v1
	s_waitcnt vmcnt(0)
	v_lshrrev_b32_e32 v38, 16, v2
	v_lshrrev_b32_e32 v40, 16, v3
	v_lshrrev_b32_e32 v42, 16, v4
	v_lshrrev_b32_e32 v35, 16, v5
	s_and_saveexec_b64 s[16:17], s[0:1]
	s_cbranch_execz .LBB131_84
; %bb.83:                               ;   in Loop: Header=BB131_49 Depth=1
	v_cmp_gt_i32_e64 s[2:3], s33, v34
	v_add_u32_e32 v36, 1, v34
	s_nop 0
	v_cndmask_b32_e64 v2, 0, v2, s[2:3]
	v_cmp_gt_i32_e64 s[2:3], s33, v36
	v_add_u32_e32 v36, 2, v34
	s_nop 0
	v_cndmask_b32_e64 v38, 0, v38, s[2:3]
	;; [unrolled: 4-line block ×7, first 2 shown]
	v_cmp_gt_i32_e64 s[2:3], s33, v36
	s_nop 1
	v_cndmask_b32_e64 v35, 0, v35, s[2:3]
.LBB131_84:                             ;   in Loop: Header=BB131_49 Depth=1
	s_or_b64 exec, exec, s[16:17]
	v_and_b32_e32 v36, 0xffff0000, v27
	v_lshlrev_b32_e32 v2, 16, v2
	v_mul_f32_e32 v2, v36, v2
	v_and_b32_e32 v27, 0x7f800000, v2
	v_cmp_ne_u32_e64 s[2:3], s24, v27
                                        ; implicit-def: $vgpr27
	s_and_saveexec_b64 s[16:17], s[2:3]
	s_xor_b64 s[2:3], exec, s[16:17]
; %bb.85:                               ;   in Loop: Header=BB131_49 Depth=1
	v_bfe_u32 v27, v2, 16, 1
	v_add3_u32 v27, v2, v27, s25
                                        ; implicit-def: $vgpr2
; %bb.86:                               ;   in Loop: Header=BB131_49 Depth=1
	s_andn2_saveexec_b64 s[16:17], s[2:3]
; %bb.87:                               ;   in Loop: Header=BB131_49 Depth=1
	v_or_b32_e32 v27, 0x10000, v2
	v_cmp_eq_u32_sdwa s[2:3], v2, v13 src0_sel:WORD_0 src1_sel:DWORD
	s_nop 1
	v_cndmask_b32_e64 v27, v27, v2, s[2:3]
; %bb.88:                               ;   in Loop: Header=BB131_49 Depth=1
	s_or_b64 exec, exec, s[16:17]
	v_and_b32_e32 v37, 0xffff0000, v28
	v_lshlrev_b32_e32 v2, 16, v38
	v_mul_f32_e32 v2, v37, v2
	v_and_b32_e32 v28, 0x7f800000, v2
	v_cmp_ne_u32_e64 s[2:3], s24, v28
                                        ; implicit-def: $vgpr28
	s_and_saveexec_b64 s[16:17], s[2:3]
	s_xor_b64 s[2:3], exec, s[16:17]
; %bb.89:                               ;   in Loop: Header=BB131_49 Depth=1
	v_bfe_u32 v28, v2, 16, 1
	v_add3_u32 v28, v2, v28, s25
                                        ; implicit-def: $vgpr2
; %bb.90:                               ;   in Loop: Header=BB131_49 Depth=1
	s_andn2_saveexec_b64 s[16:17], s[2:3]
; %bb.91:                               ;   in Loop: Header=BB131_49 Depth=1
	v_or_b32_e32 v28, 0x10000, v2
	v_cmp_eq_u32_sdwa s[2:3], v2, v13 src0_sel:WORD_0 src1_sel:DWORD
	s_nop 1
	v_cndmask_b32_e64 v28, v28, v2, s[2:3]
; %bb.92:                               ;   in Loop: Header=BB131_49 Depth=1
	s_or_b64 exec, exec, s[16:17]
	v_and_b32_e32 v38, 0xffff0000, v29
	v_lshlrev_b32_e32 v2, 16, v3
	v_mul_f32_e32 v2, v38, v2
	v_and_b32_e32 v3, 0x7f800000, v2
	v_cmp_ne_u32_e64 s[2:3], s24, v3
                                        ; implicit-def: $vgpr29
	s_and_saveexec_b64 s[16:17], s[2:3]
	s_xor_b64 s[2:3], exec, s[16:17]
; %bb.93:                               ;   in Loop: Header=BB131_49 Depth=1
	v_bfe_u32 v3, v2, 16, 1
	v_add3_u32 v29, v2, v3, s25
                                        ; implicit-def: $vgpr2
; %bb.94:                               ;   in Loop: Header=BB131_49 Depth=1
	s_andn2_saveexec_b64 s[16:17], s[2:3]
; %bb.95:                               ;   in Loop: Header=BB131_49 Depth=1
	v_or_b32_e32 v3, 0x10000, v2
	v_cmp_eq_u32_sdwa s[2:3], v2, v13 src0_sel:WORD_0 src1_sel:DWORD
	s_nop 1
	v_cndmask_b32_e64 v29, v3, v2, s[2:3]
; %bb.96:                               ;   in Loop: Header=BB131_49 Depth=1
	s_or_b64 exec, exec, s[16:17]
	v_and_b32_e32 v39, 0xffff0000, v30
	v_lshlrev_b32_e32 v2, 16, v40
	v_mul_f32_e32 v2, v39, v2
	v_and_b32_e32 v3, 0x7f800000, v2
	v_cmp_ne_u32_e64 s[2:3], s24, v3
                                        ; implicit-def: $vgpr30
	s_and_saveexec_b64 s[16:17], s[2:3]
	s_xor_b64 s[2:3], exec, s[16:17]
; %bb.97:                               ;   in Loop: Header=BB131_49 Depth=1
	v_bfe_u32 v3, v2, 16, 1
	v_add3_u32 v30, v2, v3, s25
                                        ; implicit-def: $vgpr2
; %bb.98:                               ;   in Loop: Header=BB131_49 Depth=1
	s_andn2_saveexec_b64 s[16:17], s[2:3]
; %bb.99:                               ;   in Loop: Header=BB131_49 Depth=1
	v_or_b32_e32 v3, 0x10000, v2
	v_cmp_eq_u32_sdwa s[2:3], v2, v13 src0_sel:WORD_0 src1_sel:DWORD
	s_nop 1
	v_cndmask_b32_e64 v30, v3, v2, s[2:3]
; %bb.100:                              ;   in Loop: Header=BB131_49 Depth=1
	s_or_b64 exec, exec, s[16:17]
	v_and_b32_e32 v40, 0xffff0000, v31
	v_lshlrev_b32_e32 v2, 16, v4
	v_mul_f32_e32 v2, v40, v2
	v_and_b32_e32 v3, 0x7f800000, v2
	v_cmp_ne_u32_e64 s[2:3], s24, v3
                                        ; implicit-def: $vgpr31
	s_and_saveexec_b64 s[16:17], s[2:3]
	s_xor_b64 s[2:3], exec, s[16:17]
; %bb.101:                              ;   in Loop: Header=BB131_49 Depth=1
	v_bfe_u32 v3, v2, 16, 1
	v_add3_u32 v31, v2, v3, s25
                                        ; implicit-def: $vgpr2
; %bb.102:                              ;   in Loop: Header=BB131_49 Depth=1
	s_andn2_saveexec_b64 s[16:17], s[2:3]
; %bb.103:                              ;   in Loop: Header=BB131_49 Depth=1
	v_or_b32_e32 v3, 0x10000, v2
	v_cmp_eq_u32_sdwa s[2:3], v2, v13 src0_sel:WORD_0 src1_sel:DWORD
	s_nop 1
	v_cndmask_b32_e64 v31, v3, v2, s[2:3]
; %bb.104:                              ;   in Loop: Header=BB131_49 Depth=1
	s_or_b64 exec, exec, s[16:17]
	v_and_b32_e32 v41, 0xffff0000, v32
	v_lshlrev_b32_e32 v2, 16, v42
	v_mul_f32_e32 v2, v41, v2
	v_and_b32_e32 v3, 0x7f800000, v2
	v_cmp_ne_u32_e64 s[2:3], s24, v3
                                        ; implicit-def: $vgpr32
	s_and_saveexec_b64 s[16:17], s[2:3]
	s_xor_b64 s[2:3], exec, s[16:17]
; %bb.105:                              ;   in Loop: Header=BB131_49 Depth=1
	v_bfe_u32 v3, v2, 16, 1
	v_add3_u32 v32, v2, v3, s25
                                        ; implicit-def: $vgpr2
; %bb.106:                              ;   in Loop: Header=BB131_49 Depth=1
	s_andn2_saveexec_b64 s[16:17], s[2:3]
; %bb.107:                              ;   in Loop: Header=BB131_49 Depth=1
	v_or_b32_e32 v3, 0x10000, v2
	v_cmp_eq_u32_sdwa s[2:3], v2, v13 src0_sel:WORD_0 src1_sel:DWORD
	s_nop 1
	v_cndmask_b32_e64 v32, v3, v2, s[2:3]
; %bb.108:                              ;   in Loop: Header=BB131_49 Depth=1
	s_or_b64 exec, exec, s[16:17]
	v_and_b32_e32 v42, 0xffff0000, v33
	v_lshlrev_b32_e32 v2, 16, v5
	v_mul_f32_e32 v2, v42, v2
	v_and_b32_e32 v3, 0x7f800000, v2
	v_cmp_ne_u32_e64 s[2:3], s24, v3
                                        ; implicit-def: $vgpr33
	s_and_saveexec_b64 s[16:17], s[2:3]
	s_xor_b64 s[2:3], exec, s[16:17]
; %bb.109:                              ;   in Loop: Header=BB131_49 Depth=1
	v_bfe_u32 v3, v2, 16, 1
	v_add3_u32 v33, v2, v3, s25
                                        ; implicit-def: $vgpr2
; %bb.110:                              ;   in Loop: Header=BB131_49 Depth=1
	s_andn2_saveexec_b64 s[16:17], s[2:3]
; %bb.111:                              ;   in Loop: Header=BB131_49 Depth=1
	v_or_b32_e32 v3, 0x10000, v2
	v_cmp_eq_u32_sdwa s[2:3], v2, v13 src0_sel:WORD_0 src1_sel:DWORD
	s_nop 1
	v_cndmask_b32_e64 v33, v3, v2, s[2:3]
; %bb.112:                              ;   in Loop: Header=BB131_49 Depth=1
	s_or_b64 exec, exec, s[16:17]
	v_and_b32_e32 v43, 0xffff0000, v19
	v_lshlrev_b32_e32 v2, 16, v35
	v_mul_f32_e32 v2, v43, v2
	v_and_b32_e32 v3, 0x7f800000, v2
	v_cmp_ne_u32_e64 s[2:3], s24, v3
                                        ; implicit-def: $vgpr35
	s_and_saveexec_b64 s[16:17], s[2:3]
	s_xor_b64 s[2:3], exec, s[16:17]
; %bb.113:                              ;   in Loop: Header=BB131_49 Depth=1
	v_bfe_u32 v3, v2, 16, 1
	v_add3_u32 v35, v2, v3, s25
                                        ; implicit-def: $vgpr2
; %bb.114:                              ;   in Loop: Header=BB131_49 Depth=1
	s_andn2_saveexec_b64 s[16:17], s[2:3]
; %bb.115:                              ;   in Loop: Header=BB131_49 Depth=1
	v_or_b32_e32 v3, 0x10000, v2
	v_cmp_eq_u32_sdwa s[2:3], v2, v13 src0_sel:WORD_0 src1_sel:DWORD
	s_nop 1
	v_cndmask_b32_e64 v35, v3, v2, s[2:3]
; %bb.116:                              ;   in Loop: Header=BB131_49 Depth=1
	s_or_b64 exec, exec, s[16:17]
	global_load_dwordx4 v[2:5], v[8:9], off offset:1024
	s_waitcnt vmcnt(0)
	v_lshrrev_b32_e32 v45, 16, v2
	v_lshrrev_b32_e32 v47, 16, v3
	;; [unrolled: 1-line block ×4, first 2 shown]
	s_and_saveexec_b64 s[16:17], s[0:1]
	s_cbranch_execz .LBB131_118
; %bb.117:                              ;   in Loop: Header=BB131_49 Depth=1
	v_cmp_gt_i32_e64 s[2:3], s33, v34
	v_add_u32_e32 v44, 1, v34
	s_nop 0
	v_cndmask_b32_e64 v2, 0, v2, s[2:3]
	v_cmp_gt_i32_e64 s[2:3], s33, v44
	v_add_u32_e32 v44, 2, v34
	s_nop 0
	v_cndmask_b32_e64 v45, 0, v45, s[2:3]
	;; [unrolled: 4-line block ×7, first 2 shown]
	v_cmp_gt_i32_e64 s[2:3], s33, v44
	s_nop 1
	v_cndmask_b32_e64 v19, 0, v19, s[2:3]
.LBB131_118:                            ;   in Loop: Header=BB131_49 Depth=1
	s_or_b64 exec, exec, s[16:17]
	v_lshlrev_b32_e32 v2, 16, v2
	v_mul_f32_e32 v2, v36, v2
	v_and_b32_e32 v44, 0x7f800000, v2
	v_cmp_ne_u32_e64 s[2:3], s24, v44
                                        ; implicit-def: $vgpr44
	s_and_saveexec_b64 s[16:17], s[2:3]
	s_xor_b64 s[2:3], exec, s[16:17]
; %bb.119:                              ;   in Loop: Header=BB131_49 Depth=1
	v_bfe_u32 v44, v2, 16, 1
	v_add3_u32 v44, v2, v44, s25
                                        ; implicit-def: $vgpr2
; %bb.120:                              ;   in Loop: Header=BB131_49 Depth=1
	s_andn2_saveexec_b64 s[16:17], s[2:3]
; %bb.121:                              ;   in Loop: Header=BB131_49 Depth=1
	v_or_b32_e32 v44, 0x10000, v2
	v_cmp_eq_u32_sdwa s[2:3], v2, v13 src0_sel:WORD_0 src1_sel:DWORD
	s_nop 1
	v_cndmask_b32_e64 v44, v44, v2, s[2:3]
; %bb.122:                              ;   in Loop: Header=BB131_49 Depth=1
	s_or_b64 exec, exec, s[16:17]
	v_lshlrev_b32_e32 v2, 16, v45
	v_mul_f32_e32 v2, v37, v2
	v_and_b32_e32 v45, 0x7f800000, v2
	v_cmp_ne_u32_e64 s[2:3], s24, v45
                                        ; implicit-def: $vgpr45
	s_and_saveexec_b64 s[16:17], s[2:3]
	s_xor_b64 s[2:3], exec, s[16:17]
; %bb.123:                              ;   in Loop: Header=BB131_49 Depth=1
	v_bfe_u32 v45, v2, 16, 1
	v_add3_u32 v45, v2, v45, s25
                                        ; implicit-def: $vgpr2
; %bb.124:                              ;   in Loop: Header=BB131_49 Depth=1
	s_andn2_saveexec_b64 s[16:17], s[2:3]
; %bb.125:                              ;   in Loop: Header=BB131_49 Depth=1
	v_or_b32_e32 v45, 0x10000, v2
	v_cmp_eq_u32_sdwa s[2:3], v2, v13 src0_sel:WORD_0 src1_sel:DWORD
	s_nop 1
	v_cndmask_b32_e64 v45, v45, v2, s[2:3]
; %bb.126:                              ;   in Loop: Header=BB131_49 Depth=1
	s_or_b64 exec, exec, s[16:17]
	v_lshlrev_b32_e32 v2, 16, v3
	v_mul_f32_e32 v2, v38, v2
	v_and_b32_e32 v3, 0x7f800000, v2
	v_cmp_ne_u32_e64 s[2:3], s24, v3
                                        ; implicit-def: $vgpr46
	s_and_saveexec_b64 s[16:17], s[2:3]
	s_xor_b64 s[2:3], exec, s[16:17]
; %bb.127:                              ;   in Loop: Header=BB131_49 Depth=1
	v_bfe_u32 v3, v2, 16, 1
	v_add3_u32 v46, v2, v3, s25
                                        ; implicit-def: $vgpr2
; %bb.128:                              ;   in Loop: Header=BB131_49 Depth=1
	s_andn2_saveexec_b64 s[16:17], s[2:3]
; %bb.129:                              ;   in Loop: Header=BB131_49 Depth=1
	v_or_b32_e32 v3, 0x10000, v2
	v_cmp_eq_u32_sdwa s[2:3], v2, v13 src0_sel:WORD_0 src1_sel:DWORD
	s_nop 1
	v_cndmask_b32_e64 v46, v3, v2, s[2:3]
; %bb.130:                              ;   in Loop: Header=BB131_49 Depth=1
	s_or_b64 exec, exec, s[16:17]
	v_lshlrev_b32_e32 v2, 16, v47
	v_mul_f32_e32 v2, v39, v2
	v_and_b32_e32 v3, 0x7f800000, v2
	v_cmp_ne_u32_e64 s[2:3], s24, v3
                                        ; implicit-def: $vgpr47
	s_and_saveexec_b64 s[16:17], s[2:3]
	s_xor_b64 s[2:3], exec, s[16:17]
; %bb.131:                              ;   in Loop: Header=BB131_49 Depth=1
	v_bfe_u32 v3, v2, 16, 1
	v_add3_u32 v47, v2, v3, s25
                                        ; implicit-def: $vgpr2
; %bb.132:                              ;   in Loop: Header=BB131_49 Depth=1
	s_andn2_saveexec_b64 s[16:17], s[2:3]
; %bb.133:                              ;   in Loop: Header=BB131_49 Depth=1
	v_or_b32_e32 v3, 0x10000, v2
	v_cmp_eq_u32_sdwa s[2:3], v2, v13 src0_sel:WORD_0 src1_sel:DWORD
	s_nop 1
	v_cndmask_b32_e64 v47, v3, v2, s[2:3]
; %bb.134:                              ;   in Loop: Header=BB131_49 Depth=1
	s_or_b64 exec, exec, s[16:17]
	v_lshlrev_b32_e32 v2, 16, v4
	v_mul_f32_e32 v2, v40, v2
	v_and_b32_e32 v3, 0x7f800000, v2
	v_cmp_ne_u32_e64 s[2:3], s24, v3
                                        ; implicit-def: $vgpr48
	s_and_saveexec_b64 s[16:17], s[2:3]
	s_xor_b64 s[2:3], exec, s[16:17]
; %bb.135:                              ;   in Loop: Header=BB131_49 Depth=1
	v_bfe_u32 v3, v2, 16, 1
	v_add3_u32 v48, v2, v3, s25
                                        ; implicit-def: $vgpr2
; %bb.136:                              ;   in Loop: Header=BB131_49 Depth=1
	s_andn2_saveexec_b64 s[16:17], s[2:3]
; %bb.137:                              ;   in Loop: Header=BB131_49 Depth=1
	v_or_b32_e32 v3, 0x10000, v2
	v_cmp_eq_u32_sdwa s[2:3], v2, v13 src0_sel:WORD_0 src1_sel:DWORD
	s_nop 1
	v_cndmask_b32_e64 v48, v3, v2, s[2:3]
; %bb.138:                              ;   in Loop: Header=BB131_49 Depth=1
	s_or_b64 exec, exec, s[16:17]
	v_lshlrev_b32_e32 v2, 16, v49
	v_mul_f32_e32 v2, v41, v2
	v_and_b32_e32 v3, 0x7f800000, v2
	v_cmp_ne_u32_e64 s[2:3], s24, v3
                                        ; implicit-def: $vgpr49
	s_and_saveexec_b64 s[16:17], s[2:3]
	s_xor_b64 s[2:3], exec, s[16:17]
; %bb.139:                              ;   in Loop: Header=BB131_49 Depth=1
	v_bfe_u32 v3, v2, 16, 1
	v_add3_u32 v49, v2, v3, s25
                                        ; implicit-def: $vgpr2
; %bb.140:                              ;   in Loop: Header=BB131_49 Depth=1
	s_andn2_saveexec_b64 s[16:17], s[2:3]
; %bb.141:                              ;   in Loop: Header=BB131_49 Depth=1
	v_or_b32_e32 v3, 0x10000, v2
	v_cmp_eq_u32_sdwa s[2:3], v2, v13 src0_sel:WORD_0 src1_sel:DWORD
	s_nop 1
	v_cndmask_b32_e64 v49, v3, v2, s[2:3]
; %bb.142:                              ;   in Loop: Header=BB131_49 Depth=1
	s_or_b64 exec, exec, s[16:17]
	v_lshlrev_b32_e32 v2, 16, v5
	v_mul_f32_e32 v2, v42, v2
	v_and_b32_e32 v3, 0x7f800000, v2
	v_cmp_ne_u32_e64 s[2:3], s24, v3
                                        ; implicit-def: $vgpr50
	s_and_saveexec_b64 s[16:17], s[2:3]
	s_xor_b64 s[2:3], exec, s[16:17]
; %bb.143:                              ;   in Loop: Header=BB131_49 Depth=1
	v_bfe_u32 v3, v2, 16, 1
	v_add3_u32 v50, v2, v3, s25
                                        ; implicit-def: $vgpr2
; %bb.144:                              ;   in Loop: Header=BB131_49 Depth=1
	s_andn2_saveexec_b64 s[16:17], s[2:3]
; %bb.145:                              ;   in Loop: Header=BB131_49 Depth=1
	v_or_b32_e32 v3, 0x10000, v2
	v_cmp_eq_u32_sdwa s[2:3], v2, v13 src0_sel:WORD_0 src1_sel:DWORD
	s_nop 1
	v_cndmask_b32_e64 v50, v3, v2, s[2:3]
; %bb.146:                              ;   in Loop: Header=BB131_49 Depth=1
	s_or_b64 exec, exec, s[16:17]
	v_lshlrev_b32_e32 v2, 16, v19
	v_mul_f32_e32 v2, v43, v2
	v_and_b32_e32 v3, 0x7f800000, v2
	v_cmp_ne_u32_e64 s[2:3], s24, v3
                                        ; implicit-def: $vgpr51
	s_and_saveexec_b64 s[16:17], s[2:3]
	s_xor_b64 s[2:3], exec, s[16:17]
; %bb.147:                              ;   in Loop: Header=BB131_49 Depth=1
	v_bfe_u32 v3, v2, 16, 1
	v_add3_u32 v51, v2, v3, s25
                                        ; implicit-def: $vgpr2
; %bb.148:                              ;   in Loop: Header=BB131_49 Depth=1
	s_andn2_saveexec_b64 s[16:17], s[2:3]
; %bb.149:                              ;   in Loop: Header=BB131_49 Depth=1
	v_or_b32_e32 v3, 0x10000, v2
	v_cmp_eq_u32_sdwa s[2:3], v2, v13 src0_sel:WORD_0 src1_sel:DWORD
	s_nop 1
	v_cndmask_b32_e64 v51, v3, v2, s[2:3]
; %bb.150:                              ;   in Loop: Header=BB131_49 Depth=1
	s_or_b64 exec, exec, s[16:17]
	global_load_dwordx4 v[2:5], v[8:9], off offset:2048
	s_waitcnt vmcnt(0)
	v_lshrrev_b32_e32 v9, 16, v2
	v_lshrrev_b32_e32 v53, 16, v3
	;; [unrolled: 1-line block ×4, first 2 shown]
	s_and_saveexec_b64 s[16:17], s[0:1]
	s_cbranch_execz .LBB131_152
; %bb.151:                              ;   in Loop: Header=BB131_49 Depth=1
	v_cmp_gt_i32_e64 s[2:3], s33, v34
	v_add_u32_e32 v8, 1, v34
	s_nop 0
	v_cndmask_b32_e64 v2, 0, v2, s[2:3]
	v_cmp_gt_i32_e64 s[2:3], s33, v8
	v_add_u32_e32 v8, 2, v34
	s_nop 0
	v_cndmask_b32_e64 v9, 0, v9, s[2:3]
	;; [unrolled: 4-line block ×7, first 2 shown]
	v_cmp_gt_i32_e64 s[2:3], s33, v8
	s_nop 1
	v_cndmask_b32_e64 v19, 0, v19, s[2:3]
.LBB131_152:                            ;   in Loop: Header=BB131_49 Depth=1
	s_or_b64 exec, exec, s[16:17]
	v_lshlrev_b32_e32 v2, 16, v2
	v_mul_f32_e32 v2, v36, v2
	v_and_b32_e32 v8, 0x7f800000, v2
	v_cmp_ne_u32_e64 s[2:3], s24, v8
                                        ; implicit-def: $vgpr8
	s_and_saveexec_b64 s[16:17], s[2:3]
	s_xor_b64 s[2:3], exec, s[16:17]
; %bb.153:                              ;   in Loop: Header=BB131_49 Depth=1
	v_bfe_u32 v8, v2, 16, 1
	v_add3_u32 v8, v2, v8, s25
                                        ; implicit-def: $vgpr2
; %bb.154:                              ;   in Loop: Header=BB131_49 Depth=1
	s_andn2_saveexec_b64 s[16:17], s[2:3]
; %bb.155:                              ;   in Loop: Header=BB131_49 Depth=1
	v_or_b32_e32 v8, 0x10000, v2
	v_cmp_eq_u32_sdwa s[2:3], v2, v13 src0_sel:WORD_0 src1_sel:DWORD
	s_nop 1
	v_cndmask_b32_e64 v8, v8, v2, s[2:3]
; %bb.156:                              ;   in Loop: Header=BB131_49 Depth=1
	s_or_b64 exec, exec, s[16:17]
	v_lshlrev_b32_e32 v2, 16, v9
	v_mul_f32_e32 v2, v37, v2
	v_and_b32_e32 v9, 0x7f800000, v2
	v_cmp_ne_u32_e64 s[2:3], s24, v9
                                        ; implicit-def: $vgpr9
	s_and_saveexec_b64 s[16:17], s[2:3]
	s_xor_b64 s[2:3], exec, s[16:17]
; %bb.157:                              ;   in Loop: Header=BB131_49 Depth=1
	v_bfe_u32 v9, v2, 16, 1
	v_add3_u32 v9, v2, v9, s25
                                        ; implicit-def: $vgpr2
; %bb.158:                              ;   in Loop: Header=BB131_49 Depth=1
	s_andn2_saveexec_b64 s[16:17], s[2:3]
; %bb.159:                              ;   in Loop: Header=BB131_49 Depth=1
	v_or_b32_e32 v9, 0x10000, v2
	v_cmp_eq_u32_sdwa s[2:3], v2, v13 src0_sel:WORD_0 src1_sel:DWORD
	s_nop 1
	v_cndmask_b32_e64 v9, v9, v2, s[2:3]
; %bb.160:                              ;   in Loop: Header=BB131_49 Depth=1
	s_or_b64 exec, exec, s[16:17]
	v_lshlrev_b32_e32 v2, 16, v3
	v_mul_f32_e32 v2, v38, v2
	v_and_b32_e32 v3, 0x7f800000, v2
	v_cmp_ne_u32_e64 s[2:3], s24, v3
                                        ; implicit-def: $vgpr52
	s_and_saveexec_b64 s[16:17], s[2:3]
	s_xor_b64 s[2:3], exec, s[16:17]
; %bb.161:                              ;   in Loop: Header=BB131_49 Depth=1
	v_bfe_u32 v3, v2, 16, 1
	v_add3_u32 v52, v2, v3, s25
                                        ; implicit-def: $vgpr2
; %bb.162:                              ;   in Loop: Header=BB131_49 Depth=1
	s_andn2_saveexec_b64 s[16:17], s[2:3]
; %bb.163:                              ;   in Loop: Header=BB131_49 Depth=1
	v_or_b32_e32 v3, 0x10000, v2
	v_cmp_eq_u32_sdwa s[2:3], v2, v13 src0_sel:WORD_0 src1_sel:DWORD
	s_nop 1
	v_cndmask_b32_e64 v52, v3, v2, s[2:3]
; %bb.164:                              ;   in Loop: Header=BB131_49 Depth=1
	s_or_b64 exec, exec, s[16:17]
	v_lshlrev_b32_e32 v2, 16, v53
	v_mul_f32_e32 v2, v39, v2
	v_and_b32_e32 v3, 0x7f800000, v2
	v_cmp_ne_u32_e64 s[2:3], s24, v3
                                        ; implicit-def: $vgpr53
	s_and_saveexec_b64 s[16:17], s[2:3]
	s_xor_b64 s[2:3], exec, s[16:17]
; %bb.165:                              ;   in Loop: Header=BB131_49 Depth=1
	v_bfe_u32 v3, v2, 16, 1
	v_add3_u32 v53, v2, v3, s25
                                        ; implicit-def: $vgpr2
; %bb.166:                              ;   in Loop: Header=BB131_49 Depth=1
	s_andn2_saveexec_b64 s[16:17], s[2:3]
; %bb.167:                              ;   in Loop: Header=BB131_49 Depth=1
	v_or_b32_e32 v3, 0x10000, v2
	v_cmp_eq_u32_sdwa s[2:3], v2, v13 src0_sel:WORD_0 src1_sel:DWORD
	s_nop 1
	v_cndmask_b32_e64 v53, v3, v2, s[2:3]
; %bb.168:                              ;   in Loop: Header=BB131_49 Depth=1
	s_or_b64 exec, exec, s[16:17]
	v_lshlrev_b32_e32 v2, 16, v4
	v_mul_f32_e32 v2, v40, v2
	v_and_b32_e32 v3, 0x7f800000, v2
	v_cmp_ne_u32_e64 s[2:3], s24, v3
                                        ; implicit-def: $vgpr54
	s_and_saveexec_b64 s[16:17], s[2:3]
	s_xor_b64 s[2:3], exec, s[16:17]
; %bb.169:                              ;   in Loop: Header=BB131_49 Depth=1
	v_bfe_u32 v3, v2, 16, 1
	v_add3_u32 v54, v2, v3, s25
                                        ; implicit-def: $vgpr2
; %bb.170:                              ;   in Loop: Header=BB131_49 Depth=1
	s_andn2_saveexec_b64 s[16:17], s[2:3]
; %bb.171:                              ;   in Loop: Header=BB131_49 Depth=1
	v_or_b32_e32 v3, 0x10000, v2
	v_cmp_eq_u32_sdwa s[2:3], v2, v13 src0_sel:WORD_0 src1_sel:DWORD
	s_nop 1
	v_cndmask_b32_e64 v54, v3, v2, s[2:3]
; %bb.172:                              ;   in Loop: Header=BB131_49 Depth=1
	s_or_b64 exec, exec, s[16:17]
	v_lshlrev_b32_e32 v2, 16, v55
	v_mul_f32_e32 v2, v41, v2
	v_and_b32_e32 v3, 0x7f800000, v2
	v_cmp_ne_u32_e64 s[2:3], s24, v3
                                        ; implicit-def: $vgpr55
	s_and_saveexec_b64 s[16:17], s[2:3]
	s_xor_b64 s[2:3], exec, s[16:17]
; %bb.173:                              ;   in Loop: Header=BB131_49 Depth=1
	v_bfe_u32 v3, v2, 16, 1
	v_add3_u32 v55, v2, v3, s25
                                        ; implicit-def: $vgpr2
; %bb.174:                              ;   in Loop: Header=BB131_49 Depth=1
	s_andn2_saveexec_b64 s[16:17], s[2:3]
; %bb.175:                              ;   in Loop: Header=BB131_49 Depth=1
	v_or_b32_e32 v3, 0x10000, v2
	v_cmp_eq_u32_sdwa s[2:3], v2, v13 src0_sel:WORD_0 src1_sel:DWORD
	s_nop 1
	v_cndmask_b32_e64 v55, v3, v2, s[2:3]
; %bb.176:                              ;   in Loop: Header=BB131_49 Depth=1
	s_or_b64 exec, exec, s[16:17]
	v_lshlrev_b32_e32 v2, 16, v5
	v_mul_f32_e32 v2, v42, v2
	v_and_b32_e32 v3, 0x7f800000, v2
	v_cmp_ne_u32_e64 s[2:3], s24, v3
                                        ; implicit-def: $vgpr56
	s_and_saveexec_b64 s[16:17], s[2:3]
	s_xor_b64 s[2:3], exec, s[16:17]
; %bb.177:                              ;   in Loop: Header=BB131_49 Depth=1
	v_bfe_u32 v3, v2, 16, 1
	v_add3_u32 v56, v2, v3, s25
                                        ; implicit-def: $vgpr2
; %bb.178:                              ;   in Loop: Header=BB131_49 Depth=1
	s_andn2_saveexec_b64 s[16:17], s[2:3]
; %bb.179:                              ;   in Loop: Header=BB131_49 Depth=1
	v_or_b32_e32 v3, 0x10000, v2
	v_cmp_eq_u32_sdwa s[2:3], v2, v13 src0_sel:WORD_0 src1_sel:DWORD
	s_nop 1
	v_cndmask_b32_e64 v56, v3, v2, s[2:3]
; %bb.180:                              ;   in Loop: Header=BB131_49 Depth=1
	s_or_b64 exec, exec, s[16:17]
	v_lshlrev_b32_e32 v2, 16, v19
	v_mul_f32_e32 v2, v43, v2
	v_and_b32_e32 v3, 0x7f800000, v2
	v_cmp_ne_u32_e64 s[2:3], s24, v3
                                        ; implicit-def: $vgpr57
	s_and_saveexec_b64 s[16:17], s[2:3]
	s_xor_b64 s[2:3], exec, s[16:17]
	s_cbranch_execnz .LBB131_183
; %bb.181:                              ;   in Loop: Header=BB131_49 Depth=1
	s_andn2_saveexec_b64 s[16:17], s[2:3]
	s_cbranch_execnz .LBB131_184
.LBB131_182:                            ;   in Loop: Header=BB131_49 Depth=1
	s_or_b64 exec, exec, s[16:17]
	s_and_saveexec_b64 s[2:3], vcc
	s_cbranch_execz .LBB131_47
	s_branch .LBB131_185
.LBB131_183:                            ;   in Loop: Header=BB131_49 Depth=1
	v_bfe_u32 v3, v2, 16, 1
	v_add3_u32 v57, v2, v3, s25
                                        ; implicit-def: $vgpr2
	s_andn2_saveexec_b64 s[16:17], s[2:3]
	s_cbranch_execz .LBB131_182
.LBB131_184:                            ;   in Loop: Header=BB131_49 Depth=1
	v_or_b32_e32 v3, 0x10000, v2
	v_cmp_eq_u32_sdwa s[2:3], v2, v13 src0_sel:WORD_0 src1_sel:DWORD
	s_nop 1
	v_cndmask_b32_e64 v57, v3, v2, s[2:3]
	s_or_b64 exec, exec, s[16:17]
	s_and_saveexec_b64 s[2:3], vcc
	s_cbranch_execz .LBB131_47
.LBB131_185:                            ;   in Loop: Header=BB131_49 Depth=1
	v_mov_b32_e32 v19, v13
	v_lshl_add_u64 v[2:3], v[6:7], 0, v[18:19]
	global_load_dwordx4 v[2:5], v[2:3], off
	s_waitcnt vmcnt(0)
	v_lshrrev_b32_e32 v7, 16, v2
	v_lshrrev_b32_e32 v58, 16, v3
	;; [unrolled: 1-line block ×4, first 2 shown]
	s_and_saveexec_b64 s[16:17], s[0:1]
	s_cbranch_execz .LBB131_187
; %bb.186:                              ;   in Loop: Header=BB131_49 Depth=1
	v_cmp_gt_i32_e64 s[0:1], s33, v34
	v_add_u32_e32 v59, 1, v34
	s_nop 0
	v_cndmask_b32_e64 v2, 0, v2, s[0:1]
	v_cmp_gt_i32_e64 s[0:1], s33, v59
	v_add_u32_e32 v59, 2, v34
	s_nop 0
	v_cndmask_b32_e64 v7, 0, v7, s[0:1]
	;; [unrolled: 4-line block ×5, first 2 shown]
	v_cmp_gt_i32_e64 s[0:1], s33, v59
	v_add_u32_e32 v59, 6, v34
	v_add_u32_e32 v34, 7, v34
	v_cndmask_b32_e64 v19, 0, v19, s[0:1]
	v_cmp_gt_i32_e64 s[0:1], s33, v59
	s_nop 1
	v_cndmask_b32_e64 v5, 0, v5, s[0:1]
	v_cmp_gt_i32_e64 s[0:1], s33, v34
	s_nop 1
	v_cndmask_b32_e64 v6, 0, v6, s[0:1]
.LBB131_187:                            ;   in Loop: Header=BB131_49 Depth=1
	s_or_b64 exec, exec, s[16:17]
	v_lshlrev_b32_e32 v2, 16, v2
	v_mul_f32_e32 v34, v36, v2
	v_and_b32_e32 v2, 0x7f800000, v34
	v_cmp_ne_u32_e64 s[0:1], s24, v2
                                        ; implicit-def: $vgpr2
	s_and_saveexec_b64 s[16:17], s[0:1]
	s_xor_b64 s[0:1], exec, s[16:17]
; %bb.188:                              ;   in Loop: Header=BB131_49 Depth=1
	v_bfe_u32 v2, v34, 16, 1
	v_add3_u32 v2, v34, v2, s25
                                        ; implicit-def: $vgpr34
; %bb.189:                              ;   in Loop: Header=BB131_49 Depth=1
	s_andn2_saveexec_b64 s[16:17], s[0:1]
; %bb.190:                              ;   in Loop: Header=BB131_49 Depth=1
	v_or_b32_e32 v2, 0x10000, v34
	v_cmp_eq_u32_sdwa s[0:1], v34, v13 src0_sel:WORD_0 src1_sel:DWORD
	s_nop 1
	v_cndmask_b32_e64 v2, v2, v34, s[0:1]
; %bb.191:                              ;   in Loop: Header=BB131_49 Depth=1
	s_or_b64 exec, exec, s[16:17]
	v_lshlrev_b32_e32 v7, 16, v7
	v_mul_f32_e32 v34, v37, v7
	v_and_b32_e32 v7, 0x7f800000, v34
	v_cmp_ne_u32_e64 s[0:1], s24, v7
                                        ; implicit-def: $vgpr7
	s_and_saveexec_b64 s[16:17], s[0:1]
	s_xor_b64 s[0:1], exec, s[16:17]
; %bb.192:                              ;   in Loop: Header=BB131_49 Depth=1
	v_bfe_u32 v7, v34, 16, 1
	v_add3_u32 v7, v34, v7, s25
                                        ; implicit-def: $vgpr34
; %bb.193:                              ;   in Loop: Header=BB131_49 Depth=1
	s_andn2_saveexec_b64 s[16:17], s[0:1]
; %bb.194:                              ;   in Loop: Header=BB131_49 Depth=1
	v_or_b32_e32 v7, 0x10000, v34
	v_cmp_eq_u32_sdwa s[0:1], v34, v13 src0_sel:WORD_0 src1_sel:DWORD
	s_nop 1
	v_cndmask_b32_e64 v7, v7, v34, s[0:1]
; %bb.195:                              ;   in Loop: Header=BB131_49 Depth=1
	s_or_b64 exec, exec, s[16:17]
	v_lshlrev_b32_e32 v3, 16, v3
	v_mul_f32_e32 v34, v38, v3
	v_and_b32_e32 v3, 0x7f800000, v34
	v_cmp_ne_u32_e64 s[0:1], s24, v3
                                        ; implicit-def: $vgpr3
	s_and_saveexec_b64 s[16:17], s[0:1]
	s_xor_b64 s[0:1], exec, s[16:17]
; %bb.196:                              ;   in Loop: Header=BB131_49 Depth=1
	v_bfe_u32 v3, v34, 16, 1
	v_add3_u32 v3, v34, v3, s25
                                        ; implicit-def: $vgpr34
; %bb.197:                              ;   in Loop: Header=BB131_49 Depth=1
	s_andn2_saveexec_b64 s[16:17], s[0:1]
; %bb.198:                              ;   in Loop: Header=BB131_49 Depth=1
	v_or_b32_e32 v3, 0x10000, v34
	v_cmp_eq_u32_sdwa s[0:1], v34, v13 src0_sel:WORD_0 src1_sel:DWORD
	s_nop 1
	v_cndmask_b32_e64 v3, v3, v34, s[0:1]
; %bb.199:                              ;   in Loop: Header=BB131_49 Depth=1
	s_or_b64 exec, exec, s[16:17]
	v_lshlrev_b32_e32 v34, 16, v58
	v_mul_f32_e32 v36, v39, v34
	v_and_b32_e32 v34, 0x7f800000, v36
	v_cmp_ne_u32_e64 s[0:1], s24, v34
                                        ; implicit-def: $vgpr34
	s_and_saveexec_b64 s[16:17], s[0:1]
	s_xor_b64 s[0:1], exec, s[16:17]
; %bb.200:                              ;   in Loop: Header=BB131_49 Depth=1
	v_bfe_u32 v34, v36, 16, 1
	v_add3_u32 v34, v36, v34, s25
                                        ; implicit-def: $vgpr36
; %bb.201:                              ;   in Loop: Header=BB131_49 Depth=1
	s_andn2_saveexec_b64 s[16:17], s[0:1]
; %bb.202:                              ;   in Loop: Header=BB131_49 Depth=1
	v_or_b32_e32 v34, 0x10000, v36
	v_cmp_eq_u32_sdwa s[0:1], v36, v13 src0_sel:WORD_0 src1_sel:DWORD
	s_nop 1
	v_cndmask_b32_e64 v34, v34, v36, s[0:1]
; %bb.203:                              ;   in Loop: Header=BB131_49 Depth=1
	s_or_b64 exec, exec, s[16:17]
	v_lshlrev_b32_e32 v4, 16, v4
	v_mul_f32_e32 v36, v40, v4
	v_and_b32_e32 v4, 0x7f800000, v36
	v_cmp_ne_u32_e64 s[0:1], s24, v4
                                        ; implicit-def: $vgpr4
	s_and_saveexec_b64 s[16:17], s[0:1]
	s_xor_b64 s[0:1], exec, s[16:17]
; %bb.204:                              ;   in Loop: Header=BB131_49 Depth=1
	v_bfe_u32 v4, v36, 16, 1
	v_add3_u32 v4, v36, v4, s25
                                        ; implicit-def: $vgpr36
; %bb.205:                              ;   in Loop: Header=BB131_49 Depth=1
	s_andn2_saveexec_b64 s[16:17], s[0:1]
; %bb.206:                              ;   in Loop: Header=BB131_49 Depth=1
	v_or_b32_e32 v4, 0x10000, v36
	v_cmp_eq_u32_sdwa s[0:1], v36, v13 src0_sel:WORD_0 src1_sel:DWORD
	s_nop 1
	v_cndmask_b32_e64 v4, v4, v36, s[0:1]
; %bb.207:                              ;   in Loop: Header=BB131_49 Depth=1
	s_or_b64 exec, exec, s[16:17]
	v_lshlrev_b32_e32 v19, 16, v19
	v_mul_f32_e32 v36, v41, v19
	v_and_b32_e32 v19, 0x7f800000, v36
	v_cmp_ne_u32_e64 s[0:1], s24, v19
                                        ; implicit-def: $vgpr19
	s_and_saveexec_b64 s[16:17], s[0:1]
	s_xor_b64 s[0:1], exec, s[16:17]
; %bb.208:                              ;   in Loop: Header=BB131_49 Depth=1
	v_bfe_u32 v19, v36, 16, 1
	v_add3_u32 v19, v36, v19, s25
                                        ; implicit-def: $vgpr36
; %bb.209:                              ;   in Loop: Header=BB131_49 Depth=1
	s_andn2_saveexec_b64 s[16:17], s[0:1]
; %bb.210:                              ;   in Loop: Header=BB131_49 Depth=1
	v_or_b32_e32 v19, 0x10000, v36
	v_cmp_eq_u32_sdwa s[0:1], v36, v13 src0_sel:WORD_0 src1_sel:DWORD
	s_nop 1
	v_cndmask_b32_e64 v19, v19, v36, s[0:1]
; %bb.211:                              ;   in Loop: Header=BB131_49 Depth=1
	s_or_b64 exec, exec, s[16:17]
	v_lshlrev_b32_e32 v5, 16, v5
	v_mul_f32_e32 v36, v42, v5
	v_and_b32_e32 v5, 0x7f800000, v36
	v_cmp_ne_u32_e64 s[0:1], s24, v5
                                        ; implicit-def: $vgpr5
	s_and_saveexec_b64 s[16:17], s[0:1]
	s_xor_b64 s[0:1], exec, s[16:17]
; %bb.212:                              ;   in Loop: Header=BB131_49 Depth=1
	v_bfe_u32 v5, v36, 16, 1
	v_add3_u32 v5, v36, v5, s25
                                        ; implicit-def: $vgpr36
; %bb.213:                              ;   in Loop: Header=BB131_49 Depth=1
	s_andn2_saveexec_b64 s[16:17], s[0:1]
; %bb.214:                              ;   in Loop: Header=BB131_49 Depth=1
	v_or_b32_e32 v5, 0x10000, v36
	v_cmp_eq_u32_sdwa s[0:1], v36, v13 src0_sel:WORD_0 src1_sel:DWORD
	s_nop 1
	v_cndmask_b32_e64 v5, v5, v36, s[0:1]
; %bb.215:                              ;   in Loop: Header=BB131_49 Depth=1
	s_or_b64 exec, exec, s[16:17]
	v_lshlrev_b32_e32 v6, 16, v6
	v_mul_f32_e32 v6, v43, v6
	v_and_b32_e32 v36, 0x7f800000, v6
	v_cmp_ne_u32_e64 s[0:1], s24, v36
                                        ; implicit-def: $vgpr36
	s_and_saveexec_b64 s[16:17], s[0:1]
	s_xor_b64 s[0:1], exec, s[16:17]
; %bb.216:                              ;   in Loop: Header=BB131_49 Depth=1
	v_bfe_u32 v36, v6, 16, 1
	v_add3_u32 v36, v6, v36, s25
                                        ; implicit-def: $vgpr6
; %bb.217:                              ;   in Loop: Header=BB131_49 Depth=1
	s_andn2_saveexec_b64 s[16:17], s[0:1]
	s_cbranch_execz .LBB131_46
; %bb.218:                              ;   in Loop: Header=BB131_49 Depth=1
	v_or_b32_e32 v36, 0x10000, v6
	v_cmp_eq_u32_sdwa s[0:1], v6, v13 src0_sel:WORD_0 src1_sel:DWORD
	s_nop 1
	v_cndmask_b32_e64 v36, v36, v6, s[0:1]
	s_branch .LBB131_46
.LBB131_219:
	s_or_b64 exec, exec, s[12:13]
.LBB131_220:
	s_or_b64 exec, exec, s[8:9]
	ds_bpermute_b32 v2, v21, v14
	ds_bpermute_b32 v3, v21, v15
	;; [unrolled: 1-line block ×4, first 2 shown]
	v_and_b32_e32 v1, 0x3c0, v0
	v_cmp_eq_u32_e32 vcc, 64, v1
	s_waitcnt lgkmcnt(2)
	v_pk_add_f32 v[4:5], v[14:15], v[2:3]
	s_waitcnt lgkmcnt(0)
	v_pk_add_f32 v[2:3], v[10:11], v[6:7]
	s_barrier
	s_and_saveexec_b64 s[2:3], vcc
	s_cbranch_execz .LBB131_225
; %bb.221:
	v_cmp_eq_u32_e32 vcc, 0, v22
	s_and_saveexec_b64 s[0:1], vcc
	s_cbranch_execz .LBB131_223
; %bb.222:
	v_mov_b32_e32 v1, 0x100
	v_lshl_add_u32 v1, v23, 2, v1
	ds_write2_b32 v1, v4, v5 offset1:32
	ds_write_b32 v1, v2 offset:256
.LBB131_223:
	s_or_b64 exec, exec, s[0:1]
	v_or_b32_e32 v1, 0x60, v23
	s_movk_i32 s0, 0x78
	v_cmp_gt_u32_e64 s[0:1], s0, v1
	s_and_b64 s[0:1], vcc, s[0:1]
	s_and_b64 exec, exec, s[0:1]
	s_cbranch_execz .LBB131_225
; %bb.224:
	v_mov_b32_e32 v1, 0x100
	v_lshl_add_u32 v1, v23, 2, v1
	ds_write_b32 v1, v3 offset:384
.LBB131_225:
	s_or_b64 exec, exec, s[2:3]
	v_cmp_gt_u32_e32 vcc, 64, v0
	v_lshrrev_b32_e32 v6, 1, v0
	s_waitcnt lgkmcnt(0)
	s_barrier
	s_and_saveexec_b64 s[6:7], vcc
	s_cbranch_execz .LBB131_233
; %bb.226:
	v_cmp_eq_u32_e64 s[0:1], 0, v22
	s_and_saveexec_b64 s[2:3], s[0:1]
	s_cbranch_execnz .LBB131_255
; %bb.227:
	s_or_b64 exec, exec, s[2:3]
	s_and_saveexec_b64 s[2:3], s[0:1]
	s_cbranch_execnz .LBB131_256
.LBB131_228:
	s_or_b64 exec, exec, s[2:3]
	s_and_saveexec_b64 s[2:3], s[0:1]
	s_cbranch_execz .LBB131_230
.LBB131_229:
	v_mov_b32_e32 v0, 0x100
	v_lshl_add_u32 v0, v6, 2, v0
	ds_read_b32 v0, v0 offset:256
	s_waitcnt lgkmcnt(0)
	v_add_f32_e32 v2, v2, v0
.LBB131_230:
	s_or_b64 exec, exec, s[2:3]
	v_or_b32_e32 v0, 0x60, v6
	s_movk_i32 s2, 0x78
	v_cmp_gt_u32_e64 s[2:3], s2, v0
	s_and_b64 s[2:3], s[0:1], s[2:3]
	s_and_saveexec_b64 s[0:1], s[2:3]
	s_cbranch_execz .LBB131_232
; %bb.231:
	v_mov_b32_e32 v0, 0x100
	v_lshl_add_u32 v0, v6, 2, v0
	ds_read_b32 v0, v0 offset:384
	s_waitcnt lgkmcnt(0)
	v_add_f32_e32 v3, v3, v0
.LBB131_232:
	s_or_b64 exec, exec, s[0:1]
.LBB131_233:
	s_or_b64 exec, exec, s[6:7]
	s_barrier
	s_and_saveexec_b64 s[0:1], vcc
	s_cbranch_execz .LBB131_254
; %bb.234:
	s_mul_i32 s0, s10, s11
	s_mul_i32 s0, s0, s5
	s_mulk_i32 s0, 0x78
	s_ashr_i32 s1, s0, 31
	s_lshl_b64 s[0:1], s[0:1], 1
	s_add_u32 s2, s22, s0
	s_mul_i32 s0, s11, s20
	s_addc_u32 s3, s23, s1
	s_ashr_i32 s1, s0, 31
	s_lshl_b64 s[0:1], s[0:1], 1
	s_add_u32 s2, s2, s0
	s_mul_i32 s0, s4, 0x78
	s_addc_u32 s3, s3, s1
	s_ashr_i32 s1, s0, 31
	s_lshl_b64 s[0:1], s[0:1], 1
	s_add_u32 s2, s2, s0
	s_addc_u32 s3, s3, s1
	v_cmp_eq_u32_e32 vcc, 0, v22
	s_and_saveexec_b64 s[4:5], vcc
	s_cbranch_execz .LBB131_248
; %bb.235:
	s_mov_b32 s0, 0x7f800000
	v_and_b32_e32 v0, 0x7f800000, v4
	v_cmp_ne_u32_e64 s[0:1], s0, v0
                                        ; implicit-def: $vgpr7
	s_and_saveexec_b64 s[6:7], s[0:1]
	s_xor_b64 s[0:1], exec, s[6:7]
; %bb.236:
	v_bfe_u32 v0, v4, 16, 1
	s_movk_i32 s6, 0x7fff
	v_add3_u32 v7, v4, v0, s6
; %bb.237:
	s_andn2_saveexec_b64 s[6:7], s[0:1]
; %bb.238:
	v_mov_b32_e32 v0, 0
	v_or_b32_e32 v1, 0x10000, v4
	v_cmp_eq_u32_sdwa s[0:1], v4, v0 src0_sel:WORD_0 src1_sel:DWORD
	s_nop 1
	v_cndmask_b32_e64 v7, v1, v4, s[0:1]
; %bb.239:
	s_or_b64 exec, exec, s[6:7]
	s_mov_b32 s0, 0x7f800000
	v_and_b32_e32 v4, 0x7f800000, v5
	v_lshlrev_b32_e32 v0, 1, v6
	v_mov_b32_e32 v1, 0
	v_cmp_ne_u32_e64 s[0:1], s0, v4
	global_store_short_d16_hi v0, v7, s[2:3]
                                        ; implicit-def: $vgpr4
	s_and_saveexec_b64 s[6:7], s[0:1]
	s_xor_b64 s[0:1], exec, s[6:7]
; %bb.240:
	v_bfe_u32 v4, v5, 16, 1
	s_movk_i32 s6, 0x7fff
	v_add3_u32 v4, v5, v4, s6
; %bb.241:
	s_or_saveexec_b64 s[6:7], s[0:1]
	v_lshl_add_u64 v[0:1], s[2:3], 0, v[0:1]
	s_xor_b64 exec, exec, s[6:7]
; %bb.242:
	v_mov_b32_e32 v4, 0
	v_or_b32_e32 v7, 0x10000, v5
	v_cmp_eq_u32_sdwa s[0:1], v5, v4 src0_sel:WORD_0 src1_sel:DWORD
	s_nop 1
	v_cndmask_b32_e64 v4, v7, v5, s[0:1]
; %bb.243:
	s_or_b64 exec, exec, s[6:7]
	global_store_short_d16_hi v[0:1], v4, off offset:64
	s_mov_b32 s0, 0x7f800000
	v_and_b32_e32 v4, 0x7f800000, v2
	v_cmp_ne_u32_e64 s[0:1], s0, v4
                                        ; implicit-def: $vgpr4
	s_and_saveexec_b64 s[6:7], s[0:1]
	s_xor_b64 s[0:1], exec, s[6:7]
; %bb.244:
	v_bfe_u32 v4, v2, 16, 1
	s_movk_i32 s6, 0x7fff
	v_add3_u32 v4, v2, v4, s6
; %bb.245:
	s_andn2_saveexec_b64 s[6:7], s[0:1]
; %bb.246:
	v_mov_b32_e32 v4, 0
	v_or_b32_e32 v5, 0x10000, v2
	v_cmp_eq_u32_sdwa s[0:1], v2, v4 src0_sel:WORD_0 src1_sel:DWORD
	s_nop 1
	v_cndmask_b32_e64 v4, v5, v2, s[0:1]
; %bb.247:
	s_or_b64 exec, exec, s[6:7]
	global_store_short_d16_hi v[0:1], v4, off offset:128
.LBB131_248:
	s_or_b64 exec, exec, s[4:5]
	v_or_b32_e32 v0, 0x60, v6
	s_movk_i32 s0, 0x78
	v_cmp_gt_u32_e64 s[0:1], s0, v0
	s_and_b64 s[0:1], vcc, s[0:1]
	s_and_b64 exec, exec, s[0:1]
	s_cbranch_execz .LBB131_254
; %bb.249:
	s_mov_b32 s0, 0x7f800000
	v_and_b32_e32 v0, 0x7f800000, v3
	v_cmp_ne_u32_e32 vcc, s0, v0
                                        ; implicit-def: $vgpr4
	s_and_saveexec_b64 s[0:1], vcc
	s_xor_b64 s[0:1], exec, s[0:1]
; %bb.250:
	v_bfe_u32 v0, v3, 16, 1
	s_movk_i32 s4, 0x7fff
	v_add3_u32 v4, v3, v0, s4
                                        ; implicit-def: $vgpr0_vgpr1_vgpr2_vgpr3
; %bb.251:
	s_andn2_saveexec_b64 s[0:1], s[0:1]
; %bb.252:
	v_mov_b32_e32 v0, 0
	v_or_b32_e32 v1, 0x10000, v3
	v_cmp_eq_u32_sdwa vcc, v3, v0 src0_sel:WORD_0 src1_sel:DWORD
	s_nop 1
	v_cndmask_b32_e32 v4, v1, v3, vcc
; %bb.253:
	s_or_b64 exec, exec, s[0:1]
	v_lshlrev_b32_e32 v0, 1, v6
	global_store_short_d16_hi v0, v4, s[2:3] offset:192
.LBB131_254:
	s_endpgm
.LBB131_255:
	v_mov_b32_e32 v0, 0x100
	v_lshl_add_u32 v0, v6, 2, v0
	ds_read_b32 v0, v0
	s_waitcnt lgkmcnt(0)
	v_add_f32_e32 v4, v4, v0
	s_or_b64 exec, exec, s[2:3]
	s_and_saveexec_b64 s[2:3], s[0:1]
	s_cbranch_execz .LBB131_228
.LBB131_256:
	v_mov_b32_e32 v0, 0x100
	v_lshl_add_u32 v0, v6, 2, v0
	ds_read_b32 v0, v0 offset:128
	s_waitcnt lgkmcnt(0)
	v_add_f32_e32 v5, v5, v0
	s_or_b64 exec, exec, s[2:3]
	s_and_saveexec_b64 s[2:3], s[0:1]
	s_cbranch_execnz .LBB131_229
	s_branch .LBB131_230
	.section	.rodata,"a",@progbits
	.p2align	6, 0x0
	.amdhsa_kernel _ZN4vllm25paged_attention_v1_kernelI14__hip_bfloat16S1_Li120ELi16ELi128ELNS_18Fp8KVCacheDataTypeE0ELb1EEEvPT_PKS3_PKT0_S9_ifPKiSB_iPKfiiiSD_SD_iiiii
		.amdhsa_group_segment_fixed_size 256
		.amdhsa_private_segment_fixed_size 0
		.amdhsa_kernarg_size 384
		.amdhsa_user_sgpr_count 2
		.amdhsa_user_sgpr_dispatch_ptr 0
		.amdhsa_user_sgpr_queue_ptr 0
		.amdhsa_user_sgpr_kernarg_segment_ptr 1
		.amdhsa_user_sgpr_dispatch_id 0
		.amdhsa_user_sgpr_kernarg_preload_length 0
		.amdhsa_user_sgpr_kernarg_preload_offset 0
		.amdhsa_user_sgpr_private_segment_size 0
		.amdhsa_uses_dynamic_stack 0
		.amdhsa_enable_private_segment 0
		.amdhsa_system_sgpr_workgroup_id_x 1
		.amdhsa_system_sgpr_workgroup_id_y 1
		.amdhsa_system_sgpr_workgroup_id_z 1
		.amdhsa_system_sgpr_workgroup_info 0
		.amdhsa_system_vgpr_workitem_id 0
		.amdhsa_next_free_vgpr 83
		.amdhsa_next_free_sgpr 44
		.amdhsa_accum_offset 84
		.amdhsa_reserve_vcc 1
		.amdhsa_float_round_mode_32 0
		.amdhsa_float_round_mode_16_64 0
		.amdhsa_float_denorm_mode_32 3
		.amdhsa_float_denorm_mode_16_64 3
		.amdhsa_dx10_clamp 1
		.amdhsa_ieee_mode 1
		.amdhsa_fp16_overflow 0
		.amdhsa_tg_split 0
		.amdhsa_exception_fp_ieee_invalid_op 0
		.amdhsa_exception_fp_denorm_src 0
		.amdhsa_exception_fp_ieee_div_zero 0
		.amdhsa_exception_fp_ieee_overflow 0
		.amdhsa_exception_fp_ieee_underflow 0
		.amdhsa_exception_fp_ieee_inexact 0
		.amdhsa_exception_int_div_zero 0
	.end_amdhsa_kernel
	.section	.text._ZN4vllm25paged_attention_v1_kernelI14__hip_bfloat16S1_Li120ELi16ELi128ELNS_18Fp8KVCacheDataTypeE0ELb1EEEvPT_PKS3_PKT0_S9_ifPKiSB_iPKfiiiSD_SD_iiiii,"axG",@progbits,_ZN4vllm25paged_attention_v1_kernelI14__hip_bfloat16S1_Li120ELi16ELi128ELNS_18Fp8KVCacheDataTypeE0ELb1EEEvPT_PKS3_PKT0_S9_ifPKiSB_iPKfiiiSD_SD_iiiii,comdat
.Lfunc_end131:
	.size	_ZN4vllm25paged_attention_v1_kernelI14__hip_bfloat16S1_Li120ELi16ELi128ELNS_18Fp8KVCacheDataTypeE0ELb1EEEvPT_PKS3_PKT0_S9_ifPKiSB_iPKfiiiSD_SD_iiiii, .Lfunc_end131-_ZN4vllm25paged_attention_v1_kernelI14__hip_bfloat16S1_Li120ELi16ELi128ELNS_18Fp8KVCacheDataTypeE0ELb1EEEvPT_PKS3_PKT0_S9_ifPKiSB_iPKfiiiSD_SD_iiiii
                                        ; -- End function
	.section	.AMDGPU.csdata,"",@progbits
; Kernel info:
; codeLenInByte = 9908
; NumSgprs: 50
; NumVgprs: 83
; NumAgprs: 0
; TotalNumVgprs: 83
; ScratchSize: 0
; MemoryBound: 0
; FloatMode: 240
; IeeeMode: 1
; LDSByteSize: 256 bytes/workgroup (compile time only)
; SGPRBlocks: 6
; VGPRBlocks: 10
; NumSGPRsForWavesPerEU: 50
; NumVGPRsForWavesPerEU: 83
; AccumOffset: 84
; Occupancy: 5
; WaveLimiterHint : 1
; COMPUTE_PGM_RSRC2:SCRATCH_EN: 0
; COMPUTE_PGM_RSRC2:USER_SGPR: 2
; COMPUTE_PGM_RSRC2:TRAP_HANDLER: 0
; COMPUTE_PGM_RSRC2:TGID_X_EN: 1
; COMPUTE_PGM_RSRC2:TGID_Y_EN: 1
; COMPUTE_PGM_RSRC2:TGID_Z_EN: 1
; COMPUTE_PGM_RSRC2:TIDIG_COMP_CNT: 0
; COMPUTE_PGM_RSRC3_GFX90A:ACCUM_OFFSET: 20
; COMPUTE_PGM_RSRC3_GFX90A:TG_SPLIT: 0
	.section	.text._ZN4vllm25paged_attention_v1_kernelI14__hip_bfloat16S1_Li128ELi16ELi128ELNS_18Fp8KVCacheDataTypeE0ELb1EEEvPT_PKS3_PKT0_S9_ifPKiSB_iPKfiiiSD_SD_iiiii,"axG",@progbits,_ZN4vllm25paged_attention_v1_kernelI14__hip_bfloat16S1_Li128ELi16ELi128ELNS_18Fp8KVCacheDataTypeE0ELb1EEEvPT_PKS3_PKT0_S9_ifPKiSB_iPKfiiiSD_SD_iiiii,comdat
	.protected	_ZN4vllm25paged_attention_v1_kernelI14__hip_bfloat16S1_Li128ELi16ELi128ELNS_18Fp8KVCacheDataTypeE0ELb1EEEvPT_PKS3_PKT0_S9_ifPKiSB_iPKfiiiSD_SD_iiiii ; -- Begin function _ZN4vllm25paged_attention_v1_kernelI14__hip_bfloat16S1_Li128ELi16ELi128ELNS_18Fp8KVCacheDataTypeE0ELb1EEEvPT_PKS3_PKT0_S9_ifPKiSB_iPKfiiiSD_SD_iiiii
	.globl	_ZN4vllm25paged_attention_v1_kernelI14__hip_bfloat16S1_Li128ELi16ELi128ELNS_18Fp8KVCacheDataTypeE0ELb1EEEvPT_PKS3_PKT0_S9_ifPKiSB_iPKfiiiSD_SD_iiiii
	.p2align	8
	.type	_ZN4vllm25paged_attention_v1_kernelI14__hip_bfloat16S1_Li128ELi16ELi128ELNS_18Fp8KVCacheDataTypeE0ELb1EEEvPT_PKS3_PKT0_S9_ifPKiSB_iPKfiiiSD_SD_iiiii,@function
_ZN4vllm25paged_attention_v1_kernelI14__hip_bfloat16S1_Li128ELi16ELi128ELNS_18Fp8KVCacheDataTypeE0ELb1EEEvPT_PKS3_PKT0_S9_ifPKiSB_iPKfiiiSD_SD_iiiii: ; @_ZN4vllm25paged_attention_v1_kernelI14__hip_bfloat16S1_Li128ELi16ELi128ELNS_18Fp8KVCacheDataTypeE0ELb1EEEvPT_PKS3_PKT0_S9_ifPKiSB_iPKfiiiSD_SD_iiiii
; %bb.0:
	s_load_dword s5, s[0:1], 0x80
	s_load_dwordx2 s[6:7], s[0:1], 0x30
	s_load_dwordx2 s[34:35], s[0:1], 0x20
	s_mov_b32 s20, s3
	s_ashr_i32 s21, s3, 31
	s_lshl_b64 s[8:9], s[20:21], 2
	s_waitcnt lgkmcnt(0)
	s_add_u32 s6, s6, s8
	s_addc_u32 s7, s7, s9
	s_abs_i32 s3, s34
	v_cvt_f32_u32_e32 v1, s3
	s_sub_i32 s10, 0, s3
	s_abs_i32 s9, s5
	s_xor_b32 s8, s5, s34
	v_rcp_iflag_f32_e32 v1, v1
	s_ashr_i32 s8, s8, 31
	s_mov_b32 s44, 0
	v_mul_f32_e32 v1, 0x4f7ffffe, v1
	v_cvt_u32_f32_e32 v1, v1
	s_nop 0
	v_readfirstlane_b32 s11, v1
	s_mul_i32 s10, s10, s11
	s_mul_hi_u32 s10, s11, s10
	s_add_i32 s11, s11, s10
	s_mul_hi_u32 s10, s9, s11
	s_mul_i32 s11, s10, s3
	s_sub_i32 s9, s9, s11
	s_add_i32 s11, s10, 1
	s_sub_i32 s12, s9, s3
	s_cmp_ge_u32 s9, s3
	s_cselect_b32 s10, s11, s10
	s_cselect_b32 s9, s12, s9
	s_add_i32 s11, s10, 1
	s_cmp_ge_u32 s9, s3
	s_cselect_b32 s3, s11, s10
	s_xor_b32 s3, s3, s8
	s_sub_i32 s16, s3, s8
	s_abs_i32 s10, s16
	v_cvt_f32_u32_e32 v1, s10
	s_load_dwordx2 s[8:9], s[0:1], 0x40
	s_sub_i32 s3, 0, s10
	s_abs_i32 s11, s2
	v_rcp_iflag_f32_e32 v1, v1
	s_nop 0
	v_mul_f32_e32 v1, 0x4f7ffffe, v1
	v_cvt_u32_f32_e32 v1, v1
	s_nop 0
	v_readfirstlane_b32 s12, v1
	s_mul_i32 s3, s3, s12
	s_mul_hi_u32 s3, s12, s3
	s_add_i32 s12, s12, s3
	s_waitcnt lgkmcnt(0)
	s_cmp_eq_u64 s[8:9], 0
	s_mul_hi_u32 s24, s11, s12
	s_cbranch_scc1 .LBB132_2
; %bb.1:
	s_ashr_i32 s3, s2, 31
	s_lshl_b64 s[12:13], s[2:3], 2
	s_add_u32 s8, s8, s12
	s_addc_u32 s9, s9, s13
	s_load_dword s44, s[8:9], 0x0
.LBB132_2:
	s_load_dword s21, s[6:7], 0x0
	s_load_dwordx4 s[12:15], s[0:1], 0x48
	s_ashr_i32 s25, s2, 31
	s_waitcnt lgkmcnt(0)
	s_ashr_i32 s15, s16, 31
	v_and_b32_e32 v4, 3, v0
	s_lshl_b32 s22, s2, 7
	v_cmp_gt_u32_e64 s[6:7], 64, v0
	s_and_saveexec_b64 s[8:9], s[6:7]
	s_cbranch_execz .LBB132_4
; %bb.3:
	s_load_dwordx2 s[16:17], s[0:1], 0x8
	s_mul_i32 s18, s20, s12
	s_ashr_i32 s19, s18, 31
	s_lshl_b64 s[18:19], s[18:19], 1
	v_lshlrev_b32_e32 v1, 2, v0
	s_waitcnt lgkmcnt(0)
	s_add_u32 s3, s16, s18
	s_addc_u32 s12, s17, s19
	s_ashr_i32 s23, s22, 31
	s_lshl_b64 s[16:17], s[22:23], 1
	s_add_u32 s16, s3, s16
	s_addc_u32 s17, s12, s17
	global_load_dword v1, v1, s[16:17]
	v_and_b32_e32 v2, 0x3fc, v0
	v_lshl_add_u32 v2, v4, 6, v2
	s_waitcnt vmcnt(0)
	ds_write_b32 v2, v1
.LBB132_4:
	s_or_b64 exec, exec, s[8:9]
	s_mul_i32 s9, s24, s10
	s_sub_i32 s9, s11, s9
	s_xor_b32 s8, s25, s15
	s_add_i32 s11, s24, 1
	s_sub_i32 s12, s9, s10
	s_load_dwordx4 s[16:19], s[0:1], 0x68
	s_load_dword s3, s[0:1], 0x78
	s_cmp_ge_u32 s9, s10
	s_cselect_b32 s11, s11, s24
	s_cselect_b32 s9, s12, s9
	s_add_i32 s12, s11, 1
	s_cmp_ge_u32 s9, s10
	s_cselect_b32 s9, s12, s11
	s_waitcnt lgkmcnt(0)
	s_abs_i32 s23, s19
	v_cvt_f32_u32_e32 v1, s23
	s_xor_b32 s9, s9, s8
	s_sub_i32 s10, s9, s8
	s_sub_i32 s8, 0, s23
	v_rcp_iflag_f32_e32 v1, v1
	s_add_i32 s15, s21, -1
	s_abs_i32 s11, s15
	v_mul_f32_e32 v1, 0x4f7ffffe, v1
	v_cvt_u32_f32_e32 v1, v1
	s_barrier
	v_readfirstlane_b32 s33, v1
	s_mul_i32 s8, s8, s33
	s_mul_hi_u32 s8, s33, s8
	s_add_i32 s33, s33, s8
	s_cmp_lt_i32 s3, 0
	s_mul_hi_u32 s12, s11, s33
	s_cbranch_scc0 .LBB132_6
; %bb.5:
	s_mul_i32 s8, s16, s34
	s_add_i32 s8, s10, s8
	s_mul_i32 s8, s8, s3
	s_sub_i32 s42, 1, s8
	s_mov_b64 s[8:9], 0
	s_branch .LBB132_7
.LBB132_6:
	s_mov_b64 s[8:9], -1
                                        ; implicit-def: $sgpr42
.LBB132_7:
	s_load_dwordx2 s[26:27], s[0:1], 0x28
	s_ashr_i32 s15, s15, 31
	s_andn2_b64 vcc, exec, s[8:9]
	s_ashr_i32 s19, s19, 31
	s_cbranch_vccnz .LBB132_9
; %bb.8:
	s_mul_i32 s8, s5, s16
	s_add_i32 s2, s8, s2
	s_mul_i32 s2, s2, s3
	s_add_i32 s42, s2, 1
.LBB132_9:
	s_load_dword s2, s[0:1], 0x38
	s_load_dwordx2 s[24:25], s[0:1], 0x0
	s_load_dwordx2 s[30:31], s[0:1], 0x18
	s_load_dword s16, s[0:1], 0x88
	s_xor_b32 s3, s15, s19
	s_waitcnt lgkmcnt(0)
	s_mul_i32 s28, s20, s2
	s_mul_i32 s2, s12, s23
	s_sub_i32 s2, s11, s2
	s_ashr_i32 s29, s28, 31
	s_add_i32 s8, s12, 1
	s_sub_i32 s9, s2, s23
	s_cmp_ge_u32 s2, s23
	s_cselect_b32 s8, s8, s12
	s_cselect_b32 s2, s9, s2
	s_add_i32 s9, s8, 1
	s_cmp_ge_u32 s2, s23
	s_cselect_b32 s2, s9, s8
	s_xor_b32 s2, s2, s3
	s_sub_i32 s12, s2, s3
	s_add_i32 s2, s21, 15
	s_ashr_i32 s3, s2, 31
	s_lshr_b32 s3, s3, 28
	s_add_i32 s2, s2, s3
	s_ashr_i32 s43, s2, 4
	v_lshrrev_b32_e32 v1, 6, v0
	v_cmp_gt_i32_e64 s[2:3], s43, v1
	v_mov_b32_e32 v10, 0xff7fffff
	s_mul_i32 s14, s10, s14
	v_lshrrev_b32_e32 v6, 4, v0
	v_lshlrev_b32_e32 v20, 4, v1
	v_mbcnt_lo_u32_b32 v7, -1, 0
	s_and_saveexec_b64 s[36:37], s[2:3]
	s_cbranch_execz .LBB132_19
; %bb.10:
	s_load_dwordx2 s[0:1], s[0:1], 0x10
	s_ashr_i32 s15, s14, 31
	s_sub_i32 s34, s12, s17
	s_lshl_b64 s[8:9], s[14:15], 1
	v_bfe_u32 v8, v0, 2, 4
	s_waitcnt lgkmcnt(0)
	s_add_u32 s0, s0, s8
	s_addc_u32 s1, s1, s9
	s_abs_i32 s15, s18
	v_cvt_f32_u32_e32 v5, s15
	v_lshlrev_b32_e32 v12, 4, v8
	v_mov_b32_e32 v13, 0
	v_lshlrev_b32_e32 v9, 2, v0
	v_rcp_iflag_f32_e32 v5, v5
	s_sub_i32 s8, 0, s15
	v_cmp_eq_u32_e32 vcc, 0, v4
	v_lshl_add_u64 v[2:3], s[0:1], 0, v[12:13]
	v_mul_f32_e32 v5, 0x4f7ffffe, v5
	v_cvt_u32_f32_e32 v5, v5
	v_and_b32_e32 v12, 12, v9
	v_lshlrev_b32_e32 v9, 6, v4
	v_lshlrev_b32_e32 v10, 2, v8
	v_mul_lo_u32 v4, s8, v5
	s_lshl_b64 s[8:9], s[28:29], 2
	s_add_u32 s8, s26, s8
	v_lshl_add_u64 v[2:3], v[2:3], 0, v[12:13]
	v_mul_hi_u32 v4, v5, v4
	v_and_b32_e32 v12, 60, v6
	s_addc_u32 s9, s27, s9
	v_lshl_or_b32 v10, v1, 6, v10
	v_add_u32_e32 v11, v5, v4
	v_lshl_add_u64 v[4:5], s[8:9], 0, v[12:13]
	v_add_u32_e32 v13, 0x110, v10
	v_subrev_u32_e32 v10, s21, v8
	v_mbcnt_hi_u32_b32 v16, -1, v7
	v_add_u32_e32 v14, 1, v10
	v_and_b32_e32 v10, 64, v16
	s_mov_b32 s45, s13
	v_cmp_neq_f32_e64 s[0:1], s44, 0
	v_lshlrev_b32_e32 v12, 4, v1
	s_mov_b64 s[38:39], 0
	v_mov_b32_e32 v15, 0xff7fffff
	v_add_u32_e32 v17, 64, v10
	v_xor_b32_e32 v18, 2, v16
	v_xor_b32_e32 v19, 1, v16
	v_mov_b32_e32 v10, 0xff7fffff
	v_mov_b32_e32 v21, v1
	s_branch .LBB132_13
.LBB132_11:                             ;   in Loop: Header=BB132_13 Depth=1
	s_or_b64 exec, exec, s[40:41]
.LBB132_12:                             ;   in Loop: Header=BB132_13 Depth=1
	s_or_b64 exec, exec, s[10:11]
	v_add_u32_e32 v21, 2, v21
	v_cmp_le_i32_e64 s[8:9], s43, v21
	v_lshl_add_u64 v[4:5], v[4:5], 0, 8
	v_add_u32_e32 v12, 32, v12
	s_or_b64 s[38:39], s[8:9], s[38:39]
	v_add_u32_e32 v13, 0x80, v13
	s_andn2_b64 exec, exec, s[38:39]
	s_cbranch_execz .LBB132_18
.LBB132_13:                             ; =>This Inner Loop Header: Depth=1
	v_mul_hi_u32 v22, v12, s33
	s_waitcnt lgkmcnt(0)
	v_mul_lo_u32 v23, v22, s23
	v_sub_u32_e32 v23, v12, v23
	v_add_u32_e32 v24, 1, v22
	v_cmp_le_u32_e64 s[8:9], s23, v23
	s_nop 1
	v_cndmask_b32_e64 v22, v22, v24, s[8:9]
	v_subrev_u32_e32 v24, s23, v23
	v_cndmask_b32_e64 v23, v23, v24, s[8:9]
	v_add_u32_e32 v24, 1, v22
	v_cmp_le_u32_e64 s[8:9], s23, v23
	s_nop 1
	v_cndmask_b32_e64 v22, v22, v24, s[8:9]
	v_xor_b32_e32 v22, s19, v22
	v_subrev_u32_e32 v22, s19, v22
	v_add_u32_e32 v23, s42, v22
	v_sub_u32_e32 v25, 0, v23
	v_ashrrev_i32_e32 v24, 31, v23
	v_max_i32_e32 v23, v23, v25
	v_mul_hi_u32 v25, v23, v11
	v_mul_lo_u32 v25, v25, s15
	v_sub_u32_e32 v23, v23, v25
	v_subrev_u32_e32 v25, s15, v23
	v_cmp_le_u32_e64 s[8:9], s15, v23
	v_cmp_ge_i32_e64 s[10:11], s34, v22
	s_nop 0
	v_cndmask_b32_e64 v23, v23, v25, s[8:9]
	v_subrev_u32_e32 v25, s15, v23
	v_cmp_le_u32_e64 s[8:9], s15, v23
	s_nop 1
	v_cndmask_b32_e64 v23, v23, v25, s[8:9]
	v_xor_b32_e32 v23, v23, v24
	v_sub_u32_e32 v23, v23, v24
	v_cmp_ne_u32_e64 s[8:9], 0, v23
	s_and_b64 s[8:9], s[8:9], s[10:11]
	s_and_b64 s[40:41], vcc, s[8:9]
	s_and_saveexec_b64 s[10:11], s[40:41]
	s_cbranch_execz .LBB132_15
; %bb.14:                               ;   in Loop: Header=BB132_13 Depth=1
	ds_write_b32 v13, v15
.LBB132_15:                             ;   in Loop: Header=BB132_13 Depth=1
	s_or_b64 exec, exec, s[10:11]
	s_xor_b64 s[8:9], s[8:9], -1
	s_and_saveexec_b64 s[10:11], s[8:9]
	s_cbranch_execz .LBB132_12
; %bb.16:                               ;   in Loop: Header=BB132_13 Depth=1
	global_load_dword v22, v[4:5], off
	s_waitcnt vmcnt(0)
	v_mad_i64_i32 v[22:23], s[8:9], v22, s45, 0
	v_lshl_add_u64 v[22:23], v[22:23], 1, v[2:3]
	global_load_dword v38, v[22:23], off
	global_load_dword v39, v[22:23], off offset:256
	global_load_dword v40, v[22:23], off offset:512
	;; [unrolled: 1-line block ×15, first 2 shown]
	ds_read_b128 v[22:25], v9
	ds_read_b128 v[26:29], v9 offset:16
	ds_read_b128 v[30:33], v9 offset:32
	;; [unrolled: 1-line block ×3, first 2 shown]
	v_cmp_lt_i32_e64 s[8:9], v18, v17
	s_waitcnt lgkmcnt(3)
	v_lshlrev_b32_e32 v56, 16, v23
	v_and_b32_e32 v23, 0xffff0000, v23
	v_lshlrev_b32_e32 v55, 16, v22
	v_and_b32_e32 v22, 0xffff0000, v22
	v_lshlrev_b32_e32 v57, 16, v24
	v_and_b32_e32 v24, 0xffff0000, v24
	v_lshlrev_b32_e32 v58, 16, v25
	v_and_b32_e32 v25, 0xffff0000, v25
	s_waitcnt lgkmcnt(2)
	v_lshlrev_b32_e32 v59, 16, v26
	v_and_b32_e32 v26, 0xffff0000, v26
	v_lshlrev_b32_e32 v60, 16, v27
	v_and_b32_e32 v27, 0xffff0000, v27
	v_lshlrev_b32_e32 v61, 16, v28
	v_and_b32_e32 v28, 0xffff0000, v28
	v_lshlrev_b32_e32 v62, 16, v29
	v_and_b32_e32 v29, 0xffff0000, v29
	;; [unrolled: 9-line block ×4, first 2 shown]
	v_cndmask_b32_e64 v54, v16, v18, s[8:9]
	v_lshlrev_b32_e32 v54, 2, v54
	v_cmp_lt_i32_e64 s[8:9], v19, v17
	s_waitcnt vmcnt(15)
	v_lshlrev_b32_e32 v71, 16, v38
	s_waitcnt vmcnt(14)
	v_lshlrev_b32_e32 v72, 16, v39
	v_and_b32_e32 v39, 0xffff0000, v39
	v_and_b32_e32 v38, 0xffff0000, v38
	v_mul_f32_e32 v56, v56, v72
	v_mul_f32_e32 v23, v23, v39
	s_waitcnt vmcnt(13)
	v_lshlrev_b32_e32 v73, 16, v40
	v_and_b32_e32 v40, 0xffff0000, v40
	v_fmac_f32_e32 v56, v55, v71
	v_fmac_f32_e32 v23, v22, v38
	s_waitcnt vmcnt(12)
	v_lshlrev_b32_e32 v74, 16, v41
	v_and_b32_e32 v41, 0xffff0000, v41
	v_fmac_f32_e32 v56, v57, v73
	v_fmac_f32_e32 v23, v24, v40
	;; [unrolled: 5-line block ×14, first 2 shown]
	v_fmac_f32_e32 v56, v70, v86
	v_fmac_f32_e32 v23, v37, v53
	v_add_f32_e32 v22, v56, v23
	ds_bpermute_b32 v23, v54, v22
	v_cndmask_b32_e64 v24, v16, v19, s[8:9]
	v_lshlrev_b32_e32 v24, 2, v24
	s_waitcnt lgkmcnt(0)
	v_add_f32_e32 v22, v22, v23
	ds_bpermute_b32 v23, v24, v22
	s_and_saveexec_b64 s[40:41], vcc
	s_cbranch_execz .LBB132_11
; %bb.17:                               ;   in Loop: Header=BB132_13 Depth=1
	v_add_u32_e32 v24, v14, v12
	v_cvt_f32_i32_e32 v24, v24
	s_waitcnt lgkmcnt(0)
	v_add_f32_e32 v22, v22, v23
	v_add_u32_e32 v25, v8, v12
	v_cmp_gt_i32_e64 s[8:9], s21, v25
	v_mul_f32_e32 v23, s44, v24
	v_cndmask_b32_e64 v23, 0, v23, s[0:1]
	v_fmac_f32_e32 v23, s35, v22
	v_cndmask_b32_e64 v22, 0, v23, s[8:9]
	ds_write_b32 v13, v22
	v_max_f32_e32 v22, v10, v10
	v_max_f32_e32 v22, v22, v23
	v_cndmask_b32_e64 v10, v10, v22, s[8:9]
	s_branch .LBB132_11
.LBB132_18:
	s_or_b64 exec, exec, s[38:39]
.LBB132_19:
	s_or_b64 exec, exec, s[36:37]
	v_mbcnt_hi_u32_b32 v2, -1, v7
	v_and_b32_e32 v3, 64, v2
	v_add_u32_e32 v3, 64, v3
	v_xor_b32_e32 v4, 32, v2
	v_cmp_lt_i32_e32 vcc, v4, v3
	v_xor_b32_e32 v8, 16, v2
	v_max_f32_e32 v7, v10, v10
	v_cndmask_b32_e32 v4, v2, v4, vcc
	v_lshlrev_b32_e32 v4, 2, v4
	ds_bpermute_b32 v5, v4, v10
	v_cmp_lt_i32_e32 vcc, v8, v3
	v_xor_b32_e32 v9, 8, v2
	v_xor_b32_e32 v10, 4, v2
	v_and_b32_e32 v21, 63, v0
	s_waitcnt lgkmcnt(0)
	v_max_f32_e32 v5, v5, v5
	v_max_f32_e32 v7, v7, v5
	v_cndmask_b32_e32 v5, v2, v8, vcc
	v_lshlrev_b32_e32 v5, 2, v5
	ds_bpermute_b32 v8, v5, v7
	v_cmp_lt_i32_e32 vcc, v9, v3
	s_waitcnt lgkmcnt(0)
	v_max_f32_e32 v8, v8, v8
	v_max_f32_e32 v7, v7, v8
	v_cndmask_b32_e32 v8, v2, v9, vcc
	v_lshlrev_b32_e32 v9, 2, v8
	ds_bpermute_b32 v8, v9, v7
	v_cmp_lt_i32_e32 vcc, v10, v3
	s_waitcnt lgkmcnt(0)
	v_max_f32_e32 v8, v8, v8
	v_max_f32_e32 v8, v7, v8
	v_cndmask_b32_e32 v7, v2, v10, vcc
	v_lshlrev_b32_e32 v10, 2, v7
	ds_bpermute_b32 v11, v10, v8
	v_cmp_eq_u32_e32 vcc, 0, v21
	v_lshlrev_b32_e32 v7, 2, v1
	s_and_saveexec_b64 s[0:1], vcc
	s_cbranch_execz .LBB132_21
; %bb.20:
	s_waitcnt lgkmcnt(0)
	v_max_f32_e32 v11, v11, v11
	v_max_f32_e32 v8, v8, v8
	;; [unrolled: 1-line block ×3, first 2 shown]
	ds_write_b32 v7, v8 offset:256
.LBB132_21:
	s_or_b64 exec, exec, s[0:1]
	v_cmp_gt_u32_e64 s[0:1], 2, v21
	s_waitcnt lgkmcnt(0)
	v_mov_b32_e32 v11, 0xff7fffff
	v_lshlrev_b32_e32 v8, 2, v21
	s_barrier
	s_and_saveexec_b64 s[8:9], s[0:1]
	s_cbranch_execz .LBB132_23
; %bb.22:
	ds_read_b32 v11, v8 offset:256
.LBB132_23:
	s_or_b64 exec, exec, s[8:9]
	v_xor_b32_e32 v12, 1, v2
	v_cmp_lt_i32_e64 s[8:9], v12, v3
	v_lshlrev_b32_e32 v13, 2, v2
	s_nop 0
	v_cndmask_b32_e64 v12, v2, v12, s[8:9]
	v_lshlrev_b32_e32 v22, 2, v12
	s_waitcnt lgkmcnt(0)
	ds_bpermute_b32 v12, v22, v11
	v_max_f32_e32 v11, v11, v11
	s_lshl_b32 s8, s43, 4
	s_min_i32 s15, s8, s21
	v_cmp_gt_i32_e64 s[8:9], s15, v0
	s_waitcnt lgkmcnt(0)
	v_max_f32_e32 v12, v12, v12
	v_max_f32_e32 v12, v11, v12
	v_and_b32_e32 v11, 0x100, v13
	ds_bpermute_b32 v13, v11, v12
	v_mov_b32_e32 v12, 0
	s_and_saveexec_b64 s[34:35], s[8:9]
	s_cbranch_execz .LBB132_27
; %bb.24:
	v_mov_b32_e32 v12, 0x110
	v_lshl_add_u32 v14, v0, 2, v12
	s_mov_b64 s[36:37], 0
	v_mov_b32_e32 v12, 0
	v_mov_b32_e32 v15, v0
.LBB132_25:                             ; =>This Inner Loop Header: Depth=1
	ds_read_b32 v16, v14
	v_add_u32_e32 v15, 0x80, v15
	v_cmp_le_i32_e64 s[10:11], s15, v15
	s_or_b64 s[36:37], s[10:11], s[36:37]
	s_waitcnt lgkmcnt(0)
	v_sub_f32_e32 v16, v16, v13
	v_mul_f32_e32 v16, 0x3fb8aa3b, v16
	v_exp_f32_e32 v16, v16
	ds_write_b32 v14, v16
	v_add_f32_e32 v12, v12, v16
	v_add_u32_e32 v14, 0x200, v14
	s_andn2_b64 exec, exec, s[36:37]
	s_cbranch_execnz .LBB132_25
; %bb.26:
	s_or_b64 exec, exec, s[36:37]
.LBB132_27:
	s_or_b64 exec, exec, s[34:35]
	ds_bpermute_b32 v4, v4, v12
	s_waitcnt lgkmcnt(0)
	v_add_f32_e32 v4, v12, v4
	ds_bpermute_b32 v5, v5, v4
	s_waitcnt lgkmcnt(0)
	v_add_f32_e32 v4, v4, v5
	ds_bpermute_b32 v5, v9, v4
	v_xor_b32_e32 v9, 2, v2
	v_cmp_lt_i32_e64 s[10:11], v9, v3
	s_waitcnt lgkmcnt(0)
	v_add_f32_e32 v4, v4, v5
	ds_bpermute_b32 v5, v10, v4
	v_cndmask_b32_e64 v2, v2, v9, s[10:11]
	v_lshlrev_b32_e32 v2, 2, v2
	s_waitcnt lgkmcnt(0)
	v_add_f32_e32 v3, v4, v5
	ds_bpermute_b32 v2, v2, v3
	s_waitcnt lgkmcnt(0)
	v_add_f32_e32 v2, v3, v2
	ds_bpermute_b32 v3, v22, v2
	s_waitcnt lgkmcnt(0)
	v_add_f32_e32 v2, v2, v3
	s_and_saveexec_b64 s[10:11], vcc
	s_cbranch_execz .LBB132_29
; %bb.28:
	ds_write_b32 v7, v2 offset:264
.LBB132_29:
	s_or_b64 exec, exec, s[10:11]
	s_waitcnt lgkmcnt(0)
	s_barrier
	s_and_saveexec_b64 s[10:11], s[0:1]
	s_cbranch_execz .LBB132_31
; %bb.30:
	ds_read_b32 v2, v8 offset:264
.LBB132_31:
	s_or_b64 exec, exec, s[10:11]
	s_waitcnt lgkmcnt(0)
	ds_bpermute_b32 v3, v22, v2
	s_waitcnt lgkmcnt(0)
	v_add_f32_e32 v2, v2, v3
	ds_bpermute_b32 v2, v11, v2
	s_and_saveexec_b64 s[0:1], s[8:9]
	s_cbranch_execz .LBB132_44
; %bb.32:
	s_waitcnt lgkmcnt(0)
	v_add_f32_e32 v2, 0x358637bd, v2
	v_div_scale_f32 v3, s[8:9], v2, v2, 1.0
	v_rcp_f32_e32 v4, v3
	v_div_scale_f32 v5, vcc, 1.0, v2, 1.0
	s_movk_i32 s8, 0x7f
	v_fma_f32 v7, -v3, v4, 1.0
	v_fmac_f32_e32 v4, v7, v4
	v_mul_f32_e32 v7, v5, v4
	v_fma_f32 v8, -v3, v7, v5
	v_fmac_f32_e32 v7, v8, v4
	v_fma_f32 v3, -v3, v7, v5
	v_div_fmas_f32 v3, v3, v4, v7
	v_xad_u32 v4, v0, -1, s15
	v_div_fixup_f32 v2, v3, v2, 1.0
	v_cmp_lt_u32_e32 vcc, s8, v4
	s_mov_b64 s[10:11], -1
	v_mov_b32_e32 v3, v0
	s_and_saveexec_b64 s[8:9], vcc
	s_cbranch_execz .LBB132_41
; %bb.33:
	v_lshrrev_b32_e32 v4, 7, v4
	v_add_u32_e32 v7, -1, v4
	v_lshrrev_b32_e32 v5, 1, v7
	v_mov_b32_e32 v3, v2
	v_add_u32_e32 v5, 1, v5
	v_cmp_lt_u32_e32 vcc, 13, v7
	v_mov_b32_e32 v9, 0
	s_and_saveexec_b64 s[10:11], vcc
	s_cbranch_execz .LBB132_37
; %bb.34:
	v_mov_b32_e32 v8, 0x110
	v_and_b32_e32 v7, -8, v5
	v_lshl_add_u32 v8, v0, 2, v8
	s_mov_b32 s36, 0
	s_mov_b64 s[34:35], 0
.LBB132_35:                             ; =>This Inner Loop Header: Depth=1
	ds_read2st64_b32 v[10:11], v8 offset1:2
	ds_read2st64_b32 v[12:13], v8 offset0:4 offset1:6
	ds_read2st64_b32 v[14:15], v8 offset0:8 offset1:10
	;; [unrolled: 1-line block ×3, first 2 shown]
	v_add_u32_e32 v7, -8, v7
	s_waitcnt lgkmcnt(3)
	v_pk_mul_f32 v[10:11], v[2:3], v[10:11]
	s_waitcnt lgkmcnt(2)
	v_pk_mul_f32 v[12:13], v[2:3], v[12:13]
	ds_write2st64_b32 v8, v10, v11 offset1:2
	ds_write2st64_b32 v8, v12, v13 offset0:4 offset1:6
	ds_read2st64_b32 v[12:13], v8 offset0:16 offset1:18
	s_waitcnt lgkmcnt(4)
	v_pk_mul_f32 v[10:11], v[2:3], v[14:15]
	ds_write2st64_b32 v8, v10, v11 offset0:8 offset1:10
	s_waitcnt lgkmcnt(4)
	v_pk_mul_f32 v[10:11], v[2:3], v[16:17]
	ds_write2st64_b32 v8, v10, v11 offset0:12 offset1:14
	ds_read2st64_b32 v[10:11], v8 offset0:20 offset1:22
	s_waitcnt lgkmcnt(3)
	v_pk_mul_f32 v[12:13], v[2:3], v[12:13]
	ds_read2st64_b32 v[14:15], v8 offset0:24 offset1:26
	ds_write2st64_b32 v8, v12, v13 offset0:16 offset1:18
	ds_read2st64_b32 v[12:13], v8 offset0:28 offset1:30
	s_waitcnt lgkmcnt(3)
	v_pk_mul_f32 v[10:11], v[2:3], v[10:11]
	ds_write2st64_b32 v8, v10, v11 offset0:20 offset1:22
	s_waitcnt lgkmcnt(3)
	v_pk_mul_f32 v[10:11], v[2:3], v[14:15]
	ds_write2st64_b32 v8, v10, v11 offset0:24 offset1:26
	s_waitcnt lgkmcnt(2)
	v_pk_mul_f32 v[10:11], v[2:3], v[12:13]
	s_add_i32 s36, s36, 16
	v_cmp_eq_u32_e32 vcc, 0, v7
	ds_write2st64_b32 v8, v10, v11 offset0:28 offset1:30
	v_add_u32_e32 v8, 0x2000, v8
	s_or_b64 s[34:35], vcc, s[34:35]
	v_mov_b32_e32 v9, s36
	s_andn2_b64 exec, exec, s[34:35]
	s_cbranch_execnz .LBB132_35
; %bb.36:
	s_or_b64 exec, exec, s[34:35]
.LBB132_37:
	s_or_b64 exec, exec, s[10:11]
	v_and_b32_e32 v5, 7, v5
	v_cmp_ne_u32_e32 vcc, 0, v5
	s_and_saveexec_b64 s[10:11], vcc
	s_cbranch_execz .LBB132_40
; %bb.38:
	v_lshlrev_b32_e32 v7, 9, v9
	v_lshlrev_b32_e32 v8, 2, v0
	s_movk_i32 s34, 0x110
	v_add3_u32 v7, v7, v8, s34
	s_mov_b64 s[34:35], 0
.LBB132_39:                             ; =>This Inner Loop Header: Depth=1
	ds_read2st64_b32 v[8:9], v7 offset1:2
	v_add_u32_e32 v5, -1, v5
	v_cmp_eq_u32_e32 vcc, 0, v5
	s_or_b64 s[34:35], vcc, s[34:35]
	s_waitcnt lgkmcnt(0)
	v_pk_mul_f32 v[8:9], v[2:3], v[8:9]
	ds_write2st64_b32 v7, v8, v9 offset1:2
	v_add_u32_e32 v7, 0x400, v7
	s_andn2_b64 exec, exec, s[34:35]
	s_cbranch_execnz .LBB132_39
.LBB132_40:
	s_or_b64 exec, exec, s[10:11]
	v_add_u32_e32 v4, 1, v4
	v_and_b32_e32 v5, 0x3fffffe, v4
	v_cmp_ne_u32_e32 vcc, v4, v5
	v_lshl_add_u32 v3, v5, 7, v0
	s_orn2_b64 s[10:11], vcc, exec
.LBB132_41:
	s_or_b64 exec, exec, s[8:9]
	s_and_b64 exec, exec, s[10:11]
	s_cbranch_execz .LBB132_44
; %bb.42:
	v_mov_b32_e32 v4, 0x110
	v_lshl_add_u32 v4, v3, 2, v4
	s_mov_b64 s[8:9], 0
.LBB132_43:                             ; =>This Inner Loop Header: Depth=1
	ds_read_b32 v5, v4
	v_add_u32_e32 v3, 0x80, v3
	v_cmp_le_i32_e32 vcc, s15, v3
	s_or_b64 s[8:9], vcc, s[8:9]
	s_waitcnt lgkmcnt(0)
	v_mul_f32_e32 v5, v2, v5
	ds_write_b32 v4, v5
	v_add_u32_e32 v4, 0x200, v4
	s_andn2_b64 exec, exec, s[8:9]
	s_cbranch_execnz .LBB132_43
.LBB132_44:
	s_or_b64 exec, exec, s[0:1]
	v_mov_b32_e32 v5, 0
	v_and_b32_e32 v23, 1, v0
	v_mov_b32_e32 v4, 0
	v_mov_b32_e32 v3, 0
	s_waitcnt lgkmcnt(0)
	v_mov_b32_e32 v2, 0
	s_barrier
	s_and_saveexec_b64 s[8:9], s[2:3]
	s_cbranch_execz .LBB132_218
; %bb.45:
	s_ashr_i32 s15, s14, 31
	s_sub_i32 s17, s12, s17
	s_lshl_b64 s[0:1], s[14:15], 1
	s_add_u32 s0, s30, s0
	s_addc_u32 s1, s31, s1
	s_abs_i32 s14, s18
	v_cvt_f32_u32_e32 v2, s14
	v_lshlrev_b32_e32 v3, 3, v0
	s_sub_i32 s2, 0, s14
	v_and_b32_e32 v24, 8, v3
	v_rcp_iflag_f32_e32 v2, v2
	v_mov_b32_e32 v15, 0
	s_add_i32 s18, s43, -1
	s_mov_b32 s36, 0
	v_mul_f32_e32 v2, 0x4f7ffffe, v2
	v_cvt_u32_f32_e32 v2, v2
	s_mov_b32 s37, s36
	s_mov_b32 s38, s36
	s_mov_b32 s39, s36
	v_mul_lo_u32 v3, s2, v2
	v_mul_hi_u32 v3, v2, v3
	v_add_u32_e32 v25, v2, v3
	v_lshlrev_b32_e32 v2, 4, v0
	v_and_b32_e32 v14, 0x3f0, v2
	v_lshl_add_u64 v[16:17], s[0:1], 0, v[14:15]
	s_lshl_b64 s[0:1], s[28:29], 2
	s_add_u32 s0, s26, s0
	v_lshlrev_b32_e32 v2, 5, v23
	v_and_b32_e32 v14, 60, v6
	s_addc_u32 s1, s27, s1
	v_lshl_or_b32 v2, v1, 6, v2
	v_lshl_add_u64 v[18:19], s[0:1], 0, v[14:15]
	v_add_u32_e32 v14, 0x110, v2
	v_mov_b64_e32 v[2:3], s[36:37]
	s_mov_b32 s15, s13
	s_mov_b64 s[2:3], 0
	v_mov_b64_e32 v[4:5], s[38:39]
	s_mov_b32 s26, 0x7f800000
	s_movk_i32 s27, 0x7fff
	s_branch .LBB132_48
.LBB132_46:                             ;   in Loop: Header=BB132_48 Depth=1
	s_or_b64 exec, exec, s[0:1]
	v_and_b32_e32 v37, 0xffff0000, v27
	v_and_b32_e32 v36, 0xffff0000, v13
	;; [unrolled: 1-line block ×8, first 2 shown]
	v_pk_add_f32 v[12:13], v[12:13], v[36:37]
	v_pk_add_f32 v[26:27], v[28:29], v[34:35]
	v_add_f32_e32 v12, v12, v13
	v_add_f32_e32 v12, v12, v26
	v_add_f32_e32 v12, v12, v27
	v_and_b32_e32 v29, 0xffff0000, v51
	v_and_b32_e32 v28, 0xffff0000, v49
	;; [unrolled: 1-line block ×4, first 2 shown]
	v_add_f32_e32 v2, v2, v12
	v_and_b32_e32 v13, 0xffff0000, v55
	v_and_b32_e32 v12, 0xffff0000, v53
	;; [unrolled: 1-line block ×4, first 2 shown]
	v_pk_add_f32 v[28:29], v[34:35], v[28:29]
	v_pk_add_f32 v[12:13], v[26:27], v[12:13]
	v_add_f32_e32 v26, v28, v29
	v_add_f32_e32 v12, v26, v12
	;; [unrolled: 1-line block ×3, first 2 shown]
	v_and_b32_e32 v29, 0xffff0000, v59
	v_and_b32_e32 v28, 0xffff0000, v57
	;; [unrolled: 1-line block ×4, first 2 shown]
	v_add_f32_e32 v3, v3, v12
	v_and_b32_e32 v13, 0xffff0000, v63
	v_and_b32_e32 v12, 0xffff0000, v61
	v_and_b32_e32 v27, 0xffff0000, v62
	v_and_b32_e32 v26, 0xffff0000, v60
	v_pk_add_f32 v[28:29], v[34:35], v[28:29]
	v_pk_add_f32 v[12:13], v[26:27], v[12:13]
	v_add_f32_e32 v26, v28, v29
	v_add_f32_e32 v12, v26, v12
	;; [unrolled: 1-line block ×3, first 2 shown]
	v_and_b32_e32 v13, 0xffff0000, v11
	v_and_b32_e32 v11, 0xffff0000, v31
	;; [unrolled: 1-line block ×5, first 2 shown]
	v_add_f32_e32 v4, v4, v12
	v_and_b32_e32 v12, 0xffff0000, v32
	v_and_b32_e32 v9, 0xffff0000, v9
	;; [unrolled: 1-line block ×3, first 2 shown]
	v_pk_add_f32 v[6:7], v[6:7], v[10:11]
	v_pk_add_f32 v[8:9], v[8:9], v[12:13]
	v_add_f32_e32 v6, v6, v7
	v_add_f32_e32 v6, v6, v8
	;; [unrolled: 1-line block ×4, first 2 shown]
.LBB132_47:                             ;   in Loop: Header=BB132_48 Depth=1
	s_or_b64 exec, exec, s[10:11]
	v_add_u32_e32 v1, 2, v1
	v_cmp_le_i32_e32 vcc, s43, v1
	v_lshl_add_u64 v[18:19], v[18:19], 0, 8
	v_add_u32_e32 v20, 32, v20
	s_or_b64 s[2:3], vcc, s[2:3]
	v_add_u32_e32 v14, 0x80, v14
	s_andn2_b64 exec, exec, s[2:3]
	s_cbranch_execz .LBB132_217
.LBB132_48:                             ; =>This Inner Loop Header: Depth=1
	v_mul_hi_u32 v6, v20, s33
	v_mul_lo_u32 v7, v6, s23
	v_sub_u32_e32 v7, v20, v7
	v_add_u32_e32 v8, 1, v6
	v_cmp_le_u32_e32 vcc, s23, v7
	s_nop 1
	v_cndmask_b32_e32 v6, v6, v8, vcc
	v_subrev_u32_e32 v8, s23, v7
	v_cndmask_b32_e32 v7, v7, v8, vcc
	v_add_u32_e32 v8, 1, v6
	v_cmp_le_u32_e32 vcc, s23, v7
	s_nop 1
	v_cndmask_b32_e32 v6, v6, v8, vcc
	v_xor_b32_e32 v6, s19, v6
	v_subrev_u32_e32 v6, s19, v6
	v_add_u32_e32 v7, s42, v6
	v_sub_u32_e32 v9, 0, v7
	v_ashrrev_i32_e32 v8, 31, v7
	v_max_i32_e32 v7, v7, v9
	v_mul_hi_u32 v9, v7, v25
	v_mul_lo_u32 v9, v9, s14
	v_sub_u32_e32 v7, v7, v9
	v_subrev_u32_e32 v9, s14, v7
	v_cmp_le_u32_e32 vcc, s14, v7
	v_cmp_lt_i32_e64 s[0:1], s17, v6
	s_nop 0
	v_cndmask_b32_e32 v7, v7, v9, vcc
	v_subrev_u32_e32 v9, s14, v7
	v_cmp_le_u32_e32 vcc, s14, v7
	s_nop 1
	v_cndmask_b32_e32 v7, v7, v9, vcc
	v_xor_b32_e32 v7, v7, v8
	v_sub_u32_e32 v7, v7, v8
	v_cmp_eq_u32_e32 vcc, 0, v7
	s_or_b64 s[0:1], vcc, s[0:1]
	s_and_saveexec_b64 s[10:11], s[0:1]
	s_cbranch_execz .LBB132_47
; %bb.49:                               ;   in Loop: Header=BB132_48 Depth=1
	global_load_dword v31, v[18:19], off
	ds_read2_b64 v[10:13], v14 offset1:1
	ds_read2_b64 v[6:9], v14 offset0:2 offset1:3
                                        ; implicit-def: $vgpr40
	s_waitcnt lgkmcnt(1)
	v_and_b32_e32 v26, 0x7f800000, v10
	v_cmp_ne_u32_e32 vcc, s26, v26
	s_and_saveexec_b64 s[0:1], vcc
	s_xor_b64 s[0:1], exec, s[0:1]
; %bb.50:                               ;   in Loop: Header=BB132_48 Depth=1
	v_bfe_u32 v26, v10, 16, 1
	v_add3_u32 v40, v10, v26, s27
; %bb.51:                               ;   in Loop: Header=BB132_48 Depth=1
	s_andn2_saveexec_b64 s[0:1], s[0:1]
; %bb.52:                               ;   in Loop: Header=BB132_48 Depth=1
	v_or_b32_e32 v26, 0x10000, v10
	v_cmp_eq_u32_sdwa vcc, v10, v15 src0_sel:WORD_0 src1_sel:DWORD
	s_nop 1
	v_cndmask_b32_e32 v40, v26, v10, vcc
; %bb.53:                               ;   in Loop: Header=BB132_48 Depth=1
	s_or_b64 exec, exec, s[0:1]
	v_and_b32_e32 v10, 0x7f800000, v11
	v_cmp_ne_u32_e32 vcc, s26, v10
                                        ; implicit-def: $vgpr41
	s_and_saveexec_b64 s[0:1], vcc
	s_xor_b64 s[0:1], exec, s[0:1]
; %bb.54:                               ;   in Loop: Header=BB132_48 Depth=1
	v_bfe_u32 v10, v11, 16, 1
	v_add3_u32 v41, v11, v10, s27
; %bb.55:                               ;   in Loop: Header=BB132_48 Depth=1
	s_andn2_saveexec_b64 s[0:1], s[0:1]
; %bb.56:                               ;   in Loop: Header=BB132_48 Depth=1
	v_or_b32_e32 v10, 0x10000, v11
	v_cmp_eq_u32_sdwa vcc, v11, v15 src0_sel:WORD_0 src1_sel:DWORD
	s_nop 1
	v_cndmask_b32_e32 v41, v10, v11, vcc
; %bb.57:                               ;   in Loop: Header=BB132_48 Depth=1
	s_or_b64 exec, exec, s[0:1]
	v_and_b32_e32 v10, 0x7f800000, v12
	v_cmp_ne_u32_e32 vcc, s26, v10
                                        ; implicit-def: $vgpr26
	s_and_saveexec_b64 s[0:1], vcc
	s_xor_b64 s[0:1], exec, s[0:1]
; %bb.58:                               ;   in Loop: Header=BB132_48 Depth=1
	v_bfe_u32 v10, v12, 16, 1
	v_add3_u32 v26, v12, v10, s27
; %bb.59:                               ;   in Loop: Header=BB132_48 Depth=1
	s_andn2_saveexec_b64 s[0:1], s[0:1]
; %bb.60:                               ;   in Loop: Header=BB132_48 Depth=1
	v_or_b32_e32 v10, 0x10000, v12
	v_cmp_eq_u32_sdwa vcc, v12, v15 src0_sel:WORD_0 src1_sel:DWORD
	s_nop 1
	v_cndmask_b32_e32 v26, v10, v12, vcc
; %bb.61:                               ;   in Loop: Header=BB132_48 Depth=1
	s_or_b64 exec, exec, s[0:1]
	v_and_b32_e32 v10, 0x7f800000, v13
	v_cmp_ne_u32_e32 vcc, s26, v10
                                        ; implicit-def: $vgpr27
	s_and_saveexec_b64 s[0:1], vcc
	s_xor_b64 s[0:1], exec, s[0:1]
; %bb.62:                               ;   in Loop: Header=BB132_48 Depth=1
	v_bfe_u32 v10, v13, 16, 1
	v_add3_u32 v27, v13, v10, s27
                                        ; implicit-def: $vgpr10_vgpr11_vgpr12_vgpr13
; %bb.63:                               ;   in Loop: Header=BB132_48 Depth=1
	s_andn2_saveexec_b64 s[0:1], s[0:1]
; %bb.64:                               ;   in Loop: Header=BB132_48 Depth=1
	v_or_b32_e32 v10, 0x10000, v13
	v_cmp_eq_u32_sdwa vcc, v13, v15 src0_sel:WORD_0 src1_sel:DWORD
	s_nop 1
	v_cndmask_b32_e32 v27, v10, v13, vcc
; %bb.65:                               ;   in Loop: Header=BB132_48 Depth=1
	s_or_b64 exec, exec, s[0:1]
	s_waitcnt lgkmcnt(0)
	v_and_b32_e32 v10, 0x7f800000, v6
	v_cmp_ne_u32_e32 vcc, s26, v10
                                        ; implicit-def: $vgpr28
	s_and_saveexec_b64 s[0:1], vcc
	s_xor_b64 s[0:1], exec, s[0:1]
; %bb.66:                               ;   in Loop: Header=BB132_48 Depth=1
	v_bfe_u32 v10, v6, 16, 1
	v_add3_u32 v28, v6, v10, s27
; %bb.67:                               ;   in Loop: Header=BB132_48 Depth=1
	s_andn2_saveexec_b64 s[0:1], s[0:1]
; %bb.68:                               ;   in Loop: Header=BB132_48 Depth=1
	v_or_b32_e32 v10, 0x10000, v6
	v_cmp_eq_u32_sdwa vcc, v6, v15 src0_sel:WORD_0 src1_sel:DWORD
	s_nop 1
	v_cndmask_b32_e32 v28, v10, v6, vcc
; %bb.69:                               ;   in Loop: Header=BB132_48 Depth=1
	s_or_b64 exec, exec, s[0:1]
	v_and_b32_e32 v6, 0x7f800000, v7
	v_cmp_ne_u32_e32 vcc, s26, v6
                                        ; implicit-def: $vgpr29
	s_and_saveexec_b64 s[0:1], vcc
	s_xor_b64 s[0:1], exec, s[0:1]
; %bb.70:                               ;   in Loop: Header=BB132_48 Depth=1
	v_bfe_u32 v6, v7, 16, 1
	v_add3_u32 v29, v7, v6, s27
; %bb.71:                               ;   in Loop: Header=BB132_48 Depth=1
	s_andn2_saveexec_b64 s[0:1], s[0:1]
; %bb.72:                               ;   in Loop: Header=BB132_48 Depth=1
	v_or_b32_e32 v6, 0x10000, v7
	v_cmp_eq_u32_sdwa vcc, v7, v15 src0_sel:WORD_0 src1_sel:DWORD
	s_nop 1
	v_cndmask_b32_e32 v29, v6, v7, vcc
; %bb.73:                               ;   in Loop: Header=BB132_48 Depth=1
	s_or_b64 exec, exec, s[0:1]
	v_and_b32_e32 v6, 0x7f800000, v8
	v_cmp_ne_u32_e32 vcc, s26, v6
                                        ; implicit-def: $vgpr30
	s_and_saveexec_b64 s[0:1], vcc
	s_xor_b64 s[0:1], exec, s[0:1]
; %bb.74:                               ;   in Loop: Header=BB132_48 Depth=1
	v_bfe_u32 v6, v8, 16, 1
	v_add3_u32 v30, v8, v6, s27
; %bb.75:                               ;   in Loop: Header=BB132_48 Depth=1
	s_andn2_saveexec_b64 s[0:1], s[0:1]
; %bb.76:                               ;   in Loop: Header=BB132_48 Depth=1
	v_or_b32_e32 v6, 0x10000, v8
	v_cmp_eq_u32_sdwa vcc, v8, v15 src0_sel:WORD_0 src1_sel:DWORD
	s_nop 1
	v_cndmask_b32_e32 v30, v6, v8, vcc
; %bb.77:                               ;   in Loop: Header=BB132_48 Depth=1
	s_or_b64 exec, exec, s[0:1]
	v_and_b32_e32 v6, 0x7f800000, v9
	v_cmp_ne_u32_e32 vcc, s26, v6
                                        ; implicit-def: $vgpr39
	s_and_saveexec_b64 s[0:1], vcc
	s_xor_b64 s[0:1], exec, s[0:1]
; %bb.78:                               ;   in Loop: Header=BB132_48 Depth=1
	v_bfe_u32 v6, v9, 16, 1
	v_add3_u32 v39, v9, v6, s27
                                        ; implicit-def: $vgpr6_vgpr7_vgpr8_vgpr9
; %bb.79:                               ;   in Loop: Header=BB132_48 Depth=1
	s_andn2_saveexec_b64 s[0:1], s[0:1]
; %bb.80:                               ;   in Loop: Header=BB132_48 Depth=1
	v_or_b32_e32 v6, 0x10000, v9
	v_cmp_eq_u32_sdwa vcc, v9, v15 src0_sel:WORD_0 src1_sel:DWORD
	s_nop 1
	v_cndmask_b32_e32 v39, v6, v9, vcc
; %bb.81:                               ;   in Loop: Header=BB132_48 Depth=1
	s_or_b64 exec, exec, s[0:1]
	s_waitcnt vmcnt(0)
	v_mad_i64_i32 v[6:7], s[0:1], v31, s15, 0
	v_lshl_add_u64 v[10:11], v[6:7], 1, v[16:17]
	global_load_dwordx4 v[6:9], v[10:11], off
	v_add_u32_e32 v31, v24, v20
	v_cmp_eq_u32_e32 vcc, s18, v1
	v_add_u32_e32 v38, 1, v31
	v_add_u32_e32 v37, 2, v31
	;; [unrolled: 1-line block ×7, first 2 shown]
	s_waitcnt vmcnt(0)
	v_lshrrev_b32_e32 v13, 16, v6
	v_lshrrev_b32_e32 v44, 16, v7
	;; [unrolled: 1-line block ×4, first 2 shown]
	s_and_saveexec_b64 s[12:13], vcc
	s_cbranch_execz .LBB132_83
; %bb.82:                               ;   in Loop: Header=BB132_48 Depth=1
	v_cmp_gt_i32_e64 s[0:1], s21, v31
	s_nop 1
	v_cndmask_b32_e64 v6, 0, v6, s[0:1]
	v_cmp_gt_i32_e64 s[0:1], s21, v38
	s_nop 1
	v_cndmask_b32_e64 v13, 0, v13, s[0:1]
	;; [unrolled: 3-line block ×8, first 2 shown]
.LBB132_83:                             ;   in Loop: Header=BB132_48 Depth=1
	s_or_b64 exec, exec, s[12:13]
	v_and_b32_e32 v40, 0xffff0000, v40
	v_lshlrev_b32_e32 v6, 16, v6
	v_mul_f32_e32 v6, v40, v6
	v_and_b32_e32 v12, 0x7f800000, v6
	v_cmp_ne_u32_e64 s[0:1], s26, v12
                                        ; implicit-def: $vgpr12
	s_and_saveexec_b64 s[12:13], s[0:1]
	s_xor_b64 s[0:1], exec, s[12:13]
; %bb.84:                               ;   in Loop: Header=BB132_48 Depth=1
	v_bfe_u32 v12, v6, 16, 1
	v_add3_u32 v12, v6, v12, s27
                                        ; implicit-def: $vgpr6
; %bb.85:                               ;   in Loop: Header=BB132_48 Depth=1
	s_andn2_saveexec_b64 s[12:13], s[0:1]
; %bb.86:                               ;   in Loop: Header=BB132_48 Depth=1
	v_or_b32_e32 v12, 0x10000, v6
	v_cmp_eq_u32_sdwa s[0:1], v6, v15 src0_sel:WORD_0 src1_sel:DWORD
	s_nop 1
	v_cndmask_b32_e64 v12, v12, v6, s[0:1]
; %bb.87:                               ;   in Loop: Header=BB132_48 Depth=1
	s_or_b64 exec, exec, s[12:13]
	v_and_b32_e32 v41, 0xffff0000, v41
	v_lshlrev_b32_e32 v6, 16, v13
	v_mul_f32_e32 v6, v41, v6
	v_and_b32_e32 v13, 0x7f800000, v6
	v_cmp_ne_u32_e64 s[0:1], s26, v13
                                        ; implicit-def: $vgpr13
	s_and_saveexec_b64 s[12:13], s[0:1]
	s_xor_b64 s[0:1], exec, s[12:13]
; %bb.88:                               ;   in Loop: Header=BB132_48 Depth=1
	v_bfe_u32 v13, v6, 16, 1
	v_add3_u32 v13, v6, v13, s27
                                        ; implicit-def: $vgpr6
; %bb.89:                               ;   in Loop: Header=BB132_48 Depth=1
	s_andn2_saveexec_b64 s[12:13], s[0:1]
; %bb.90:                               ;   in Loop: Header=BB132_48 Depth=1
	v_or_b32_e32 v13, 0x10000, v6
	v_cmp_eq_u32_sdwa s[0:1], v6, v15 src0_sel:WORD_0 src1_sel:DWORD
	s_nop 1
	v_cndmask_b32_e64 v13, v13, v6, s[0:1]
; %bb.91:                               ;   in Loop: Header=BB132_48 Depth=1
	s_or_b64 exec, exec, s[12:13]
	v_and_b32_e32 v42, 0xffff0000, v26
	v_lshlrev_b32_e32 v6, 16, v7
	v_mul_f32_e32 v6, v42, v6
	v_and_b32_e32 v7, 0x7f800000, v6
	v_cmp_ne_u32_e64 s[0:1], s26, v7
                                        ; implicit-def: $vgpr26
	s_and_saveexec_b64 s[12:13], s[0:1]
	s_xor_b64 s[0:1], exec, s[12:13]
; %bb.92:                               ;   in Loop: Header=BB132_48 Depth=1
	v_bfe_u32 v7, v6, 16, 1
	v_add3_u32 v26, v6, v7, s27
                                        ; implicit-def: $vgpr6
; %bb.93:                               ;   in Loop: Header=BB132_48 Depth=1
	s_andn2_saveexec_b64 s[12:13], s[0:1]
; %bb.94:                               ;   in Loop: Header=BB132_48 Depth=1
	v_or_b32_e32 v7, 0x10000, v6
	v_cmp_eq_u32_sdwa s[0:1], v6, v15 src0_sel:WORD_0 src1_sel:DWORD
	s_nop 1
	v_cndmask_b32_e64 v26, v7, v6, s[0:1]
; %bb.95:                               ;   in Loop: Header=BB132_48 Depth=1
	s_or_b64 exec, exec, s[12:13]
	v_and_b32_e32 v43, 0xffff0000, v27
	v_lshlrev_b32_e32 v6, 16, v44
	v_mul_f32_e32 v6, v43, v6
	v_and_b32_e32 v7, 0x7f800000, v6
	v_cmp_ne_u32_e64 s[0:1], s26, v7
                                        ; implicit-def: $vgpr27
	s_and_saveexec_b64 s[12:13], s[0:1]
	s_xor_b64 s[0:1], exec, s[12:13]
; %bb.96:                               ;   in Loop: Header=BB132_48 Depth=1
	v_bfe_u32 v7, v6, 16, 1
	v_add3_u32 v27, v6, v7, s27
                                        ; implicit-def: $vgpr6
; %bb.97:                               ;   in Loop: Header=BB132_48 Depth=1
	s_andn2_saveexec_b64 s[12:13], s[0:1]
; %bb.98:                               ;   in Loop: Header=BB132_48 Depth=1
	v_or_b32_e32 v7, 0x10000, v6
	v_cmp_eq_u32_sdwa s[0:1], v6, v15 src0_sel:WORD_0 src1_sel:DWORD
	s_nop 1
	v_cndmask_b32_e64 v27, v7, v6, s[0:1]
; %bb.99:                               ;   in Loop: Header=BB132_48 Depth=1
	s_or_b64 exec, exec, s[12:13]
	v_and_b32_e32 v44, 0xffff0000, v28
	v_lshlrev_b32_e32 v6, 16, v8
	v_mul_f32_e32 v6, v44, v6
	v_and_b32_e32 v7, 0x7f800000, v6
	v_cmp_ne_u32_e64 s[0:1], s26, v7
                                        ; implicit-def: $vgpr28
	s_and_saveexec_b64 s[12:13], s[0:1]
	s_xor_b64 s[0:1], exec, s[12:13]
; %bb.100:                              ;   in Loop: Header=BB132_48 Depth=1
	v_bfe_u32 v7, v6, 16, 1
	v_add3_u32 v28, v6, v7, s27
                                        ; implicit-def: $vgpr6
; %bb.101:                              ;   in Loop: Header=BB132_48 Depth=1
	s_andn2_saveexec_b64 s[12:13], s[0:1]
; %bb.102:                              ;   in Loop: Header=BB132_48 Depth=1
	v_or_b32_e32 v7, 0x10000, v6
	v_cmp_eq_u32_sdwa s[0:1], v6, v15 src0_sel:WORD_0 src1_sel:DWORD
	s_nop 1
	v_cndmask_b32_e64 v28, v7, v6, s[0:1]
; %bb.103:                              ;   in Loop: Header=BB132_48 Depth=1
	s_or_b64 exec, exec, s[12:13]
	v_and_b32_e32 v45, 0xffff0000, v29
	v_lshlrev_b32_e32 v6, 16, v46
	v_mul_f32_e32 v6, v45, v6
	v_and_b32_e32 v7, 0x7f800000, v6
	v_cmp_ne_u32_e64 s[0:1], s26, v7
                                        ; implicit-def: $vgpr29
	s_and_saveexec_b64 s[12:13], s[0:1]
	s_xor_b64 s[0:1], exec, s[12:13]
; %bb.104:                              ;   in Loop: Header=BB132_48 Depth=1
	v_bfe_u32 v7, v6, 16, 1
	v_add3_u32 v29, v6, v7, s27
                                        ; implicit-def: $vgpr6
; %bb.105:                              ;   in Loop: Header=BB132_48 Depth=1
	s_andn2_saveexec_b64 s[12:13], s[0:1]
; %bb.106:                              ;   in Loop: Header=BB132_48 Depth=1
	v_or_b32_e32 v7, 0x10000, v6
	v_cmp_eq_u32_sdwa s[0:1], v6, v15 src0_sel:WORD_0 src1_sel:DWORD
	s_nop 1
	v_cndmask_b32_e64 v29, v7, v6, s[0:1]
; %bb.107:                              ;   in Loop: Header=BB132_48 Depth=1
	s_or_b64 exec, exec, s[12:13]
	v_and_b32_e32 v46, 0xffff0000, v30
	v_lshlrev_b32_e32 v6, 16, v9
	v_mul_f32_e32 v6, v46, v6
	v_and_b32_e32 v7, 0x7f800000, v6
	v_cmp_ne_u32_e64 s[0:1], s26, v7
                                        ; implicit-def: $vgpr30
	s_and_saveexec_b64 s[12:13], s[0:1]
	s_xor_b64 s[0:1], exec, s[12:13]
; %bb.108:                              ;   in Loop: Header=BB132_48 Depth=1
	v_bfe_u32 v7, v6, 16, 1
	v_add3_u32 v30, v6, v7, s27
                                        ; implicit-def: $vgpr6
; %bb.109:                              ;   in Loop: Header=BB132_48 Depth=1
	s_andn2_saveexec_b64 s[12:13], s[0:1]
; %bb.110:                              ;   in Loop: Header=BB132_48 Depth=1
	v_or_b32_e32 v7, 0x10000, v6
	v_cmp_eq_u32_sdwa s[0:1], v6, v15 src0_sel:WORD_0 src1_sel:DWORD
	s_nop 1
	v_cndmask_b32_e64 v30, v7, v6, s[0:1]
; %bb.111:                              ;   in Loop: Header=BB132_48 Depth=1
	s_or_b64 exec, exec, s[12:13]
	v_and_b32_e32 v47, 0xffff0000, v39
	v_lshlrev_b32_e32 v6, 16, v48
	v_mul_f32_e32 v6, v47, v6
	v_and_b32_e32 v7, 0x7f800000, v6
	v_cmp_ne_u32_e64 s[0:1], s26, v7
                                        ; implicit-def: $vgpr39
	s_and_saveexec_b64 s[12:13], s[0:1]
	s_xor_b64 s[0:1], exec, s[12:13]
; %bb.112:                              ;   in Loop: Header=BB132_48 Depth=1
	v_bfe_u32 v7, v6, 16, 1
	v_add3_u32 v39, v6, v7, s27
                                        ; implicit-def: $vgpr6
; %bb.113:                              ;   in Loop: Header=BB132_48 Depth=1
	s_andn2_saveexec_b64 s[12:13], s[0:1]
; %bb.114:                              ;   in Loop: Header=BB132_48 Depth=1
	v_or_b32_e32 v7, 0x10000, v6
	v_cmp_eq_u32_sdwa s[0:1], v6, v15 src0_sel:WORD_0 src1_sel:DWORD
	s_nop 1
	v_cndmask_b32_e64 v39, v7, v6, s[0:1]
; %bb.115:                              ;   in Loop: Header=BB132_48 Depth=1
	s_or_b64 exec, exec, s[12:13]
	global_load_dwordx4 v[6:9], v[10:11], off offset:1024
	s_waitcnt vmcnt(0)
	v_lshrrev_b32_e32 v49, 16, v6
	v_lshrrev_b32_e32 v51, 16, v7
	v_lshrrev_b32_e32 v53, 16, v8
	v_lshrrev_b32_e32 v55, 16, v9
	s_and_saveexec_b64 s[12:13], vcc
	s_cbranch_execz .LBB132_117
; %bb.116:                              ;   in Loop: Header=BB132_48 Depth=1
	v_cmp_gt_i32_e64 s[0:1], s21, v31
	s_nop 1
	v_cndmask_b32_e64 v6, 0, v6, s[0:1]
	v_cmp_gt_i32_e64 s[0:1], s21, v38
	s_nop 1
	v_cndmask_b32_e64 v49, 0, v49, s[0:1]
	;; [unrolled: 3-line block ×8, first 2 shown]
.LBB132_117:                            ;   in Loop: Header=BB132_48 Depth=1
	s_or_b64 exec, exec, s[12:13]
	v_lshlrev_b32_e32 v6, 16, v6
	v_mul_f32_e32 v6, v40, v6
	v_and_b32_e32 v48, 0x7f800000, v6
	v_cmp_ne_u32_e64 s[0:1], s26, v48
                                        ; implicit-def: $vgpr48
	s_and_saveexec_b64 s[12:13], s[0:1]
	s_xor_b64 s[0:1], exec, s[12:13]
; %bb.118:                              ;   in Loop: Header=BB132_48 Depth=1
	v_bfe_u32 v48, v6, 16, 1
	v_add3_u32 v48, v6, v48, s27
                                        ; implicit-def: $vgpr6
; %bb.119:                              ;   in Loop: Header=BB132_48 Depth=1
	s_andn2_saveexec_b64 s[12:13], s[0:1]
; %bb.120:                              ;   in Loop: Header=BB132_48 Depth=1
	v_or_b32_e32 v48, 0x10000, v6
	v_cmp_eq_u32_sdwa s[0:1], v6, v15 src0_sel:WORD_0 src1_sel:DWORD
	s_nop 1
	v_cndmask_b32_e64 v48, v48, v6, s[0:1]
; %bb.121:                              ;   in Loop: Header=BB132_48 Depth=1
	s_or_b64 exec, exec, s[12:13]
	v_lshlrev_b32_e32 v6, 16, v49
	v_mul_f32_e32 v6, v41, v6
	v_and_b32_e32 v49, 0x7f800000, v6
	v_cmp_ne_u32_e64 s[0:1], s26, v49
                                        ; implicit-def: $vgpr49
	s_and_saveexec_b64 s[12:13], s[0:1]
	s_xor_b64 s[0:1], exec, s[12:13]
; %bb.122:                              ;   in Loop: Header=BB132_48 Depth=1
	v_bfe_u32 v49, v6, 16, 1
	v_add3_u32 v49, v6, v49, s27
                                        ; implicit-def: $vgpr6
; %bb.123:                              ;   in Loop: Header=BB132_48 Depth=1
	s_andn2_saveexec_b64 s[12:13], s[0:1]
; %bb.124:                              ;   in Loop: Header=BB132_48 Depth=1
	v_or_b32_e32 v49, 0x10000, v6
	v_cmp_eq_u32_sdwa s[0:1], v6, v15 src0_sel:WORD_0 src1_sel:DWORD
	s_nop 1
	v_cndmask_b32_e64 v49, v49, v6, s[0:1]
; %bb.125:                              ;   in Loop: Header=BB132_48 Depth=1
	s_or_b64 exec, exec, s[12:13]
	v_lshlrev_b32_e32 v6, 16, v7
	v_mul_f32_e32 v6, v42, v6
	v_and_b32_e32 v7, 0x7f800000, v6
	v_cmp_ne_u32_e64 s[0:1], s26, v7
                                        ; implicit-def: $vgpr50
	s_and_saveexec_b64 s[12:13], s[0:1]
	s_xor_b64 s[0:1], exec, s[12:13]
; %bb.126:                              ;   in Loop: Header=BB132_48 Depth=1
	v_bfe_u32 v7, v6, 16, 1
	v_add3_u32 v50, v6, v7, s27
                                        ; implicit-def: $vgpr6
; %bb.127:                              ;   in Loop: Header=BB132_48 Depth=1
	s_andn2_saveexec_b64 s[12:13], s[0:1]
; %bb.128:                              ;   in Loop: Header=BB132_48 Depth=1
	v_or_b32_e32 v7, 0x10000, v6
	v_cmp_eq_u32_sdwa s[0:1], v6, v15 src0_sel:WORD_0 src1_sel:DWORD
	s_nop 1
	v_cndmask_b32_e64 v50, v7, v6, s[0:1]
; %bb.129:                              ;   in Loop: Header=BB132_48 Depth=1
	s_or_b64 exec, exec, s[12:13]
	v_lshlrev_b32_e32 v6, 16, v51
	v_mul_f32_e32 v6, v43, v6
	v_and_b32_e32 v7, 0x7f800000, v6
	v_cmp_ne_u32_e64 s[0:1], s26, v7
                                        ; implicit-def: $vgpr51
	s_and_saveexec_b64 s[12:13], s[0:1]
	s_xor_b64 s[0:1], exec, s[12:13]
; %bb.130:                              ;   in Loop: Header=BB132_48 Depth=1
	v_bfe_u32 v7, v6, 16, 1
	v_add3_u32 v51, v6, v7, s27
                                        ; implicit-def: $vgpr6
; %bb.131:                              ;   in Loop: Header=BB132_48 Depth=1
	s_andn2_saveexec_b64 s[12:13], s[0:1]
; %bb.132:                              ;   in Loop: Header=BB132_48 Depth=1
	v_or_b32_e32 v7, 0x10000, v6
	v_cmp_eq_u32_sdwa s[0:1], v6, v15 src0_sel:WORD_0 src1_sel:DWORD
	s_nop 1
	v_cndmask_b32_e64 v51, v7, v6, s[0:1]
; %bb.133:                              ;   in Loop: Header=BB132_48 Depth=1
	s_or_b64 exec, exec, s[12:13]
	v_lshlrev_b32_e32 v6, 16, v8
	v_mul_f32_e32 v6, v44, v6
	v_and_b32_e32 v7, 0x7f800000, v6
	v_cmp_ne_u32_e64 s[0:1], s26, v7
                                        ; implicit-def: $vgpr52
	s_and_saveexec_b64 s[12:13], s[0:1]
	s_xor_b64 s[0:1], exec, s[12:13]
; %bb.134:                              ;   in Loop: Header=BB132_48 Depth=1
	v_bfe_u32 v7, v6, 16, 1
	v_add3_u32 v52, v6, v7, s27
                                        ; implicit-def: $vgpr6
; %bb.135:                              ;   in Loop: Header=BB132_48 Depth=1
	s_andn2_saveexec_b64 s[12:13], s[0:1]
; %bb.136:                              ;   in Loop: Header=BB132_48 Depth=1
	v_or_b32_e32 v7, 0x10000, v6
	v_cmp_eq_u32_sdwa s[0:1], v6, v15 src0_sel:WORD_0 src1_sel:DWORD
	s_nop 1
	v_cndmask_b32_e64 v52, v7, v6, s[0:1]
; %bb.137:                              ;   in Loop: Header=BB132_48 Depth=1
	s_or_b64 exec, exec, s[12:13]
	v_lshlrev_b32_e32 v6, 16, v53
	v_mul_f32_e32 v6, v45, v6
	v_and_b32_e32 v7, 0x7f800000, v6
	v_cmp_ne_u32_e64 s[0:1], s26, v7
                                        ; implicit-def: $vgpr53
	s_and_saveexec_b64 s[12:13], s[0:1]
	s_xor_b64 s[0:1], exec, s[12:13]
; %bb.138:                              ;   in Loop: Header=BB132_48 Depth=1
	v_bfe_u32 v7, v6, 16, 1
	v_add3_u32 v53, v6, v7, s27
                                        ; implicit-def: $vgpr6
; %bb.139:                              ;   in Loop: Header=BB132_48 Depth=1
	s_andn2_saveexec_b64 s[12:13], s[0:1]
; %bb.140:                              ;   in Loop: Header=BB132_48 Depth=1
	v_or_b32_e32 v7, 0x10000, v6
	v_cmp_eq_u32_sdwa s[0:1], v6, v15 src0_sel:WORD_0 src1_sel:DWORD
	s_nop 1
	v_cndmask_b32_e64 v53, v7, v6, s[0:1]
; %bb.141:                              ;   in Loop: Header=BB132_48 Depth=1
	s_or_b64 exec, exec, s[12:13]
	v_lshlrev_b32_e32 v6, 16, v9
	v_mul_f32_e32 v6, v46, v6
	v_and_b32_e32 v7, 0x7f800000, v6
	v_cmp_ne_u32_e64 s[0:1], s26, v7
                                        ; implicit-def: $vgpr54
	s_and_saveexec_b64 s[12:13], s[0:1]
	s_xor_b64 s[0:1], exec, s[12:13]
; %bb.142:                              ;   in Loop: Header=BB132_48 Depth=1
	v_bfe_u32 v7, v6, 16, 1
	v_add3_u32 v54, v6, v7, s27
                                        ; implicit-def: $vgpr6
; %bb.143:                              ;   in Loop: Header=BB132_48 Depth=1
	s_andn2_saveexec_b64 s[12:13], s[0:1]
; %bb.144:                              ;   in Loop: Header=BB132_48 Depth=1
	v_or_b32_e32 v7, 0x10000, v6
	v_cmp_eq_u32_sdwa s[0:1], v6, v15 src0_sel:WORD_0 src1_sel:DWORD
	s_nop 1
	v_cndmask_b32_e64 v54, v7, v6, s[0:1]
; %bb.145:                              ;   in Loop: Header=BB132_48 Depth=1
	s_or_b64 exec, exec, s[12:13]
	v_lshlrev_b32_e32 v6, 16, v55
	v_mul_f32_e32 v6, v47, v6
	v_and_b32_e32 v7, 0x7f800000, v6
	v_cmp_ne_u32_e64 s[0:1], s26, v7
                                        ; implicit-def: $vgpr55
	s_and_saveexec_b64 s[12:13], s[0:1]
	s_xor_b64 s[0:1], exec, s[12:13]
; %bb.146:                              ;   in Loop: Header=BB132_48 Depth=1
	v_bfe_u32 v7, v6, 16, 1
	v_add3_u32 v55, v6, v7, s27
                                        ; implicit-def: $vgpr6
; %bb.147:                              ;   in Loop: Header=BB132_48 Depth=1
	s_andn2_saveexec_b64 s[12:13], s[0:1]
; %bb.148:                              ;   in Loop: Header=BB132_48 Depth=1
	v_or_b32_e32 v7, 0x10000, v6
	v_cmp_eq_u32_sdwa s[0:1], v6, v15 src0_sel:WORD_0 src1_sel:DWORD
	s_nop 1
	v_cndmask_b32_e64 v55, v7, v6, s[0:1]
; %bb.149:                              ;   in Loop: Header=BB132_48 Depth=1
	s_or_b64 exec, exec, s[12:13]
	global_load_dwordx4 v[6:9], v[10:11], off offset:2048
	s_waitcnt vmcnt(0)
	v_lshrrev_b32_e32 v57, 16, v6
	v_lshrrev_b32_e32 v59, 16, v7
	;; [unrolled: 1-line block ×4, first 2 shown]
	s_and_saveexec_b64 s[12:13], vcc
	s_cbranch_execz .LBB132_151
; %bb.150:                              ;   in Loop: Header=BB132_48 Depth=1
	v_cmp_gt_i32_e64 s[0:1], s21, v31
	s_nop 1
	v_cndmask_b32_e64 v6, 0, v6, s[0:1]
	v_cmp_gt_i32_e64 s[0:1], s21, v38
	s_nop 1
	v_cndmask_b32_e64 v57, 0, v57, s[0:1]
	;; [unrolled: 3-line block ×8, first 2 shown]
.LBB132_151:                            ;   in Loop: Header=BB132_48 Depth=1
	s_or_b64 exec, exec, s[12:13]
	v_lshlrev_b32_e32 v6, 16, v6
	v_mul_f32_e32 v6, v40, v6
	v_and_b32_e32 v56, 0x7f800000, v6
	v_cmp_ne_u32_e64 s[0:1], s26, v56
                                        ; implicit-def: $vgpr56
	s_and_saveexec_b64 s[12:13], s[0:1]
	s_xor_b64 s[0:1], exec, s[12:13]
; %bb.152:                              ;   in Loop: Header=BB132_48 Depth=1
	v_bfe_u32 v56, v6, 16, 1
	v_add3_u32 v56, v6, v56, s27
                                        ; implicit-def: $vgpr6
; %bb.153:                              ;   in Loop: Header=BB132_48 Depth=1
	s_andn2_saveexec_b64 s[12:13], s[0:1]
; %bb.154:                              ;   in Loop: Header=BB132_48 Depth=1
	v_or_b32_e32 v56, 0x10000, v6
	v_cmp_eq_u32_sdwa s[0:1], v6, v15 src0_sel:WORD_0 src1_sel:DWORD
	s_nop 1
	v_cndmask_b32_e64 v56, v56, v6, s[0:1]
; %bb.155:                              ;   in Loop: Header=BB132_48 Depth=1
	s_or_b64 exec, exec, s[12:13]
	v_lshlrev_b32_e32 v6, 16, v57
	v_mul_f32_e32 v6, v41, v6
	v_and_b32_e32 v57, 0x7f800000, v6
	v_cmp_ne_u32_e64 s[0:1], s26, v57
                                        ; implicit-def: $vgpr57
	s_and_saveexec_b64 s[12:13], s[0:1]
	s_xor_b64 s[0:1], exec, s[12:13]
; %bb.156:                              ;   in Loop: Header=BB132_48 Depth=1
	v_bfe_u32 v57, v6, 16, 1
	v_add3_u32 v57, v6, v57, s27
                                        ; implicit-def: $vgpr6
; %bb.157:                              ;   in Loop: Header=BB132_48 Depth=1
	s_andn2_saveexec_b64 s[12:13], s[0:1]
; %bb.158:                              ;   in Loop: Header=BB132_48 Depth=1
	v_or_b32_e32 v57, 0x10000, v6
	v_cmp_eq_u32_sdwa s[0:1], v6, v15 src0_sel:WORD_0 src1_sel:DWORD
	s_nop 1
	v_cndmask_b32_e64 v57, v57, v6, s[0:1]
; %bb.159:                              ;   in Loop: Header=BB132_48 Depth=1
	s_or_b64 exec, exec, s[12:13]
	v_lshlrev_b32_e32 v6, 16, v7
	v_mul_f32_e32 v6, v42, v6
	v_and_b32_e32 v7, 0x7f800000, v6
	v_cmp_ne_u32_e64 s[0:1], s26, v7
                                        ; implicit-def: $vgpr58
	s_and_saveexec_b64 s[12:13], s[0:1]
	s_xor_b64 s[0:1], exec, s[12:13]
; %bb.160:                              ;   in Loop: Header=BB132_48 Depth=1
	v_bfe_u32 v7, v6, 16, 1
	v_add3_u32 v58, v6, v7, s27
                                        ; implicit-def: $vgpr6
; %bb.161:                              ;   in Loop: Header=BB132_48 Depth=1
	s_andn2_saveexec_b64 s[12:13], s[0:1]
; %bb.162:                              ;   in Loop: Header=BB132_48 Depth=1
	v_or_b32_e32 v7, 0x10000, v6
	v_cmp_eq_u32_sdwa s[0:1], v6, v15 src0_sel:WORD_0 src1_sel:DWORD
	s_nop 1
	v_cndmask_b32_e64 v58, v7, v6, s[0:1]
; %bb.163:                              ;   in Loop: Header=BB132_48 Depth=1
	s_or_b64 exec, exec, s[12:13]
	v_lshlrev_b32_e32 v6, 16, v59
	v_mul_f32_e32 v6, v43, v6
	v_and_b32_e32 v7, 0x7f800000, v6
	v_cmp_ne_u32_e64 s[0:1], s26, v7
                                        ; implicit-def: $vgpr59
	s_and_saveexec_b64 s[12:13], s[0:1]
	s_xor_b64 s[0:1], exec, s[12:13]
; %bb.164:                              ;   in Loop: Header=BB132_48 Depth=1
	v_bfe_u32 v7, v6, 16, 1
	v_add3_u32 v59, v6, v7, s27
                                        ; implicit-def: $vgpr6
; %bb.165:                              ;   in Loop: Header=BB132_48 Depth=1
	s_andn2_saveexec_b64 s[12:13], s[0:1]
; %bb.166:                              ;   in Loop: Header=BB132_48 Depth=1
	v_or_b32_e32 v7, 0x10000, v6
	v_cmp_eq_u32_sdwa s[0:1], v6, v15 src0_sel:WORD_0 src1_sel:DWORD
	s_nop 1
	v_cndmask_b32_e64 v59, v7, v6, s[0:1]
; %bb.167:                              ;   in Loop: Header=BB132_48 Depth=1
	s_or_b64 exec, exec, s[12:13]
	v_lshlrev_b32_e32 v6, 16, v8
	v_mul_f32_e32 v6, v44, v6
	v_and_b32_e32 v7, 0x7f800000, v6
	v_cmp_ne_u32_e64 s[0:1], s26, v7
                                        ; implicit-def: $vgpr60
	s_and_saveexec_b64 s[12:13], s[0:1]
	s_xor_b64 s[0:1], exec, s[12:13]
; %bb.168:                              ;   in Loop: Header=BB132_48 Depth=1
	v_bfe_u32 v7, v6, 16, 1
	v_add3_u32 v60, v6, v7, s27
                                        ; implicit-def: $vgpr6
; %bb.169:                              ;   in Loop: Header=BB132_48 Depth=1
	s_andn2_saveexec_b64 s[12:13], s[0:1]
; %bb.170:                              ;   in Loop: Header=BB132_48 Depth=1
	v_or_b32_e32 v7, 0x10000, v6
	v_cmp_eq_u32_sdwa s[0:1], v6, v15 src0_sel:WORD_0 src1_sel:DWORD
	s_nop 1
	v_cndmask_b32_e64 v60, v7, v6, s[0:1]
; %bb.171:                              ;   in Loop: Header=BB132_48 Depth=1
	s_or_b64 exec, exec, s[12:13]
	v_lshlrev_b32_e32 v6, 16, v61
	v_mul_f32_e32 v6, v45, v6
	v_and_b32_e32 v7, 0x7f800000, v6
	v_cmp_ne_u32_e64 s[0:1], s26, v7
                                        ; implicit-def: $vgpr61
	s_and_saveexec_b64 s[12:13], s[0:1]
	s_xor_b64 s[0:1], exec, s[12:13]
; %bb.172:                              ;   in Loop: Header=BB132_48 Depth=1
	v_bfe_u32 v7, v6, 16, 1
	v_add3_u32 v61, v6, v7, s27
                                        ; implicit-def: $vgpr6
; %bb.173:                              ;   in Loop: Header=BB132_48 Depth=1
	s_andn2_saveexec_b64 s[12:13], s[0:1]
; %bb.174:                              ;   in Loop: Header=BB132_48 Depth=1
	v_or_b32_e32 v7, 0x10000, v6
	v_cmp_eq_u32_sdwa s[0:1], v6, v15 src0_sel:WORD_0 src1_sel:DWORD
	s_nop 1
	v_cndmask_b32_e64 v61, v7, v6, s[0:1]
; %bb.175:                              ;   in Loop: Header=BB132_48 Depth=1
	s_or_b64 exec, exec, s[12:13]
	v_lshlrev_b32_e32 v6, 16, v9
	v_mul_f32_e32 v6, v46, v6
	v_and_b32_e32 v7, 0x7f800000, v6
	v_cmp_ne_u32_e64 s[0:1], s26, v7
                                        ; implicit-def: $vgpr62
	s_and_saveexec_b64 s[12:13], s[0:1]
	s_xor_b64 s[0:1], exec, s[12:13]
; %bb.176:                              ;   in Loop: Header=BB132_48 Depth=1
	v_bfe_u32 v7, v6, 16, 1
	v_add3_u32 v62, v6, v7, s27
                                        ; implicit-def: $vgpr6
; %bb.177:                              ;   in Loop: Header=BB132_48 Depth=1
	s_andn2_saveexec_b64 s[12:13], s[0:1]
; %bb.178:                              ;   in Loop: Header=BB132_48 Depth=1
	v_or_b32_e32 v7, 0x10000, v6
	v_cmp_eq_u32_sdwa s[0:1], v6, v15 src0_sel:WORD_0 src1_sel:DWORD
	s_nop 1
	v_cndmask_b32_e64 v62, v7, v6, s[0:1]
; %bb.179:                              ;   in Loop: Header=BB132_48 Depth=1
	s_or_b64 exec, exec, s[12:13]
	v_lshlrev_b32_e32 v6, 16, v63
	v_mul_f32_e32 v6, v47, v6
	v_and_b32_e32 v7, 0x7f800000, v6
	v_cmp_ne_u32_e64 s[0:1], s26, v7
                                        ; implicit-def: $vgpr63
	s_and_saveexec_b64 s[12:13], s[0:1]
	s_xor_b64 s[0:1], exec, s[12:13]
; %bb.180:                              ;   in Loop: Header=BB132_48 Depth=1
	v_bfe_u32 v7, v6, 16, 1
	v_add3_u32 v63, v6, v7, s27
                                        ; implicit-def: $vgpr6
; %bb.181:                              ;   in Loop: Header=BB132_48 Depth=1
	s_andn2_saveexec_b64 s[12:13], s[0:1]
; %bb.182:                              ;   in Loop: Header=BB132_48 Depth=1
	v_or_b32_e32 v7, 0x10000, v6
	v_cmp_eq_u32_sdwa s[0:1], v6, v15 src0_sel:WORD_0 src1_sel:DWORD
	s_nop 1
	v_cndmask_b32_e64 v63, v7, v6, s[0:1]
; %bb.183:                              ;   in Loop: Header=BB132_48 Depth=1
	s_or_b64 exec, exec, s[12:13]
	global_load_dwordx4 v[6:9], v[10:11], off offset:3072
	s_waitcnt vmcnt(0)
	v_lshrrev_b32_e32 v10, 16, v6
	v_lshrrev_b32_e32 v65, 16, v7
	;; [unrolled: 1-line block ×4, first 2 shown]
	s_and_saveexec_b64 s[0:1], vcc
	s_cbranch_execz .LBB132_185
; %bb.184:                              ;   in Loop: Header=BB132_48 Depth=1
	v_cmp_gt_i32_e32 vcc, s21, v31
	s_nop 1
	v_cndmask_b32_e32 v6, 0, v6, vcc
	v_cmp_gt_i32_e32 vcc, s21, v38
	s_nop 1
	v_cndmask_b32_e32 v10, 0, v10, vcc
	;; [unrolled: 3-line block ×8, first 2 shown]
.LBB132_185:                            ;   in Loop: Header=BB132_48 Depth=1
	s_or_b64 exec, exec, s[0:1]
	v_lshlrev_b32_e32 v6, 16, v6
	v_mul_f32_e32 v31, v40, v6
	v_and_b32_e32 v6, 0x7f800000, v31
	v_cmp_ne_u32_e32 vcc, s26, v6
                                        ; implicit-def: $vgpr6
	s_and_saveexec_b64 s[0:1], vcc
	s_xor_b64 s[0:1], exec, s[0:1]
; %bb.186:                              ;   in Loop: Header=BB132_48 Depth=1
	v_bfe_u32 v6, v31, 16, 1
	v_add3_u32 v6, v31, v6, s27
                                        ; implicit-def: $vgpr31
; %bb.187:                              ;   in Loop: Header=BB132_48 Depth=1
	s_andn2_saveexec_b64 s[0:1], s[0:1]
; %bb.188:                              ;   in Loop: Header=BB132_48 Depth=1
	v_or_b32_e32 v6, 0x10000, v31
	v_cmp_eq_u32_sdwa vcc, v31, v15 src0_sel:WORD_0 src1_sel:DWORD
	s_nop 1
	v_cndmask_b32_e32 v6, v6, v31, vcc
; %bb.189:                              ;   in Loop: Header=BB132_48 Depth=1
	s_or_b64 exec, exec, s[0:1]
	v_lshlrev_b32_e32 v10, 16, v10
	v_mul_f32_e32 v31, v41, v10
	v_and_b32_e32 v10, 0x7f800000, v31
	v_cmp_ne_u32_e32 vcc, s26, v10
                                        ; implicit-def: $vgpr10
	s_and_saveexec_b64 s[0:1], vcc
	s_xor_b64 s[0:1], exec, s[0:1]
; %bb.190:                              ;   in Loop: Header=BB132_48 Depth=1
	v_bfe_u32 v10, v31, 16, 1
	v_add3_u32 v10, v31, v10, s27
                                        ; implicit-def: $vgpr31
; %bb.191:                              ;   in Loop: Header=BB132_48 Depth=1
	s_andn2_saveexec_b64 s[0:1], s[0:1]
; %bb.192:                              ;   in Loop: Header=BB132_48 Depth=1
	v_or_b32_e32 v10, 0x10000, v31
	v_cmp_eq_u32_sdwa vcc, v31, v15 src0_sel:WORD_0 src1_sel:DWORD
	s_nop 1
	v_cndmask_b32_e32 v10, v10, v31, vcc
; %bb.193:                              ;   in Loop: Header=BB132_48 Depth=1
	s_or_b64 exec, exec, s[0:1]
	v_lshlrev_b32_e32 v7, 16, v7
	v_mul_f32_e32 v31, v42, v7
	v_and_b32_e32 v7, 0x7f800000, v31
	v_cmp_ne_u32_e32 vcc, s26, v7
                                        ; implicit-def: $vgpr7
	s_and_saveexec_b64 s[0:1], vcc
	s_xor_b64 s[0:1], exec, s[0:1]
; %bb.194:                              ;   in Loop: Header=BB132_48 Depth=1
	v_bfe_u32 v7, v31, 16, 1
	v_add3_u32 v7, v31, v7, s27
                                        ; implicit-def: $vgpr31
; %bb.195:                              ;   in Loop: Header=BB132_48 Depth=1
	s_andn2_saveexec_b64 s[0:1], s[0:1]
; %bb.196:                              ;   in Loop: Header=BB132_48 Depth=1
	v_or_b32_e32 v7, 0x10000, v31
	v_cmp_eq_u32_sdwa vcc, v31, v15 src0_sel:WORD_0 src1_sel:DWORD
	s_nop 1
	v_cndmask_b32_e32 v7, v7, v31, vcc
; %bb.197:                              ;   in Loop: Header=BB132_48 Depth=1
	s_or_b64 exec, exec, s[0:1]
	v_lshlrev_b32_e32 v31, 16, v65
	v_mul_f32_e32 v32, v43, v31
	v_and_b32_e32 v31, 0x7f800000, v32
	v_cmp_ne_u32_e32 vcc, s26, v31
                                        ; implicit-def: $vgpr31
	s_and_saveexec_b64 s[0:1], vcc
	s_xor_b64 s[0:1], exec, s[0:1]
; %bb.198:                              ;   in Loop: Header=BB132_48 Depth=1
	v_bfe_u32 v31, v32, 16, 1
	v_add3_u32 v31, v32, v31, s27
                                        ; implicit-def: $vgpr32
; %bb.199:                              ;   in Loop: Header=BB132_48 Depth=1
	s_andn2_saveexec_b64 s[0:1], s[0:1]
; %bb.200:                              ;   in Loop: Header=BB132_48 Depth=1
	v_or_b32_e32 v31, 0x10000, v32
	v_cmp_eq_u32_sdwa vcc, v32, v15 src0_sel:WORD_0 src1_sel:DWORD
	s_nop 1
	v_cndmask_b32_e32 v31, v31, v32, vcc
; %bb.201:                              ;   in Loop: Header=BB132_48 Depth=1
	s_or_b64 exec, exec, s[0:1]
	v_lshlrev_b32_e32 v8, 16, v8
	v_mul_f32_e32 v32, v44, v8
	v_and_b32_e32 v8, 0x7f800000, v32
	v_cmp_ne_u32_e32 vcc, s26, v8
                                        ; implicit-def: $vgpr8
	s_and_saveexec_b64 s[0:1], vcc
	s_xor_b64 s[0:1], exec, s[0:1]
; %bb.202:                              ;   in Loop: Header=BB132_48 Depth=1
	v_bfe_u32 v8, v32, 16, 1
	v_add3_u32 v8, v32, v8, s27
                                        ; implicit-def: $vgpr32
; %bb.203:                              ;   in Loop: Header=BB132_48 Depth=1
	s_andn2_saveexec_b64 s[0:1], s[0:1]
; %bb.204:                              ;   in Loop: Header=BB132_48 Depth=1
	v_or_b32_e32 v8, 0x10000, v32
	v_cmp_eq_u32_sdwa vcc, v32, v15 src0_sel:WORD_0 src1_sel:DWORD
	s_nop 1
	v_cndmask_b32_e32 v8, v8, v32, vcc
; %bb.205:                              ;   in Loop: Header=BB132_48 Depth=1
	s_or_b64 exec, exec, s[0:1]
	v_lshlrev_b32_e32 v32, 16, v64
	v_mul_f32_e32 v33, v45, v32
	v_and_b32_e32 v32, 0x7f800000, v33
	v_cmp_ne_u32_e32 vcc, s26, v32
                                        ; implicit-def: $vgpr32
	s_and_saveexec_b64 s[0:1], vcc
	s_xor_b64 s[0:1], exec, s[0:1]
; %bb.206:                              ;   in Loop: Header=BB132_48 Depth=1
	v_bfe_u32 v32, v33, 16, 1
	v_add3_u32 v32, v33, v32, s27
                                        ; implicit-def: $vgpr33
; %bb.207:                              ;   in Loop: Header=BB132_48 Depth=1
	s_andn2_saveexec_b64 s[0:1], s[0:1]
; %bb.208:                              ;   in Loop: Header=BB132_48 Depth=1
	v_or_b32_e32 v32, 0x10000, v33
	v_cmp_eq_u32_sdwa vcc, v33, v15 src0_sel:WORD_0 src1_sel:DWORD
	s_nop 1
	v_cndmask_b32_e32 v32, v32, v33, vcc
; %bb.209:                              ;   in Loop: Header=BB132_48 Depth=1
	s_or_b64 exec, exec, s[0:1]
	v_lshlrev_b32_e32 v9, 16, v9
	v_mul_f32_e32 v33, v46, v9
	v_and_b32_e32 v9, 0x7f800000, v33
	v_cmp_ne_u32_e32 vcc, s26, v9
                                        ; implicit-def: $vgpr9
	s_and_saveexec_b64 s[0:1], vcc
	s_xor_b64 s[0:1], exec, s[0:1]
; %bb.210:                              ;   in Loop: Header=BB132_48 Depth=1
	v_bfe_u32 v9, v33, 16, 1
	v_add3_u32 v9, v33, v9, s27
                                        ; implicit-def: $vgpr33
; %bb.211:                              ;   in Loop: Header=BB132_48 Depth=1
	s_andn2_saveexec_b64 s[0:1], s[0:1]
; %bb.212:                              ;   in Loop: Header=BB132_48 Depth=1
	v_or_b32_e32 v9, 0x10000, v33
	v_cmp_eq_u32_sdwa vcc, v33, v15 src0_sel:WORD_0 src1_sel:DWORD
	s_nop 1
	v_cndmask_b32_e32 v9, v9, v33, vcc
; %bb.213:                              ;   in Loop: Header=BB132_48 Depth=1
	s_or_b64 exec, exec, s[0:1]
	v_lshlrev_b32_e32 v11, 16, v11
	v_mul_f32_e32 v33, v47, v11
	v_and_b32_e32 v11, 0x7f800000, v33
	v_cmp_ne_u32_e32 vcc, s26, v11
                                        ; implicit-def: $vgpr11
	s_and_saveexec_b64 s[0:1], vcc
	s_xor_b64 s[0:1], exec, s[0:1]
; %bb.214:                              ;   in Loop: Header=BB132_48 Depth=1
	v_bfe_u32 v11, v33, 16, 1
	v_add3_u32 v11, v33, v11, s27
                                        ; implicit-def: $vgpr33
; %bb.215:                              ;   in Loop: Header=BB132_48 Depth=1
	s_andn2_saveexec_b64 s[0:1], s[0:1]
	s_cbranch_execz .LBB132_46
; %bb.216:                              ;   in Loop: Header=BB132_48 Depth=1
	v_or_b32_e32 v11, 0x10000, v33
	v_cmp_eq_u32_sdwa vcc, v33, v15 src0_sel:WORD_0 src1_sel:DWORD
	s_nop 1
	v_cndmask_b32_e32 v11, v11, v33, vcc
	s_branch .LBB132_46
.LBB132_217:
	s_or_b64 exec, exec, s[2:3]
.LBB132_218:
	s_or_b64 exec, exec, s[8:9]
	ds_bpermute_b32 v6, v22, v2
	ds_bpermute_b32 v7, v22, v3
	;; [unrolled: 1-line block ×4, first 2 shown]
	v_and_b32_e32 v1, 0x3c1, v0
	v_cmp_eq_u32_e32 vcc, 64, v1
	s_waitcnt lgkmcnt(2)
	v_pk_add_f32 v[6:7], v[2:3], v[6:7]
	s_waitcnt lgkmcnt(0)
	v_pk_add_f32 v[2:3], v[4:5], v[8:9]
	s_barrier
	s_and_saveexec_b64 s[0:1], vcc
	s_cbranch_execz .LBB132_220
; %bb.219:
	v_mov_b32_e32 v1, 0x110
	v_lshl_add_u32 v1, v21, 1, v1
	ds_write2_b32 v1, v6, v7 offset1:32
	ds_write2_b32 v1, v2, v3 offset0:64 offset1:96
.LBB132_220:
	s_or_b64 exec, exec, s[0:1]
	s_waitcnt lgkmcnt(0)
	s_barrier
	s_and_saveexec_b64 s[0:1], s[6:7]
	s_cbranch_execz .LBB132_227
; %bb.221:
	v_cmp_eq_u32_e32 vcc, 0, v23
	v_lshrrev_b32_e32 v1, 1, v0
	s_and_saveexec_b64 s[2:3], vcc
	s_cbranch_execnz .LBB132_247
; %bb.222:
	s_or_b64 exec, exec, s[2:3]
	s_and_saveexec_b64 s[2:3], vcc
	s_cbranch_execnz .LBB132_248
.LBB132_223:
	s_or_b64 exec, exec, s[2:3]
	s_and_saveexec_b64 s[2:3], vcc
	s_cbranch_execnz .LBB132_249
.LBB132_224:
	s_or_b64 exec, exec, s[2:3]
	s_and_saveexec_b64 s[2:3], vcc
	s_cbranch_execz .LBB132_226
.LBB132_225:
	v_mov_b32_e32 v4, 0x110
	v_lshl_add_u32 v1, v1, 2, v4
	ds_read_b32 v1, v1 offset:384
	s_waitcnt lgkmcnt(0)
	v_add_f32_e32 v3, v3, v1
.LBB132_226:
	s_or_b64 exec, exec, s[2:3]
.LBB132_227:
	s_or_b64 exec, exec, s[0:1]
	s_barrier
	s_and_saveexec_b64 s[0:1], s[6:7]
	s_cbranch_execz .LBB132_246
; %bb.228:
	v_cmp_eq_u32_e32 vcc, 0, v23
	s_and_b64 exec, exec, vcc
	s_cbranch_execz .LBB132_246
; %bb.229:
	s_mov_b32 s0, 0x7f800000
	v_and_b32_e32 v1, 0x7f800000, v6
	v_cmp_ne_u32_e32 vcc, s0, v1
                                        ; implicit-def: $vgpr4
	s_and_saveexec_b64 s[0:1], vcc
	s_xor_b64 s[0:1], exec, s[0:1]
; %bb.230:
	v_bfe_u32 v1, v6, 16, 1
	s_movk_i32 s2, 0x7fff
	v_add3_u32 v4, v6, v1, s2
; %bb.231:
	s_andn2_saveexec_b64 s[0:1], s[0:1]
; %bb.232:
	v_mov_b32_e32 v1, 0
	v_or_b32_e32 v4, 0x10000, v6
	v_cmp_eq_u32_sdwa vcc, v6, v1 src0_sel:WORD_0 src1_sel:DWORD
	s_nop 1
	v_cndmask_b32_e32 v4, v4, v6, vcc
; %bb.233:
	s_or_b64 exec, exec, s[0:1]
	s_mul_i32 s0, s20, s16
	s_mul_i32 s0, s0, s5
	s_lshl_b32 s0, s0, 7
	s_ashr_i32 s1, s0, 31
	s_lshl_b64 s[0:1], s[0:1], 1
	s_add_u32 s2, s24, s0
	s_mul_i32 s0, s16, s22
	s_addc_u32 s3, s25, s1
	s_ashr_i32 s1, s0, 31
	s_lshl_b64 s[0:1], s[0:1], 1
	s_add_u32 s2, s2, s0
	s_addc_u32 s3, s3, s1
	s_lshl_b32 s0, s4, 7
	s_ashr_i32 s1, s0, 31
	s_lshl_b64 s[0:1], s[0:1], 1
	s_add_u32 s0, s2, s0
	s_addc_u32 s1, s3, s1
	v_and_b32_e32 v0, 0x3fe, v0
	global_store_short_d16_hi v0, v4, s[0:1]
	s_mov_b32 s2, 0x7f800000
	v_and_b32_e32 v4, 0x7f800000, v7
	v_mov_b32_e32 v1, 0
	v_cmp_ne_u32_e32 vcc, s2, v4
                                        ; implicit-def: $vgpr6
	s_and_saveexec_b64 s[2:3], vcc
	s_xor_b64 s[2:3], exec, s[2:3]
; %bb.234:
	v_bfe_u32 v4, v7, 16, 1
	s_movk_i32 s4, 0x7fff
	v_add3_u32 v6, v7, v4, s4
; %bb.235:
	s_or_saveexec_b64 s[2:3], s[2:3]
	v_lshl_add_u64 v[4:5], s[0:1], 0, v[0:1]
	s_xor_b64 exec, exec, s[2:3]
; %bb.236:
	v_mov_b32_e32 v0, 0
	v_or_b32_e32 v1, 0x10000, v7
	v_cmp_eq_u32_sdwa vcc, v7, v0 src0_sel:WORD_0 src1_sel:DWORD
	s_nop 1
	v_cndmask_b32_e32 v6, v1, v7, vcc
; %bb.237:
	s_or_b64 exec, exec, s[2:3]
	s_mov_b32 s0, 0x7f800000
	v_and_b32_e32 v0, 0x7f800000, v2
	v_cmp_ne_u32_e32 vcc, s0, v0
	global_store_short_d16_hi v[4:5], v6, off offset:64
                                        ; implicit-def: $vgpr0
	s_and_saveexec_b64 s[0:1], vcc
	s_xor_b64 s[0:1], exec, s[0:1]
; %bb.238:
	v_bfe_u32 v0, v2, 16, 1
	s_movk_i32 s2, 0x7fff
	v_add3_u32 v0, v2, v0, s2
; %bb.239:
	s_andn2_saveexec_b64 s[0:1], s[0:1]
; %bb.240:
	v_mov_b32_e32 v0, 0
	v_or_b32_e32 v1, 0x10000, v2
	v_cmp_eq_u32_sdwa vcc, v2, v0 src0_sel:WORD_0 src1_sel:DWORD
	s_nop 1
	v_cndmask_b32_e32 v0, v1, v2, vcc
; %bb.241:
	s_or_b64 exec, exec, s[0:1]
	global_store_short_d16_hi v[4:5], v0, off offset:128
	s_mov_b32 s0, 0x7f800000
	v_and_b32_e32 v0, 0x7f800000, v3
	v_cmp_ne_u32_e32 vcc, s0, v0
                                        ; implicit-def: $vgpr6
	s_and_saveexec_b64 s[0:1], vcc
	s_xor_b64 s[0:1], exec, s[0:1]
; %bb.242:
	v_bfe_u32 v0, v3, 16, 1
	s_movk_i32 s2, 0x7fff
	v_add3_u32 v6, v3, v0, s2
                                        ; implicit-def: $vgpr0_vgpr1_vgpr2_vgpr3
; %bb.243:
	s_andn2_saveexec_b64 s[0:1], s[0:1]
; %bb.244:
	v_mov_b32_e32 v0, 0
	v_or_b32_e32 v1, 0x10000, v3
	v_cmp_eq_u32_sdwa vcc, v3, v0 src0_sel:WORD_0 src1_sel:DWORD
	s_nop 1
	v_cndmask_b32_e32 v6, v1, v3, vcc
; %bb.245:
	s_or_b64 exec, exec, s[0:1]
	global_store_short_d16_hi v[4:5], v6, off offset:192
.LBB132_246:
	s_endpgm
.LBB132_247:
	v_mov_b32_e32 v4, 0x110
	v_lshl_add_u32 v4, v1, 2, v4
	ds_read_b32 v4, v4
	s_waitcnt lgkmcnt(0)
	v_add_f32_e32 v6, v6, v4
	s_or_b64 exec, exec, s[2:3]
	s_and_saveexec_b64 s[2:3], vcc
	s_cbranch_execz .LBB132_223
.LBB132_248:
	v_mov_b32_e32 v4, 0x110
	v_lshl_add_u32 v4, v1, 2, v4
	ds_read_b32 v4, v4 offset:128
	s_waitcnt lgkmcnt(0)
	v_add_f32_e32 v7, v7, v4
	s_or_b64 exec, exec, s[2:3]
	s_and_saveexec_b64 s[2:3], vcc
	s_cbranch_execz .LBB132_224
.LBB132_249:
	v_mov_b32_e32 v4, 0x110
	v_lshl_add_u32 v4, v1, 2, v4
	ds_read_b32 v4, v4 offset:256
	s_waitcnt lgkmcnt(0)
	v_add_f32_e32 v2, v2, v4
	s_or_b64 exec, exec, s[2:3]
	s_and_saveexec_b64 s[2:3], vcc
	s_cbranch_execnz .LBB132_225
	s_branch .LBB132_226
	.section	.rodata,"a",@progbits
	.p2align	6, 0x0
	.amdhsa_kernel _ZN4vllm25paged_attention_v1_kernelI14__hip_bfloat16S1_Li128ELi16ELi128ELNS_18Fp8KVCacheDataTypeE0ELb1EEEvPT_PKS3_PKT0_S9_ifPKiSB_iPKfiiiSD_SD_iiiii
		.amdhsa_group_segment_fixed_size 272
		.amdhsa_private_segment_fixed_size 0
		.amdhsa_kernarg_size 384
		.amdhsa_user_sgpr_count 2
		.amdhsa_user_sgpr_dispatch_ptr 0
		.amdhsa_user_sgpr_queue_ptr 0
		.amdhsa_user_sgpr_kernarg_segment_ptr 1
		.amdhsa_user_sgpr_dispatch_id 0
		.amdhsa_user_sgpr_kernarg_preload_length 0
		.amdhsa_user_sgpr_kernarg_preload_offset 0
		.amdhsa_user_sgpr_private_segment_size 0
		.amdhsa_uses_dynamic_stack 0
		.amdhsa_enable_private_segment 0
		.amdhsa_system_sgpr_workgroup_id_x 1
		.amdhsa_system_sgpr_workgroup_id_y 1
		.amdhsa_system_sgpr_workgroup_id_z 1
		.amdhsa_system_sgpr_workgroup_info 0
		.amdhsa_system_vgpr_workitem_id 0
		.amdhsa_next_free_vgpr 87
		.amdhsa_next_free_sgpr 46
		.amdhsa_accum_offset 88
		.amdhsa_reserve_vcc 1
		.amdhsa_float_round_mode_32 0
		.amdhsa_float_round_mode_16_64 0
		.amdhsa_float_denorm_mode_32 3
		.amdhsa_float_denorm_mode_16_64 3
		.amdhsa_dx10_clamp 1
		.amdhsa_ieee_mode 1
		.amdhsa_fp16_overflow 0
		.amdhsa_tg_split 0
		.amdhsa_exception_fp_ieee_invalid_op 0
		.amdhsa_exception_fp_denorm_src 0
		.amdhsa_exception_fp_ieee_div_zero 0
		.amdhsa_exception_fp_ieee_overflow 0
		.amdhsa_exception_fp_ieee_underflow 0
		.amdhsa_exception_fp_ieee_inexact 0
		.amdhsa_exception_int_div_zero 0
	.end_amdhsa_kernel
	.section	.text._ZN4vllm25paged_attention_v1_kernelI14__hip_bfloat16S1_Li128ELi16ELi128ELNS_18Fp8KVCacheDataTypeE0ELb1EEEvPT_PKS3_PKT0_S9_ifPKiSB_iPKfiiiSD_SD_iiiii,"axG",@progbits,_ZN4vllm25paged_attention_v1_kernelI14__hip_bfloat16S1_Li128ELi16ELi128ELNS_18Fp8KVCacheDataTypeE0ELb1EEEvPT_PKS3_PKT0_S9_ifPKiSB_iPKfiiiSD_SD_iiiii,comdat
.Lfunc_end132:
	.size	_ZN4vllm25paged_attention_v1_kernelI14__hip_bfloat16S1_Li128ELi16ELi128ELNS_18Fp8KVCacheDataTypeE0ELb1EEEvPT_PKS3_PKT0_S9_ifPKiSB_iPKfiiiSD_SD_iiiii, .Lfunc_end132-_ZN4vllm25paged_attention_v1_kernelI14__hip_bfloat16S1_Li128ELi16ELi128ELNS_18Fp8KVCacheDataTypeE0ELb1EEEvPT_PKS3_PKT0_S9_ifPKiSB_iPKfiiiSD_SD_iiiii
                                        ; -- End function
	.section	.AMDGPU.csdata,"",@progbits
; Kernel info:
; codeLenInByte = 9352
; NumSgprs: 52
; NumVgprs: 87
; NumAgprs: 0
; TotalNumVgprs: 87
; ScratchSize: 0
; MemoryBound: 0
; FloatMode: 240
; IeeeMode: 1
; LDSByteSize: 272 bytes/workgroup (compile time only)
; SGPRBlocks: 6
; VGPRBlocks: 10
; NumSGPRsForWavesPerEU: 52
; NumVGPRsForWavesPerEU: 87
; AccumOffset: 88
; Occupancy: 5
; WaveLimiterHint : 1
; COMPUTE_PGM_RSRC2:SCRATCH_EN: 0
; COMPUTE_PGM_RSRC2:USER_SGPR: 2
; COMPUTE_PGM_RSRC2:TRAP_HANDLER: 0
; COMPUTE_PGM_RSRC2:TGID_X_EN: 1
; COMPUTE_PGM_RSRC2:TGID_Y_EN: 1
; COMPUTE_PGM_RSRC2:TGID_Z_EN: 1
; COMPUTE_PGM_RSRC2:TIDIG_COMP_CNT: 0
; COMPUTE_PGM_RSRC3_GFX90A:ACCUM_OFFSET: 21
; COMPUTE_PGM_RSRC3_GFX90A:TG_SPLIT: 0
	.section	.text._ZN4vllm25paged_attention_v1_kernelI14__hip_bfloat16S1_Li192ELi16ELi128ELNS_18Fp8KVCacheDataTypeE0ELb1EEEvPT_PKS3_PKT0_S9_ifPKiSB_iPKfiiiSD_SD_iiiii,"axG",@progbits,_ZN4vllm25paged_attention_v1_kernelI14__hip_bfloat16S1_Li192ELi16ELi128ELNS_18Fp8KVCacheDataTypeE0ELb1EEEvPT_PKS3_PKT0_S9_ifPKiSB_iPKfiiiSD_SD_iiiii,comdat
	.protected	_ZN4vllm25paged_attention_v1_kernelI14__hip_bfloat16S1_Li192ELi16ELi128ELNS_18Fp8KVCacheDataTypeE0ELb1EEEvPT_PKS3_PKT0_S9_ifPKiSB_iPKfiiiSD_SD_iiiii ; -- Begin function _ZN4vllm25paged_attention_v1_kernelI14__hip_bfloat16S1_Li192ELi16ELi128ELNS_18Fp8KVCacheDataTypeE0ELb1EEEvPT_PKS3_PKT0_S9_ifPKiSB_iPKfiiiSD_SD_iiiii
	.globl	_ZN4vllm25paged_attention_v1_kernelI14__hip_bfloat16S1_Li192ELi16ELi128ELNS_18Fp8KVCacheDataTypeE0ELb1EEEvPT_PKS3_PKT0_S9_ifPKiSB_iPKfiiiSD_SD_iiiii
	.p2align	8
	.type	_ZN4vllm25paged_attention_v1_kernelI14__hip_bfloat16S1_Li192ELi16ELi128ELNS_18Fp8KVCacheDataTypeE0ELb1EEEvPT_PKS3_PKT0_S9_ifPKiSB_iPKfiiiSD_SD_iiiii,@function
_ZN4vllm25paged_attention_v1_kernelI14__hip_bfloat16S1_Li192ELi16ELi128ELNS_18Fp8KVCacheDataTypeE0ELb1EEEvPT_PKS3_PKT0_S9_ifPKiSB_iPKfiiiSD_SD_iiiii: ; @_ZN4vllm25paged_attention_v1_kernelI14__hip_bfloat16S1_Li192ELi16ELi128ELNS_18Fp8KVCacheDataTypeE0ELb1EEEvPT_PKS3_PKT0_S9_ifPKiSB_iPKfiiiSD_SD_iiiii
; %bb.0:
	s_load_dword s5, s[0:1], 0x80
	s_load_dwordx2 s[6:7], s[0:1], 0x30
	s_load_dwordx2 s[30:31], s[0:1], 0x20
	s_mov_b32 s10, s3
	s_ashr_i32 s11, s3, 31
	s_lshl_b64 s[8:9], s[10:11], 2
	s_waitcnt lgkmcnt(0)
	s_add_u32 s6, s6, s8
	s_addc_u32 s7, s7, s9
	s_abs_i32 s3, s30
	v_cvt_f32_u32_e32 v1, s3
	s_sub_i32 s11, 0, s3
	s_abs_i32 s9, s5
	s_xor_b32 s8, s5, s30
	v_rcp_iflag_f32_e32 v1, v1
	s_ashr_i32 s8, s8, 31
	s_mov_b32 s42, 0
	v_mul_f32_e32 v1, 0x4f7ffffe, v1
	v_cvt_u32_f32_e32 v1, v1
	s_nop 0
	v_readfirstlane_b32 s12, v1
	s_mul_i32 s11, s11, s12
	s_mul_hi_u32 s11, s12, s11
	s_add_i32 s12, s12, s11
	s_mul_hi_u32 s11, s9, s12
	s_mul_i32 s12, s11, s3
	s_sub_i32 s9, s9, s12
	s_add_i32 s12, s11, 1
	s_sub_i32 s13, s9, s3
	s_cmp_ge_u32 s9, s3
	s_cselect_b32 s11, s12, s11
	s_cselect_b32 s9, s13, s9
	s_add_i32 s12, s11, 1
	s_cmp_ge_u32 s9, s3
	s_cselect_b32 s3, s12, s11
	s_xor_b32 s3, s3, s8
	s_sub_i32 s12, s3, s8
	s_abs_i32 s11, s12
	v_cvt_f32_u32_e32 v1, s11
	s_load_dwordx2 s[8:9], s[0:1], 0x40
	s_sub_i32 s3, 0, s11
	s_abs_i32 s22, s2
	v_rcp_iflag_f32_e32 v1, v1
	s_nop 0
	v_mul_f32_e32 v1, 0x4f7ffffe, v1
	v_cvt_u32_f32_e32 v1, v1
	s_nop 0
	v_readfirstlane_b32 s13, v1
	s_mul_i32 s3, s3, s13
	s_mul_hi_u32 s3, s13, s3
	s_add_i32 s13, s13, s3
	s_waitcnt lgkmcnt(0)
	s_cmp_eq_u64 s[8:9], 0
	s_mul_hi_u32 s23, s22, s13
	s_cbranch_scc1 .LBB133_2
; %bb.1:
	s_ashr_i32 s3, s2, 31
	s_lshl_b64 s[14:15], s[2:3], 2
	s_add_u32 s8, s8, s14
	s_addc_u32 s9, s9, s15
	s_load_dword s42, s[8:9], 0x0
.LBB133_2:
	s_load_dword s33, s[6:7], 0x0
	s_ashr_i32 s9, s12, 31
	s_load_dwordx4 s[12:15], s[0:1], 0x48
	s_movk_i32 s8, 0x60
	s_ashr_i32 s3, s2, 31
	v_and_b32_e32 v2, 3, v0
	s_mul_i32 s20, s2, 0xc0
	v_cmp_gt_u32_e32 vcc, s8, v0
	s_and_saveexec_b64 s[6:7], vcc
	s_cbranch_execz .LBB133_4
; %bb.3:
	s_load_dwordx2 s[16:17], s[0:1], 0x8
	s_waitcnt lgkmcnt(0)
	s_mul_i32 s18, s10, s12
	s_ashr_i32 s19, s18, 31
	s_lshl_b64 s[18:19], s[18:19], 1
	v_lshlrev_b32_e32 v1, 2, v0
	s_add_u32 s12, s16, s18
	s_addc_u32 s15, s17, s19
	s_ashr_i32 s21, s20, 31
	s_lshl_b64 s[16:17], s[20:21], 1
	s_add_u32 s16, s12, s16
	s_addc_u32 s17, s15, s17
	global_load_dword v1, v1, s[16:17]
	v_and_b32_e32 v3, 0x3fc, v0
	v_mad_u32_u24 v3, v2, s8, v3
	s_waitcnt vmcnt(0)
	ds_write_b32 v3, v1
.LBB133_4:
	s_or_b64 exec, exec, s[6:7]
	s_mul_i32 s6, s23, s11
	s_sub_i32 s6, s22, s6
	s_xor_b32 s3, s3, s9
	s_add_i32 s7, s23, 1
	s_sub_i32 s9, s6, s11
	s_load_dwordx4 s[16:19], s[0:1], 0x68
	s_load_dword s8, s[0:1], 0x78
	s_cmp_ge_u32 s6, s11
	s_cselect_b32 s7, s7, s23
	s_cselect_b32 s6, s9, s6
	s_add_i32 s9, s7, 1
	s_cmp_ge_u32 s6, s11
	s_cselect_b32 s6, s9, s7
	s_waitcnt lgkmcnt(0)
	s_abs_i32 s21, s19
	v_cvt_f32_u32_e32 v1, s21
	s_xor_b32 s6, s6, s3
	s_sub_i32 s3, s6, s3
	s_sub_i32 s6, 0, s21
	v_rcp_iflag_f32_e32 v1, v1
	s_add_i32 s11, s33, -1
	s_abs_i32 s9, s11
	v_mul_f32_e32 v1, 0x4f7ffffe, v1
	v_cvt_u32_f32_e32 v1, v1
	s_barrier
	v_readfirstlane_b32 s40, v1
	s_mul_i32 s6, s6, s40
	s_mul_hi_u32 s6, s40, s6
	s_add_i32 s40, s40, s6
	s_cmp_lt_i32 s8, 0
	s_mul_hi_u32 s12, s9, s40
	s_cbranch_scc0 .LBB133_6
; %bb.5:
	s_mul_i32 s6, s16, s30
	s_add_i32 s6, s3, s6
	s_mul_i32 s6, s6, s8
	s_sub_i32 s41, 1, s6
	s_mov_b64 s[6:7], 0
	s_branch .LBB133_7
.LBB133_6:
	s_mov_b64 s[6:7], -1
                                        ; implicit-def: $sgpr41
.LBB133_7:
	s_load_dwordx2 s[24:25], s[0:1], 0x28
	s_ashr_i32 s15, s11, 31
	s_andn2_b64 vcc, exec, s[6:7]
	s_ashr_i32 s19, s19, 31
	s_cbranch_vccnz .LBB133_9
; %bb.8:
	s_mul_i32 s6, s5, s16
	s_add_i32 s2, s6, s2
	s_mul_i32 s2, s2, s8
	s_add_i32 s41, s2, 1
.LBB133_9:
	s_load_dword s2, s[0:1], 0x38
	s_load_dwordx2 s[22:23], s[0:1], 0x0
	s_load_dwordx2 s[28:29], s[0:1], 0x18
	s_load_dword s11, s[0:1], 0x88
	s_xor_b32 s6, s15, s19
	s_waitcnt lgkmcnt(0)
	s_mul_i32 s26, s10, s2
	s_mul_i32 s2, s12, s21
	s_sub_i32 s2, s9, s2
	s_ashr_i32 s27, s26, 31
	s_add_i32 s7, s12, 1
	s_sub_i32 s8, s2, s21
	s_cmp_ge_u32 s2, s21
	s_cselect_b32 s7, s7, s12
	s_cselect_b32 s2, s8, s2
	s_add_i32 s8, s7, 1
	s_cmp_ge_u32 s2, s21
	s_cselect_b32 s2, s8, s7
	s_xor_b32 s2, s2, s6
	s_sub_i32 s12, s2, s6
	s_add_i32 s2, s33, 15
	s_ashr_i32 s6, s2, 31
	s_lshr_b32 s6, s6, 28
	s_add_i32 s2, s2, s6
	s_ashr_i32 s16, s2, 4
	v_lshrrev_b32_e32 v1, 6, v0
	v_cmp_gt_i32_e64 s[6:7], s16, v1
	v_mov_b32_e32 v37, 0xff7fffff
	s_mul_i32 s14, s3, s14
	v_lshrrev_b32_e32 v33, 4, v0
	v_lshlrev_b32_e32 v32, 4, v1
	v_mbcnt_lo_u32_b32 v34, -1, 0
	s_and_saveexec_b64 s[34:35], s[6:7]
	s_cbranch_execz .LBB133_19
; %bb.10:
	s_load_dwordx2 s[0:1], s[0:1], 0x10
	s_ashr_i32 s15, s14, 31
	s_sub_i32 s30, s12, s17
	s_lshl_b64 s[2:3], s[14:15], 1
	v_bfe_u32 v35, v0, 2, 4
	s_waitcnt lgkmcnt(0)
	s_add_u32 s0, s0, s2
	s_addc_u32 s1, s1, s3
	s_abs_i32 s15, s18
	v_cvt_f32_u32_e32 v3, s15
	v_lshlrev_b32_e32 v4, 4, v35
	v_mov_b32_e32 v5, 0
	v_lshl_add_u64 v[6:7], s[0:1], 0, v[4:5]
	v_rcp_iflag_f32_e32 v3, v3
	s_sub_i32 s0, 0, s15
	v_cmp_eq_u32_e32 vcc, 0, v2
	v_mul_u32_u24_e32 v36, 0x60, v2
	v_mul_f32_e32 v3, 0x4f7ffffe, v3
	v_cvt_u32_f32_e32 v3, v3
	v_lshlrev_b32_e32 v4, 2, v0
	v_and_b32_e32 v4, 12, v4
	v_mbcnt_hi_u32_b32 v43, -1, v34
	v_mul_lo_u32 v2, s0, v3
	v_mul_hi_u32 v2, v3, v2
	v_add_u32_e32 v38, v3, v2
	v_lshlrev_b32_e32 v2, 2, v35
	s_lshl_b64 s[0:1], s[26:27], 2
	v_lshl_or_b32 v2, v1, 6, v2
	s_add_u32 s0, s24, s0
	v_add_u32_e32 v40, 0x190, v2
	v_subrev_u32_e32 v2, s33, v35
	v_lshl_add_u64 v[26:27], v[6:7], 0, v[4:5]
	v_and_b32_e32 v4, 60, v33
	s_addc_u32 s1, s25, s1
	v_add_u32_e32 v41, 1, v2
	v_and_b32_e32 v2, 64, v43
	s_mov_b32 s43, s13
	v_cmp_neq_f32_e64 s[2:3], s42, 0
	v_lshl_add_u64 v[28:29], s[0:1], 0, v[4:5]
	v_lshlrev_b32_e32 v39, 4, v1
	s_mov_b64 s[36:37], 0
	v_mov_b32_e32 v42, 0xff7fffff
	s_movk_i32 s44, 0x1000
	v_add_u32_e32 v44, 64, v2
	v_xor_b32_e32 v45, 2, v43
	v_xor_b32_e32 v46, 1, v43
	v_mov_b32_e32 v37, 0xff7fffff
	v_mov_b32_e32 v47, v1
	s_branch .LBB133_13
.LBB133_11:                             ;   in Loop: Header=BB133_13 Depth=1
	s_or_b64 exec, exec, s[38:39]
.LBB133_12:                             ;   in Loop: Header=BB133_13 Depth=1
	s_or_b64 exec, exec, s[8:9]
	v_add_u32_e32 v47, 2, v47
	v_cmp_le_i32_e64 s[0:1], s16, v47
	v_lshl_add_u64 v[28:29], v[28:29], 0, 8
	v_add_u32_e32 v39, 32, v39
	s_or_b64 s[36:37], s[0:1], s[36:37]
	v_add_u32_e32 v40, 0x80, v40
	s_andn2_b64 exec, exec, s[36:37]
	s_cbranch_execz .LBB133_18
.LBB133_13:                             ; =>This Inner Loop Header: Depth=1
	v_mul_hi_u32 v2, v39, s40
	s_waitcnt lgkmcnt(0)
	v_mul_lo_u32 v3, v2, s21
	v_sub_u32_e32 v3, v39, v3
	v_add_u32_e32 v4, 1, v2
	v_cmp_le_u32_e64 s[0:1], s21, v3
	s_nop 1
	v_cndmask_b32_e64 v2, v2, v4, s[0:1]
	v_subrev_u32_e32 v4, s21, v3
	v_cndmask_b32_e64 v3, v3, v4, s[0:1]
	v_add_u32_e32 v4, 1, v2
	v_cmp_le_u32_e64 s[0:1], s21, v3
	s_nop 1
	v_cndmask_b32_e64 v2, v2, v4, s[0:1]
	v_xor_b32_e32 v2, s19, v2
	v_subrev_u32_e32 v2, s19, v2
	v_add_u32_e32 v3, s41, v2
	v_sub_u32_e32 v5, 0, v3
	v_ashrrev_i32_e32 v4, 31, v3
	v_max_i32_e32 v3, v3, v5
	v_mul_hi_u32 v5, v3, v38
	v_mul_lo_u32 v5, v5, s15
	v_sub_u32_e32 v3, v3, v5
	v_subrev_u32_e32 v5, s15, v3
	v_cmp_le_u32_e64 s[0:1], s15, v3
	v_cmp_ge_i32_e64 s[8:9], s30, v2
	s_nop 0
	v_cndmask_b32_e64 v3, v3, v5, s[0:1]
	v_subrev_u32_e32 v5, s15, v3
	v_cmp_le_u32_e64 s[0:1], s15, v3
	s_nop 1
	v_cndmask_b32_e64 v3, v3, v5, s[0:1]
	v_xor_b32_e32 v3, v3, v4
	v_sub_u32_e32 v3, v3, v4
	v_cmp_ne_u32_e64 s[0:1], 0, v3
	s_and_b64 s[0:1], s[0:1], s[8:9]
	s_and_b64 s[38:39], vcc, s[0:1]
	s_and_saveexec_b64 s[8:9], s[38:39]
	s_cbranch_execz .LBB133_15
; %bb.14:                               ;   in Loop: Header=BB133_13 Depth=1
	ds_write_b32 v40, v42
.LBB133_15:                             ;   in Loop: Header=BB133_13 Depth=1
	s_or_b64 exec, exec, s[8:9]
	s_xor_b64 s[0:1], s[0:1], -1
	s_and_saveexec_b64 s[8:9], s[0:1]
	s_cbranch_execz .LBB133_12
; %bb.16:                               ;   in Loop: Header=BB133_13 Depth=1
	global_load_dword v2, v[28:29], off
	s_waitcnt vmcnt(0)
	v_mad_i64_i32 v[2:3], s[0:1], v2, s43, 0
	v_lshl_add_u64 v[30:31], v[2:3], 1, v[26:27]
	global_load_dword v48, v[30:31], off offset:512
	global_load_dword v49, v[30:31], off offset:768
	;; [unrolled: 1-line block ×7, first 2 shown]
	global_load_dword v55, v[30:31], off
	ds_read_b128 v[22:25], v36
	ds_read_b128 v[18:21], v36 offset:16
	ds_read_b128 v[14:17], v36 offset:32
	;; [unrolled: 1-line block ×5, first 2 shown]
	global_load_dword v61, v[30:31], off offset:2048
	global_load_dword v63, v[30:31], off offset:2304
	;; [unrolled: 1-line block ×6, first 2 shown]
	v_cmp_lt_i32_e64 s[0:1], v45, v44
	global_load_dword v76, v[30:31], off offset:3584
	global_load_dword v77, v[30:31], off offset:3840
	v_cndmask_b32_e64 v56, v43, v45, s[0:1]
	v_add_co_u32_e64 v30, s[0:1], s44, v30
	s_waitcnt lgkmcnt(5)
	v_lshlrev_b32_e32 v58, 16, v23
	v_addc_co_u32_e64 v31, s[0:1], 0, v31, s[0:1]
	global_load_dword v78, v[30:31], off
	global_load_dword v80, v[30:31], off offset:256
	global_load_dword v83, v[30:31], off offset:512
	;; [unrolled: 1-line block ×6, first 2 shown]
	v_and_b32_e32 v23, 0xffff0000, v23
	global_load_dword v30, v[30:31], off offset:1792
	v_lshlrev_b32_e32 v57, 16, v22
	v_and_b32_e32 v22, 0xffff0000, v22
	v_lshlrev_b32_e32 v59, 16, v24
	v_and_b32_e32 v24, 0xffff0000, v24
	v_lshlrev_b32_e32 v60, 16, v25
	v_and_b32_e32 v25, 0xffff0000, v25
	s_waitcnt lgkmcnt(4)
	v_lshlrev_b32_e32 v62, 16, v18
	v_and_b32_e32 v18, 0xffff0000, v18
	v_lshlrev_b32_e32 v64, 16, v19
	v_and_b32_e32 v19, 0xffff0000, v19
	v_lshlrev_b32_e32 v65, 16, v20
	v_and_b32_e32 v20, 0xffff0000, v20
	v_lshlrev_b32_e32 v67, 16, v21
	v_and_b32_e32 v21, 0xffff0000, v21
	s_waitcnt lgkmcnt(3)
	v_lshlrev_b32_e32 v68, 16, v14
	v_and_b32_e32 v14, 0xffff0000, v14
	;; [unrolled: 9-line block ×5, first 2 shown]
	v_lshlrev_b32_e32 v92, 16, v3
	v_and_b32_e32 v3, 0xffff0000, v3
	v_lshlrev_b32_e32 v94, 16, v4
	v_and_b32_e32 v4, 0xffff0000, v4
	;; [unrolled: 2-line block ×3, first 2 shown]
	v_lshlrev_b32_e32 v56, 2, v56
	v_cmp_lt_i32_e64 s[0:1], v46, v44
	s_waitcnt vmcnt(23)
	v_lshlrev_b32_e32 v97, 16, v48
	v_and_b32_e32 v48, 0xffff0000, v48
	s_waitcnt vmcnt(22)
	v_lshlrev_b32_e32 v98, 16, v49
	v_and_b32_e32 v49, 0xffff0000, v49
	;; [unrolled: 3-line block ×5, first 2 shown]
	v_mul_f32_e32 v58, v58, v95
	v_mul_f32_e32 v23, v23, v54
	v_fmac_f32_e32 v58, v57, v96
	v_fmac_f32_e32 v23, v22, v55
	;; [unrolled: 1-line block ×6, first 2 shown]
	v_lshlrev_b32_e32 v100, 16, v51
	v_and_b32_e32 v51, 0xffff0000, v51
	v_fmac_f32_e32 v58, v62, v99
	v_fmac_f32_e32 v23, v18, v50
	v_lshlrev_b32_e32 v101, 16, v52
	v_and_b32_e32 v52, 0xffff0000, v52
	v_fmac_f32_e32 v58, v64, v100
	v_fmac_f32_e32 v23, v19, v51
	;; [unrolled: 4-line block ×3, first 2 shown]
	s_waitcnt vmcnt(15)
	v_lshlrev_b32_e32 v103, 16, v61
	v_and_b32_e32 v61, 0xffff0000, v61
	v_fmac_f32_e32 v58, v67, v102
	v_fmac_f32_e32 v23, v21, v53
	s_waitcnt vmcnt(14)
	v_lshlrev_b32_e32 v104, 16, v63
	v_and_b32_e32 v63, 0xffff0000, v63
	v_fmac_f32_e32 v58, v68, v103
	v_fmac_f32_e32 v23, v14, v61
	;; [unrolled: 5-line block ×16, first 2 shown]
	v_fmac_f32_e32 v58, v31, v93
	v_fmac_f32_e32 v23, v5, v30
	v_add_f32_e32 v2, v58, v23
	ds_bpermute_b32 v3, v56, v2
	v_cndmask_b32_e64 v4, v43, v46, s[0:1]
	v_lshlrev_b32_e32 v4, 2, v4
	s_waitcnt lgkmcnt(0)
	v_add_f32_e32 v2, v2, v3
	ds_bpermute_b32 v3, v4, v2
	s_and_saveexec_b64 s[38:39], vcc
	s_cbranch_execz .LBB133_11
; %bb.17:                               ;   in Loop: Header=BB133_13 Depth=1
	v_add_u32_e32 v4, v41, v39
	v_cvt_f32_i32_e32 v4, v4
	s_waitcnt lgkmcnt(0)
	v_add_f32_e32 v2, v2, v3
	v_add_u32_e32 v5, v35, v39
	v_cmp_gt_i32_e64 s[0:1], s33, v5
	v_mul_f32_e32 v3, s42, v4
	v_cndmask_b32_e64 v3, 0, v3, s[2:3]
	v_fmac_f32_e32 v3, s31, v2
	v_cndmask_b32_e64 v2, 0, v3, s[0:1]
	ds_write_b32 v40, v2
	v_max_f32_e32 v2, v37, v37
	v_max_f32_e32 v2, v2, v3
	v_cndmask_b32_e64 v37, v37, v2, s[0:1]
	s_branch .LBB133_11
.LBB133_18:
	s_or_b64 exec, exec, s[36:37]
.LBB133_19:
	s_or_b64 exec, exec, s[34:35]
	v_mbcnt_hi_u32_b32 v2, -1, v34
	s_waitcnt lgkmcnt(0)
	v_and_b32_e32 v3, 64, v2
	v_add_u32_e32 v3, 64, v3
	v_xor_b32_e32 v4, 32, v2
	v_cmp_lt_i32_e32 vcc, v4, v3
	v_xor_b32_e32 v7, 16, v2
	v_max_f32_e32 v6, v37, v37
	v_cndmask_b32_e32 v4, v2, v4, vcc
	v_lshlrev_b32_e32 v4, 2, v4
	ds_bpermute_b32 v5, v4, v37
	v_cmp_lt_i32_e32 vcc, v7, v3
	v_xor_b32_e32 v8, 8, v2
	v_xor_b32_e32 v9, 4, v2
	v_and_b32_e32 v24, 63, v0
	s_waitcnt lgkmcnt(0)
	v_max_f32_e32 v5, v5, v5
	v_max_f32_e32 v6, v6, v5
	v_cndmask_b32_e32 v5, v2, v7, vcc
	v_lshlrev_b32_e32 v5, 2, v5
	ds_bpermute_b32 v7, v5, v6
	v_cmp_lt_i32_e32 vcc, v8, v3
	s_waitcnt lgkmcnt(0)
	v_max_f32_e32 v7, v7, v7
	v_max_f32_e32 v6, v6, v7
	v_cndmask_b32_e32 v7, v2, v8, vcc
	v_lshlrev_b32_e32 v8, 2, v7
	ds_bpermute_b32 v7, v8, v6
	v_cmp_lt_i32_e32 vcc, v9, v3
	s_waitcnt lgkmcnt(0)
	v_max_f32_e32 v7, v7, v7
	v_max_f32_e32 v7, v6, v7
	v_cndmask_b32_e32 v6, v2, v9, vcc
	v_lshlrev_b32_e32 v9, 2, v6
	ds_bpermute_b32 v10, v9, v7
	v_cmp_eq_u32_e32 vcc, 0, v24
	v_lshlrev_b32_e32 v6, 2, v1
	s_and_saveexec_b64 s[0:1], vcc
	s_cbranch_execz .LBB133_21
; %bb.20:
	s_waitcnt lgkmcnt(0)
	v_max_f32_e32 v10, v10, v10
	v_max_f32_e32 v7, v7, v7
	;; [unrolled: 1-line block ×3, first 2 shown]
	ds_write_b32 v6, v7 offset:384
.LBB133_21:
	s_or_b64 exec, exec, s[0:1]
	v_cmp_gt_u32_e64 s[0:1], 2, v24
	s_waitcnt lgkmcnt(0)
	v_mov_b32_e32 v10, 0xff7fffff
	v_lshlrev_b32_e32 v7, 2, v24
	s_barrier
	s_and_saveexec_b64 s[2:3], s[0:1]
	s_cbranch_execz .LBB133_23
; %bb.22:
	ds_read_b32 v10, v7 offset:384
.LBB133_23:
	s_or_b64 exec, exec, s[2:3]
	v_xor_b32_e32 v11, 1, v2
	v_cmp_lt_i32_e64 s[2:3], v11, v3
	v_lshlrev_b32_e32 v12, 2, v2
	s_nop 0
	v_cndmask_b32_e64 v11, v2, v11, s[2:3]
	v_lshlrev_b32_e32 v25, 2, v11
	s_waitcnt lgkmcnt(0)
	ds_bpermute_b32 v11, v25, v10
	v_max_f32_e32 v10, v10, v10
	s_lshl_b32 s2, s16, 4
	s_min_i32 s15, s2, s33
	v_cmp_gt_i32_e64 s[2:3], s15, v0
	s_waitcnt lgkmcnt(0)
	v_max_f32_e32 v11, v11, v11
	v_max_f32_e32 v11, v10, v11
	v_and_b32_e32 v10, 0x100, v12
	ds_bpermute_b32 v12, v10, v11
	v_mov_b32_e32 v11, 0
	s_and_saveexec_b64 s[30:31], s[2:3]
	s_cbranch_execz .LBB133_27
; %bb.24:
	v_mov_b32_e32 v11, 0x190
	v_lshl_add_u32 v13, v0, 2, v11
	s_mov_b64 s[34:35], 0
	v_mov_b32_e32 v11, 0
	v_mov_b32_e32 v14, v0
.LBB133_25:                             ; =>This Inner Loop Header: Depth=1
	ds_read_b32 v15, v13
	v_add_u32_e32 v14, 0x80, v14
	v_cmp_le_i32_e64 s[8:9], s15, v14
	s_or_b64 s[34:35], s[8:9], s[34:35]
	s_waitcnt lgkmcnt(0)
	v_sub_f32_e32 v15, v15, v12
	v_mul_f32_e32 v15, 0x3fb8aa3b, v15
	v_exp_f32_e32 v15, v15
	ds_write_b32 v13, v15
	v_add_f32_e32 v11, v11, v15
	v_add_u32_e32 v13, 0x200, v13
	s_andn2_b64 exec, exec, s[34:35]
	s_cbranch_execnz .LBB133_25
; %bb.26:
	s_or_b64 exec, exec, s[34:35]
.LBB133_27:
	s_or_b64 exec, exec, s[30:31]
	ds_bpermute_b32 v4, v4, v11
	s_waitcnt lgkmcnt(0)
	v_add_f32_e32 v4, v11, v4
	ds_bpermute_b32 v5, v5, v4
	s_waitcnt lgkmcnt(0)
	v_add_f32_e32 v4, v4, v5
	ds_bpermute_b32 v5, v8, v4
	v_xor_b32_e32 v8, 2, v2
	v_cmp_lt_i32_e64 s[8:9], v8, v3
	s_waitcnt lgkmcnt(0)
	v_add_f32_e32 v4, v4, v5
	ds_bpermute_b32 v5, v9, v4
	v_cndmask_b32_e64 v2, v2, v8, s[8:9]
	v_lshlrev_b32_e32 v2, 2, v2
	s_waitcnt lgkmcnt(0)
	v_add_f32_e32 v3, v4, v5
	ds_bpermute_b32 v2, v2, v3
	s_waitcnt lgkmcnt(0)
	v_add_f32_e32 v2, v3, v2
	ds_bpermute_b32 v3, v25, v2
	s_waitcnt lgkmcnt(0)
	v_add_f32_e32 v2, v2, v3
	s_and_saveexec_b64 s[8:9], vcc
	s_cbranch_execz .LBB133_29
; %bb.28:
	ds_write_b32 v6, v2 offset:392
.LBB133_29:
	s_or_b64 exec, exec, s[8:9]
	s_waitcnt lgkmcnt(0)
	s_barrier
	s_and_saveexec_b64 s[8:9], s[0:1]
	s_cbranch_execz .LBB133_31
; %bb.30:
	ds_read_b32 v2, v7 offset:392
.LBB133_31:
	s_or_b64 exec, exec, s[8:9]
	s_waitcnt lgkmcnt(0)
	ds_bpermute_b32 v3, v25, v2
	s_waitcnt lgkmcnt(0)
	v_add_f32_e32 v2, v2, v3
	ds_bpermute_b32 v2, v10, v2
	s_and_saveexec_b64 s[0:1], s[2:3]
	s_cbranch_execz .LBB133_44
; %bb.32:
	s_waitcnt lgkmcnt(0)
	v_add_f32_e32 v2, 0x358637bd, v2
	v_div_scale_f32 v3, s[2:3], v2, v2, 1.0
	v_rcp_f32_e32 v4, v3
	v_div_scale_f32 v5, vcc, 1.0, v2, 1.0
	s_movk_i32 s2, 0x7f
	v_fma_f32 v6, -v3, v4, 1.0
	v_fmac_f32_e32 v4, v6, v4
	v_mul_f32_e32 v6, v5, v4
	v_fma_f32 v7, -v3, v6, v5
	v_fmac_f32_e32 v6, v7, v4
	v_fma_f32 v3, -v3, v6, v5
	v_div_fmas_f32 v3, v3, v4, v6
	v_xad_u32 v4, v0, -1, s15
	v_div_fixup_f32 v2, v3, v2, 1.0
	v_cmp_lt_u32_e32 vcc, s2, v4
	s_mov_b64 s[8:9], -1
	v_mov_b32_e32 v3, v0
	s_and_saveexec_b64 s[2:3], vcc
	s_cbranch_execz .LBB133_41
; %bb.33:
	v_lshrrev_b32_e32 v4, 7, v4
	v_add_u32_e32 v6, -1, v4
	v_lshrrev_b32_e32 v5, 1, v6
	v_mov_b32_e32 v3, v2
	v_add_u32_e32 v5, 1, v5
	v_cmp_lt_u32_e32 vcc, 13, v6
	v_mov_b32_e32 v8, 0
	s_and_saveexec_b64 s[8:9], vcc
	s_cbranch_execz .LBB133_37
; %bb.34:
	v_mov_b32_e32 v7, 0x190
	v_and_b32_e32 v6, -8, v5
	v_lshl_add_u32 v7, v0, 2, v7
	s_mov_b32 s34, 0
	s_mov_b64 s[30:31], 0
.LBB133_35:                             ; =>This Inner Loop Header: Depth=1
	ds_read2st64_b32 v[8:9], v7 offset1:2
	ds_read2st64_b32 v[10:11], v7 offset0:4 offset1:6
	ds_read2st64_b32 v[12:13], v7 offset0:8 offset1:10
	ds_read2st64_b32 v[14:15], v7 offset0:12 offset1:14
	v_add_u32_e32 v6, -8, v6
	s_waitcnt lgkmcnt(3)
	v_pk_mul_f32 v[8:9], v[2:3], v[8:9]
	s_waitcnt lgkmcnt(2)
	v_pk_mul_f32 v[10:11], v[2:3], v[10:11]
	ds_write2st64_b32 v7, v8, v9 offset1:2
	ds_write2st64_b32 v7, v10, v11 offset0:4 offset1:6
	ds_read2st64_b32 v[10:11], v7 offset0:16 offset1:18
	s_waitcnt lgkmcnt(4)
	v_pk_mul_f32 v[8:9], v[2:3], v[12:13]
	ds_write2st64_b32 v7, v8, v9 offset0:8 offset1:10
	s_waitcnt lgkmcnt(4)
	v_pk_mul_f32 v[8:9], v[2:3], v[14:15]
	ds_write2st64_b32 v7, v8, v9 offset0:12 offset1:14
	ds_read2st64_b32 v[8:9], v7 offset0:20 offset1:22
	s_waitcnt lgkmcnt(3)
	v_pk_mul_f32 v[10:11], v[2:3], v[10:11]
	ds_read2st64_b32 v[12:13], v7 offset0:24 offset1:26
	ds_write2st64_b32 v7, v10, v11 offset0:16 offset1:18
	ds_read2st64_b32 v[10:11], v7 offset0:28 offset1:30
	s_waitcnt lgkmcnt(3)
	v_pk_mul_f32 v[8:9], v[2:3], v[8:9]
	ds_write2st64_b32 v7, v8, v9 offset0:20 offset1:22
	s_waitcnt lgkmcnt(3)
	v_pk_mul_f32 v[8:9], v[2:3], v[12:13]
	ds_write2st64_b32 v7, v8, v9 offset0:24 offset1:26
	s_waitcnt lgkmcnt(2)
	v_pk_mul_f32 v[8:9], v[2:3], v[10:11]
	s_add_i32 s34, s34, 16
	v_cmp_eq_u32_e32 vcc, 0, v6
	ds_write2st64_b32 v7, v8, v9 offset0:28 offset1:30
	v_add_u32_e32 v7, 0x2000, v7
	s_or_b64 s[30:31], vcc, s[30:31]
	v_mov_b32_e32 v8, s34
	s_andn2_b64 exec, exec, s[30:31]
	s_cbranch_execnz .LBB133_35
; %bb.36:
	s_or_b64 exec, exec, s[30:31]
.LBB133_37:
	s_or_b64 exec, exec, s[8:9]
	v_and_b32_e32 v5, 7, v5
	v_cmp_ne_u32_e32 vcc, 0, v5
	s_and_saveexec_b64 s[8:9], vcc
	s_cbranch_execz .LBB133_40
; %bb.38:
	v_lshlrev_b32_e32 v6, 9, v8
	v_lshlrev_b32_e32 v7, 2, v0
	s_movk_i32 s30, 0x190
	v_add3_u32 v6, v6, v7, s30
	s_mov_b64 s[30:31], 0
.LBB133_39:                             ; =>This Inner Loop Header: Depth=1
	ds_read2st64_b32 v[8:9], v6 offset1:2
	v_add_u32_e32 v5, -1, v5
	v_cmp_eq_u32_e32 vcc, 0, v5
	s_or_b64 s[30:31], vcc, s[30:31]
	s_waitcnt lgkmcnt(0)
	v_pk_mul_f32 v[8:9], v[2:3], v[8:9]
	ds_write2st64_b32 v6, v8, v9 offset1:2
	v_add_u32_e32 v6, 0x400, v6
	s_andn2_b64 exec, exec, s[30:31]
	s_cbranch_execnz .LBB133_39
.LBB133_40:
	s_or_b64 exec, exec, s[8:9]
	v_add_u32_e32 v4, 1, v4
	v_and_b32_e32 v5, 0x3fffffe, v4
	v_cmp_ne_u32_e32 vcc, v4, v5
	v_lshl_add_u32 v3, v5, 7, v0
	s_orn2_b64 s[8:9], vcc, exec
.LBB133_41:
	s_or_b64 exec, exec, s[2:3]
	s_and_b64 exec, exec, s[8:9]
	s_cbranch_execz .LBB133_44
; %bb.42:
	v_mov_b32_e32 v4, 0x190
	v_lshl_add_u32 v4, v3, 2, v4
	s_mov_b64 s[2:3], 0
.LBB133_43:                             ; =>This Inner Loop Header: Depth=1
	ds_read_b32 v5, v4
	v_add_u32_e32 v3, 0x80, v3
	v_cmp_le_i32_e32 vcc, s15, v3
	s_or_b64 s[2:3], vcc, s[2:3]
	s_waitcnt lgkmcnt(0)
	v_mul_f32_e32 v5, v2, v5
	ds_write_b32 v4, v5
	v_add_u32_e32 v4, 0x200, v4
	s_andn2_b64 exec, exec, s[2:3]
	s_cbranch_execnz .LBB133_43
.LBB133_44:
	s_or_b64 exec, exec, s[0:1]
	v_mov_b32_e32 v11, 0
	v_and_b32_e32 v26, 1, v0
	v_mov_b32_e32 v10, 0
	v_mov_b32_e32 v13, 0
	;; [unrolled: 1-line block ×5, first 2 shown]
	s_waitcnt lgkmcnt(0)
	s_barrier
	s_and_saveexec_b64 s[2:3], s[6:7]
	s_cbranch_execz .LBB133_286
; %bb.45:
	s_ashr_i32 s15, s14, 31
	s_sub_i32 s17, s12, s17
	s_lshl_b64 s[0:1], s[14:15], 1
	s_add_u32 s6, s28, s0
	s_addc_u32 s7, s29, s1
	s_abs_i32 s18, s18
	v_cvt_f32_u32_e32 v2, s18
	v_lshlrev_b32_e32 v3, 3, v0
	v_and_b32_e32 v27, 8, v3
	s_sub_i32 s0, 0, s18
	v_rcp_iflag_f32_e32 v4, v2
	v_and_b32_e32 v2, 0x1f8, v3
	s_add_i32 s29, s16, -1
	v_mov_b32_e32 v17, 0
	v_mul_f32_e32 v3, 0x4f7ffffe, v4
	v_cvt_u32_f32_e32 v3, v3
	v_or_b32_e32 v4, 0x800, v2
	v_or_b32_e32 v6, 0xa00, v2
	v_and_b32_e32 v16, 60, v33
	v_mul_lo_u32 v5, s0, v3
	v_mul_hi_u32 v5, v3, v5
	s_lshl_b64 s[0:1], s[26:27], 2
	v_add_u32_e32 v28, v3, v5
	s_add_u32 s0, s24, s0
	v_lshlrev_b32_e32 v3, 5, v26
	s_addc_u32 s1, s25, s1
	v_lshl_or_b32 v3, v1, 6, v3
	s_mov_b32 s28, s13
	v_lshl_add_u64 v[18:19], s[0:1], 0, v[16:17]
	v_add_u32_e32 v29, 0x190, v3
	s_mov_b64 s[8:9], 0
	s_mov_b32 s24, 0x7f800000
	s_movk_i32 s25, 0x7fff
	v_lshlrev_b32_e32 v16, 1, v2
	v_lshlrev_b32_e32 v20, 1, v4
	;; [unrolled: 1-line block ×3, first 2 shown]
	v_mov_b32_e32 v14, v17
	v_mov_b32_e32 v15, v17
	;; [unrolled: 1-line block ×6, first 2 shown]
	s_branch .LBB133_48
.LBB133_46:                             ;   in Loop: Header=BB133_48 Depth=1
	s_or_b64 exec, exec, s[0:1]
	v_and_b32_e32 v45, 0xffff0000, v79
	v_and_b32_e32 v44, 0xffff0000, v77
	;; [unrolled: 1-line block ×8, first 2 shown]
	v_pk_add_f32 v[44:45], v[46:47], v[44:45]
	v_pk_add_f32 v[40:41], v[42:43], v[40:41]
	v_add_f32_e32 v21, v44, v45
	v_add_f32_e32 v21, v21, v40
	v_and_b32_e32 v45, 0xffff0000, v72
	v_and_b32_e32 v44, 0xffff0000, v9
	;; [unrolled: 1-line block ×4, first 2 shown]
	v_add_f32_e32 v21, v21, v41
	v_and_b32_e32 v41, 0xffff0000, v76
	v_and_b32_e32 v40, 0xffff0000, v74
	;; [unrolled: 1-line block ×4, first 2 shown]
	v_pk_add_f32 v[8:9], v[8:9], v[44:45]
	v_pk_add_f32 v[40:41], v[42:43], v[40:41]
	v_add_f32_e32 v8, v8, v9
	v_add_f32_e32 v8, v8, v40
	;; [unrolled: 1-line block ×3, first 2 shown]
	v_and_b32_e32 v43, 0xffff0000, v66
	v_and_b32_e32 v42, 0xffff0000, v64
	v_and_b32_e32 v45, 0xffff0000, v65
	v_and_b32_e32 v44, 0xffff0000, v63
	v_add_f32_e32 v13, v13, v8
	v_and_b32_e32 v9, 0xffff0000, v70
	v_and_b32_e32 v8, 0xffff0000, v68
	;; [unrolled: 1-line block ×4, first 2 shown]
	v_pk_add_f32 v[42:43], v[44:45], v[42:43]
	v_add_f32_e32 v10, v10, v21
	v_pk_add_f32 v[8:9], v[40:41], v[8:9]
	v_add_f32_e32 v21, v42, v43
	v_add_f32_e32 v8, v21, v8
	;; [unrolled: 1-line block ×3, first 2 shown]
	v_and_b32_e32 v43, 0xffff0000, v58
	v_and_b32_e32 v42, 0xffff0000, v56
	;; [unrolled: 1-line block ×4, first 2 shown]
	v_add_f32_e32 v12, v12, v8
	v_and_b32_e32 v9, 0xffff0000, v62
	v_and_b32_e32 v8, 0xffff0000, v60
	;; [unrolled: 1-line block ×4, first 2 shown]
	v_pk_add_f32 v[42:43], v[44:45], v[42:43]
	v_pk_add_f32 v[8:9], v[40:41], v[8:9]
	v_add_f32_e32 v21, v42, v43
	v_add_f32_e32 v8, v21, v8
	;; [unrolled: 1-line block ×4, first 2 shown]
	v_and_b32_e32 v8, 0xffff0000, v36
	v_and_b32_e32 v36, 0xffff0000, v35
	v_and_b32_e32 v35, 0xffff0000, v34
	v_and_b32_e32 v34, 0xffff0000, v31
	v_and_b32_e32 v31, 0xffff0000, v33
	v_and_b32_e32 v30, 0xffff0000, v30
	v_and_b32_e32 v9, 0xffff0000, v38
	v_and_b32_e32 v37, 0xffff0000, v37
	v_pk_add_f32 v[30:31], v[30:31], v[34:35]
	v_pk_add_f32 v[8:9], v[36:37], v[8:9]
	v_add_f32_e32 v21, v30, v31
	v_add_f32_e32 v8, v21, v8
	;; [unrolled: 1-line block ×3, first 2 shown]
	v_and_b32_e32 v9, 0xffff0000, v7
	v_and_b32_e32 v7, 0xffff0000, v23
	;; [unrolled: 1-line block ×5, first 2 shown]
	v_add_f32_e32 v14, v14, v8
	v_and_b32_e32 v8, 0xffff0000, v39
	v_and_b32_e32 v5, 0xffff0000, v5
	;; [unrolled: 1-line block ×3, first 2 shown]
	v_pk_add_f32 v[2:3], v[2:3], v[6:7]
	v_pk_add_f32 v[4:5], v[4:5], v[8:9]
	v_add_f32_e32 v2, v2, v3
	v_add_f32_e32 v2, v2, v4
	;; [unrolled: 1-line block ×4, first 2 shown]
.LBB133_47:                             ;   in Loop: Header=BB133_48 Depth=1
	s_or_b64 exec, exec, s[12:13]
	v_add_u32_e32 v1, 2, v1
	v_cmp_le_i32_e32 vcc, s16, v1
	v_lshl_add_u64 v[18:19], v[18:19], 0, 8
	v_add_u32_e32 v32, 32, v32
	s_or_b64 s[8:9], vcc, s[8:9]
	v_add_u32_e32 v29, 0x80, v29
	s_andn2_b64 exec, exec, s[8:9]
	s_cbranch_execz .LBB133_285
.LBB133_48:                             ; =>This Inner Loop Header: Depth=1
	v_mul_hi_u32 v2, v32, s40
	v_mul_lo_u32 v3, v2, s21
	v_sub_u32_e32 v3, v32, v3
	v_add_u32_e32 v4, 1, v2
	v_cmp_le_u32_e32 vcc, s21, v3
	s_nop 1
	v_cndmask_b32_e32 v2, v2, v4, vcc
	v_subrev_u32_e32 v4, s21, v3
	v_cndmask_b32_e32 v3, v3, v4, vcc
	v_add_u32_e32 v4, 1, v2
	v_cmp_le_u32_e32 vcc, s21, v3
	s_nop 1
	v_cndmask_b32_e32 v2, v2, v4, vcc
	v_xor_b32_e32 v2, s19, v2
	v_subrev_u32_e32 v2, s19, v2
	v_add_u32_e32 v3, s41, v2
	v_sub_u32_e32 v5, 0, v3
	v_ashrrev_i32_e32 v4, 31, v3
	v_max_i32_e32 v3, v3, v5
	v_mul_hi_u32 v5, v3, v28
	v_mul_lo_u32 v5, v5, s18
	v_sub_u32_e32 v3, v3, v5
	v_subrev_u32_e32 v5, s18, v3
	v_cmp_le_u32_e32 vcc, s18, v3
	v_cmp_lt_i32_e64 s[0:1], s17, v2
	s_nop 0
	v_cndmask_b32_e32 v3, v3, v5, vcc
	v_subrev_u32_e32 v5, s18, v3
	v_cmp_le_u32_e32 vcc, s18, v3
	s_nop 1
	v_cndmask_b32_e32 v3, v3, v5, vcc
	v_xor_b32_e32 v3, v3, v4
	v_sub_u32_e32 v3, v3, v4
	v_cmp_eq_u32_e32 vcc, 0, v3
	s_or_b64 s[0:1], vcc, s[0:1]
	s_and_saveexec_b64 s[12:13], s[0:1]
	s_cbranch_execz .LBB133_47
; %bb.49:                               ;   in Loop: Header=BB133_48 Depth=1
	global_load_dword v37, v[18:19], off
	ds_read2_b64 v[6:9], v29 offset1:1
	ds_read2_b64 v[2:5], v29 offset0:2 offset1:3
                                        ; implicit-def: $vgpr30
	s_waitcnt lgkmcnt(1)
	v_and_b32_e32 v21, 0x7f800000, v6
	v_cmp_ne_u32_e32 vcc, s24, v21
	s_and_saveexec_b64 s[0:1], vcc
	s_xor_b64 s[0:1], exec, s[0:1]
; %bb.50:                               ;   in Loop: Header=BB133_48 Depth=1
	v_bfe_u32 v21, v6, 16, 1
	v_add3_u32 v30, v6, v21, s25
; %bb.51:                               ;   in Loop: Header=BB133_48 Depth=1
	s_andn2_saveexec_b64 s[0:1], s[0:1]
; %bb.52:                               ;   in Loop: Header=BB133_48 Depth=1
	v_or_b32_e32 v21, 0x10000, v6
	v_cmp_eq_u32_sdwa vcc, v6, v17 src0_sel:WORD_0 src1_sel:DWORD
	s_nop 1
	v_cndmask_b32_e32 v30, v21, v6, vcc
; %bb.53:                               ;   in Loop: Header=BB133_48 Depth=1
	s_or_b64 exec, exec, s[0:1]
	v_and_b32_e32 v6, 0x7f800000, v7
	v_cmp_ne_u32_e32 vcc, s24, v6
                                        ; implicit-def: $vgpr31
	s_and_saveexec_b64 s[0:1], vcc
	s_xor_b64 s[0:1], exec, s[0:1]
; %bb.54:                               ;   in Loop: Header=BB133_48 Depth=1
	v_bfe_u32 v6, v7, 16, 1
	v_add3_u32 v31, v7, v6, s25
; %bb.55:                               ;   in Loop: Header=BB133_48 Depth=1
	s_andn2_saveexec_b64 s[0:1], s[0:1]
; %bb.56:                               ;   in Loop: Header=BB133_48 Depth=1
	v_or_b32_e32 v6, 0x10000, v7
	v_cmp_eq_u32_sdwa vcc, v7, v17 src0_sel:WORD_0 src1_sel:DWORD
	s_nop 1
	v_cndmask_b32_e32 v31, v6, v7, vcc
; %bb.57:                               ;   in Loop: Header=BB133_48 Depth=1
	s_or_b64 exec, exec, s[0:1]
	v_and_b32_e32 v6, 0x7f800000, v8
	v_cmp_ne_u32_e32 vcc, s24, v6
                                        ; implicit-def: $vgpr33
	s_and_saveexec_b64 s[0:1], vcc
	s_xor_b64 s[0:1], exec, s[0:1]
; %bb.58:                               ;   in Loop: Header=BB133_48 Depth=1
	v_bfe_u32 v6, v8, 16, 1
	v_add3_u32 v33, v8, v6, s25
; %bb.59:                               ;   in Loop: Header=BB133_48 Depth=1
	s_andn2_saveexec_b64 s[0:1], s[0:1]
; %bb.60:                               ;   in Loop: Header=BB133_48 Depth=1
	v_or_b32_e32 v6, 0x10000, v8
	v_cmp_eq_u32_sdwa vcc, v8, v17 src0_sel:WORD_0 src1_sel:DWORD
	s_nop 1
	v_cndmask_b32_e32 v33, v6, v8, vcc
; %bb.61:                               ;   in Loop: Header=BB133_48 Depth=1
	s_or_b64 exec, exec, s[0:1]
	v_and_b32_e32 v6, 0x7f800000, v9
	v_cmp_ne_u32_e32 vcc, s24, v6
                                        ; implicit-def: $vgpr34
	s_and_saveexec_b64 s[0:1], vcc
	s_xor_b64 s[0:1], exec, s[0:1]
; %bb.62:                               ;   in Loop: Header=BB133_48 Depth=1
	v_bfe_u32 v6, v9, 16, 1
	v_add3_u32 v34, v9, v6, s25
                                        ; implicit-def: $vgpr6_vgpr7_vgpr8_vgpr9
; %bb.63:                               ;   in Loop: Header=BB133_48 Depth=1
	s_andn2_saveexec_b64 s[0:1], s[0:1]
; %bb.64:                               ;   in Loop: Header=BB133_48 Depth=1
	v_or_b32_e32 v6, 0x10000, v9
	v_cmp_eq_u32_sdwa vcc, v9, v17 src0_sel:WORD_0 src1_sel:DWORD
	s_nop 1
	v_cndmask_b32_e32 v34, v6, v9, vcc
; %bb.65:                               ;   in Loop: Header=BB133_48 Depth=1
	s_or_b64 exec, exec, s[0:1]
	s_waitcnt lgkmcnt(0)
	v_and_b32_e32 v6, 0x7f800000, v2
	v_cmp_ne_u32_e32 vcc, s24, v6
                                        ; implicit-def: $vgpr35
	s_and_saveexec_b64 s[0:1], vcc
	s_xor_b64 s[0:1], exec, s[0:1]
; %bb.66:                               ;   in Loop: Header=BB133_48 Depth=1
	v_bfe_u32 v6, v2, 16, 1
	v_add3_u32 v35, v2, v6, s25
; %bb.67:                               ;   in Loop: Header=BB133_48 Depth=1
	s_andn2_saveexec_b64 s[0:1], s[0:1]
; %bb.68:                               ;   in Loop: Header=BB133_48 Depth=1
	v_or_b32_e32 v6, 0x10000, v2
	v_cmp_eq_u32_sdwa vcc, v2, v17 src0_sel:WORD_0 src1_sel:DWORD
	s_nop 1
	v_cndmask_b32_e32 v35, v6, v2, vcc
; %bb.69:                               ;   in Loop: Header=BB133_48 Depth=1
	s_or_b64 exec, exec, s[0:1]
	v_and_b32_e32 v2, 0x7f800000, v3
	v_cmp_ne_u32_e32 vcc, s24, v2
                                        ; implicit-def: $vgpr36
	s_and_saveexec_b64 s[0:1], vcc
	s_xor_b64 s[0:1], exec, s[0:1]
; %bb.70:                               ;   in Loop: Header=BB133_48 Depth=1
	v_bfe_u32 v2, v3, 16, 1
	v_add3_u32 v36, v3, v2, s25
; %bb.71:                               ;   in Loop: Header=BB133_48 Depth=1
	s_andn2_saveexec_b64 s[0:1], s[0:1]
; %bb.72:                               ;   in Loop: Header=BB133_48 Depth=1
	v_or_b32_e32 v2, 0x10000, v3
	v_cmp_eq_u32_sdwa vcc, v3, v17 src0_sel:WORD_0 src1_sel:DWORD
	s_nop 1
	v_cndmask_b32_e32 v36, v2, v3, vcc
; %bb.73:                               ;   in Loop: Header=BB133_48 Depth=1
	s_or_b64 exec, exec, s[0:1]
	v_and_b32_e32 v2, 0x7f800000, v4
	v_cmp_ne_u32_e32 vcc, s24, v2
                                        ; implicit-def: $vgpr23
	s_and_saveexec_b64 s[0:1], vcc
	s_xor_b64 s[0:1], exec, s[0:1]
; %bb.74:                               ;   in Loop: Header=BB133_48 Depth=1
	v_bfe_u32 v2, v4, 16, 1
	v_add3_u32 v23, v4, v2, s25
; %bb.75:                               ;   in Loop: Header=BB133_48 Depth=1
	s_andn2_saveexec_b64 s[0:1], s[0:1]
; %bb.76:                               ;   in Loop: Header=BB133_48 Depth=1
	v_or_b32_e32 v2, 0x10000, v4
	v_cmp_eq_u32_sdwa vcc, v4, v17 src0_sel:WORD_0 src1_sel:DWORD
	s_nop 1
	v_cndmask_b32_e32 v23, v2, v4, vcc
; %bb.77:                               ;   in Loop: Header=BB133_48 Depth=1
	s_or_b64 exec, exec, s[0:1]
	v_and_b32_e32 v2, 0x7f800000, v5
	v_cmp_ne_u32_e32 vcc, s24, v2
                                        ; implicit-def: $vgpr21
	s_and_saveexec_b64 s[0:1], vcc
	s_xor_b64 s[0:1], exec, s[0:1]
; %bb.78:                               ;   in Loop: Header=BB133_48 Depth=1
	v_bfe_u32 v2, v5, 16, 1
	v_add3_u32 v21, v5, v2, s25
                                        ; implicit-def: $vgpr2_vgpr3_vgpr4_vgpr5
; %bb.79:                               ;   in Loop: Header=BB133_48 Depth=1
	s_andn2_saveexec_b64 s[0:1], s[0:1]
; %bb.80:                               ;   in Loop: Header=BB133_48 Depth=1
	v_or_b32_e32 v2, 0x10000, v5
	v_cmp_eq_u32_sdwa vcc, v5, v17 src0_sel:WORD_0 src1_sel:DWORD
	s_nop 1
	v_cndmask_b32_e32 v21, v2, v5, vcc
; %bb.81:                               ;   in Loop: Header=BB133_48 Depth=1
	s_or_b64 exec, exec, s[0:1]
	s_waitcnt vmcnt(0)
	v_mad_i64_i32 v[2:3], s[0:1], v37, s28, 0
	v_lshl_add_u64 v[6:7], v[2:3], 1, s[6:7]
	v_lshl_add_u64 v[8:9], v[6:7], 0, v[16:17]
	global_load_dwordx4 v[2:5], v[8:9], off
	v_add_u32_e32 v39, v27, v32
	v_cmp_eq_u32_e32 vcc, s29, v1
	v_add_u32_e32 v46, 1, v39
	v_add_u32_e32 v45, 2, v39
	;; [unrolled: 1-line block ×7, first 2 shown]
	s_waitcnt vmcnt(0)
	v_lshrrev_b32_e32 v49, 16, v2
	v_lshrrev_b32_e32 v51, 16, v3
	;; [unrolled: 1-line block ×4, first 2 shown]
	s_and_saveexec_b64 s[14:15], vcc
	s_cbranch_execz .LBB133_83
; %bb.82:                               ;   in Loop: Header=BB133_48 Depth=1
	v_cmp_gt_i32_e64 s[0:1], s33, v39
	s_nop 1
	v_cndmask_b32_e64 v2, 0, v2, s[0:1]
	v_cmp_gt_i32_e64 s[0:1], s33, v46
	s_nop 1
	v_cndmask_b32_e64 v49, 0, v49, s[0:1]
	;; [unrolled: 3-line block ×8, first 2 shown]
.LBB133_83:                             ;   in Loop: Header=BB133_48 Depth=1
	s_or_b64 exec, exec, s[14:15]
	v_and_b32_e32 v47, 0xffff0000, v30
	v_lshlrev_b32_e32 v2, 16, v2
	v_mul_f32_e32 v2, v47, v2
	v_and_b32_e32 v30, 0x7f800000, v2
	v_cmp_ne_u32_e64 s[0:1], s24, v30
                                        ; implicit-def: $vgpr30
	s_and_saveexec_b64 s[14:15], s[0:1]
	s_xor_b64 s[0:1], exec, s[14:15]
; %bb.84:                               ;   in Loop: Header=BB133_48 Depth=1
	v_bfe_u32 v30, v2, 16, 1
	v_add3_u32 v30, v2, v30, s25
                                        ; implicit-def: $vgpr2
; %bb.85:                               ;   in Loop: Header=BB133_48 Depth=1
	s_andn2_saveexec_b64 s[14:15], s[0:1]
; %bb.86:                               ;   in Loop: Header=BB133_48 Depth=1
	v_or_b32_e32 v30, 0x10000, v2
	v_cmp_eq_u32_sdwa s[0:1], v2, v17 src0_sel:WORD_0 src1_sel:DWORD
	s_nop 1
	v_cndmask_b32_e64 v30, v30, v2, s[0:1]
; %bb.87:                               ;   in Loop: Header=BB133_48 Depth=1
	s_or_b64 exec, exec, s[14:15]
	v_and_b32_e32 v48, 0xffff0000, v31
	v_lshlrev_b32_e32 v2, 16, v49
	v_mul_f32_e32 v2, v48, v2
	v_and_b32_e32 v31, 0x7f800000, v2
	v_cmp_ne_u32_e64 s[0:1], s24, v31
                                        ; implicit-def: $vgpr31
	s_and_saveexec_b64 s[14:15], s[0:1]
	s_xor_b64 s[0:1], exec, s[14:15]
; %bb.88:                               ;   in Loop: Header=BB133_48 Depth=1
	v_bfe_u32 v31, v2, 16, 1
	v_add3_u32 v31, v2, v31, s25
                                        ; implicit-def: $vgpr2
; %bb.89:                               ;   in Loop: Header=BB133_48 Depth=1
	s_andn2_saveexec_b64 s[14:15], s[0:1]
; %bb.90:                               ;   in Loop: Header=BB133_48 Depth=1
	v_or_b32_e32 v31, 0x10000, v2
	v_cmp_eq_u32_sdwa s[0:1], v2, v17 src0_sel:WORD_0 src1_sel:DWORD
	s_nop 1
	v_cndmask_b32_e64 v31, v31, v2, s[0:1]
; %bb.91:                               ;   in Loop: Header=BB133_48 Depth=1
	s_or_b64 exec, exec, s[14:15]
	v_and_b32_e32 v49, 0xffff0000, v33
	v_lshlrev_b32_e32 v2, 16, v3
	v_mul_f32_e32 v2, v49, v2
	v_and_b32_e32 v3, 0x7f800000, v2
	v_cmp_ne_u32_e64 s[0:1], s24, v3
                                        ; implicit-def: $vgpr33
	s_and_saveexec_b64 s[14:15], s[0:1]
	s_xor_b64 s[0:1], exec, s[14:15]
; %bb.92:                               ;   in Loop: Header=BB133_48 Depth=1
	v_bfe_u32 v3, v2, 16, 1
	v_add3_u32 v33, v2, v3, s25
                                        ; implicit-def: $vgpr2
; %bb.93:                               ;   in Loop: Header=BB133_48 Depth=1
	s_andn2_saveexec_b64 s[14:15], s[0:1]
; %bb.94:                               ;   in Loop: Header=BB133_48 Depth=1
	v_or_b32_e32 v3, 0x10000, v2
	v_cmp_eq_u32_sdwa s[0:1], v2, v17 src0_sel:WORD_0 src1_sel:DWORD
	s_nop 1
	v_cndmask_b32_e64 v33, v3, v2, s[0:1]
; %bb.95:                               ;   in Loop: Header=BB133_48 Depth=1
	s_or_b64 exec, exec, s[14:15]
	v_and_b32_e32 v50, 0xffff0000, v34
	v_lshlrev_b32_e32 v2, 16, v51
	v_mul_f32_e32 v2, v50, v2
	v_and_b32_e32 v3, 0x7f800000, v2
	v_cmp_ne_u32_e64 s[0:1], s24, v3
                                        ; implicit-def: $vgpr34
	s_and_saveexec_b64 s[14:15], s[0:1]
	s_xor_b64 s[0:1], exec, s[14:15]
; %bb.96:                               ;   in Loop: Header=BB133_48 Depth=1
	v_bfe_u32 v3, v2, 16, 1
	v_add3_u32 v34, v2, v3, s25
                                        ; implicit-def: $vgpr2
; %bb.97:                               ;   in Loop: Header=BB133_48 Depth=1
	s_andn2_saveexec_b64 s[14:15], s[0:1]
; %bb.98:                               ;   in Loop: Header=BB133_48 Depth=1
	v_or_b32_e32 v3, 0x10000, v2
	v_cmp_eq_u32_sdwa s[0:1], v2, v17 src0_sel:WORD_0 src1_sel:DWORD
	s_nop 1
	v_cndmask_b32_e64 v34, v3, v2, s[0:1]
; %bb.99:                               ;   in Loop: Header=BB133_48 Depth=1
	s_or_b64 exec, exec, s[14:15]
	v_and_b32_e32 v51, 0xffff0000, v35
	v_lshlrev_b32_e32 v2, 16, v4
	v_mul_f32_e32 v2, v51, v2
	v_and_b32_e32 v3, 0x7f800000, v2
	v_cmp_ne_u32_e64 s[0:1], s24, v3
                                        ; implicit-def: $vgpr35
	s_and_saveexec_b64 s[14:15], s[0:1]
	s_xor_b64 s[0:1], exec, s[14:15]
; %bb.100:                              ;   in Loop: Header=BB133_48 Depth=1
	v_bfe_u32 v3, v2, 16, 1
	v_add3_u32 v35, v2, v3, s25
                                        ; implicit-def: $vgpr2
; %bb.101:                              ;   in Loop: Header=BB133_48 Depth=1
	s_andn2_saveexec_b64 s[14:15], s[0:1]
; %bb.102:                              ;   in Loop: Header=BB133_48 Depth=1
	v_or_b32_e32 v3, 0x10000, v2
	v_cmp_eq_u32_sdwa s[0:1], v2, v17 src0_sel:WORD_0 src1_sel:DWORD
	s_nop 1
	v_cndmask_b32_e64 v35, v3, v2, s[0:1]
; %bb.103:                              ;   in Loop: Header=BB133_48 Depth=1
	s_or_b64 exec, exec, s[14:15]
	v_and_b32_e32 v52, 0xffff0000, v36
	v_lshlrev_b32_e32 v2, 16, v37
	v_mul_f32_e32 v2, v52, v2
	v_and_b32_e32 v3, 0x7f800000, v2
	v_cmp_ne_u32_e64 s[0:1], s24, v3
                                        ; implicit-def: $vgpr36
	s_and_saveexec_b64 s[14:15], s[0:1]
	s_xor_b64 s[0:1], exec, s[14:15]
; %bb.104:                              ;   in Loop: Header=BB133_48 Depth=1
	v_bfe_u32 v3, v2, 16, 1
	v_add3_u32 v36, v2, v3, s25
                                        ; implicit-def: $vgpr2
; %bb.105:                              ;   in Loop: Header=BB133_48 Depth=1
	s_andn2_saveexec_b64 s[14:15], s[0:1]
; %bb.106:                              ;   in Loop: Header=BB133_48 Depth=1
	v_or_b32_e32 v3, 0x10000, v2
	v_cmp_eq_u32_sdwa s[0:1], v2, v17 src0_sel:WORD_0 src1_sel:DWORD
	s_nop 1
	v_cndmask_b32_e64 v36, v3, v2, s[0:1]
; %bb.107:                              ;   in Loop: Header=BB133_48 Depth=1
	s_or_b64 exec, exec, s[14:15]
	v_and_b32_e32 v53, 0xffff0000, v23
	v_lshlrev_b32_e32 v2, 16, v5
	v_mul_f32_e32 v2, v53, v2
	v_and_b32_e32 v3, 0x7f800000, v2
	v_cmp_ne_u32_e64 s[0:1], s24, v3
                                        ; implicit-def: $vgpr37
	s_and_saveexec_b64 s[14:15], s[0:1]
	s_xor_b64 s[0:1], exec, s[14:15]
; %bb.108:                              ;   in Loop: Header=BB133_48 Depth=1
	v_bfe_u32 v3, v2, 16, 1
	v_add3_u32 v37, v2, v3, s25
                                        ; implicit-def: $vgpr2
; %bb.109:                              ;   in Loop: Header=BB133_48 Depth=1
	s_andn2_saveexec_b64 s[14:15], s[0:1]
; %bb.110:                              ;   in Loop: Header=BB133_48 Depth=1
	v_or_b32_e32 v3, 0x10000, v2
	v_cmp_eq_u32_sdwa s[0:1], v2, v17 src0_sel:WORD_0 src1_sel:DWORD
	s_nop 1
	v_cndmask_b32_e64 v37, v3, v2, s[0:1]
; %bb.111:                              ;   in Loop: Header=BB133_48 Depth=1
	s_or_b64 exec, exec, s[14:15]
	v_and_b32_e32 v54, 0xffff0000, v21
	v_lshlrev_b32_e32 v2, 16, v38
	v_mul_f32_e32 v2, v54, v2
	v_and_b32_e32 v3, 0x7f800000, v2
	v_cmp_ne_u32_e64 s[0:1], s24, v3
                                        ; implicit-def: $vgpr38
	s_and_saveexec_b64 s[14:15], s[0:1]
	s_xor_b64 s[0:1], exec, s[14:15]
; %bb.112:                              ;   in Loop: Header=BB133_48 Depth=1
	v_bfe_u32 v3, v2, 16, 1
	v_add3_u32 v38, v2, v3, s25
                                        ; implicit-def: $vgpr2
; %bb.113:                              ;   in Loop: Header=BB133_48 Depth=1
	s_andn2_saveexec_b64 s[14:15], s[0:1]
; %bb.114:                              ;   in Loop: Header=BB133_48 Depth=1
	v_or_b32_e32 v3, 0x10000, v2
	v_cmp_eq_u32_sdwa s[0:1], v2, v17 src0_sel:WORD_0 src1_sel:DWORD
	s_nop 1
	v_cndmask_b32_e64 v38, v3, v2, s[0:1]
; %bb.115:                              ;   in Loop: Header=BB133_48 Depth=1
	s_or_b64 exec, exec, s[14:15]
	global_load_dwordx4 v[2:5], v[8:9], off offset:1024
	s_waitcnt vmcnt(0)
	v_lshrrev_b32_e32 v56, 16, v2
	v_lshrrev_b32_e32 v58, 16, v3
	v_lshrrev_b32_e32 v23, 16, v4
	v_lshrrev_b32_e32 v21, 16, v5
	s_and_saveexec_b64 s[14:15], vcc
	s_cbranch_execz .LBB133_117
; %bb.116:                              ;   in Loop: Header=BB133_48 Depth=1
	v_cmp_gt_i32_e64 s[0:1], s33, v39
	s_nop 1
	v_cndmask_b32_e64 v2, 0, v2, s[0:1]
	v_cmp_gt_i32_e64 s[0:1], s33, v46
	s_nop 1
	v_cndmask_b32_e64 v56, 0, v56, s[0:1]
	;; [unrolled: 3-line block ×8, first 2 shown]
.LBB133_117:                            ;   in Loop: Header=BB133_48 Depth=1
	s_or_b64 exec, exec, s[14:15]
	v_lshlrev_b32_e32 v2, 16, v2
	v_mul_f32_e32 v2, v47, v2
	v_and_b32_e32 v55, 0x7f800000, v2
	v_cmp_ne_u32_e64 s[0:1], s24, v55
                                        ; implicit-def: $vgpr55
	s_and_saveexec_b64 s[14:15], s[0:1]
	s_xor_b64 s[0:1], exec, s[14:15]
; %bb.118:                              ;   in Loop: Header=BB133_48 Depth=1
	v_bfe_u32 v55, v2, 16, 1
	v_add3_u32 v55, v2, v55, s25
                                        ; implicit-def: $vgpr2
; %bb.119:                              ;   in Loop: Header=BB133_48 Depth=1
	s_andn2_saveexec_b64 s[14:15], s[0:1]
; %bb.120:                              ;   in Loop: Header=BB133_48 Depth=1
	v_or_b32_e32 v55, 0x10000, v2
	v_cmp_eq_u32_sdwa s[0:1], v2, v17 src0_sel:WORD_0 src1_sel:DWORD
	s_nop 1
	v_cndmask_b32_e64 v55, v55, v2, s[0:1]
; %bb.121:                              ;   in Loop: Header=BB133_48 Depth=1
	s_or_b64 exec, exec, s[14:15]
	v_lshlrev_b32_e32 v2, 16, v56
	v_mul_f32_e32 v2, v48, v2
	v_and_b32_e32 v56, 0x7f800000, v2
	v_cmp_ne_u32_e64 s[0:1], s24, v56
                                        ; implicit-def: $vgpr56
	s_and_saveexec_b64 s[14:15], s[0:1]
	s_xor_b64 s[0:1], exec, s[14:15]
; %bb.122:                              ;   in Loop: Header=BB133_48 Depth=1
	v_bfe_u32 v56, v2, 16, 1
	v_add3_u32 v56, v2, v56, s25
                                        ; implicit-def: $vgpr2
; %bb.123:                              ;   in Loop: Header=BB133_48 Depth=1
	s_andn2_saveexec_b64 s[14:15], s[0:1]
; %bb.124:                              ;   in Loop: Header=BB133_48 Depth=1
	v_or_b32_e32 v56, 0x10000, v2
	v_cmp_eq_u32_sdwa s[0:1], v2, v17 src0_sel:WORD_0 src1_sel:DWORD
	s_nop 1
	v_cndmask_b32_e64 v56, v56, v2, s[0:1]
; %bb.125:                              ;   in Loop: Header=BB133_48 Depth=1
	s_or_b64 exec, exec, s[14:15]
	v_lshlrev_b32_e32 v2, 16, v3
	v_mul_f32_e32 v2, v49, v2
	v_and_b32_e32 v3, 0x7f800000, v2
	v_cmp_ne_u32_e64 s[0:1], s24, v3
                                        ; implicit-def: $vgpr57
	s_and_saveexec_b64 s[14:15], s[0:1]
	s_xor_b64 s[0:1], exec, s[14:15]
; %bb.126:                              ;   in Loop: Header=BB133_48 Depth=1
	v_bfe_u32 v3, v2, 16, 1
	v_add3_u32 v57, v2, v3, s25
                                        ; implicit-def: $vgpr2
; %bb.127:                              ;   in Loop: Header=BB133_48 Depth=1
	s_andn2_saveexec_b64 s[14:15], s[0:1]
; %bb.128:                              ;   in Loop: Header=BB133_48 Depth=1
	v_or_b32_e32 v3, 0x10000, v2
	v_cmp_eq_u32_sdwa s[0:1], v2, v17 src0_sel:WORD_0 src1_sel:DWORD
	s_nop 1
	v_cndmask_b32_e64 v57, v3, v2, s[0:1]
; %bb.129:                              ;   in Loop: Header=BB133_48 Depth=1
	s_or_b64 exec, exec, s[14:15]
	v_lshlrev_b32_e32 v2, 16, v58
	v_mul_f32_e32 v2, v50, v2
	v_and_b32_e32 v3, 0x7f800000, v2
	v_cmp_ne_u32_e64 s[0:1], s24, v3
                                        ; implicit-def: $vgpr58
	s_and_saveexec_b64 s[14:15], s[0:1]
	s_xor_b64 s[0:1], exec, s[14:15]
; %bb.130:                              ;   in Loop: Header=BB133_48 Depth=1
	v_bfe_u32 v3, v2, 16, 1
	v_add3_u32 v58, v2, v3, s25
                                        ; implicit-def: $vgpr2
; %bb.131:                              ;   in Loop: Header=BB133_48 Depth=1
	s_andn2_saveexec_b64 s[14:15], s[0:1]
; %bb.132:                              ;   in Loop: Header=BB133_48 Depth=1
	v_or_b32_e32 v3, 0x10000, v2
	v_cmp_eq_u32_sdwa s[0:1], v2, v17 src0_sel:WORD_0 src1_sel:DWORD
	s_nop 1
	v_cndmask_b32_e64 v58, v3, v2, s[0:1]
; %bb.133:                              ;   in Loop: Header=BB133_48 Depth=1
	s_or_b64 exec, exec, s[14:15]
	v_lshlrev_b32_e32 v2, 16, v4
	v_mul_f32_e32 v2, v51, v2
	v_and_b32_e32 v3, 0x7f800000, v2
	v_cmp_ne_u32_e64 s[0:1], s24, v3
                                        ; implicit-def: $vgpr59
	s_and_saveexec_b64 s[14:15], s[0:1]
	s_xor_b64 s[0:1], exec, s[14:15]
; %bb.134:                              ;   in Loop: Header=BB133_48 Depth=1
	v_bfe_u32 v3, v2, 16, 1
	v_add3_u32 v59, v2, v3, s25
                                        ; implicit-def: $vgpr2
; %bb.135:                              ;   in Loop: Header=BB133_48 Depth=1
	s_andn2_saveexec_b64 s[14:15], s[0:1]
; %bb.136:                              ;   in Loop: Header=BB133_48 Depth=1
	v_or_b32_e32 v3, 0x10000, v2
	v_cmp_eq_u32_sdwa s[0:1], v2, v17 src0_sel:WORD_0 src1_sel:DWORD
	s_nop 1
	v_cndmask_b32_e64 v59, v3, v2, s[0:1]
; %bb.137:                              ;   in Loop: Header=BB133_48 Depth=1
	s_or_b64 exec, exec, s[14:15]
	v_lshlrev_b32_e32 v2, 16, v23
	v_mul_f32_e32 v2, v52, v2
	v_and_b32_e32 v3, 0x7f800000, v2
	v_cmp_ne_u32_e64 s[0:1], s24, v3
                                        ; implicit-def: $vgpr60
	s_and_saveexec_b64 s[14:15], s[0:1]
	s_xor_b64 s[0:1], exec, s[14:15]
; %bb.138:                              ;   in Loop: Header=BB133_48 Depth=1
	v_bfe_u32 v3, v2, 16, 1
	v_add3_u32 v60, v2, v3, s25
                                        ; implicit-def: $vgpr2
; %bb.139:                              ;   in Loop: Header=BB133_48 Depth=1
	s_andn2_saveexec_b64 s[14:15], s[0:1]
; %bb.140:                              ;   in Loop: Header=BB133_48 Depth=1
	v_or_b32_e32 v3, 0x10000, v2
	v_cmp_eq_u32_sdwa s[0:1], v2, v17 src0_sel:WORD_0 src1_sel:DWORD
	s_nop 1
	v_cndmask_b32_e64 v60, v3, v2, s[0:1]
; %bb.141:                              ;   in Loop: Header=BB133_48 Depth=1
	s_or_b64 exec, exec, s[14:15]
	v_lshlrev_b32_e32 v2, 16, v5
	v_mul_f32_e32 v2, v53, v2
	v_and_b32_e32 v3, 0x7f800000, v2
	v_cmp_ne_u32_e64 s[0:1], s24, v3
                                        ; implicit-def: $vgpr61
	s_and_saveexec_b64 s[14:15], s[0:1]
	s_xor_b64 s[0:1], exec, s[14:15]
; %bb.142:                              ;   in Loop: Header=BB133_48 Depth=1
	v_bfe_u32 v3, v2, 16, 1
	v_add3_u32 v61, v2, v3, s25
                                        ; implicit-def: $vgpr2
; %bb.143:                              ;   in Loop: Header=BB133_48 Depth=1
	s_andn2_saveexec_b64 s[14:15], s[0:1]
; %bb.144:                              ;   in Loop: Header=BB133_48 Depth=1
	v_or_b32_e32 v3, 0x10000, v2
	v_cmp_eq_u32_sdwa s[0:1], v2, v17 src0_sel:WORD_0 src1_sel:DWORD
	s_nop 1
	v_cndmask_b32_e64 v61, v3, v2, s[0:1]
; %bb.145:                              ;   in Loop: Header=BB133_48 Depth=1
	s_or_b64 exec, exec, s[14:15]
	v_lshlrev_b32_e32 v2, 16, v21
	v_mul_f32_e32 v2, v54, v2
	v_and_b32_e32 v3, 0x7f800000, v2
	v_cmp_ne_u32_e64 s[0:1], s24, v3
                                        ; implicit-def: $vgpr62
	s_and_saveexec_b64 s[14:15], s[0:1]
	s_xor_b64 s[0:1], exec, s[14:15]
; %bb.146:                              ;   in Loop: Header=BB133_48 Depth=1
	v_bfe_u32 v3, v2, 16, 1
	v_add3_u32 v62, v2, v3, s25
                                        ; implicit-def: $vgpr2
; %bb.147:                              ;   in Loop: Header=BB133_48 Depth=1
	s_andn2_saveexec_b64 s[14:15], s[0:1]
; %bb.148:                              ;   in Loop: Header=BB133_48 Depth=1
	v_or_b32_e32 v3, 0x10000, v2
	v_cmp_eq_u32_sdwa s[0:1], v2, v17 src0_sel:WORD_0 src1_sel:DWORD
	s_nop 1
	v_cndmask_b32_e64 v62, v3, v2, s[0:1]
; %bb.149:                              ;   in Loop: Header=BB133_48 Depth=1
	s_or_b64 exec, exec, s[14:15]
	global_load_dwordx4 v[2:5], v[8:9], off offset:2048
	s_waitcnt vmcnt(0)
	v_lshrrev_b32_e32 v64, 16, v2
	v_lshrrev_b32_e32 v66, 16, v3
	;; [unrolled: 1-line block ×4, first 2 shown]
	s_and_saveexec_b64 s[14:15], vcc
	s_cbranch_execz .LBB133_151
; %bb.150:                              ;   in Loop: Header=BB133_48 Depth=1
	v_cmp_gt_i32_e64 s[0:1], s33, v39
	s_nop 1
	v_cndmask_b32_e64 v2, 0, v2, s[0:1]
	v_cmp_gt_i32_e64 s[0:1], s33, v46
	s_nop 1
	v_cndmask_b32_e64 v64, 0, v64, s[0:1]
	;; [unrolled: 3-line block ×8, first 2 shown]
.LBB133_151:                            ;   in Loop: Header=BB133_48 Depth=1
	s_or_b64 exec, exec, s[14:15]
	v_lshlrev_b32_e32 v2, 16, v2
	v_mul_f32_e32 v2, v47, v2
	v_and_b32_e32 v63, 0x7f800000, v2
	v_cmp_ne_u32_e64 s[0:1], s24, v63
                                        ; implicit-def: $vgpr63
	s_and_saveexec_b64 s[14:15], s[0:1]
	s_xor_b64 s[0:1], exec, s[14:15]
; %bb.152:                              ;   in Loop: Header=BB133_48 Depth=1
	v_bfe_u32 v63, v2, 16, 1
	v_add3_u32 v63, v2, v63, s25
                                        ; implicit-def: $vgpr2
; %bb.153:                              ;   in Loop: Header=BB133_48 Depth=1
	s_andn2_saveexec_b64 s[14:15], s[0:1]
; %bb.154:                              ;   in Loop: Header=BB133_48 Depth=1
	v_or_b32_e32 v63, 0x10000, v2
	v_cmp_eq_u32_sdwa s[0:1], v2, v17 src0_sel:WORD_0 src1_sel:DWORD
	s_nop 1
	v_cndmask_b32_e64 v63, v63, v2, s[0:1]
; %bb.155:                              ;   in Loop: Header=BB133_48 Depth=1
	s_or_b64 exec, exec, s[14:15]
	v_lshlrev_b32_e32 v2, 16, v64
	v_mul_f32_e32 v2, v48, v2
	v_and_b32_e32 v64, 0x7f800000, v2
	v_cmp_ne_u32_e64 s[0:1], s24, v64
                                        ; implicit-def: $vgpr64
	s_and_saveexec_b64 s[14:15], s[0:1]
	s_xor_b64 s[0:1], exec, s[14:15]
; %bb.156:                              ;   in Loop: Header=BB133_48 Depth=1
	v_bfe_u32 v64, v2, 16, 1
	v_add3_u32 v64, v2, v64, s25
                                        ; implicit-def: $vgpr2
; %bb.157:                              ;   in Loop: Header=BB133_48 Depth=1
	s_andn2_saveexec_b64 s[14:15], s[0:1]
; %bb.158:                              ;   in Loop: Header=BB133_48 Depth=1
	v_or_b32_e32 v64, 0x10000, v2
	v_cmp_eq_u32_sdwa s[0:1], v2, v17 src0_sel:WORD_0 src1_sel:DWORD
	s_nop 1
	v_cndmask_b32_e64 v64, v64, v2, s[0:1]
; %bb.159:                              ;   in Loop: Header=BB133_48 Depth=1
	s_or_b64 exec, exec, s[14:15]
	v_lshlrev_b32_e32 v2, 16, v3
	v_mul_f32_e32 v2, v49, v2
	v_and_b32_e32 v3, 0x7f800000, v2
	v_cmp_ne_u32_e64 s[0:1], s24, v3
                                        ; implicit-def: $vgpr65
	s_and_saveexec_b64 s[14:15], s[0:1]
	s_xor_b64 s[0:1], exec, s[14:15]
; %bb.160:                              ;   in Loop: Header=BB133_48 Depth=1
	v_bfe_u32 v3, v2, 16, 1
	v_add3_u32 v65, v2, v3, s25
                                        ; implicit-def: $vgpr2
; %bb.161:                              ;   in Loop: Header=BB133_48 Depth=1
	s_andn2_saveexec_b64 s[14:15], s[0:1]
; %bb.162:                              ;   in Loop: Header=BB133_48 Depth=1
	v_or_b32_e32 v3, 0x10000, v2
	v_cmp_eq_u32_sdwa s[0:1], v2, v17 src0_sel:WORD_0 src1_sel:DWORD
	s_nop 1
	v_cndmask_b32_e64 v65, v3, v2, s[0:1]
; %bb.163:                              ;   in Loop: Header=BB133_48 Depth=1
	s_or_b64 exec, exec, s[14:15]
	v_lshlrev_b32_e32 v2, 16, v66
	v_mul_f32_e32 v2, v50, v2
	v_and_b32_e32 v3, 0x7f800000, v2
	v_cmp_ne_u32_e64 s[0:1], s24, v3
                                        ; implicit-def: $vgpr66
	s_and_saveexec_b64 s[14:15], s[0:1]
	s_xor_b64 s[0:1], exec, s[14:15]
; %bb.164:                              ;   in Loop: Header=BB133_48 Depth=1
	v_bfe_u32 v3, v2, 16, 1
	v_add3_u32 v66, v2, v3, s25
                                        ; implicit-def: $vgpr2
; %bb.165:                              ;   in Loop: Header=BB133_48 Depth=1
	s_andn2_saveexec_b64 s[14:15], s[0:1]
; %bb.166:                              ;   in Loop: Header=BB133_48 Depth=1
	v_or_b32_e32 v3, 0x10000, v2
	v_cmp_eq_u32_sdwa s[0:1], v2, v17 src0_sel:WORD_0 src1_sel:DWORD
	s_nop 1
	v_cndmask_b32_e64 v66, v3, v2, s[0:1]
; %bb.167:                              ;   in Loop: Header=BB133_48 Depth=1
	s_or_b64 exec, exec, s[14:15]
	v_lshlrev_b32_e32 v2, 16, v4
	v_mul_f32_e32 v2, v51, v2
	v_and_b32_e32 v3, 0x7f800000, v2
	v_cmp_ne_u32_e64 s[0:1], s24, v3
                                        ; implicit-def: $vgpr67
	s_and_saveexec_b64 s[14:15], s[0:1]
	s_xor_b64 s[0:1], exec, s[14:15]
; %bb.168:                              ;   in Loop: Header=BB133_48 Depth=1
	v_bfe_u32 v3, v2, 16, 1
	v_add3_u32 v67, v2, v3, s25
                                        ; implicit-def: $vgpr2
; %bb.169:                              ;   in Loop: Header=BB133_48 Depth=1
	s_andn2_saveexec_b64 s[14:15], s[0:1]
; %bb.170:                              ;   in Loop: Header=BB133_48 Depth=1
	v_or_b32_e32 v3, 0x10000, v2
	v_cmp_eq_u32_sdwa s[0:1], v2, v17 src0_sel:WORD_0 src1_sel:DWORD
	s_nop 1
	v_cndmask_b32_e64 v67, v3, v2, s[0:1]
; %bb.171:                              ;   in Loop: Header=BB133_48 Depth=1
	s_or_b64 exec, exec, s[14:15]
	v_lshlrev_b32_e32 v2, 16, v23
	v_mul_f32_e32 v2, v52, v2
	v_and_b32_e32 v3, 0x7f800000, v2
	v_cmp_ne_u32_e64 s[0:1], s24, v3
                                        ; implicit-def: $vgpr68
	s_and_saveexec_b64 s[14:15], s[0:1]
	s_xor_b64 s[0:1], exec, s[14:15]
; %bb.172:                              ;   in Loop: Header=BB133_48 Depth=1
	v_bfe_u32 v3, v2, 16, 1
	v_add3_u32 v68, v2, v3, s25
                                        ; implicit-def: $vgpr2
; %bb.173:                              ;   in Loop: Header=BB133_48 Depth=1
	s_andn2_saveexec_b64 s[14:15], s[0:1]
; %bb.174:                              ;   in Loop: Header=BB133_48 Depth=1
	v_or_b32_e32 v3, 0x10000, v2
	v_cmp_eq_u32_sdwa s[0:1], v2, v17 src0_sel:WORD_0 src1_sel:DWORD
	s_nop 1
	v_cndmask_b32_e64 v68, v3, v2, s[0:1]
; %bb.175:                              ;   in Loop: Header=BB133_48 Depth=1
	s_or_b64 exec, exec, s[14:15]
	v_lshlrev_b32_e32 v2, 16, v5
	v_mul_f32_e32 v2, v53, v2
	v_and_b32_e32 v3, 0x7f800000, v2
	v_cmp_ne_u32_e64 s[0:1], s24, v3
                                        ; implicit-def: $vgpr69
	s_and_saveexec_b64 s[14:15], s[0:1]
	s_xor_b64 s[0:1], exec, s[14:15]
; %bb.176:                              ;   in Loop: Header=BB133_48 Depth=1
	v_bfe_u32 v3, v2, 16, 1
	v_add3_u32 v69, v2, v3, s25
                                        ; implicit-def: $vgpr2
; %bb.177:                              ;   in Loop: Header=BB133_48 Depth=1
	s_andn2_saveexec_b64 s[14:15], s[0:1]
; %bb.178:                              ;   in Loop: Header=BB133_48 Depth=1
	v_or_b32_e32 v3, 0x10000, v2
	v_cmp_eq_u32_sdwa s[0:1], v2, v17 src0_sel:WORD_0 src1_sel:DWORD
	s_nop 1
	v_cndmask_b32_e64 v69, v3, v2, s[0:1]
; %bb.179:                              ;   in Loop: Header=BB133_48 Depth=1
	s_or_b64 exec, exec, s[14:15]
	v_lshlrev_b32_e32 v2, 16, v21
	v_mul_f32_e32 v2, v54, v2
	v_and_b32_e32 v3, 0x7f800000, v2
	v_cmp_ne_u32_e64 s[0:1], s24, v3
                                        ; implicit-def: $vgpr70
	s_and_saveexec_b64 s[14:15], s[0:1]
	s_xor_b64 s[0:1], exec, s[14:15]
; %bb.180:                              ;   in Loop: Header=BB133_48 Depth=1
	v_bfe_u32 v3, v2, 16, 1
	v_add3_u32 v70, v2, v3, s25
                                        ; implicit-def: $vgpr2
; %bb.181:                              ;   in Loop: Header=BB133_48 Depth=1
	s_andn2_saveexec_b64 s[14:15], s[0:1]
; %bb.182:                              ;   in Loop: Header=BB133_48 Depth=1
	v_or_b32_e32 v3, 0x10000, v2
	v_cmp_eq_u32_sdwa s[0:1], v2, v17 src0_sel:WORD_0 src1_sel:DWORD
	s_nop 1
	v_cndmask_b32_e64 v70, v3, v2, s[0:1]
; %bb.183:                              ;   in Loop: Header=BB133_48 Depth=1
	s_or_b64 exec, exec, s[14:15]
	global_load_dwordx4 v[2:5], v[8:9], off offset:3072
	s_waitcnt vmcnt(0)
	v_lshrrev_b32_e32 v9, 16, v2
	v_lshrrev_b32_e32 v72, 16, v3
	;; [unrolled: 1-line block ×4, first 2 shown]
	s_and_saveexec_b64 s[14:15], vcc
	s_cbranch_execz .LBB133_185
; %bb.184:                              ;   in Loop: Header=BB133_48 Depth=1
	v_cmp_gt_i32_e64 s[0:1], s33, v39
	s_nop 1
	v_cndmask_b32_e64 v2, 0, v2, s[0:1]
	v_cmp_gt_i32_e64 s[0:1], s33, v46
	s_nop 1
	v_cndmask_b32_e64 v9, 0, v9, s[0:1]
	;; [unrolled: 3-line block ×8, first 2 shown]
.LBB133_185:                            ;   in Loop: Header=BB133_48 Depth=1
	s_or_b64 exec, exec, s[14:15]
	v_lshlrev_b32_e32 v2, 16, v2
	v_mul_f32_e32 v2, v47, v2
	v_and_b32_e32 v8, 0x7f800000, v2
	v_cmp_ne_u32_e64 s[0:1], s24, v8
                                        ; implicit-def: $vgpr8
	s_and_saveexec_b64 s[14:15], s[0:1]
	s_xor_b64 s[0:1], exec, s[14:15]
; %bb.186:                              ;   in Loop: Header=BB133_48 Depth=1
	v_bfe_u32 v8, v2, 16, 1
	v_add3_u32 v8, v2, v8, s25
                                        ; implicit-def: $vgpr2
; %bb.187:                              ;   in Loop: Header=BB133_48 Depth=1
	s_andn2_saveexec_b64 s[14:15], s[0:1]
; %bb.188:                              ;   in Loop: Header=BB133_48 Depth=1
	v_or_b32_e32 v8, 0x10000, v2
	v_cmp_eq_u32_sdwa s[0:1], v2, v17 src0_sel:WORD_0 src1_sel:DWORD
	s_nop 1
	v_cndmask_b32_e64 v8, v8, v2, s[0:1]
; %bb.189:                              ;   in Loop: Header=BB133_48 Depth=1
	s_or_b64 exec, exec, s[14:15]
	v_lshlrev_b32_e32 v2, 16, v9
	v_mul_f32_e32 v2, v48, v2
	v_and_b32_e32 v9, 0x7f800000, v2
	v_cmp_ne_u32_e64 s[0:1], s24, v9
                                        ; implicit-def: $vgpr9
	s_and_saveexec_b64 s[14:15], s[0:1]
	s_xor_b64 s[0:1], exec, s[14:15]
; %bb.190:                              ;   in Loop: Header=BB133_48 Depth=1
	v_bfe_u32 v9, v2, 16, 1
	v_add3_u32 v9, v2, v9, s25
                                        ; implicit-def: $vgpr2
; %bb.191:                              ;   in Loop: Header=BB133_48 Depth=1
	s_andn2_saveexec_b64 s[14:15], s[0:1]
; %bb.192:                              ;   in Loop: Header=BB133_48 Depth=1
	v_or_b32_e32 v9, 0x10000, v2
	v_cmp_eq_u32_sdwa s[0:1], v2, v17 src0_sel:WORD_0 src1_sel:DWORD
	s_nop 1
	v_cndmask_b32_e64 v9, v9, v2, s[0:1]
; %bb.193:                              ;   in Loop: Header=BB133_48 Depth=1
	s_or_b64 exec, exec, s[14:15]
	v_lshlrev_b32_e32 v2, 16, v3
	v_mul_f32_e32 v2, v49, v2
	v_and_b32_e32 v3, 0x7f800000, v2
	v_cmp_ne_u32_e64 s[0:1], s24, v3
                                        ; implicit-def: $vgpr71
	s_and_saveexec_b64 s[14:15], s[0:1]
	s_xor_b64 s[0:1], exec, s[14:15]
; %bb.194:                              ;   in Loop: Header=BB133_48 Depth=1
	v_bfe_u32 v3, v2, 16, 1
	v_add3_u32 v71, v2, v3, s25
                                        ; implicit-def: $vgpr2
; %bb.195:                              ;   in Loop: Header=BB133_48 Depth=1
	s_andn2_saveexec_b64 s[14:15], s[0:1]
; %bb.196:                              ;   in Loop: Header=BB133_48 Depth=1
	v_or_b32_e32 v3, 0x10000, v2
	v_cmp_eq_u32_sdwa s[0:1], v2, v17 src0_sel:WORD_0 src1_sel:DWORD
	s_nop 1
	v_cndmask_b32_e64 v71, v3, v2, s[0:1]
; %bb.197:                              ;   in Loop: Header=BB133_48 Depth=1
	s_or_b64 exec, exec, s[14:15]
	v_lshlrev_b32_e32 v2, 16, v72
	v_mul_f32_e32 v2, v50, v2
	v_and_b32_e32 v3, 0x7f800000, v2
	v_cmp_ne_u32_e64 s[0:1], s24, v3
                                        ; implicit-def: $vgpr72
	s_and_saveexec_b64 s[14:15], s[0:1]
	s_xor_b64 s[0:1], exec, s[14:15]
; %bb.198:                              ;   in Loop: Header=BB133_48 Depth=1
	v_bfe_u32 v3, v2, 16, 1
	v_add3_u32 v72, v2, v3, s25
                                        ; implicit-def: $vgpr2
; %bb.199:                              ;   in Loop: Header=BB133_48 Depth=1
	s_andn2_saveexec_b64 s[14:15], s[0:1]
; %bb.200:                              ;   in Loop: Header=BB133_48 Depth=1
	v_or_b32_e32 v3, 0x10000, v2
	v_cmp_eq_u32_sdwa s[0:1], v2, v17 src0_sel:WORD_0 src1_sel:DWORD
	s_nop 1
	v_cndmask_b32_e64 v72, v3, v2, s[0:1]
; %bb.201:                              ;   in Loop: Header=BB133_48 Depth=1
	s_or_b64 exec, exec, s[14:15]
	v_lshlrev_b32_e32 v2, 16, v4
	v_mul_f32_e32 v2, v51, v2
	v_and_b32_e32 v3, 0x7f800000, v2
	v_cmp_ne_u32_e64 s[0:1], s24, v3
                                        ; implicit-def: $vgpr73
	s_and_saveexec_b64 s[14:15], s[0:1]
	s_xor_b64 s[0:1], exec, s[14:15]
; %bb.202:                              ;   in Loop: Header=BB133_48 Depth=1
	v_bfe_u32 v3, v2, 16, 1
	v_add3_u32 v73, v2, v3, s25
                                        ; implicit-def: $vgpr2
; %bb.203:                              ;   in Loop: Header=BB133_48 Depth=1
	s_andn2_saveexec_b64 s[14:15], s[0:1]
; %bb.204:                              ;   in Loop: Header=BB133_48 Depth=1
	v_or_b32_e32 v3, 0x10000, v2
	v_cmp_eq_u32_sdwa s[0:1], v2, v17 src0_sel:WORD_0 src1_sel:DWORD
	s_nop 1
	v_cndmask_b32_e64 v73, v3, v2, s[0:1]
; %bb.205:                              ;   in Loop: Header=BB133_48 Depth=1
	s_or_b64 exec, exec, s[14:15]
	v_lshlrev_b32_e32 v2, 16, v23
	v_mul_f32_e32 v2, v52, v2
	v_and_b32_e32 v3, 0x7f800000, v2
	v_cmp_ne_u32_e64 s[0:1], s24, v3
                                        ; implicit-def: $vgpr74
	s_and_saveexec_b64 s[14:15], s[0:1]
	s_xor_b64 s[0:1], exec, s[14:15]
; %bb.206:                              ;   in Loop: Header=BB133_48 Depth=1
	v_bfe_u32 v3, v2, 16, 1
	v_add3_u32 v74, v2, v3, s25
                                        ; implicit-def: $vgpr2
; %bb.207:                              ;   in Loop: Header=BB133_48 Depth=1
	s_andn2_saveexec_b64 s[14:15], s[0:1]
; %bb.208:                              ;   in Loop: Header=BB133_48 Depth=1
	v_or_b32_e32 v3, 0x10000, v2
	v_cmp_eq_u32_sdwa s[0:1], v2, v17 src0_sel:WORD_0 src1_sel:DWORD
	s_nop 1
	v_cndmask_b32_e64 v74, v3, v2, s[0:1]
; %bb.209:                              ;   in Loop: Header=BB133_48 Depth=1
	s_or_b64 exec, exec, s[14:15]
	v_lshlrev_b32_e32 v2, 16, v5
	v_mul_f32_e32 v2, v53, v2
	v_and_b32_e32 v3, 0x7f800000, v2
	v_cmp_ne_u32_e64 s[0:1], s24, v3
                                        ; implicit-def: $vgpr75
	s_and_saveexec_b64 s[14:15], s[0:1]
	s_xor_b64 s[0:1], exec, s[14:15]
; %bb.210:                              ;   in Loop: Header=BB133_48 Depth=1
	v_bfe_u32 v3, v2, 16, 1
	v_add3_u32 v75, v2, v3, s25
                                        ; implicit-def: $vgpr2
; %bb.211:                              ;   in Loop: Header=BB133_48 Depth=1
	s_andn2_saveexec_b64 s[14:15], s[0:1]
; %bb.212:                              ;   in Loop: Header=BB133_48 Depth=1
	v_or_b32_e32 v3, 0x10000, v2
	v_cmp_eq_u32_sdwa s[0:1], v2, v17 src0_sel:WORD_0 src1_sel:DWORD
	s_nop 1
	v_cndmask_b32_e64 v75, v3, v2, s[0:1]
; %bb.213:                              ;   in Loop: Header=BB133_48 Depth=1
	s_or_b64 exec, exec, s[14:15]
	v_lshlrev_b32_e32 v2, 16, v21
	v_mul_f32_e32 v2, v54, v2
	v_and_b32_e32 v3, 0x7f800000, v2
	v_cmp_ne_u32_e64 s[0:1], s24, v3
                                        ; implicit-def: $vgpr76
	s_and_saveexec_b64 s[14:15], s[0:1]
	s_xor_b64 s[0:1], exec, s[14:15]
; %bb.214:                              ;   in Loop: Header=BB133_48 Depth=1
	v_bfe_u32 v3, v2, 16, 1
	v_add3_u32 v76, v2, v3, s25
                                        ; implicit-def: $vgpr2
; %bb.215:                              ;   in Loop: Header=BB133_48 Depth=1
	s_andn2_saveexec_b64 s[14:15], s[0:1]
; %bb.216:                              ;   in Loop: Header=BB133_48 Depth=1
	v_or_b32_e32 v3, 0x10000, v2
	v_cmp_eq_u32_sdwa s[0:1], v2, v17 src0_sel:WORD_0 src1_sel:DWORD
	s_nop 1
	v_cndmask_b32_e64 v76, v3, v2, s[0:1]
; %bb.217:                              ;   in Loop: Header=BB133_48 Depth=1
	s_or_b64 exec, exec, s[14:15]
	v_mov_b32_e32 v21, v17
	v_lshl_add_u64 v[2:3], v[6:7], 0, v[20:21]
	global_load_dwordx4 v[2:5], v[2:3], off
	s_waitcnt vmcnt(0)
	v_lshrrev_b32_e32 v77, 16, v2
	v_lshrrev_b32_e32 v79, 16, v3
	v_lshrrev_b32_e32 v81, 16, v4
	v_lshrrev_b32_e32 v23, 16, v5
	s_and_saveexec_b64 s[14:15], vcc
	s_cbranch_execz .LBB133_219
; %bb.218:                              ;   in Loop: Header=BB133_48 Depth=1
	v_cmp_gt_i32_e64 s[0:1], s33, v39
	s_nop 1
	v_cndmask_b32_e64 v2, 0, v2, s[0:1]
	v_cmp_gt_i32_e64 s[0:1], s33, v46
	s_nop 1
	v_cndmask_b32_e64 v77, 0, v77, s[0:1]
	v_cmp_gt_i32_e64 s[0:1], s33, v45
	s_nop 1
	v_cndmask_b32_e64 v3, 0, v3, s[0:1]
	v_cmp_gt_i32_e64 s[0:1], s33, v43
	s_nop 1
	v_cndmask_b32_e64 v79, 0, v79, s[0:1]
	v_cmp_gt_i32_e64 s[0:1], s33, v42
	s_nop 1
	v_cndmask_b32_e64 v4, 0, v4, s[0:1]
	v_cmp_gt_i32_e64 s[0:1], s33, v41
	s_nop 1
	v_cndmask_b32_e64 v81, 0, v81, s[0:1]
	v_cmp_gt_i32_e64 s[0:1], s33, v40
	s_nop 1
	v_cndmask_b32_e64 v5, 0, v5, s[0:1]
	v_cmp_gt_i32_e64 s[0:1], s33, v44
	s_nop 1
	v_cndmask_b32_e64 v23, 0, v23, s[0:1]
.LBB133_219:                            ;   in Loop: Header=BB133_48 Depth=1
	s_or_b64 exec, exec, s[14:15]
	v_lshlrev_b32_e32 v2, 16, v2
	v_mul_f32_e32 v2, v47, v2
	v_and_b32_e32 v21, 0x7f800000, v2
	v_cmp_ne_u32_e64 s[0:1], s24, v21
                                        ; implicit-def: $vgpr21
	s_and_saveexec_b64 s[14:15], s[0:1]
	s_xor_b64 s[0:1], exec, s[14:15]
; %bb.220:                              ;   in Loop: Header=BB133_48 Depth=1
	v_bfe_u32 v21, v2, 16, 1
	v_add3_u32 v21, v2, v21, s25
                                        ; implicit-def: $vgpr2
; %bb.221:                              ;   in Loop: Header=BB133_48 Depth=1
	s_andn2_saveexec_b64 s[14:15], s[0:1]
; %bb.222:                              ;   in Loop: Header=BB133_48 Depth=1
	v_or_b32_e32 v21, 0x10000, v2
	v_cmp_eq_u32_sdwa s[0:1], v2, v17 src0_sel:WORD_0 src1_sel:DWORD
	s_nop 1
	v_cndmask_b32_e64 v21, v21, v2, s[0:1]
; %bb.223:                              ;   in Loop: Header=BB133_48 Depth=1
	s_or_b64 exec, exec, s[14:15]
	v_lshlrev_b32_e32 v2, 16, v77
	v_mul_f32_e32 v2, v48, v2
	v_and_b32_e32 v77, 0x7f800000, v2
	v_cmp_ne_u32_e64 s[0:1], s24, v77
                                        ; implicit-def: $vgpr77
	s_and_saveexec_b64 s[14:15], s[0:1]
	s_xor_b64 s[0:1], exec, s[14:15]
; %bb.224:                              ;   in Loop: Header=BB133_48 Depth=1
	v_bfe_u32 v77, v2, 16, 1
	v_add3_u32 v77, v2, v77, s25
                                        ; implicit-def: $vgpr2
; %bb.225:                              ;   in Loop: Header=BB133_48 Depth=1
	s_andn2_saveexec_b64 s[14:15], s[0:1]
; %bb.226:                              ;   in Loop: Header=BB133_48 Depth=1
	v_or_b32_e32 v77, 0x10000, v2
	v_cmp_eq_u32_sdwa s[0:1], v2, v17 src0_sel:WORD_0 src1_sel:DWORD
	s_nop 1
	v_cndmask_b32_e64 v77, v77, v2, s[0:1]
; %bb.227:                              ;   in Loop: Header=BB133_48 Depth=1
	s_or_b64 exec, exec, s[14:15]
	v_lshlrev_b32_e32 v2, 16, v3
	v_mul_f32_e32 v2, v49, v2
	v_and_b32_e32 v3, 0x7f800000, v2
	v_cmp_ne_u32_e64 s[0:1], s24, v3
                                        ; implicit-def: $vgpr78
	s_and_saveexec_b64 s[14:15], s[0:1]
	s_xor_b64 s[0:1], exec, s[14:15]
; %bb.228:                              ;   in Loop: Header=BB133_48 Depth=1
	v_bfe_u32 v3, v2, 16, 1
	v_add3_u32 v78, v2, v3, s25
                                        ; implicit-def: $vgpr2
; %bb.229:                              ;   in Loop: Header=BB133_48 Depth=1
	s_andn2_saveexec_b64 s[14:15], s[0:1]
; %bb.230:                              ;   in Loop: Header=BB133_48 Depth=1
	v_or_b32_e32 v3, 0x10000, v2
	v_cmp_eq_u32_sdwa s[0:1], v2, v17 src0_sel:WORD_0 src1_sel:DWORD
	s_nop 1
	v_cndmask_b32_e64 v78, v3, v2, s[0:1]
; %bb.231:                              ;   in Loop: Header=BB133_48 Depth=1
	s_or_b64 exec, exec, s[14:15]
	v_lshlrev_b32_e32 v2, 16, v79
	v_mul_f32_e32 v2, v50, v2
	v_and_b32_e32 v3, 0x7f800000, v2
	v_cmp_ne_u32_e64 s[0:1], s24, v3
                                        ; implicit-def: $vgpr79
	s_and_saveexec_b64 s[14:15], s[0:1]
	s_xor_b64 s[0:1], exec, s[14:15]
; %bb.232:                              ;   in Loop: Header=BB133_48 Depth=1
	v_bfe_u32 v3, v2, 16, 1
	v_add3_u32 v79, v2, v3, s25
                                        ; implicit-def: $vgpr2
; %bb.233:                              ;   in Loop: Header=BB133_48 Depth=1
	s_andn2_saveexec_b64 s[14:15], s[0:1]
; %bb.234:                              ;   in Loop: Header=BB133_48 Depth=1
	v_or_b32_e32 v3, 0x10000, v2
	v_cmp_eq_u32_sdwa s[0:1], v2, v17 src0_sel:WORD_0 src1_sel:DWORD
	s_nop 1
	v_cndmask_b32_e64 v79, v3, v2, s[0:1]
; %bb.235:                              ;   in Loop: Header=BB133_48 Depth=1
	s_or_b64 exec, exec, s[14:15]
	v_lshlrev_b32_e32 v2, 16, v4
	v_mul_f32_e32 v2, v51, v2
	v_and_b32_e32 v3, 0x7f800000, v2
	v_cmp_ne_u32_e64 s[0:1], s24, v3
                                        ; implicit-def: $vgpr80
	s_and_saveexec_b64 s[14:15], s[0:1]
	s_xor_b64 s[0:1], exec, s[14:15]
; %bb.236:                              ;   in Loop: Header=BB133_48 Depth=1
	v_bfe_u32 v3, v2, 16, 1
	v_add3_u32 v80, v2, v3, s25
                                        ; implicit-def: $vgpr2
; %bb.237:                              ;   in Loop: Header=BB133_48 Depth=1
	s_andn2_saveexec_b64 s[14:15], s[0:1]
; %bb.238:                              ;   in Loop: Header=BB133_48 Depth=1
	v_or_b32_e32 v3, 0x10000, v2
	v_cmp_eq_u32_sdwa s[0:1], v2, v17 src0_sel:WORD_0 src1_sel:DWORD
	s_nop 1
	v_cndmask_b32_e64 v80, v3, v2, s[0:1]
; %bb.239:                              ;   in Loop: Header=BB133_48 Depth=1
	s_or_b64 exec, exec, s[14:15]
	v_lshlrev_b32_e32 v2, 16, v81
	v_mul_f32_e32 v2, v52, v2
	v_and_b32_e32 v3, 0x7f800000, v2
	v_cmp_ne_u32_e64 s[0:1], s24, v3
                                        ; implicit-def: $vgpr81
	s_and_saveexec_b64 s[14:15], s[0:1]
	s_xor_b64 s[0:1], exec, s[14:15]
; %bb.240:                              ;   in Loop: Header=BB133_48 Depth=1
	v_bfe_u32 v3, v2, 16, 1
	v_add3_u32 v81, v2, v3, s25
                                        ; implicit-def: $vgpr2
; %bb.241:                              ;   in Loop: Header=BB133_48 Depth=1
	s_andn2_saveexec_b64 s[14:15], s[0:1]
; %bb.242:                              ;   in Loop: Header=BB133_48 Depth=1
	v_or_b32_e32 v3, 0x10000, v2
	v_cmp_eq_u32_sdwa s[0:1], v2, v17 src0_sel:WORD_0 src1_sel:DWORD
	s_nop 1
	v_cndmask_b32_e64 v81, v3, v2, s[0:1]
; %bb.243:                              ;   in Loop: Header=BB133_48 Depth=1
	s_or_b64 exec, exec, s[14:15]
	v_lshlrev_b32_e32 v2, 16, v5
	v_mul_f32_e32 v2, v53, v2
	v_and_b32_e32 v3, 0x7f800000, v2
	v_cmp_ne_u32_e64 s[0:1], s24, v3
                                        ; implicit-def: $vgpr82
	s_and_saveexec_b64 s[14:15], s[0:1]
	s_xor_b64 s[0:1], exec, s[14:15]
; %bb.244:                              ;   in Loop: Header=BB133_48 Depth=1
	v_bfe_u32 v3, v2, 16, 1
	v_add3_u32 v82, v2, v3, s25
                                        ; implicit-def: $vgpr2
; %bb.245:                              ;   in Loop: Header=BB133_48 Depth=1
	s_andn2_saveexec_b64 s[14:15], s[0:1]
; %bb.246:                              ;   in Loop: Header=BB133_48 Depth=1
	v_or_b32_e32 v3, 0x10000, v2
	v_cmp_eq_u32_sdwa s[0:1], v2, v17 src0_sel:WORD_0 src1_sel:DWORD
	s_nop 1
	v_cndmask_b32_e64 v82, v3, v2, s[0:1]
; %bb.247:                              ;   in Loop: Header=BB133_48 Depth=1
	s_or_b64 exec, exec, s[14:15]
	v_lshlrev_b32_e32 v2, 16, v23
	v_mul_f32_e32 v2, v54, v2
	v_and_b32_e32 v3, 0x7f800000, v2
	v_cmp_ne_u32_e64 s[0:1], s24, v3
                                        ; implicit-def: $vgpr83
	s_and_saveexec_b64 s[14:15], s[0:1]
	s_xor_b64 s[0:1], exec, s[14:15]
; %bb.248:                              ;   in Loop: Header=BB133_48 Depth=1
	v_bfe_u32 v3, v2, 16, 1
	v_add3_u32 v83, v2, v3, s25
                                        ; implicit-def: $vgpr2
; %bb.249:                              ;   in Loop: Header=BB133_48 Depth=1
	s_andn2_saveexec_b64 s[14:15], s[0:1]
; %bb.250:                              ;   in Loop: Header=BB133_48 Depth=1
	v_or_b32_e32 v3, 0x10000, v2
	v_cmp_eq_u32_sdwa s[0:1], v2, v17 src0_sel:WORD_0 src1_sel:DWORD
	s_nop 1
	v_cndmask_b32_e64 v83, v3, v2, s[0:1]
; %bb.251:                              ;   in Loop: Header=BB133_48 Depth=1
	s_or_b64 exec, exec, s[14:15]
	v_mov_b32_e32 v23, v17
	v_lshl_add_u64 v[2:3], v[6:7], 0, v[22:23]
	global_load_dwordx4 v[2:5], v[2:3], off
	s_waitcnt vmcnt(0)
	v_lshrrev_b32_e32 v6, 16, v2
	v_lshrrev_b32_e32 v23, 16, v3
	v_lshrrev_b32_e32 v84, 16, v4
	v_lshrrev_b32_e32 v7, 16, v5
	s_and_saveexec_b64 s[0:1], vcc
	s_cbranch_execz .LBB133_253
; %bb.252:                              ;   in Loop: Header=BB133_48 Depth=1
	v_cmp_gt_i32_e32 vcc, s33, v39
	s_nop 1
	v_cndmask_b32_e32 v2, 0, v2, vcc
	v_cmp_gt_i32_e32 vcc, s33, v46
	s_nop 1
	v_cndmask_b32_e32 v6, 0, v6, vcc
	;; [unrolled: 3-line block ×8, first 2 shown]
.LBB133_253:                            ;   in Loop: Header=BB133_48 Depth=1
	s_or_b64 exec, exec, s[0:1]
	v_lshlrev_b32_e32 v2, 16, v2
	v_mul_f32_e32 v39, v47, v2
	v_and_b32_e32 v2, 0x7f800000, v39
	v_cmp_ne_u32_e32 vcc, s24, v2
                                        ; implicit-def: $vgpr2
	s_and_saveexec_b64 s[0:1], vcc
	s_xor_b64 s[0:1], exec, s[0:1]
; %bb.254:                              ;   in Loop: Header=BB133_48 Depth=1
	v_bfe_u32 v2, v39, 16, 1
	v_add3_u32 v2, v39, v2, s25
                                        ; implicit-def: $vgpr39
; %bb.255:                              ;   in Loop: Header=BB133_48 Depth=1
	s_andn2_saveexec_b64 s[0:1], s[0:1]
; %bb.256:                              ;   in Loop: Header=BB133_48 Depth=1
	v_or_b32_e32 v2, 0x10000, v39
	v_cmp_eq_u32_sdwa vcc, v39, v17 src0_sel:WORD_0 src1_sel:DWORD
	s_nop 1
	v_cndmask_b32_e32 v2, v2, v39, vcc
; %bb.257:                              ;   in Loop: Header=BB133_48 Depth=1
	s_or_b64 exec, exec, s[0:1]
	v_lshlrev_b32_e32 v6, 16, v6
	v_mul_f32_e32 v39, v48, v6
	v_and_b32_e32 v6, 0x7f800000, v39
	v_cmp_ne_u32_e32 vcc, s24, v6
                                        ; implicit-def: $vgpr6
	s_and_saveexec_b64 s[0:1], vcc
	s_xor_b64 s[0:1], exec, s[0:1]
; %bb.258:                              ;   in Loop: Header=BB133_48 Depth=1
	v_bfe_u32 v6, v39, 16, 1
	v_add3_u32 v6, v39, v6, s25
                                        ; implicit-def: $vgpr39
; %bb.259:                              ;   in Loop: Header=BB133_48 Depth=1
	s_andn2_saveexec_b64 s[0:1], s[0:1]
; %bb.260:                              ;   in Loop: Header=BB133_48 Depth=1
	v_or_b32_e32 v6, 0x10000, v39
	v_cmp_eq_u32_sdwa vcc, v39, v17 src0_sel:WORD_0 src1_sel:DWORD
	s_nop 1
	v_cndmask_b32_e32 v6, v6, v39, vcc
; %bb.261:                              ;   in Loop: Header=BB133_48 Depth=1
	s_or_b64 exec, exec, s[0:1]
	v_lshlrev_b32_e32 v3, 16, v3
	v_mul_f32_e32 v39, v49, v3
	v_and_b32_e32 v3, 0x7f800000, v39
	v_cmp_ne_u32_e32 vcc, s24, v3
                                        ; implicit-def: $vgpr3
	s_and_saveexec_b64 s[0:1], vcc
	s_xor_b64 s[0:1], exec, s[0:1]
; %bb.262:                              ;   in Loop: Header=BB133_48 Depth=1
	v_bfe_u32 v3, v39, 16, 1
	v_add3_u32 v3, v39, v3, s25
                                        ; implicit-def: $vgpr39
; %bb.263:                              ;   in Loop: Header=BB133_48 Depth=1
	s_andn2_saveexec_b64 s[0:1], s[0:1]
; %bb.264:                              ;   in Loop: Header=BB133_48 Depth=1
	v_or_b32_e32 v3, 0x10000, v39
	v_cmp_eq_u32_sdwa vcc, v39, v17 src0_sel:WORD_0 src1_sel:DWORD
	s_nop 1
	v_cndmask_b32_e32 v3, v3, v39, vcc
; %bb.265:                              ;   in Loop: Header=BB133_48 Depth=1
	s_or_b64 exec, exec, s[0:1]
	v_lshlrev_b32_e32 v23, 16, v23
	v_mul_f32_e32 v39, v50, v23
	v_and_b32_e32 v23, 0x7f800000, v39
	v_cmp_ne_u32_e32 vcc, s24, v23
                                        ; implicit-def: $vgpr23
	s_and_saveexec_b64 s[0:1], vcc
	s_xor_b64 s[0:1], exec, s[0:1]
; %bb.266:                              ;   in Loop: Header=BB133_48 Depth=1
	v_bfe_u32 v23, v39, 16, 1
	v_add3_u32 v23, v39, v23, s25
                                        ; implicit-def: $vgpr39
; %bb.267:                              ;   in Loop: Header=BB133_48 Depth=1
	s_andn2_saveexec_b64 s[0:1], s[0:1]
; %bb.268:                              ;   in Loop: Header=BB133_48 Depth=1
	v_or_b32_e32 v23, 0x10000, v39
	v_cmp_eq_u32_sdwa vcc, v39, v17 src0_sel:WORD_0 src1_sel:DWORD
	s_nop 1
	v_cndmask_b32_e32 v23, v23, v39, vcc
; %bb.269:                              ;   in Loop: Header=BB133_48 Depth=1
	s_or_b64 exec, exec, s[0:1]
	v_lshlrev_b32_e32 v4, 16, v4
	v_mul_f32_e32 v39, v51, v4
	v_and_b32_e32 v4, 0x7f800000, v39
	v_cmp_ne_u32_e32 vcc, s24, v4
                                        ; implicit-def: $vgpr4
	s_and_saveexec_b64 s[0:1], vcc
	s_xor_b64 s[0:1], exec, s[0:1]
; %bb.270:                              ;   in Loop: Header=BB133_48 Depth=1
	v_bfe_u32 v4, v39, 16, 1
	v_add3_u32 v4, v39, v4, s25
                                        ; implicit-def: $vgpr39
; %bb.271:                              ;   in Loop: Header=BB133_48 Depth=1
	s_andn2_saveexec_b64 s[0:1], s[0:1]
; %bb.272:                              ;   in Loop: Header=BB133_48 Depth=1
	v_or_b32_e32 v4, 0x10000, v39
	v_cmp_eq_u32_sdwa vcc, v39, v17 src0_sel:WORD_0 src1_sel:DWORD
	s_nop 1
	v_cndmask_b32_e32 v4, v4, v39, vcc
; %bb.273:                              ;   in Loop: Header=BB133_48 Depth=1
	s_or_b64 exec, exec, s[0:1]
	v_lshlrev_b32_e32 v39, 16, v84
	v_mul_f32_e32 v40, v52, v39
	v_and_b32_e32 v39, 0x7f800000, v40
	v_cmp_ne_u32_e32 vcc, s24, v39
                                        ; implicit-def: $vgpr39
	s_and_saveexec_b64 s[0:1], vcc
	s_xor_b64 s[0:1], exec, s[0:1]
; %bb.274:                              ;   in Loop: Header=BB133_48 Depth=1
	v_bfe_u32 v39, v40, 16, 1
	v_add3_u32 v39, v40, v39, s25
                                        ; implicit-def: $vgpr40
; %bb.275:                              ;   in Loop: Header=BB133_48 Depth=1
	s_andn2_saveexec_b64 s[0:1], s[0:1]
; %bb.276:                              ;   in Loop: Header=BB133_48 Depth=1
	v_or_b32_e32 v39, 0x10000, v40
	v_cmp_eq_u32_sdwa vcc, v40, v17 src0_sel:WORD_0 src1_sel:DWORD
	s_nop 1
	v_cndmask_b32_e32 v39, v39, v40, vcc
; %bb.277:                              ;   in Loop: Header=BB133_48 Depth=1
	s_or_b64 exec, exec, s[0:1]
	v_lshlrev_b32_e32 v5, 16, v5
	v_mul_f32_e32 v40, v53, v5
	v_and_b32_e32 v5, 0x7f800000, v40
	v_cmp_ne_u32_e32 vcc, s24, v5
                                        ; implicit-def: $vgpr5
	s_and_saveexec_b64 s[0:1], vcc
	s_xor_b64 s[0:1], exec, s[0:1]
; %bb.278:                              ;   in Loop: Header=BB133_48 Depth=1
	v_bfe_u32 v5, v40, 16, 1
	v_add3_u32 v5, v40, v5, s25
                                        ; implicit-def: $vgpr40
; %bb.279:                              ;   in Loop: Header=BB133_48 Depth=1
	s_andn2_saveexec_b64 s[0:1], s[0:1]
; %bb.280:                              ;   in Loop: Header=BB133_48 Depth=1
	v_or_b32_e32 v5, 0x10000, v40
	v_cmp_eq_u32_sdwa vcc, v40, v17 src0_sel:WORD_0 src1_sel:DWORD
	s_nop 1
	v_cndmask_b32_e32 v5, v5, v40, vcc
; %bb.281:                              ;   in Loop: Header=BB133_48 Depth=1
	s_or_b64 exec, exec, s[0:1]
	v_lshlrev_b32_e32 v7, 16, v7
	v_mul_f32_e32 v40, v54, v7
	v_and_b32_e32 v7, 0x7f800000, v40
	v_cmp_ne_u32_e32 vcc, s24, v7
                                        ; implicit-def: $vgpr7
	s_and_saveexec_b64 s[0:1], vcc
	s_xor_b64 s[0:1], exec, s[0:1]
; %bb.282:                              ;   in Loop: Header=BB133_48 Depth=1
	v_bfe_u32 v7, v40, 16, 1
	v_add3_u32 v7, v40, v7, s25
                                        ; implicit-def: $vgpr40
; %bb.283:                              ;   in Loop: Header=BB133_48 Depth=1
	s_andn2_saveexec_b64 s[0:1], s[0:1]
	s_cbranch_execz .LBB133_46
; %bb.284:                              ;   in Loop: Header=BB133_48 Depth=1
	v_or_b32_e32 v7, 0x10000, v40
	v_cmp_eq_u32_sdwa vcc, v40, v17 src0_sel:WORD_0 src1_sel:DWORD
	s_nop 1
	v_cndmask_b32_e32 v7, v7, v40, vcc
	s_branch .LBB133_46
.LBB133_285:
	s_or_b64 exec, exec, s[8:9]
.LBB133_286:
	s_or_b64 exec, exec, s[2:3]
	ds_bpermute_b32 v2, v25, v14
	ds_bpermute_b32 v3, v25, v15
	;; [unrolled: 1-line block ×6, first 2 shown]
	v_and_b32_e32 v1, 0x3c1, v0
	s_waitcnt lgkmcnt(4)
	v_pk_add_f32 v[6:7], v[14:15], v[2:3]
	s_waitcnt lgkmcnt(2)
	v_pk_add_f32 v[2:3], v[12:13], v[4:5]
	v_cmp_eq_u32_e32 vcc, 64, v1
	s_waitcnt lgkmcnt(0)
	v_pk_add_f32 v[4:5], v[10:11], v[8:9]
	s_barrier
	s_and_saveexec_b64 s[0:1], vcc
	s_cbranch_execz .LBB133_288
; %bb.287:
	v_mov_b32_e32 v1, 0x190
	v_lshl_add_u32 v1, v24, 1, v1
	ds_write2_b32 v1, v6, v7 offset1:32
	ds_write2_b32 v1, v2, v3 offset0:64 offset1:96
	ds_write2_b32 v1, v4, v5 offset0:128 offset1:160
.LBB133_288:
	s_or_b64 exec, exec, s[0:1]
	v_cmp_gt_u32_e32 vcc, 64, v0
	s_waitcnt lgkmcnt(0)
	s_barrier
	s_and_saveexec_b64 s[2:3], vcc
	s_cbranch_execz .LBB133_297
; %bb.289:
	v_cmp_eq_u32_e64 s[0:1], 0, v26
	v_lshrrev_b32_e32 v1, 1, v0
	s_and_saveexec_b64 s[6:7], s[0:1]
	s_cbranch_execnz .LBB133_325
; %bb.290:
	s_or_b64 exec, exec, s[6:7]
	s_and_saveexec_b64 s[6:7], s[0:1]
	s_cbranch_execnz .LBB133_326
.LBB133_291:
	s_or_b64 exec, exec, s[6:7]
	s_and_saveexec_b64 s[6:7], s[0:1]
	s_cbranch_execnz .LBB133_327
.LBB133_292:
	s_or_b64 exec, exec, s[6:7]
	s_and_saveexec_b64 s[6:7], s[0:1]
	s_cbranch_execnz .LBB133_328
.LBB133_293:
	s_or_b64 exec, exec, s[6:7]
	s_and_saveexec_b64 s[6:7], s[0:1]
	s_cbranch_execnz .LBB133_329
.LBB133_294:
	s_or_b64 exec, exec, s[6:7]
	s_and_saveexec_b64 s[6:7], s[0:1]
	s_cbranch_execz .LBB133_296
.LBB133_295:
	v_mov_b32_e32 v8, 0x190
	v_lshl_add_u32 v1, v1, 2, v8
	ds_read_b32 v1, v1 offset:640
	s_waitcnt lgkmcnt(0)
	v_add_f32_e32 v5, v5, v1
.LBB133_296:
	s_or_b64 exec, exec, s[6:7]
.LBB133_297:
	s_or_b64 exec, exec, s[2:3]
	s_barrier
	s_and_saveexec_b64 s[0:1], vcc
	s_cbranch_execz .LBB133_324
; %bb.298:
	v_cmp_eq_u32_e32 vcc, 0, v26
	s_and_b64 exec, exec, vcc
	s_cbranch_execz .LBB133_324
; %bb.299:
	s_mov_b32 s0, 0x7f800000
	v_and_b32_e32 v1, 0x7f800000, v6
	v_cmp_ne_u32_e32 vcc, s0, v1
                                        ; implicit-def: $vgpr8
	s_and_saveexec_b64 s[0:1], vcc
	s_xor_b64 s[0:1], exec, s[0:1]
; %bb.300:
	v_bfe_u32 v1, v6, 16, 1
	s_movk_i32 s2, 0x7fff
	v_add3_u32 v8, v6, v1, s2
; %bb.301:
	s_andn2_saveexec_b64 s[0:1], s[0:1]
; %bb.302:
	v_mov_b32_e32 v1, 0
	v_or_b32_e32 v8, 0x10000, v6
	v_cmp_eq_u32_sdwa vcc, v6, v1 src0_sel:WORD_0 src1_sel:DWORD
	s_nop 1
	v_cndmask_b32_e32 v8, v8, v6, vcc
; %bb.303:
	s_or_b64 exec, exec, s[0:1]
	s_mul_i32 s0, s10, s11
	s_mul_i32 s0, s0, s5
	s_mulk_i32 s0, 0xc0
	s_ashr_i32 s1, s0, 31
	s_lshl_b64 s[0:1], s[0:1], 1
	s_add_u32 s2, s22, s0
	s_mul_i32 s0, s11, s20
	s_addc_u32 s3, s23, s1
	s_ashr_i32 s1, s0, 31
	s_lshl_b64 s[0:1], s[0:1], 1
	s_add_u32 s2, s2, s0
	s_mul_i32 s0, s4, 0xc0
	s_addc_u32 s3, s3, s1
	s_ashr_i32 s1, s0, 31
	s_lshl_b64 s[0:1], s[0:1], 1
	s_add_u32 s0, s2, s0
	s_mov_b32 s2, 0x7f800000
	v_and_b32_e32 v6, 0x7f800000, v7
	s_addc_u32 s1, s3, s1
	v_and_b32_e32 v0, 0x3fe, v0
	v_mov_b32_e32 v1, 0
	v_cmp_ne_u32_e32 vcc, s2, v6
	global_store_short_d16_hi v0, v8, s[0:1]
                                        ; implicit-def: $vgpr6
	s_and_saveexec_b64 s[2:3], vcc
	s_xor_b64 s[2:3], exec, s[2:3]
; %bb.304:
	v_bfe_u32 v6, v7, 16, 1
	s_movk_i32 s4, 0x7fff
	v_add3_u32 v6, v7, v6, s4
; %bb.305:
	s_or_saveexec_b64 s[2:3], s[2:3]
	v_lshl_add_u64 v[8:9], s[0:1], 0, v[0:1]
	s_xor_b64 exec, exec, s[2:3]
; %bb.306:
	v_mov_b32_e32 v0, 0
	v_or_b32_e32 v1, 0x10000, v7
	v_cmp_eq_u32_sdwa vcc, v7, v0 src0_sel:WORD_0 src1_sel:DWORD
	s_nop 1
	v_cndmask_b32_e32 v6, v1, v7, vcc
; %bb.307:
	s_or_b64 exec, exec, s[2:3]
	s_mov_b32 s0, 0x7f800000
	v_and_b32_e32 v0, 0x7f800000, v2
	v_cmp_ne_u32_e32 vcc, s0, v0
	global_store_short_d16_hi v[8:9], v6, off offset:64
                                        ; implicit-def: $vgpr0
	s_and_saveexec_b64 s[0:1], vcc
	s_xor_b64 s[0:1], exec, s[0:1]
; %bb.308:
	v_bfe_u32 v0, v2, 16, 1
	s_movk_i32 s2, 0x7fff
	v_add3_u32 v0, v2, v0, s2
; %bb.309:
	s_andn2_saveexec_b64 s[0:1], s[0:1]
; %bb.310:
	v_mov_b32_e32 v0, 0
	v_or_b32_e32 v1, 0x10000, v2
	v_cmp_eq_u32_sdwa vcc, v2, v0 src0_sel:WORD_0 src1_sel:DWORD
	s_nop 1
	v_cndmask_b32_e32 v0, v1, v2, vcc
; %bb.311:
	s_or_b64 exec, exec, s[0:1]
	global_store_short_d16_hi v[8:9], v0, off offset:128
	s_mov_b32 s0, 0x7f800000
	v_and_b32_e32 v0, 0x7f800000, v3
	v_cmp_ne_u32_e32 vcc, s0, v0
                                        ; implicit-def: $vgpr0
	s_and_saveexec_b64 s[0:1], vcc
	s_xor_b64 s[0:1], exec, s[0:1]
; %bb.312:
	v_bfe_u32 v0, v3, 16, 1
	s_movk_i32 s2, 0x7fff
	v_add3_u32 v0, v3, v0, s2
; %bb.313:
	s_andn2_saveexec_b64 s[0:1], s[0:1]
; %bb.314:
	v_mov_b32_e32 v0, 0
	v_or_b32_e32 v1, 0x10000, v3
	v_cmp_eq_u32_sdwa vcc, v3, v0 src0_sel:WORD_0 src1_sel:DWORD
	s_nop 1
	v_cndmask_b32_e32 v0, v1, v3, vcc
; %bb.315:
	s_or_b64 exec, exec, s[0:1]
	global_store_short_d16_hi v[8:9], v0, off offset:192
	s_mov_b32 s0, 0x7f800000
	v_and_b32_e32 v0, 0x7f800000, v4
	v_cmp_ne_u32_e32 vcc, s0, v0
	;; [unrolled: 21-line block ×3, first 2 shown]
                                        ; implicit-def: $vgpr6
	s_and_saveexec_b64 s[0:1], vcc
	s_xor_b64 s[0:1], exec, s[0:1]
; %bb.320:
	v_bfe_u32 v0, v5, 16, 1
	s_movk_i32 s2, 0x7fff
	v_add3_u32 v6, v5, v0, s2
                                        ; implicit-def: $vgpr0_vgpr1_vgpr2_vgpr3_vgpr4_vgpr5
; %bb.321:
	s_andn2_saveexec_b64 s[0:1], s[0:1]
; %bb.322:
	v_mov_b32_e32 v0, 0
	v_or_b32_e32 v1, 0x10000, v5
	v_cmp_eq_u32_sdwa vcc, v5, v0 src0_sel:WORD_0 src1_sel:DWORD
	s_nop 1
	v_cndmask_b32_e32 v6, v1, v5, vcc
; %bb.323:
	s_or_b64 exec, exec, s[0:1]
	global_store_short_d16_hi v[8:9], v6, off offset:320
.LBB133_324:
	s_endpgm
.LBB133_325:
	v_mov_b32_e32 v8, 0x190
	v_lshl_add_u32 v8, v1, 2, v8
	ds_read_b32 v8, v8
	s_waitcnt lgkmcnt(0)
	v_add_f32_e32 v6, v6, v8
	s_or_b64 exec, exec, s[6:7]
	s_and_saveexec_b64 s[6:7], s[0:1]
	s_cbranch_execz .LBB133_291
.LBB133_326:
	v_mov_b32_e32 v8, 0x190
	v_lshl_add_u32 v8, v1, 2, v8
	ds_read_b32 v8, v8 offset:128
	s_waitcnt lgkmcnt(0)
	v_add_f32_e32 v7, v7, v8
	s_or_b64 exec, exec, s[6:7]
	s_and_saveexec_b64 s[6:7], s[0:1]
	s_cbranch_execz .LBB133_292
.LBB133_327:
	v_mov_b32_e32 v8, 0x190
	v_lshl_add_u32 v8, v1, 2, v8
	ds_read_b32 v8, v8 offset:256
	s_waitcnt lgkmcnt(0)
	v_add_f32_e32 v2, v2, v8
	s_or_b64 exec, exec, s[6:7]
	s_and_saveexec_b64 s[6:7], s[0:1]
	s_cbranch_execz .LBB133_293
.LBB133_328:
	v_mov_b32_e32 v8, 0x190
	v_lshl_add_u32 v8, v1, 2, v8
	ds_read_b32 v8, v8 offset:384
	s_waitcnt lgkmcnt(0)
	v_add_f32_e32 v3, v3, v8
	s_or_b64 exec, exec, s[6:7]
	s_and_saveexec_b64 s[6:7], s[0:1]
	s_cbranch_execz .LBB133_294
.LBB133_329:
	v_mov_b32_e32 v8, 0x190
	v_lshl_add_u32 v8, v1, 2, v8
	ds_read_b32 v8, v8 offset:512
	s_waitcnt lgkmcnt(0)
	v_add_f32_e32 v4, v4, v8
	s_or_b64 exec, exec, s[6:7]
	s_and_saveexec_b64 s[6:7], s[0:1]
	s_cbranch_execnz .LBB133_295
	s_branch .LBB133_296
	.section	.rodata,"a",@progbits
	.p2align	6, 0x0
	.amdhsa_kernel _ZN4vllm25paged_attention_v1_kernelI14__hip_bfloat16S1_Li192ELi16ELi128ELNS_18Fp8KVCacheDataTypeE0ELb1EEEvPT_PKS3_PKT0_S9_ifPKiSB_iPKfiiiSD_SD_iiiii
		.amdhsa_group_segment_fixed_size 400
		.amdhsa_private_segment_fixed_size 0
		.amdhsa_kernarg_size 384
		.amdhsa_user_sgpr_count 2
		.amdhsa_user_sgpr_dispatch_ptr 0
		.amdhsa_user_sgpr_queue_ptr 0
		.amdhsa_user_sgpr_kernarg_segment_ptr 1
		.amdhsa_user_sgpr_dispatch_id 0
		.amdhsa_user_sgpr_kernarg_preload_length 0
		.amdhsa_user_sgpr_kernarg_preload_offset 0
		.amdhsa_user_sgpr_private_segment_size 0
		.amdhsa_uses_dynamic_stack 0
		.amdhsa_enable_private_segment 0
		.amdhsa_system_sgpr_workgroup_id_x 1
		.amdhsa_system_sgpr_workgroup_id_y 1
		.amdhsa_system_sgpr_workgroup_id_z 1
		.amdhsa_system_sgpr_workgroup_info 0
		.amdhsa_system_vgpr_workitem_id 0
		.amdhsa_next_free_vgpr 105
		.amdhsa_next_free_sgpr 45
		.amdhsa_accum_offset 108
		.amdhsa_reserve_vcc 1
		.amdhsa_float_round_mode_32 0
		.amdhsa_float_round_mode_16_64 0
		.amdhsa_float_denorm_mode_32 3
		.amdhsa_float_denorm_mode_16_64 3
		.amdhsa_dx10_clamp 1
		.amdhsa_ieee_mode 1
		.amdhsa_fp16_overflow 0
		.amdhsa_tg_split 0
		.amdhsa_exception_fp_ieee_invalid_op 0
		.amdhsa_exception_fp_denorm_src 0
		.amdhsa_exception_fp_ieee_div_zero 0
		.amdhsa_exception_fp_ieee_overflow 0
		.amdhsa_exception_fp_ieee_underflow 0
		.amdhsa_exception_fp_ieee_inexact 0
		.amdhsa_exception_int_div_zero 0
	.end_amdhsa_kernel
	.section	.text._ZN4vllm25paged_attention_v1_kernelI14__hip_bfloat16S1_Li192ELi16ELi128ELNS_18Fp8KVCacheDataTypeE0ELb1EEEvPT_PKS3_PKT0_S9_ifPKiSB_iPKfiiiSD_SD_iiiii,"axG",@progbits,_ZN4vllm25paged_attention_v1_kernelI14__hip_bfloat16S1_Li192ELi16ELi128ELNS_18Fp8KVCacheDataTypeE0ELb1EEEvPT_PKS3_PKT0_S9_ifPKiSB_iPKfiiiSD_SD_iiiii,comdat
.Lfunc_end133:
	.size	_ZN4vllm25paged_attention_v1_kernelI14__hip_bfloat16S1_Li192ELi16ELi128ELNS_18Fp8KVCacheDataTypeE0ELb1EEEvPT_PKS3_PKT0_S9_ifPKiSB_iPKfiiiSD_SD_iiiii, .Lfunc_end133-_ZN4vllm25paged_attention_v1_kernelI14__hip_bfloat16S1_Li192ELi16ELi128ELNS_18Fp8KVCacheDataTypeE0ELb1EEEvPT_PKS3_PKT0_S9_ifPKiSB_iPKfiiiSD_SD_iiiii
                                        ; -- End function
	.section	.AMDGPU.csdata,"",@progbits
; Kernel info:
; codeLenInByte = 12080
; NumSgprs: 51
; NumVgprs: 105
; NumAgprs: 0
; TotalNumVgprs: 105
; ScratchSize: 0
; MemoryBound: 0
; FloatMode: 240
; IeeeMode: 1
; LDSByteSize: 400 bytes/workgroup (compile time only)
; SGPRBlocks: 6
; VGPRBlocks: 13
; NumSGPRsForWavesPerEU: 51
; NumVGPRsForWavesPerEU: 105
; AccumOffset: 108
; Occupancy: 4
; WaveLimiterHint : 1
; COMPUTE_PGM_RSRC2:SCRATCH_EN: 0
; COMPUTE_PGM_RSRC2:USER_SGPR: 2
; COMPUTE_PGM_RSRC2:TRAP_HANDLER: 0
; COMPUTE_PGM_RSRC2:TGID_X_EN: 1
; COMPUTE_PGM_RSRC2:TGID_Y_EN: 1
; COMPUTE_PGM_RSRC2:TGID_Z_EN: 1
; COMPUTE_PGM_RSRC2:TIDIG_COMP_CNT: 0
; COMPUTE_PGM_RSRC3_GFX90A:ACCUM_OFFSET: 26
; COMPUTE_PGM_RSRC3_GFX90A:TG_SPLIT: 0
	.section	.text._ZN4vllm25paged_attention_v1_kernelI14__hip_bfloat16S1_Li256ELi16ELi128ELNS_18Fp8KVCacheDataTypeE0ELb1EEEvPT_PKS3_PKT0_S9_ifPKiSB_iPKfiiiSD_SD_iiiii,"axG",@progbits,_ZN4vllm25paged_attention_v1_kernelI14__hip_bfloat16S1_Li256ELi16ELi128ELNS_18Fp8KVCacheDataTypeE0ELb1EEEvPT_PKS3_PKT0_S9_ifPKiSB_iPKfiiiSD_SD_iiiii,comdat
	.protected	_ZN4vllm25paged_attention_v1_kernelI14__hip_bfloat16S1_Li256ELi16ELi128ELNS_18Fp8KVCacheDataTypeE0ELb1EEEvPT_PKS3_PKT0_S9_ifPKiSB_iPKfiiiSD_SD_iiiii ; -- Begin function _ZN4vllm25paged_attention_v1_kernelI14__hip_bfloat16S1_Li256ELi16ELi128ELNS_18Fp8KVCacheDataTypeE0ELb1EEEvPT_PKS3_PKT0_S9_ifPKiSB_iPKfiiiSD_SD_iiiii
	.globl	_ZN4vllm25paged_attention_v1_kernelI14__hip_bfloat16S1_Li256ELi16ELi128ELNS_18Fp8KVCacheDataTypeE0ELb1EEEvPT_PKS3_PKT0_S9_ifPKiSB_iPKfiiiSD_SD_iiiii
	.p2align	8
	.type	_ZN4vllm25paged_attention_v1_kernelI14__hip_bfloat16S1_Li256ELi16ELi128ELNS_18Fp8KVCacheDataTypeE0ELb1EEEvPT_PKS3_PKT0_S9_ifPKiSB_iPKfiiiSD_SD_iiiii,@function
_ZN4vllm25paged_attention_v1_kernelI14__hip_bfloat16S1_Li256ELi16ELi128ELNS_18Fp8KVCacheDataTypeE0ELb1EEEvPT_PKS3_PKT0_S9_ifPKiSB_iPKfiiiSD_SD_iiiii: ; @_ZN4vllm25paged_attention_v1_kernelI14__hip_bfloat16S1_Li256ELi16ELi128ELNS_18Fp8KVCacheDataTypeE0ELb1EEEvPT_PKS3_PKT0_S9_ifPKiSB_iPKfiiiSD_SD_iiiii
; %bb.0:
	s_load_dword s5, s[0:1], 0x80
	s_load_dwordx2 s[6:7], s[0:1], 0x30
	s_load_dwordx2 s[30:31], s[0:1], 0x20
	s_mov_b32 s10, s3
	s_ashr_i32 s11, s3, 31
	s_lshl_b64 s[8:9], s[10:11], 2
	s_waitcnt lgkmcnt(0)
	s_add_u32 s6, s6, s8
	s_addc_u32 s7, s7, s9
	s_abs_i32 s3, s30
	v_cvt_f32_u32_e32 v1, s3
	s_sub_i32 s11, 0, s3
	s_abs_i32 s9, s5
	s_xor_b32 s8, s5, s30
	v_rcp_iflag_f32_e32 v1, v1
	s_ashr_i32 s8, s8, 31
	s_mov_b32 s42, 0
	v_mul_f32_e32 v1, 0x4f7ffffe, v1
	v_cvt_u32_f32_e32 v1, v1
	s_nop 0
	v_readfirstlane_b32 s12, v1
	s_mul_i32 s11, s11, s12
	s_mul_hi_u32 s11, s12, s11
	s_add_i32 s12, s12, s11
	s_mul_hi_u32 s11, s9, s12
	s_mul_i32 s12, s11, s3
	s_sub_i32 s9, s9, s12
	s_add_i32 s12, s11, 1
	s_sub_i32 s13, s9, s3
	s_cmp_ge_u32 s9, s3
	s_cselect_b32 s11, s12, s11
	s_cselect_b32 s9, s13, s9
	s_add_i32 s12, s11, 1
	s_cmp_ge_u32 s9, s3
	s_cselect_b32 s3, s12, s11
	s_xor_b32 s3, s3, s8
	s_sub_i32 s12, s3, s8
	s_abs_i32 s11, s12
	v_cvt_f32_u32_e32 v1, s11
	s_load_dwordx2 s[8:9], s[0:1], 0x40
	s_sub_i32 s3, 0, s11
	s_abs_i32 s22, s2
	v_rcp_iflag_f32_e32 v1, v1
	s_nop 0
	v_mul_f32_e32 v1, 0x4f7ffffe, v1
	v_cvt_u32_f32_e32 v1, v1
	s_nop 0
	v_readfirstlane_b32 s13, v1
	s_mul_i32 s3, s3, s13
	s_mul_hi_u32 s3, s13, s3
	s_add_i32 s13, s13, s3
	s_waitcnt lgkmcnt(0)
	s_cmp_eq_u64 s[8:9], 0
	s_mul_hi_u32 s23, s22, s13
	s_cbranch_scc1 .LBB134_2
; %bb.1:
	s_ashr_i32 s3, s2, 31
	s_lshl_b64 s[14:15], s[2:3], 2
	s_add_u32 s8, s8, s14
	s_addc_u32 s9, s9, s15
	s_load_dword s42, s[8:9], 0x0
.LBB134_2:
	s_load_dword s33, s[6:7], 0x0
	s_ashr_i32 s9, s12, 31
	s_load_dwordx4 s[12:15], s[0:1], 0x48
	s_movk_i32 s6, 0x80
	s_ashr_i32 s3, s2, 31
	v_and_b32_e32 v2, 3, v0
	s_lshl_b32 s20, s2, 8
	v_cmp_gt_u32_e32 vcc, s6, v0
	s_and_saveexec_b64 s[6:7], vcc
	s_cbranch_execz .LBB134_4
; %bb.3:
	s_load_dwordx2 s[16:17], s[0:1], 0x8
	s_waitcnt lgkmcnt(0)
	s_mul_i32 s18, s10, s12
	s_ashr_i32 s19, s18, 31
	s_lshl_b64 s[18:19], s[18:19], 1
	v_lshlrev_b32_e32 v1, 2, v0
	s_add_u32 s8, s16, s18
	s_addc_u32 s12, s17, s19
	s_ashr_i32 s21, s20, 31
	s_lshl_b64 s[16:17], s[20:21], 1
	s_add_u32 s16, s8, s16
	s_addc_u32 s17, s12, s17
	global_load_dword v1, v1, s[16:17]
	v_and_b32_e32 v3, 0x3fc, v0
	v_lshl_add_u32 v3, v2, 7, v3
	s_waitcnt vmcnt(0)
	ds_write_b32 v3, v1
.LBB134_4:
	s_or_b64 exec, exec, s[6:7]
	s_mul_i32 s6, s23, s11
	s_sub_i32 s6, s22, s6
	s_xor_b32 s3, s3, s9
	s_add_i32 s7, s23, 1
	s_sub_i32 s9, s6, s11
	s_load_dwordx4 s[16:19], s[0:1], 0x68
	s_load_dword s8, s[0:1], 0x78
	s_cmp_ge_u32 s6, s11
	s_cselect_b32 s7, s7, s23
	s_cselect_b32 s6, s9, s6
	s_add_i32 s9, s7, 1
	s_cmp_ge_u32 s6, s11
	s_cselect_b32 s6, s9, s7
	s_waitcnt lgkmcnt(0)
	s_abs_i32 s21, s19
	v_cvt_f32_u32_e32 v1, s21
	s_xor_b32 s6, s6, s3
	s_sub_i32 s3, s6, s3
	s_sub_i32 s6, 0, s21
	v_rcp_iflag_f32_e32 v1, v1
	s_add_i32 s11, s33, -1
	s_abs_i32 s9, s11
	v_mul_f32_e32 v1, 0x4f7ffffe, v1
	v_cvt_u32_f32_e32 v1, v1
	s_barrier
	v_readfirstlane_b32 s40, v1
	s_mul_i32 s6, s6, s40
	s_mul_hi_u32 s6, s40, s6
	s_add_i32 s40, s40, s6
	s_cmp_lt_i32 s8, 0
	s_mul_hi_u32 s12, s9, s40
	s_cbranch_scc0 .LBB134_6
; %bb.5:
	s_mul_i32 s6, s16, s30
	s_add_i32 s6, s3, s6
	s_mul_i32 s6, s6, s8
	s_sub_i32 s41, 1, s6
	s_mov_b64 s[6:7], 0
	s_branch .LBB134_7
.LBB134_6:
	s_mov_b64 s[6:7], -1
                                        ; implicit-def: $sgpr41
.LBB134_7:
	s_load_dwordx2 s[24:25], s[0:1], 0x28
	s_ashr_i32 s15, s11, 31
	s_andn2_b64 vcc, exec, s[6:7]
	s_ashr_i32 s19, s19, 31
	s_cbranch_vccnz .LBB134_9
; %bb.8:
	s_mul_i32 s6, s5, s16
	s_add_i32 s2, s6, s2
	s_mul_i32 s2, s2, s8
	s_add_i32 s41, s2, 1
.LBB134_9:
	s_load_dword s2, s[0:1], 0x38
	s_load_dwordx2 s[22:23], s[0:1], 0x0
	s_load_dwordx2 s[28:29], s[0:1], 0x18
	s_load_dword s11, s[0:1], 0x88
	s_xor_b32 s6, s15, s19
	s_waitcnt lgkmcnt(0)
	s_mul_i32 s26, s10, s2
	s_mul_i32 s2, s12, s21
	s_sub_i32 s2, s9, s2
	s_ashr_i32 s27, s26, 31
	s_add_i32 s7, s12, 1
	s_sub_i32 s8, s2, s21
	s_cmp_ge_u32 s2, s21
	s_cselect_b32 s7, s7, s12
	s_cselect_b32 s2, s8, s2
	s_add_i32 s8, s7, 1
	s_cmp_ge_u32 s2, s21
	s_cselect_b32 s2, s8, s7
	s_xor_b32 s2, s2, s6
	s_sub_i32 s12, s2, s6
	s_add_i32 s2, s33, 15
	s_ashr_i32 s6, s2, 31
	s_lshr_b32 s6, s6, 28
	s_add_i32 s2, s2, s6
	s_ashr_i32 s16, s2, 4
	v_lshrrev_b32_e32 v1, 6, v0
	v_cmp_gt_i32_e64 s[6:7], s16, v1
	v_mov_b32_e32 v20, 0xff7fffff
	s_mul_i32 s14, s3, s14
	v_lshrrev_b32_e32 v18, 4, v0
	v_lshlrev_b32_e32 v30, 4, v1
	v_mbcnt_lo_u32_b32 v16, -1, 0
	s_and_saveexec_b64 s[34:35], s[6:7]
	s_cbranch_execz .LBB134_19
; %bb.10:
	s_load_dwordx2 s[0:1], s[0:1], 0x10
	s_ashr_i32 s15, s14, 31
	s_sub_i32 s30, s12, s17
	s_lshl_b64 s[2:3], s[14:15], 1
	v_bfe_u32 v17, v0, 2, 4
	s_waitcnt lgkmcnt(0)
	s_add_u32 s0, s0, s2
	s_addc_u32 s1, s1, s3
	s_abs_i32 s15, s18
	v_cvt_f32_u32_e32 v3, s15
	v_lshlrev_b32_e32 v4, 4, v17
	v_mov_b32_e32 v5, 0
	v_lshl_add_u64 v[6:7], s[0:1], 0, v[4:5]
	v_rcp_iflag_f32_e32 v3, v3
	s_sub_i32 s0, 0, s15
	v_cmp_eq_u32_e32 vcc, 0, v2
	v_lshlrev_b32_e32 v19, 7, v2
	v_mul_f32_e32 v3, 0x4f7ffffe, v3
	v_cvt_u32_f32_e32 v3, v3
	v_lshlrev_b32_e32 v4, 2, v0
	v_and_b32_e32 v4, 12, v4
	v_mbcnt_hi_u32_b32 v26, -1, v16
	v_mul_lo_u32 v2, s0, v3
	v_mul_hi_u32 v2, v3, v2
	v_add_u32_e32 v21, v3, v2
	v_lshlrev_b32_e32 v2, 2, v17
	s_lshl_b64 s[0:1], s[26:27], 2
	v_lshl_or_b32 v2, v1, 6, v2
	s_add_u32 s0, s24, s0
	v_add_u32_e32 v23, 0x210, v2
	v_subrev_u32_e32 v2, s33, v17
	v_lshl_add_u64 v[10:11], v[6:7], 0, v[4:5]
	v_and_b32_e32 v4, 60, v18
	s_addc_u32 s1, s25, s1
	v_add_u32_e32 v24, 1, v2
	v_and_b32_e32 v2, 64, v26
	s_mov_b32 s43, s13
	v_cmp_neq_f32_e64 s[2:3], s42, 0
	v_lshl_add_u64 v[12:13], s[0:1], 0, v[4:5]
	v_lshlrev_b32_e32 v22, 4, v1
	s_mov_b64 s[36:37], 0
	v_mov_b32_e32 v25, 0xff7fffff
	s_movk_i32 s44, 0x1000
	v_add_u32_e32 v27, 64, v2
	v_xor_b32_e32 v28, 2, v26
	v_xor_b32_e32 v29, 1, v26
	v_mov_b32_e32 v20, 0xff7fffff
	v_mov_b32_e32 v31, v1
	s_branch .LBB134_13
.LBB134_11:                             ;   in Loop: Header=BB134_13 Depth=1
	s_or_b64 exec, exec, s[38:39]
.LBB134_12:                             ;   in Loop: Header=BB134_13 Depth=1
	s_or_b64 exec, exec, s[8:9]
	v_add_u32_e32 v31, 2, v31
	v_cmp_le_i32_e64 s[0:1], s16, v31
	v_lshl_add_u64 v[12:13], v[12:13], 0, 8
	v_add_u32_e32 v22, 32, v22
	s_or_b64 s[36:37], s[0:1], s[36:37]
	v_add_u32_e32 v23, 0x80, v23
	s_andn2_b64 exec, exec, s[36:37]
	s_cbranch_execz .LBB134_18
.LBB134_13:                             ; =>This Inner Loop Header: Depth=1
	v_mul_hi_u32 v2, v22, s40
	s_waitcnt lgkmcnt(0)
	v_mul_lo_u32 v3, v2, s21
	v_sub_u32_e32 v3, v22, v3
	v_add_u32_e32 v4, 1, v2
	v_cmp_le_u32_e64 s[0:1], s21, v3
	s_nop 1
	v_cndmask_b32_e64 v2, v2, v4, s[0:1]
	v_subrev_u32_e32 v4, s21, v3
	v_cndmask_b32_e64 v3, v3, v4, s[0:1]
	v_add_u32_e32 v4, 1, v2
	v_cmp_le_u32_e64 s[0:1], s21, v3
	s_nop 1
	v_cndmask_b32_e64 v2, v2, v4, s[0:1]
	v_xor_b32_e32 v2, s19, v2
	v_subrev_u32_e32 v2, s19, v2
	v_add_u32_e32 v3, s41, v2
	v_sub_u32_e32 v5, 0, v3
	v_ashrrev_i32_e32 v4, 31, v3
	v_max_i32_e32 v3, v3, v5
	v_mul_hi_u32 v5, v3, v21
	v_mul_lo_u32 v5, v5, s15
	v_sub_u32_e32 v3, v3, v5
	v_subrev_u32_e32 v5, s15, v3
	v_cmp_le_u32_e64 s[0:1], s15, v3
	v_cmp_ge_i32_e64 s[8:9], s30, v2
	s_nop 0
	v_cndmask_b32_e64 v3, v3, v5, s[0:1]
	v_subrev_u32_e32 v5, s15, v3
	v_cmp_le_u32_e64 s[0:1], s15, v3
	s_nop 1
	v_cndmask_b32_e64 v3, v3, v5, s[0:1]
	v_xor_b32_e32 v3, v3, v4
	v_sub_u32_e32 v3, v3, v4
	v_cmp_ne_u32_e64 s[0:1], 0, v3
	s_and_b64 s[0:1], s[0:1], s[8:9]
	s_and_b64 s[38:39], vcc, s[0:1]
	s_and_saveexec_b64 s[8:9], s[38:39]
	s_cbranch_execz .LBB134_15
; %bb.14:                               ;   in Loop: Header=BB134_13 Depth=1
	ds_write_b32 v23, v25
.LBB134_15:                             ;   in Loop: Header=BB134_13 Depth=1
	s_or_b64 exec, exec, s[8:9]
	s_xor_b64 s[0:1], s[0:1], -1
	s_and_saveexec_b64 s[8:9], s[0:1]
	s_cbranch_execz .LBB134_12
; %bb.16:                               ;   in Loop: Header=BB134_13 Depth=1
	ds_read_b128 v[6:9], v19
	ds_read_b128 v[40:43], v19 offset:16
	ds_read_b128 v[44:47], v19 offset:32
	;; [unrolled: 1-line block ×3, first 2 shown]
	global_load_dword v14, v[12:13], off
	ds_read_b128 v[62:65], v19 offset:64
	ds_read_b128 v[66:69], v19 offset:80
	s_waitcnt lgkmcnt(5)
	v_lshlrev_b32_e32 v52, 16, v6
	s_waitcnt lgkmcnt(2)
	v_lshlrev_b32_e32 v2, 16, v54
	v_lshlrev_b32_e32 v3, 16, v55
	v_and_b32_e32 v71, 0xffff0000, v6
	v_and_b32_e32 v6, 0xffff0000, v54
	v_and_b32_e32 v60, 0xffff0000, v55
	v_lshlrev_b32_e32 v51, 16, v7
	v_lshlrev_b32_e32 v58, 16, v8
	;; [unrolled: 1-line block ×7, first 2 shown]
	s_waitcnt lgkmcnt(1)
	v_lshlrev_b32_e32 v39, 16, v62
	v_lshlrev_b32_e32 v38, 16, v63
	s_waitcnt lgkmcnt(0)
	v_lshlrev_b32_e32 v33, 16, v68
	v_and_b32_e32 v76, 0xffff0000, v7
	v_and_b32_e32 v77, 0xffff0000, v8
	v_and_b32_e32 v79, 0xffff0000, v41
	v_and_b32_e32 v8, 0xffff0000, v46
	v_and_b32_e32 v7, 0xffff0000, v47
	v_and_b32_e32 v50, 0xffff0000, v56
	v_and_b32_e32 v49, 0xffff0000, v57
	v_and_b32_e32 v47, 0xffff0000, v62
	v_and_b32_e32 v46, 0xffff0000, v63
	v_and_b32_e32 v41, 0xffff0000, v68
	v_lshlrev_b32_e32 v75, 16, v45
	v_lshlrev_b32_e32 v37, 16, v64
	v_and_b32_e32 v83, 0xffff0000, v45
	v_and_b32_e32 v45, 0xffff0000, v64
	v_lshlrev_b32_e32 v61, 16, v40
	v_lshlrev_b32_e32 v74, 16, v44
	;; [unrolled: 1-line block ×4, first 2 shown]
	v_and_b32_e32 v78, 0xffff0000, v40
	v_and_b32_e32 v82, 0xffff0000, v44
	;; [unrolled: 1-line block ×4, first 2 shown]
	v_lshlrev_b32_e32 v59, 16, v9
	v_and_b32_e32 v9, 0xffff0000, v9
	v_lshlrev_b32_e32 v72, 16, v42
	v_lshlrev_b32_e32 v34, 16, v67
	v_and_b32_e32 v80, 0xffff0000, v42
	v_and_b32_e32 v42, 0xffff0000, v67
	v_lshlrev_b32_e32 v73, 16, v43
	v_lshlrev_b32_e32 v35, 16, v66
	v_and_b32_e32 v81, 0xffff0000, v43
	v_and_b32_e32 v43, 0xffff0000, v66
	s_waitcnt vmcnt(0)
	v_mad_i64_i32 v[14:15], s[0:1], v14, s43, 0
	v_lshl_add_u64 v[54:55], v[14:15], 1, v[10:11]
	global_load_dword v14, v[54:55], off offset:256
	global_load_dword v15, v[54:55], off offset:512
	;; [unrolled: 1-line block ×8, first 2 shown]
	s_waitcnt vmcnt(7)
	v_lshlrev_b32_e32 v64, 16, v14
	v_mul_f32_e32 v51, v51, v64
	global_load_dword v64, v[54:55], off
	v_and_b32_e32 v14, 0xffff0000, v14
	s_waitcnt vmcnt(0)
	v_lshlrev_b32_e32 v65, 16, v64
	v_fmac_f32_e32 v51, v52, v65
	v_mul_f32_e32 v52, v76, v14
	v_and_b32_e32 v14, 0xffff0000, v64
	v_fmac_f32_e32 v52, v71, v14
	v_lshlrev_b32_e32 v14, 16, v15
	v_fmac_f32_e32 v51, v58, v14
	v_and_b32_e32 v14, 0xffff0000, v15
	v_fmac_f32_e32 v52, v77, v14
	v_lshlrev_b32_e32 v14, 16, v56
	v_fmac_f32_e32 v51, v59, v14
	v_and_b32_e32 v14, 0xffff0000, v56
	v_fmac_f32_e32 v52, v9, v14
	global_load_dword v9, v[54:55], off offset:2304
	global_load_dword v76, v[54:55], off offset:2560
	;; [unrolled: 1-line block ×3, first 2 shown]
	v_lshlrev_b32_e32 v14, 16, v57
	v_fmac_f32_e32 v51, v61, v14
	v_and_b32_e32 v14, 0xffff0000, v57
	v_fmac_f32_e32 v52, v78, v14
	global_load_dword v78, v[54:55], off offset:3072
	global_load_dword v71, v[54:55], off offset:3328
	;; [unrolled: 1-line block ×3, first 2 shown]
	v_lshlrev_b32_e32 v14, 16, v62
	v_fmac_f32_e32 v51, v70, v14
	v_and_b32_e32 v14, 0xffff0000, v62
	v_fmac_f32_e32 v52, v79, v14
	v_add_co_u32_e64 v14, s[0:1], s44, v54
	global_load_dword v67, v[54:55], off offset:3840
	s_nop 0
	v_addc_co_u32_e64 v15, s[0:1], 0, v55, s[0:1]
	global_load_dword v62, v[14:15], off offset:512
	global_load_dword v65, v[14:15], off
	global_load_dword v66, v[14:15], off offset:256
	v_lshlrev_b32_e32 v54, 16, v63
	v_fmac_f32_e32 v51, v72, v54
	v_and_b32_e32 v54, 0xffff0000, v63
	global_load_dword v63, v[14:15], off offset:768
	global_load_dword v61, v[14:15], off offset:1024
	v_fmac_f32_e32 v52, v80, v54
	v_lshlrev_b32_e32 v54, 16, v68
	global_load_dword v59, v[14:15], off offset:1280
	v_fmac_f32_e32 v51, v73, v54
	v_and_b32_e32 v54, 0xffff0000, v68
	v_fmac_f32_e32 v52, v81, v54
	v_lshlrev_b32_e32 v54, 16, v69
	global_load_dword v58, v[14:15], off offset:1536
	global_load_dword v57, v[14:15], off offset:1792
	v_fmac_f32_e32 v51, v74, v54
	v_and_b32_e32 v54, 0xffff0000, v69
	global_load_dword v56, v[14:15], off offset:2048
	v_fmac_f32_e32 v52, v82, v54
	v_cmp_lt_i32_e64 s[0:1], v28, v27
	s_waitcnt vmcnt(15)
	v_lshlrev_b32_e32 v54, 16, v9
	v_and_b32_e32 v9, 0xffff0000, v9
	v_fmac_f32_e32 v51, v75, v54
	global_load_dword v55, v[14:15], off offset:2304
	global_load_dword v54, v[14:15], off offset:2560
	v_fmac_f32_e32 v52, v83, v9
	s_waitcnt vmcnt(16)
	v_lshlrev_b32_e32 v9, 16, v76
	v_and_b32_e32 v68, 0xffff0000, v76
	v_fmac_f32_e32 v51, v5, v9
	v_fmac_f32_e32 v52, v8, v68
	s_waitcnt vmcnt(15)
	v_lshlrev_b32_e32 v5, 16, v77
	v_and_b32_e32 v8, 0xffff0000, v77
	v_fmac_f32_e32 v51, v4, v5
	s_waitcnt vmcnt(14)
	v_lshlrev_b32_e32 v4, 16, v78
	v_and_b32_e32 v5, 0xffff0000, v78
	v_fmac_f32_e32 v52, v7, v8
	global_load_dword v70, v[14:15], off offset:2816
	global_load_dword v69, v[14:15], off offset:3072
	;; [unrolled: 1-line block ×3, first 2 shown]
	s_waitcnt vmcnt(16)
	v_lshlrev_b32_e32 v9, 16, v71
	v_fmac_f32_e32 v51, v2, v4
	v_fmac_f32_e32 v52, v6, v5
	v_and_b32_e32 v71, 0xffff0000, v71
	v_fmac_f32_e32 v51, v3, v9
	ds_read_b128 v[2:5], v19 offset:96
	ds_read_b128 v[6:9], v19 offset:112
	v_fmac_f32_e32 v52, v60, v71
	global_load_dword v60, v[14:15], off offset:3584
	s_waitcnt vmcnt(16)
	v_lshlrev_b32_e32 v71, 16, v64
	global_load_dword v14, v[14:15], off offset:3840
	v_and_b32_e32 v15, 0xffff0000, v64
	v_fmac_f32_e32 v51, v53, v71
	s_waitcnt vmcnt(16)
	v_lshlrev_b32_e32 v64, 16, v67
	v_and_b32_e32 v67, 0xffff0000, v67
	v_fmac_f32_e32 v52, v50, v15
	s_waitcnt vmcnt(14)
	v_lshlrev_b32_e32 v15, 16, v65
	v_and_b32_e32 v50, 0xffff0000, v65
	v_fmac_f32_e32 v51, v48, v64
	v_fmac_f32_e32 v52, v49, v67
	s_waitcnt vmcnt(13)
	v_lshlrev_b32_e32 v65, 16, v66
	v_and_b32_e32 v66, 0xffff0000, v66
	v_fmac_f32_e32 v51, v39, v15
	v_fmac_f32_e32 v52, v47, v50
	v_lshlrev_b32_e32 v48, 16, v62
	v_and_b32_e32 v62, 0xffff0000, v62
	v_fmac_f32_e32 v51, v38, v65
	v_fmac_f32_e32 v52, v46, v66
	s_waitcnt vmcnt(12)
	v_lshlrev_b32_e32 v64, 16, v63
	v_and_b32_e32 v63, 0xffff0000, v63
	v_fmac_f32_e32 v51, v37, v48
	v_fmac_f32_e32 v52, v45, v62
	s_waitcnt vmcnt(11)
	v_lshlrev_b32_e32 v49, 16, v61
	v_and_b32_e32 v61, 0xffff0000, v61
	v_fmac_f32_e32 v51, v36, v64
	v_fmac_f32_e32 v52, v44, v63
	;; [unrolled: 1-line block ×4, first 2 shown]
	s_waitcnt vmcnt(10)
	v_lshlrev_b32_e32 v15, 16, v59
	v_and_b32_e32 v35, 0xffff0000, v59
	v_fmac_f32_e32 v51, v34, v15
	v_fmac_f32_e32 v52, v42, v35
	s_waitcnt vmcnt(9)
	v_lshlrev_b32_e32 v15, 16, v58
	v_and_b32_e32 v34, 0xffff0000, v58
	v_fmac_f32_e32 v51, v33, v15
	v_fmac_f32_e32 v52, v41, v34
	s_waitcnt vmcnt(8)
	v_lshlrev_b32_e32 v15, 16, v57
	v_and_b32_e32 v33, 0xffff0000, v57
	s_waitcnt lgkmcnt(1)
	v_lshlrev_b32_e32 v53, 16, v2
	v_and_b32_e32 v2, 0xffff0000, v2
	v_fmac_f32_e32 v51, v32, v15
	v_fmac_f32_e32 v52, v40, v33
	s_waitcnt vmcnt(7)
	v_lshlrev_b32_e32 v15, 16, v56
	v_and_b32_e32 v32, 0xffff0000, v56
	v_fmac_f32_e32 v51, v53, v15
	v_fmac_f32_e32 v52, v2, v32
	v_lshlrev_b32_e32 v2, 16, v3
	v_and_b32_e32 v3, 0xffff0000, v3
	v_cndmask_b32_e64 v72, v26, v28, s[0:1]
	v_lshlrev_b32_e32 v72, 2, v72
	v_cmp_lt_i32_e64 s[0:1], v29, v27
	s_waitcnt vmcnt(6)
	v_lshlrev_b32_e32 v15, 16, v55
	v_and_b32_e32 v32, 0xffff0000, v55
	v_fmac_f32_e32 v51, v15, v2
	v_fmac_f32_e32 v52, v32, v3
	v_lshlrev_b32_e32 v2, 16, v4
	v_and_b32_e32 v3, 0xffff0000, v4
	s_waitcnt vmcnt(5)
	v_lshlrev_b32_e32 v4, 16, v54
	v_and_b32_e32 v15, 0xffff0000, v54
	v_fmac_f32_e32 v51, v4, v2
	v_fmac_f32_e32 v52, v15, v3
	v_lshlrev_b32_e32 v2, 16, v5
	v_and_b32_e32 v3, 0xffff0000, v5
	s_waitcnt vmcnt(4)
	v_lshlrev_b32_e32 v4, 16, v70
	v_and_b32_e32 v5, 0xffff0000, v70
	v_fmac_f32_e32 v51, v4, v2
	v_fmac_f32_e32 v52, v5, v3
	s_waitcnt lgkmcnt(0)
	v_lshlrev_b32_e32 v2, 16, v6
	v_and_b32_e32 v3, 0xffff0000, v6
	s_waitcnt vmcnt(3)
	v_lshlrev_b32_e32 v4, 16, v69
	v_and_b32_e32 v5, 0xffff0000, v69
	v_fmac_f32_e32 v51, v4, v2
	v_fmac_f32_e32 v52, v5, v3
	v_lshlrev_b32_e32 v2, 16, v7
	v_and_b32_e32 v3, 0xffff0000, v7
	s_waitcnt vmcnt(2)
	v_lshlrev_b32_e32 v4, 16, v68
	v_and_b32_e32 v5, 0xffff0000, v68
	v_fmac_f32_e32 v51, v4, v2
	v_fmac_f32_e32 v52, v5, v3
	;; [unrolled: 7-line block ×4, first 2 shown]
	v_add_f32_e32 v2, v51, v52
	ds_bpermute_b32 v3, v72, v2
	v_cndmask_b32_e64 v4, v26, v29, s[0:1]
	v_lshlrev_b32_e32 v4, 2, v4
	s_waitcnt lgkmcnt(0)
	v_add_f32_e32 v2, v2, v3
	ds_bpermute_b32 v3, v4, v2
	s_and_saveexec_b64 s[38:39], vcc
	s_cbranch_execz .LBB134_11
; %bb.17:                               ;   in Loop: Header=BB134_13 Depth=1
	v_add_u32_e32 v4, v24, v22
	v_cvt_f32_i32_e32 v4, v4
	s_waitcnt lgkmcnt(0)
	v_add_f32_e32 v2, v2, v3
	v_add_u32_e32 v5, v17, v22
	v_cmp_gt_i32_e64 s[0:1], s33, v5
	v_mul_f32_e32 v3, s42, v4
	v_cndmask_b32_e64 v3, 0, v3, s[2:3]
	v_fmac_f32_e32 v3, s31, v2
	v_cndmask_b32_e64 v2, 0, v3, s[0:1]
	ds_write_b32 v23, v2
	v_max_f32_e32 v2, v20, v20
	v_max_f32_e32 v2, v2, v3
	v_cndmask_b32_e64 v20, v20, v2, s[0:1]
	s_branch .LBB134_11
.LBB134_18:
	s_or_b64 exec, exec, s[36:37]
.LBB134_19:
	s_or_b64 exec, exec, s[34:35]
	v_mbcnt_hi_u32_b32 v2, -1, v16
	s_waitcnt lgkmcnt(0)
	v_and_b32_e32 v3, 64, v2
	v_add_u32_e32 v3, 64, v3
	v_xor_b32_e32 v4, 32, v2
	v_cmp_lt_i32_e32 vcc, v4, v3
	v_xor_b32_e32 v7, 16, v2
	v_max_f32_e32 v6, v20, v20
	v_cndmask_b32_e32 v4, v2, v4, vcc
	v_lshlrev_b32_e32 v4, 2, v4
	ds_bpermute_b32 v5, v4, v20
	v_cmp_lt_i32_e32 vcc, v7, v3
	v_xor_b32_e32 v8, 8, v2
	v_xor_b32_e32 v9, 4, v2
	v_and_b32_e32 v31, 63, v0
	s_waitcnt lgkmcnt(0)
	v_max_f32_e32 v5, v5, v5
	v_max_f32_e32 v6, v6, v5
	v_cndmask_b32_e32 v5, v2, v7, vcc
	v_lshlrev_b32_e32 v5, 2, v5
	ds_bpermute_b32 v7, v5, v6
	v_cmp_lt_i32_e32 vcc, v8, v3
	s_waitcnt lgkmcnt(0)
	v_max_f32_e32 v7, v7, v7
	v_max_f32_e32 v6, v6, v7
	v_cndmask_b32_e32 v7, v2, v8, vcc
	v_lshlrev_b32_e32 v8, 2, v7
	ds_bpermute_b32 v7, v8, v6
	v_cmp_lt_i32_e32 vcc, v9, v3
	s_waitcnt lgkmcnt(0)
	v_max_f32_e32 v7, v7, v7
	v_max_f32_e32 v7, v6, v7
	v_cndmask_b32_e32 v6, v2, v9, vcc
	v_lshlrev_b32_e32 v9, 2, v6
	ds_bpermute_b32 v10, v9, v7
	v_cmp_eq_u32_e32 vcc, 0, v31
	v_lshlrev_b32_e32 v6, 2, v1
	s_and_saveexec_b64 s[0:1], vcc
	s_cbranch_execz .LBB134_21
; %bb.20:
	s_waitcnt lgkmcnt(0)
	v_max_f32_e32 v10, v10, v10
	v_max_f32_e32 v7, v7, v7
	;; [unrolled: 1-line block ×3, first 2 shown]
	ds_write_b32 v6, v7 offset:512
.LBB134_21:
	s_or_b64 exec, exec, s[0:1]
	v_cmp_gt_u32_e64 s[0:1], 2, v31
	s_waitcnt lgkmcnt(0)
	v_mov_b32_e32 v10, 0xff7fffff
	v_lshlrev_b32_e32 v7, 2, v31
	s_barrier
	s_and_saveexec_b64 s[2:3], s[0:1]
	s_cbranch_execz .LBB134_23
; %bb.22:
	ds_read_b32 v10, v7 offset:512
.LBB134_23:
	s_or_b64 exec, exec, s[2:3]
	v_xor_b32_e32 v11, 1, v2
	v_cmp_lt_i32_e64 s[2:3], v11, v3
	v_lshlrev_b32_e32 v12, 2, v2
	s_nop 0
	v_cndmask_b32_e64 v11, v2, v11, s[2:3]
	v_lshlrev_b32_e32 v32, 2, v11
	s_waitcnt lgkmcnt(0)
	ds_bpermute_b32 v11, v32, v10
	v_max_f32_e32 v10, v10, v10
	s_lshl_b32 s2, s16, 4
	s_min_i32 s15, s2, s33
	v_cmp_gt_i32_e64 s[2:3], s15, v0
	s_waitcnt lgkmcnt(0)
	v_max_f32_e32 v11, v11, v11
	v_max_f32_e32 v11, v10, v11
	v_and_b32_e32 v10, 0x100, v12
	ds_bpermute_b32 v12, v10, v11
	v_mov_b32_e32 v11, 0
	s_and_saveexec_b64 s[30:31], s[2:3]
	s_cbranch_execz .LBB134_27
; %bb.24:
	v_mov_b32_e32 v11, 0x210
	v_lshl_add_u32 v13, v0, 2, v11
	s_mov_b64 s[34:35], 0
	v_mov_b32_e32 v11, 0
	v_mov_b32_e32 v14, v0
.LBB134_25:                             ; =>This Inner Loop Header: Depth=1
	ds_read_b32 v15, v13
	v_add_u32_e32 v14, 0x80, v14
	v_cmp_le_i32_e64 s[8:9], s15, v14
	s_or_b64 s[34:35], s[8:9], s[34:35]
	s_waitcnt lgkmcnt(0)
	v_sub_f32_e32 v15, v15, v12
	v_mul_f32_e32 v15, 0x3fb8aa3b, v15
	v_exp_f32_e32 v15, v15
	ds_write_b32 v13, v15
	v_add_f32_e32 v11, v11, v15
	v_add_u32_e32 v13, 0x200, v13
	s_andn2_b64 exec, exec, s[34:35]
	s_cbranch_execnz .LBB134_25
; %bb.26:
	s_or_b64 exec, exec, s[34:35]
.LBB134_27:
	s_or_b64 exec, exec, s[30:31]
	ds_bpermute_b32 v4, v4, v11
	s_waitcnt lgkmcnt(0)
	v_add_f32_e32 v4, v11, v4
	ds_bpermute_b32 v5, v5, v4
	s_waitcnt lgkmcnt(0)
	v_add_f32_e32 v4, v4, v5
	ds_bpermute_b32 v5, v8, v4
	v_xor_b32_e32 v8, 2, v2
	v_cmp_lt_i32_e64 s[8:9], v8, v3
	s_waitcnt lgkmcnt(0)
	v_add_f32_e32 v4, v4, v5
	ds_bpermute_b32 v5, v9, v4
	v_cndmask_b32_e64 v2, v2, v8, s[8:9]
	v_lshlrev_b32_e32 v2, 2, v2
	s_waitcnt lgkmcnt(0)
	v_add_f32_e32 v3, v4, v5
	ds_bpermute_b32 v2, v2, v3
	s_waitcnt lgkmcnt(0)
	v_add_f32_e32 v2, v3, v2
	ds_bpermute_b32 v3, v32, v2
	s_waitcnt lgkmcnt(0)
	v_add_f32_e32 v2, v2, v3
	s_and_saveexec_b64 s[8:9], vcc
	s_cbranch_execz .LBB134_29
; %bb.28:
	ds_write_b32 v6, v2 offset:520
.LBB134_29:
	s_or_b64 exec, exec, s[8:9]
	s_waitcnt lgkmcnt(0)
	s_barrier
	s_and_saveexec_b64 s[8:9], s[0:1]
	s_cbranch_execz .LBB134_31
; %bb.30:
	ds_read_b32 v2, v7 offset:520
.LBB134_31:
	s_or_b64 exec, exec, s[8:9]
	s_waitcnt lgkmcnt(0)
	ds_bpermute_b32 v3, v32, v2
	s_waitcnt lgkmcnt(0)
	v_add_f32_e32 v2, v2, v3
	ds_bpermute_b32 v2, v10, v2
	s_and_saveexec_b64 s[0:1], s[2:3]
	s_cbranch_execz .LBB134_44
; %bb.32:
	s_waitcnt lgkmcnt(0)
	v_add_f32_e32 v2, 0x358637bd, v2
	v_div_scale_f32 v3, s[2:3], v2, v2, 1.0
	v_rcp_f32_e32 v4, v3
	v_div_scale_f32 v5, vcc, 1.0, v2, 1.0
	s_movk_i32 s2, 0x7f
	v_fma_f32 v6, -v3, v4, 1.0
	v_fmac_f32_e32 v4, v6, v4
	v_mul_f32_e32 v6, v5, v4
	v_fma_f32 v7, -v3, v6, v5
	v_fmac_f32_e32 v6, v7, v4
	v_fma_f32 v3, -v3, v6, v5
	v_div_fmas_f32 v3, v3, v4, v6
	v_xad_u32 v4, v0, -1, s15
	v_div_fixup_f32 v2, v3, v2, 1.0
	v_cmp_lt_u32_e32 vcc, s2, v4
	s_mov_b64 s[8:9], -1
	v_mov_b32_e32 v3, v0
	s_and_saveexec_b64 s[2:3], vcc
	s_cbranch_execz .LBB134_41
; %bb.33:
	v_lshrrev_b32_e32 v4, 7, v4
	v_add_u32_e32 v6, -1, v4
	v_lshrrev_b32_e32 v5, 1, v6
	v_mov_b32_e32 v3, v2
	v_add_u32_e32 v5, 1, v5
	v_cmp_lt_u32_e32 vcc, 13, v6
	v_mov_b32_e32 v8, 0
	s_and_saveexec_b64 s[8:9], vcc
	s_cbranch_execz .LBB134_37
; %bb.34:
	v_mov_b32_e32 v7, 0x210
	v_and_b32_e32 v6, -8, v5
	v_lshl_add_u32 v7, v0, 2, v7
	s_mov_b32 s34, 0
	s_mov_b64 s[30:31], 0
.LBB134_35:                             ; =>This Inner Loop Header: Depth=1
	ds_read2st64_b32 v[8:9], v7 offset1:2
	ds_read2st64_b32 v[10:11], v7 offset0:4 offset1:6
	ds_read2st64_b32 v[12:13], v7 offset0:8 offset1:10
	ds_read2st64_b32 v[14:15], v7 offset0:12 offset1:14
	v_add_u32_e32 v6, -8, v6
	s_waitcnt lgkmcnt(3)
	v_pk_mul_f32 v[8:9], v[2:3], v[8:9]
	s_waitcnt lgkmcnt(2)
	v_pk_mul_f32 v[10:11], v[2:3], v[10:11]
	ds_write2st64_b32 v7, v8, v9 offset1:2
	ds_write2st64_b32 v7, v10, v11 offset0:4 offset1:6
	ds_read2st64_b32 v[10:11], v7 offset0:16 offset1:18
	s_waitcnt lgkmcnt(4)
	v_pk_mul_f32 v[8:9], v[2:3], v[12:13]
	ds_write2st64_b32 v7, v8, v9 offset0:8 offset1:10
	s_waitcnt lgkmcnt(4)
	v_pk_mul_f32 v[8:9], v[2:3], v[14:15]
	ds_write2st64_b32 v7, v8, v9 offset0:12 offset1:14
	ds_read2st64_b32 v[8:9], v7 offset0:20 offset1:22
	s_waitcnt lgkmcnt(3)
	v_pk_mul_f32 v[10:11], v[2:3], v[10:11]
	ds_read2st64_b32 v[12:13], v7 offset0:24 offset1:26
	ds_write2st64_b32 v7, v10, v11 offset0:16 offset1:18
	ds_read2st64_b32 v[10:11], v7 offset0:28 offset1:30
	s_waitcnt lgkmcnt(3)
	v_pk_mul_f32 v[8:9], v[2:3], v[8:9]
	ds_write2st64_b32 v7, v8, v9 offset0:20 offset1:22
	s_waitcnt lgkmcnt(3)
	v_pk_mul_f32 v[8:9], v[2:3], v[12:13]
	ds_write2st64_b32 v7, v8, v9 offset0:24 offset1:26
	s_waitcnt lgkmcnt(2)
	v_pk_mul_f32 v[8:9], v[2:3], v[10:11]
	s_add_i32 s34, s34, 16
	v_cmp_eq_u32_e32 vcc, 0, v6
	ds_write2st64_b32 v7, v8, v9 offset0:28 offset1:30
	v_add_u32_e32 v7, 0x2000, v7
	s_or_b64 s[30:31], vcc, s[30:31]
	v_mov_b32_e32 v8, s34
	s_andn2_b64 exec, exec, s[30:31]
	s_cbranch_execnz .LBB134_35
; %bb.36:
	s_or_b64 exec, exec, s[30:31]
.LBB134_37:
	s_or_b64 exec, exec, s[8:9]
	v_and_b32_e32 v5, 7, v5
	v_cmp_ne_u32_e32 vcc, 0, v5
	s_and_saveexec_b64 s[8:9], vcc
	s_cbranch_execz .LBB134_40
; %bb.38:
	v_lshlrev_b32_e32 v6, 9, v8
	v_lshlrev_b32_e32 v7, 2, v0
	s_movk_i32 s30, 0x210
	v_add3_u32 v6, v6, v7, s30
	s_mov_b64 s[30:31], 0
.LBB134_39:                             ; =>This Inner Loop Header: Depth=1
	ds_read2st64_b32 v[8:9], v6 offset1:2
	v_add_u32_e32 v5, -1, v5
	v_cmp_eq_u32_e32 vcc, 0, v5
	s_or_b64 s[30:31], vcc, s[30:31]
	s_waitcnt lgkmcnt(0)
	v_pk_mul_f32 v[8:9], v[2:3], v[8:9]
	ds_write2st64_b32 v6, v8, v9 offset1:2
	v_add_u32_e32 v6, 0x400, v6
	s_andn2_b64 exec, exec, s[30:31]
	s_cbranch_execnz .LBB134_39
.LBB134_40:
	s_or_b64 exec, exec, s[8:9]
	v_add_u32_e32 v4, 1, v4
	v_and_b32_e32 v5, 0x3fffffe, v4
	v_cmp_ne_u32_e32 vcc, v4, v5
	v_lshl_add_u32 v3, v5, 7, v0
	s_orn2_b64 s[8:9], vcc, exec
.LBB134_41:
	s_or_b64 exec, exec, s[2:3]
	s_and_b64 exec, exec, s[8:9]
	s_cbranch_execz .LBB134_44
; %bb.42:
	v_mov_b32_e32 v4, 0x210
	v_lshl_add_u32 v4, v3, 2, v4
	s_mov_b64 s[2:3], 0
.LBB134_43:                             ; =>This Inner Loop Header: Depth=1
	ds_read_b32 v5, v4
	v_add_u32_e32 v3, 0x80, v3
	v_cmp_le_i32_e32 vcc, s15, v3
	s_or_b64 s[2:3], vcc, s[2:3]
	s_waitcnt lgkmcnt(0)
	v_mul_f32_e32 v5, v2, v5
	ds_write_b32 v4, v5
	v_add_u32_e32 v4, 0x200, v4
	s_andn2_b64 exec, exec, s[2:3]
	s_cbranch_execnz .LBB134_43
.LBB134_44:
	s_or_b64 exec, exec, s[0:1]
	v_mov_b32_e32 v11, 0
	v_and_b32_e32 v33, 1, v0
	v_mov_b32_e32 v10, 0
	v_mov_b32_e32 v13, 0
	;; [unrolled: 1-line block ×7, first 2 shown]
	s_waitcnt lgkmcnt(0)
	s_barrier
	s_and_saveexec_b64 s[2:3], s[6:7]
	s_cbranch_execz .LBB134_354
; %bb.45:
	s_ashr_i32 s15, s14, 31
	s_sub_i32 s17, s12, s17
	s_lshl_b64 s[0:1], s[14:15], 1
	s_add_u32 s6, s28, s0
	s_addc_u32 s7, s29, s1
	s_abs_i32 s18, s18
	v_cvt_f32_u32_e32 v3, s18
	s_sub_i32 s0, 0, s18
	v_lshlrev_b32_e32 v2, 3, v0
	s_add_i32 s29, s16, -1
	v_rcp_iflag_f32_e32 v3, v3
	v_and_b32_e32 v34, 8, v2
	v_and_b32_e32 v2, 0x1f8, v2
	v_mov_b32_e32 v19, 0
	v_mul_f32_e32 v3, 0x4f7ffffe, v3
	v_cvt_u32_f32_e32 v3, v3
	v_or_b32_e32 v4, 0x800, v2
	v_or_b32_e32 v6, 0xa00, v2
	;; [unrolled: 1-line block ×3, first 2 shown]
	v_mul_lo_u32 v5, s0, v3
	v_mul_hi_u32 v5, v3, v5
	s_lshl_b64 s[0:1], s[26:27], 2
	v_add_u32_e32 v35, v3, v5
	s_add_u32 s0, s24, s0
	v_lshlrev_b32_e32 v3, 5, v33
	v_or_b32_e32 v10, 0xe00, v2
	v_and_b32_e32 v18, 60, v18
	s_addc_u32 s1, s25, s1
	v_lshl_or_b32 v3, v1, 6, v3
	s_mov_b32 s28, s13
	v_lshl_add_u64 v[20:21], s[0:1], 0, v[18:19]
	v_add_u32_e32 v36, 0x210, v3
	s_mov_b64 s[8:9], 0
	s_mov_b32 s24, 0x7f800000
	s_movk_i32 s25, 0x7fff
	v_lshlrev_b32_e32 v18, 1, v2
	v_lshlrev_b32_e32 v22, 1, v4
	v_lshlrev_b32_e32 v24, 1, v6
	v_lshlrev_b32_e32 v26, 1, v8
	v_lshlrev_b32_e32 v28, 1, v10
	v_mov_b32_e32 v16, v19
	v_mov_b32_e32 v17, v19
	;; [unrolled: 1-line block ×8, first 2 shown]
	s_branch .LBB134_48
.LBB134_46:                             ;   in Loop: Header=BB134_48 Depth=1
	s_or_b64 exec, exec, s[0:1]
	v_and_b32_e32 v53, 0xffff0000, v99
	v_and_b32_e32 v52, 0xffff0000, v97
	;; [unrolled: 1-line block ×8, first 2 shown]
	v_pk_add_f32 v[52:53], v[56:57], v[52:53]
	v_pk_add_f32 v[48:49], v[50:51], v[48:49]
	v_add_f32_e32 v27, v52, v53
	v_add_f32_e32 v27, v27, v48
	v_and_b32_e32 v53, 0xffff0000, v92
	v_and_b32_e32 v52, 0xffff0000, v90
	v_and_b32_e32 v57, 0xffff0000, v91
	v_and_b32_e32 v56, 0xffff0000, v25
	v_add_f32_e32 v27, v27, v49
	v_and_b32_e32 v49, 0xffff0000, v96
	v_and_b32_e32 v48, 0xffff0000, v94
	v_and_b32_e32 v51, 0xffff0000, v95
	v_and_b32_e32 v50, 0xffff0000, v93
	v_pk_add_f32 v[52:53], v[56:57], v[52:53]
	v_pk_add_f32 v[48:49], v[50:51], v[48:49]
	v_add_f32_e32 v25, v52, v53
	v_add_f32_e32 v25, v25, v48
	v_and_b32_e32 v53, 0xffff0000, v85
	v_and_b32_e32 v52, 0xffff0000, v83
	v_and_b32_e32 v57, 0xffff0000, v84
	v_and_b32_e32 v56, 0xffff0000, v23
	v_add_f32_e32 v25, v25, v49
	v_and_b32_e32 v49, 0xffff0000, v89
	v_and_b32_e32 v48, 0xffff0000, v87
	v_and_b32_e32 v51, 0xffff0000, v88
	v_and_b32_e32 v50, 0xffff0000, v86
	v_pk_add_f32 v[52:53], v[56:57], v[52:53]
	v_pk_add_f32 v[48:49], v[50:51], v[48:49]
	v_add_f32_e32 v23, v52, v53
	v_add_f32_e32 v23, v23, v48
	v_and_b32_e32 v53, 0xffff0000, v78
	v_and_b32_e32 v52, 0xffff0000, v9
	v_and_b32_e32 v9, 0xffff0000, v77
	v_and_b32_e32 v8, 0xffff0000, v8
	v_add_f32_e32 v23, v23, v49
	v_and_b32_e32 v49, 0xffff0000, v82
	v_and_b32_e32 v48, 0xffff0000, v80
	v_and_b32_e32 v51, 0xffff0000, v81
	v_and_b32_e32 v50, 0xffff0000, v79
	v_pk_add_f32 v[8:9], v[8:9], v[52:53]
	v_pk_add_f32 v[48:49], v[50:51], v[48:49]
	v_add_f32_e32 v8, v8, v9
	v_add_f32_e32 v8, v8, v48
	;; [unrolled: 1-line block ×3, first 2 shown]
	v_and_b32_e32 v51, 0xffff0000, v72
	v_and_b32_e32 v50, 0xffff0000, v70
	;; [unrolled: 1-line block ×4, first 2 shown]
	v_add_f32_e32 v15, v15, v8
	v_and_b32_e32 v9, 0xffff0000, v76
	v_and_b32_e32 v8, 0xffff0000, v74
	;; [unrolled: 1-line block ×4, first 2 shown]
	v_pk_add_f32 v[50:51], v[52:53], v[50:51]
	v_add_f32_e32 v12, v12, v23
	v_pk_add_f32 v[8:9], v[48:49], v[8:9]
	v_add_f32_e32 v23, v50, v51
	v_add_f32_e32 v8, v23, v8
	;; [unrolled: 1-line block ×3, first 2 shown]
	v_and_b32_e32 v51, 0xffff0000, v64
	v_and_b32_e32 v50, 0xffff0000, v55
	;; [unrolled: 1-line block ×4, first 2 shown]
	v_add_f32_e32 v14, v14, v8
	v_and_b32_e32 v9, 0xffff0000, v68
	v_and_b32_e32 v8, 0xffff0000, v66
	;; [unrolled: 1-line block ×4, first 2 shown]
	v_pk_add_f32 v[46:47], v[46:47], v[50:51]
	v_pk_add_f32 v[8:9], v[48:49], v[8:9]
	v_add_f32_e32 v23, v46, v47
	v_add_f32_e32 v8, v23, v8
	;; [unrolled: 1-line block ×4, first 2 shown]
	v_and_b32_e32 v8, 0xffff0000, v42
	v_and_b32_e32 v42, 0xffff0000, v41
	;; [unrolled: 1-line block ×8, first 2 shown]
	v_pk_add_f32 v[38:39], v[38:39], v[40:41]
	v_pk_add_f32 v[8:9], v[42:43], v[8:9]
	v_add_f32_e32 v23, v38, v39
	v_add_f32_e32 v8, v23, v8
	;; [unrolled: 1-line block ×3, first 2 shown]
	v_and_b32_e32 v7, 0xffff0000, v7
	v_and_b32_e32 v6, 0xffff0000, v6
	;; [unrolled: 1-line block ×4, first 2 shown]
	v_add_f32_e32 v16, v16, v8
	v_and_b32_e32 v9, 0xffff0000, v29
	v_and_b32_e32 v8, 0xffff0000, v45
	v_and_b32_e32 v5, 0xffff0000, v5
	v_and_b32_e32 v4, 0xffff0000, v4
	v_pk_add_f32 v[2:3], v[2:3], v[6:7]
	v_pk_add_f32 v[4:5], v[4:5], v[8:9]
	v_add_f32_e32 v2, v2, v3
	v_add_f32_e32 v2, v2, v4
	;; [unrolled: 1-line block ×6, first 2 shown]
.LBB134_47:                             ;   in Loop: Header=BB134_48 Depth=1
	s_or_b64 exec, exec, s[12:13]
	v_add_u32_e32 v1, 2, v1
	v_cmp_le_i32_e32 vcc, s16, v1
	v_lshl_add_u64 v[20:21], v[20:21], 0, 8
	v_add_u32_e32 v30, 32, v30
	s_or_b64 s[8:9], vcc, s[8:9]
	v_add_u32_e32 v36, 0x80, v36
	s_andn2_b64 exec, exec, s[8:9]
	s_cbranch_execz .LBB134_353
.LBB134_48:                             ; =>This Inner Loop Header: Depth=1
	v_mul_hi_u32 v2, v30, s40
	v_mul_lo_u32 v3, v2, s21
	v_sub_u32_e32 v3, v30, v3
	v_add_u32_e32 v4, 1, v2
	v_cmp_le_u32_e32 vcc, s21, v3
	s_nop 1
	v_cndmask_b32_e32 v2, v2, v4, vcc
	v_subrev_u32_e32 v4, s21, v3
	v_cndmask_b32_e32 v3, v3, v4, vcc
	v_add_u32_e32 v4, 1, v2
	v_cmp_le_u32_e32 vcc, s21, v3
	s_nop 1
	v_cndmask_b32_e32 v2, v2, v4, vcc
	v_xor_b32_e32 v2, s19, v2
	v_subrev_u32_e32 v2, s19, v2
	v_add_u32_e32 v3, s41, v2
	v_sub_u32_e32 v5, 0, v3
	v_ashrrev_i32_e32 v4, 31, v3
	v_max_i32_e32 v3, v3, v5
	v_mul_hi_u32 v5, v3, v35
	v_mul_lo_u32 v5, v5, s18
	v_sub_u32_e32 v3, v3, v5
	v_subrev_u32_e32 v5, s18, v3
	v_cmp_le_u32_e32 vcc, s18, v3
	v_cmp_lt_i32_e64 s[0:1], s17, v2
	s_nop 0
	v_cndmask_b32_e32 v3, v3, v5, vcc
	v_subrev_u32_e32 v5, s18, v3
	v_cmp_le_u32_e32 vcc, s18, v3
	s_nop 1
	v_cndmask_b32_e32 v3, v3, v5, vcc
	v_xor_b32_e32 v3, v3, v4
	v_sub_u32_e32 v3, v3, v4
	v_cmp_eq_u32_e32 vcc, 0, v3
	s_or_b64 s[0:1], vcc, s[0:1]
	s_and_saveexec_b64 s[12:13], s[0:1]
	s_cbranch_execz .LBB134_47
; %bb.49:                               ;   in Loop: Header=BB134_48 Depth=1
	global_load_dword v41, v[20:21], off
	ds_read2_b64 v[6:9], v36 offset1:1
	ds_read2_b64 v[2:5], v36 offset0:2 offset1:3
                                        ; implicit-def: $vgpr37
	s_waitcnt lgkmcnt(1)
	v_and_b32_e32 v23, 0x7f800000, v6
	v_cmp_ne_u32_e32 vcc, s24, v23
	s_and_saveexec_b64 s[0:1], vcc
	s_xor_b64 s[0:1], exec, s[0:1]
; %bb.50:                               ;   in Loop: Header=BB134_48 Depth=1
	v_bfe_u32 v23, v6, 16, 1
	v_add3_u32 v37, v6, v23, s25
; %bb.51:                               ;   in Loop: Header=BB134_48 Depth=1
	s_andn2_saveexec_b64 s[0:1], s[0:1]
; %bb.52:                               ;   in Loop: Header=BB134_48 Depth=1
	v_or_b32_e32 v23, 0x10000, v6
	v_cmp_eq_u32_sdwa vcc, v6, v19 src0_sel:WORD_0 src1_sel:DWORD
	s_nop 1
	v_cndmask_b32_e32 v37, v23, v6, vcc
; %bb.53:                               ;   in Loop: Header=BB134_48 Depth=1
	s_or_b64 exec, exec, s[0:1]
	v_and_b32_e32 v6, 0x7f800000, v7
	v_cmp_ne_u32_e32 vcc, s24, v6
                                        ; implicit-def: $vgpr38
	s_and_saveexec_b64 s[0:1], vcc
	s_xor_b64 s[0:1], exec, s[0:1]
; %bb.54:                               ;   in Loop: Header=BB134_48 Depth=1
	v_bfe_u32 v6, v7, 16, 1
	v_add3_u32 v38, v7, v6, s25
; %bb.55:                               ;   in Loop: Header=BB134_48 Depth=1
	s_andn2_saveexec_b64 s[0:1], s[0:1]
; %bb.56:                               ;   in Loop: Header=BB134_48 Depth=1
	v_or_b32_e32 v6, 0x10000, v7
	v_cmp_eq_u32_sdwa vcc, v7, v19 src0_sel:WORD_0 src1_sel:DWORD
	s_nop 1
	v_cndmask_b32_e32 v38, v6, v7, vcc
; %bb.57:                               ;   in Loop: Header=BB134_48 Depth=1
	s_or_b64 exec, exec, s[0:1]
	v_and_b32_e32 v6, 0x7f800000, v8
	v_cmp_ne_u32_e32 vcc, s24, v6
                                        ; implicit-def: $vgpr39
	s_and_saveexec_b64 s[0:1], vcc
	s_xor_b64 s[0:1], exec, s[0:1]
; %bb.58:                               ;   in Loop: Header=BB134_48 Depth=1
	v_bfe_u32 v6, v8, 16, 1
	v_add3_u32 v39, v8, v6, s25
; %bb.59:                               ;   in Loop: Header=BB134_48 Depth=1
	s_andn2_saveexec_b64 s[0:1], s[0:1]
; %bb.60:                               ;   in Loop: Header=BB134_48 Depth=1
	v_or_b32_e32 v6, 0x10000, v8
	v_cmp_eq_u32_sdwa vcc, v8, v19 src0_sel:WORD_0 src1_sel:DWORD
	s_nop 1
	v_cndmask_b32_e32 v39, v6, v8, vcc
; %bb.61:                               ;   in Loop: Header=BB134_48 Depth=1
	s_or_b64 exec, exec, s[0:1]
	v_and_b32_e32 v6, 0x7f800000, v9
	v_cmp_ne_u32_e32 vcc, s24, v6
                                        ; implicit-def: $vgpr40
	s_and_saveexec_b64 s[0:1], vcc
	s_xor_b64 s[0:1], exec, s[0:1]
; %bb.62:                               ;   in Loop: Header=BB134_48 Depth=1
	v_bfe_u32 v6, v9, 16, 1
	v_add3_u32 v40, v9, v6, s25
                                        ; implicit-def: $vgpr6_vgpr7_vgpr8_vgpr9
; %bb.63:                               ;   in Loop: Header=BB134_48 Depth=1
	s_andn2_saveexec_b64 s[0:1], s[0:1]
; %bb.64:                               ;   in Loop: Header=BB134_48 Depth=1
	v_or_b32_e32 v6, 0x10000, v9
	v_cmp_eq_u32_sdwa vcc, v9, v19 src0_sel:WORD_0 src1_sel:DWORD
	s_nop 1
	v_cndmask_b32_e32 v40, v6, v9, vcc
; %bb.65:                               ;   in Loop: Header=BB134_48 Depth=1
	s_or_b64 exec, exec, s[0:1]
	s_waitcnt lgkmcnt(0)
	v_and_b32_e32 v6, 0x7f800000, v2
	v_cmp_ne_u32_e32 vcc, s24, v6
                                        ; implicit-def: $vgpr29
	s_and_saveexec_b64 s[0:1], vcc
	s_xor_b64 s[0:1], exec, s[0:1]
; %bb.66:                               ;   in Loop: Header=BB134_48 Depth=1
	v_bfe_u32 v6, v2, 16, 1
	v_add3_u32 v29, v2, v6, s25
; %bb.67:                               ;   in Loop: Header=BB134_48 Depth=1
	s_andn2_saveexec_b64 s[0:1], s[0:1]
; %bb.68:                               ;   in Loop: Header=BB134_48 Depth=1
	v_or_b32_e32 v6, 0x10000, v2
	v_cmp_eq_u32_sdwa vcc, v2, v19 src0_sel:WORD_0 src1_sel:DWORD
	s_nop 1
	v_cndmask_b32_e32 v29, v6, v2, vcc
; %bb.69:                               ;   in Loop: Header=BB134_48 Depth=1
	s_or_b64 exec, exec, s[0:1]
	v_and_b32_e32 v2, 0x7f800000, v3
	v_cmp_ne_u32_e32 vcc, s24, v2
                                        ; implicit-def: $vgpr27
	s_and_saveexec_b64 s[0:1], vcc
	s_xor_b64 s[0:1], exec, s[0:1]
; %bb.70:                               ;   in Loop: Header=BB134_48 Depth=1
	v_bfe_u32 v2, v3, 16, 1
	v_add3_u32 v27, v3, v2, s25
; %bb.71:                               ;   in Loop: Header=BB134_48 Depth=1
	s_andn2_saveexec_b64 s[0:1], s[0:1]
; %bb.72:                               ;   in Loop: Header=BB134_48 Depth=1
	v_or_b32_e32 v2, 0x10000, v3
	v_cmp_eq_u32_sdwa vcc, v3, v19 src0_sel:WORD_0 src1_sel:DWORD
	s_nop 1
	v_cndmask_b32_e32 v27, v2, v3, vcc
; %bb.73:                               ;   in Loop: Header=BB134_48 Depth=1
	s_or_b64 exec, exec, s[0:1]
	v_and_b32_e32 v2, 0x7f800000, v4
	v_cmp_ne_u32_e32 vcc, s24, v2
                                        ; implicit-def: $vgpr25
	s_and_saveexec_b64 s[0:1], vcc
	s_xor_b64 s[0:1], exec, s[0:1]
; %bb.74:                               ;   in Loop: Header=BB134_48 Depth=1
	v_bfe_u32 v2, v4, 16, 1
	v_add3_u32 v25, v4, v2, s25
; %bb.75:                               ;   in Loop: Header=BB134_48 Depth=1
	s_andn2_saveexec_b64 s[0:1], s[0:1]
; %bb.76:                               ;   in Loop: Header=BB134_48 Depth=1
	v_or_b32_e32 v2, 0x10000, v4
	v_cmp_eq_u32_sdwa vcc, v4, v19 src0_sel:WORD_0 src1_sel:DWORD
	s_nop 1
	v_cndmask_b32_e32 v25, v2, v4, vcc
; %bb.77:                               ;   in Loop: Header=BB134_48 Depth=1
	s_or_b64 exec, exec, s[0:1]
	v_and_b32_e32 v2, 0x7f800000, v5
	v_cmp_ne_u32_e32 vcc, s24, v2
                                        ; implicit-def: $vgpr23
	s_and_saveexec_b64 s[0:1], vcc
	s_xor_b64 s[0:1], exec, s[0:1]
; %bb.78:                               ;   in Loop: Header=BB134_48 Depth=1
	v_bfe_u32 v2, v5, 16, 1
	v_add3_u32 v23, v5, v2, s25
                                        ; implicit-def: $vgpr2_vgpr3_vgpr4_vgpr5
; %bb.79:                               ;   in Loop: Header=BB134_48 Depth=1
	s_andn2_saveexec_b64 s[0:1], s[0:1]
; %bb.80:                               ;   in Loop: Header=BB134_48 Depth=1
	v_or_b32_e32 v2, 0x10000, v5
	v_cmp_eq_u32_sdwa vcc, v5, v19 src0_sel:WORD_0 src1_sel:DWORD
	s_nop 1
	v_cndmask_b32_e32 v23, v2, v5, vcc
; %bb.81:                               ;   in Loop: Header=BB134_48 Depth=1
	s_or_b64 exec, exec, s[0:1]
	s_waitcnt vmcnt(0)
	v_mad_i64_i32 v[2:3], s[0:1], v41, s28, 0
	v_lshl_add_u64 v[6:7], v[2:3], 1, s[6:7]
	v_lshl_add_u64 v[8:9], v[6:7], 0, v[18:19]
	global_load_dwordx4 v[2:5], v[8:9], off
	v_add_u32_e32 v45, v34, v30
	v_cmp_eq_u32_e32 vcc, s29, v1
	v_add_u32_e32 v53, 1, v45
	v_add_u32_e32 v52, 2, v45
	;; [unrolled: 1-line block ×7, first 2 shown]
	s_waitcnt vmcnt(0)
	v_lshrrev_b32_e32 v43, 16, v2
	v_lshrrev_b32_e32 v41, 16, v3
	;; [unrolled: 1-line block ×4, first 2 shown]
	s_and_saveexec_b64 s[14:15], vcc
	s_cbranch_execz .LBB134_83
; %bb.82:                               ;   in Loop: Header=BB134_48 Depth=1
	v_cmp_gt_i32_e64 s[0:1], s33, v45
	s_nop 1
	v_cndmask_b32_e64 v2, 0, v2, s[0:1]
	v_cmp_gt_i32_e64 s[0:1], s33, v53
	s_nop 1
	v_cndmask_b32_e64 v43, 0, v43, s[0:1]
	v_cmp_gt_i32_e64 s[0:1], s33, v52
	s_nop 1
	v_cndmask_b32_e64 v3, 0, v3, s[0:1]
	v_cmp_gt_i32_e64 s[0:1], s33, v50
	s_nop 1
	v_cndmask_b32_e64 v41, 0, v41, s[0:1]
	v_cmp_gt_i32_e64 s[0:1], s33, v49
	s_nop 1
	v_cndmask_b32_e64 v4, 0, v4, s[0:1]
	v_cmp_gt_i32_e64 s[0:1], s33, v48
	s_nop 1
	v_cndmask_b32_e64 v42, 0, v42, s[0:1]
	v_cmp_gt_i32_e64 s[0:1], s33, v47
	s_nop 1
	v_cndmask_b32_e64 v5, 0, v5, s[0:1]
	v_cmp_gt_i32_e64 s[0:1], s33, v51
	s_nop 1
	v_cndmask_b32_e64 v44, 0, v44, s[0:1]
.LBB134_83:                             ;   in Loop: Header=BB134_48 Depth=1
	s_or_b64 exec, exec, s[14:15]
	v_and_b32_e32 v54, 0xffff0000, v37
	v_lshlrev_b32_e32 v2, 16, v2
	v_mul_f32_e32 v2, v54, v2
	v_and_b32_e32 v37, 0x7f800000, v2
	v_cmp_ne_u32_e64 s[0:1], s24, v37
                                        ; implicit-def: $vgpr37
	s_and_saveexec_b64 s[14:15], s[0:1]
	s_xor_b64 s[0:1], exec, s[14:15]
; %bb.84:                               ;   in Loop: Header=BB134_48 Depth=1
	v_bfe_u32 v37, v2, 16, 1
	v_add3_u32 v37, v2, v37, s25
                                        ; implicit-def: $vgpr2
; %bb.85:                               ;   in Loop: Header=BB134_48 Depth=1
	s_andn2_saveexec_b64 s[14:15], s[0:1]
; %bb.86:                               ;   in Loop: Header=BB134_48 Depth=1
	v_or_b32_e32 v37, 0x10000, v2
	v_cmp_eq_u32_sdwa s[0:1], v2, v19 src0_sel:WORD_0 src1_sel:DWORD
	s_nop 1
	v_cndmask_b32_e64 v37, v37, v2, s[0:1]
; %bb.87:                               ;   in Loop: Header=BB134_48 Depth=1
	s_or_b64 exec, exec, s[14:15]
	v_and_b32_e32 v56, 0xffff0000, v38
	v_lshlrev_b32_e32 v2, 16, v43
	v_mul_f32_e32 v2, v56, v2
	v_and_b32_e32 v38, 0x7f800000, v2
	v_cmp_ne_u32_e64 s[0:1], s24, v38
                                        ; implicit-def: $vgpr38
	s_and_saveexec_b64 s[14:15], s[0:1]
	s_xor_b64 s[0:1], exec, s[14:15]
; %bb.88:                               ;   in Loop: Header=BB134_48 Depth=1
	v_bfe_u32 v38, v2, 16, 1
	v_add3_u32 v38, v2, v38, s25
                                        ; implicit-def: $vgpr2
; %bb.89:                               ;   in Loop: Header=BB134_48 Depth=1
	s_andn2_saveexec_b64 s[14:15], s[0:1]
; %bb.90:                               ;   in Loop: Header=BB134_48 Depth=1
	v_or_b32_e32 v38, 0x10000, v2
	v_cmp_eq_u32_sdwa s[0:1], v2, v19 src0_sel:WORD_0 src1_sel:DWORD
	s_nop 1
	v_cndmask_b32_e64 v38, v38, v2, s[0:1]
; %bb.91:                               ;   in Loop: Header=BB134_48 Depth=1
	s_or_b64 exec, exec, s[14:15]
	v_and_b32_e32 v57, 0xffff0000, v39
	v_lshlrev_b32_e32 v2, 16, v3
	v_mul_f32_e32 v2, v57, v2
	v_and_b32_e32 v3, 0x7f800000, v2
	v_cmp_ne_u32_e64 s[0:1], s24, v3
                                        ; implicit-def: $vgpr39
	s_and_saveexec_b64 s[14:15], s[0:1]
	s_xor_b64 s[0:1], exec, s[14:15]
; %bb.92:                               ;   in Loop: Header=BB134_48 Depth=1
	v_bfe_u32 v3, v2, 16, 1
	v_add3_u32 v39, v2, v3, s25
                                        ; implicit-def: $vgpr2
; %bb.93:                               ;   in Loop: Header=BB134_48 Depth=1
	s_andn2_saveexec_b64 s[14:15], s[0:1]
; %bb.94:                               ;   in Loop: Header=BB134_48 Depth=1
	v_or_b32_e32 v3, 0x10000, v2
	v_cmp_eq_u32_sdwa s[0:1], v2, v19 src0_sel:WORD_0 src1_sel:DWORD
	s_nop 1
	v_cndmask_b32_e64 v39, v3, v2, s[0:1]
; %bb.95:                               ;   in Loop: Header=BB134_48 Depth=1
	s_or_b64 exec, exec, s[14:15]
	v_and_b32_e32 v58, 0xffff0000, v40
	v_lshlrev_b32_e32 v2, 16, v41
	v_mul_f32_e32 v2, v58, v2
	v_and_b32_e32 v3, 0x7f800000, v2
	v_cmp_ne_u32_e64 s[0:1], s24, v3
                                        ; implicit-def: $vgpr40
	s_and_saveexec_b64 s[14:15], s[0:1]
	s_xor_b64 s[0:1], exec, s[14:15]
; %bb.96:                               ;   in Loop: Header=BB134_48 Depth=1
	v_bfe_u32 v3, v2, 16, 1
	v_add3_u32 v40, v2, v3, s25
                                        ; implicit-def: $vgpr2
; %bb.97:                               ;   in Loop: Header=BB134_48 Depth=1
	s_andn2_saveexec_b64 s[14:15], s[0:1]
; %bb.98:                               ;   in Loop: Header=BB134_48 Depth=1
	v_or_b32_e32 v3, 0x10000, v2
	v_cmp_eq_u32_sdwa s[0:1], v2, v19 src0_sel:WORD_0 src1_sel:DWORD
	s_nop 1
	v_cndmask_b32_e64 v40, v3, v2, s[0:1]
; %bb.99:                               ;   in Loop: Header=BB134_48 Depth=1
	s_or_b64 exec, exec, s[14:15]
	v_and_b32_e32 v59, 0xffff0000, v29
	v_lshlrev_b32_e32 v2, 16, v4
	v_mul_f32_e32 v2, v59, v2
	v_and_b32_e32 v3, 0x7f800000, v2
	v_cmp_ne_u32_e64 s[0:1], s24, v3
                                        ; implicit-def: $vgpr41
	s_and_saveexec_b64 s[14:15], s[0:1]
	s_xor_b64 s[0:1], exec, s[14:15]
; %bb.100:                              ;   in Loop: Header=BB134_48 Depth=1
	v_bfe_u32 v3, v2, 16, 1
	v_add3_u32 v41, v2, v3, s25
                                        ; implicit-def: $vgpr2
; %bb.101:                              ;   in Loop: Header=BB134_48 Depth=1
	s_andn2_saveexec_b64 s[14:15], s[0:1]
; %bb.102:                              ;   in Loop: Header=BB134_48 Depth=1
	v_or_b32_e32 v3, 0x10000, v2
	v_cmp_eq_u32_sdwa s[0:1], v2, v19 src0_sel:WORD_0 src1_sel:DWORD
	s_nop 1
	v_cndmask_b32_e64 v41, v3, v2, s[0:1]
; %bb.103:                              ;   in Loop: Header=BB134_48 Depth=1
	s_or_b64 exec, exec, s[14:15]
	v_and_b32_e32 v60, 0xffff0000, v27
	v_lshlrev_b32_e32 v2, 16, v42
	v_mul_f32_e32 v2, v60, v2
	v_and_b32_e32 v3, 0x7f800000, v2
	v_cmp_ne_u32_e64 s[0:1], s24, v3
                                        ; implicit-def: $vgpr42
	s_and_saveexec_b64 s[14:15], s[0:1]
	s_xor_b64 s[0:1], exec, s[14:15]
; %bb.104:                              ;   in Loop: Header=BB134_48 Depth=1
	v_bfe_u32 v3, v2, 16, 1
	v_add3_u32 v42, v2, v3, s25
                                        ; implicit-def: $vgpr2
; %bb.105:                              ;   in Loop: Header=BB134_48 Depth=1
	s_andn2_saveexec_b64 s[14:15], s[0:1]
; %bb.106:                              ;   in Loop: Header=BB134_48 Depth=1
	v_or_b32_e32 v3, 0x10000, v2
	v_cmp_eq_u32_sdwa s[0:1], v2, v19 src0_sel:WORD_0 src1_sel:DWORD
	s_nop 1
	v_cndmask_b32_e64 v42, v3, v2, s[0:1]
; %bb.107:                              ;   in Loop: Header=BB134_48 Depth=1
	s_or_b64 exec, exec, s[14:15]
	v_and_b32_e32 v61, 0xffff0000, v25
	v_lshlrev_b32_e32 v2, 16, v5
	v_mul_f32_e32 v2, v61, v2
	v_and_b32_e32 v3, 0x7f800000, v2
	v_cmp_ne_u32_e64 s[0:1], s24, v3
                                        ; implicit-def: $vgpr43
	s_and_saveexec_b64 s[14:15], s[0:1]
	s_xor_b64 s[0:1], exec, s[14:15]
; %bb.108:                              ;   in Loop: Header=BB134_48 Depth=1
	v_bfe_u32 v3, v2, 16, 1
	v_add3_u32 v43, v2, v3, s25
                                        ; implicit-def: $vgpr2
; %bb.109:                              ;   in Loop: Header=BB134_48 Depth=1
	s_andn2_saveexec_b64 s[14:15], s[0:1]
; %bb.110:                              ;   in Loop: Header=BB134_48 Depth=1
	v_or_b32_e32 v3, 0x10000, v2
	v_cmp_eq_u32_sdwa s[0:1], v2, v19 src0_sel:WORD_0 src1_sel:DWORD
	s_nop 1
	v_cndmask_b32_e64 v43, v3, v2, s[0:1]
; %bb.111:                              ;   in Loop: Header=BB134_48 Depth=1
	s_or_b64 exec, exec, s[14:15]
	v_and_b32_e32 v62, 0xffff0000, v23
	v_lshlrev_b32_e32 v2, 16, v44
	v_mul_f32_e32 v2, v62, v2
	v_and_b32_e32 v3, 0x7f800000, v2
	v_cmp_ne_u32_e64 s[0:1], s24, v3
                                        ; implicit-def: $vgpr44
	s_and_saveexec_b64 s[14:15], s[0:1]
	s_xor_b64 s[0:1], exec, s[14:15]
; %bb.112:                              ;   in Loop: Header=BB134_48 Depth=1
	v_bfe_u32 v3, v2, 16, 1
	v_add3_u32 v44, v2, v3, s25
                                        ; implicit-def: $vgpr2
; %bb.113:                              ;   in Loop: Header=BB134_48 Depth=1
	s_andn2_saveexec_b64 s[14:15], s[0:1]
; %bb.114:                              ;   in Loop: Header=BB134_48 Depth=1
	v_or_b32_e32 v3, 0x10000, v2
	v_cmp_eq_u32_sdwa s[0:1], v2, v19 src0_sel:WORD_0 src1_sel:DWORD
	s_nop 1
	v_cndmask_b32_e64 v44, v3, v2, s[0:1]
; %bb.115:                              ;   in Loop: Header=BB134_48 Depth=1
	s_or_b64 exec, exec, s[14:15]
	global_load_dwordx4 v[2:5], v[8:9], off offset:1024
	s_waitcnt vmcnt(0)
	v_lshrrev_b32_e32 v29, 16, v2
	v_lshrrev_b32_e32 v27, 16, v3
	;; [unrolled: 1-line block ×4, first 2 shown]
	s_and_saveexec_b64 s[14:15], vcc
	s_cbranch_execz .LBB134_117
; %bb.116:                              ;   in Loop: Header=BB134_48 Depth=1
	v_cmp_gt_i32_e64 s[0:1], s33, v45
	s_nop 1
	v_cndmask_b32_e64 v2, 0, v2, s[0:1]
	v_cmp_gt_i32_e64 s[0:1], s33, v53
	s_nop 1
	v_cndmask_b32_e64 v29, 0, v29, s[0:1]
	;; [unrolled: 3-line block ×8, first 2 shown]
.LBB134_117:                            ;   in Loop: Header=BB134_48 Depth=1
	s_or_b64 exec, exec, s[14:15]
	v_lshlrev_b32_e32 v2, 16, v2
	v_mul_f32_e32 v2, v54, v2
	v_and_b32_e32 v46, 0x7f800000, v2
	v_cmp_ne_u32_e64 s[0:1], s24, v46
                                        ; implicit-def: $vgpr46
	s_and_saveexec_b64 s[14:15], s[0:1]
	s_xor_b64 s[0:1], exec, s[14:15]
; %bb.118:                              ;   in Loop: Header=BB134_48 Depth=1
	v_bfe_u32 v46, v2, 16, 1
	v_add3_u32 v46, v2, v46, s25
                                        ; implicit-def: $vgpr2
; %bb.119:                              ;   in Loop: Header=BB134_48 Depth=1
	s_andn2_saveexec_b64 s[14:15], s[0:1]
; %bb.120:                              ;   in Loop: Header=BB134_48 Depth=1
	v_or_b32_e32 v46, 0x10000, v2
	v_cmp_eq_u32_sdwa s[0:1], v2, v19 src0_sel:WORD_0 src1_sel:DWORD
	s_nop 1
	v_cndmask_b32_e64 v46, v46, v2, s[0:1]
; %bb.121:                              ;   in Loop: Header=BB134_48 Depth=1
	s_or_b64 exec, exec, s[14:15]
	v_lshlrev_b32_e32 v2, 16, v29
	v_mul_f32_e32 v2, v56, v2
	v_and_b32_e32 v29, 0x7f800000, v2
	v_cmp_ne_u32_e64 s[0:1], s24, v29
                                        ; implicit-def: $vgpr55
	s_and_saveexec_b64 s[14:15], s[0:1]
	s_xor_b64 s[0:1], exec, s[14:15]
; %bb.122:                              ;   in Loop: Header=BB134_48 Depth=1
	v_bfe_u32 v29, v2, 16, 1
	v_add3_u32 v55, v2, v29, s25
                                        ; implicit-def: $vgpr2
; %bb.123:                              ;   in Loop: Header=BB134_48 Depth=1
	s_andn2_saveexec_b64 s[14:15], s[0:1]
; %bb.124:                              ;   in Loop: Header=BB134_48 Depth=1
	v_or_b32_e32 v29, 0x10000, v2
	v_cmp_eq_u32_sdwa s[0:1], v2, v19 src0_sel:WORD_0 src1_sel:DWORD
	s_nop 1
	v_cndmask_b32_e64 v55, v29, v2, s[0:1]
; %bb.125:                              ;   in Loop: Header=BB134_48 Depth=1
	s_or_b64 exec, exec, s[14:15]
	v_lshlrev_b32_e32 v2, 16, v3
	v_mul_f32_e32 v2, v57, v2
	v_and_b32_e32 v3, 0x7f800000, v2
	v_cmp_ne_u32_e64 s[0:1], s24, v3
                                        ; implicit-def: $vgpr63
	s_and_saveexec_b64 s[14:15], s[0:1]
	s_xor_b64 s[0:1], exec, s[14:15]
; %bb.126:                              ;   in Loop: Header=BB134_48 Depth=1
	v_bfe_u32 v3, v2, 16, 1
	v_add3_u32 v63, v2, v3, s25
                                        ; implicit-def: $vgpr2
; %bb.127:                              ;   in Loop: Header=BB134_48 Depth=1
	s_andn2_saveexec_b64 s[14:15], s[0:1]
; %bb.128:                              ;   in Loop: Header=BB134_48 Depth=1
	v_or_b32_e32 v3, 0x10000, v2
	v_cmp_eq_u32_sdwa s[0:1], v2, v19 src0_sel:WORD_0 src1_sel:DWORD
	s_nop 1
	v_cndmask_b32_e64 v63, v3, v2, s[0:1]
; %bb.129:                              ;   in Loop: Header=BB134_48 Depth=1
	s_or_b64 exec, exec, s[14:15]
	v_lshlrev_b32_e32 v2, 16, v27
	v_mul_f32_e32 v2, v58, v2
	v_and_b32_e32 v3, 0x7f800000, v2
	v_cmp_ne_u32_e64 s[0:1], s24, v3
                                        ; implicit-def: $vgpr64
	s_and_saveexec_b64 s[14:15], s[0:1]
	s_xor_b64 s[0:1], exec, s[14:15]
; %bb.130:                              ;   in Loop: Header=BB134_48 Depth=1
	v_bfe_u32 v3, v2, 16, 1
	v_add3_u32 v64, v2, v3, s25
                                        ; implicit-def: $vgpr2
; %bb.131:                              ;   in Loop: Header=BB134_48 Depth=1
	s_andn2_saveexec_b64 s[14:15], s[0:1]
; %bb.132:                              ;   in Loop: Header=BB134_48 Depth=1
	v_or_b32_e32 v3, 0x10000, v2
	v_cmp_eq_u32_sdwa s[0:1], v2, v19 src0_sel:WORD_0 src1_sel:DWORD
	s_nop 1
	v_cndmask_b32_e64 v64, v3, v2, s[0:1]
; %bb.133:                              ;   in Loop: Header=BB134_48 Depth=1
	s_or_b64 exec, exec, s[14:15]
	v_lshlrev_b32_e32 v2, 16, v4
	v_mul_f32_e32 v2, v59, v2
	v_and_b32_e32 v3, 0x7f800000, v2
	v_cmp_ne_u32_e64 s[0:1], s24, v3
                                        ; implicit-def: $vgpr65
	s_and_saveexec_b64 s[14:15], s[0:1]
	s_xor_b64 s[0:1], exec, s[14:15]
; %bb.134:                              ;   in Loop: Header=BB134_48 Depth=1
	v_bfe_u32 v3, v2, 16, 1
	v_add3_u32 v65, v2, v3, s25
                                        ; implicit-def: $vgpr2
; %bb.135:                              ;   in Loop: Header=BB134_48 Depth=1
	s_andn2_saveexec_b64 s[14:15], s[0:1]
; %bb.136:                              ;   in Loop: Header=BB134_48 Depth=1
	v_or_b32_e32 v3, 0x10000, v2
	v_cmp_eq_u32_sdwa s[0:1], v2, v19 src0_sel:WORD_0 src1_sel:DWORD
	s_nop 1
	v_cndmask_b32_e64 v65, v3, v2, s[0:1]
; %bb.137:                              ;   in Loop: Header=BB134_48 Depth=1
	s_or_b64 exec, exec, s[14:15]
	v_lshlrev_b32_e32 v2, 16, v25
	v_mul_f32_e32 v2, v60, v2
	v_and_b32_e32 v3, 0x7f800000, v2
	v_cmp_ne_u32_e64 s[0:1], s24, v3
                                        ; implicit-def: $vgpr66
	s_and_saveexec_b64 s[14:15], s[0:1]
	s_xor_b64 s[0:1], exec, s[14:15]
; %bb.138:                              ;   in Loop: Header=BB134_48 Depth=1
	v_bfe_u32 v3, v2, 16, 1
	v_add3_u32 v66, v2, v3, s25
                                        ; implicit-def: $vgpr2
; %bb.139:                              ;   in Loop: Header=BB134_48 Depth=1
	s_andn2_saveexec_b64 s[14:15], s[0:1]
; %bb.140:                              ;   in Loop: Header=BB134_48 Depth=1
	v_or_b32_e32 v3, 0x10000, v2
	v_cmp_eq_u32_sdwa s[0:1], v2, v19 src0_sel:WORD_0 src1_sel:DWORD
	s_nop 1
	v_cndmask_b32_e64 v66, v3, v2, s[0:1]
; %bb.141:                              ;   in Loop: Header=BB134_48 Depth=1
	s_or_b64 exec, exec, s[14:15]
	v_lshlrev_b32_e32 v2, 16, v5
	v_mul_f32_e32 v2, v61, v2
	v_and_b32_e32 v3, 0x7f800000, v2
	v_cmp_ne_u32_e64 s[0:1], s24, v3
                                        ; implicit-def: $vgpr67
	s_and_saveexec_b64 s[14:15], s[0:1]
	s_xor_b64 s[0:1], exec, s[14:15]
; %bb.142:                              ;   in Loop: Header=BB134_48 Depth=1
	v_bfe_u32 v3, v2, 16, 1
	v_add3_u32 v67, v2, v3, s25
                                        ; implicit-def: $vgpr2
; %bb.143:                              ;   in Loop: Header=BB134_48 Depth=1
	s_andn2_saveexec_b64 s[14:15], s[0:1]
; %bb.144:                              ;   in Loop: Header=BB134_48 Depth=1
	v_or_b32_e32 v3, 0x10000, v2
	v_cmp_eq_u32_sdwa s[0:1], v2, v19 src0_sel:WORD_0 src1_sel:DWORD
	s_nop 1
	v_cndmask_b32_e64 v67, v3, v2, s[0:1]
; %bb.145:                              ;   in Loop: Header=BB134_48 Depth=1
	s_or_b64 exec, exec, s[14:15]
	v_lshlrev_b32_e32 v2, 16, v23
	v_mul_f32_e32 v2, v62, v2
	v_and_b32_e32 v3, 0x7f800000, v2
	v_cmp_ne_u32_e64 s[0:1], s24, v3
                                        ; implicit-def: $vgpr68
	s_and_saveexec_b64 s[14:15], s[0:1]
	s_xor_b64 s[0:1], exec, s[14:15]
; %bb.146:                              ;   in Loop: Header=BB134_48 Depth=1
	v_bfe_u32 v3, v2, 16, 1
	v_add3_u32 v68, v2, v3, s25
                                        ; implicit-def: $vgpr2
; %bb.147:                              ;   in Loop: Header=BB134_48 Depth=1
	s_andn2_saveexec_b64 s[14:15], s[0:1]
; %bb.148:                              ;   in Loop: Header=BB134_48 Depth=1
	v_or_b32_e32 v3, 0x10000, v2
	v_cmp_eq_u32_sdwa s[0:1], v2, v19 src0_sel:WORD_0 src1_sel:DWORD
	s_nop 1
	v_cndmask_b32_e64 v68, v3, v2, s[0:1]
; %bb.149:                              ;   in Loop: Header=BB134_48 Depth=1
	s_or_b64 exec, exec, s[14:15]
	global_load_dwordx4 v[2:5], v[8:9], off offset:2048
	s_waitcnt vmcnt(0)
	v_lshrrev_b32_e32 v29, 16, v2
	v_lshrrev_b32_e32 v27, 16, v3
	;; [unrolled: 1-line block ×4, first 2 shown]
	s_and_saveexec_b64 s[14:15], vcc
	s_cbranch_execz .LBB134_151
; %bb.150:                              ;   in Loop: Header=BB134_48 Depth=1
	v_cmp_gt_i32_e64 s[0:1], s33, v45
	s_nop 1
	v_cndmask_b32_e64 v2, 0, v2, s[0:1]
	v_cmp_gt_i32_e64 s[0:1], s33, v53
	s_nop 1
	v_cndmask_b32_e64 v29, 0, v29, s[0:1]
	v_cmp_gt_i32_e64 s[0:1], s33, v52
	s_nop 1
	v_cndmask_b32_e64 v3, 0, v3, s[0:1]
	v_cmp_gt_i32_e64 s[0:1], s33, v50
	s_nop 1
	v_cndmask_b32_e64 v27, 0, v27, s[0:1]
	v_cmp_gt_i32_e64 s[0:1], s33, v49
	s_nop 1
	v_cndmask_b32_e64 v4, 0, v4, s[0:1]
	v_cmp_gt_i32_e64 s[0:1], s33, v48
	s_nop 1
	v_cndmask_b32_e64 v25, 0, v25, s[0:1]
	v_cmp_gt_i32_e64 s[0:1], s33, v47
	s_nop 1
	v_cndmask_b32_e64 v5, 0, v5, s[0:1]
	v_cmp_gt_i32_e64 s[0:1], s33, v51
	s_nop 1
	v_cndmask_b32_e64 v23, 0, v23, s[0:1]
.LBB134_151:                            ;   in Loop: Header=BB134_48 Depth=1
	s_or_b64 exec, exec, s[14:15]
	v_lshlrev_b32_e32 v2, 16, v2
	v_mul_f32_e32 v2, v54, v2
	v_and_b32_e32 v69, 0x7f800000, v2
	v_cmp_ne_u32_e64 s[0:1], s24, v69
                                        ; implicit-def: $vgpr69
	s_and_saveexec_b64 s[14:15], s[0:1]
	s_xor_b64 s[0:1], exec, s[14:15]
; %bb.152:                              ;   in Loop: Header=BB134_48 Depth=1
	v_bfe_u32 v69, v2, 16, 1
	v_add3_u32 v69, v2, v69, s25
                                        ; implicit-def: $vgpr2
; %bb.153:                              ;   in Loop: Header=BB134_48 Depth=1
	s_andn2_saveexec_b64 s[14:15], s[0:1]
; %bb.154:                              ;   in Loop: Header=BB134_48 Depth=1
	v_or_b32_e32 v69, 0x10000, v2
	v_cmp_eq_u32_sdwa s[0:1], v2, v19 src0_sel:WORD_0 src1_sel:DWORD
	s_nop 1
	v_cndmask_b32_e64 v69, v69, v2, s[0:1]
; %bb.155:                              ;   in Loop: Header=BB134_48 Depth=1
	s_or_b64 exec, exec, s[14:15]
	v_lshlrev_b32_e32 v2, 16, v29
	v_mul_f32_e32 v2, v56, v2
	v_and_b32_e32 v29, 0x7f800000, v2
	v_cmp_ne_u32_e64 s[0:1], s24, v29
                                        ; implicit-def: $vgpr70
	s_and_saveexec_b64 s[14:15], s[0:1]
	s_xor_b64 s[0:1], exec, s[14:15]
; %bb.156:                              ;   in Loop: Header=BB134_48 Depth=1
	v_bfe_u32 v29, v2, 16, 1
	v_add3_u32 v70, v2, v29, s25
                                        ; implicit-def: $vgpr2
; %bb.157:                              ;   in Loop: Header=BB134_48 Depth=1
	s_andn2_saveexec_b64 s[14:15], s[0:1]
; %bb.158:                              ;   in Loop: Header=BB134_48 Depth=1
	v_or_b32_e32 v29, 0x10000, v2
	v_cmp_eq_u32_sdwa s[0:1], v2, v19 src0_sel:WORD_0 src1_sel:DWORD
	s_nop 1
	v_cndmask_b32_e64 v70, v29, v2, s[0:1]
; %bb.159:                              ;   in Loop: Header=BB134_48 Depth=1
	s_or_b64 exec, exec, s[14:15]
	v_lshlrev_b32_e32 v2, 16, v3
	v_mul_f32_e32 v2, v57, v2
	v_and_b32_e32 v3, 0x7f800000, v2
	v_cmp_ne_u32_e64 s[0:1], s24, v3
                                        ; implicit-def: $vgpr71
	s_and_saveexec_b64 s[14:15], s[0:1]
	s_xor_b64 s[0:1], exec, s[14:15]
; %bb.160:                              ;   in Loop: Header=BB134_48 Depth=1
	v_bfe_u32 v3, v2, 16, 1
	v_add3_u32 v71, v2, v3, s25
                                        ; implicit-def: $vgpr2
; %bb.161:                              ;   in Loop: Header=BB134_48 Depth=1
	s_andn2_saveexec_b64 s[14:15], s[0:1]
; %bb.162:                              ;   in Loop: Header=BB134_48 Depth=1
	v_or_b32_e32 v3, 0x10000, v2
	v_cmp_eq_u32_sdwa s[0:1], v2, v19 src0_sel:WORD_0 src1_sel:DWORD
	s_nop 1
	v_cndmask_b32_e64 v71, v3, v2, s[0:1]
; %bb.163:                              ;   in Loop: Header=BB134_48 Depth=1
	s_or_b64 exec, exec, s[14:15]
	v_lshlrev_b32_e32 v2, 16, v27
	v_mul_f32_e32 v2, v58, v2
	v_and_b32_e32 v3, 0x7f800000, v2
	v_cmp_ne_u32_e64 s[0:1], s24, v3
                                        ; implicit-def: $vgpr72
	s_and_saveexec_b64 s[14:15], s[0:1]
	s_xor_b64 s[0:1], exec, s[14:15]
; %bb.164:                              ;   in Loop: Header=BB134_48 Depth=1
	v_bfe_u32 v3, v2, 16, 1
	v_add3_u32 v72, v2, v3, s25
                                        ; implicit-def: $vgpr2
; %bb.165:                              ;   in Loop: Header=BB134_48 Depth=1
	s_andn2_saveexec_b64 s[14:15], s[0:1]
; %bb.166:                              ;   in Loop: Header=BB134_48 Depth=1
	v_or_b32_e32 v3, 0x10000, v2
	v_cmp_eq_u32_sdwa s[0:1], v2, v19 src0_sel:WORD_0 src1_sel:DWORD
	s_nop 1
	v_cndmask_b32_e64 v72, v3, v2, s[0:1]
; %bb.167:                              ;   in Loop: Header=BB134_48 Depth=1
	s_or_b64 exec, exec, s[14:15]
	v_lshlrev_b32_e32 v2, 16, v4
	v_mul_f32_e32 v2, v59, v2
	v_and_b32_e32 v3, 0x7f800000, v2
	v_cmp_ne_u32_e64 s[0:1], s24, v3
                                        ; implicit-def: $vgpr73
	s_and_saveexec_b64 s[14:15], s[0:1]
	s_xor_b64 s[0:1], exec, s[14:15]
; %bb.168:                              ;   in Loop: Header=BB134_48 Depth=1
	v_bfe_u32 v3, v2, 16, 1
	v_add3_u32 v73, v2, v3, s25
                                        ; implicit-def: $vgpr2
; %bb.169:                              ;   in Loop: Header=BB134_48 Depth=1
	s_andn2_saveexec_b64 s[14:15], s[0:1]
; %bb.170:                              ;   in Loop: Header=BB134_48 Depth=1
	v_or_b32_e32 v3, 0x10000, v2
	v_cmp_eq_u32_sdwa s[0:1], v2, v19 src0_sel:WORD_0 src1_sel:DWORD
	s_nop 1
	v_cndmask_b32_e64 v73, v3, v2, s[0:1]
; %bb.171:                              ;   in Loop: Header=BB134_48 Depth=1
	s_or_b64 exec, exec, s[14:15]
	v_lshlrev_b32_e32 v2, 16, v25
	v_mul_f32_e32 v2, v60, v2
	v_and_b32_e32 v3, 0x7f800000, v2
	v_cmp_ne_u32_e64 s[0:1], s24, v3
                                        ; implicit-def: $vgpr74
	s_and_saveexec_b64 s[14:15], s[0:1]
	s_xor_b64 s[0:1], exec, s[14:15]
; %bb.172:                              ;   in Loop: Header=BB134_48 Depth=1
	v_bfe_u32 v3, v2, 16, 1
	v_add3_u32 v74, v2, v3, s25
                                        ; implicit-def: $vgpr2
; %bb.173:                              ;   in Loop: Header=BB134_48 Depth=1
	s_andn2_saveexec_b64 s[14:15], s[0:1]
; %bb.174:                              ;   in Loop: Header=BB134_48 Depth=1
	v_or_b32_e32 v3, 0x10000, v2
	v_cmp_eq_u32_sdwa s[0:1], v2, v19 src0_sel:WORD_0 src1_sel:DWORD
	s_nop 1
	v_cndmask_b32_e64 v74, v3, v2, s[0:1]
; %bb.175:                              ;   in Loop: Header=BB134_48 Depth=1
	s_or_b64 exec, exec, s[14:15]
	v_lshlrev_b32_e32 v2, 16, v5
	v_mul_f32_e32 v2, v61, v2
	v_and_b32_e32 v3, 0x7f800000, v2
	v_cmp_ne_u32_e64 s[0:1], s24, v3
                                        ; implicit-def: $vgpr75
	s_and_saveexec_b64 s[14:15], s[0:1]
	s_xor_b64 s[0:1], exec, s[14:15]
; %bb.176:                              ;   in Loop: Header=BB134_48 Depth=1
	v_bfe_u32 v3, v2, 16, 1
	v_add3_u32 v75, v2, v3, s25
                                        ; implicit-def: $vgpr2
; %bb.177:                              ;   in Loop: Header=BB134_48 Depth=1
	s_andn2_saveexec_b64 s[14:15], s[0:1]
; %bb.178:                              ;   in Loop: Header=BB134_48 Depth=1
	v_or_b32_e32 v3, 0x10000, v2
	v_cmp_eq_u32_sdwa s[0:1], v2, v19 src0_sel:WORD_0 src1_sel:DWORD
	s_nop 1
	v_cndmask_b32_e64 v75, v3, v2, s[0:1]
; %bb.179:                              ;   in Loop: Header=BB134_48 Depth=1
	s_or_b64 exec, exec, s[14:15]
	v_lshlrev_b32_e32 v2, 16, v23
	v_mul_f32_e32 v2, v62, v2
	v_and_b32_e32 v3, 0x7f800000, v2
	v_cmp_ne_u32_e64 s[0:1], s24, v3
                                        ; implicit-def: $vgpr76
	s_and_saveexec_b64 s[14:15], s[0:1]
	s_xor_b64 s[0:1], exec, s[14:15]
; %bb.180:                              ;   in Loop: Header=BB134_48 Depth=1
	v_bfe_u32 v3, v2, 16, 1
	v_add3_u32 v76, v2, v3, s25
                                        ; implicit-def: $vgpr2
; %bb.181:                              ;   in Loop: Header=BB134_48 Depth=1
	s_andn2_saveexec_b64 s[14:15], s[0:1]
; %bb.182:                              ;   in Loop: Header=BB134_48 Depth=1
	v_or_b32_e32 v3, 0x10000, v2
	v_cmp_eq_u32_sdwa s[0:1], v2, v19 src0_sel:WORD_0 src1_sel:DWORD
	s_nop 1
	v_cndmask_b32_e64 v76, v3, v2, s[0:1]
; %bb.183:                              ;   in Loop: Header=BB134_48 Depth=1
	s_or_b64 exec, exec, s[14:15]
	global_load_dwordx4 v[2:5], v[8:9], off offset:3072
	s_waitcnt vmcnt(0)
	v_lshrrev_b32_e32 v9, 16, v2
	v_lshrrev_b32_e32 v27, 16, v3
	;; [unrolled: 1-line block ×4, first 2 shown]
	s_and_saveexec_b64 s[14:15], vcc
	s_cbranch_execz .LBB134_185
; %bb.184:                              ;   in Loop: Header=BB134_48 Depth=1
	v_cmp_gt_i32_e64 s[0:1], s33, v45
	s_nop 1
	v_cndmask_b32_e64 v2, 0, v2, s[0:1]
	v_cmp_gt_i32_e64 s[0:1], s33, v53
	s_nop 1
	v_cndmask_b32_e64 v9, 0, v9, s[0:1]
	;; [unrolled: 3-line block ×8, first 2 shown]
.LBB134_185:                            ;   in Loop: Header=BB134_48 Depth=1
	s_or_b64 exec, exec, s[14:15]
	v_lshlrev_b32_e32 v2, 16, v2
	v_mul_f32_e32 v2, v54, v2
	v_and_b32_e32 v8, 0x7f800000, v2
	v_cmp_ne_u32_e64 s[0:1], s24, v8
                                        ; implicit-def: $vgpr8
	s_and_saveexec_b64 s[14:15], s[0:1]
	s_xor_b64 s[0:1], exec, s[14:15]
; %bb.186:                              ;   in Loop: Header=BB134_48 Depth=1
	v_bfe_u32 v8, v2, 16, 1
	v_add3_u32 v8, v2, v8, s25
                                        ; implicit-def: $vgpr2
; %bb.187:                              ;   in Loop: Header=BB134_48 Depth=1
	s_andn2_saveexec_b64 s[14:15], s[0:1]
; %bb.188:                              ;   in Loop: Header=BB134_48 Depth=1
	v_or_b32_e32 v8, 0x10000, v2
	v_cmp_eq_u32_sdwa s[0:1], v2, v19 src0_sel:WORD_0 src1_sel:DWORD
	s_nop 1
	v_cndmask_b32_e64 v8, v8, v2, s[0:1]
; %bb.189:                              ;   in Loop: Header=BB134_48 Depth=1
	s_or_b64 exec, exec, s[14:15]
	v_lshlrev_b32_e32 v2, 16, v9
	v_mul_f32_e32 v2, v56, v2
	v_and_b32_e32 v9, 0x7f800000, v2
	v_cmp_ne_u32_e64 s[0:1], s24, v9
                                        ; implicit-def: $vgpr9
	s_and_saveexec_b64 s[14:15], s[0:1]
	s_xor_b64 s[0:1], exec, s[14:15]
; %bb.190:                              ;   in Loop: Header=BB134_48 Depth=1
	v_bfe_u32 v9, v2, 16, 1
	v_add3_u32 v9, v2, v9, s25
                                        ; implicit-def: $vgpr2
; %bb.191:                              ;   in Loop: Header=BB134_48 Depth=1
	s_andn2_saveexec_b64 s[14:15], s[0:1]
; %bb.192:                              ;   in Loop: Header=BB134_48 Depth=1
	v_or_b32_e32 v9, 0x10000, v2
	v_cmp_eq_u32_sdwa s[0:1], v2, v19 src0_sel:WORD_0 src1_sel:DWORD
	s_nop 1
	v_cndmask_b32_e64 v9, v9, v2, s[0:1]
; %bb.193:                              ;   in Loop: Header=BB134_48 Depth=1
	s_or_b64 exec, exec, s[14:15]
	v_lshlrev_b32_e32 v2, 16, v3
	v_mul_f32_e32 v2, v57, v2
	v_and_b32_e32 v3, 0x7f800000, v2
	v_cmp_ne_u32_e64 s[0:1], s24, v3
                                        ; implicit-def: $vgpr77
	s_and_saveexec_b64 s[14:15], s[0:1]
	s_xor_b64 s[0:1], exec, s[14:15]
; %bb.194:                              ;   in Loop: Header=BB134_48 Depth=1
	v_bfe_u32 v3, v2, 16, 1
	v_add3_u32 v77, v2, v3, s25
                                        ; implicit-def: $vgpr2
; %bb.195:                              ;   in Loop: Header=BB134_48 Depth=1
	s_andn2_saveexec_b64 s[14:15], s[0:1]
; %bb.196:                              ;   in Loop: Header=BB134_48 Depth=1
	v_or_b32_e32 v3, 0x10000, v2
	v_cmp_eq_u32_sdwa s[0:1], v2, v19 src0_sel:WORD_0 src1_sel:DWORD
	s_nop 1
	v_cndmask_b32_e64 v77, v3, v2, s[0:1]
; %bb.197:                              ;   in Loop: Header=BB134_48 Depth=1
	s_or_b64 exec, exec, s[14:15]
	v_lshlrev_b32_e32 v2, 16, v27
	v_mul_f32_e32 v2, v58, v2
	v_and_b32_e32 v3, 0x7f800000, v2
	v_cmp_ne_u32_e64 s[0:1], s24, v3
                                        ; implicit-def: $vgpr78
	s_and_saveexec_b64 s[14:15], s[0:1]
	s_xor_b64 s[0:1], exec, s[14:15]
; %bb.198:                              ;   in Loop: Header=BB134_48 Depth=1
	v_bfe_u32 v3, v2, 16, 1
	v_add3_u32 v78, v2, v3, s25
                                        ; implicit-def: $vgpr2
; %bb.199:                              ;   in Loop: Header=BB134_48 Depth=1
	s_andn2_saveexec_b64 s[14:15], s[0:1]
; %bb.200:                              ;   in Loop: Header=BB134_48 Depth=1
	v_or_b32_e32 v3, 0x10000, v2
	v_cmp_eq_u32_sdwa s[0:1], v2, v19 src0_sel:WORD_0 src1_sel:DWORD
	s_nop 1
	v_cndmask_b32_e64 v78, v3, v2, s[0:1]
; %bb.201:                              ;   in Loop: Header=BB134_48 Depth=1
	s_or_b64 exec, exec, s[14:15]
	v_lshlrev_b32_e32 v2, 16, v4
	v_mul_f32_e32 v2, v59, v2
	v_and_b32_e32 v3, 0x7f800000, v2
	v_cmp_ne_u32_e64 s[0:1], s24, v3
                                        ; implicit-def: $vgpr79
	s_and_saveexec_b64 s[14:15], s[0:1]
	s_xor_b64 s[0:1], exec, s[14:15]
; %bb.202:                              ;   in Loop: Header=BB134_48 Depth=1
	v_bfe_u32 v3, v2, 16, 1
	v_add3_u32 v79, v2, v3, s25
                                        ; implicit-def: $vgpr2
; %bb.203:                              ;   in Loop: Header=BB134_48 Depth=1
	s_andn2_saveexec_b64 s[14:15], s[0:1]
; %bb.204:                              ;   in Loop: Header=BB134_48 Depth=1
	v_or_b32_e32 v3, 0x10000, v2
	v_cmp_eq_u32_sdwa s[0:1], v2, v19 src0_sel:WORD_0 src1_sel:DWORD
	s_nop 1
	v_cndmask_b32_e64 v79, v3, v2, s[0:1]
; %bb.205:                              ;   in Loop: Header=BB134_48 Depth=1
	s_or_b64 exec, exec, s[14:15]
	v_lshlrev_b32_e32 v2, 16, v25
	v_mul_f32_e32 v2, v60, v2
	v_and_b32_e32 v3, 0x7f800000, v2
	v_cmp_ne_u32_e64 s[0:1], s24, v3
                                        ; implicit-def: $vgpr80
	s_and_saveexec_b64 s[14:15], s[0:1]
	s_xor_b64 s[0:1], exec, s[14:15]
; %bb.206:                              ;   in Loop: Header=BB134_48 Depth=1
	v_bfe_u32 v3, v2, 16, 1
	v_add3_u32 v80, v2, v3, s25
                                        ; implicit-def: $vgpr2
; %bb.207:                              ;   in Loop: Header=BB134_48 Depth=1
	s_andn2_saveexec_b64 s[14:15], s[0:1]
; %bb.208:                              ;   in Loop: Header=BB134_48 Depth=1
	v_or_b32_e32 v3, 0x10000, v2
	v_cmp_eq_u32_sdwa s[0:1], v2, v19 src0_sel:WORD_0 src1_sel:DWORD
	s_nop 1
	v_cndmask_b32_e64 v80, v3, v2, s[0:1]
; %bb.209:                              ;   in Loop: Header=BB134_48 Depth=1
	s_or_b64 exec, exec, s[14:15]
	v_lshlrev_b32_e32 v2, 16, v5
	v_mul_f32_e32 v2, v61, v2
	v_and_b32_e32 v3, 0x7f800000, v2
	v_cmp_ne_u32_e64 s[0:1], s24, v3
                                        ; implicit-def: $vgpr81
	s_and_saveexec_b64 s[14:15], s[0:1]
	s_xor_b64 s[0:1], exec, s[14:15]
; %bb.210:                              ;   in Loop: Header=BB134_48 Depth=1
	v_bfe_u32 v3, v2, 16, 1
	v_add3_u32 v81, v2, v3, s25
                                        ; implicit-def: $vgpr2
; %bb.211:                              ;   in Loop: Header=BB134_48 Depth=1
	s_andn2_saveexec_b64 s[14:15], s[0:1]
; %bb.212:                              ;   in Loop: Header=BB134_48 Depth=1
	v_or_b32_e32 v3, 0x10000, v2
	v_cmp_eq_u32_sdwa s[0:1], v2, v19 src0_sel:WORD_0 src1_sel:DWORD
	s_nop 1
	v_cndmask_b32_e64 v81, v3, v2, s[0:1]
; %bb.213:                              ;   in Loop: Header=BB134_48 Depth=1
	s_or_b64 exec, exec, s[14:15]
	v_lshlrev_b32_e32 v2, 16, v23
	v_mul_f32_e32 v2, v62, v2
	v_and_b32_e32 v3, 0x7f800000, v2
	v_cmp_ne_u32_e64 s[0:1], s24, v3
                                        ; implicit-def: $vgpr82
	s_and_saveexec_b64 s[14:15], s[0:1]
	s_xor_b64 s[0:1], exec, s[14:15]
; %bb.214:                              ;   in Loop: Header=BB134_48 Depth=1
	v_bfe_u32 v3, v2, 16, 1
	v_add3_u32 v82, v2, v3, s25
                                        ; implicit-def: $vgpr2
; %bb.215:                              ;   in Loop: Header=BB134_48 Depth=1
	s_andn2_saveexec_b64 s[14:15], s[0:1]
; %bb.216:                              ;   in Loop: Header=BB134_48 Depth=1
	v_or_b32_e32 v3, 0x10000, v2
	v_cmp_eq_u32_sdwa s[0:1], v2, v19 src0_sel:WORD_0 src1_sel:DWORD
	s_nop 1
	v_cndmask_b32_e64 v82, v3, v2, s[0:1]
; %bb.217:                              ;   in Loop: Header=BB134_48 Depth=1
	s_or_b64 exec, exec, s[14:15]
	v_mov_b32_e32 v23, v19
	v_lshl_add_u64 v[2:3], v[6:7], 0, v[22:23]
	global_load_dwordx4 v[2:5], v[2:3], off
	s_waitcnt vmcnt(0)
	v_lshrrev_b32_e32 v83, 16, v2
	v_lshrrev_b32_e32 v29, 16, v3
	;; [unrolled: 1-line block ×4, first 2 shown]
	s_and_saveexec_b64 s[14:15], vcc
	s_cbranch_execz .LBB134_219
; %bb.218:                              ;   in Loop: Header=BB134_48 Depth=1
	v_cmp_gt_i32_e64 s[0:1], s33, v45
	s_nop 1
	v_cndmask_b32_e64 v2, 0, v2, s[0:1]
	v_cmp_gt_i32_e64 s[0:1], s33, v53
	s_nop 1
	v_cndmask_b32_e64 v83, 0, v83, s[0:1]
	;; [unrolled: 3-line block ×8, first 2 shown]
.LBB134_219:                            ;   in Loop: Header=BB134_48 Depth=1
	s_or_b64 exec, exec, s[14:15]
	v_lshlrev_b32_e32 v2, 16, v2
	v_mul_f32_e32 v2, v54, v2
	v_and_b32_e32 v23, 0x7f800000, v2
	v_cmp_ne_u32_e64 s[0:1], s24, v23
                                        ; implicit-def: $vgpr23
	s_and_saveexec_b64 s[14:15], s[0:1]
	s_xor_b64 s[0:1], exec, s[14:15]
; %bb.220:                              ;   in Loop: Header=BB134_48 Depth=1
	v_bfe_u32 v23, v2, 16, 1
	v_add3_u32 v23, v2, v23, s25
                                        ; implicit-def: $vgpr2
; %bb.221:                              ;   in Loop: Header=BB134_48 Depth=1
	s_andn2_saveexec_b64 s[14:15], s[0:1]
; %bb.222:                              ;   in Loop: Header=BB134_48 Depth=1
	v_or_b32_e32 v23, 0x10000, v2
	v_cmp_eq_u32_sdwa s[0:1], v2, v19 src0_sel:WORD_0 src1_sel:DWORD
	s_nop 1
	v_cndmask_b32_e64 v23, v23, v2, s[0:1]
; %bb.223:                              ;   in Loop: Header=BB134_48 Depth=1
	s_or_b64 exec, exec, s[14:15]
	v_lshlrev_b32_e32 v2, 16, v83
	v_mul_f32_e32 v2, v56, v2
	v_and_b32_e32 v83, 0x7f800000, v2
	v_cmp_ne_u32_e64 s[0:1], s24, v83
                                        ; implicit-def: $vgpr83
	s_and_saveexec_b64 s[14:15], s[0:1]
	s_xor_b64 s[0:1], exec, s[14:15]
; %bb.224:                              ;   in Loop: Header=BB134_48 Depth=1
	v_bfe_u32 v83, v2, 16, 1
	v_add3_u32 v83, v2, v83, s25
                                        ; implicit-def: $vgpr2
; %bb.225:                              ;   in Loop: Header=BB134_48 Depth=1
	s_andn2_saveexec_b64 s[14:15], s[0:1]
; %bb.226:                              ;   in Loop: Header=BB134_48 Depth=1
	v_or_b32_e32 v83, 0x10000, v2
	v_cmp_eq_u32_sdwa s[0:1], v2, v19 src0_sel:WORD_0 src1_sel:DWORD
	s_nop 1
	v_cndmask_b32_e64 v83, v83, v2, s[0:1]
; %bb.227:                              ;   in Loop: Header=BB134_48 Depth=1
	s_or_b64 exec, exec, s[14:15]
	v_lshlrev_b32_e32 v2, 16, v3
	v_mul_f32_e32 v2, v57, v2
	v_and_b32_e32 v3, 0x7f800000, v2
	v_cmp_ne_u32_e64 s[0:1], s24, v3
                                        ; implicit-def: $vgpr84
	s_and_saveexec_b64 s[14:15], s[0:1]
	s_xor_b64 s[0:1], exec, s[14:15]
; %bb.228:                              ;   in Loop: Header=BB134_48 Depth=1
	v_bfe_u32 v3, v2, 16, 1
	v_add3_u32 v84, v2, v3, s25
                                        ; implicit-def: $vgpr2
; %bb.229:                              ;   in Loop: Header=BB134_48 Depth=1
	s_andn2_saveexec_b64 s[14:15], s[0:1]
; %bb.230:                              ;   in Loop: Header=BB134_48 Depth=1
	v_or_b32_e32 v3, 0x10000, v2
	v_cmp_eq_u32_sdwa s[0:1], v2, v19 src0_sel:WORD_0 src1_sel:DWORD
	s_nop 1
	v_cndmask_b32_e64 v84, v3, v2, s[0:1]
; %bb.231:                              ;   in Loop: Header=BB134_48 Depth=1
	s_or_b64 exec, exec, s[14:15]
	v_lshlrev_b32_e32 v2, 16, v29
	v_mul_f32_e32 v2, v58, v2
	v_and_b32_e32 v3, 0x7f800000, v2
	v_cmp_ne_u32_e64 s[0:1], s24, v3
                                        ; implicit-def: $vgpr85
	s_and_saveexec_b64 s[14:15], s[0:1]
	s_xor_b64 s[0:1], exec, s[14:15]
; %bb.232:                              ;   in Loop: Header=BB134_48 Depth=1
	v_bfe_u32 v3, v2, 16, 1
	v_add3_u32 v85, v2, v3, s25
                                        ; implicit-def: $vgpr2
; %bb.233:                              ;   in Loop: Header=BB134_48 Depth=1
	s_andn2_saveexec_b64 s[14:15], s[0:1]
; %bb.234:                              ;   in Loop: Header=BB134_48 Depth=1
	v_or_b32_e32 v3, 0x10000, v2
	v_cmp_eq_u32_sdwa s[0:1], v2, v19 src0_sel:WORD_0 src1_sel:DWORD
	s_nop 1
	v_cndmask_b32_e64 v85, v3, v2, s[0:1]
; %bb.235:                              ;   in Loop: Header=BB134_48 Depth=1
	s_or_b64 exec, exec, s[14:15]
	v_lshlrev_b32_e32 v2, 16, v4
	v_mul_f32_e32 v2, v59, v2
	v_and_b32_e32 v3, 0x7f800000, v2
	v_cmp_ne_u32_e64 s[0:1], s24, v3
                                        ; implicit-def: $vgpr86
	s_and_saveexec_b64 s[14:15], s[0:1]
	s_xor_b64 s[0:1], exec, s[14:15]
; %bb.236:                              ;   in Loop: Header=BB134_48 Depth=1
	v_bfe_u32 v3, v2, 16, 1
	v_add3_u32 v86, v2, v3, s25
                                        ; implicit-def: $vgpr2
; %bb.237:                              ;   in Loop: Header=BB134_48 Depth=1
	s_andn2_saveexec_b64 s[14:15], s[0:1]
; %bb.238:                              ;   in Loop: Header=BB134_48 Depth=1
	v_or_b32_e32 v3, 0x10000, v2
	v_cmp_eq_u32_sdwa s[0:1], v2, v19 src0_sel:WORD_0 src1_sel:DWORD
	s_nop 1
	v_cndmask_b32_e64 v86, v3, v2, s[0:1]
; %bb.239:                              ;   in Loop: Header=BB134_48 Depth=1
	s_or_b64 exec, exec, s[14:15]
	v_lshlrev_b32_e32 v2, 16, v27
	v_mul_f32_e32 v2, v60, v2
	v_and_b32_e32 v3, 0x7f800000, v2
	v_cmp_ne_u32_e64 s[0:1], s24, v3
                                        ; implicit-def: $vgpr87
	s_and_saveexec_b64 s[14:15], s[0:1]
	s_xor_b64 s[0:1], exec, s[14:15]
; %bb.240:                              ;   in Loop: Header=BB134_48 Depth=1
	v_bfe_u32 v3, v2, 16, 1
	v_add3_u32 v87, v2, v3, s25
                                        ; implicit-def: $vgpr2
; %bb.241:                              ;   in Loop: Header=BB134_48 Depth=1
	s_andn2_saveexec_b64 s[14:15], s[0:1]
; %bb.242:                              ;   in Loop: Header=BB134_48 Depth=1
	v_or_b32_e32 v3, 0x10000, v2
	v_cmp_eq_u32_sdwa s[0:1], v2, v19 src0_sel:WORD_0 src1_sel:DWORD
	s_nop 1
	v_cndmask_b32_e64 v87, v3, v2, s[0:1]
; %bb.243:                              ;   in Loop: Header=BB134_48 Depth=1
	s_or_b64 exec, exec, s[14:15]
	v_lshlrev_b32_e32 v2, 16, v5
	v_mul_f32_e32 v2, v61, v2
	v_and_b32_e32 v3, 0x7f800000, v2
	v_cmp_ne_u32_e64 s[0:1], s24, v3
                                        ; implicit-def: $vgpr88
	s_and_saveexec_b64 s[14:15], s[0:1]
	s_xor_b64 s[0:1], exec, s[14:15]
; %bb.244:                              ;   in Loop: Header=BB134_48 Depth=1
	v_bfe_u32 v3, v2, 16, 1
	v_add3_u32 v88, v2, v3, s25
                                        ; implicit-def: $vgpr2
; %bb.245:                              ;   in Loop: Header=BB134_48 Depth=1
	s_andn2_saveexec_b64 s[14:15], s[0:1]
; %bb.246:                              ;   in Loop: Header=BB134_48 Depth=1
	v_or_b32_e32 v3, 0x10000, v2
	v_cmp_eq_u32_sdwa s[0:1], v2, v19 src0_sel:WORD_0 src1_sel:DWORD
	s_nop 1
	v_cndmask_b32_e64 v88, v3, v2, s[0:1]
; %bb.247:                              ;   in Loop: Header=BB134_48 Depth=1
	s_or_b64 exec, exec, s[14:15]
	v_lshlrev_b32_e32 v2, 16, v25
	v_mul_f32_e32 v2, v62, v2
	v_and_b32_e32 v3, 0x7f800000, v2
	v_cmp_ne_u32_e64 s[0:1], s24, v3
                                        ; implicit-def: $vgpr89
	s_and_saveexec_b64 s[14:15], s[0:1]
	s_xor_b64 s[0:1], exec, s[14:15]
; %bb.248:                              ;   in Loop: Header=BB134_48 Depth=1
	v_bfe_u32 v3, v2, 16, 1
	v_add3_u32 v89, v2, v3, s25
                                        ; implicit-def: $vgpr2
; %bb.249:                              ;   in Loop: Header=BB134_48 Depth=1
	s_andn2_saveexec_b64 s[14:15], s[0:1]
; %bb.250:                              ;   in Loop: Header=BB134_48 Depth=1
	v_or_b32_e32 v3, 0x10000, v2
	v_cmp_eq_u32_sdwa s[0:1], v2, v19 src0_sel:WORD_0 src1_sel:DWORD
	s_nop 1
	v_cndmask_b32_e64 v89, v3, v2, s[0:1]
; %bb.251:                              ;   in Loop: Header=BB134_48 Depth=1
	s_or_b64 exec, exec, s[14:15]
	v_mov_b32_e32 v25, v19
	v_lshl_add_u64 v[2:3], v[6:7], 0, v[24:25]
	global_load_dwordx4 v[2:5], v[2:3], off
	s_waitcnt vmcnt(0)
	v_lshrrev_b32_e32 v90, 16, v2
	v_lshrrev_b32_e32 v92, 16, v3
	;; [unrolled: 1-line block ×4, first 2 shown]
	s_and_saveexec_b64 s[14:15], vcc
	s_cbranch_execz .LBB134_253
; %bb.252:                              ;   in Loop: Header=BB134_48 Depth=1
	v_cmp_gt_i32_e64 s[0:1], s33, v45
	s_nop 1
	v_cndmask_b32_e64 v2, 0, v2, s[0:1]
	v_cmp_gt_i32_e64 s[0:1], s33, v53
	s_nop 1
	v_cndmask_b32_e64 v90, 0, v90, s[0:1]
	;; [unrolled: 3-line block ×8, first 2 shown]
.LBB134_253:                            ;   in Loop: Header=BB134_48 Depth=1
	s_or_b64 exec, exec, s[14:15]
	v_lshlrev_b32_e32 v2, 16, v2
	v_mul_f32_e32 v2, v54, v2
	v_and_b32_e32 v25, 0x7f800000, v2
	v_cmp_ne_u32_e64 s[0:1], s24, v25
                                        ; implicit-def: $vgpr25
	s_and_saveexec_b64 s[14:15], s[0:1]
	s_xor_b64 s[0:1], exec, s[14:15]
; %bb.254:                              ;   in Loop: Header=BB134_48 Depth=1
	v_bfe_u32 v25, v2, 16, 1
	v_add3_u32 v25, v2, v25, s25
                                        ; implicit-def: $vgpr2
; %bb.255:                              ;   in Loop: Header=BB134_48 Depth=1
	s_andn2_saveexec_b64 s[14:15], s[0:1]
; %bb.256:                              ;   in Loop: Header=BB134_48 Depth=1
	v_or_b32_e32 v25, 0x10000, v2
	v_cmp_eq_u32_sdwa s[0:1], v2, v19 src0_sel:WORD_0 src1_sel:DWORD
	s_nop 1
	v_cndmask_b32_e64 v25, v25, v2, s[0:1]
; %bb.257:                              ;   in Loop: Header=BB134_48 Depth=1
	s_or_b64 exec, exec, s[14:15]
	v_lshlrev_b32_e32 v2, 16, v90
	v_mul_f32_e32 v2, v56, v2
	v_and_b32_e32 v90, 0x7f800000, v2
	v_cmp_ne_u32_e64 s[0:1], s24, v90
                                        ; implicit-def: $vgpr90
	s_and_saveexec_b64 s[14:15], s[0:1]
	s_xor_b64 s[0:1], exec, s[14:15]
; %bb.258:                              ;   in Loop: Header=BB134_48 Depth=1
	v_bfe_u32 v90, v2, 16, 1
	v_add3_u32 v90, v2, v90, s25
                                        ; implicit-def: $vgpr2
; %bb.259:                              ;   in Loop: Header=BB134_48 Depth=1
	s_andn2_saveexec_b64 s[14:15], s[0:1]
; %bb.260:                              ;   in Loop: Header=BB134_48 Depth=1
	v_or_b32_e32 v90, 0x10000, v2
	v_cmp_eq_u32_sdwa s[0:1], v2, v19 src0_sel:WORD_0 src1_sel:DWORD
	s_nop 1
	v_cndmask_b32_e64 v90, v90, v2, s[0:1]
; %bb.261:                              ;   in Loop: Header=BB134_48 Depth=1
	s_or_b64 exec, exec, s[14:15]
	v_lshlrev_b32_e32 v2, 16, v3
	v_mul_f32_e32 v2, v57, v2
	v_and_b32_e32 v3, 0x7f800000, v2
	v_cmp_ne_u32_e64 s[0:1], s24, v3
                                        ; implicit-def: $vgpr91
	s_and_saveexec_b64 s[14:15], s[0:1]
	s_xor_b64 s[0:1], exec, s[14:15]
; %bb.262:                              ;   in Loop: Header=BB134_48 Depth=1
	v_bfe_u32 v3, v2, 16, 1
	v_add3_u32 v91, v2, v3, s25
                                        ; implicit-def: $vgpr2
; %bb.263:                              ;   in Loop: Header=BB134_48 Depth=1
	s_andn2_saveexec_b64 s[14:15], s[0:1]
; %bb.264:                              ;   in Loop: Header=BB134_48 Depth=1
	v_or_b32_e32 v3, 0x10000, v2
	v_cmp_eq_u32_sdwa s[0:1], v2, v19 src0_sel:WORD_0 src1_sel:DWORD
	s_nop 1
	v_cndmask_b32_e64 v91, v3, v2, s[0:1]
; %bb.265:                              ;   in Loop: Header=BB134_48 Depth=1
	s_or_b64 exec, exec, s[14:15]
	v_lshlrev_b32_e32 v2, 16, v92
	v_mul_f32_e32 v2, v58, v2
	v_and_b32_e32 v3, 0x7f800000, v2
	v_cmp_ne_u32_e64 s[0:1], s24, v3
                                        ; implicit-def: $vgpr92
	s_and_saveexec_b64 s[14:15], s[0:1]
	s_xor_b64 s[0:1], exec, s[14:15]
; %bb.266:                              ;   in Loop: Header=BB134_48 Depth=1
	v_bfe_u32 v3, v2, 16, 1
	v_add3_u32 v92, v2, v3, s25
                                        ; implicit-def: $vgpr2
; %bb.267:                              ;   in Loop: Header=BB134_48 Depth=1
	s_andn2_saveexec_b64 s[14:15], s[0:1]
; %bb.268:                              ;   in Loop: Header=BB134_48 Depth=1
	v_or_b32_e32 v3, 0x10000, v2
	v_cmp_eq_u32_sdwa s[0:1], v2, v19 src0_sel:WORD_0 src1_sel:DWORD
	s_nop 1
	v_cndmask_b32_e64 v92, v3, v2, s[0:1]
; %bb.269:                              ;   in Loop: Header=BB134_48 Depth=1
	s_or_b64 exec, exec, s[14:15]
	v_lshlrev_b32_e32 v2, 16, v4
	v_mul_f32_e32 v2, v59, v2
	v_and_b32_e32 v3, 0x7f800000, v2
	v_cmp_ne_u32_e64 s[0:1], s24, v3
                                        ; implicit-def: $vgpr93
	s_and_saveexec_b64 s[14:15], s[0:1]
	s_xor_b64 s[0:1], exec, s[14:15]
; %bb.270:                              ;   in Loop: Header=BB134_48 Depth=1
	v_bfe_u32 v3, v2, 16, 1
	v_add3_u32 v93, v2, v3, s25
                                        ; implicit-def: $vgpr2
; %bb.271:                              ;   in Loop: Header=BB134_48 Depth=1
	s_andn2_saveexec_b64 s[14:15], s[0:1]
; %bb.272:                              ;   in Loop: Header=BB134_48 Depth=1
	v_or_b32_e32 v3, 0x10000, v2
	v_cmp_eq_u32_sdwa s[0:1], v2, v19 src0_sel:WORD_0 src1_sel:DWORD
	s_nop 1
	v_cndmask_b32_e64 v93, v3, v2, s[0:1]
; %bb.273:                              ;   in Loop: Header=BB134_48 Depth=1
	s_or_b64 exec, exec, s[14:15]
	v_lshlrev_b32_e32 v2, 16, v29
	v_mul_f32_e32 v2, v60, v2
	v_and_b32_e32 v3, 0x7f800000, v2
	v_cmp_ne_u32_e64 s[0:1], s24, v3
                                        ; implicit-def: $vgpr94
	s_and_saveexec_b64 s[14:15], s[0:1]
	s_xor_b64 s[0:1], exec, s[14:15]
; %bb.274:                              ;   in Loop: Header=BB134_48 Depth=1
	v_bfe_u32 v3, v2, 16, 1
	v_add3_u32 v94, v2, v3, s25
                                        ; implicit-def: $vgpr2
; %bb.275:                              ;   in Loop: Header=BB134_48 Depth=1
	s_andn2_saveexec_b64 s[14:15], s[0:1]
; %bb.276:                              ;   in Loop: Header=BB134_48 Depth=1
	v_or_b32_e32 v3, 0x10000, v2
	v_cmp_eq_u32_sdwa s[0:1], v2, v19 src0_sel:WORD_0 src1_sel:DWORD
	s_nop 1
	v_cndmask_b32_e64 v94, v3, v2, s[0:1]
; %bb.277:                              ;   in Loop: Header=BB134_48 Depth=1
	s_or_b64 exec, exec, s[14:15]
	v_lshlrev_b32_e32 v2, 16, v5
	v_mul_f32_e32 v2, v61, v2
	v_and_b32_e32 v3, 0x7f800000, v2
	v_cmp_ne_u32_e64 s[0:1], s24, v3
                                        ; implicit-def: $vgpr95
	s_and_saveexec_b64 s[14:15], s[0:1]
	s_xor_b64 s[0:1], exec, s[14:15]
; %bb.278:                              ;   in Loop: Header=BB134_48 Depth=1
	v_bfe_u32 v3, v2, 16, 1
	v_add3_u32 v95, v2, v3, s25
                                        ; implicit-def: $vgpr2
; %bb.279:                              ;   in Loop: Header=BB134_48 Depth=1
	s_andn2_saveexec_b64 s[14:15], s[0:1]
; %bb.280:                              ;   in Loop: Header=BB134_48 Depth=1
	v_or_b32_e32 v3, 0x10000, v2
	v_cmp_eq_u32_sdwa s[0:1], v2, v19 src0_sel:WORD_0 src1_sel:DWORD
	s_nop 1
	v_cndmask_b32_e64 v95, v3, v2, s[0:1]
; %bb.281:                              ;   in Loop: Header=BB134_48 Depth=1
	s_or_b64 exec, exec, s[14:15]
	v_lshlrev_b32_e32 v2, 16, v27
	v_mul_f32_e32 v2, v62, v2
	v_and_b32_e32 v3, 0x7f800000, v2
	v_cmp_ne_u32_e64 s[0:1], s24, v3
                                        ; implicit-def: $vgpr96
	s_and_saveexec_b64 s[14:15], s[0:1]
	s_xor_b64 s[0:1], exec, s[14:15]
; %bb.282:                              ;   in Loop: Header=BB134_48 Depth=1
	v_bfe_u32 v3, v2, 16, 1
	v_add3_u32 v96, v2, v3, s25
                                        ; implicit-def: $vgpr2
; %bb.283:                              ;   in Loop: Header=BB134_48 Depth=1
	s_andn2_saveexec_b64 s[14:15], s[0:1]
; %bb.284:                              ;   in Loop: Header=BB134_48 Depth=1
	v_or_b32_e32 v3, 0x10000, v2
	v_cmp_eq_u32_sdwa s[0:1], v2, v19 src0_sel:WORD_0 src1_sel:DWORD
	s_nop 1
	v_cndmask_b32_e64 v96, v3, v2, s[0:1]
; %bb.285:                              ;   in Loop: Header=BB134_48 Depth=1
	s_or_b64 exec, exec, s[14:15]
	v_mov_b32_e32 v27, v19
	v_lshl_add_u64 v[2:3], v[6:7], 0, v[26:27]
	global_load_dwordx4 v[2:5], v[2:3], off
	s_waitcnt vmcnt(0)
	v_lshrrev_b32_e32 v97, 16, v2
	v_lshrrev_b32_e32 v99, 16, v3
	;; [unrolled: 1-line block ×4, first 2 shown]
	s_and_saveexec_b64 s[14:15], vcc
	s_cbranch_execz .LBB134_287
; %bb.286:                              ;   in Loop: Header=BB134_48 Depth=1
	v_cmp_gt_i32_e64 s[0:1], s33, v45
	s_nop 1
	v_cndmask_b32_e64 v2, 0, v2, s[0:1]
	v_cmp_gt_i32_e64 s[0:1], s33, v53
	s_nop 1
	v_cndmask_b32_e64 v97, 0, v97, s[0:1]
	;; [unrolled: 3-line block ×8, first 2 shown]
.LBB134_287:                            ;   in Loop: Header=BB134_48 Depth=1
	s_or_b64 exec, exec, s[14:15]
	v_lshlrev_b32_e32 v2, 16, v2
	v_mul_f32_e32 v2, v54, v2
	v_and_b32_e32 v27, 0x7f800000, v2
	v_cmp_ne_u32_e64 s[0:1], s24, v27
                                        ; implicit-def: $vgpr27
	s_and_saveexec_b64 s[14:15], s[0:1]
	s_xor_b64 s[0:1], exec, s[14:15]
; %bb.288:                              ;   in Loop: Header=BB134_48 Depth=1
	v_bfe_u32 v27, v2, 16, 1
	v_add3_u32 v27, v2, v27, s25
                                        ; implicit-def: $vgpr2
; %bb.289:                              ;   in Loop: Header=BB134_48 Depth=1
	s_andn2_saveexec_b64 s[14:15], s[0:1]
; %bb.290:                              ;   in Loop: Header=BB134_48 Depth=1
	v_or_b32_e32 v27, 0x10000, v2
	v_cmp_eq_u32_sdwa s[0:1], v2, v19 src0_sel:WORD_0 src1_sel:DWORD
	s_nop 1
	v_cndmask_b32_e64 v27, v27, v2, s[0:1]
; %bb.291:                              ;   in Loop: Header=BB134_48 Depth=1
	s_or_b64 exec, exec, s[14:15]
	v_lshlrev_b32_e32 v2, 16, v97
	v_mul_f32_e32 v2, v56, v2
	v_and_b32_e32 v97, 0x7f800000, v2
	v_cmp_ne_u32_e64 s[0:1], s24, v97
                                        ; implicit-def: $vgpr97
	s_and_saveexec_b64 s[14:15], s[0:1]
	s_xor_b64 s[0:1], exec, s[14:15]
; %bb.292:                              ;   in Loop: Header=BB134_48 Depth=1
	v_bfe_u32 v97, v2, 16, 1
	v_add3_u32 v97, v2, v97, s25
                                        ; implicit-def: $vgpr2
; %bb.293:                              ;   in Loop: Header=BB134_48 Depth=1
	s_andn2_saveexec_b64 s[14:15], s[0:1]
; %bb.294:                              ;   in Loop: Header=BB134_48 Depth=1
	v_or_b32_e32 v97, 0x10000, v2
	v_cmp_eq_u32_sdwa s[0:1], v2, v19 src0_sel:WORD_0 src1_sel:DWORD
	s_nop 1
	v_cndmask_b32_e64 v97, v97, v2, s[0:1]
; %bb.295:                              ;   in Loop: Header=BB134_48 Depth=1
	s_or_b64 exec, exec, s[14:15]
	v_lshlrev_b32_e32 v2, 16, v3
	v_mul_f32_e32 v2, v57, v2
	v_and_b32_e32 v3, 0x7f800000, v2
	v_cmp_ne_u32_e64 s[0:1], s24, v3
                                        ; implicit-def: $vgpr98
	s_and_saveexec_b64 s[14:15], s[0:1]
	s_xor_b64 s[0:1], exec, s[14:15]
; %bb.296:                              ;   in Loop: Header=BB134_48 Depth=1
	v_bfe_u32 v3, v2, 16, 1
	v_add3_u32 v98, v2, v3, s25
                                        ; implicit-def: $vgpr2
; %bb.297:                              ;   in Loop: Header=BB134_48 Depth=1
	s_andn2_saveexec_b64 s[14:15], s[0:1]
; %bb.298:                              ;   in Loop: Header=BB134_48 Depth=1
	v_or_b32_e32 v3, 0x10000, v2
	v_cmp_eq_u32_sdwa s[0:1], v2, v19 src0_sel:WORD_0 src1_sel:DWORD
	s_nop 1
	v_cndmask_b32_e64 v98, v3, v2, s[0:1]
; %bb.299:                              ;   in Loop: Header=BB134_48 Depth=1
	s_or_b64 exec, exec, s[14:15]
	v_lshlrev_b32_e32 v2, 16, v99
	v_mul_f32_e32 v2, v58, v2
	v_and_b32_e32 v3, 0x7f800000, v2
	v_cmp_ne_u32_e64 s[0:1], s24, v3
                                        ; implicit-def: $vgpr99
	s_and_saveexec_b64 s[14:15], s[0:1]
	s_xor_b64 s[0:1], exec, s[14:15]
; %bb.300:                              ;   in Loop: Header=BB134_48 Depth=1
	v_bfe_u32 v3, v2, 16, 1
	v_add3_u32 v99, v2, v3, s25
                                        ; implicit-def: $vgpr2
; %bb.301:                              ;   in Loop: Header=BB134_48 Depth=1
	s_andn2_saveexec_b64 s[14:15], s[0:1]
; %bb.302:                              ;   in Loop: Header=BB134_48 Depth=1
	v_or_b32_e32 v3, 0x10000, v2
	v_cmp_eq_u32_sdwa s[0:1], v2, v19 src0_sel:WORD_0 src1_sel:DWORD
	s_nop 1
	v_cndmask_b32_e64 v99, v3, v2, s[0:1]
; %bb.303:                              ;   in Loop: Header=BB134_48 Depth=1
	s_or_b64 exec, exec, s[14:15]
	v_lshlrev_b32_e32 v2, 16, v4
	v_mul_f32_e32 v2, v59, v2
	v_and_b32_e32 v3, 0x7f800000, v2
	v_cmp_ne_u32_e64 s[0:1], s24, v3
                                        ; implicit-def: $vgpr100
	s_and_saveexec_b64 s[14:15], s[0:1]
	s_xor_b64 s[0:1], exec, s[14:15]
; %bb.304:                              ;   in Loop: Header=BB134_48 Depth=1
	v_bfe_u32 v3, v2, 16, 1
	v_add3_u32 v100, v2, v3, s25
                                        ; implicit-def: $vgpr2
; %bb.305:                              ;   in Loop: Header=BB134_48 Depth=1
	s_andn2_saveexec_b64 s[14:15], s[0:1]
; %bb.306:                              ;   in Loop: Header=BB134_48 Depth=1
	v_or_b32_e32 v3, 0x10000, v2
	v_cmp_eq_u32_sdwa s[0:1], v2, v19 src0_sel:WORD_0 src1_sel:DWORD
	s_nop 1
	v_cndmask_b32_e64 v100, v3, v2, s[0:1]
; %bb.307:                              ;   in Loop: Header=BB134_48 Depth=1
	s_or_b64 exec, exec, s[14:15]
	v_lshlrev_b32_e32 v2, 16, v101
	v_mul_f32_e32 v2, v60, v2
	v_and_b32_e32 v3, 0x7f800000, v2
	v_cmp_ne_u32_e64 s[0:1], s24, v3
                                        ; implicit-def: $vgpr101
	s_and_saveexec_b64 s[14:15], s[0:1]
	s_xor_b64 s[0:1], exec, s[14:15]
; %bb.308:                              ;   in Loop: Header=BB134_48 Depth=1
	v_bfe_u32 v3, v2, 16, 1
	v_add3_u32 v101, v2, v3, s25
                                        ; implicit-def: $vgpr2
; %bb.309:                              ;   in Loop: Header=BB134_48 Depth=1
	s_andn2_saveexec_b64 s[14:15], s[0:1]
; %bb.310:                              ;   in Loop: Header=BB134_48 Depth=1
	v_or_b32_e32 v3, 0x10000, v2
	v_cmp_eq_u32_sdwa s[0:1], v2, v19 src0_sel:WORD_0 src1_sel:DWORD
	s_nop 1
	v_cndmask_b32_e64 v101, v3, v2, s[0:1]
; %bb.311:                              ;   in Loop: Header=BB134_48 Depth=1
	s_or_b64 exec, exec, s[14:15]
	v_lshlrev_b32_e32 v2, 16, v5
	v_mul_f32_e32 v2, v61, v2
	v_and_b32_e32 v3, 0x7f800000, v2
	v_cmp_ne_u32_e64 s[0:1], s24, v3
                                        ; implicit-def: $vgpr102
	s_and_saveexec_b64 s[14:15], s[0:1]
	s_xor_b64 s[0:1], exec, s[14:15]
; %bb.312:                              ;   in Loop: Header=BB134_48 Depth=1
	v_bfe_u32 v3, v2, 16, 1
	v_add3_u32 v102, v2, v3, s25
                                        ; implicit-def: $vgpr2
; %bb.313:                              ;   in Loop: Header=BB134_48 Depth=1
	s_andn2_saveexec_b64 s[14:15], s[0:1]
; %bb.314:                              ;   in Loop: Header=BB134_48 Depth=1
	v_or_b32_e32 v3, 0x10000, v2
	v_cmp_eq_u32_sdwa s[0:1], v2, v19 src0_sel:WORD_0 src1_sel:DWORD
	s_nop 1
	v_cndmask_b32_e64 v102, v3, v2, s[0:1]
; %bb.315:                              ;   in Loop: Header=BB134_48 Depth=1
	s_or_b64 exec, exec, s[14:15]
	v_lshlrev_b32_e32 v2, 16, v29
	v_mul_f32_e32 v2, v62, v2
	v_and_b32_e32 v3, 0x7f800000, v2
	v_cmp_ne_u32_e64 s[0:1], s24, v3
                                        ; implicit-def: $vgpr103
	s_and_saveexec_b64 s[14:15], s[0:1]
	s_xor_b64 s[0:1], exec, s[14:15]
; %bb.316:                              ;   in Loop: Header=BB134_48 Depth=1
	v_bfe_u32 v3, v2, 16, 1
	v_add3_u32 v103, v2, v3, s25
                                        ; implicit-def: $vgpr2
; %bb.317:                              ;   in Loop: Header=BB134_48 Depth=1
	s_andn2_saveexec_b64 s[14:15], s[0:1]
; %bb.318:                              ;   in Loop: Header=BB134_48 Depth=1
	v_or_b32_e32 v3, 0x10000, v2
	v_cmp_eq_u32_sdwa s[0:1], v2, v19 src0_sel:WORD_0 src1_sel:DWORD
	s_nop 1
	v_cndmask_b32_e64 v103, v3, v2, s[0:1]
; %bb.319:                              ;   in Loop: Header=BB134_48 Depth=1
	s_or_b64 exec, exec, s[14:15]
	v_mov_b32_e32 v29, v19
	v_lshl_add_u64 v[2:3], v[6:7], 0, v[28:29]
	global_load_dwordx4 v[2:5], v[2:3], off
	s_waitcnt vmcnt(0)
	v_lshrrev_b32_e32 v6, 16, v2
	v_lshrrev_b32_e32 v7, 16, v3
	;; [unrolled: 1-line block ×4, first 2 shown]
	s_and_saveexec_b64 s[0:1], vcc
	s_cbranch_execz .LBB134_321
; %bb.320:                              ;   in Loop: Header=BB134_48 Depth=1
	v_cmp_gt_i32_e32 vcc, s33, v45
	s_nop 1
	v_cndmask_b32_e32 v2, 0, v2, vcc
	v_cmp_gt_i32_e32 vcc, s33, v53
	s_nop 1
	v_cndmask_b32_e32 v6, 0, v6, vcc
	;; [unrolled: 3-line block ×8, first 2 shown]
.LBB134_321:                            ;   in Loop: Header=BB134_48 Depth=1
	s_or_b64 exec, exec, s[0:1]
	v_lshlrev_b32_e32 v2, 16, v2
	v_mul_f32_e32 v45, v54, v2
	v_and_b32_e32 v2, 0x7f800000, v45
	v_cmp_ne_u32_e32 vcc, s24, v2
                                        ; implicit-def: $vgpr2
	s_and_saveexec_b64 s[0:1], vcc
	s_xor_b64 s[0:1], exec, s[0:1]
; %bb.322:                              ;   in Loop: Header=BB134_48 Depth=1
	v_bfe_u32 v2, v45, 16, 1
	v_add3_u32 v2, v45, v2, s25
                                        ; implicit-def: $vgpr45
; %bb.323:                              ;   in Loop: Header=BB134_48 Depth=1
	s_andn2_saveexec_b64 s[0:1], s[0:1]
; %bb.324:                              ;   in Loop: Header=BB134_48 Depth=1
	v_or_b32_e32 v2, 0x10000, v45
	v_cmp_eq_u32_sdwa vcc, v45, v19 src0_sel:WORD_0 src1_sel:DWORD
	s_nop 1
	v_cndmask_b32_e32 v2, v2, v45, vcc
; %bb.325:                              ;   in Loop: Header=BB134_48 Depth=1
	s_or_b64 exec, exec, s[0:1]
	v_lshlrev_b32_e32 v6, 16, v6
	v_mul_f32_e32 v45, v56, v6
	v_and_b32_e32 v6, 0x7f800000, v45
	v_cmp_ne_u32_e32 vcc, s24, v6
                                        ; implicit-def: $vgpr6
	s_and_saveexec_b64 s[0:1], vcc
	s_xor_b64 s[0:1], exec, s[0:1]
; %bb.326:                              ;   in Loop: Header=BB134_48 Depth=1
	v_bfe_u32 v6, v45, 16, 1
	v_add3_u32 v6, v45, v6, s25
                                        ; implicit-def: $vgpr45
; %bb.327:                              ;   in Loop: Header=BB134_48 Depth=1
	s_andn2_saveexec_b64 s[0:1], s[0:1]
; %bb.328:                              ;   in Loop: Header=BB134_48 Depth=1
	v_or_b32_e32 v6, 0x10000, v45
	v_cmp_eq_u32_sdwa vcc, v45, v19 src0_sel:WORD_0 src1_sel:DWORD
	s_nop 1
	v_cndmask_b32_e32 v6, v6, v45, vcc
; %bb.329:                              ;   in Loop: Header=BB134_48 Depth=1
	s_or_b64 exec, exec, s[0:1]
	v_lshlrev_b32_e32 v3, 16, v3
	v_mul_f32_e32 v45, v57, v3
	v_and_b32_e32 v3, 0x7f800000, v45
	v_cmp_ne_u32_e32 vcc, s24, v3
                                        ; implicit-def: $vgpr3
	s_and_saveexec_b64 s[0:1], vcc
	s_xor_b64 s[0:1], exec, s[0:1]
; %bb.330:                              ;   in Loop: Header=BB134_48 Depth=1
	v_bfe_u32 v3, v45, 16, 1
	v_add3_u32 v3, v45, v3, s25
                                        ; implicit-def: $vgpr45
; %bb.331:                              ;   in Loop: Header=BB134_48 Depth=1
	s_andn2_saveexec_b64 s[0:1], s[0:1]
; %bb.332:                              ;   in Loop: Header=BB134_48 Depth=1
	v_or_b32_e32 v3, 0x10000, v45
	v_cmp_eq_u32_sdwa vcc, v45, v19 src0_sel:WORD_0 src1_sel:DWORD
	s_nop 1
	v_cndmask_b32_e32 v3, v3, v45, vcc
; %bb.333:                              ;   in Loop: Header=BB134_48 Depth=1
	s_or_b64 exec, exec, s[0:1]
	v_lshlrev_b32_e32 v7, 16, v7
	v_mul_f32_e32 v45, v58, v7
	v_and_b32_e32 v7, 0x7f800000, v45
	v_cmp_ne_u32_e32 vcc, s24, v7
                                        ; implicit-def: $vgpr7
	s_and_saveexec_b64 s[0:1], vcc
	s_xor_b64 s[0:1], exec, s[0:1]
; %bb.334:                              ;   in Loop: Header=BB134_48 Depth=1
	v_bfe_u32 v7, v45, 16, 1
	v_add3_u32 v7, v45, v7, s25
                                        ; implicit-def: $vgpr45
; %bb.335:                              ;   in Loop: Header=BB134_48 Depth=1
	s_andn2_saveexec_b64 s[0:1], s[0:1]
; %bb.336:                              ;   in Loop: Header=BB134_48 Depth=1
	v_or_b32_e32 v7, 0x10000, v45
	v_cmp_eq_u32_sdwa vcc, v45, v19 src0_sel:WORD_0 src1_sel:DWORD
	s_nop 1
	v_cndmask_b32_e32 v7, v7, v45, vcc
; %bb.337:                              ;   in Loop: Header=BB134_48 Depth=1
	s_or_b64 exec, exec, s[0:1]
	v_lshlrev_b32_e32 v4, 16, v4
	v_mul_f32_e32 v45, v59, v4
	v_and_b32_e32 v4, 0x7f800000, v45
	v_cmp_ne_u32_e32 vcc, s24, v4
                                        ; implicit-def: $vgpr4
	s_and_saveexec_b64 s[0:1], vcc
	s_xor_b64 s[0:1], exec, s[0:1]
; %bb.338:                              ;   in Loop: Header=BB134_48 Depth=1
	v_bfe_u32 v4, v45, 16, 1
	v_add3_u32 v4, v45, v4, s25
                                        ; implicit-def: $vgpr45
; %bb.339:                              ;   in Loop: Header=BB134_48 Depth=1
	s_andn2_saveexec_b64 s[0:1], s[0:1]
; %bb.340:                              ;   in Loop: Header=BB134_48 Depth=1
	v_or_b32_e32 v4, 0x10000, v45
	v_cmp_eq_u32_sdwa vcc, v45, v19 src0_sel:WORD_0 src1_sel:DWORD
	s_nop 1
	v_cndmask_b32_e32 v4, v4, v45, vcc
; %bb.341:                              ;   in Loop: Header=BB134_48 Depth=1
	s_or_b64 exec, exec, s[0:1]
	v_lshlrev_b32_e32 v45, 16, v104
	v_mul_f32_e32 v47, v60, v45
	v_and_b32_e32 v45, 0x7f800000, v47
	v_cmp_ne_u32_e32 vcc, s24, v45
                                        ; implicit-def: $vgpr45
	s_and_saveexec_b64 s[0:1], vcc
	s_xor_b64 s[0:1], exec, s[0:1]
; %bb.342:                              ;   in Loop: Header=BB134_48 Depth=1
	v_bfe_u32 v45, v47, 16, 1
	v_add3_u32 v45, v47, v45, s25
                                        ; implicit-def: $vgpr47
; %bb.343:                              ;   in Loop: Header=BB134_48 Depth=1
	s_andn2_saveexec_b64 s[0:1], s[0:1]
; %bb.344:                              ;   in Loop: Header=BB134_48 Depth=1
	v_or_b32_e32 v45, 0x10000, v47
	v_cmp_eq_u32_sdwa vcc, v47, v19 src0_sel:WORD_0 src1_sel:DWORD
	s_nop 1
	v_cndmask_b32_e32 v45, v45, v47, vcc
; %bb.345:                              ;   in Loop: Header=BB134_48 Depth=1
	s_or_b64 exec, exec, s[0:1]
	v_lshlrev_b32_e32 v5, 16, v5
	v_mul_f32_e32 v47, v61, v5
	v_and_b32_e32 v5, 0x7f800000, v47
	v_cmp_ne_u32_e32 vcc, s24, v5
                                        ; implicit-def: $vgpr5
	s_and_saveexec_b64 s[0:1], vcc
	s_xor_b64 s[0:1], exec, s[0:1]
; %bb.346:                              ;   in Loop: Header=BB134_48 Depth=1
	v_bfe_u32 v5, v47, 16, 1
	v_add3_u32 v5, v47, v5, s25
                                        ; implicit-def: $vgpr47
; %bb.347:                              ;   in Loop: Header=BB134_48 Depth=1
	s_andn2_saveexec_b64 s[0:1], s[0:1]
; %bb.348:                              ;   in Loop: Header=BB134_48 Depth=1
	v_or_b32_e32 v5, 0x10000, v47
	v_cmp_eq_u32_sdwa vcc, v47, v19 src0_sel:WORD_0 src1_sel:DWORD
	s_nop 1
	v_cndmask_b32_e32 v5, v5, v47, vcc
; %bb.349:                              ;   in Loop: Header=BB134_48 Depth=1
	s_or_b64 exec, exec, s[0:1]
	v_lshlrev_b32_e32 v29, 16, v29
	v_mul_f32_e32 v47, v62, v29
	v_and_b32_e32 v29, 0x7f800000, v47
	v_cmp_ne_u32_e32 vcc, s24, v29
                                        ; implicit-def: $vgpr29
	s_and_saveexec_b64 s[0:1], vcc
	s_xor_b64 s[0:1], exec, s[0:1]
; %bb.350:                              ;   in Loop: Header=BB134_48 Depth=1
	v_bfe_u32 v29, v47, 16, 1
	v_add3_u32 v29, v47, v29, s25
                                        ; implicit-def: $vgpr47
; %bb.351:                              ;   in Loop: Header=BB134_48 Depth=1
	s_andn2_saveexec_b64 s[0:1], s[0:1]
	s_cbranch_execz .LBB134_46
; %bb.352:                              ;   in Loop: Header=BB134_48 Depth=1
	v_or_b32_e32 v29, 0x10000, v47
	v_cmp_eq_u32_sdwa vcc, v47, v19 src0_sel:WORD_0 src1_sel:DWORD
	s_nop 1
	v_cndmask_b32_e32 v29, v29, v47, vcc
	s_branch .LBB134_46
.LBB134_353:
	s_or_b64 exec, exec, s[8:9]
.LBB134_354:
	s_or_b64 exec, exec, s[2:3]
	ds_bpermute_b32 v2, v32, v16
	ds_bpermute_b32 v3, v32, v17
	;; [unrolled: 1-line block ×8, first 2 shown]
	v_and_b32_e32 v1, 0x3c1, v0
	s_waitcnt lgkmcnt(6)
	v_pk_add_f32 v[8:9], v[16:17], v[2:3]
	s_waitcnt lgkmcnt(4)
	v_pk_add_f32 v[4:5], v[14:15], v[4:5]
	s_waitcnt lgkmcnt(2)
	v_pk_add_f32 v[2:3], v[12:13], v[6:7]
	s_waitcnt lgkmcnt(0)
	v_pk_add_f32 v[6:7], v[10:11], v[18:19]
	v_cmp_eq_u32_e32 vcc, 64, v1
	s_barrier
	s_and_saveexec_b64 s[0:1], vcc
	s_cbranch_execz .LBB134_356
; %bb.355:
	v_mov_b32_e32 v1, 0x210
	v_lshl_add_u32 v1, v31, 1, v1
	ds_write2_b32 v1, v8, v9 offset1:32
	ds_write2_b32 v1, v4, v5 offset0:64 offset1:96
	ds_write2_b32 v1, v2, v3 offset0:128 offset1:160
	;; [unrolled: 1-line block ×3, first 2 shown]
.LBB134_356:
	s_or_b64 exec, exec, s[0:1]
	v_cmp_gt_u32_e32 vcc, 64, v0
	s_waitcnt lgkmcnt(0)
	s_barrier
	s_and_saveexec_b64 s[2:3], vcc
	s_cbranch_execz .LBB134_367
; %bb.357:
	v_cmp_eq_u32_e64 s[0:1], 0, v33
	v_lshrrev_b32_e32 v1, 1, v0
	s_and_saveexec_b64 s[6:7], s[0:1]
	s_cbranch_execnz .LBB134_403
; %bb.358:
	s_or_b64 exec, exec, s[6:7]
	s_and_saveexec_b64 s[6:7], s[0:1]
	s_cbranch_execnz .LBB134_404
.LBB134_359:
	s_or_b64 exec, exec, s[6:7]
	s_and_saveexec_b64 s[6:7], s[0:1]
	s_cbranch_execnz .LBB134_405
.LBB134_360:
	s_or_b64 exec, exec, s[6:7]
	s_and_saveexec_b64 s[6:7], s[0:1]
	s_cbranch_execnz .LBB134_406
.LBB134_361:
	s_or_b64 exec, exec, s[6:7]
	s_and_saveexec_b64 s[6:7], s[0:1]
	s_cbranch_execnz .LBB134_407
.LBB134_362:
	s_or_b64 exec, exec, s[6:7]
	s_and_saveexec_b64 s[6:7], s[0:1]
	s_cbranch_execnz .LBB134_408
.LBB134_363:
	s_or_b64 exec, exec, s[6:7]
	s_and_saveexec_b64 s[6:7], s[0:1]
	s_cbranch_execnz .LBB134_409
.LBB134_364:
	s_or_b64 exec, exec, s[6:7]
	s_and_saveexec_b64 s[6:7], s[0:1]
	s_cbranch_execz .LBB134_366
.LBB134_365:
	v_mov_b32_e32 v10, 0x210
	v_lshl_add_u32 v1, v1, 2, v10
	ds_read_b32 v1, v1 offset:896
	s_waitcnt lgkmcnt(0)
	v_add_f32_e32 v7, v7, v1
.LBB134_366:
	s_or_b64 exec, exec, s[6:7]
.LBB134_367:
	s_or_b64 exec, exec, s[2:3]
	s_barrier
	s_and_saveexec_b64 s[0:1], vcc
	s_cbranch_execz .LBB134_402
; %bb.368:
	v_cmp_eq_u32_e32 vcc, 0, v33
	s_and_b64 exec, exec, vcc
	s_cbranch_execz .LBB134_402
; %bb.369:
	s_mov_b32 s0, 0x7f800000
	v_and_b32_e32 v1, 0x7f800000, v8
	v_cmp_ne_u32_e32 vcc, s0, v1
                                        ; implicit-def: $vgpr10
	s_and_saveexec_b64 s[0:1], vcc
	s_xor_b64 s[0:1], exec, s[0:1]
; %bb.370:
	v_bfe_u32 v1, v8, 16, 1
	s_movk_i32 s2, 0x7fff
	v_add3_u32 v10, v8, v1, s2
; %bb.371:
	s_andn2_saveexec_b64 s[0:1], s[0:1]
; %bb.372:
	v_mov_b32_e32 v1, 0
	v_or_b32_e32 v10, 0x10000, v8
	v_cmp_eq_u32_sdwa vcc, v8, v1 src0_sel:WORD_0 src1_sel:DWORD
	s_nop 1
	v_cndmask_b32_e32 v10, v10, v8, vcc
; %bb.373:
	s_or_b64 exec, exec, s[0:1]
	s_mul_i32 s0, s10, s11
	s_mul_i32 s0, s0, s5
	s_lshl_b32 s0, s0, 8
	s_ashr_i32 s1, s0, 31
	s_lshl_b64 s[0:1], s[0:1], 1
	s_add_u32 s2, s22, s0
	s_mul_i32 s0, s11, s20
	s_addc_u32 s3, s23, s1
	s_ashr_i32 s1, s0, 31
	s_lshl_b64 s[0:1], s[0:1], 1
	s_add_u32 s2, s2, s0
	s_addc_u32 s3, s3, s1
	s_lshl_b32 s0, s4, 8
	s_ashr_i32 s1, s0, 31
	s_lshl_b64 s[0:1], s[0:1], 1
	s_add_u32 s0, s2, s0
	s_mov_b32 s2, 0x7f800000
	v_and_b32_e32 v8, 0x7f800000, v9
	s_addc_u32 s1, s3, s1
	v_and_b32_e32 v0, 0x3fe, v0
	v_mov_b32_e32 v1, 0
	v_cmp_ne_u32_e32 vcc, s2, v8
	global_store_short_d16_hi v0, v10, s[0:1]
                                        ; implicit-def: $vgpr8
	s_and_saveexec_b64 s[2:3], vcc
	s_xor_b64 s[2:3], exec, s[2:3]
; %bb.374:
	v_bfe_u32 v8, v9, 16, 1
	s_movk_i32 s4, 0x7fff
	v_add3_u32 v8, v9, v8, s4
; %bb.375:
	s_or_saveexec_b64 s[2:3], s[2:3]
	v_lshl_add_u64 v[10:11], s[0:1], 0, v[0:1]
	s_xor_b64 exec, exec, s[2:3]
; %bb.376:
	v_mov_b32_e32 v0, 0
	v_or_b32_e32 v1, 0x10000, v9
	v_cmp_eq_u32_sdwa vcc, v9, v0 src0_sel:WORD_0 src1_sel:DWORD
	s_nop 1
	v_cndmask_b32_e32 v8, v1, v9, vcc
; %bb.377:
	s_or_b64 exec, exec, s[2:3]
	s_mov_b32 s0, 0x7f800000
	v_and_b32_e32 v0, 0x7f800000, v4
	v_cmp_ne_u32_e32 vcc, s0, v0
	global_store_short_d16_hi v[10:11], v8, off offset:64
                                        ; implicit-def: $vgpr0
	s_and_saveexec_b64 s[0:1], vcc
	s_xor_b64 s[0:1], exec, s[0:1]
; %bb.378:
	v_bfe_u32 v0, v4, 16, 1
	s_movk_i32 s2, 0x7fff
	v_add3_u32 v0, v4, v0, s2
; %bb.379:
	s_andn2_saveexec_b64 s[0:1], s[0:1]
; %bb.380:
	v_mov_b32_e32 v0, 0
	v_or_b32_e32 v1, 0x10000, v4
	v_cmp_eq_u32_sdwa vcc, v4, v0 src0_sel:WORD_0 src1_sel:DWORD
	s_nop 1
	v_cndmask_b32_e32 v0, v1, v4, vcc
; %bb.381:
	s_or_b64 exec, exec, s[0:1]
	global_store_short_d16_hi v[10:11], v0, off offset:128
	s_mov_b32 s0, 0x7f800000
	v_and_b32_e32 v0, 0x7f800000, v5
	v_cmp_ne_u32_e32 vcc, s0, v0
                                        ; implicit-def: $vgpr0
	s_and_saveexec_b64 s[0:1], vcc
	s_xor_b64 s[0:1], exec, s[0:1]
; %bb.382:
	v_bfe_u32 v0, v5, 16, 1
	s_movk_i32 s2, 0x7fff
	v_add3_u32 v0, v5, v0, s2
; %bb.383:
	s_andn2_saveexec_b64 s[0:1], s[0:1]
; %bb.384:
	v_mov_b32_e32 v0, 0
	v_or_b32_e32 v1, 0x10000, v5
	v_cmp_eq_u32_sdwa vcc, v5, v0 src0_sel:WORD_0 src1_sel:DWORD
	s_nop 1
	v_cndmask_b32_e32 v0, v1, v5, vcc
; %bb.385:
	s_or_b64 exec, exec, s[0:1]
	global_store_short_d16_hi v[10:11], v0, off offset:192
	s_mov_b32 s0, 0x7f800000
	v_and_b32_e32 v0, 0x7f800000, v2
	v_cmp_ne_u32_e32 vcc, s0, v0
	;; [unrolled: 21-line block ×5, first 2 shown]
                                        ; implicit-def: $vgpr8
	s_and_saveexec_b64 s[0:1], vcc
	s_xor_b64 s[0:1], exec, s[0:1]
; %bb.398:
	v_bfe_u32 v0, v7, 16, 1
	s_movk_i32 s2, 0x7fff
	v_add3_u32 v8, v7, v0, s2
                                        ; implicit-def: $vgpr0_vgpr1_vgpr2_vgpr3_vgpr4_vgpr5_vgpr6_vgpr7
; %bb.399:
	s_andn2_saveexec_b64 s[0:1], s[0:1]
; %bb.400:
	v_mov_b32_e32 v0, 0
	v_or_b32_e32 v1, 0x10000, v7
	v_cmp_eq_u32_sdwa vcc, v7, v0 src0_sel:WORD_0 src1_sel:DWORD
	s_nop 1
	v_cndmask_b32_e32 v8, v1, v7, vcc
; %bb.401:
	s_or_b64 exec, exec, s[0:1]
	global_store_short_d16_hi v[10:11], v8, off offset:448
.LBB134_402:
	s_endpgm
.LBB134_403:
	v_mov_b32_e32 v10, 0x210
	v_lshl_add_u32 v10, v1, 2, v10
	ds_read_b32 v10, v10
	s_waitcnt lgkmcnt(0)
	v_add_f32_e32 v8, v8, v10
	s_or_b64 exec, exec, s[6:7]
	s_and_saveexec_b64 s[6:7], s[0:1]
	s_cbranch_execz .LBB134_359
.LBB134_404:
	v_mov_b32_e32 v10, 0x210
	v_lshl_add_u32 v10, v1, 2, v10
	ds_read_b32 v10, v10 offset:128
	s_waitcnt lgkmcnt(0)
	v_add_f32_e32 v9, v9, v10
	s_or_b64 exec, exec, s[6:7]
	s_and_saveexec_b64 s[6:7], s[0:1]
	s_cbranch_execz .LBB134_360
.LBB134_405:
	v_mov_b32_e32 v10, 0x210
	v_lshl_add_u32 v10, v1, 2, v10
	ds_read_b32 v10, v10 offset:256
	s_waitcnt lgkmcnt(0)
	v_add_f32_e32 v4, v4, v10
	s_or_b64 exec, exec, s[6:7]
	s_and_saveexec_b64 s[6:7], s[0:1]
	s_cbranch_execz .LBB134_361
.LBB134_406:
	v_mov_b32_e32 v10, 0x210
	v_lshl_add_u32 v10, v1, 2, v10
	ds_read_b32 v10, v10 offset:384
	s_waitcnt lgkmcnt(0)
	v_add_f32_e32 v5, v5, v10
	s_or_b64 exec, exec, s[6:7]
	s_and_saveexec_b64 s[6:7], s[0:1]
	s_cbranch_execz .LBB134_362
.LBB134_407:
	v_mov_b32_e32 v10, 0x210
	v_lshl_add_u32 v10, v1, 2, v10
	ds_read_b32 v10, v10 offset:512
	s_waitcnt lgkmcnt(0)
	v_add_f32_e32 v2, v2, v10
	s_or_b64 exec, exec, s[6:7]
	s_and_saveexec_b64 s[6:7], s[0:1]
	s_cbranch_execz .LBB134_363
.LBB134_408:
	v_mov_b32_e32 v10, 0x210
	v_lshl_add_u32 v10, v1, 2, v10
	ds_read_b32 v10, v10 offset:640
	s_waitcnt lgkmcnt(0)
	v_add_f32_e32 v3, v3, v10
	s_or_b64 exec, exec, s[6:7]
	s_and_saveexec_b64 s[6:7], s[0:1]
	s_cbranch_execz .LBB134_364
.LBB134_409:
	v_mov_b32_e32 v10, 0x210
	v_lshl_add_u32 v10, v1, 2, v10
	ds_read_b32 v10, v10 offset:768
	s_waitcnt lgkmcnt(0)
	v_add_f32_e32 v6, v6, v10
	s_or_b64 exec, exec, s[6:7]
	s_and_saveexec_b64 s[6:7], s[0:1]
	s_cbranch_execnz .LBB134_365
	s_branch .LBB134_366
	.section	.rodata,"a",@progbits
	.p2align	6, 0x0
	.amdhsa_kernel _ZN4vllm25paged_attention_v1_kernelI14__hip_bfloat16S1_Li256ELi16ELi128ELNS_18Fp8KVCacheDataTypeE0ELb1EEEvPT_PKS3_PKT0_S9_ifPKiSB_iPKfiiiSD_SD_iiiii
		.amdhsa_group_segment_fixed_size 528
		.amdhsa_private_segment_fixed_size 0
		.amdhsa_kernarg_size 384
		.amdhsa_user_sgpr_count 2
		.amdhsa_user_sgpr_dispatch_ptr 0
		.amdhsa_user_sgpr_queue_ptr 0
		.amdhsa_user_sgpr_kernarg_segment_ptr 1
		.amdhsa_user_sgpr_dispatch_id 0
		.amdhsa_user_sgpr_kernarg_preload_length 0
		.amdhsa_user_sgpr_kernarg_preload_offset 0
		.amdhsa_user_sgpr_private_segment_size 0
		.amdhsa_uses_dynamic_stack 0
		.amdhsa_enable_private_segment 0
		.amdhsa_system_sgpr_workgroup_id_x 1
		.amdhsa_system_sgpr_workgroup_id_y 1
		.amdhsa_system_sgpr_workgroup_id_z 1
		.amdhsa_system_sgpr_workgroup_info 0
		.amdhsa_system_vgpr_workitem_id 0
		.amdhsa_next_free_vgpr 105
		.amdhsa_next_free_sgpr 45
		.amdhsa_accum_offset 108
		.amdhsa_reserve_vcc 1
		.amdhsa_float_round_mode_32 0
		.amdhsa_float_round_mode_16_64 0
		.amdhsa_float_denorm_mode_32 3
		.amdhsa_float_denorm_mode_16_64 3
		.amdhsa_dx10_clamp 1
		.amdhsa_ieee_mode 1
		.amdhsa_fp16_overflow 0
		.amdhsa_tg_split 0
		.amdhsa_exception_fp_ieee_invalid_op 0
		.amdhsa_exception_fp_denorm_src 0
		.amdhsa_exception_fp_ieee_div_zero 0
		.amdhsa_exception_fp_ieee_overflow 0
		.amdhsa_exception_fp_ieee_underflow 0
		.amdhsa_exception_fp_ieee_inexact 0
		.amdhsa_exception_int_div_zero 0
	.end_amdhsa_kernel
	.section	.text._ZN4vllm25paged_attention_v1_kernelI14__hip_bfloat16S1_Li256ELi16ELi128ELNS_18Fp8KVCacheDataTypeE0ELb1EEEvPT_PKS3_PKT0_S9_ifPKiSB_iPKfiiiSD_SD_iiiii,"axG",@progbits,_ZN4vllm25paged_attention_v1_kernelI14__hip_bfloat16S1_Li256ELi16ELi128ELNS_18Fp8KVCacheDataTypeE0ELb1EEEvPT_PKS3_PKT0_S9_ifPKiSB_iPKfiiiSD_SD_iiiii,comdat
.Lfunc_end134:
	.size	_ZN4vllm25paged_attention_v1_kernelI14__hip_bfloat16S1_Li256ELi16ELi128ELNS_18Fp8KVCacheDataTypeE0ELb1EEEvPT_PKS3_PKT0_S9_ifPKiSB_iPKfiiiSD_SD_iiiii, .Lfunc_end134-_ZN4vllm25paged_attention_v1_kernelI14__hip_bfloat16S1_Li256ELi16ELi128ELNS_18Fp8KVCacheDataTypeE0ELb1EEEvPT_PKS3_PKT0_S9_ifPKiSB_iPKfiiiSD_SD_iiiii
                                        ; -- End function
	.section	.AMDGPU.csdata,"",@progbits
; Kernel info:
; codeLenInByte = 14752
; NumSgprs: 51
; NumVgprs: 105
; NumAgprs: 0
; TotalNumVgprs: 105
; ScratchSize: 0
; MemoryBound: 0
; FloatMode: 240
; IeeeMode: 1
; LDSByteSize: 528 bytes/workgroup (compile time only)
; SGPRBlocks: 6
; VGPRBlocks: 13
; NumSGPRsForWavesPerEU: 51
; NumVGPRsForWavesPerEU: 105
; AccumOffset: 108
; Occupancy: 4
; WaveLimiterHint : 1
; COMPUTE_PGM_RSRC2:SCRATCH_EN: 0
; COMPUTE_PGM_RSRC2:USER_SGPR: 2
; COMPUTE_PGM_RSRC2:TRAP_HANDLER: 0
; COMPUTE_PGM_RSRC2:TGID_X_EN: 1
; COMPUTE_PGM_RSRC2:TGID_Y_EN: 1
; COMPUTE_PGM_RSRC2:TGID_Z_EN: 1
; COMPUTE_PGM_RSRC2:TIDIG_COMP_CNT: 0
; COMPUTE_PGM_RSRC3_GFX90A:ACCUM_OFFSET: 26
; COMPUTE_PGM_RSRC3_GFX90A:TG_SPLIT: 0
	.section	.text._ZN4vllm25paged_attention_v1_kernelI14__hip_bfloat16S1_Li32ELi16ELi128ELNS_18Fp8KVCacheDataTypeE0ELb0EEEvPT_PKS3_PKT0_S9_ifPKiSB_iPKfiiiSD_SD_iiiii,"axG",@progbits,_ZN4vllm25paged_attention_v1_kernelI14__hip_bfloat16S1_Li32ELi16ELi128ELNS_18Fp8KVCacheDataTypeE0ELb0EEEvPT_PKS3_PKT0_S9_ifPKiSB_iPKfiiiSD_SD_iiiii,comdat
	.protected	_ZN4vllm25paged_attention_v1_kernelI14__hip_bfloat16S1_Li32ELi16ELi128ELNS_18Fp8KVCacheDataTypeE0ELb0EEEvPT_PKS3_PKT0_S9_ifPKiSB_iPKfiiiSD_SD_iiiii ; -- Begin function _ZN4vllm25paged_attention_v1_kernelI14__hip_bfloat16S1_Li32ELi16ELi128ELNS_18Fp8KVCacheDataTypeE0ELb0EEEvPT_PKS3_PKT0_S9_ifPKiSB_iPKfiiiSD_SD_iiiii
	.globl	_ZN4vllm25paged_attention_v1_kernelI14__hip_bfloat16S1_Li32ELi16ELi128ELNS_18Fp8KVCacheDataTypeE0ELb0EEEvPT_PKS3_PKT0_S9_ifPKiSB_iPKfiiiSD_SD_iiiii
	.p2align	8
	.type	_ZN4vllm25paged_attention_v1_kernelI14__hip_bfloat16S1_Li32ELi16ELi128ELNS_18Fp8KVCacheDataTypeE0ELb0EEEvPT_PKS3_PKT0_S9_ifPKiSB_iPKfiiiSD_SD_iiiii,@function
_ZN4vllm25paged_attention_v1_kernelI14__hip_bfloat16S1_Li32ELi16ELi128ELNS_18Fp8KVCacheDataTypeE0ELb0EEEvPT_PKS3_PKT0_S9_ifPKiSB_iPKfiiiSD_SD_iiiii: ; @_ZN4vllm25paged_attention_v1_kernelI14__hip_bfloat16S1_Li32ELi16ELi128ELNS_18Fp8KVCacheDataTypeE0ELb0EEEvPT_PKS3_PKT0_S9_ifPKiSB_iPKfiiiSD_SD_iiiii
; %bb.0:
	s_load_dword s5, s[0:1], 0x80
	s_load_dwordx2 s[6:7], s[0:1], 0x30
	s_load_dwordx2 s[8:9], s[0:1], 0x20
	s_mov_b32 s10, s3
	s_ashr_i32 s11, s3, 31
	s_lshl_b64 s[12:13], s[10:11], 2
	s_waitcnt lgkmcnt(0)
	s_add_u32 s6, s6, s12
	s_addc_u32 s7, s7, s13
	s_abs_i32 s3, s8
	v_cvt_f32_u32_e32 v1, s3
	s_sub_i32 s12, 0, s3
	s_abs_i32 s11, s5
	s_xor_b32 s8, s5, s8
	v_rcp_iflag_f32_e32 v1, v1
	s_ashr_i32 s8, s8, 31
	v_mul_f32_e32 v1, 0x4f7ffffe, v1
	v_cvt_u32_f32_e32 v1, v1
	s_nop 0
	v_readfirstlane_b32 s13, v1
	s_mul_i32 s12, s12, s13
	s_mul_hi_u32 s12, s13, s12
	s_add_i32 s13, s13, s12
	s_mul_hi_u32 s12, s11, s13
	s_mul_i32 s13, s12, s3
	s_sub_i32 s11, s11, s13
	s_add_i32 s13, s12, 1
	s_sub_i32 s14, s11, s3
	s_cmp_ge_u32 s11, s3
	s_cselect_b32 s12, s13, s12
	s_cselect_b32 s11, s14, s11
	s_add_i32 s13, s12, 1
	s_cmp_ge_u32 s11, s3
	s_cselect_b32 s3, s13, s12
	s_xor_b32 s3, s3, s8
	s_sub_i32 s16, s3, s8
	s_abs_i32 s11, s16
	v_cvt_f32_u32_e32 v1, s11
	s_load_dwordx2 s[12:13], s[0:1], 0x40
	s_sub_i32 s3, 0, s11
	s_abs_i32 s18, s2
	v_rcp_iflag_f32_e32 v1, v1
	s_mov_b32 s8, 0
	v_mul_f32_e32 v1, 0x4f7ffffe, v1
	v_cvt_u32_f32_e32 v1, v1
	s_nop 0
	v_readfirstlane_b32 s14, v1
	s_mul_i32 s3, s3, s14
	s_mul_hi_u32 s3, s14, s3
	s_add_i32 s14, s14, s3
	s_waitcnt lgkmcnt(0)
	s_cmp_eq_u64 s[12:13], 0
	s_mul_hi_u32 s19, s18, s14
	s_cbranch_scc1 .LBB135_2
; %bb.1:
	s_ashr_i32 s3, s2, 31
	s_lshl_b64 s[14:15], s[2:3], 2
	s_add_u32 s12, s12, s14
	s_addc_u32 s13, s13, s15
	s_load_dword s8, s[12:13], 0x0
.LBB135_2:
	s_load_dword s33, s[6:7], 0x0
	s_nop 0
	s_load_dwordx4 s[12:15], s[0:1], 0x48
	s_ashr_i32 s6, s2, 31
	s_ashr_i32 s7, s16, 31
	v_and_b32_e32 v4, 3, v0
	s_lshl_b32 s16, s2, 5
	v_cmp_gt_u32_e32 vcc, 16, v0
	s_and_saveexec_b64 s[2:3], vcc
	s_cbranch_execz .LBB135_4
; %bb.3:
	s_load_dwordx2 s[20:21], s[0:1], 0x8
	s_waitcnt lgkmcnt(0)
	s_mul_i32 s22, s10, s12
	s_ashr_i32 s23, s22, 31
	s_lshl_b64 s[22:23], s[22:23], 1
	v_lshlrev_b32_e32 v1, 2, v0
	s_add_u32 s12, s20, s22
	s_addc_u32 s15, s21, s23
	s_ashr_i32 s17, s16, 31
	s_lshl_b64 s[20:21], s[16:17], 1
	s_add_u32 s20, s12, s20
	s_addc_u32 s21, s15, s21
	global_load_dword v1, v1, s[20:21]
	v_and_b32_e32 v2, 0x3fc, v0
	v_lshl_add_u32 v2, v4, 4, v2
	s_waitcnt vmcnt(0)
	ds_write_b32 v2, v1
.LBB135_4:
	s_or_b64 exec, exec, s[2:3]
	s_waitcnt lgkmcnt(0)
	s_add_i32 s3, s33, 15
	s_ashr_i32 s12, s3, 31
	s_lshr_b32 s12, s12, 28
	s_add_i32 s3, s3, s12
	s_ashr_i32 s12, s3, 4
	s_xor_b32 s3, s6, s7
	s_mul_i32 s6, s19, s11
	s_sub_i32 s6, s18, s6
	s_add_i32 s7, s19, 1
	s_sub_i32 s15, s6, s11
	s_load_dwordx2 s[20:21], s[0:1], 0x28
	s_load_dword s2, s[0:1], 0x38
	s_cmp_ge_u32 s6, s11
	s_cselect_b32 s7, s7, s19
	s_cselect_b32 s6, s15, s6
	s_add_i32 s15, s7, 1
	s_cmp_ge_u32 s6, s11
	s_cselect_b32 s6, s15, s7
	v_lshrrev_b32_e32 v1, 6, v0
	s_xor_b32 s6, s6, s3
	s_waitcnt lgkmcnt(0)
	s_mul_i32 s22, s10, s2
	s_sub_i32 s15, s6, s3
	s_ashr_i32 s23, s22, 31
	v_cmp_gt_i32_e64 s[2:3], s12, v1
	v_cmp_le_i32_e32 vcc, s12, v1
	v_mbcnt_lo_u32_b32 v5, -1, 0
	s_barrier
	s_waitcnt lgkmcnt(0)
                                        ; implicit-def: $sgpr17
                                        ; implicit-def: $vgpr7
                                        ; implicit-def: $vgpr8
	s_and_saveexec_b64 s[6:7], vcc
	s_xor_b64 s[6:7], exec, s[6:7]
; %bb.5:
	v_mbcnt_hi_u32_b32 v7, -1, v5
	v_and_b32_e32 v2, 64, v7
	v_add_u32_e32 v8, 64, v2
	s_mov_b32 s17, 0xff7fffff
                                        ; implicit-def: $vgpr4
                                        ; implicit-def: $vgpr5
; %bb.6:
	s_or_saveexec_b64 s[26:27], s[6:7]
	s_load_dwordx2 s[18:19], s[0:1], 0x0
	s_load_dwordx2 s[24:25], s[0:1], 0x18
	s_load_dword s11, s[0:1], 0x88
	v_mov_b32_e32 v14, s17
	s_mul_i32 s14, s15, s14
	v_lshrrev_b32_e32 v6, 4, v0
	s_xor_b64 exec, exec, s[26:27]
	s_cbranch_execz .LBB135_12
; %bb.7:
	s_load_dwordx2 s[0:1], s[0:1], 0x10
	s_ashr_i32 s15, s14, 31
	s_lshl_b64 s[6:7], s[14:15], 1
	v_bfe_u32 v21, v0, 2, 4
	v_lshlrev_b32_e32 v22, 4, v21
	s_waitcnt lgkmcnt(0)
	s_add_u32 s0, s0, s6
	s_addc_u32 s1, s1, s7
	v_mov_b32_e32 v23, 0
	v_lshlrev_b32_e32 v2, 4, v4
	v_lshlrev_b32_e32 v7, 2, v0
	ds_read_b128 v[14:17], v2
	v_lshl_add_u64 v[2:3], s[0:1], 0, v[22:23]
	v_and_b32_e32 v22, 12, v7
	v_mbcnt_hi_u32_b32 v7, -1, v5
	v_and_b32_e32 v5, 64, v7
	v_add_u32_e32 v8, 64, v5
	v_xor_b32_e32 v5, 2, v7
	v_cmp_lt_i32_e32 vcc, v5, v8
	s_sub_i32 s15, 1, s33
	s_lshl_b64 s[6:7], s[22:23], 2
	v_cndmask_b32_e32 v5, v7, v5, vcc
	v_lshlrev_b32_e32 v18, 2, v5
	v_xor_b32_e32 v5, 1, v7
	v_cmp_lt_i32_e32 vcc, v5, v8
	s_add_u32 s6, s20, s6
	v_lshl_add_u64 v[2:3], v[2:3], 0, v[22:23]
	v_cndmask_b32_e32 v5, v7, v5, vcc
	v_cmp_eq_u32_e32 vcc, 0, v4
	v_lshlrev_b32_e32 v4, 2, v21
	v_lshl_or_b32 v4, v1, 6, v4
	v_and_b32_e32 v22, 60, v6
	s_addc_u32 s7, s21, s7
	s_mov_b32 s17, s13
	s_waitcnt lgkmcnt(0)
	v_lshlrev_b32_e32 v9, 16, v14
	v_and_b32_e32 v10, 0xffff0000, v14
	v_lshlrev_b32_e32 v11, 16, v15
	v_and_b32_e32 v12, 0xffff0000, v15
	;; [unrolled: 2-line block ×4, first 2 shown]
	v_lshlrev_b32_e32 v19, 2, v5
	v_cmp_neq_f32_e64 s[0:1], s8, 0
	v_lshl_or_b32 v20, v1, 4, v21
	v_add_u32_e32 v21, 0x50, v4
	v_lshl_add_u64 v[4:5], s[6:7], 0, v[22:23]
	s_mov_b64 s[28:29], 0
	v_mov_b32_e32 v14, 0xff7fffff
	v_mov_b32_e32 v22, v1
	s_branch .LBB135_9
.LBB135_8:                              ;   in Loop: Header=BB135_9 Depth=1
	s_or_b64 exec, exec, s[30:31]
	v_add_u32_e32 v22, 2, v22
	v_cmp_le_i32_e64 s[6:7], s12, v22
	v_add_u32_e32 v20, 32, v20
	v_add_u32_e32 v21, 0x80, v21
	s_or_b64 s[28:29], s[6:7], s[28:29]
	v_lshl_add_u64 v[4:5], v[4:5], 0, 8
	s_andn2_b64 exec, exec, s[28:29]
	s_cbranch_execz .LBB135_11
.LBB135_9:                              ; =>This Inner Loop Header: Depth=1
	global_load_dword v23, v[4:5], off
	s_waitcnt vmcnt(0) lgkmcnt(0)
	v_mad_i64_i32 v[24:25], s[6:7], v23, s17, 0
	v_lshl_add_u64 v[24:25], v[24:25], 1, v[2:3]
	global_load_dword v23, v[24:25], off
	global_load_dword v26, v[24:25], off offset:256
	global_load_dword v27, v[24:25], off offset:512
	;; [unrolled: 1-line block ×3, first 2 shown]
	s_waitcnt vmcnt(3)
	v_lshlrev_b32_e32 v24, 16, v23
	s_waitcnt vmcnt(2)
	v_lshlrev_b32_e32 v25, 16, v26
	v_and_b32_e32 v26, 0xffff0000, v26
	v_and_b32_e32 v23, 0xffff0000, v23
	v_mul_f32_e32 v25, v11, v25
	v_mul_f32_e32 v26, v12, v26
	s_waitcnt vmcnt(1)
	v_lshlrev_b32_e32 v29, 16, v27
	v_and_b32_e32 v27, 0xffff0000, v27
	v_fmac_f32_e32 v25, v9, v24
	v_fmac_f32_e32 v26, v10, v23
	s_waitcnt vmcnt(0)
	v_lshlrev_b32_e32 v30, 16, v28
	v_and_b32_e32 v28, 0xffff0000, v28
	v_fmac_f32_e32 v25, v13, v29
	v_fmac_f32_e32 v26, v15, v27
	;; [unrolled: 1-line block ×4, first 2 shown]
	v_add_f32_e32 v23, v25, v26
	ds_bpermute_b32 v24, v18, v23
	s_waitcnt lgkmcnt(0)
	v_add_f32_e32 v23, v23, v24
	ds_bpermute_b32 v24, v19, v23
	s_and_saveexec_b64 s[30:31], vcc
	s_cbranch_execz .LBB135_8
; %bb.10:                               ;   in Loop: Header=BB135_9 Depth=1
	v_add_u32_e32 v25, s15, v20
	v_cvt_f32_i32_e32 v25, v25
	s_waitcnt lgkmcnt(0)
	v_add_f32_e32 v23, v23, v24
	v_cmp_gt_i32_e64 s[6:7], s33, v20
	v_max_f32_e32 v24, v14, v14
	v_mul_f32_e32 v25, s8, v25
	v_cndmask_b32_e64 v25, 0, v25, s[0:1]
	v_fmac_f32_e32 v25, s9, v23
	v_cndmask_b32_e64 v23, 0, v25, s[6:7]
	ds_write_b32 v21, v23
	v_max_f32_e32 v23, v24, v25
	v_cndmask_b32_e64 v14, v14, v23, s[6:7]
	s_branch .LBB135_8
.LBB135_11:
	s_or_b64 exec, exec, s[28:29]
.LBB135_12:
	s_or_b64 exec, exec, s[26:27]
	v_xor_b32_e32 v2, 32, v7
	v_cmp_lt_i32_e32 vcc, v2, v8
	v_xor_b32_e32 v5, 16, v7
	v_max_f32_e32 v4, v14, v14
	v_cndmask_b32_e32 v2, v7, v2, vcc
	v_lshlrev_b32_e32 v2, 2, v2
	ds_bpermute_b32 v3, v2, v14
	v_cmp_lt_i32_e32 vcc, v5, v8
	v_xor_b32_e32 v9, 8, v7
	v_xor_b32_e32 v10, 4, v7
	v_and_b32_e32 v16, 63, v0
	s_waitcnt lgkmcnt(0)
	v_max_f32_e32 v3, v3, v3
	v_max_f32_e32 v4, v4, v3
	v_cndmask_b32_e32 v3, v7, v5, vcc
	v_lshlrev_b32_e32 v3, 2, v3
	ds_bpermute_b32 v5, v3, v4
	v_cmp_lt_i32_e32 vcc, v9, v8
	s_waitcnt lgkmcnt(0)
	v_max_f32_e32 v5, v5, v5
	v_max_f32_e32 v4, v4, v5
	v_cndmask_b32_e32 v5, v7, v9, vcc
	v_lshlrev_b32_e32 v9, 2, v5
	ds_bpermute_b32 v5, v9, v4
	v_cmp_lt_i32_e32 vcc, v10, v8
	s_waitcnt lgkmcnt(0)
	v_max_f32_e32 v5, v5, v5
	v_max_f32_e32 v5, v4, v5
	v_cndmask_b32_e32 v4, v7, v10, vcc
	v_lshlrev_b32_e32 v10, 2, v4
	ds_bpermute_b32 v11, v10, v5
	v_cmp_eq_u32_e32 vcc, 0, v16
	v_lshlrev_b32_e32 v4, 2, v1
	s_and_saveexec_b64 s[0:1], vcc
	s_cbranch_execz .LBB135_14
; %bb.13:
	s_waitcnt lgkmcnt(0)
	v_max_f32_e32 v11, v11, v11
	v_max_f32_e32 v5, v5, v5
	;; [unrolled: 1-line block ×3, first 2 shown]
	ds_write_b32 v4, v5 offset:64
.LBB135_14:
	s_or_b64 exec, exec, s[0:1]
	v_cmp_gt_u32_e64 s[0:1], 2, v16
	s_waitcnt lgkmcnt(0)
	v_mov_b32_e32 v11, 0xff7fffff
	v_lshlrev_b32_e32 v5, 2, v16
	s_barrier
	s_and_saveexec_b64 s[6:7], s[0:1]
	s_cbranch_execz .LBB135_16
; %bb.15:
	ds_read_b32 v11, v5 offset:64
.LBB135_16:
	s_or_b64 exec, exec, s[6:7]
	v_xor_b32_e32 v12, 1, v7
	v_cmp_lt_i32_e64 s[6:7], v12, v8
	v_lshlrev_b32_e32 v13, 2, v7
	s_nop 0
	v_cndmask_b32_e64 v12, v7, v12, s[6:7]
	v_lshlrev_b32_e32 v17, 2, v12
	s_waitcnt lgkmcnt(0)
	ds_bpermute_b32 v12, v17, v11
	v_max_f32_e32 v11, v11, v11
	s_lshl_b32 s6, s12, 4
	s_min_i32 s15, s6, s33
	v_cmp_gt_i32_e64 s[6:7], s15, v0
	s_waitcnt lgkmcnt(0)
	v_max_f32_e32 v12, v12, v12
	v_max_f32_e32 v12, v11, v12
	v_and_b32_e32 v11, 0xffffff00, v13
	ds_bpermute_b32 v13, v11, v12
	v_mov_b32_e32 v12, 0
	s_and_saveexec_b64 s[26:27], s[6:7]
	s_cbranch_execz .LBB135_20
; %bb.17:
	v_mov_b32_e32 v12, 0x50
	v_lshl_add_u32 v14, v0, 2, v12
	s_mov_b64 s[28:29], 0
	v_mov_b32_e32 v12, 0
	v_mov_b32_e32 v15, v0
.LBB135_18:                             ; =>This Inner Loop Header: Depth=1
	ds_read_b32 v18, v14
	v_add_u32_e32 v15, 0x80, v15
	v_cmp_le_i32_e64 s[8:9], s15, v15
	s_or_b64 s[28:29], s[8:9], s[28:29]
	s_waitcnt lgkmcnt(0)
	v_sub_f32_e32 v18, v18, v13
	v_mul_f32_e32 v18, 0x3fb8aa3b, v18
	v_exp_f32_e32 v18, v18
	ds_write_b32 v14, v18
	v_add_f32_e32 v12, v12, v18
	v_add_u32_e32 v14, 0x200, v14
	s_andn2_b64 exec, exec, s[28:29]
	s_cbranch_execnz .LBB135_18
; %bb.19:
	s_or_b64 exec, exec, s[28:29]
.LBB135_20:
	s_or_b64 exec, exec, s[26:27]
	ds_bpermute_b32 v2, v2, v12
	s_waitcnt lgkmcnt(0)
	v_add_f32_e32 v2, v12, v2
	ds_bpermute_b32 v3, v3, v2
	s_waitcnt lgkmcnt(0)
	v_add_f32_e32 v2, v2, v3
	ds_bpermute_b32 v3, v9, v2
	v_xor_b32_e32 v9, 2, v7
	v_cmp_lt_i32_e64 s[8:9], v9, v8
	s_waitcnt lgkmcnt(0)
	v_add_f32_e32 v2, v2, v3
	ds_bpermute_b32 v3, v10, v2
	v_cndmask_b32_e64 v7, v7, v9, s[8:9]
	s_waitcnt lgkmcnt(0)
	v_add_f32_e32 v2, v2, v3
	v_lshlrev_b32_e32 v3, 2, v7
	ds_bpermute_b32 v3, v3, v2
	s_waitcnt lgkmcnt(0)
	v_add_f32_e32 v2, v2, v3
	ds_bpermute_b32 v3, v17, v2
	s_waitcnt lgkmcnt(0)
	v_add_f32_e32 v2, v2, v3
	s_and_saveexec_b64 s[8:9], vcc
	s_cbranch_execz .LBB135_22
; %bb.21:
	ds_write_b32 v4, v2 offset:72
.LBB135_22:
	s_or_b64 exec, exec, s[8:9]
	s_waitcnt lgkmcnt(0)
	s_barrier
	s_and_saveexec_b64 s[8:9], s[0:1]
	s_cbranch_execz .LBB135_24
; %bb.23:
	ds_read_b32 v2, v5 offset:72
.LBB135_24:
	s_or_b64 exec, exec, s[8:9]
	s_waitcnt lgkmcnt(0)
	ds_bpermute_b32 v3, v17, v2
	s_waitcnt lgkmcnt(0)
	v_add_f32_e32 v2, v2, v3
	ds_bpermute_b32 v2, v11, v2
	s_and_saveexec_b64 s[0:1], s[6:7]
	s_cbranch_execz .LBB135_37
; %bb.25:
	s_waitcnt lgkmcnt(0)
	v_add_f32_e32 v2, 0x358637bd, v2
	v_div_scale_f32 v3, s[6:7], v2, v2, 1.0
	v_rcp_f32_e32 v4, v3
	v_div_scale_f32 v5, vcc, 1.0, v2, 1.0
	s_movk_i32 s6, 0x7f
	v_fma_f32 v7, -v3, v4, 1.0
	v_fmac_f32_e32 v4, v7, v4
	v_mul_f32_e32 v7, v5, v4
	v_fma_f32 v8, -v3, v7, v5
	v_fmac_f32_e32 v7, v8, v4
	v_fma_f32 v3, -v3, v7, v5
	v_div_fmas_f32 v3, v3, v4, v7
	v_xad_u32 v4, v0, -1, s15
	v_div_fixup_f32 v2, v3, v2, 1.0
	v_cmp_lt_u32_e32 vcc, s6, v4
	s_mov_b64 s[8:9], -1
	v_mov_b32_e32 v3, v0
	s_and_saveexec_b64 s[6:7], vcc
	s_cbranch_execz .LBB135_34
; %bb.26:
	v_lshrrev_b32_e32 v4, 7, v4
	v_add_u32_e32 v7, -1, v4
	v_lshrrev_b32_e32 v5, 1, v7
	v_mov_b32_e32 v3, v2
	v_add_u32_e32 v5, 1, v5
	v_cmp_lt_u32_e32 vcc, 13, v7
	v_mov_b32_e32 v9, 0
	s_and_saveexec_b64 s[8:9], vcc
	s_cbranch_execz .LBB135_30
; %bb.27:
	v_mov_b32_e32 v8, 0x50
	v_and_b32_e32 v7, -8, v5
	v_lshl_add_u32 v8, v0, 2, v8
	s_mov_b32 s17, 0
	s_mov_b64 s[26:27], 0
.LBB135_28:                             ; =>This Inner Loop Header: Depth=1
	ds_read2st64_b32 v[10:11], v8 offset1:2
	ds_read2st64_b32 v[12:13], v8 offset0:4 offset1:6
	ds_read2st64_b32 v[14:15], v8 offset0:8 offset1:10
	ds_read2st64_b32 v[18:19], v8 offset0:12 offset1:14
	v_add_u32_e32 v7, -8, v7
	s_waitcnt lgkmcnt(3)
	v_pk_mul_f32 v[10:11], v[2:3], v[10:11]
	s_waitcnt lgkmcnt(2)
	v_pk_mul_f32 v[12:13], v[2:3], v[12:13]
	ds_write2st64_b32 v8, v10, v11 offset1:2
	ds_write2st64_b32 v8, v12, v13 offset0:4 offset1:6
	ds_read2st64_b32 v[12:13], v8 offset0:16 offset1:18
	s_waitcnt lgkmcnt(4)
	v_pk_mul_f32 v[10:11], v[2:3], v[14:15]
	ds_write2st64_b32 v8, v10, v11 offset0:8 offset1:10
	s_waitcnt lgkmcnt(4)
	v_pk_mul_f32 v[10:11], v[2:3], v[18:19]
	ds_write2st64_b32 v8, v10, v11 offset0:12 offset1:14
	ds_read2st64_b32 v[10:11], v8 offset0:20 offset1:22
	s_waitcnt lgkmcnt(3)
	v_pk_mul_f32 v[12:13], v[2:3], v[12:13]
	ds_read2st64_b32 v[14:15], v8 offset0:24 offset1:26
	ds_write2st64_b32 v8, v12, v13 offset0:16 offset1:18
	ds_read2st64_b32 v[12:13], v8 offset0:28 offset1:30
	s_waitcnt lgkmcnt(3)
	v_pk_mul_f32 v[10:11], v[2:3], v[10:11]
	ds_write2st64_b32 v8, v10, v11 offset0:20 offset1:22
	s_waitcnt lgkmcnt(3)
	v_pk_mul_f32 v[10:11], v[2:3], v[14:15]
	ds_write2st64_b32 v8, v10, v11 offset0:24 offset1:26
	s_waitcnt lgkmcnt(2)
	v_pk_mul_f32 v[10:11], v[2:3], v[12:13]
	s_add_i32 s17, s17, 16
	v_cmp_eq_u32_e32 vcc, 0, v7
	ds_write2st64_b32 v8, v10, v11 offset0:28 offset1:30
	v_add_u32_e32 v8, 0x2000, v8
	s_or_b64 s[26:27], vcc, s[26:27]
	v_mov_b32_e32 v9, s17
	s_andn2_b64 exec, exec, s[26:27]
	s_cbranch_execnz .LBB135_28
; %bb.29:
	s_or_b64 exec, exec, s[26:27]
.LBB135_30:
	s_or_b64 exec, exec, s[8:9]
	v_and_b32_e32 v5, 7, v5
	v_cmp_ne_u32_e32 vcc, 0, v5
	s_and_saveexec_b64 s[8:9], vcc
	s_cbranch_execz .LBB135_33
; %bb.31:
	v_lshlrev_b32_e32 v7, 9, v9
	v_lshlrev_b32_e32 v8, 2, v0
	s_movk_i32 s17, 0x50
	v_add3_u32 v7, v7, v8, s17
	s_mov_b64 s[26:27], 0
.LBB135_32:                             ; =>This Inner Loop Header: Depth=1
	ds_read2st64_b32 v[8:9], v7 offset1:2
	v_add_u32_e32 v5, -1, v5
	v_cmp_eq_u32_e32 vcc, 0, v5
	s_or_b64 s[26:27], vcc, s[26:27]
	s_waitcnt lgkmcnt(0)
	v_pk_mul_f32 v[8:9], v[2:3], v[8:9]
	ds_write2st64_b32 v7, v8, v9 offset1:2
	v_add_u32_e32 v7, 0x400, v7
	s_andn2_b64 exec, exec, s[26:27]
	s_cbranch_execnz .LBB135_32
.LBB135_33:
	s_or_b64 exec, exec, s[8:9]
	v_add_u32_e32 v4, 1, v4
	v_and_b32_e32 v5, 0x3fffffe, v4
	v_cmp_ne_u32_e32 vcc, v4, v5
	v_lshl_add_u32 v3, v5, 7, v0
	s_orn2_b64 s[8:9], vcc, exec
.LBB135_34:
	s_or_b64 exec, exec, s[6:7]
	s_and_b64 exec, exec, s[8:9]
	s_cbranch_execz .LBB135_37
; %bb.35:
	v_mov_b32_e32 v4, 0x50
	v_lshl_add_u32 v4, v3, 2, v4
	s_mov_b64 s[6:7], 0
.LBB135_36:                             ; =>This Inner Loop Header: Depth=1
	ds_read_b32 v5, v4
	v_add_u32_e32 v3, 0x80, v3
	v_cmp_le_i32_e32 vcc, s15, v3
	s_or_b64 s[6:7], vcc, s[6:7]
	s_waitcnt lgkmcnt(0)
	v_mul_f32_e32 v5, v2, v5
	ds_write_b32 v4, v5
	v_add_u32_e32 v4, 0x200, v4
	s_andn2_b64 exec, exec, s[6:7]
	s_cbranch_execnz .LBB135_36
.LBB135_37:
	s_or_b64 exec, exec, s[0:1]
	v_mov_b32_e32 v10, 0
	s_waitcnt lgkmcnt(0)
	s_barrier
	s_and_saveexec_b64 s[0:1], s[2:3]
	s_cbranch_execz .LBB135_107
; %bb.38:
	s_ashr_i32 s15, s14, 31
	s_lshl_b64 s[2:3], s[14:15], 1
	v_lshlrev_b32_e32 v2, 3, v0
	s_add_u32 s2, s24, s2
	v_lshlrev_b32_e32 v3, 4, v0
	v_and_b32_e32 v2, 8, v2
	s_addc_u32 s3, s25, s3
	v_and_b32_e32 v10, 0x3f0, v3
	v_mov_b32_e32 v11, 0
	v_lshlrev_b32_e32 v3, 4, v1
	v_lshl_add_u64 v[12:13], s[2:3], 0, v[10:11]
	s_add_i32 s9, s12, -1
	v_or3_b32 v18, v3, v2, 7
	v_and_b32_e32 v2, 1, v0
	s_lshl_b64 s[2:3], s[22:23], 2
	v_lshlrev_b32_e32 v2, 5, v2
	s_add_u32 s2, s20, s2
	v_lshl_or_b32 v2, v1, 6, v2
	v_and_b32_e32 v10, 60, v6
	s_addc_u32 s3, s21, s3
	s_mov_b32 s8, s13
	v_add_u32_e32 v19, 0x50, v2
	v_lshl_add_u64 v[14:15], s[2:3], 0, v[10:11]
	s_mov_b64 s[2:3], 0
	s_mov_b32 s13, 0x7f800000
	s_movk_i32 s14, 0x7fff
	v_mov_b32_e32 v10, 0
	s_branch .LBB135_40
.LBB135_39:                             ;   in Loop: Header=BB135_40 Depth=1
	s_or_b64 exec, exec, s[6:7]
	v_and_b32_e32 v6, 0xffff0000, v8
	v_and_b32_e32 v9, 0xffff0000, v20
	;; [unrolled: 1-line block ×5, first 2 shown]
	v_pk_add_f32 v[2:3], v[2:3], v[8:9]
	v_and_b32_e32 v7, 0xffff0000, v7
	v_and_b32_e32 v5, 0xffff0000, v5
	;; [unrolled: 1-line block ×3, first 2 shown]
	v_mov_b32_e32 v8, v3
	v_pk_add_f32 v[2:3], v[2:3], v[8:9]
	v_pk_add_f32 v[4:5], v[4:5], v[6:7]
	v_add_u32_e32 v1, 2, v1
	v_pk_add_f32 v[2:3], v[2:3], v[4:5]
	v_mov_b32_e32 v4, v5
	v_pk_add_f32 v[2:3], v[2:3], v[4:5]
	v_cmp_le_i32_e32 vcc, s12, v1
	v_add_f32_e32 v10, v10, v2
	v_add_u32_e32 v18, 32, v18
	v_add_u32_e32 v19, 0x80, v19
	s_or_b64 s[2:3], vcc, s[2:3]
	v_lshl_add_u64 v[14:15], v[14:15], 0, 8
	s_andn2_b64 exec, exec, s[2:3]
	s_cbranch_execz .LBB135_106
.LBB135_40:                             ; =>This Inner Loop Header: Depth=1
	global_load_dword v23, v[14:15], off
	ds_read2_b64 v[6:9], v19 offset1:1
	ds_read2_b64 v[2:5], v19 offset0:2 offset1:3
                                        ; implicit-def: $vgpr24
	s_waitcnt lgkmcnt(1)
	v_and_b32_e32 v20, 0x7f800000, v6
	v_cmp_ne_u32_e32 vcc, s13, v20
	s_and_saveexec_b64 s[6:7], vcc
	s_xor_b64 s[6:7], exec, s[6:7]
; %bb.41:                               ;   in Loop: Header=BB135_40 Depth=1
	v_bfe_u32 v20, v6, 16, 1
	v_add3_u32 v24, v6, v20, s14
; %bb.42:                               ;   in Loop: Header=BB135_40 Depth=1
	s_andn2_saveexec_b64 s[6:7], s[6:7]
; %bb.43:                               ;   in Loop: Header=BB135_40 Depth=1
	v_or_b32_e32 v20, 0x10000, v6
	v_cmp_eq_u32_sdwa vcc, v6, v11 src0_sel:WORD_0 src1_sel:DWORD
	s_nop 1
	v_cndmask_b32_e32 v24, v20, v6, vcc
; %bb.44:                               ;   in Loop: Header=BB135_40 Depth=1
	s_or_b64 exec, exec, s[6:7]
	v_and_b32_e32 v6, 0x7f800000, v7
	v_cmp_ne_u32_e32 vcc, s13, v6
                                        ; implicit-def: $vgpr22
	s_and_saveexec_b64 s[6:7], vcc
	s_xor_b64 s[6:7], exec, s[6:7]
; %bb.45:                               ;   in Loop: Header=BB135_40 Depth=1
	v_bfe_u32 v6, v7, 16, 1
	v_add3_u32 v22, v7, v6, s14
; %bb.46:                               ;   in Loop: Header=BB135_40 Depth=1
	s_andn2_saveexec_b64 s[6:7], s[6:7]
; %bb.47:                               ;   in Loop: Header=BB135_40 Depth=1
	v_or_b32_e32 v6, 0x10000, v7
	v_cmp_eq_u32_sdwa vcc, v7, v11 src0_sel:WORD_0 src1_sel:DWORD
	s_nop 1
	v_cndmask_b32_e32 v22, v6, v7, vcc
; %bb.48:                               ;   in Loop: Header=BB135_40 Depth=1
	s_or_b64 exec, exec, s[6:7]
	v_and_b32_e32 v6, 0x7f800000, v8
	v_cmp_ne_u32_e32 vcc, s13, v6
                                        ; implicit-def: $vgpr21
	s_and_saveexec_b64 s[6:7], vcc
	s_xor_b64 s[6:7], exec, s[6:7]
; %bb.49:                               ;   in Loop: Header=BB135_40 Depth=1
	v_bfe_u32 v6, v8, 16, 1
	v_add3_u32 v21, v8, v6, s14
; %bb.50:                               ;   in Loop: Header=BB135_40 Depth=1
	s_andn2_saveexec_b64 s[6:7], s[6:7]
; %bb.51:                               ;   in Loop: Header=BB135_40 Depth=1
	v_or_b32_e32 v6, 0x10000, v8
	v_cmp_eq_u32_sdwa vcc, v8, v11 src0_sel:WORD_0 src1_sel:DWORD
	s_nop 1
	v_cndmask_b32_e32 v21, v6, v8, vcc
; %bb.52:                               ;   in Loop: Header=BB135_40 Depth=1
	s_or_b64 exec, exec, s[6:7]
	v_and_b32_e32 v6, 0x7f800000, v9
	v_cmp_ne_u32_e32 vcc, s13, v6
                                        ; implicit-def: $vgpr20
	s_and_saveexec_b64 s[6:7], vcc
	s_xor_b64 s[6:7], exec, s[6:7]
; %bb.53:                               ;   in Loop: Header=BB135_40 Depth=1
	v_bfe_u32 v6, v9, 16, 1
	v_add3_u32 v20, v9, v6, s14
                                        ; implicit-def: $vgpr6_vgpr7_vgpr8_vgpr9
; %bb.54:                               ;   in Loop: Header=BB135_40 Depth=1
	s_andn2_saveexec_b64 s[6:7], s[6:7]
; %bb.55:                               ;   in Loop: Header=BB135_40 Depth=1
	v_or_b32_e32 v6, 0x10000, v9
	v_cmp_eq_u32_sdwa vcc, v9, v11 src0_sel:WORD_0 src1_sel:DWORD
	s_nop 1
	v_cndmask_b32_e32 v20, v6, v9, vcc
; %bb.56:                               ;   in Loop: Header=BB135_40 Depth=1
	s_or_b64 exec, exec, s[6:7]
	s_waitcnt lgkmcnt(0)
	v_and_b32_e32 v6, 0x7f800000, v2
	v_cmp_ne_u32_e32 vcc, s13, v6
                                        ; implicit-def: $vgpr9
	s_and_saveexec_b64 s[6:7], vcc
	s_xor_b64 s[6:7], exec, s[6:7]
; %bb.57:                               ;   in Loop: Header=BB135_40 Depth=1
	v_bfe_u32 v6, v2, 16, 1
	v_add3_u32 v9, v2, v6, s14
; %bb.58:                               ;   in Loop: Header=BB135_40 Depth=1
	s_andn2_saveexec_b64 s[6:7], s[6:7]
; %bb.59:                               ;   in Loop: Header=BB135_40 Depth=1
	v_or_b32_e32 v6, 0x10000, v2
	v_cmp_eq_u32_sdwa vcc, v2, v11 src0_sel:WORD_0 src1_sel:DWORD
	s_nop 1
	v_cndmask_b32_e32 v9, v6, v2, vcc
; %bb.60:                               ;   in Loop: Header=BB135_40 Depth=1
	s_or_b64 exec, exec, s[6:7]
	v_and_b32_e32 v2, 0x7f800000, v3
	v_cmp_ne_u32_e32 vcc, s13, v2
                                        ; implicit-def: $vgpr8
	s_and_saveexec_b64 s[6:7], vcc
	s_xor_b64 s[6:7], exec, s[6:7]
; %bb.61:                               ;   in Loop: Header=BB135_40 Depth=1
	v_bfe_u32 v2, v3, 16, 1
	v_add3_u32 v8, v3, v2, s14
; %bb.62:                               ;   in Loop: Header=BB135_40 Depth=1
	s_andn2_saveexec_b64 s[6:7], s[6:7]
; %bb.63:                               ;   in Loop: Header=BB135_40 Depth=1
	v_or_b32_e32 v2, 0x10000, v3
	v_cmp_eq_u32_sdwa vcc, v3, v11 src0_sel:WORD_0 src1_sel:DWORD
	s_nop 1
	v_cndmask_b32_e32 v8, v2, v3, vcc
; %bb.64:                               ;   in Loop: Header=BB135_40 Depth=1
	s_or_b64 exec, exec, s[6:7]
	v_and_b32_e32 v2, 0x7f800000, v4
	v_cmp_ne_u32_e32 vcc, s13, v2
                                        ; implicit-def: $vgpr7
	s_and_saveexec_b64 s[6:7], vcc
	s_xor_b64 s[6:7], exec, s[6:7]
; %bb.65:                               ;   in Loop: Header=BB135_40 Depth=1
	v_bfe_u32 v2, v4, 16, 1
	v_add3_u32 v7, v4, v2, s14
; %bb.66:                               ;   in Loop: Header=BB135_40 Depth=1
	s_andn2_saveexec_b64 s[6:7], s[6:7]
; %bb.67:                               ;   in Loop: Header=BB135_40 Depth=1
	v_or_b32_e32 v2, 0x10000, v4
	v_cmp_eq_u32_sdwa vcc, v4, v11 src0_sel:WORD_0 src1_sel:DWORD
	s_nop 1
	v_cndmask_b32_e32 v7, v2, v4, vcc
; %bb.68:                               ;   in Loop: Header=BB135_40 Depth=1
	s_or_b64 exec, exec, s[6:7]
	v_and_b32_e32 v2, 0x7f800000, v5
	v_cmp_ne_u32_e32 vcc, s13, v2
                                        ; implicit-def: $vgpr6
	s_and_saveexec_b64 s[6:7], vcc
	s_xor_b64 s[6:7], exec, s[6:7]
; %bb.69:                               ;   in Loop: Header=BB135_40 Depth=1
	v_bfe_u32 v2, v5, 16, 1
	v_add3_u32 v6, v5, v2, s14
                                        ; implicit-def: $vgpr2_vgpr3_vgpr4_vgpr5
; %bb.70:                               ;   in Loop: Header=BB135_40 Depth=1
	s_andn2_saveexec_b64 s[6:7], s[6:7]
; %bb.71:                               ;   in Loop: Header=BB135_40 Depth=1
	v_or_b32_e32 v2, 0x10000, v5
	v_cmp_eq_u32_sdwa vcc, v5, v11 src0_sel:WORD_0 src1_sel:DWORD
	s_nop 1
	v_cndmask_b32_e32 v6, v2, v5, vcc
; %bb.72:                               ;   in Loop: Header=BB135_40 Depth=1
	s_or_b64 exec, exec, s[6:7]
	s_waitcnt vmcnt(0)
	v_mad_i64_i32 v[2:3], s[6:7], v23, s8, 0
	v_lshl_add_u64 v[2:3], v[2:3], 1, v[12:13]
	global_load_dwordx4 v[2:5], v[2:3], off
	v_cmp_eq_u32_e32 vcc, s9, v1
	s_waitcnt vmcnt(0)
	v_lshrrev_b32_e32 v27, 16, v2
	v_lshrrev_b32_e32 v26, 16, v3
	;; [unrolled: 1-line block ×4, first 2 shown]
	s_and_saveexec_b64 s[6:7], vcc
	s_cbranch_execz .LBB135_74
; %bb.73:                               ;   in Loop: Header=BB135_40 Depth=1
	v_add_u32_e32 v28, -7, v18
	v_cmp_gt_i32_e32 vcc, s33, v28
	v_add_u32_e32 v28, -6, v18
	s_nop 0
	v_cndmask_b32_e32 v2, 0, v2, vcc
	v_cmp_gt_i32_e32 vcc, s33, v28
	v_add_u32_e32 v28, -5, v18
	s_nop 0
	v_cndmask_b32_e32 v27, 0, v27, vcc
	;; [unrolled: 4-line block ×6, first 2 shown]
	v_cmp_gt_i32_e32 vcc, s33, v28
	s_nop 1
	v_cndmask_b32_e32 v5, 0, v5, vcc
	v_cmp_gt_i32_e32 vcc, s33, v18
	s_nop 1
	v_cndmask_b32_e32 v23, 0, v23, vcc
.LBB135_74:                             ;   in Loop: Header=BB135_40 Depth=1
	s_or_b64 exec, exec, s[6:7]
	v_and_b32_e32 v24, 0xffff0000, v24
	v_lshlrev_b32_e32 v2, 16, v2
	v_mul_f32_e32 v24, v24, v2
	v_and_b32_e32 v2, 0x7f800000, v24
	v_cmp_ne_u32_e32 vcc, s13, v2
                                        ; implicit-def: $vgpr2
	s_and_saveexec_b64 s[6:7], vcc
	s_xor_b64 s[6:7], exec, s[6:7]
; %bb.75:                               ;   in Loop: Header=BB135_40 Depth=1
	v_bfe_u32 v2, v24, 16, 1
	v_add3_u32 v2, v24, v2, s14
                                        ; implicit-def: $vgpr24
; %bb.76:                               ;   in Loop: Header=BB135_40 Depth=1
	s_andn2_saveexec_b64 s[6:7], s[6:7]
; %bb.77:                               ;   in Loop: Header=BB135_40 Depth=1
	v_or_b32_e32 v2, 0x10000, v24
	v_cmp_eq_u32_sdwa vcc, v24, v11 src0_sel:WORD_0 src1_sel:DWORD
	s_nop 1
	v_cndmask_b32_e32 v2, v2, v24, vcc
; %bb.78:                               ;   in Loop: Header=BB135_40 Depth=1
	s_or_b64 exec, exec, s[6:7]
	v_and_b32_e32 v22, 0xffff0000, v22
	v_lshlrev_b32_e32 v24, 16, v27
	v_mul_f32_e32 v24, v22, v24
	v_and_b32_e32 v22, 0x7f800000, v24
	v_cmp_ne_u32_e32 vcc, s13, v22
                                        ; implicit-def: $vgpr22
	s_and_saveexec_b64 s[6:7], vcc
	s_xor_b64 s[6:7], exec, s[6:7]
; %bb.79:                               ;   in Loop: Header=BB135_40 Depth=1
	v_bfe_u32 v22, v24, 16, 1
	v_add3_u32 v22, v24, v22, s14
                                        ; implicit-def: $vgpr24
; %bb.80:                               ;   in Loop: Header=BB135_40 Depth=1
	s_andn2_saveexec_b64 s[6:7], s[6:7]
; %bb.81:                               ;   in Loop: Header=BB135_40 Depth=1
	v_or_b32_e32 v22, 0x10000, v24
	v_cmp_eq_u32_sdwa vcc, v24, v11 src0_sel:WORD_0 src1_sel:DWORD
	s_nop 1
	v_cndmask_b32_e32 v22, v22, v24, vcc
; %bb.82:                               ;   in Loop: Header=BB135_40 Depth=1
	s_or_b64 exec, exec, s[6:7]
	v_and_b32_e32 v21, 0xffff0000, v21
	v_lshlrev_b32_e32 v3, 16, v3
	v_mul_f32_e32 v21, v21, v3
	v_and_b32_e32 v3, 0x7f800000, v21
	v_cmp_ne_u32_e32 vcc, s13, v3
                                        ; implicit-def: $vgpr3
	s_and_saveexec_b64 s[6:7], vcc
	s_xor_b64 s[6:7], exec, s[6:7]
; %bb.83:                               ;   in Loop: Header=BB135_40 Depth=1
	v_bfe_u32 v3, v21, 16, 1
	v_add3_u32 v3, v21, v3, s14
                                        ; implicit-def: $vgpr21
; %bb.84:                               ;   in Loop: Header=BB135_40 Depth=1
	s_andn2_saveexec_b64 s[6:7], s[6:7]
; %bb.85:                               ;   in Loop: Header=BB135_40 Depth=1
	v_or_b32_e32 v3, 0x10000, v21
	v_cmp_eq_u32_sdwa vcc, v21, v11 src0_sel:WORD_0 src1_sel:DWORD
	s_nop 1
	v_cndmask_b32_e32 v3, v3, v21, vcc
; %bb.86:                               ;   in Loop: Header=BB135_40 Depth=1
	s_or_b64 exec, exec, s[6:7]
	v_and_b32_e32 v20, 0xffff0000, v20
	v_lshlrev_b32_e32 v21, 16, v26
	v_mul_f32_e32 v21, v20, v21
	v_and_b32_e32 v20, 0x7f800000, v21
	v_cmp_ne_u32_e32 vcc, s13, v20
                                        ; implicit-def: $vgpr20
	s_and_saveexec_b64 s[6:7], vcc
	s_xor_b64 s[6:7], exec, s[6:7]
; %bb.87:                               ;   in Loop: Header=BB135_40 Depth=1
	v_bfe_u32 v20, v21, 16, 1
	v_add3_u32 v20, v21, v20, s14
                                        ; implicit-def: $vgpr21
; %bb.88:                               ;   in Loop: Header=BB135_40 Depth=1
	s_andn2_saveexec_b64 s[6:7], s[6:7]
; %bb.89:                               ;   in Loop: Header=BB135_40 Depth=1
	v_or_b32_e32 v20, 0x10000, v21
	v_cmp_eq_u32_sdwa vcc, v21, v11 src0_sel:WORD_0 src1_sel:DWORD
	s_nop 1
	v_cndmask_b32_e32 v20, v20, v21, vcc
; %bb.90:                               ;   in Loop: Header=BB135_40 Depth=1
	s_or_b64 exec, exec, s[6:7]
	v_and_b32_e32 v9, 0xffff0000, v9
	v_lshlrev_b32_e32 v4, 16, v4
	v_mul_f32_e32 v9, v9, v4
	v_and_b32_e32 v4, 0x7f800000, v9
	v_cmp_ne_u32_e32 vcc, s13, v4
                                        ; implicit-def: $vgpr4
	s_and_saveexec_b64 s[6:7], vcc
	s_xor_b64 s[6:7], exec, s[6:7]
; %bb.91:                               ;   in Loop: Header=BB135_40 Depth=1
	v_bfe_u32 v4, v9, 16, 1
	v_add3_u32 v4, v9, v4, s14
                                        ; implicit-def: $vgpr9
; %bb.92:                               ;   in Loop: Header=BB135_40 Depth=1
	s_andn2_saveexec_b64 s[6:7], s[6:7]
; %bb.93:                               ;   in Loop: Header=BB135_40 Depth=1
	v_or_b32_e32 v4, 0x10000, v9
	v_cmp_eq_u32_sdwa vcc, v9, v11 src0_sel:WORD_0 src1_sel:DWORD
	s_nop 1
	v_cndmask_b32_e32 v4, v4, v9, vcc
; %bb.94:                               ;   in Loop: Header=BB135_40 Depth=1
	s_or_b64 exec, exec, s[6:7]
	v_and_b32_e32 v8, 0xffff0000, v8
	v_lshlrev_b32_e32 v9, 16, v25
	v_mul_f32_e32 v9, v8, v9
	v_and_b32_e32 v8, 0x7f800000, v9
	v_cmp_ne_u32_e32 vcc, s13, v8
                                        ; implicit-def: $vgpr8
	s_and_saveexec_b64 s[6:7], vcc
	s_xor_b64 s[6:7], exec, s[6:7]
; %bb.95:                               ;   in Loop: Header=BB135_40 Depth=1
	v_bfe_u32 v8, v9, 16, 1
	v_add3_u32 v8, v9, v8, s14
                                        ; implicit-def: $vgpr9
; %bb.96:                               ;   in Loop: Header=BB135_40 Depth=1
	s_andn2_saveexec_b64 s[6:7], s[6:7]
; %bb.97:                               ;   in Loop: Header=BB135_40 Depth=1
	v_or_b32_e32 v8, 0x10000, v9
	v_cmp_eq_u32_sdwa vcc, v9, v11 src0_sel:WORD_0 src1_sel:DWORD
	s_nop 1
	v_cndmask_b32_e32 v8, v8, v9, vcc
; %bb.98:                               ;   in Loop: Header=BB135_40 Depth=1
	s_or_b64 exec, exec, s[6:7]
	v_and_b32_e32 v7, 0xffff0000, v7
	v_lshlrev_b32_e32 v5, 16, v5
	v_mul_f32_e32 v7, v7, v5
	v_and_b32_e32 v5, 0x7f800000, v7
	v_cmp_ne_u32_e32 vcc, s13, v5
                                        ; implicit-def: $vgpr5
	s_and_saveexec_b64 s[6:7], vcc
	s_xor_b64 s[6:7], exec, s[6:7]
; %bb.99:                               ;   in Loop: Header=BB135_40 Depth=1
	v_bfe_u32 v5, v7, 16, 1
	v_add3_u32 v5, v7, v5, s14
                                        ; implicit-def: $vgpr7
; %bb.100:                              ;   in Loop: Header=BB135_40 Depth=1
	s_andn2_saveexec_b64 s[6:7], s[6:7]
; %bb.101:                              ;   in Loop: Header=BB135_40 Depth=1
	v_or_b32_e32 v5, 0x10000, v7
	v_cmp_eq_u32_sdwa vcc, v7, v11 src0_sel:WORD_0 src1_sel:DWORD
	s_nop 1
	v_cndmask_b32_e32 v5, v5, v7, vcc
; %bb.102:                              ;   in Loop: Header=BB135_40 Depth=1
	s_or_b64 exec, exec, s[6:7]
	v_and_b32_e32 v6, 0xffff0000, v6
	v_lshlrev_b32_e32 v7, 16, v23
	v_mul_f32_e32 v6, v6, v7
	v_and_b32_e32 v7, 0x7f800000, v6
	v_cmp_ne_u32_e32 vcc, s13, v7
                                        ; implicit-def: $vgpr7
	s_and_saveexec_b64 s[6:7], vcc
	s_xor_b64 s[6:7], exec, s[6:7]
; %bb.103:                              ;   in Loop: Header=BB135_40 Depth=1
	v_bfe_u32 v7, v6, 16, 1
	v_add3_u32 v7, v6, v7, s14
                                        ; implicit-def: $vgpr6
; %bb.104:                              ;   in Loop: Header=BB135_40 Depth=1
	s_andn2_saveexec_b64 s[6:7], s[6:7]
	s_cbranch_execz .LBB135_39
; %bb.105:                              ;   in Loop: Header=BB135_40 Depth=1
	v_or_b32_e32 v7, 0x10000, v6
	v_cmp_eq_u32_sdwa vcc, v6, v11 src0_sel:WORD_0 src1_sel:DWORD
	s_nop 1
	v_cndmask_b32_e32 v7, v7, v6, vcc
	s_branch .LBB135_39
.LBB135_106:
	s_or_b64 exec, exec, s[2:3]
.LBB135_107:
	s_or_b64 exec, exec, s[0:1]
	ds_bpermute_b32 v1, v17, v10
	v_and_b32_e32 v2, 0x3c1, v0
	v_cmp_eq_u32_e32 vcc, 64, v2
	s_waitcnt lgkmcnt(0)
	s_barrier
	v_add_f32_e32 v1, v10, v1
	s_and_saveexec_b64 s[0:1], vcc
	s_cbranch_execz .LBB135_109
; %bb.108:
	v_mov_b32_e32 v3, 0x50
	v_lshl_add_u32 v3, v16, 1, v3
	ds_write_b32 v3, v1
.LBB135_109:
	s_or_b64 exec, exec, s[0:1]
	v_cmp_eq_u32_e32 vcc, 0, v2
	s_waitcnt lgkmcnt(0)
	s_barrier
	s_and_saveexec_b64 s[0:1], vcc
	s_cbranch_execz .LBB135_111
; %bb.110:
	v_mov_b32_e32 v2, 0x50
	v_lshl_add_u32 v2, v0, 1, v2
	ds_read_b32 v2, v2
	s_waitcnt lgkmcnt(0)
	v_add_f32_e32 v1, v1, v2
.LBB135_111:
	s_or_b64 exec, exec, s[0:1]
	s_barrier
	s_and_saveexec_b64 s[0:1], vcc
	s_cbranch_execz .LBB135_117
; %bb.112:
	s_mov_b32 s0, 0x7f800000
	v_and_b32_e32 v2, 0x7f800000, v1
	v_cmp_ne_u32_e32 vcc, s0, v2
                                        ; implicit-def: $vgpr2
	s_and_saveexec_b64 s[0:1], vcc
	s_xor_b64 s[0:1], exec, s[0:1]
; %bb.113:
	v_bfe_u32 v2, v1, 16, 1
	s_movk_i32 s2, 0x7fff
	v_add3_u32 v2, v1, v2, s2
                                        ; implicit-def: $vgpr1
; %bb.114:
	s_andn2_saveexec_b64 s[0:1], s[0:1]
; %bb.115:
	v_mov_b32_e32 v2, 0
	v_or_b32_e32 v3, 0x10000, v1
	v_cmp_eq_u32_sdwa vcc, v1, v2 src0_sel:WORD_0 src1_sel:DWORD
	s_nop 1
	v_cndmask_b32_e32 v2, v3, v1, vcc
; %bb.116:
	s_or_b64 exec, exec, s[0:1]
	s_mul_i32 s0, s10, s11
	s_mul_i32 s0, s0, s5
	s_lshl_b32 s0, s0, 5
	s_ashr_i32 s1, s0, 31
	s_lshl_b64 s[0:1], s[0:1], 1
	s_add_u32 s2, s18, s0
	s_mul_i32 s0, s11, s16
	s_addc_u32 s3, s19, s1
	s_ashr_i32 s1, s0, 31
	s_lshl_b64 s[0:1], s[0:1], 1
	s_add_u32 s2, s2, s0
	s_addc_u32 s3, s3, s1
	s_lshl_b32 s0, s4, 5
	s_ashr_i32 s1, s0, 31
	s_lshl_b64 s[0:1], s[0:1], 1
	s_add_u32 s0, s2, s0
	s_addc_u32 s1, s3, s1
	global_store_short_d16_hi v0, v2, s[0:1]
.LBB135_117:
	s_endpgm
	.section	.rodata,"a",@progbits
	.p2align	6, 0x0
	.amdhsa_kernel _ZN4vllm25paged_attention_v1_kernelI14__hip_bfloat16S1_Li32ELi16ELi128ELNS_18Fp8KVCacheDataTypeE0ELb0EEEvPT_PKS3_PKT0_S9_ifPKiSB_iPKfiiiSD_SD_iiiii
		.amdhsa_group_segment_fixed_size 80
		.amdhsa_private_segment_fixed_size 0
		.amdhsa_kernarg_size 384
		.amdhsa_user_sgpr_count 2
		.amdhsa_user_sgpr_dispatch_ptr 0
		.amdhsa_user_sgpr_queue_ptr 0
		.amdhsa_user_sgpr_kernarg_segment_ptr 1
		.amdhsa_user_sgpr_dispatch_id 0
		.amdhsa_user_sgpr_kernarg_preload_length 0
		.amdhsa_user_sgpr_kernarg_preload_offset 0
		.amdhsa_user_sgpr_private_segment_size 0
		.amdhsa_uses_dynamic_stack 0
		.amdhsa_enable_private_segment 0
		.amdhsa_system_sgpr_workgroup_id_x 1
		.amdhsa_system_sgpr_workgroup_id_y 1
		.amdhsa_system_sgpr_workgroup_id_z 1
		.amdhsa_system_sgpr_workgroup_info 0
		.amdhsa_system_vgpr_workitem_id 0
		.amdhsa_next_free_vgpr 31
		.amdhsa_next_free_sgpr 34
		.amdhsa_accum_offset 32
		.amdhsa_reserve_vcc 1
		.amdhsa_float_round_mode_32 0
		.amdhsa_float_round_mode_16_64 0
		.amdhsa_float_denorm_mode_32 3
		.amdhsa_float_denorm_mode_16_64 3
		.amdhsa_dx10_clamp 1
		.amdhsa_ieee_mode 1
		.amdhsa_fp16_overflow 0
		.amdhsa_tg_split 0
		.amdhsa_exception_fp_ieee_invalid_op 0
		.amdhsa_exception_fp_denorm_src 0
		.amdhsa_exception_fp_ieee_div_zero 0
		.amdhsa_exception_fp_ieee_overflow 0
		.amdhsa_exception_fp_ieee_underflow 0
		.amdhsa_exception_fp_ieee_inexact 0
		.amdhsa_exception_int_div_zero 0
	.end_amdhsa_kernel
	.section	.text._ZN4vllm25paged_attention_v1_kernelI14__hip_bfloat16S1_Li32ELi16ELi128ELNS_18Fp8KVCacheDataTypeE0ELb0EEEvPT_PKS3_PKT0_S9_ifPKiSB_iPKfiiiSD_SD_iiiii,"axG",@progbits,_ZN4vllm25paged_attention_v1_kernelI14__hip_bfloat16S1_Li32ELi16ELi128ELNS_18Fp8KVCacheDataTypeE0ELb0EEEvPT_PKS3_PKT0_S9_ifPKiSB_iPKfiiiSD_SD_iiiii,comdat
.Lfunc_end135:
	.size	_ZN4vllm25paged_attention_v1_kernelI14__hip_bfloat16S1_Li32ELi16ELi128ELNS_18Fp8KVCacheDataTypeE0ELb0EEEvPT_PKS3_PKT0_S9_ifPKiSB_iPKfiiiSD_SD_iiiii, .Lfunc_end135-_ZN4vllm25paged_attention_v1_kernelI14__hip_bfloat16S1_Li32ELi16ELi128ELNS_18Fp8KVCacheDataTypeE0ELb0EEEvPT_PKS3_PKT0_S9_ifPKiSB_iPKfiiiSD_SD_iiiii
                                        ; -- End function
	.section	.AMDGPU.csdata,"",@progbits
; Kernel info:
; codeLenInByte = 4604
; NumSgprs: 40
; NumVgprs: 31
; NumAgprs: 0
; TotalNumVgprs: 31
; ScratchSize: 0
; MemoryBound: 0
; FloatMode: 240
; IeeeMode: 1
; LDSByteSize: 80 bytes/workgroup (compile time only)
; SGPRBlocks: 4
; VGPRBlocks: 3
; NumSGPRsForWavesPerEU: 40
; NumVGPRsForWavesPerEU: 31
; AccumOffset: 32
; Occupancy: 8
; WaveLimiterHint : 1
; COMPUTE_PGM_RSRC2:SCRATCH_EN: 0
; COMPUTE_PGM_RSRC2:USER_SGPR: 2
; COMPUTE_PGM_RSRC2:TRAP_HANDLER: 0
; COMPUTE_PGM_RSRC2:TGID_X_EN: 1
; COMPUTE_PGM_RSRC2:TGID_Y_EN: 1
; COMPUTE_PGM_RSRC2:TGID_Z_EN: 1
; COMPUTE_PGM_RSRC2:TIDIG_COMP_CNT: 0
; COMPUTE_PGM_RSRC3_GFX90A:ACCUM_OFFSET: 7
; COMPUTE_PGM_RSRC3_GFX90A:TG_SPLIT: 0
	.section	.text._ZN4vllm25paged_attention_v1_kernelI14__hip_bfloat16S1_Li64ELi16ELi128ELNS_18Fp8KVCacheDataTypeE0ELb0EEEvPT_PKS3_PKT0_S9_ifPKiSB_iPKfiiiSD_SD_iiiii,"axG",@progbits,_ZN4vllm25paged_attention_v1_kernelI14__hip_bfloat16S1_Li64ELi16ELi128ELNS_18Fp8KVCacheDataTypeE0ELb0EEEvPT_PKS3_PKT0_S9_ifPKiSB_iPKfiiiSD_SD_iiiii,comdat
	.protected	_ZN4vllm25paged_attention_v1_kernelI14__hip_bfloat16S1_Li64ELi16ELi128ELNS_18Fp8KVCacheDataTypeE0ELb0EEEvPT_PKS3_PKT0_S9_ifPKiSB_iPKfiiiSD_SD_iiiii ; -- Begin function _ZN4vllm25paged_attention_v1_kernelI14__hip_bfloat16S1_Li64ELi16ELi128ELNS_18Fp8KVCacheDataTypeE0ELb0EEEvPT_PKS3_PKT0_S9_ifPKiSB_iPKfiiiSD_SD_iiiii
	.globl	_ZN4vllm25paged_attention_v1_kernelI14__hip_bfloat16S1_Li64ELi16ELi128ELNS_18Fp8KVCacheDataTypeE0ELb0EEEvPT_PKS3_PKT0_S9_ifPKiSB_iPKfiiiSD_SD_iiiii
	.p2align	8
	.type	_ZN4vllm25paged_attention_v1_kernelI14__hip_bfloat16S1_Li64ELi16ELi128ELNS_18Fp8KVCacheDataTypeE0ELb0EEEvPT_PKS3_PKT0_S9_ifPKiSB_iPKfiiiSD_SD_iiiii,@function
_ZN4vllm25paged_attention_v1_kernelI14__hip_bfloat16S1_Li64ELi16ELi128ELNS_18Fp8KVCacheDataTypeE0ELb0EEEvPT_PKS3_PKT0_S9_ifPKiSB_iPKfiiiSD_SD_iiiii: ; @_ZN4vllm25paged_attention_v1_kernelI14__hip_bfloat16S1_Li64ELi16ELi128ELNS_18Fp8KVCacheDataTypeE0ELb0EEEvPT_PKS3_PKT0_S9_ifPKiSB_iPKfiiiSD_SD_iiiii
; %bb.0:
	s_load_dword s5, s[0:1], 0x80
	s_load_dwordx2 s[6:7], s[0:1], 0x30
	s_load_dwordx2 s[8:9], s[0:1], 0x20
	s_mov_b32 s10, s3
	s_ashr_i32 s11, s3, 31
	s_lshl_b64 s[12:13], s[10:11], 2
	s_waitcnt lgkmcnt(0)
	s_add_u32 s6, s6, s12
	s_addc_u32 s7, s7, s13
	s_abs_i32 s3, s8
	v_cvt_f32_u32_e32 v1, s3
	s_sub_i32 s12, 0, s3
	s_abs_i32 s11, s5
	s_xor_b32 s8, s5, s8
	v_rcp_iflag_f32_e32 v1, v1
	s_ashr_i32 s8, s8, 31
	v_mul_f32_e32 v1, 0x4f7ffffe, v1
	v_cvt_u32_f32_e32 v1, v1
	s_nop 0
	v_readfirstlane_b32 s13, v1
	s_mul_i32 s12, s12, s13
	s_mul_hi_u32 s12, s13, s12
	s_add_i32 s13, s13, s12
	s_mul_hi_u32 s12, s11, s13
	s_mul_i32 s13, s12, s3
	s_sub_i32 s11, s11, s13
	s_add_i32 s13, s12, 1
	s_sub_i32 s14, s11, s3
	s_cmp_ge_u32 s11, s3
	s_cselect_b32 s12, s13, s12
	s_cselect_b32 s11, s14, s11
	s_add_i32 s13, s12, 1
	s_cmp_ge_u32 s11, s3
	s_cselect_b32 s3, s13, s12
	s_xor_b32 s3, s3, s8
	s_sub_i32 s16, s3, s8
	s_abs_i32 s11, s16
	v_cvt_f32_u32_e32 v1, s11
	s_load_dwordx2 s[12:13], s[0:1], 0x40
	s_sub_i32 s3, 0, s11
	s_abs_i32 s18, s2
	v_rcp_iflag_f32_e32 v1, v1
	s_mov_b32 s8, 0
	v_mul_f32_e32 v1, 0x4f7ffffe, v1
	v_cvt_u32_f32_e32 v1, v1
	s_nop 0
	v_readfirstlane_b32 s14, v1
	s_mul_i32 s3, s3, s14
	s_mul_hi_u32 s3, s14, s3
	s_add_i32 s14, s14, s3
	s_waitcnt lgkmcnt(0)
	s_cmp_eq_u64 s[12:13], 0
	s_mul_hi_u32 s19, s18, s14
	s_cbranch_scc1 .LBB136_2
; %bb.1:
	s_ashr_i32 s3, s2, 31
	s_lshl_b64 s[14:15], s[2:3], 2
	s_add_u32 s12, s12, s14
	s_addc_u32 s13, s13, s15
	s_load_dword s8, s[12:13], 0x0
.LBB136_2:
	s_load_dword s33, s[6:7], 0x0
	s_nop 0
	s_load_dwordx4 s[12:15], s[0:1], 0x48
	s_ashr_i32 s6, s2, 31
	s_ashr_i32 s7, s16, 31
	v_and_b32_e32 v4, 3, v0
	s_lshl_b32 s16, s2, 6
	v_cmp_gt_u32_e32 vcc, 32, v0
	s_and_saveexec_b64 s[2:3], vcc
	s_cbranch_execz .LBB136_4
; %bb.3:
	s_load_dwordx2 s[20:21], s[0:1], 0x8
	s_waitcnt lgkmcnt(0)
	s_mul_i32 s22, s10, s12
	s_ashr_i32 s23, s22, 31
	s_lshl_b64 s[22:23], s[22:23], 1
	v_lshlrev_b32_e32 v1, 2, v0
	s_add_u32 s12, s20, s22
	s_addc_u32 s15, s21, s23
	s_ashr_i32 s17, s16, 31
	s_lshl_b64 s[20:21], s[16:17], 1
	s_add_u32 s20, s12, s20
	s_addc_u32 s21, s15, s21
	global_load_dword v1, v1, s[20:21]
	v_and_b32_e32 v2, 0x3fc, v0
	v_lshl_add_u32 v2, v4, 5, v2
	s_waitcnt vmcnt(0)
	ds_write_b32 v2, v1
.LBB136_4:
	s_or_b64 exec, exec, s[2:3]
	s_waitcnt lgkmcnt(0)
	s_add_i32 s3, s33, 15
	s_ashr_i32 s12, s3, 31
	s_lshr_b32 s12, s12, 28
	s_add_i32 s3, s3, s12
	s_ashr_i32 s12, s3, 4
	s_xor_b32 s3, s6, s7
	s_mul_i32 s6, s19, s11
	s_sub_i32 s6, s18, s6
	s_add_i32 s7, s19, 1
	s_sub_i32 s15, s6, s11
	s_load_dwordx2 s[20:21], s[0:1], 0x28
	s_load_dword s2, s[0:1], 0x38
	s_cmp_ge_u32 s6, s11
	s_cselect_b32 s7, s7, s19
	s_cselect_b32 s6, s15, s6
	s_add_i32 s15, s7, 1
	s_cmp_ge_u32 s6, s11
	s_cselect_b32 s6, s15, s7
	v_lshrrev_b32_e32 v1, 6, v0
	s_xor_b32 s6, s6, s3
	s_waitcnt lgkmcnt(0)
	s_mul_i32 s22, s10, s2
	s_sub_i32 s15, s6, s3
	s_ashr_i32 s23, s22, 31
	v_cmp_gt_i32_e64 s[2:3], s12, v1
	v_cmp_le_i32_e32 vcc, s12, v1
	v_mbcnt_lo_u32_b32 v5, -1, 0
	s_barrier
	s_waitcnt lgkmcnt(0)
                                        ; implicit-def: $sgpr17
                                        ; implicit-def: $vgpr7
                                        ; implicit-def: $vgpr8
	s_and_saveexec_b64 s[6:7], vcc
	s_xor_b64 s[6:7], exec, s[6:7]
; %bb.5:
	v_mbcnt_hi_u32_b32 v7, -1, v5
	v_and_b32_e32 v2, 64, v7
	v_add_u32_e32 v8, 64, v2
	s_mov_b32 s17, 0xff7fffff
                                        ; implicit-def: $vgpr4
                                        ; implicit-def: $vgpr5
; %bb.6:
	s_or_saveexec_b64 s[26:27], s[6:7]
	s_load_dwordx2 s[18:19], s[0:1], 0x0
	s_load_dwordx2 s[24:25], s[0:1], 0x18
	s_load_dword s11, s[0:1], 0x88
	v_mov_b32_e32 v22, s17
	s_mul_i32 s14, s15, s14
	v_lshrrev_b32_e32 v6, 4, v0
	s_xor_b64 exec, exec, s[26:27]
	s_cbranch_execz .LBB136_12
; %bb.7:
	s_load_dwordx2 s[0:1], s[0:1], 0x10
	s_ashr_i32 s15, s14, 31
	s_lshl_b64 s[6:7], s[14:15], 1
	v_lshlrev_b32_e32 v7, 5, v4
	v_bfe_u32 v29, v0, 2, 4
	s_waitcnt lgkmcnt(0)
	s_add_u32 s0, s0, s6
	ds_read_b128 v[14:17], v7
	ds_read_b128 v[22:25], v7 offset:16
	v_mbcnt_hi_u32_b32 v7, -1, v5
	s_addc_u32 s1, s1, s7
	v_lshlrev_b32_e32 v30, 4, v29
	v_mov_b32_e32 v31, 0
	v_lshlrev_b32_e32 v8, 2, v0
	v_and_b32_e32 v5, 64, v7
	v_lshl_add_u64 v[2:3], s[0:1], 0, v[30:31]
	v_and_b32_e32 v30, 12, v8
	v_add_u32_e32 v8, 64, v5
	v_xor_b32_e32 v5, 2, v7
	v_cmp_lt_i32_e32 vcc, v5, v8
	s_sub_i32 s15, 1, s33
	s_lshl_b64 s[6:7], s[22:23], 2
	v_cndmask_b32_e32 v5, v7, v5, vcc
	v_lshlrev_b32_e32 v26, 2, v5
	v_xor_b32_e32 v5, 1, v7
	v_cmp_lt_i32_e32 vcc, v5, v8
	s_add_u32 s6, s20, s6
	v_lshl_add_u64 v[2:3], v[2:3], 0, v[30:31]
	v_cndmask_b32_e32 v5, v7, v5, vcc
	v_cmp_eq_u32_e32 vcc, 0, v4
	v_lshlrev_b32_e32 v4, 2, v29
	v_lshl_or_b32 v4, v1, 6, v4
	v_and_b32_e32 v30, 60, v6
	s_addc_u32 s7, s21, s7
	s_mov_b32 s17, s13
	s_waitcnt lgkmcnt(1)
	v_lshlrev_b32_e32 v9, 16, v14
	v_and_b32_e32 v10, 0xffff0000, v14
	v_lshlrev_b32_e32 v11, 16, v15
	v_and_b32_e32 v12, 0xffff0000, v15
	;; [unrolled: 2-line block ×4, first 2 shown]
	s_waitcnt lgkmcnt(0)
	v_lshlrev_b32_e32 v17, 16, v22
	v_and_b32_e32 v18, 0xffff0000, v22
	v_lshlrev_b32_e32 v19, 16, v23
	v_and_b32_e32 v20, 0xffff0000, v23
	;; [unrolled: 2-line block ×4, first 2 shown]
	v_lshlrev_b32_e32 v27, 2, v5
	v_cmp_neq_f32_e64 s[0:1], s8, 0
	v_lshl_or_b32 v28, v1, 4, v29
	v_add_u32_e32 v29, 0x90, v4
	v_lshl_add_u64 v[4:5], s[6:7], 0, v[30:31]
	s_mov_b64 s[28:29], 0
	v_mov_b32_e32 v22, 0xff7fffff
	v_mov_b32_e32 v30, v1
	s_branch .LBB136_9
.LBB136_8:                              ;   in Loop: Header=BB136_9 Depth=1
	s_or_b64 exec, exec, s[30:31]
	v_add_u32_e32 v30, 2, v30
	v_cmp_le_i32_e64 s[6:7], s12, v30
	v_add_u32_e32 v28, 32, v28
	v_add_u32_e32 v29, 0x80, v29
	s_or_b64 s[28:29], s[6:7], s[28:29]
	v_lshl_add_u64 v[4:5], v[4:5], 0, 8
	s_andn2_b64 exec, exec, s[28:29]
	s_cbranch_execz .LBB136_11
.LBB136_9:                              ; =>This Inner Loop Header: Depth=1
	global_load_dword v31, v[4:5], off
	s_waitcnt vmcnt(0) lgkmcnt(0)
	v_mad_i64_i32 v[32:33], s[6:7], v31, s17, 0
	v_lshl_add_u64 v[32:33], v[32:33], 1, v[2:3]
	global_load_dword v31, v[32:33], off
	global_load_dword v34, v[32:33], off offset:256
	global_load_dword v35, v[32:33], off offset:512
	global_load_dword v36, v[32:33], off offset:768
	global_load_dword v37, v[32:33], off offset:1024
	global_load_dword v38, v[32:33], off offset:1280
	global_load_dword v39, v[32:33], off offset:1536
	global_load_dword v40, v[32:33], off offset:1792
	s_waitcnt vmcnt(7)
	v_lshlrev_b32_e32 v32, 16, v31
	s_waitcnt vmcnt(6)
	v_lshlrev_b32_e32 v33, 16, v34
	v_and_b32_e32 v34, 0xffff0000, v34
	v_and_b32_e32 v31, 0xffff0000, v31
	v_mul_f32_e32 v33, v11, v33
	v_mul_f32_e32 v34, v12, v34
	s_waitcnt vmcnt(5)
	v_lshlrev_b32_e32 v41, 16, v35
	v_and_b32_e32 v35, 0xffff0000, v35
	v_fmac_f32_e32 v33, v9, v32
	v_fmac_f32_e32 v34, v10, v31
	s_waitcnt vmcnt(4)
	v_lshlrev_b32_e32 v42, 16, v36
	v_and_b32_e32 v36, 0xffff0000, v36
	v_fmac_f32_e32 v33, v13, v41
	v_fmac_f32_e32 v34, v14, v35
	s_waitcnt vmcnt(3)
	v_lshlrev_b32_e32 v43, 16, v37
	v_and_b32_e32 v37, 0xffff0000, v37
	v_fmac_f32_e32 v33, v15, v42
	v_fmac_f32_e32 v34, v16, v36
	s_waitcnt vmcnt(2)
	v_lshlrev_b32_e32 v44, 16, v38
	v_and_b32_e32 v38, 0xffff0000, v38
	v_fmac_f32_e32 v33, v17, v43
	v_fmac_f32_e32 v34, v18, v37
	s_waitcnt vmcnt(1)
	v_lshlrev_b32_e32 v45, 16, v39
	v_and_b32_e32 v39, 0xffff0000, v39
	v_fmac_f32_e32 v33, v19, v44
	v_fmac_f32_e32 v34, v20, v38
	s_waitcnt vmcnt(0)
	v_lshlrev_b32_e32 v46, 16, v40
	v_and_b32_e32 v40, 0xffff0000, v40
	v_fmac_f32_e32 v33, v21, v45
	v_fmac_f32_e32 v34, v23, v39
	v_fmac_f32_e32 v33, v24, v46
	v_fmac_f32_e32 v34, v25, v40
	v_add_f32_e32 v31, v33, v34
	ds_bpermute_b32 v32, v26, v31
	s_waitcnt lgkmcnt(0)
	v_add_f32_e32 v31, v31, v32
	ds_bpermute_b32 v32, v27, v31
	s_and_saveexec_b64 s[30:31], vcc
	s_cbranch_execz .LBB136_8
; %bb.10:                               ;   in Loop: Header=BB136_9 Depth=1
	v_add_u32_e32 v33, s15, v28
	v_cvt_f32_i32_e32 v33, v33
	s_waitcnt lgkmcnt(0)
	v_add_f32_e32 v31, v31, v32
	v_cmp_gt_i32_e64 s[6:7], s33, v28
	v_max_f32_e32 v32, v22, v22
	v_mul_f32_e32 v33, s8, v33
	v_cndmask_b32_e64 v33, 0, v33, s[0:1]
	v_fmac_f32_e32 v33, s9, v31
	v_cndmask_b32_e64 v31, 0, v33, s[6:7]
	ds_write_b32 v29, v31
	v_max_f32_e32 v31, v32, v33
	v_cndmask_b32_e64 v22, v22, v31, s[6:7]
	s_branch .LBB136_8
.LBB136_11:
	s_or_b64 exec, exec, s[28:29]
.LBB136_12:
	s_or_b64 exec, exec, s[26:27]
	v_xor_b32_e32 v2, 32, v7
	v_cmp_lt_i32_e32 vcc, v2, v8
	v_xor_b32_e32 v5, 16, v7
	v_max_f32_e32 v4, v22, v22
	v_cndmask_b32_e32 v2, v7, v2, vcc
	v_lshlrev_b32_e32 v2, 2, v2
	ds_bpermute_b32 v3, v2, v22
	v_cmp_lt_i32_e32 vcc, v5, v8
	v_xor_b32_e32 v9, 8, v7
	v_xor_b32_e32 v10, 4, v7
	v_and_b32_e32 v18, 63, v0
	s_waitcnt lgkmcnt(0)
	v_max_f32_e32 v3, v3, v3
	v_max_f32_e32 v4, v4, v3
	v_cndmask_b32_e32 v3, v7, v5, vcc
	v_lshlrev_b32_e32 v3, 2, v3
	ds_bpermute_b32 v5, v3, v4
	v_cmp_lt_i32_e32 vcc, v9, v8
	s_waitcnt lgkmcnt(0)
	v_max_f32_e32 v5, v5, v5
	v_max_f32_e32 v4, v4, v5
	v_cndmask_b32_e32 v5, v7, v9, vcc
	v_lshlrev_b32_e32 v9, 2, v5
	ds_bpermute_b32 v5, v9, v4
	v_cmp_lt_i32_e32 vcc, v10, v8
	s_waitcnt lgkmcnt(0)
	v_max_f32_e32 v5, v5, v5
	v_max_f32_e32 v5, v4, v5
	v_cndmask_b32_e32 v4, v7, v10, vcc
	v_lshlrev_b32_e32 v10, 2, v4
	ds_bpermute_b32 v11, v10, v5
	v_cmp_eq_u32_e32 vcc, 0, v18
	v_lshlrev_b32_e32 v4, 2, v1
	s_and_saveexec_b64 s[0:1], vcc
	s_cbranch_execz .LBB136_14
; %bb.13:
	s_waitcnt lgkmcnt(0)
	v_max_f32_e32 v11, v11, v11
	v_max_f32_e32 v5, v5, v5
	;; [unrolled: 1-line block ×3, first 2 shown]
	ds_write_b32 v4, v5 offset:128
.LBB136_14:
	s_or_b64 exec, exec, s[0:1]
	v_cmp_gt_u32_e64 s[0:1], 2, v18
	s_waitcnt lgkmcnt(0)
	v_mov_b32_e32 v11, 0xff7fffff
	v_lshlrev_b32_e32 v5, 2, v18
	s_barrier
	s_and_saveexec_b64 s[6:7], s[0:1]
	s_cbranch_execz .LBB136_16
; %bb.15:
	ds_read_b32 v11, v5 offset:128
.LBB136_16:
	s_or_b64 exec, exec, s[6:7]
	v_xor_b32_e32 v12, 1, v7
	v_cmp_lt_i32_e64 s[6:7], v12, v8
	v_lshlrev_b32_e32 v13, 2, v7
	s_nop 0
	v_cndmask_b32_e64 v12, v7, v12, s[6:7]
	v_lshlrev_b32_e32 v19, 2, v12
	s_waitcnt lgkmcnt(0)
	ds_bpermute_b32 v12, v19, v11
	v_max_f32_e32 v11, v11, v11
	s_lshl_b32 s6, s12, 4
	s_min_i32 s15, s6, s33
	v_cmp_gt_i32_e64 s[6:7], s15, v0
	s_waitcnt lgkmcnt(0)
	v_max_f32_e32 v12, v12, v12
	v_max_f32_e32 v12, v11, v12
	v_and_b32_e32 v11, 0xffffff00, v13
	ds_bpermute_b32 v13, v11, v12
	v_mov_b32_e32 v12, 0
	s_and_saveexec_b64 s[26:27], s[6:7]
	s_cbranch_execz .LBB136_20
; %bb.17:
	v_mov_b32_e32 v12, 0x90
	v_lshl_add_u32 v14, v0, 2, v12
	s_mov_b64 s[28:29], 0
	v_mov_b32_e32 v12, 0
	v_mov_b32_e32 v15, v0
.LBB136_18:                             ; =>This Inner Loop Header: Depth=1
	ds_read_b32 v16, v14
	v_add_u32_e32 v15, 0x80, v15
	v_cmp_le_i32_e64 s[8:9], s15, v15
	s_or_b64 s[28:29], s[8:9], s[28:29]
	s_waitcnt lgkmcnt(0)
	v_sub_f32_e32 v16, v16, v13
	v_mul_f32_e32 v16, 0x3fb8aa3b, v16
	v_exp_f32_e32 v16, v16
	ds_write_b32 v14, v16
	v_add_f32_e32 v12, v12, v16
	v_add_u32_e32 v14, 0x200, v14
	s_andn2_b64 exec, exec, s[28:29]
	s_cbranch_execnz .LBB136_18
; %bb.19:
	s_or_b64 exec, exec, s[28:29]
.LBB136_20:
	s_or_b64 exec, exec, s[26:27]
	ds_bpermute_b32 v2, v2, v12
	s_waitcnt lgkmcnt(0)
	v_add_f32_e32 v2, v12, v2
	ds_bpermute_b32 v3, v3, v2
	s_waitcnt lgkmcnt(0)
	v_add_f32_e32 v2, v2, v3
	ds_bpermute_b32 v3, v9, v2
	v_xor_b32_e32 v9, 2, v7
	v_cmp_lt_i32_e64 s[8:9], v9, v8
	s_waitcnt lgkmcnt(0)
	v_add_f32_e32 v2, v2, v3
	ds_bpermute_b32 v3, v10, v2
	v_cndmask_b32_e64 v7, v7, v9, s[8:9]
	s_waitcnt lgkmcnt(0)
	v_add_f32_e32 v2, v2, v3
	v_lshlrev_b32_e32 v3, 2, v7
	ds_bpermute_b32 v3, v3, v2
	s_waitcnt lgkmcnt(0)
	v_add_f32_e32 v2, v2, v3
	ds_bpermute_b32 v3, v19, v2
	s_waitcnt lgkmcnt(0)
	v_add_f32_e32 v2, v2, v3
	s_and_saveexec_b64 s[8:9], vcc
	s_cbranch_execz .LBB136_22
; %bb.21:
	ds_write_b32 v4, v2 offset:136
.LBB136_22:
	s_or_b64 exec, exec, s[8:9]
	s_waitcnt lgkmcnt(0)
	s_barrier
	s_and_saveexec_b64 s[8:9], s[0:1]
	s_cbranch_execz .LBB136_24
; %bb.23:
	ds_read_b32 v2, v5 offset:136
.LBB136_24:
	s_or_b64 exec, exec, s[8:9]
	s_waitcnt lgkmcnt(0)
	ds_bpermute_b32 v3, v19, v2
	s_waitcnt lgkmcnt(0)
	v_add_f32_e32 v2, v2, v3
	ds_bpermute_b32 v2, v11, v2
	s_and_saveexec_b64 s[0:1], s[6:7]
	s_cbranch_execz .LBB136_37
; %bb.25:
	s_waitcnt lgkmcnt(0)
	v_add_f32_e32 v2, 0x358637bd, v2
	v_div_scale_f32 v3, s[6:7], v2, v2, 1.0
	v_rcp_f32_e32 v4, v3
	v_div_scale_f32 v5, vcc, 1.0, v2, 1.0
	s_movk_i32 s6, 0x7f
	v_fma_f32 v7, -v3, v4, 1.0
	v_fmac_f32_e32 v4, v7, v4
	v_mul_f32_e32 v7, v5, v4
	v_fma_f32 v8, -v3, v7, v5
	v_fmac_f32_e32 v7, v8, v4
	v_fma_f32 v3, -v3, v7, v5
	v_div_fmas_f32 v3, v3, v4, v7
	v_xad_u32 v4, v0, -1, s15
	v_div_fixup_f32 v2, v3, v2, 1.0
	v_cmp_lt_u32_e32 vcc, s6, v4
	s_mov_b64 s[8:9], -1
	v_mov_b32_e32 v3, v0
	s_and_saveexec_b64 s[6:7], vcc
	s_cbranch_execz .LBB136_34
; %bb.26:
	v_lshrrev_b32_e32 v4, 7, v4
	v_add_u32_e32 v7, -1, v4
	v_lshrrev_b32_e32 v5, 1, v7
	v_mov_b32_e32 v3, v2
	v_add_u32_e32 v5, 1, v5
	v_cmp_lt_u32_e32 vcc, 13, v7
	v_mov_b32_e32 v9, 0
	s_and_saveexec_b64 s[8:9], vcc
	s_cbranch_execz .LBB136_30
; %bb.27:
	v_mov_b32_e32 v8, 0x90
	v_and_b32_e32 v7, -8, v5
	v_lshl_add_u32 v8, v0, 2, v8
	s_mov_b32 s17, 0
	s_mov_b64 s[26:27], 0
.LBB136_28:                             ; =>This Inner Loop Header: Depth=1
	ds_read2st64_b32 v[10:11], v8 offset1:2
	ds_read2st64_b32 v[12:13], v8 offset0:4 offset1:6
	ds_read2st64_b32 v[14:15], v8 offset0:8 offset1:10
	;; [unrolled: 1-line block ×3, first 2 shown]
	v_add_u32_e32 v7, -8, v7
	s_waitcnt lgkmcnt(3)
	v_pk_mul_f32 v[10:11], v[2:3], v[10:11]
	s_waitcnt lgkmcnt(2)
	v_pk_mul_f32 v[12:13], v[2:3], v[12:13]
	ds_write2st64_b32 v8, v10, v11 offset1:2
	ds_write2st64_b32 v8, v12, v13 offset0:4 offset1:6
	ds_read2st64_b32 v[12:13], v8 offset0:16 offset1:18
	s_waitcnt lgkmcnt(4)
	v_pk_mul_f32 v[10:11], v[2:3], v[14:15]
	ds_write2st64_b32 v8, v10, v11 offset0:8 offset1:10
	s_waitcnt lgkmcnt(4)
	v_pk_mul_f32 v[10:11], v[2:3], v[16:17]
	ds_write2st64_b32 v8, v10, v11 offset0:12 offset1:14
	ds_read2st64_b32 v[10:11], v8 offset0:20 offset1:22
	s_waitcnt lgkmcnt(3)
	v_pk_mul_f32 v[12:13], v[2:3], v[12:13]
	ds_read2st64_b32 v[14:15], v8 offset0:24 offset1:26
	ds_write2st64_b32 v8, v12, v13 offset0:16 offset1:18
	ds_read2st64_b32 v[12:13], v8 offset0:28 offset1:30
	s_waitcnt lgkmcnt(3)
	v_pk_mul_f32 v[10:11], v[2:3], v[10:11]
	ds_write2st64_b32 v8, v10, v11 offset0:20 offset1:22
	s_waitcnt lgkmcnt(3)
	v_pk_mul_f32 v[10:11], v[2:3], v[14:15]
	ds_write2st64_b32 v8, v10, v11 offset0:24 offset1:26
	s_waitcnt lgkmcnt(2)
	v_pk_mul_f32 v[10:11], v[2:3], v[12:13]
	s_add_i32 s17, s17, 16
	v_cmp_eq_u32_e32 vcc, 0, v7
	ds_write2st64_b32 v8, v10, v11 offset0:28 offset1:30
	v_add_u32_e32 v8, 0x2000, v8
	s_or_b64 s[26:27], vcc, s[26:27]
	v_mov_b32_e32 v9, s17
	s_andn2_b64 exec, exec, s[26:27]
	s_cbranch_execnz .LBB136_28
; %bb.29:
	s_or_b64 exec, exec, s[26:27]
.LBB136_30:
	s_or_b64 exec, exec, s[8:9]
	v_and_b32_e32 v5, 7, v5
	v_cmp_ne_u32_e32 vcc, 0, v5
	s_and_saveexec_b64 s[8:9], vcc
	s_cbranch_execz .LBB136_33
; %bb.31:
	v_lshlrev_b32_e32 v7, 9, v9
	v_lshlrev_b32_e32 v8, 2, v0
	s_movk_i32 s17, 0x90
	v_add3_u32 v7, v7, v8, s17
	s_mov_b64 s[26:27], 0
.LBB136_32:                             ; =>This Inner Loop Header: Depth=1
	ds_read2st64_b32 v[8:9], v7 offset1:2
	v_add_u32_e32 v5, -1, v5
	v_cmp_eq_u32_e32 vcc, 0, v5
	s_or_b64 s[26:27], vcc, s[26:27]
	s_waitcnt lgkmcnt(0)
	v_pk_mul_f32 v[8:9], v[2:3], v[8:9]
	ds_write2st64_b32 v7, v8, v9 offset1:2
	v_add_u32_e32 v7, 0x400, v7
	s_andn2_b64 exec, exec, s[26:27]
	s_cbranch_execnz .LBB136_32
.LBB136_33:
	s_or_b64 exec, exec, s[8:9]
	v_add_u32_e32 v4, 1, v4
	v_and_b32_e32 v5, 0x3fffffe, v4
	v_cmp_ne_u32_e32 vcc, v4, v5
	v_lshl_add_u32 v3, v5, 7, v0
	s_orn2_b64 s[8:9], vcc, exec
.LBB136_34:
	s_or_b64 exec, exec, s[6:7]
	s_and_b64 exec, exec, s[8:9]
	s_cbranch_execz .LBB136_37
; %bb.35:
	v_mov_b32_e32 v4, 0x90
	v_lshl_add_u32 v4, v3, 2, v4
	s_mov_b64 s[6:7], 0
.LBB136_36:                             ; =>This Inner Loop Header: Depth=1
	ds_read_b32 v5, v4
	v_add_u32_e32 v3, 0x80, v3
	v_cmp_le_i32_e32 vcc, s15, v3
	s_or_b64 s[6:7], vcc, s[6:7]
	s_waitcnt lgkmcnt(0)
	v_mul_f32_e32 v5, v2, v5
	ds_write_b32 v4, v5
	v_add_u32_e32 v4, 0x200, v4
	s_andn2_b64 exec, exec, s[6:7]
	s_cbranch_execnz .LBB136_36
.LBB136_37:
	s_or_b64 exec, exec, s[0:1]
	v_mov_b32_e32 v11, 0
	v_and_b32_e32 v20, 1, v0
	v_mov_b32_e32 v10, v11
	s_waitcnt lgkmcnt(0)
	s_barrier
	s_and_saveexec_b64 s[6:7], s[2:3]
	s_cbranch_execz .LBB136_141
; %bb.38:
	s_ashr_i32 s15, s14, 31
	s_lshl_b64 s[0:1], s[14:15], 1
	s_add_u32 s0, s24, s0
	v_lshlrev_b32_e32 v3, 4, v0
	v_lshlrev_b32_e32 v2, 3, v0
	s_addc_u32 s1, s25, s1
	v_and_b32_e32 v12, 0x3f0, v3
	v_mov_b32_e32 v13, 0
	v_and_b32_e32 v2, 8, v2
	s_add_i32 s14, s12, -1
	v_lshl_add_u64 v[14:15], s[0:1], 0, v[12:13]
	v_lshlrev_b32_e32 v3, 4, v1
	s_lshl_b64 s[0:1], s[22:23], 2
	v_or3_b32 v21, v3, v2, 7
	v_lshlrev_b32_e32 v2, 5, v20
	s_add_u32 s0, s20, s0
	v_lshl_or_b32 v2, v1, 6, v2
	v_and_b32_e32 v12, 60, v6
	s_addc_u32 s1, s21, s1
	v_add_u32_e32 v22, 0x90, v2
	v_lshl_add_u64 v[16:17], s[0:1], 0, v[12:13]
	s_mov_b64 s[2:3], 0
	s_mov_b32 s15, 0x7f800000
	s_movk_i32 s17, 0x7fff
	v_mov_b32_e32 v10, 0
	v_mov_b32_e32 v11, v13
	s_branch .LBB136_40
.LBB136_39:                             ;   in Loop: Header=BB136_40 Depth=1
	s_or_b64 exec, exec, s[0:1]
	v_and_b32_e32 v33, 0xffff0000, v23
	v_and_b32_e32 v32, 0xffff0000, v9
	;; [unrolled: 1-line block ×4, first 2 shown]
	v_pk_add_f32 v[8:9], v[8:9], v[32:33]
	v_and_b32_e32 v31, 0xffff0000, v34
	v_and_b32_e32 v30, 0xffff0000, v25
	v_and_b32_e32 v25, 0xffff0000, v26
	v_and_b32_e32 v24, 0xffff0000, v24
	v_mov_b32_e32 v12, v9
	v_and_b32_e32 v27, 0xffff0000, v27
	v_and_b32_e32 v26, 0xffff0000, v7
	;; [unrolled: 1-line block ×4, first 2 shown]
	v_pk_add_f32 v[8:9], v[8:9], v[12:13]
	v_pk_add_f32 v[24:25], v[24:25], v[30:31]
	v_pk_add_f32 v[2:3], v[2:3], v[26:27]
	v_pk_add_f32 v[8:9], v[8:9], v[24:25]
	v_mov_b32_e32 v12, v25
	v_and_b32_e32 v25, 0xffff0000, v6
	v_and_b32_e32 v24, 0xffff0000, v28
	;; [unrolled: 1-line block ×4, first 2 shown]
	v_mov_b32_e32 v6, v3
	v_pk_add_f32 v[2:3], v[2:3], v[6:7]
	v_pk_add_f32 v[4:5], v[4:5], v[24:25]
	;; [unrolled: 1-line block ×4, first 2 shown]
	v_mov_b32_e32 v4, v5
	v_pk_add_f32 v[2:3], v[2:3], v[4:5]
	v_add_u32_e32 v1, 2, v1
	v_mov_b32_e32 v3, v2
	v_pk_add_f32 v[8:9], v[10:11], v[8:9]
	v_pk_add_f32 v[10:11], v[10:11], v[2:3]
	v_cmp_le_i32_e32 vcc, s12, v1
	v_mov_b32_e32 v10, v8
	v_add_u32_e32 v21, 32, v21
	v_add_u32_e32 v22, 0x80, v22
	s_or_b64 s[2:3], vcc, s[2:3]
	v_lshl_add_u64 v[16:17], v[16:17], 0, 8
	s_andn2_b64 exec, exec, s[2:3]
	s_cbranch_execz .LBB136_140
.LBB136_40:                             ; =>This Inner Loop Header: Depth=1
	global_load_dword v27, v[16:17], off
	ds_read2_b64 v[6:9], v22 offset1:1
	ds_read2_b64 v[2:5], v22 offset0:2 offset1:3
                                        ; implicit-def: $vgpr35
	s_waitcnt lgkmcnt(1)
	v_and_b32_e32 v12, 0x7f800000, v6
	v_cmp_ne_u32_e32 vcc, s15, v12
	s_and_saveexec_b64 s[0:1], vcc
	s_xor_b64 s[0:1], exec, s[0:1]
; %bb.41:                               ;   in Loop: Header=BB136_40 Depth=1
	v_bfe_u32 v12, v6, 16, 1
	v_add3_u32 v35, v6, v12, s17
; %bb.42:                               ;   in Loop: Header=BB136_40 Depth=1
	s_andn2_saveexec_b64 s[0:1], s[0:1]
; %bb.43:                               ;   in Loop: Header=BB136_40 Depth=1
	v_or_b32_e32 v12, 0x10000, v6
	v_cmp_eq_u32_sdwa vcc, v6, v13 src0_sel:WORD_0 src1_sel:DWORD
	s_nop 1
	v_cndmask_b32_e32 v35, v12, v6, vcc
; %bb.44:                               ;   in Loop: Header=BB136_40 Depth=1
	s_or_b64 exec, exec, s[0:1]
	v_and_b32_e32 v6, 0x7f800000, v7
	v_cmp_ne_u32_e32 vcc, s15, v6
                                        ; implicit-def: $vgpr36
	s_and_saveexec_b64 s[0:1], vcc
	s_xor_b64 s[0:1], exec, s[0:1]
; %bb.45:                               ;   in Loop: Header=BB136_40 Depth=1
	v_bfe_u32 v6, v7, 16, 1
	v_add3_u32 v36, v7, v6, s17
; %bb.46:                               ;   in Loop: Header=BB136_40 Depth=1
	s_andn2_saveexec_b64 s[0:1], s[0:1]
; %bb.47:                               ;   in Loop: Header=BB136_40 Depth=1
	v_or_b32_e32 v6, 0x10000, v7
	v_cmp_eq_u32_sdwa vcc, v7, v13 src0_sel:WORD_0 src1_sel:DWORD
	s_nop 1
	v_cndmask_b32_e32 v36, v6, v7, vcc
; %bb.48:                               ;   in Loop: Header=BB136_40 Depth=1
	s_or_b64 exec, exec, s[0:1]
	v_and_b32_e32 v6, 0x7f800000, v8
	v_cmp_ne_u32_e32 vcc, s15, v6
                                        ; implicit-def: $vgpr12
	s_and_saveexec_b64 s[0:1], vcc
	s_xor_b64 s[0:1], exec, s[0:1]
; %bb.49:                               ;   in Loop: Header=BB136_40 Depth=1
	v_bfe_u32 v6, v8, 16, 1
	v_add3_u32 v12, v8, v6, s17
; %bb.50:                               ;   in Loop: Header=BB136_40 Depth=1
	s_andn2_saveexec_b64 s[0:1], s[0:1]
; %bb.51:                               ;   in Loop: Header=BB136_40 Depth=1
	v_or_b32_e32 v6, 0x10000, v8
	v_cmp_eq_u32_sdwa vcc, v8, v13 src0_sel:WORD_0 src1_sel:DWORD
	s_nop 1
	v_cndmask_b32_e32 v12, v6, v8, vcc
; %bb.52:                               ;   in Loop: Header=BB136_40 Depth=1
	s_or_b64 exec, exec, s[0:1]
	v_and_b32_e32 v6, 0x7f800000, v9
	v_cmp_ne_u32_e32 vcc, s15, v6
                                        ; implicit-def: $vgpr23
	s_and_saveexec_b64 s[0:1], vcc
	s_xor_b64 s[0:1], exec, s[0:1]
; %bb.53:                               ;   in Loop: Header=BB136_40 Depth=1
	v_bfe_u32 v6, v9, 16, 1
	v_add3_u32 v23, v9, v6, s17
                                        ; implicit-def: $vgpr6_vgpr7_vgpr8_vgpr9
; %bb.54:                               ;   in Loop: Header=BB136_40 Depth=1
	s_andn2_saveexec_b64 s[0:1], s[0:1]
; %bb.55:                               ;   in Loop: Header=BB136_40 Depth=1
	v_or_b32_e32 v6, 0x10000, v9
	v_cmp_eq_u32_sdwa vcc, v9, v13 src0_sel:WORD_0 src1_sel:DWORD
	s_nop 1
	v_cndmask_b32_e32 v23, v6, v9, vcc
; %bb.56:                               ;   in Loop: Header=BB136_40 Depth=1
	s_or_b64 exec, exec, s[0:1]
	s_waitcnt lgkmcnt(0)
	v_and_b32_e32 v6, 0x7f800000, v2
	v_cmp_ne_u32_e32 vcc, s15, v6
                                        ; implicit-def: $vgpr24
	s_and_saveexec_b64 s[0:1], vcc
	s_xor_b64 s[0:1], exec, s[0:1]
; %bb.57:                               ;   in Loop: Header=BB136_40 Depth=1
	v_bfe_u32 v6, v2, 16, 1
	v_add3_u32 v24, v2, v6, s17
; %bb.58:                               ;   in Loop: Header=BB136_40 Depth=1
	s_andn2_saveexec_b64 s[0:1], s[0:1]
; %bb.59:                               ;   in Loop: Header=BB136_40 Depth=1
	v_or_b32_e32 v6, 0x10000, v2
	v_cmp_eq_u32_sdwa vcc, v2, v13 src0_sel:WORD_0 src1_sel:DWORD
	s_nop 1
	v_cndmask_b32_e32 v24, v6, v2, vcc
; %bb.60:                               ;   in Loop: Header=BB136_40 Depth=1
	s_or_b64 exec, exec, s[0:1]
	v_and_b32_e32 v2, 0x7f800000, v3
	v_cmp_ne_u32_e32 vcc, s15, v2
                                        ; implicit-def: $vgpr25
	s_and_saveexec_b64 s[0:1], vcc
	s_xor_b64 s[0:1], exec, s[0:1]
; %bb.61:                               ;   in Loop: Header=BB136_40 Depth=1
	v_bfe_u32 v2, v3, 16, 1
	v_add3_u32 v25, v3, v2, s17
; %bb.62:                               ;   in Loop: Header=BB136_40 Depth=1
	s_andn2_saveexec_b64 s[0:1], s[0:1]
; %bb.63:                               ;   in Loop: Header=BB136_40 Depth=1
	v_or_b32_e32 v2, 0x10000, v3
	v_cmp_eq_u32_sdwa vcc, v3, v13 src0_sel:WORD_0 src1_sel:DWORD
	s_nop 1
	v_cndmask_b32_e32 v25, v2, v3, vcc
; %bb.64:                               ;   in Loop: Header=BB136_40 Depth=1
	s_or_b64 exec, exec, s[0:1]
	v_and_b32_e32 v2, 0x7f800000, v4
	v_cmp_ne_u32_e32 vcc, s15, v2
                                        ; implicit-def: $vgpr26
	s_and_saveexec_b64 s[0:1], vcc
	s_xor_b64 s[0:1], exec, s[0:1]
; %bb.65:                               ;   in Loop: Header=BB136_40 Depth=1
	v_bfe_u32 v2, v4, 16, 1
	v_add3_u32 v26, v4, v2, s17
; %bb.66:                               ;   in Loop: Header=BB136_40 Depth=1
	s_andn2_saveexec_b64 s[0:1], s[0:1]
; %bb.67:                               ;   in Loop: Header=BB136_40 Depth=1
	v_or_b32_e32 v2, 0x10000, v4
	v_cmp_eq_u32_sdwa vcc, v4, v13 src0_sel:WORD_0 src1_sel:DWORD
	s_nop 1
	v_cndmask_b32_e32 v26, v2, v4, vcc
; %bb.68:                               ;   in Loop: Header=BB136_40 Depth=1
	s_or_b64 exec, exec, s[0:1]
	v_and_b32_e32 v2, 0x7f800000, v5
	v_cmp_ne_u32_e32 vcc, s15, v2
                                        ; implicit-def: $vgpr34
	s_and_saveexec_b64 s[0:1], vcc
	s_xor_b64 s[0:1], exec, s[0:1]
; %bb.69:                               ;   in Loop: Header=BB136_40 Depth=1
	v_bfe_u32 v2, v5, 16, 1
	v_add3_u32 v34, v5, v2, s17
                                        ; implicit-def: $vgpr2_vgpr3_vgpr4_vgpr5
; %bb.70:                               ;   in Loop: Header=BB136_40 Depth=1
	s_andn2_saveexec_b64 s[0:1], s[0:1]
; %bb.71:                               ;   in Loop: Header=BB136_40 Depth=1
	v_or_b32_e32 v2, 0x10000, v5
	v_cmp_eq_u32_sdwa vcc, v5, v13 src0_sel:WORD_0 src1_sel:DWORD
	s_nop 1
	v_cndmask_b32_e32 v34, v2, v5, vcc
; %bb.72:                               ;   in Loop: Header=BB136_40 Depth=1
	s_or_b64 exec, exec, s[0:1]
	s_waitcnt vmcnt(0)
	v_mad_i64_i32 v[2:3], s[0:1], v27, s13, 0
	v_lshl_add_u64 v[6:7], v[2:3], 1, v[14:15]
	global_load_dwordx4 v[2:5], v[6:7], off
	v_add_u32_e32 v27, -7, v21
	v_cmp_eq_u32_e32 vcc, s14, v1
	v_add_u32_e32 v33, -6, v21
	v_add_u32_e32 v31, -5, v21
	v_add_u32_e32 v30, -4, v21
	v_add_u32_e32 v29, -3, v21
	v_add_u32_e32 v28, -2, v21
	v_add_u32_e32 v32, -1, v21
	s_waitcnt vmcnt(0)
	v_lshrrev_b32_e32 v9, 16, v2
	v_lshrrev_b32_e32 v39, 16, v3
	;; [unrolled: 1-line block ×4, first 2 shown]
	s_and_saveexec_b64 s[8:9], vcc
	s_cbranch_execz .LBB136_74
; %bb.73:                               ;   in Loop: Header=BB136_40 Depth=1
	v_cmp_gt_i32_e64 s[0:1], s33, v27
	s_nop 1
	v_cndmask_b32_e64 v2, 0, v2, s[0:1]
	v_cmp_gt_i32_e64 s[0:1], s33, v33
	s_nop 1
	v_cndmask_b32_e64 v9, 0, v9, s[0:1]
	;; [unrolled: 3-line block ×8, first 2 shown]
.LBB136_74:                             ;   in Loop: Header=BB136_40 Depth=1
	s_or_b64 exec, exec, s[8:9]
	v_and_b32_e32 v35, 0xffff0000, v35
	v_lshlrev_b32_e32 v2, 16, v2
	v_mul_f32_e32 v2, v35, v2
	v_and_b32_e32 v8, 0x7f800000, v2
	v_cmp_ne_u32_e64 s[0:1], s15, v8
                                        ; implicit-def: $vgpr8
	s_and_saveexec_b64 s[8:9], s[0:1]
	s_xor_b64 s[0:1], exec, s[8:9]
; %bb.75:                               ;   in Loop: Header=BB136_40 Depth=1
	v_bfe_u32 v8, v2, 16, 1
	v_add3_u32 v8, v2, v8, s17
                                        ; implicit-def: $vgpr2
; %bb.76:                               ;   in Loop: Header=BB136_40 Depth=1
	s_andn2_saveexec_b64 s[8:9], s[0:1]
; %bb.77:                               ;   in Loop: Header=BB136_40 Depth=1
	v_or_b32_e32 v8, 0x10000, v2
	v_cmp_eq_u32_sdwa s[0:1], v2, v13 src0_sel:WORD_0 src1_sel:DWORD
	s_nop 1
	v_cndmask_b32_e64 v8, v8, v2, s[0:1]
; %bb.78:                               ;   in Loop: Header=BB136_40 Depth=1
	s_or_b64 exec, exec, s[8:9]
	v_and_b32_e32 v36, 0xffff0000, v36
	v_lshlrev_b32_e32 v2, 16, v9
	v_mul_f32_e32 v2, v36, v2
	v_and_b32_e32 v9, 0x7f800000, v2
	v_cmp_ne_u32_e64 s[0:1], s15, v9
                                        ; implicit-def: $vgpr9
	s_and_saveexec_b64 s[8:9], s[0:1]
	s_xor_b64 s[0:1], exec, s[8:9]
; %bb.79:                               ;   in Loop: Header=BB136_40 Depth=1
	v_bfe_u32 v9, v2, 16, 1
	v_add3_u32 v9, v2, v9, s17
                                        ; implicit-def: $vgpr2
; %bb.80:                               ;   in Loop: Header=BB136_40 Depth=1
	s_andn2_saveexec_b64 s[8:9], s[0:1]
; %bb.81:                               ;   in Loop: Header=BB136_40 Depth=1
	v_or_b32_e32 v9, 0x10000, v2
	v_cmp_eq_u32_sdwa s[0:1], v2, v13 src0_sel:WORD_0 src1_sel:DWORD
	s_nop 1
	v_cndmask_b32_e64 v9, v9, v2, s[0:1]
; %bb.82:                               ;   in Loop: Header=BB136_40 Depth=1
	s_or_b64 exec, exec, s[8:9]
	v_and_b32_e32 v37, 0xffff0000, v12
	v_lshlrev_b32_e32 v2, 16, v3
	v_mul_f32_e32 v2, v37, v2
	v_and_b32_e32 v3, 0x7f800000, v2
	v_cmp_ne_u32_e64 s[0:1], s15, v3
                                        ; implicit-def: $vgpr12
	s_and_saveexec_b64 s[8:9], s[0:1]
	s_xor_b64 s[0:1], exec, s[8:9]
; %bb.83:                               ;   in Loop: Header=BB136_40 Depth=1
	v_bfe_u32 v3, v2, 16, 1
	v_add3_u32 v12, v2, v3, s17
                                        ; implicit-def: $vgpr2
; %bb.84:                               ;   in Loop: Header=BB136_40 Depth=1
	s_andn2_saveexec_b64 s[8:9], s[0:1]
; %bb.85:                               ;   in Loop: Header=BB136_40 Depth=1
	v_or_b32_e32 v3, 0x10000, v2
	v_cmp_eq_u32_sdwa s[0:1], v2, v13 src0_sel:WORD_0 src1_sel:DWORD
	s_nop 1
	v_cndmask_b32_e64 v12, v3, v2, s[0:1]
; %bb.86:                               ;   in Loop: Header=BB136_40 Depth=1
	s_or_b64 exec, exec, s[8:9]
	v_and_b32_e32 v38, 0xffff0000, v23
	v_lshlrev_b32_e32 v2, 16, v39
	v_mul_f32_e32 v2, v38, v2
	v_and_b32_e32 v3, 0x7f800000, v2
	v_cmp_ne_u32_e64 s[0:1], s15, v3
                                        ; implicit-def: $vgpr23
	s_and_saveexec_b64 s[8:9], s[0:1]
	s_xor_b64 s[0:1], exec, s[8:9]
; %bb.87:                               ;   in Loop: Header=BB136_40 Depth=1
	v_bfe_u32 v3, v2, 16, 1
	v_add3_u32 v23, v2, v3, s17
                                        ; implicit-def: $vgpr2
; %bb.88:                               ;   in Loop: Header=BB136_40 Depth=1
	s_andn2_saveexec_b64 s[8:9], s[0:1]
; %bb.89:                               ;   in Loop: Header=BB136_40 Depth=1
	v_or_b32_e32 v3, 0x10000, v2
	v_cmp_eq_u32_sdwa s[0:1], v2, v13 src0_sel:WORD_0 src1_sel:DWORD
	s_nop 1
	v_cndmask_b32_e64 v23, v3, v2, s[0:1]
; %bb.90:                               ;   in Loop: Header=BB136_40 Depth=1
	s_or_b64 exec, exec, s[8:9]
	v_and_b32_e32 v39, 0xffff0000, v24
	v_lshlrev_b32_e32 v2, 16, v4
	v_mul_f32_e32 v2, v39, v2
	v_and_b32_e32 v3, 0x7f800000, v2
	v_cmp_ne_u32_e64 s[0:1], s15, v3
                                        ; implicit-def: $vgpr24
	s_and_saveexec_b64 s[8:9], s[0:1]
	s_xor_b64 s[0:1], exec, s[8:9]
; %bb.91:                               ;   in Loop: Header=BB136_40 Depth=1
	v_bfe_u32 v3, v2, 16, 1
	v_add3_u32 v24, v2, v3, s17
                                        ; implicit-def: $vgpr2
; %bb.92:                               ;   in Loop: Header=BB136_40 Depth=1
	s_andn2_saveexec_b64 s[8:9], s[0:1]
; %bb.93:                               ;   in Loop: Header=BB136_40 Depth=1
	v_or_b32_e32 v3, 0x10000, v2
	v_cmp_eq_u32_sdwa s[0:1], v2, v13 src0_sel:WORD_0 src1_sel:DWORD
	s_nop 1
	v_cndmask_b32_e64 v24, v3, v2, s[0:1]
; %bb.94:                               ;   in Loop: Header=BB136_40 Depth=1
	s_or_b64 exec, exec, s[8:9]
	v_and_b32_e32 v40, 0xffff0000, v25
	v_lshlrev_b32_e32 v2, 16, v41
	v_mul_f32_e32 v2, v40, v2
	v_and_b32_e32 v3, 0x7f800000, v2
	v_cmp_ne_u32_e64 s[0:1], s15, v3
                                        ; implicit-def: $vgpr25
	s_and_saveexec_b64 s[8:9], s[0:1]
	s_xor_b64 s[0:1], exec, s[8:9]
; %bb.95:                               ;   in Loop: Header=BB136_40 Depth=1
	v_bfe_u32 v3, v2, 16, 1
	v_add3_u32 v25, v2, v3, s17
                                        ; implicit-def: $vgpr2
; %bb.96:                               ;   in Loop: Header=BB136_40 Depth=1
	s_andn2_saveexec_b64 s[8:9], s[0:1]
; %bb.97:                               ;   in Loop: Header=BB136_40 Depth=1
	v_or_b32_e32 v3, 0x10000, v2
	v_cmp_eq_u32_sdwa s[0:1], v2, v13 src0_sel:WORD_0 src1_sel:DWORD
	s_nop 1
	v_cndmask_b32_e64 v25, v3, v2, s[0:1]
; %bb.98:                               ;   in Loop: Header=BB136_40 Depth=1
	s_or_b64 exec, exec, s[8:9]
	v_and_b32_e32 v41, 0xffff0000, v26
	v_lshlrev_b32_e32 v2, 16, v5
	v_mul_f32_e32 v2, v41, v2
	v_and_b32_e32 v3, 0x7f800000, v2
	v_cmp_ne_u32_e64 s[0:1], s15, v3
                                        ; implicit-def: $vgpr26
	s_and_saveexec_b64 s[8:9], s[0:1]
	s_xor_b64 s[0:1], exec, s[8:9]
; %bb.99:                               ;   in Loop: Header=BB136_40 Depth=1
	v_bfe_u32 v3, v2, 16, 1
	v_add3_u32 v26, v2, v3, s17
                                        ; implicit-def: $vgpr2
; %bb.100:                              ;   in Loop: Header=BB136_40 Depth=1
	s_andn2_saveexec_b64 s[8:9], s[0:1]
; %bb.101:                              ;   in Loop: Header=BB136_40 Depth=1
	v_or_b32_e32 v3, 0x10000, v2
	v_cmp_eq_u32_sdwa s[0:1], v2, v13 src0_sel:WORD_0 src1_sel:DWORD
	s_nop 1
	v_cndmask_b32_e64 v26, v3, v2, s[0:1]
; %bb.102:                              ;   in Loop: Header=BB136_40 Depth=1
	s_or_b64 exec, exec, s[8:9]
	v_and_b32_e32 v42, 0xffff0000, v34
	v_lshlrev_b32_e32 v2, 16, v43
	v_mul_f32_e32 v2, v42, v2
	v_and_b32_e32 v3, 0x7f800000, v2
	v_cmp_ne_u32_e64 s[0:1], s15, v3
                                        ; implicit-def: $vgpr34
	s_and_saveexec_b64 s[8:9], s[0:1]
	s_xor_b64 s[0:1], exec, s[8:9]
; %bb.103:                              ;   in Loop: Header=BB136_40 Depth=1
	v_bfe_u32 v3, v2, 16, 1
	v_add3_u32 v34, v2, v3, s17
                                        ; implicit-def: $vgpr2
; %bb.104:                              ;   in Loop: Header=BB136_40 Depth=1
	s_andn2_saveexec_b64 s[8:9], s[0:1]
; %bb.105:                              ;   in Loop: Header=BB136_40 Depth=1
	v_or_b32_e32 v3, 0x10000, v2
	v_cmp_eq_u32_sdwa s[0:1], v2, v13 src0_sel:WORD_0 src1_sel:DWORD
	s_nop 1
	v_cndmask_b32_e64 v34, v3, v2, s[0:1]
; %bb.106:                              ;   in Loop: Header=BB136_40 Depth=1
	s_or_b64 exec, exec, s[8:9]
	global_load_dwordx4 v[2:5], v[6:7], off offset:1024
	s_waitcnt vmcnt(0)
	v_lshrrev_b32_e32 v7, 16, v2
	v_lshrrev_b32_e32 v44, 16, v3
	;; [unrolled: 1-line block ×4, first 2 shown]
	s_and_saveexec_b64 s[0:1], vcc
	s_cbranch_execz .LBB136_108
; %bb.107:                              ;   in Loop: Header=BB136_40 Depth=1
	v_cmp_gt_i32_e32 vcc, s33, v27
	s_nop 1
	v_cndmask_b32_e32 v2, 0, v2, vcc
	v_cmp_gt_i32_e32 vcc, s33, v33
	s_nop 1
	v_cndmask_b32_e32 v7, 0, v7, vcc
	;; [unrolled: 3-line block ×8, first 2 shown]
.LBB136_108:                            ;   in Loop: Header=BB136_40 Depth=1
	s_or_b64 exec, exec, s[0:1]
	v_lshlrev_b32_e32 v2, 16, v2
	v_mul_f32_e32 v27, v35, v2
	v_and_b32_e32 v2, 0x7f800000, v27
	v_cmp_ne_u32_e32 vcc, s15, v2
                                        ; implicit-def: $vgpr2
	s_and_saveexec_b64 s[0:1], vcc
	s_xor_b64 s[0:1], exec, s[0:1]
; %bb.109:                              ;   in Loop: Header=BB136_40 Depth=1
	v_bfe_u32 v2, v27, 16, 1
	v_add3_u32 v2, v27, v2, s17
                                        ; implicit-def: $vgpr27
; %bb.110:                              ;   in Loop: Header=BB136_40 Depth=1
	s_andn2_saveexec_b64 s[0:1], s[0:1]
; %bb.111:                              ;   in Loop: Header=BB136_40 Depth=1
	v_or_b32_e32 v2, 0x10000, v27
	v_cmp_eq_u32_sdwa vcc, v27, v13 src0_sel:WORD_0 src1_sel:DWORD
	s_nop 1
	v_cndmask_b32_e32 v2, v2, v27, vcc
; %bb.112:                              ;   in Loop: Header=BB136_40 Depth=1
	s_or_b64 exec, exec, s[0:1]
	v_lshlrev_b32_e32 v7, 16, v7
	v_mul_f32_e32 v27, v36, v7
	v_and_b32_e32 v7, 0x7f800000, v27
	v_cmp_ne_u32_e32 vcc, s15, v7
                                        ; implicit-def: $vgpr7
	s_and_saveexec_b64 s[0:1], vcc
	s_xor_b64 s[0:1], exec, s[0:1]
; %bb.113:                              ;   in Loop: Header=BB136_40 Depth=1
	v_bfe_u32 v7, v27, 16, 1
	v_add3_u32 v7, v27, v7, s17
                                        ; implicit-def: $vgpr27
; %bb.114:                              ;   in Loop: Header=BB136_40 Depth=1
	s_andn2_saveexec_b64 s[0:1], s[0:1]
; %bb.115:                              ;   in Loop: Header=BB136_40 Depth=1
	v_or_b32_e32 v7, 0x10000, v27
	v_cmp_eq_u32_sdwa vcc, v27, v13 src0_sel:WORD_0 src1_sel:DWORD
	s_nop 1
	v_cndmask_b32_e32 v7, v7, v27, vcc
; %bb.116:                              ;   in Loop: Header=BB136_40 Depth=1
	s_or_b64 exec, exec, s[0:1]
	v_lshlrev_b32_e32 v3, 16, v3
	v_mul_f32_e32 v27, v37, v3
	v_and_b32_e32 v3, 0x7f800000, v27
	v_cmp_ne_u32_e32 vcc, s15, v3
                                        ; implicit-def: $vgpr3
	s_and_saveexec_b64 s[0:1], vcc
	s_xor_b64 s[0:1], exec, s[0:1]
; %bb.117:                              ;   in Loop: Header=BB136_40 Depth=1
	v_bfe_u32 v3, v27, 16, 1
	v_add3_u32 v3, v27, v3, s17
                                        ; implicit-def: $vgpr27
; %bb.118:                              ;   in Loop: Header=BB136_40 Depth=1
	s_andn2_saveexec_b64 s[0:1], s[0:1]
; %bb.119:                              ;   in Loop: Header=BB136_40 Depth=1
	v_or_b32_e32 v3, 0x10000, v27
	v_cmp_eq_u32_sdwa vcc, v27, v13 src0_sel:WORD_0 src1_sel:DWORD
	s_nop 1
	v_cndmask_b32_e32 v3, v3, v27, vcc
; %bb.120:                              ;   in Loop: Header=BB136_40 Depth=1
	s_or_b64 exec, exec, s[0:1]
	v_lshlrev_b32_e32 v27, 16, v44
	v_mul_f32_e32 v28, v38, v27
	v_and_b32_e32 v27, 0x7f800000, v28
	v_cmp_ne_u32_e32 vcc, s15, v27
                                        ; implicit-def: $vgpr27
	s_and_saveexec_b64 s[0:1], vcc
	s_xor_b64 s[0:1], exec, s[0:1]
; %bb.121:                              ;   in Loop: Header=BB136_40 Depth=1
	v_bfe_u32 v27, v28, 16, 1
	v_add3_u32 v27, v28, v27, s17
                                        ; implicit-def: $vgpr28
; %bb.122:                              ;   in Loop: Header=BB136_40 Depth=1
	s_andn2_saveexec_b64 s[0:1], s[0:1]
; %bb.123:                              ;   in Loop: Header=BB136_40 Depth=1
	v_or_b32_e32 v27, 0x10000, v28
	v_cmp_eq_u32_sdwa vcc, v28, v13 src0_sel:WORD_0 src1_sel:DWORD
	s_nop 1
	v_cndmask_b32_e32 v27, v27, v28, vcc
; %bb.124:                              ;   in Loop: Header=BB136_40 Depth=1
	s_or_b64 exec, exec, s[0:1]
	v_lshlrev_b32_e32 v4, 16, v4
	v_mul_f32_e32 v28, v39, v4
	v_and_b32_e32 v4, 0x7f800000, v28
	v_cmp_ne_u32_e32 vcc, s15, v4
                                        ; implicit-def: $vgpr4
	s_and_saveexec_b64 s[0:1], vcc
	s_xor_b64 s[0:1], exec, s[0:1]
; %bb.125:                              ;   in Loop: Header=BB136_40 Depth=1
	v_bfe_u32 v4, v28, 16, 1
	v_add3_u32 v4, v28, v4, s17
                                        ; implicit-def: $vgpr28
; %bb.126:                              ;   in Loop: Header=BB136_40 Depth=1
	s_andn2_saveexec_b64 s[0:1], s[0:1]
; %bb.127:                              ;   in Loop: Header=BB136_40 Depth=1
	v_or_b32_e32 v4, 0x10000, v28
	v_cmp_eq_u32_sdwa vcc, v28, v13 src0_sel:WORD_0 src1_sel:DWORD
	s_nop 1
	v_cndmask_b32_e32 v4, v4, v28, vcc
; %bb.128:                              ;   in Loop: Header=BB136_40 Depth=1
	s_or_b64 exec, exec, s[0:1]
	v_lshlrev_b32_e32 v28, 16, v43
	v_mul_f32_e32 v29, v40, v28
	v_and_b32_e32 v28, 0x7f800000, v29
	v_cmp_ne_u32_e32 vcc, s15, v28
                                        ; implicit-def: $vgpr28
	s_and_saveexec_b64 s[0:1], vcc
	s_xor_b64 s[0:1], exec, s[0:1]
; %bb.129:                              ;   in Loop: Header=BB136_40 Depth=1
	v_bfe_u32 v28, v29, 16, 1
	v_add3_u32 v28, v29, v28, s17
                                        ; implicit-def: $vgpr29
; %bb.130:                              ;   in Loop: Header=BB136_40 Depth=1
	s_andn2_saveexec_b64 s[0:1], s[0:1]
; %bb.131:                              ;   in Loop: Header=BB136_40 Depth=1
	v_or_b32_e32 v28, 0x10000, v29
	v_cmp_eq_u32_sdwa vcc, v29, v13 src0_sel:WORD_0 src1_sel:DWORD
	s_nop 1
	v_cndmask_b32_e32 v28, v28, v29, vcc
; %bb.132:                              ;   in Loop: Header=BB136_40 Depth=1
	s_or_b64 exec, exec, s[0:1]
	v_lshlrev_b32_e32 v5, 16, v5
	v_mul_f32_e32 v29, v41, v5
	v_and_b32_e32 v5, 0x7f800000, v29
	v_cmp_ne_u32_e32 vcc, s15, v5
                                        ; implicit-def: $vgpr5
	s_and_saveexec_b64 s[0:1], vcc
	s_xor_b64 s[0:1], exec, s[0:1]
; %bb.133:                              ;   in Loop: Header=BB136_40 Depth=1
	v_bfe_u32 v5, v29, 16, 1
	v_add3_u32 v5, v29, v5, s17
                                        ; implicit-def: $vgpr29
; %bb.134:                              ;   in Loop: Header=BB136_40 Depth=1
	s_andn2_saveexec_b64 s[0:1], s[0:1]
; %bb.135:                              ;   in Loop: Header=BB136_40 Depth=1
	v_or_b32_e32 v5, 0x10000, v29
	v_cmp_eq_u32_sdwa vcc, v29, v13 src0_sel:WORD_0 src1_sel:DWORD
	s_nop 1
	v_cndmask_b32_e32 v5, v5, v29, vcc
; %bb.136:                              ;   in Loop: Header=BB136_40 Depth=1
	s_or_b64 exec, exec, s[0:1]
	v_lshlrev_b32_e32 v6, 16, v6
	v_mul_f32_e32 v29, v42, v6
	v_and_b32_e32 v6, 0x7f800000, v29
	v_cmp_ne_u32_e32 vcc, s15, v6
                                        ; implicit-def: $vgpr6
	s_and_saveexec_b64 s[0:1], vcc
	s_xor_b64 s[0:1], exec, s[0:1]
; %bb.137:                              ;   in Loop: Header=BB136_40 Depth=1
	v_bfe_u32 v6, v29, 16, 1
	v_add3_u32 v6, v29, v6, s17
                                        ; implicit-def: $vgpr29
; %bb.138:                              ;   in Loop: Header=BB136_40 Depth=1
	s_andn2_saveexec_b64 s[0:1], s[0:1]
	s_cbranch_execz .LBB136_39
; %bb.139:                              ;   in Loop: Header=BB136_40 Depth=1
	v_or_b32_e32 v6, 0x10000, v29
	v_cmp_eq_u32_sdwa vcc, v29, v13 src0_sel:WORD_0 src1_sel:DWORD
	s_nop 1
	v_cndmask_b32_e32 v6, v6, v29, vcc
	s_branch .LBB136_39
.LBB136_140:
	s_or_b64 exec, exec, s[2:3]
.LBB136_141:
	s_or_b64 exec, exec, s[6:7]
	ds_bpermute_b32 v2, v19, v10
	ds_bpermute_b32 v3, v19, v11
	v_and_b32_e32 v1, 0x3c1, v0
	v_cmp_eq_u32_e32 vcc, 64, v1
	s_waitcnt lgkmcnt(0)
	s_barrier
	v_pk_add_f32 v[2:3], v[10:11], v[2:3]
	s_and_saveexec_b64 s[0:1], vcc
	s_cbranch_execz .LBB136_143
; %bb.142:
	v_mov_b32_e32 v1, 0x90
	v_lshl_add_u32 v1, v18, 1, v1
	ds_write2_b32 v1, v2, v3 offset1:32
.LBB136_143:
	s_or_b64 exec, exec, s[0:1]
	v_cmp_gt_u32_e32 vcc, 64, v0
	s_waitcnt lgkmcnt(0)
	s_barrier
	s_and_saveexec_b64 s[2:3], vcc
	s_cbranch_execz .LBB136_149
; %bb.144:
	v_cmp_eq_u32_e64 s[0:1], 0, v20
	v_lshrrev_b32_e32 v1, 1, v0
	s_and_saveexec_b64 s[6:7], s[0:1]
	s_cbranch_execz .LBB136_146
; %bb.145:
	v_mov_b32_e32 v4, 0x90
	v_lshl_add_u32 v4, v1, 2, v4
	ds_read_b32 v4, v4
	s_waitcnt lgkmcnt(0)
	v_add_f32_e32 v2, v2, v4
.LBB136_146:
	s_or_b64 exec, exec, s[6:7]
	s_and_saveexec_b64 s[6:7], s[0:1]
	s_cbranch_execz .LBB136_148
; %bb.147:
	v_mov_b32_e32 v4, 0x90
	v_lshl_add_u32 v1, v1, 2, v4
	ds_read_b32 v1, v1 offset:128
	s_waitcnt lgkmcnt(0)
	v_add_f32_e32 v3, v3, v1
.LBB136_148:
	s_or_b64 exec, exec, s[6:7]
.LBB136_149:
	s_or_b64 exec, exec, s[2:3]
	s_barrier
	s_and_saveexec_b64 s[0:1], vcc
	s_cbranch_execz .LBB136_160
; %bb.150:
	v_cmp_eq_u32_e32 vcc, 0, v20
	s_and_b64 exec, exec, vcc
	s_cbranch_execz .LBB136_160
; %bb.151:
	s_mov_b32 s0, 0x7f800000
	v_and_b32_e32 v1, 0x7f800000, v2
	v_cmp_ne_u32_e32 vcc, s0, v1
                                        ; implicit-def: $vgpr4
	s_and_saveexec_b64 s[0:1], vcc
	s_xor_b64 s[0:1], exec, s[0:1]
; %bb.152:
	v_bfe_u32 v1, v2, 16, 1
	s_movk_i32 s2, 0x7fff
	v_add3_u32 v4, v2, v1, s2
; %bb.153:
	s_andn2_saveexec_b64 s[0:1], s[0:1]
; %bb.154:
	v_mov_b32_e32 v1, 0
	v_or_b32_e32 v4, 0x10000, v2
	v_cmp_eq_u32_sdwa vcc, v2, v1 src0_sel:WORD_0 src1_sel:DWORD
	s_nop 1
	v_cndmask_b32_e32 v4, v4, v2, vcc
; %bb.155:
	s_or_b64 exec, exec, s[0:1]
	s_mul_i32 s0, s10, s11
	s_mul_i32 s0, s0, s5
	s_lshl_b32 s0, s0, 6
	s_ashr_i32 s1, s0, 31
	s_lshl_b64 s[0:1], s[0:1], 1
	s_add_u32 s2, s18, s0
	s_mul_i32 s0, s11, s16
	s_addc_u32 s3, s19, s1
	s_ashr_i32 s1, s0, 31
	s_lshl_b64 s[0:1], s[0:1], 1
	s_add_u32 s2, s2, s0
	s_addc_u32 s3, s3, s1
	s_lshl_b32 s0, s4, 6
	s_ashr_i32 s1, s0, 31
	s_lshl_b64 s[0:1], s[0:1], 1
	s_add_u32 s0, s2, s0
	s_mov_b32 s2, 0x7f800000
	v_and_b32_e32 v2, 0x7f800000, v3
	s_addc_u32 s1, s3, s1
	v_and_b32_e32 v0, 0x3fe, v0
	v_mov_b32_e32 v1, 0
	v_cmp_ne_u32_e32 vcc, s2, v2
	global_store_short_d16_hi v0, v4, s[0:1]
                                        ; implicit-def: $vgpr4
	s_and_saveexec_b64 s[2:3], vcc
	s_xor_b64 s[2:3], exec, s[2:3]
; %bb.156:
	v_bfe_u32 v2, v3, 16, 1
	s_movk_i32 s4, 0x7fff
	v_add3_u32 v4, v3, v2, s4
                                        ; implicit-def: $vgpr2_vgpr3
; %bb.157:
	s_or_saveexec_b64 s[2:3], s[2:3]
	v_lshl_add_u64 v[0:1], s[0:1], 0, v[0:1]
	s_xor_b64 exec, exec, s[2:3]
; %bb.158:
	v_mov_b32_e32 v2, 0
	v_or_b32_e32 v4, 0x10000, v3
	v_cmp_eq_u32_sdwa vcc, v3, v2 src0_sel:WORD_0 src1_sel:DWORD
	s_nop 1
	v_cndmask_b32_e32 v4, v4, v3, vcc
; %bb.159:
	s_or_b64 exec, exec, s[2:3]
	global_store_short_d16_hi v[0:1], v4, off offset:64
.LBB136_160:
	s_endpgm
	.section	.rodata,"a",@progbits
	.p2align	6, 0x0
	.amdhsa_kernel _ZN4vllm25paged_attention_v1_kernelI14__hip_bfloat16S1_Li64ELi16ELi128ELNS_18Fp8KVCacheDataTypeE0ELb0EEEvPT_PKS3_PKT0_S9_ifPKiSB_iPKfiiiSD_SD_iiiii
		.amdhsa_group_segment_fixed_size 144
		.amdhsa_private_segment_fixed_size 0
		.amdhsa_kernarg_size 384
		.amdhsa_user_sgpr_count 2
		.amdhsa_user_sgpr_dispatch_ptr 0
		.amdhsa_user_sgpr_queue_ptr 0
		.amdhsa_user_sgpr_kernarg_segment_ptr 1
		.amdhsa_user_sgpr_dispatch_id 0
		.amdhsa_user_sgpr_kernarg_preload_length 0
		.amdhsa_user_sgpr_kernarg_preload_offset 0
		.amdhsa_user_sgpr_private_segment_size 0
		.amdhsa_uses_dynamic_stack 0
		.amdhsa_enable_private_segment 0
		.amdhsa_system_sgpr_workgroup_id_x 1
		.amdhsa_system_sgpr_workgroup_id_y 1
		.amdhsa_system_sgpr_workgroup_id_z 1
		.amdhsa_system_sgpr_workgroup_info 0
		.amdhsa_system_vgpr_workitem_id 0
		.amdhsa_next_free_vgpr 47
		.amdhsa_next_free_sgpr 34
		.amdhsa_accum_offset 48
		.amdhsa_reserve_vcc 1
		.amdhsa_float_round_mode_32 0
		.amdhsa_float_round_mode_16_64 0
		.amdhsa_float_denorm_mode_32 3
		.amdhsa_float_denorm_mode_16_64 3
		.amdhsa_dx10_clamp 1
		.amdhsa_ieee_mode 1
		.amdhsa_fp16_overflow 0
		.amdhsa_tg_split 0
		.amdhsa_exception_fp_ieee_invalid_op 0
		.amdhsa_exception_fp_denorm_src 0
		.amdhsa_exception_fp_ieee_div_zero 0
		.amdhsa_exception_fp_ieee_overflow 0
		.amdhsa_exception_fp_ieee_underflow 0
		.amdhsa_exception_fp_ieee_inexact 0
		.amdhsa_exception_int_div_zero 0
	.end_amdhsa_kernel
	.section	.text._ZN4vllm25paged_attention_v1_kernelI14__hip_bfloat16S1_Li64ELi16ELi128ELNS_18Fp8KVCacheDataTypeE0ELb0EEEvPT_PKS3_PKT0_S9_ifPKiSB_iPKfiiiSD_SD_iiiii,"axG",@progbits,_ZN4vllm25paged_attention_v1_kernelI14__hip_bfloat16S1_Li64ELi16ELi128ELNS_18Fp8KVCacheDataTypeE0ELb0EEEvPT_PKS3_PKT0_S9_ifPKiSB_iPKfiiiSD_SD_iiiii,comdat
.Lfunc_end136:
	.size	_ZN4vllm25paged_attention_v1_kernelI14__hip_bfloat16S1_Li64ELi16ELi128ELNS_18Fp8KVCacheDataTypeE0ELb0EEEvPT_PKS3_PKT0_S9_ifPKiSB_iPKfiiiSD_SD_iiiii, .Lfunc_end136-_ZN4vllm25paged_attention_v1_kernelI14__hip_bfloat16S1_Li64ELi16ELi128ELNS_18Fp8KVCacheDataTypeE0ELb0EEEvPT_PKS3_PKT0_S9_ifPKiSB_iPKfiiiSD_SD_iiiii
                                        ; -- End function
	.section	.AMDGPU.csdata,"",@progbits
; Kernel info:
; codeLenInByte = 6008
; NumSgprs: 40
; NumVgprs: 47
; NumAgprs: 0
; TotalNumVgprs: 47
; ScratchSize: 0
; MemoryBound: 0
; FloatMode: 240
; IeeeMode: 1
; LDSByteSize: 144 bytes/workgroup (compile time only)
; SGPRBlocks: 4
; VGPRBlocks: 5
; NumSGPRsForWavesPerEU: 40
; NumVGPRsForWavesPerEU: 47
; AccumOffset: 48
; Occupancy: 8
; WaveLimiterHint : 1
; COMPUTE_PGM_RSRC2:SCRATCH_EN: 0
; COMPUTE_PGM_RSRC2:USER_SGPR: 2
; COMPUTE_PGM_RSRC2:TRAP_HANDLER: 0
; COMPUTE_PGM_RSRC2:TGID_X_EN: 1
; COMPUTE_PGM_RSRC2:TGID_Y_EN: 1
; COMPUTE_PGM_RSRC2:TGID_Z_EN: 1
; COMPUTE_PGM_RSRC2:TIDIG_COMP_CNT: 0
; COMPUTE_PGM_RSRC3_GFX90A:ACCUM_OFFSET: 11
; COMPUTE_PGM_RSRC3_GFX90A:TG_SPLIT: 0
	.section	.text._ZN4vllm25paged_attention_v1_kernelI14__hip_bfloat16S1_Li80ELi16ELi128ELNS_18Fp8KVCacheDataTypeE0ELb0EEEvPT_PKS3_PKT0_S9_ifPKiSB_iPKfiiiSD_SD_iiiii,"axG",@progbits,_ZN4vllm25paged_attention_v1_kernelI14__hip_bfloat16S1_Li80ELi16ELi128ELNS_18Fp8KVCacheDataTypeE0ELb0EEEvPT_PKS3_PKT0_S9_ifPKiSB_iPKfiiiSD_SD_iiiii,comdat
	.protected	_ZN4vllm25paged_attention_v1_kernelI14__hip_bfloat16S1_Li80ELi16ELi128ELNS_18Fp8KVCacheDataTypeE0ELb0EEEvPT_PKS3_PKT0_S9_ifPKiSB_iPKfiiiSD_SD_iiiii ; -- Begin function _ZN4vllm25paged_attention_v1_kernelI14__hip_bfloat16S1_Li80ELi16ELi128ELNS_18Fp8KVCacheDataTypeE0ELb0EEEvPT_PKS3_PKT0_S9_ifPKiSB_iPKfiiiSD_SD_iiiii
	.globl	_ZN4vllm25paged_attention_v1_kernelI14__hip_bfloat16S1_Li80ELi16ELi128ELNS_18Fp8KVCacheDataTypeE0ELb0EEEvPT_PKS3_PKT0_S9_ifPKiSB_iPKfiiiSD_SD_iiiii
	.p2align	8
	.type	_ZN4vllm25paged_attention_v1_kernelI14__hip_bfloat16S1_Li80ELi16ELi128ELNS_18Fp8KVCacheDataTypeE0ELb0EEEvPT_PKS3_PKT0_S9_ifPKiSB_iPKfiiiSD_SD_iiiii,@function
_ZN4vllm25paged_attention_v1_kernelI14__hip_bfloat16S1_Li80ELi16ELi128ELNS_18Fp8KVCacheDataTypeE0ELb0EEEvPT_PKS3_PKT0_S9_ifPKiSB_iPKfiiiSD_SD_iiiii: ; @_ZN4vllm25paged_attention_v1_kernelI14__hip_bfloat16S1_Li80ELi16ELi128ELNS_18Fp8KVCacheDataTypeE0ELb0EEEvPT_PKS3_PKT0_S9_ifPKiSB_iPKfiiiSD_SD_iiiii
; %bb.0:
	s_load_dword s5, s[0:1], 0x80
	s_load_dwordx2 s[6:7], s[0:1], 0x30
	s_load_dwordx2 s[8:9], s[0:1], 0x20
	s_mov_b32 s10, s3
	s_ashr_i32 s11, s3, 31
	s_lshl_b64 s[12:13], s[10:11], 2
	s_waitcnt lgkmcnt(0)
	s_add_u32 s6, s6, s12
	s_addc_u32 s7, s7, s13
	s_abs_i32 s3, s8
	v_cvt_f32_u32_e32 v1, s3
	s_sub_i32 s12, 0, s3
	s_abs_i32 s11, s5
	s_xor_b32 s8, s5, s8
	v_rcp_iflag_f32_e32 v1, v1
	s_ashr_i32 s8, s8, 31
	v_mul_f32_e32 v1, 0x4f7ffffe, v1
	v_cvt_u32_f32_e32 v1, v1
	s_nop 0
	v_readfirstlane_b32 s13, v1
	s_mul_i32 s12, s12, s13
	s_mul_hi_u32 s12, s13, s12
	s_add_i32 s13, s13, s12
	s_mul_hi_u32 s12, s11, s13
	s_mul_i32 s13, s12, s3
	s_sub_i32 s11, s11, s13
	s_add_i32 s13, s12, 1
	s_sub_i32 s14, s11, s3
	s_cmp_ge_u32 s11, s3
	s_cselect_b32 s12, s13, s12
	s_cselect_b32 s11, s14, s11
	s_add_i32 s13, s12, 1
	s_cmp_ge_u32 s11, s3
	s_cselect_b32 s3, s13, s12
	s_xor_b32 s3, s3, s8
	s_sub_i32 s16, s3, s8
	s_abs_i32 s11, s16
	v_cvt_f32_u32_e32 v1, s11
	s_load_dwordx2 s[12:13], s[0:1], 0x40
	s_sub_i32 s3, 0, s11
	s_abs_i32 s18, s2
	v_rcp_iflag_f32_e32 v1, v1
	s_mov_b32 s8, 0
	v_mul_f32_e32 v1, 0x4f7ffffe, v1
	v_cvt_u32_f32_e32 v1, v1
	s_nop 0
	v_readfirstlane_b32 s14, v1
	s_mul_i32 s3, s3, s14
	s_mul_hi_u32 s3, s14, s3
	s_add_i32 s14, s14, s3
	s_waitcnt lgkmcnt(0)
	s_cmp_eq_u64 s[12:13], 0
	s_mul_hi_u32 s19, s18, s14
	s_cbranch_scc1 .LBB137_2
; %bb.1:
	s_ashr_i32 s3, s2, 31
	s_lshl_b64 s[14:15], s[2:3], 2
	s_add_u32 s12, s12, s14
	s_addc_u32 s13, s13, s15
	s_load_dword s8, s[12:13], 0x0
.LBB137_2:
	s_load_dword s33, s[6:7], 0x0
	s_nop 0
	s_load_dwordx4 s[12:15], s[0:1], 0x48
	s_ashr_i32 s6, s2, 31
	s_ashr_i32 s7, s16, 31
	v_and_b32_e32 v4, 3, v0
	s_mul_i32 s16, s2, 0x50
	v_cmp_gt_u32_e32 vcc, 40, v0
	s_and_saveexec_b64 s[2:3], vcc
	s_cbranch_execz .LBB137_4
; %bb.3:
	s_load_dwordx2 s[20:21], s[0:1], 0x8
	s_waitcnt lgkmcnt(0)
	s_mul_i32 s22, s10, s12
	s_ashr_i32 s23, s22, 31
	s_lshl_b64 s[22:23], s[22:23], 1
	v_lshlrev_b32_e32 v1, 2, v0
	s_add_u32 s12, s20, s22
	s_addc_u32 s15, s21, s23
	s_ashr_i32 s17, s16, 31
	s_lshl_b64 s[20:21], s[16:17], 1
	s_add_u32 s20, s12, s20
	s_addc_u32 s21, s15, s21
	global_load_dword v1, v1, s[20:21]
	v_and_b32_e32 v2, 0x3fc, v0
	v_mad_u32_u24 v2, v4, 40, v2
	s_waitcnt vmcnt(0)
	ds_write_b32 v2, v1
.LBB137_4:
	s_or_b64 exec, exec, s[2:3]
	s_waitcnt lgkmcnt(0)
	s_add_i32 s3, s33, 15
	s_ashr_i32 s12, s3, 31
	s_lshr_b32 s12, s12, 28
	s_add_i32 s3, s3, s12
	s_ashr_i32 s17, s3, 4
	s_xor_b32 s3, s6, s7
	s_mul_i32 s6, s19, s11
	s_sub_i32 s6, s18, s6
	s_add_i32 s7, s19, 1
	s_sub_i32 s12, s6, s11
	s_load_dwordx2 s[20:21], s[0:1], 0x28
	s_load_dword s2, s[0:1], 0x38
	s_cmp_ge_u32 s6, s11
	s_cselect_b32 s7, s7, s19
	s_cselect_b32 s6, s12, s6
	s_add_i32 s12, s7, 1
	s_cmp_ge_u32 s6, s11
	s_cselect_b32 s6, s12, s7
	v_lshrrev_b32_e32 v1, 6, v0
	s_xor_b32 s6, s6, s3
	s_waitcnt lgkmcnt(0)
	s_mul_i32 s22, s10, s2
	s_sub_i32 s12, s6, s3
	s_ashr_i32 s23, s22, 31
	v_cmp_gt_i32_e64 s[2:3], s17, v1
	v_cmp_le_i32_e32 vcc, s17, v1
	v_mbcnt_lo_u32_b32 v5, -1, 0
	s_barrier
	s_waitcnt lgkmcnt(0)
                                        ; implicit-def: $sgpr15
                                        ; implicit-def: $vgpr7
                                        ; implicit-def: $vgpr8
	s_and_saveexec_b64 s[6:7], vcc
	s_xor_b64 s[6:7], exec, s[6:7]
; %bb.5:
	v_mbcnt_hi_u32_b32 v7, -1, v5
	v_and_b32_e32 v2, 64, v7
	v_add_u32_e32 v8, 64, v2
	s_mov_b32 s15, 0xff7fffff
                                        ; implicit-def: $vgpr4
                                        ; implicit-def: $vgpr5
; %bb.6:
	s_or_saveexec_b64 s[26:27], s[6:7]
	s_load_dwordx2 s[18:19], s[0:1], 0x0
	s_load_dwordx2 s[24:25], s[0:1], 0x18
	s_load_dword s11, s[0:1], 0x88
	v_mov_b32_e32 v26, s15
	s_mul_i32 s14, s12, s14
	v_lshrrev_b32_e32 v6, 4, v0
	s_xor_b64 exec, exec, s[26:27]
	s_cbranch_execz .LBB137_12
; %bb.7:
	s_load_dwordx2 s[0:1], s[0:1], 0x10
	s_ashr_i32 s15, s14, 31
	s_lshl_b64 s[6:7], s[14:15], 1
	v_mul_u32_u24_e32 v7, 40, v4
	v_bfe_u32 v26, v0, 2, 4
	s_waitcnt lgkmcnt(0)
	s_add_u32 s0, s0, s6
	ds_read2_b64 v[14:17], v7 offset1:1
	ds_read2_b64 v[22:25], v7 offset0:2 offset1:3
	ds_read_b64 v[28:29], v7 offset:32
	v_mbcnt_hi_u32_b32 v7, -1, v5
	s_addc_u32 s1, s1, s7
	v_lshlrev_b32_e32 v34, 4, v26
	v_mov_b32_e32 v35, 0
	v_lshlrev_b32_e32 v8, 2, v0
	v_and_b32_e32 v5, 64, v7
	v_lshl_add_u64 v[2:3], s[0:1], 0, v[34:35]
	v_and_b32_e32 v34, 12, v8
	v_add_u32_e32 v8, 64, v5
	v_xor_b32_e32 v5, 2, v7
	v_cmp_lt_i32_e32 vcc, v5, v8
	s_sub_i32 s15, 1, s33
	s_lshl_b64 s[6:7], s[22:23], 2
	v_cndmask_b32_e32 v5, v7, v5, vcc
	v_lshlrev_b32_e32 v30, 2, v5
	v_xor_b32_e32 v5, 1, v7
	v_cmp_lt_i32_e32 vcc, v5, v8
	s_add_u32 s6, s20, s6
	v_lshl_add_u64 v[2:3], v[2:3], 0, v[34:35]
	v_cndmask_b32_e32 v5, v7, v5, vcc
	v_cmp_eq_u32_e32 vcc, 0, v4
	v_lshlrev_b32_e32 v4, 2, v26
	v_lshl_or_b32 v4, v1, 6, v4
	v_and_b32_e32 v34, 60, v6
	s_addc_u32 s7, s21, s7
	s_mov_b32 s12, s13
	s_waitcnt lgkmcnt(2)
	v_lshlrev_b32_e32 v9, 16, v14
	v_and_b32_e32 v10, 0xffff0000, v14
	v_lshlrev_b32_e32 v11, 16, v15
	v_and_b32_e32 v12, 0xffff0000, v15
	;; [unrolled: 2-line block ×4, first 2 shown]
	s_waitcnt lgkmcnt(1)
	v_lshlrev_b32_e32 v17, 16, v22
	v_and_b32_e32 v18, 0xffff0000, v22
	v_lshlrev_b32_e32 v19, 16, v23
	v_and_b32_e32 v20, 0xffff0000, v23
	v_lshlrev_b32_e32 v21, 16, v24
	v_and_b32_e32 v22, 0xffff0000, v24
	v_lshlrev_b32_e32 v23, 16, v25
	v_and_b32_e32 v24, 0xffff0000, v25
	s_waitcnt lgkmcnt(0)
	v_lshlrev_b32_e32 v25, 16, v28
	v_and_b32_e32 v27, 0xffff0000, v28
	v_lshlrev_b32_e32 v28, 16, v29
	v_and_b32_e32 v29, 0xffff0000, v29
	v_lshlrev_b32_e32 v31, 2, v5
	v_cmp_neq_f32_e64 s[0:1], s8, 0
	v_lshl_or_b32 v32, v1, 4, v26
	v_add_u32_e32 v33, 0xb0, v4
	v_lshl_add_u64 v[4:5], s[6:7], 0, v[34:35]
	s_mov_b64 s[28:29], 0
	v_mov_b32_e32 v26, 0xff7fffff
	v_mov_b32_e32 v34, v1
	s_branch .LBB137_9
.LBB137_8:                              ;   in Loop: Header=BB137_9 Depth=1
	s_or_b64 exec, exec, s[30:31]
	v_add_u32_e32 v34, 2, v34
	v_cmp_le_i32_e64 s[6:7], s17, v34
	v_add_u32_e32 v32, 32, v32
	v_add_u32_e32 v33, 0x80, v33
	s_or_b64 s[28:29], s[6:7], s[28:29]
	v_lshl_add_u64 v[4:5], v[4:5], 0, 8
	s_andn2_b64 exec, exec, s[28:29]
	s_cbranch_execz .LBB137_11
.LBB137_9:                              ; =>This Inner Loop Header: Depth=1
	global_load_dword v35, v[4:5], off
	s_waitcnt vmcnt(0) lgkmcnt(0)
	v_mad_i64_i32 v[36:37], s[6:7], v35, s12, 0
	v_lshl_add_u64 v[36:37], v[36:37], 1, v[2:3]
	global_load_dword v35, v[36:37], off
	global_load_dword v38, v[36:37], off offset:256
	global_load_dword v39, v[36:37], off offset:512
	;; [unrolled: 1-line block ×9, first 2 shown]
	s_waitcnt vmcnt(9)
	v_lshlrev_b32_e32 v36, 16, v35
	s_waitcnt vmcnt(8)
	v_lshlrev_b32_e32 v37, 16, v38
	v_and_b32_e32 v38, 0xffff0000, v38
	v_and_b32_e32 v35, 0xffff0000, v35
	v_mul_f32_e32 v37, v11, v37
	v_mul_f32_e32 v38, v12, v38
	s_waitcnt vmcnt(7)
	v_lshlrev_b32_e32 v47, 16, v39
	v_and_b32_e32 v39, 0xffff0000, v39
	v_fmac_f32_e32 v37, v9, v36
	v_fmac_f32_e32 v38, v10, v35
	s_waitcnt vmcnt(6)
	v_lshlrev_b32_e32 v48, 16, v40
	v_and_b32_e32 v40, 0xffff0000, v40
	v_fmac_f32_e32 v37, v13, v47
	v_fmac_f32_e32 v38, v14, v39
	;; [unrolled: 5-line block ×8, first 2 shown]
	v_fmac_f32_e32 v37, v28, v54
	v_fmac_f32_e32 v38, v29, v46
	v_add_f32_e32 v35, v37, v38
	ds_bpermute_b32 v36, v30, v35
	s_waitcnt lgkmcnt(0)
	v_add_f32_e32 v35, v35, v36
	ds_bpermute_b32 v36, v31, v35
	s_and_saveexec_b64 s[30:31], vcc
	s_cbranch_execz .LBB137_8
; %bb.10:                               ;   in Loop: Header=BB137_9 Depth=1
	v_add_u32_e32 v37, s15, v32
	v_cvt_f32_i32_e32 v37, v37
	s_waitcnt lgkmcnt(0)
	v_add_f32_e32 v35, v35, v36
	v_cmp_gt_i32_e64 s[6:7], s33, v32
	v_max_f32_e32 v36, v26, v26
	v_mul_f32_e32 v37, s8, v37
	v_cndmask_b32_e64 v37, 0, v37, s[0:1]
	v_fmac_f32_e32 v37, s9, v35
	v_cndmask_b32_e64 v35, 0, v37, s[6:7]
	ds_write_b32 v33, v35
	v_max_f32_e32 v35, v36, v37
	v_cndmask_b32_e64 v26, v26, v35, s[6:7]
	s_branch .LBB137_8
.LBB137_11:
	s_or_b64 exec, exec, s[28:29]
.LBB137_12:
	s_or_b64 exec, exec, s[26:27]
	v_xor_b32_e32 v2, 32, v7
	v_cmp_lt_i32_e32 vcc, v2, v8
	v_xor_b32_e32 v5, 16, v7
	v_max_f32_e32 v4, v26, v26
	v_cndmask_b32_e32 v2, v7, v2, vcc
	v_lshlrev_b32_e32 v2, 2, v2
	ds_bpermute_b32 v3, v2, v26
	v_cmp_lt_i32_e32 vcc, v5, v8
	v_xor_b32_e32 v9, 8, v7
	v_xor_b32_e32 v11, 4, v7
	s_waitcnt lgkmcnt(0)
	v_max_f32_e32 v3, v3, v3
	v_max_f32_e32 v4, v4, v3
	v_cndmask_b32_e32 v3, v7, v5, vcc
	v_lshlrev_b32_e32 v3, 2, v3
	ds_bpermute_b32 v5, v3, v4
	v_cmp_lt_i32_e32 vcc, v9, v8
	s_waitcnt lgkmcnt(0)
	v_max_f32_e32 v5, v5, v5
	v_max_f32_e32 v4, v4, v5
	v_cndmask_b32_e32 v5, v7, v9, vcc
	v_lshlrev_b32_e32 v10, 2, v5
	ds_bpermute_b32 v5, v10, v4
	v_cmp_lt_i32_e32 vcc, v11, v8
	s_waitcnt lgkmcnt(0)
	v_max_f32_e32 v5, v5, v5
	v_max_f32_e32 v9, v4, v5
	v_cndmask_b32_e32 v4, v7, v11, vcc
	v_lshlrev_b32_e32 v12, 2, v4
	ds_bpermute_b32 v11, v12, v9
	v_and_b32_e32 v4, 63, v0
	v_cmp_eq_u32_e32 vcc, 0, v4
	v_lshlrev_b32_e32 v5, 2, v1
	s_and_saveexec_b64 s[0:1], vcc
	s_cbranch_execz .LBB137_14
; %bb.13:
	s_waitcnt lgkmcnt(0)
	v_max_f32_e32 v11, v11, v11
	v_max_f32_e32 v9, v9, v9
	v_max_f32_e32 v9, v9, v11
	ds_write_b32 v5, v9 offset:160
.LBB137_14:
	s_or_b64 exec, exec, s[0:1]
	v_cmp_gt_u32_e64 s[0:1], 2, v4
	v_mov_b32_e32 v13, 0xff7fffff
	v_lshlrev_b32_e32 v9, 2, v4
	s_waitcnt lgkmcnt(0)
	s_barrier
	s_and_saveexec_b64 s[6:7], s[0:1]
	s_cbranch_execz .LBB137_16
; %bb.15:
	ds_read_b32 v13, v9 offset:160
.LBB137_16:
	s_or_b64 exec, exec, s[6:7]
	v_xor_b32_e32 v11, 1, v7
	v_cmp_lt_i32_e64 s[6:7], v11, v8
	v_lshlrev_b32_e32 v15, 2, v7
	s_nop 0
	v_cndmask_b32_e64 v11, v7, v11, s[6:7]
	v_lshlrev_b32_e32 v11, 2, v11
	s_waitcnt lgkmcnt(0)
	ds_bpermute_b32 v14, v11, v13
	v_max_f32_e32 v13, v13, v13
	s_lshl_b32 s6, s17, 4
	s_min_i32 s12, s6, s33
	v_cmp_gt_i32_e64 s[6:7], s12, v0
	s_waitcnt lgkmcnt(0)
	v_max_f32_e32 v14, v14, v14
	v_max_f32_e32 v14, v13, v14
	v_and_b32_e32 v13, 0xffffff00, v15
	ds_bpermute_b32 v15, v13, v14
	v_mov_b32_e32 v14, 0
	s_and_saveexec_b64 s[26:27], s[6:7]
	s_cbranch_execz .LBB137_20
; %bb.17:
	v_mov_b32_e32 v14, 0xb0
	v_lshl_add_u32 v16, v0, 2, v14
	s_mov_b64 s[28:29], 0
	v_mov_b32_e32 v14, 0
	v_mov_b32_e32 v17, v0
.LBB137_18:                             ; =>This Inner Loop Header: Depth=1
	ds_read_b32 v18, v16
	v_add_u32_e32 v17, 0x80, v17
	v_cmp_le_i32_e64 s[8:9], s12, v17
	s_or_b64 s[28:29], s[8:9], s[28:29]
	s_waitcnt lgkmcnt(0)
	v_sub_f32_e32 v18, v18, v15
	v_mul_f32_e32 v18, 0x3fb8aa3b, v18
	v_exp_f32_e32 v18, v18
	ds_write_b32 v16, v18
	v_add_f32_e32 v14, v14, v18
	v_add_u32_e32 v16, 0x200, v16
	s_andn2_b64 exec, exec, s[28:29]
	s_cbranch_execnz .LBB137_18
; %bb.19:
	s_or_b64 exec, exec, s[28:29]
.LBB137_20:
	s_or_b64 exec, exec, s[26:27]
	ds_bpermute_b32 v2, v2, v14
	s_waitcnt lgkmcnt(0)
	v_add_f32_e32 v2, v14, v2
	ds_bpermute_b32 v3, v3, v2
	s_waitcnt lgkmcnt(0)
	v_add_f32_e32 v2, v2, v3
	ds_bpermute_b32 v3, v10, v2
	v_xor_b32_e32 v10, 2, v7
	v_cmp_lt_i32_e64 s[8:9], v10, v8
	s_waitcnt lgkmcnt(0)
	v_add_f32_e32 v2, v2, v3
	ds_bpermute_b32 v3, v12, v2
	v_cndmask_b32_e64 v7, v7, v10, s[8:9]
	s_waitcnt lgkmcnt(0)
	v_add_f32_e32 v2, v2, v3
	v_lshlrev_b32_e32 v3, 2, v7
	ds_bpermute_b32 v3, v3, v2
	s_waitcnt lgkmcnt(0)
	v_add_f32_e32 v2, v2, v3
	ds_bpermute_b32 v3, v11, v2
	s_waitcnt lgkmcnt(0)
	v_add_f32_e32 v2, v2, v3
	s_and_saveexec_b64 s[8:9], vcc
	s_cbranch_execz .LBB137_22
; %bb.21:
	ds_write_b32 v5, v2 offset:168
.LBB137_22:
	s_or_b64 exec, exec, s[8:9]
	s_waitcnt lgkmcnt(0)
	s_barrier
	s_and_saveexec_b64 s[8:9], s[0:1]
	s_cbranch_execz .LBB137_24
; %bb.23:
	ds_read_b32 v2, v9 offset:168
.LBB137_24:
	s_or_b64 exec, exec, s[8:9]
	s_waitcnt lgkmcnt(0)
	ds_bpermute_b32 v3, v11, v2
	s_waitcnt lgkmcnt(0)
	v_add_f32_e32 v2, v2, v3
	ds_bpermute_b32 v2, v13, v2
	s_and_saveexec_b64 s[0:1], s[6:7]
	s_cbranch_execz .LBB137_37
; %bb.25:
	s_waitcnt lgkmcnt(0)
	v_add_f32_e32 v2, 0x358637bd, v2
	v_div_scale_f32 v3, s[6:7], v2, v2, 1.0
	v_rcp_f32_e32 v5, v3
	v_div_scale_f32 v7, vcc, 1.0, v2, 1.0
	s_movk_i32 s6, 0x7f
	v_fma_f32 v8, -v3, v5, 1.0
	v_fmac_f32_e32 v5, v8, v5
	v_mul_f32_e32 v8, v7, v5
	v_fma_f32 v9, -v3, v8, v7
	v_fmac_f32_e32 v8, v9, v5
	v_fma_f32 v3, -v3, v8, v7
	v_div_fmas_f32 v3, v3, v5, v8
	v_xad_u32 v5, v0, -1, s12
	v_div_fixup_f32 v2, v3, v2, 1.0
	v_cmp_lt_u32_e32 vcc, s6, v5
	s_mov_b64 s[8:9], -1
	v_mov_b32_e32 v3, v0
	s_and_saveexec_b64 s[6:7], vcc
	s_cbranch_execz .LBB137_34
; %bb.26:
	v_lshrrev_b32_e32 v5, 7, v5
	v_add_u32_e32 v8, -1, v5
	v_lshrrev_b32_e32 v7, 1, v8
	v_mov_b32_e32 v3, v2
	v_add_u32_e32 v7, 1, v7
	v_cmp_lt_u32_e32 vcc, 13, v8
	v_mov_b32_e32 v10, 0
	s_and_saveexec_b64 s[8:9], vcc
	s_cbranch_execz .LBB137_30
; %bb.27:
	v_mov_b32_e32 v9, 0xb0
	v_and_b32_e32 v8, -8, v7
	v_lshl_add_u32 v9, v0, 2, v9
	s_mov_b32 s15, 0
	s_mov_b64 s[26:27], 0
.LBB137_28:                             ; =>This Inner Loop Header: Depth=1
	ds_read2st64_b32 v[12:13], v9 offset1:2
	ds_read2st64_b32 v[14:15], v9 offset0:4 offset1:6
	ds_read2st64_b32 v[16:17], v9 offset0:8 offset1:10
	ds_read2st64_b32 v[18:19], v9 offset0:12 offset1:14
	v_add_u32_e32 v8, -8, v8
	s_waitcnt lgkmcnt(3)
	v_pk_mul_f32 v[12:13], v[2:3], v[12:13]
	s_waitcnt lgkmcnt(2)
	v_pk_mul_f32 v[14:15], v[2:3], v[14:15]
	ds_write2st64_b32 v9, v12, v13 offset1:2
	ds_write2st64_b32 v9, v14, v15 offset0:4 offset1:6
	ds_read2st64_b32 v[14:15], v9 offset0:16 offset1:18
	s_waitcnt lgkmcnt(4)
	v_pk_mul_f32 v[12:13], v[2:3], v[16:17]
	ds_write2st64_b32 v9, v12, v13 offset0:8 offset1:10
	s_waitcnt lgkmcnt(4)
	v_pk_mul_f32 v[12:13], v[2:3], v[18:19]
	ds_write2st64_b32 v9, v12, v13 offset0:12 offset1:14
	ds_read2st64_b32 v[12:13], v9 offset0:20 offset1:22
	s_waitcnt lgkmcnt(3)
	v_pk_mul_f32 v[14:15], v[2:3], v[14:15]
	ds_read2st64_b32 v[16:17], v9 offset0:24 offset1:26
	ds_write2st64_b32 v9, v14, v15 offset0:16 offset1:18
	ds_read2st64_b32 v[14:15], v9 offset0:28 offset1:30
	s_waitcnt lgkmcnt(3)
	v_pk_mul_f32 v[12:13], v[2:3], v[12:13]
	ds_write2st64_b32 v9, v12, v13 offset0:20 offset1:22
	s_waitcnt lgkmcnt(3)
	v_pk_mul_f32 v[12:13], v[2:3], v[16:17]
	ds_write2st64_b32 v9, v12, v13 offset0:24 offset1:26
	s_waitcnt lgkmcnt(2)
	v_pk_mul_f32 v[12:13], v[2:3], v[14:15]
	s_add_i32 s15, s15, 16
	v_cmp_eq_u32_e32 vcc, 0, v8
	ds_write2st64_b32 v9, v12, v13 offset0:28 offset1:30
	v_add_u32_e32 v9, 0x2000, v9
	s_or_b64 s[26:27], vcc, s[26:27]
	v_mov_b32_e32 v10, s15
	s_andn2_b64 exec, exec, s[26:27]
	s_cbranch_execnz .LBB137_28
; %bb.29:
	s_or_b64 exec, exec, s[26:27]
.LBB137_30:
	s_or_b64 exec, exec, s[8:9]
	v_and_b32_e32 v7, 7, v7
	v_cmp_ne_u32_e32 vcc, 0, v7
	s_and_saveexec_b64 s[8:9], vcc
	s_cbranch_execz .LBB137_33
; %bb.31:
	v_lshlrev_b32_e32 v8, 9, v10
	v_lshlrev_b32_e32 v9, 2, v0
	s_movk_i32 s15, 0xb0
	v_add3_u32 v8, v8, v9, s15
	s_mov_b64 s[26:27], 0
.LBB137_32:                             ; =>This Inner Loop Header: Depth=1
	ds_read2st64_b32 v[12:13], v8 offset1:2
	v_add_u32_e32 v7, -1, v7
	v_cmp_eq_u32_e32 vcc, 0, v7
	s_or_b64 s[26:27], vcc, s[26:27]
	s_waitcnt lgkmcnt(0)
	v_pk_mul_f32 v[12:13], v[2:3], v[12:13]
	ds_write2st64_b32 v8, v12, v13 offset1:2
	v_add_u32_e32 v8, 0x400, v8
	s_andn2_b64 exec, exec, s[26:27]
	s_cbranch_execnz .LBB137_32
.LBB137_33:
	s_or_b64 exec, exec, s[8:9]
	v_add_u32_e32 v5, 1, v5
	v_and_b32_e32 v7, 0x3fffffe, v5
	v_cmp_ne_u32_e32 vcc, v5, v7
	v_lshl_add_u32 v3, v7, 7, v0
	s_orn2_b64 s[8:9], vcc, exec
.LBB137_34:
	s_or_b64 exec, exec, s[6:7]
	s_and_b64 exec, exec, s[8:9]
	s_cbranch_execz .LBB137_37
; %bb.35:
	v_mov_b32_e32 v5, 0xb0
	v_lshl_add_u32 v5, v3, 2, v5
	s_mov_b64 s[6:7], 0
.LBB137_36:                             ; =>This Inner Loop Header: Depth=1
	ds_read_b32 v7, v5
	v_add_u32_e32 v3, 0x80, v3
	v_cmp_le_i32_e32 vcc, s12, v3
	s_or_b64 s[6:7], vcc, s[6:7]
	s_waitcnt lgkmcnt(0)
	v_mul_f32_e32 v7, v2, v7
	ds_write_b32 v5, v7
	v_add_u32_e32 v5, 0x200, v5
	s_andn2_b64 exec, exec, s[6:7]
	s_cbranch_execnz .LBB137_36
.LBB137_37:
	s_or_b64 exec, exec, s[0:1]
	v_mov_b32_e32 v10, 0
	v_lshrrev_b32_e32 v21, 1, v4
	v_and_b32_e32 v20, 1, v0
	v_mov_b32_e32 v15, v10
	v_mov_b32_e32 v14, v10
	s_waitcnt lgkmcnt(0)
	s_barrier
	s_and_saveexec_b64 s[6:7], s[2:3]
	s_cbranch_execz .LBB137_177
; %bb.38:
	s_ashr_i32 s15, s14, 31
	s_lshl_b64 s[0:1], s[14:15], 1
	v_lshlrev_b32_e32 v2, 3, v0
	s_add_u32 s8, s24, s0
	v_or_b32_e32 v4, 64, v21
	s_movk_i32 s0, 0x50
	v_and_b32_e32 v3, 8, v2
	s_addc_u32 s9, s25, s1
	s_add_i32 s24, s17, -1
	v_cmp_gt_u32_e32 vcc, s0, v4
	v_lshlrev_b32_e32 v5, 4, v1
	s_lshl_b64 s[0:1], s[22:23], 2
	v_lshl_or_b32 v2, v21, 4, v3
	v_lshl_or_b32 v4, v4, 4, v3
	v_or3_b32 v22, v5, v3, 7
	v_lshlrev_b32_e32 v3, 5, v20
	s_add_u32 s0, s20, s0
	v_mov_b32_e32 v13, 0
	v_lshl_or_b32 v3, v1, 6, v3
	v_and_b32_e32 v12, 60, v6
	s_addc_u32 s1, s21, s1
	s_mov_b32 s26, s13
	v_add_u32_e32 v23, 0xb0, v3
	v_lshl_add_u64 v[16:17], s[0:1], 0, v[12:13]
	s_mov_b64 s[12:13], 0
	s_mov_b32 s20, 0x7f800000
	s_movk_i32 s21, 0x7fff
	v_lshlrev_b32_e32 v12, 1, v2
	v_lshlrev_b32_e32 v18, 1, v4
	v_mov_b32_e32 v14, v13
	v_mov_b32_e32 v15, v13
	;; [unrolled: 1-line block ×3, first 2 shown]
	s_branch .LBB137_41
.LBB137_39:                             ;   in Loop: Header=BB137_41 Depth=1
	s_or_b64 exec, exec, s[14:15]
	v_and_b32_e32 v24, 0xffff0000, v8
	v_and_b32_e32 v9, 0xffff0000, v9
	v_and_b32_e32 v8, 0xffff0000, v7
	v_and_b32_e32 v3, 0xffff0000, v3
	v_and_b32_e32 v2, 0xffff0000, v2
	v_and_b32_e32 v25, 0xffff0000, v19
	v_and_b32_e32 v5, 0xffff0000, v5
	v_and_b32_e32 v4, 0xffff0000, v4
	v_pk_add_f32 v[2:3], v[2:3], v[8:9]
	v_pk_add_f32 v[4:5], v[4:5], v[24:25]
	v_add_f32_e32 v2, v2, v3
	v_add_f32_e32 v2, v2, v4
	;; [unrolled: 1-line block ×4, first 2 shown]
.LBB137_40:                             ;   in Loop: Header=BB137_41 Depth=1
	s_or_b64 exec, exec, s[2:3]
	v_add_u32_e32 v1, 2, v1
	v_cmp_le_i32_e64 s[0:1], s17, v1
	v_add_u32_e32 v22, 32, v22
	v_add_u32_e32 v23, 0x80, v23
	s_or_b64 s[12:13], s[0:1], s[12:13]
	v_lshl_add_u64 v[16:17], v[16:17], 0, 8
	s_andn2_b64 exec, exec, s[12:13]
	s_cbranch_execz .LBB137_176
.LBB137_41:                             ; =>This Inner Loop Header: Depth=1
	global_load_dword v24, v[16:17], off
	ds_read2_b64 v[6:9], v23 offset1:1
	ds_read2_b64 v[2:5], v23 offset0:2 offset1:3
	s_waitcnt lgkmcnt(1)
	v_and_b32_e32 v19, 0x7f800000, v6
	v_cmp_ne_u32_e64 s[0:1], s20, v19
                                        ; implicit-def: $vgpr19
	s_and_saveexec_b64 s[2:3], s[0:1]
	s_xor_b64 s[0:1], exec, s[2:3]
; %bb.42:                               ;   in Loop: Header=BB137_41 Depth=1
	v_bfe_u32 v19, v6, 16, 1
	v_add3_u32 v19, v6, v19, s21
; %bb.43:                               ;   in Loop: Header=BB137_41 Depth=1
	s_andn2_saveexec_b64 s[2:3], s[0:1]
; %bb.44:                               ;   in Loop: Header=BB137_41 Depth=1
	v_or_b32_e32 v19, 0x10000, v6
	v_cmp_eq_u32_sdwa s[0:1], v6, v13 src0_sel:WORD_0 src1_sel:DWORD
	s_nop 1
	v_cndmask_b32_e64 v19, v19, v6, s[0:1]
; %bb.45:                               ;   in Loop: Header=BB137_41 Depth=1
	s_or_b64 exec, exec, s[2:3]
	v_and_b32_e32 v6, 0x7f800000, v7
	v_cmp_ne_u32_e64 s[0:1], s20, v6
                                        ; implicit-def: $vgpr26
	s_and_saveexec_b64 s[2:3], s[0:1]
	s_xor_b64 s[0:1], exec, s[2:3]
; %bb.46:                               ;   in Loop: Header=BB137_41 Depth=1
	v_bfe_u32 v6, v7, 16, 1
	v_add3_u32 v26, v7, v6, s21
; %bb.47:                               ;   in Loop: Header=BB137_41 Depth=1
	s_andn2_saveexec_b64 s[2:3], s[0:1]
; %bb.48:                               ;   in Loop: Header=BB137_41 Depth=1
	v_or_b32_e32 v6, 0x10000, v7
	v_cmp_eq_u32_sdwa s[0:1], v7, v13 src0_sel:WORD_0 src1_sel:DWORD
	s_nop 1
	v_cndmask_b32_e64 v26, v6, v7, s[0:1]
; %bb.49:                               ;   in Loop: Header=BB137_41 Depth=1
	s_or_b64 exec, exec, s[2:3]
	v_and_b32_e32 v6, 0x7f800000, v8
	v_cmp_ne_u32_e64 s[0:1], s20, v6
                                        ; implicit-def: $vgpr27
	s_and_saveexec_b64 s[2:3], s[0:1]
	s_xor_b64 s[0:1], exec, s[2:3]
; %bb.50:                               ;   in Loop: Header=BB137_41 Depth=1
	v_bfe_u32 v6, v8, 16, 1
	v_add3_u32 v27, v8, v6, s21
; %bb.51:                               ;   in Loop: Header=BB137_41 Depth=1
	s_andn2_saveexec_b64 s[2:3], s[0:1]
; %bb.52:                               ;   in Loop: Header=BB137_41 Depth=1
	v_or_b32_e32 v6, 0x10000, v8
	v_cmp_eq_u32_sdwa s[0:1], v8, v13 src0_sel:WORD_0 src1_sel:DWORD
	s_nop 1
	v_cndmask_b32_e64 v27, v6, v8, s[0:1]
; %bb.53:                               ;   in Loop: Header=BB137_41 Depth=1
	s_or_b64 exec, exec, s[2:3]
	v_and_b32_e32 v6, 0x7f800000, v9
	v_cmp_ne_u32_e64 s[0:1], s20, v6
                                        ; implicit-def: $vgpr28
	s_and_saveexec_b64 s[2:3], s[0:1]
	s_xor_b64 s[0:1], exec, s[2:3]
; %bb.54:                               ;   in Loop: Header=BB137_41 Depth=1
	v_bfe_u32 v6, v9, 16, 1
	v_add3_u32 v28, v9, v6, s21
                                        ; implicit-def: $vgpr6_vgpr7_vgpr8_vgpr9
; %bb.55:                               ;   in Loop: Header=BB137_41 Depth=1
	s_andn2_saveexec_b64 s[2:3], s[0:1]
; %bb.56:                               ;   in Loop: Header=BB137_41 Depth=1
	v_or_b32_e32 v6, 0x10000, v9
	v_cmp_eq_u32_sdwa s[0:1], v9, v13 src0_sel:WORD_0 src1_sel:DWORD
	s_nop 1
	v_cndmask_b32_e64 v28, v6, v9, s[0:1]
; %bb.57:                               ;   in Loop: Header=BB137_41 Depth=1
	s_or_b64 exec, exec, s[2:3]
	s_waitcnt lgkmcnt(0)
	v_and_b32_e32 v6, 0x7f800000, v2
	v_cmp_ne_u32_e64 s[0:1], s20, v6
                                        ; implicit-def: $vgpr29
	s_and_saveexec_b64 s[2:3], s[0:1]
	s_xor_b64 s[0:1], exec, s[2:3]
; %bb.58:                               ;   in Loop: Header=BB137_41 Depth=1
	v_bfe_u32 v6, v2, 16, 1
	v_add3_u32 v29, v2, v6, s21
; %bb.59:                               ;   in Loop: Header=BB137_41 Depth=1
	s_andn2_saveexec_b64 s[2:3], s[0:1]
; %bb.60:                               ;   in Loop: Header=BB137_41 Depth=1
	v_or_b32_e32 v6, 0x10000, v2
	v_cmp_eq_u32_sdwa s[0:1], v2, v13 src0_sel:WORD_0 src1_sel:DWORD
	s_nop 1
	v_cndmask_b32_e64 v29, v6, v2, s[0:1]
; %bb.61:                               ;   in Loop: Header=BB137_41 Depth=1
	s_or_b64 exec, exec, s[2:3]
	v_and_b32_e32 v2, 0x7f800000, v3
	v_cmp_ne_u32_e64 s[0:1], s20, v2
                                        ; implicit-def: $vgpr30
	s_and_saveexec_b64 s[2:3], s[0:1]
	s_xor_b64 s[0:1], exec, s[2:3]
; %bb.62:                               ;   in Loop: Header=BB137_41 Depth=1
	v_bfe_u32 v2, v3, 16, 1
	v_add3_u32 v30, v3, v2, s21
; %bb.63:                               ;   in Loop: Header=BB137_41 Depth=1
	s_andn2_saveexec_b64 s[2:3], s[0:1]
; %bb.64:                               ;   in Loop: Header=BB137_41 Depth=1
	v_or_b32_e32 v2, 0x10000, v3
	v_cmp_eq_u32_sdwa s[0:1], v3, v13 src0_sel:WORD_0 src1_sel:DWORD
	s_nop 1
	v_cndmask_b32_e64 v30, v2, v3, s[0:1]
; %bb.65:                               ;   in Loop: Header=BB137_41 Depth=1
	s_or_b64 exec, exec, s[2:3]
	v_and_b32_e32 v2, 0x7f800000, v4
	v_cmp_ne_u32_e64 s[0:1], s20, v2
                                        ; implicit-def: $vgpr31
	s_and_saveexec_b64 s[2:3], s[0:1]
	s_xor_b64 s[0:1], exec, s[2:3]
; %bb.66:                               ;   in Loop: Header=BB137_41 Depth=1
	v_bfe_u32 v2, v4, 16, 1
	v_add3_u32 v31, v4, v2, s21
; %bb.67:                               ;   in Loop: Header=BB137_41 Depth=1
	s_andn2_saveexec_b64 s[2:3], s[0:1]
; %bb.68:                               ;   in Loop: Header=BB137_41 Depth=1
	v_or_b32_e32 v2, 0x10000, v4
	v_cmp_eq_u32_sdwa s[0:1], v4, v13 src0_sel:WORD_0 src1_sel:DWORD
	s_nop 1
	v_cndmask_b32_e64 v31, v2, v4, s[0:1]
; %bb.69:                               ;   in Loop: Header=BB137_41 Depth=1
	s_or_b64 exec, exec, s[2:3]
	v_and_b32_e32 v2, 0x7f800000, v5
	v_cmp_ne_u32_e64 s[0:1], s20, v2
                                        ; implicit-def: $vgpr32
	s_and_saveexec_b64 s[2:3], s[0:1]
	s_xor_b64 s[0:1], exec, s[2:3]
; %bb.70:                               ;   in Loop: Header=BB137_41 Depth=1
	v_bfe_u32 v2, v5, 16, 1
	v_add3_u32 v32, v5, v2, s21
                                        ; implicit-def: $vgpr2_vgpr3_vgpr4_vgpr5
; %bb.71:                               ;   in Loop: Header=BB137_41 Depth=1
	s_andn2_saveexec_b64 s[2:3], s[0:1]
; %bb.72:                               ;   in Loop: Header=BB137_41 Depth=1
	v_or_b32_e32 v2, 0x10000, v5
	v_cmp_eq_u32_sdwa s[0:1], v5, v13 src0_sel:WORD_0 src1_sel:DWORD
	s_nop 1
	v_cndmask_b32_e64 v32, v2, v5, s[0:1]
; %bb.73:                               ;   in Loop: Header=BB137_41 Depth=1
	s_or_b64 exec, exec, s[2:3]
	s_waitcnt vmcnt(0)
	v_mad_i64_i32 v[2:3], s[0:1], v24, s26, 0
	v_lshl_add_u64 v[6:7], v[2:3], 1, s[8:9]
	v_lshl_add_u64 v[8:9], v[6:7], 0, v[12:13]
	global_load_dwordx4 v[2:5], v[8:9], off
	v_add_u32_e32 v24, -7, v22
	v_cmp_eq_u32_e64 s[0:1], s24, v1
	s_waitcnt vmcnt(0)
	v_lshrrev_b32_e32 v33, 16, v2
	v_lshrrev_b32_e32 v35, 16, v3
	;; [unrolled: 1-line block ×4, first 2 shown]
	s_and_saveexec_b64 s[14:15], s[0:1]
	s_cbranch_execz .LBB137_75
; %bb.74:                               ;   in Loop: Header=BB137_41 Depth=1
	v_cmp_gt_i32_e64 s[2:3], s33, v24
	v_add_u32_e32 v25, -6, v22
	s_nop 0
	v_cndmask_b32_e64 v2, 0, v2, s[2:3]
	v_cmp_gt_i32_e64 s[2:3], s33, v25
	v_add_u32_e32 v25, -5, v22
	s_nop 0
	v_cndmask_b32_e64 v33, 0, v33, s[2:3]
	;; [unrolled: 4-line block ×6, first 2 shown]
	v_cmp_gt_i32_e64 s[2:3], s33, v25
	s_nop 1
	v_cndmask_b32_e64 v5, 0, v5, s[2:3]
	v_cmp_gt_i32_e64 s[2:3], s33, v22
	s_nop 1
	v_cndmask_b32_e64 v39, 0, v39, s[2:3]
.LBB137_75:                             ;   in Loop: Header=BB137_41 Depth=1
	s_or_b64 exec, exec, s[14:15]
	v_and_b32_e32 v25, 0xffff0000, v19
	v_lshlrev_b32_e32 v2, 16, v2
	v_mul_f32_e32 v2, v25, v2
	v_and_b32_e32 v19, 0x7f800000, v2
	v_cmp_ne_u32_e64 s[2:3], s20, v19
                                        ; implicit-def: $vgpr19
	s_and_saveexec_b64 s[14:15], s[2:3]
	s_xor_b64 s[2:3], exec, s[14:15]
; %bb.76:                               ;   in Loop: Header=BB137_41 Depth=1
	v_bfe_u32 v19, v2, 16, 1
	v_add3_u32 v19, v2, v19, s21
                                        ; implicit-def: $vgpr2
; %bb.77:                               ;   in Loop: Header=BB137_41 Depth=1
	s_andn2_saveexec_b64 s[14:15], s[2:3]
; %bb.78:                               ;   in Loop: Header=BB137_41 Depth=1
	v_or_b32_e32 v19, 0x10000, v2
	v_cmp_eq_u32_sdwa s[2:3], v2, v13 src0_sel:WORD_0 src1_sel:DWORD
	s_nop 1
	v_cndmask_b32_e64 v19, v19, v2, s[2:3]
; %bb.79:                               ;   in Loop: Header=BB137_41 Depth=1
	s_or_b64 exec, exec, s[14:15]
	v_and_b32_e32 v26, 0xffff0000, v26
	v_lshlrev_b32_e32 v2, 16, v33
	v_mul_f32_e32 v2, v26, v2
	v_and_b32_e32 v33, 0x7f800000, v2
	v_cmp_ne_u32_e64 s[2:3], s20, v33
                                        ; implicit-def: $vgpr33
	s_and_saveexec_b64 s[14:15], s[2:3]
	s_xor_b64 s[2:3], exec, s[14:15]
; %bb.80:                               ;   in Loop: Header=BB137_41 Depth=1
	v_bfe_u32 v33, v2, 16, 1
	v_add3_u32 v33, v2, v33, s21
                                        ; implicit-def: $vgpr2
; %bb.81:                               ;   in Loop: Header=BB137_41 Depth=1
	s_andn2_saveexec_b64 s[14:15], s[2:3]
; %bb.82:                               ;   in Loop: Header=BB137_41 Depth=1
	v_or_b32_e32 v33, 0x10000, v2
	v_cmp_eq_u32_sdwa s[2:3], v2, v13 src0_sel:WORD_0 src1_sel:DWORD
	s_nop 1
	v_cndmask_b32_e64 v33, v33, v2, s[2:3]
; %bb.83:                               ;   in Loop: Header=BB137_41 Depth=1
	s_or_b64 exec, exec, s[14:15]
	v_and_b32_e32 v27, 0xffff0000, v27
	v_lshlrev_b32_e32 v2, 16, v3
	v_mul_f32_e32 v2, v27, v2
	v_and_b32_e32 v3, 0x7f800000, v2
	v_cmp_ne_u32_e64 s[2:3], s20, v3
                                        ; implicit-def: $vgpr34
	s_and_saveexec_b64 s[14:15], s[2:3]
	s_xor_b64 s[2:3], exec, s[14:15]
; %bb.84:                               ;   in Loop: Header=BB137_41 Depth=1
	v_bfe_u32 v3, v2, 16, 1
	v_add3_u32 v34, v2, v3, s21
                                        ; implicit-def: $vgpr2
; %bb.85:                               ;   in Loop: Header=BB137_41 Depth=1
	s_andn2_saveexec_b64 s[14:15], s[2:3]
; %bb.86:                               ;   in Loop: Header=BB137_41 Depth=1
	v_or_b32_e32 v3, 0x10000, v2
	v_cmp_eq_u32_sdwa s[2:3], v2, v13 src0_sel:WORD_0 src1_sel:DWORD
	s_nop 1
	v_cndmask_b32_e64 v34, v3, v2, s[2:3]
; %bb.87:                               ;   in Loop: Header=BB137_41 Depth=1
	s_or_b64 exec, exec, s[14:15]
	v_and_b32_e32 v28, 0xffff0000, v28
	v_lshlrev_b32_e32 v2, 16, v35
	v_mul_f32_e32 v2, v28, v2
	v_and_b32_e32 v3, 0x7f800000, v2
	v_cmp_ne_u32_e64 s[2:3], s20, v3
                                        ; implicit-def: $vgpr35
	s_and_saveexec_b64 s[14:15], s[2:3]
	s_xor_b64 s[2:3], exec, s[14:15]
; %bb.88:                               ;   in Loop: Header=BB137_41 Depth=1
	v_bfe_u32 v3, v2, 16, 1
	v_add3_u32 v35, v2, v3, s21
                                        ; implicit-def: $vgpr2
; %bb.89:                               ;   in Loop: Header=BB137_41 Depth=1
	s_andn2_saveexec_b64 s[14:15], s[2:3]
; %bb.90:                               ;   in Loop: Header=BB137_41 Depth=1
	v_or_b32_e32 v3, 0x10000, v2
	v_cmp_eq_u32_sdwa s[2:3], v2, v13 src0_sel:WORD_0 src1_sel:DWORD
	s_nop 1
	v_cndmask_b32_e64 v35, v3, v2, s[2:3]
; %bb.91:                               ;   in Loop: Header=BB137_41 Depth=1
	s_or_b64 exec, exec, s[14:15]
	v_and_b32_e32 v29, 0xffff0000, v29
	v_lshlrev_b32_e32 v2, 16, v4
	v_mul_f32_e32 v2, v29, v2
	v_and_b32_e32 v3, 0x7f800000, v2
	v_cmp_ne_u32_e64 s[2:3], s20, v3
                                        ; implicit-def: $vgpr36
	s_and_saveexec_b64 s[14:15], s[2:3]
	s_xor_b64 s[2:3], exec, s[14:15]
; %bb.92:                               ;   in Loop: Header=BB137_41 Depth=1
	v_bfe_u32 v3, v2, 16, 1
	v_add3_u32 v36, v2, v3, s21
                                        ; implicit-def: $vgpr2
; %bb.93:                               ;   in Loop: Header=BB137_41 Depth=1
	s_andn2_saveexec_b64 s[14:15], s[2:3]
; %bb.94:                               ;   in Loop: Header=BB137_41 Depth=1
	v_or_b32_e32 v3, 0x10000, v2
	v_cmp_eq_u32_sdwa s[2:3], v2, v13 src0_sel:WORD_0 src1_sel:DWORD
	s_nop 1
	v_cndmask_b32_e64 v36, v3, v2, s[2:3]
; %bb.95:                               ;   in Loop: Header=BB137_41 Depth=1
	s_or_b64 exec, exec, s[14:15]
	v_and_b32_e32 v30, 0xffff0000, v30
	v_lshlrev_b32_e32 v2, 16, v37
	v_mul_f32_e32 v2, v30, v2
	v_and_b32_e32 v3, 0x7f800000, v2
	v_cmp_ne_u32_e64 s[2:3], s20, v3
                                        ; implicit-def: $vgpr37
	s_and_saveexec_b64 s[14:15], s[2:3]
	s_xor_b64 s[2:3], exec, s[14:15]
; %bb.96:                               ;   in Loop: Header=BB137_41 Depth=1
	v_bfe_u32 v3, v2, 16, 1
	v_add3_u32 v37, v2, v3, s21
                                        ; implicit-def: $vgpr2
; %bb.97:                               ;   in Loop: Header=BB137_41 Depth=1
	s_andn2_saveexec_b64 s[14:15], s[2:3]
; %bb.98:                               ;   in Loop: Header=BB137_41 Depth=1
	v_or_b32_e32 v3, 0x10000, v2
	v_cmp_eq_u32_sdwa s[2:3], v2, v13 src0_sel:WORD_0 src1_sel:DWORD
	s_nop 1
	v_cndmask_b32_e64 v37, v3, v2, s[2:3]
; %bb.99:                               ;   in Loop: Header=BB137_41 Depth=1
	s_or_b64 exec, exec, s[14:15]
	v_and_b32_e32 v31, 0xffff0000, v31
	v_lshlrev_b32_e32 v2, 16, v5
	v_mul_f32_e32 v2, v31, v2
	v_and_b32_e32 v3, 0x7f800000, v2
	v_cmp_ne_u32_e64 s[2:3], s20, v3
                                        ; implicit-def: $vgpr38
	s_and_saveexec_b64 s[14:15], s[2:3]
	s_xor_b64 s[2:3], exec, s[14:15]
; %bb.100:                              ;   in Loop: Header=BB137_41 Depth=1
	v_bfe_u32 v3, v2, 16, 1
	v_add3_u32 v38, v2, v3, s21
                                        ; implicit-def: $vgpr2
; %bb.101:                              ;   in Loop: Header=BB137_41 Depth=1
	s_andn2_saveexec_b64 s[14:15], s[2:3]
; %bb.102:                              ;   in Loop: Header=BB137_41 Depth=1
	v_or_b32_e32 v3, 0x10000, v2
	v_cmp_eq_u32_sdwa s[2:3], v2, v13 src0_sel:WORD_0 src1_sel:DWORD
	s_nop 1
	v_cndmask_b32_e64 v38, v3, v2, s[2:3]
; %bb.103:                              ;   in Loop: Header=BB137_41 Depth=1
	s_or_b64 exec, exec, s[14:15]
	v_and_b32_e32 v32, 0xffff0000, v32
	v_lshlrev_b32_e32 v2, 16, v39
	v_mul_f32_e32 v2, v32, v2
	v_and_b32_e32 v3, 0x7f800000, v2
	v_cmp_ne_u32_e64 s[2:3], s20, v3
                                        ; implicit-def: $vgpr39
	s_and_saveexec_b64 s[14:15], s[2:3]
	s_xor_b64 s[2:3], exec, s[14:15]
; %bb.104:                              ;   in Loop: Header=BB137_41 Depth=1
	v_bfe_u32 v3, v2, 16, 1
	v_add3_u32 v39, v2, v3, s21
                                        ; implicit-def: $vgpr2
; %bb.105:                              ;   in Loop: Header=BB137_41 Depth=1
	s_andn2_saveexec_b64 s[14:15], s[2:3]
; %bb.106:                              ;   in Loop: Header=BB137_41 Depth=1
	v_or_b32_e32 v3, 0x10000, v2
	v_cmp_eq_u32_sdwa s[2:3], v2, v13 src0_sel:WORD_0 src1_sel:DWORD
	s_nop 1
	v_cndmask_b32_e64 v39, v3, v2, s[2:3]
; %bb.107:                              ;   in Loop: Header=BB137_41 Depth=1
	s_or_b64 exec, exec, s[14:15]
	global_load_dwordx4 v[2:5], v[8:9], off offset:1024
	s_waitcnt vmcnt(0)
	v_lshrrev_b32_e32 v9, 16, v2
	v_lshrrev_b32_e32 v41, 16, v3
	;; [unrolled: 1-line block ×4, first 2 shown]
	s_and_saveexec_b64 s[14:15], s[0:1]
	s_cbranch_execz .LBB137_109
; %bb.108:                              ;   in Loop: Header=BB137_41 Depth=1
	v_cmp_gt_i32_e64 s[2:3], s33, v24
	v_add_u32_e32 v42, -6, v22
	s_nop 0
	v_cndmask_b32_e64 v2, 0, v2, s[2:3]
	v_cmp_gt_i32_e64 s[2:3], s33, v42
	v_add_u32_e32 v42, -5, v22
	s_nop 0
	v_cndmask_b32_e64 v9, 0, v9, s[2:3]
	;; [unrolled: 4-line block ×6, first 2 shown]
	v_cmp_gt_i32_e64 s[2:3], s33, v42
	s_nop 1
	v_cndmask_b32_e64 v5, 0, v5, s[2:3]
	v_cmp_gt_i32_e64 s[2:3], s33, v22
	s_nop 1
	v_cndmask_b32_e64 v8, 0, v8, s[2:3]
.LBB137_109:                            ;   in Loop: Header=BB137_41 Depth=1
	s_or_b64 exec, exec, s[14:15]
	v_lshlrev_b32_e32 v2, 16, v2
	v_mul_f32_e32 v42, v25, v2
	v_and_b32_e32 v2, 0x7f800000, v42
	v_cmp_ne_u32_e64 s[2:3], s20, v2
                                        ; implicit-def: $vgpr2
	s_and_saveexec_b64 s[14:15], s[2:3]
	s_xor_b64 s[2:3], exec, s[14:15]
; %bb.110:                              ;   in Loop: Header=BB137_41 Depth=1
	v_bfe_u32 v2, v42, 16, 1
	v_add3_u32 v2, v42, v2, s21
                                        ; implicit-def: $vgpr42
; %bb.111:                              ;   in Loop: Header=BB137_41 Depth=1
	s_andn2_saveexec_b64 s[14:15], s[2:3]
; %bb.112:                              ;   in Loop: Header=BB137_41 Depth=1
	v_or_b32_e32 v2, 0x10000, v42
	v_cmp_eq_u32_sdwa s[2:3], v42, v13 src0_sel:WORD_0 src1_sel:DWORD
	s_nop 1
	v_cndmask_b32_e64 v2, v2, v42, s[2:3]
; %bb.113:                              ;   in Loop: Header=BB137_41 Depth=1
	s_or_b64 exec, exec, s[14:15]
	v_lshlrev_b32_e32 v9, 16, v9
	v_mul_f32_e32 v42, v26, v9
	v_and_b32_e32 v9, 0x7f800000, v42
	v_cmp_ne_u32_e64 s[2:3], s20, v9
                                        ; implicit-def: $vgpr9
	s_and_saveexec_b64 s[14:15], s[2:3]
	s_xor_b64 s[2:3], exec, s[14:15]
; %bb.114:                              ;   in Loop: Header=BB137_41 Depth=1
	v_bfe_u32 v9, v42, 16, 1
	v_add3_u32 v9, v42, v9, s21
                                        ; implicit-def: $vgpr42
; %bb.115:                              ;   in Loop: Header=BB137_41 Depth=1
	s_andn2_saveexec_b64 s[14:15], s[2:3]
; %bb.116:                              ;   in Loop: Header=BB137_41 Depth=1
	v_or_b32_e32 v9, 0x10000, v42
	v_cmp_eq_u32_sdwa s[2:3], v42, v13 src0_sel:WORD_0 src1_sel:DWORD
	s_nop 1
	v_cndmask_b32_e64 v9, v9, v42, s[2:3]
; %bb.117:                              ;   in Loop: Header=BB137_41 Depth=1
	s_or_b64 exec, exec, s[14:15]
	v_lshlrev_b32_e32 v3, 16, v3
	v_mul_f32_e32 v42, v27, v3
	v_and_b32_e32 v3, 0x7f800000, v42
	v_cmp_ne_u32_e64 s[2:3], s20, v3
                                        ; implicit-def: $vgpr3
	s_and_saveexec_b64 s[14:15], s[2:3]
	s_xor_b64 s[2:3], exec, s[14:15]
; %bb.118:                              ;   in Loop: Header=BB137_41 Depth=1
	v_bfe_u32 v3, v42, 16, 1
	v_add3_u32 v3, v42, v3, s21
                                        ; implicit-def: $vgpr42
; %bb.119:                              ;   in Loop: Header=BB137_41 Depth=1
	s_andn2_saveexec_b64 s[14:15], s[2:3]
; %bb.120:                              ;   in Loop: Header=BB137_41 Depth=1
	v_or_b32_e32 v3, 0x10000, v42
	v_cmp_eq_u32_sdwa s[2:3], v42, v13 src0_sel:WORD_0 src1_sel:DWORD
	s_nop 1
	v_cndmask_b32_e64 v3, v3, v42, s[2:3]
; %bb.121:                              ;   in Loop: Header=BB137_41 Depth=1
	s_or_b64 exec, exec, s[14:15]
	v_lshlrev_b32_e32 v41, 16, v41
	v_mul_f32_e32 v42, v28, v41
	v_and_b32_e32 v41, 0x7f800000, v42
	v_cmp_ne_u32_e64 s[2:3], s20, v41
                                        ; implicit-def: $vgpr41
	s_and_saveexec_b64 s[14:15], s[2:3]
	s_xor_b64 s[2:3], exec, s[14:15]
; %bb.122:                              ;   in Loop: Header=BB137_41 Depth=1
	v_bfe_u32 v41, v42, 16, 1
	v_add3_u32 v41, v42, v41, s21
                                        ; implicit-def: $vgpr42
; %bb.123:                              ;   in Loop: Header=BB137_41 Depth=1
	s_andn2_saveexec_b64 s[14:15], s[2:3]
; %bb.124:                              ;   in Loop: Header=BB137_41 Depth=1
	v_or_b32_e32 v41, 0x10000, v42
	v_cmp_eq_u32_sdwa s[2:3], v42, v13 src0_sel:WORD_0 src1_sel:DWORD
	s_nop 1
	v_cndmask_b32_e64 v41, v41, v42, s[2:3]
; %bb.125:                              ;   in Loop: Header=BB137_41 Depth=1
	s_or_b64 exec, exec, s[14:15]
	v_lshlrev_b32_e32 v4, 16, v4
	v_mul_f32_e32 v42, v29, v4
	v_and_b32_e32 v4, 0x7f800000, v42
	v_cmp_ne_u32_e64 s[2:3], s20, v4
                                        ; implicit-def: $vgpr4
	s_and_saveexec_b64 s[14:15], s[2:3]
	s_xor_b64 s[2:3], exec, s[14:15]
; %bb.126:                              ;   in Loop: Header=BB137_41 Depth=1
	v_bfe_u32 v4, v42, 16, 1
	v_add3_u32 v4, v42, v4, s21
                                        ; implicit-def: $vgpr42
; %bb.127:                              ;   in Loop: Header=BB137_41 Depth=1
	s_andn2_saveexec_b64 s[14:15], s[2:3]
; %bb.128:                              ;   in Loop: Header=BB137_41 Depth=1
	v_or_b32_e32 v4, 0x10000, v42
	v_cmp_eq_u32_sdwa s[2:3], v42, v13 src0_sel:WORD_0 src1_sel:DWORD
	s_nop 1
	v_cndmask_b32_e64 v4, v4, v42, s[2:3]
; %bb.129:                              ;   in Loop: Header=BB137_41 Depth=1
	s_or_b64 exec, exec, s[14:15]
	v_lshlrev_b32_e32 v40, 16, v40
	v_mul_f32_e32 v42, v30, v40
	v_and_b32_e32 v40, 0x7f800000, v42
	v_cmp_ne_u32_e64 s[2:3], s20, v40
                                        ; implicit-def: $vgpr40
	s_and_saveexec_b64 s[14:15], s[2:3]
	s_xor_b64 s[2:3], exec, s[14:15]
; %bb.130:                              ;   in Loop: Header=BB137_41 Depth=1
	v_bfe_u32 v40, v42, 16, 1
	v_add3_u32 v40, v42, v40, s21
                                        ; implicit-def: $vgpr42
; %bb.131:                              ;   in Loop: Header=BB137_41 Depth=1
	s_andn2_saveexec_b64 s[14:15], s[2:3]
; %bb.132:                              ;   in Loop: Header=BB137_41 Depth=1
	v_or_b32_e32 v40, 0x10000, v42
	v_cmp_eq_u32_sdwa s[2:3], v42, v13 src0_sel:WORD_0 src1_sel:DWORD
	s_nop 1
	v_cndmask_b32_e64 v40, v40, v42, s[2:3]
; %bb.133:                              ;   in Loop: Header=BB137_41 Depth=1
	s_or_b64 exec, exec, s[14:15]
	v_lshlrev_b32_e32 v5, 16, v5
	v_mul_f32_e32 v42, v31, v5
	v_and_b32_e32 v5, 0x7f800000, v42
	v_cmp_ne_u32_e64 s[2:3], s20, v5
                                        ; implicit-def: $vgpr5
	s_and_saveexec_b64 s[14:15], s[2:3]
	s_xor_b64 s[2:3], exec, s[14:15]
; %bb.134:                              ;   in Loop: Header=BB137_41 Depth=1
	v_bfe_u32 v5, v42, 16, 1
	v_add3_u32 v5, v42, v5, s21
                                        ; implicit-def: $vgpr42
; %bb.135:                              ;   in Loop: Header=BB137_41 Depth=1
	s_andn2_saveexec_b64 s[14:15], s[2:3]
; %bb.136:                              ;   in Loop: Header=BB137_41 Depth=1
	v_or_b32_e32 v5, 0x10000, v42
	v_cmp_eq_u32_sdwa s[2:3], v42, v13 src0_sel:WORD_0 src1_sel:DWORD
	s_nop 1
	v_cndmask_b32_e64 v5, v5, v42, s[2:3]
; %bb.137:                              ;   in Loop: Header=BB137_41 Depth=1
	s_or_b64 exec, exec, s[14:15]
	v_lshlrev_b32_e32 v8, 16, v8
	v_mul_f32_e32 v42, v32, v8
	v_and_b32_e32 v8, 0x7f800000, v42
	v_cmp_ne_u32_e64 s[2:3], s20, v8
                                        ; implicit-def: $vgpr8
	s_and_saveexec_b64 s[14:15], s[2:3]
	s_xor_b64 s[2:3], exec, s[14:15]
; %bb.138:                              ;   in Loop: Header=BB137_41 Depth=1
	v_bfe_u32 v8, v42, 16, 1
	v_add3_u32 v8, v42, v8, s21
                                        ; implicit-def: $vgpr42
; %bb.139:                              ;   in Loop: Header=BB137_41 Depth=1
	s_andn2_saveexec_b64 s[14:15], s[2:3]
; %bb.140:                              ;   in Loop: Header=BB137_41 Depth=1
	v_or_b32_e32 v8, 0x10000, v42
	v_cmp_eq_u32_sdwa s[2:3], v42, v13 src0_sel:WORD_0 src1_sel:DWORD
	s_nop 1
	v_cndmask_b32_e64 v8, v8, v42, s[2:3]
; %bb.141:                              ;   in Loop: Header=BB137_41 Depth=1
	s_or_b64 exec, exec, s[14:15]
	v_and_b32_e32 v43, 0xffff0000, v39
	v_and_b32_e32 v42, 0xffff0000, v37
	;; [unrolled: 1-line block ×8, first 2 shown]
	v_pk_add_f32 v[34:35], v[34:35], v[38:39]
	v_pk_add_f32 v[36:37], v[36:37], v[42:43]
	v_add_f32_e32 v19, v34, v35
	v_add_f32_e32 v19, v19, v36
	;; [unrolled: 1-line block ×3, first 2 shown]
	v_and_b32_e32 v37, 0xffff0000, v41
	v_and_b32_e32 v36, 0xffff0000, v9
	;; [unrolled: 1-line block ×8, first 2 shown]
	v_pk_add_f32 v[2:3], v[2:3], v[36:37]
	v_pk_add_f32 v[4:5], v[4:5], v[34:35]
	v_add_f32_e32 v2, v2, v3
	v_add_f32_e32 v2, v2, v4
	;; [unrolled: 1-line block ×5, first 2 shown]
	s_and_saveexec_b64 s[2:3], vcc
	s_cbranch_execz .LBB137_40
; %bb.142:                              ;   in Loop: Header=BB137_41 Depth=1
	v_mov_b32_e32 v19, v13
	v_lshl_add_u64 v[2:3], v[6:7], 0, v[18:19]
	global_load_dwordx4 v[2:5], v[2:3], off
	s_waitcnt vmcnt(0)
	v_lshrrev_b32_e32 v7, 16, v2
	v_lshrrev_b32_e32 v9, 16, v3
	v_lshrrev_b32_e32 v8, 16, v4
	v_lshrrev_b32_e32 v6, 16, v5
	s_and_saveexec_b64 s[14:15], s[0:1]
	s_cbranch_execz .LBB137_144
; %bb.143:                              ;   in Loop: Header=BB137_41 Depth=1
	v_cmp_gt_i32_e64 s[0:1], s33, v24
	v_add_u32_e32 v19, -6, v22
	s_nop 0
	v_cndmask_b32_e64 v2, 0, v2, s[0:1]
	v_cmp_gt_i32_e64 s[0:1], s33, v19
	v_add_u32_e32 v19, -5, v22
	s_nop 0
	v_cndmask_b32_e64 v7, 0, v7, s[0:1]
	;; [unrolled: 4-line block ×6, first 2 shown]
	v_cmp_gt_i32_e64 s[0:1], s33, v19
	s_nop 1
	v_cndmask_b32_e64 v5, 0, v5, s[0:1]
	v_cmp_gt_i32_e64 s[0:1], s33, v22
	s_nop 1
	v_cndmask_b32_e64 v6, 0, v6, s[0:1]
.LBB137_144:                            ;   in Loop: Header=BB137_41 Depth=1
	s_or_b64 exec, exec, s[14:15]
	v_lshlrev_b32_e32 v2, 16, v2
	v_mul_f32_e32 v19, v25, v2
	v_and_b32_e32 v2, 0x7f800000, v19
	v_cmp_ne_u32_e64 s[0:1], s20, v2
                                        ; implicit-def: $vgpr2
	s_and_saveexec_b64 s[14:15], s[0:1]
	s_xor_b64 s[0:1], exec, s[14:15]
; %bb.145:                              ;   in Loop: Header=BB137_41 Depth=1
	v_bfe_u32 v2, v19, 16, 1
	v_add3_u32 v2, v19, v2, s21
                                        ; implicit-def: $vgpr19
; %bb.146:                              ;   in Loop: Header=BB137_41 Depth=1
	s_andn2_saveexec_b64 s[14:15], s[0:1]
; %bb.147:                              ;   in Loop: Header=BB137_41 Depth=1
	v_or_b32_e32 v2, 0x10000, v19
	v_cmp_eq_u32_sdwa s[0:1], v19, v13 src0_sel:WORD_0 src1_sel:DWORD
	s_nop 1
	v_cndmask_b32_e64 v2, v2, v19, s[0:1]
; %bb.148:                              ;   in Loop: Header=BB137_41 Depth=1
	s_or_b64 exec, exec, s[14:15]
	v_lshlrev_b32_e32 v7, 16, v7
	v_mul_f32_e32 v19, v26, v7
	v_and_b32_e32 v7, 0x7f800000, v19
	v_cmp_ne_u32_e64 s[0:1], s20, v7
                                        ; implicit-def: $vgpr7
	s_and_saveexec_b64 s[14:15], s[0:1]
	s_xor_b64 s[0:1], exec, s[14:15]
; %bb.149:                              ;   in Loop: Header=BB137_41 Depth=1
	v_bfe_u32 v7, v19, 16, 1
	v_add3_u32 v7, v19, v7, s21
                                        ; implicit-def: $vgpr19
; %bb.150:                              ;   in Loop: Header=BB137_41 Depth=1
	s_andn2_saveexec_b64 s[14:15], s[0:1]
; %bb.151:                              ;   in Loop: Header=BB137_41 Depth=1
	v_or_b32_e32 v7, 0x10000, v19
	v_cmp_eq_u32_sdwa s[0:1], v19, v13 src0_sel:WORD_0 src1_sel:DWORD
	s_nop 1
	v_cndmask_b32_e64 v7, v7, v19, s[0:1]
; %bb.152:                              ;   in Loop: Header=BB137_41 Depth=1
	s_or_b64 exec, exec, s[14:15]
	v_lshlrev_b32_e32 v3, 16, v3
	v_mul_f32_e32 v19, v27, v3
	v_and_b32_e32 v3, 0x7f800000, v19
	v_cmp_ne_u32_e64 s[0:1], s20, v3
                                        ; implicit-def: $vgpr3
	s_and_saveexec_b64 s[14:15], s[0:1]
	s_xor_b64 s[0:1], exec, s[14:15]
; %bb.153:                              ;   in Loop: Header=BB137_41 Depth=1
	v_bfe_u32 v3, v19, 16, 1
	v_add3_u32 v3, v19, v3, s21
                                        ; implicit-def: $vgpr19
; %bb.154:                              ;   in Loop: Header=BB137_41 Depth=1
	s_andn2_saveexec_b64 s[14:15], s[0:1]
; %bb.155:                              ;   in Loop: Header=BB137_41 Depth=1
	v_or_b32_e32 v3, 0x10000, v19
	v_cmp_eq_u32_sdwa s[0:1], v19, v13 src0_sel:WORD_0 src1_sel:DWORD
	s_nop 1
	v_cndmask_b32_e64 v3, v3, v19, s[0:1]
; %bb.156:                              ;   in Loop: Header=BB137_41 Depth=1
	s_or_b64 exec, exec, s[14:15]
	v_lshlrev_b32_e32 v9, 16, v9
	v_mul_f32_e32 v19, v28, v9
	v_and_b32_e32 v9, 0x7f800000, v19
	v_cmp_ne_u32_e64 s[0:1], s20, v9
                                        ; implicit-def: $vgpr9
	s_and_saveexec_b64 s[14:15], s[0:1]
	s_xor_b64 s[0:1], exec, s[14:15]
; %bb.157:                              ;   in Loop: Header=BB137_41 Depth=1
	v_bfe_u32 v9, v19, 16, 1
	v_add3_u32 v9, v19, v9, s21
                                        ; implicit-def: $vgpr19
; %bb.158:                              ;   in Loop: Header=BB137_41 Depth=1
	s_andn2_saveexec_b64 s[14:15], s[0:1]
; %bb.159:                              ;   in Loop: Header=BB137_41 Depth=1
	v_or_b32_e32 v9, 0x10000, v19
	v_cmp_eq_u32_sdwa s[0:1], v19, v13 src0_sel:WORD_0 src1_sel:DWORD
	s_nop 1
	v_cndmask_b32_e64 v9, v9, v19, s[0:1]
; %bb.160:                              ;   in Loop: Header=BB137_41 Depth=1
	s_or_b64 exec, exec, s[14:15]
	v_lshlrev_b32_e32 v4, 16, v4
	v_mul_f32_e32 v19, v29, v4
	v_and_b32_e32 v4, 0x7f800000, v19
	v_cmp_ne_u32_e64 s[0:1], s20, v4
                                        ; implicit-def: $vgpr4
	s_and_saveexec_b64 s[14:15], s[0:1]
	s_xor_b64 s[0:1], exec, s[14:15]
; %bb.161:                              ;   in Loop: Header=BB137_41 Depth=1
	v_bfe_u32 v4, v19, 16, 1
	v_add3_u32 v4, v19, v4, s21
                                        ; implicit-def: $vgpr19
; %bb.162:                              ;   in Loop: Header=BB137_41 Depth=1
	s_andn2_saveexec_b64 s[14:15], s[0:1]
; %bb.163:                              ;   in Loop: Header=BB137_41 Depth=1
	v_or_b32_e32 v4, 0x10000, v19
	v_cmp_eq_u32_sdwa s[0:1], v19, v13 src0_sel:WORD_0 src1_sel:DWORD
	s_nop 1
	v_cndmask_b32_e64 v4, v4, v19, s[0:1]
; %bb.164:                              ;   in Loop: Header=BB137_41 Depth=1
	s_or_b64 exec, exec, s[14:15]
	v_lshlrev_b32_e32 v8, 16, v8
	v_mul_f32_e32 v19, v30, v8
	v_and_b32_e32 v8, 0x7f800000, v19
	v_cmp_ne_u32_e64 s[0:1], s20, v8
                                        ; implicit-def: $vgpr8
	s_and_saveexec_b64 s[14:15], s[0:1]
	s_xor_b64 s[0:1], exec, s[14:15]
; %bb.165:                              ;   in Loop: Header=BB137_41 Depth=1
	v_bfe_u32 v8, v19, 16, 1
	v_add3_u32 v8, v19, v8, s21
                                        ; implicit-def: $vgpr19
; %bb.166:                              ;   in Loop: Header=BB137_41 Depth=1
	s_andn2_saveexec_b64 s[14:15], s[0:1]
; %bb.167:                              ;   in Loop: Header=BB137_41 Depth=1
	v_or_b32_e32 v8, 0x10000, v19
	v_cmp_eq_u32_sdwa s[0:1], v19, v13 src0_sel:WORD_0 src1_sel:DWORD
	s_nop 1
	v_cndmask_b32_e64 v8, v8, v19, s[0:1]
; %bb.168:                              ;   in Loop: Header=BB137_41 Depth=1
	s_or_b64 exec, exec, s[14:15]
	v_lshlrev_b32_e32 v5, 16, v5
	v_mul_f32_e32 v19, v31, v5
	v_and_b32_e32 v5, 0x7f800000, v19
	v_cmp_ne_u32_e64 s[0:1], s20, v5
                                        ; implicit-def: $vgpr5
	s_and_saveexec_b64 s[14:15], s[0:1]
	s_xor_b64 s[0:1], exec, s[14:15]
; %bb.169:                              ;   in Loop: Header=BB137_41 Depth=1
	v_bfe_u32 v5, v19, 16, 1
	v_add3_u32 v5, v19, v5, s21
                                        ; implicit-def: $vgpr19
; %bb.170:                              ;   in Loop: Header=BB137_41 Depth=1
	s_andn2_saveexec_b64 s[14:15], s[0:1]
; %bb.171:                              ;   in Loop: Header=BB137_41 Depth=1
	v_or_b32_e32 v5, 0x10000, v19
	v_cmp_eq_u32_sdwa s[0:1], v19, v13 src0_sel:WORD_0 src1_sel:DWORD
	s_nop 1
	v_cndmask_b32_e64 v5, v5, v19, s[0:1]
; %bb.172:                              ;   in Loop: Header=BB137_41 Depth=1
	s_or_b64 exec, exec, s[14:15]
	v_lshlrev_b32_e32 v6, 16, v6
	v_mul_f32_e32 v6, v32, v6
	v_and_b32_e32 v19, 0x7f800000, v6
	v_cmp_ne_u32_e64 s[0:1], s20, v19
                                        ; implicit-def: $vgpr19
	s_and_saveexec_b64 s[14:15], s[0:1]
	s_xor_b64 s[0:1], exec, s[14:15]
; %bb.173:                              ;   in Loop: Header=BB137_41 Depth=1
	v_bfe_u32 v19, v6, 16, 1
	v_add3_u32 v19, v6, v19, s21
                                        ; implicit-def: $vgpr6
; %bb.174:                              ;   in Loop: Header=BB137_41 Depth=1
	s_andn2_saveexec_b64 s[14:15], s[0:1]
	s_cbranch_execz .LBB137_39
; %bb.175:                              ;   in Loop: Header=BB137_41 Depth=1
	v_or_b32_e32 v19, 0x10000, v6
	v_cmp_eq_u32_sdwa s[0:1], v6, v13 src0_sel:WORD_0 src1_sel:DWORD
	s_nop 1
	v_cndmask_b32_e64 v19, v19, v6, s[0:1]
	s_branch .LBB137_39
.LBB137_176:
	s_or_b64 exec, exec, s[12:13]
.LBB137_177:
	s_or_b64 exec, exec, s[6:7]
	ds_bpermute_b32 v2, v11, v14
	ds_bpermute_b32 v3, v11, v15
	;; [unrolled: 1-line block ×3, first 2 shown]
	s_waitcnt lgkmcnt(0)
	s_barrier
	v_pk_add_f32 v[4:5], v[14:15], v[2:3]
	v_add_f32_e32 v2, v10, v1
	v_and_b32_e32 v1, 0x3c0, v0
	v_cmp_eq_u32_e32 vcc, 64, v1
	s_and_saveexec_b64 s[2:3], vcc
	s_cbranch_execz .LBB137_182
; %bb.178:
	v_cmp_eq_u32_e32 vcc, 0, v20
	s_and_saveexec_b64 s[0:1], vcc
	s_cbranch_execz .LBB137_180
; %bb.179:
	v_mov_b32_e32 v1, 0xb0
	v_lshl_add_u32 v1, v21, 2, v1
	ds_write2_b32 v1, v4, v5 offset1:32
.LBB137_180:
	s_or_b64 exec, exec, s[0:1]
	v_or_b32_e32 v1, 64, v21
	s_movk_i32 s0, 0x50
	v_cmp_gt_u32_e64 s[0:1], s0, v1
	s_and_b64 s[0:1], vcc, s[0:1]
	s_and_b64 exec, exec, s[0:1]
	s_cbranch_execz .LBB137_182
; %bb.181:
	v_mov_b32_e32 v1, 0xb0
	v_lshl_add_u32 v1, v21, 2, v1
	ds_write_b32 v1, v2 offset:256
.LBB137_182:
	s_or_b64 exec, exec, s[2:3]
	v_cmp_gt_u32_e32 vcc, 64, v0
	v_cmp_lt_u32_e64 s[0:1], 63, v0
	s_waitcnt lgkmcnt(0)
	s_barrier
	s_and_saveexec_b64 s[2:3], s[0:1]
	s_xor_b64 s[0:1], exec, s[2:3]
	s_or_saveexec_b64 s[6:7], s[0:1]
	v_lshrrev_b32_e32 v3, 1, v0
	s_xor_b64 exec, exec, s[6:7]
	s_cbranch_execz .LBB137_190
; %bb.183:
	v_cmp_eq_u32_e64 s[0:1], 0, v20
	s_and_saveexec_b64 s[2:3], s[0:1]
	s_cbranch_execz .LBB137_185
; %bb.184:
	v_mov_b32_e32 v0, 0xb0
	v_lshl_add_u32 v0, v3, 2, v0
	ds_read_b32 v0, v0
	s_waitcnt lgkmcnt(0)
	v_add_f32_e32 v4, v4, v0
.LBB137_185:
	s_or_b64 exec, exec, s[2:3]
	s_and_saveexec_b64 s[2:3], s[0:1]
	s_cbranch_execz .LBB137_187
; %bb.186:
	v_mov_b32_e32 v0, 0xb0
	v_lshl_add_u32 v0, v3, 2, v0
	ds_read_b32 v0, v0 offset:128
	s_waitcnt lgkmcnt(0)
	v_add_f32_e32 v5, v5, v0
.LBB137_187:
	s_or_b64 exec, exec, s[2:3]
	v_or_b32_e32 v0, 64, v3
	s_movk_i32 s2, 0x50
	v_cmp_gt_u32_e64 s[2:3], s2, v0
	s_and_b64 s[2:3], s[0:1], s[2:3]
	s_and_saveexec_b64 s[0:1], s[2:3]
	s_cbranch_execz .LBB137_189
; %bb.188:
	v_mov_b32_e32 v0, 0xb0
	v_lshl_add_u32 v0, v3, 2, v0
	ds_read_b32 v0, v0 offset:256
	s_waitcnt lgkmcnt(0)
	v_add_f32_e32 v2, v2, v0
.LBB137_189:
	s_or_b64 exec, exec, s[0:1]
.LBB137_190:
	s_or_b64 exec, exec, s[6:7]
	s_barrier
	s_and_saveexec_b64 s[0:1], vcc
	s_cbranch_execz .LBB137_207
; %bb.191:
	s_mul_i32 s0, s10, s11
	s_mul_i32 s0, s0, s5
	s_mulk_i32 s0, 0x50
	s_ashr_i32 s1, s0, 31
	s_lshl_b64 s[0:1], s[0:1], 1
	s_add_u32 s2, s18, s0
	s_mul_i32 s0, s11, s16
	s_addc_u32 s3, s19, s1
	s_ashr_i32 s1, s0, 31
	s_lshl_b64 s[0:1], s[0:1], 1
	s_add_u32 s2, s2, s0
	s_mul_i32 s0, s4, 0x50
	s_addc_u32 s3, s3, s1
	s_ashr_i32 s1, s0, 31
	s_lshl_b64 s[0:1], s[0:1], 1
	s_add_u32 s2, s2, s0
	s_addc_u32 s3, s3, s1
	v_cmp_eq_u32_e32 vcc, 0, v20
	s_and_saveexec_b64 s[4:5], vcc
	s_cbranch_execz .LBB137_201
; %bb.192:
	s_mov_b32 s0, 0x7f800000
	v_and_b32_e32 v0, 0x7f800000, v4
	v_cmp_ne_u32_e64 s[0:1], s0, v0
                                        ; implicit-def: $vgpr6
	s_and_saveexec_b64 s[6:7], s[0:1]
	s_xor_b64 s[0:1], exec, s[6:7]
; %bb.193:
	v_bfe_u32 v0, v4, 16, 1
	s_movk_i32 s6, 0x7fff
	v_add3_u32 v6, v4, v0, s6
; %bb.194:
	s_andn2_saveexec_b64 s[6:7], s[0:1]
; %bb.195:
	v_mov_b32_e32 v0, 0
	v_or_b32_e32 v1, 0x10000, v4
	v_cmp_eq_u32_sdwa s[0:1], v4, v0 src0_sel:WORD_0 src1_sel:DWORD
	s_nop 1
	v_cndmask_b32_e64 v6, v1, v4, s[0:1]
; %bb.196:
	s_or_b64 exec, exec, s[6:7]
	s_mov_b32 s0, 0x7f800000
	v_and_b32_e32 v4, 0x7f800000, v5
	v_lshlrev_b32_e32 v0, 1, v3
	v_mov_b32_e32 v1, 0
	v_cmp_ne_u32_e64 s[0:1], s0, v4
	global_store_short_d16_hi v0, v6, s[2:3]
                                        ; implicit-def: $vgpr7
	s_and_saveexec_b64 s[6:7], s[0:1]
	s_xor_b64 s[0:1], exec, s[6:7]
; %bb.197:
	v_bfe_u32 v4, v5, 16, 1
	s_movk_i32 s6, 0x7fff
	v_add3_u32 v7, v5, v4, s6
                                        ; implicit-def: $vgpr4_vgpr5_vgpr6
; %bb.198:
	s_or_saveexec_b64 s[6:7], s[0:1]
	v_lshl_add_u64 v[0:1], s[2:3], 0, v[0:1]
	s_xor_b64 exec, exec, s[6:7]
; %bb.199:
	v_mov_b32_e32 v4, 0
	v_or_b32_e32 v6, 0x10000, v5
	v_cmp_eq_u32_sdwa s[0:1], v5, v4 src0_sel:WORD_0 src1_sel:DWORD
	s_nop 1
	v_cndmask_b32_e64 v7, v6, v5, s[0:1]
; %bb.200:
	s_or_b64 exec, exec, s[6:7]
	global_store_short_d16_hi v[0:1], v7, off offset:64
.LBB137_201:
	s_or_b64 exec, exec, s[4:5]
	v_or_b32_e32 v0, 64, v3
	s_movk_i32 s0, 0x50
	v_cmp_gt_u32_e64 s[0:1], s0, v0
	s_and_b64 s[0:1], vcc, s[0:1]
	s_and_b64 exec, exec, s[0:1]
	s_cbranch_execz .LBB137_207
; %bb.202:
	s_mov_b32 s0, 0x7f800000
	v_and_b32_e32 v0, 0x7f800000, v2
	v_cmp_ne_u32_e32 vcc, s0, v0
                                        ; implicit-def: $vgpr0
	s_and_saveexec_b64 s[0:1], vcc
	s_xor_b64 s[0:1], exec, s[0:1]
; %bb.203:
	v_bfe_u32 v0, v2, 16, 1
	s_movk_i32 s4, 0x7fff
	v_add3_u32 v0, v2, v0, s4
                                        ; implicit-def: $vgpr2
; %bb.204:
	s_andn2_saveexec_b64 s[0:1], s[0:1]
; %bb.205:
	v_mov_b32_e32 v0, 0
	v_or_b32_e32 v1, 0x10000, v2
	v_cmp_eq_u32_sdwa vcc, v2, v0 src0_sel:WORD_0 src1_sel:DWORD
	s_nop 1
	v_cndmask_b32_e32 v0, v1, v2, vcc
; %bb.206:
	s_or_b64 exec, exec, s[0:1]
	v_lshlrev_b32_e32 v1, 1, v3
	global_store_short_d16_hi v1, v0, s[2:3] offset:128
.LBB137_207:
	s_endpgm
	.section	.rodata,"a",@progbits
	.p2align	6, 0x0
	.amdhsa_kernel _ZN4vllm25paged_attention_v1_kernelI14__hip_bfloat16S1_Li80ELi16ELi128ELNS_18Fp8KVCacheDataTypeE0ELb0EEEvPT_PKS3_PKT0_S9_ifPKiSB_iPKfiiiSD_SD_iiiii
		.amdhsa_group_segment_fixed_size 176
		.amdhsa_private_segment_fixed_size 0
		.amdhsa_kernarg_size 384
		.amdhsa_user_sgpr_count 2
		.amdhsa_user_sgpr_dispatch_ptr 0
		.amdhsa_user_sgpr_queue_ptr 0
		.amdhsa_user_sgpr_kernarg_segment_ptr 1
		.amdhsa_user_sgpr_dispatch_id 0
		.amdhsa_user_sgpr_kernarg_preload_length 0
		.amdhsa_user_sgpr_kernarg_preload_offset 0
		.amdhsa_user_sgpr_private_segment_size 0
		.amdhsa_uses_dynamic_stack 0
		.amdhsa_enable_private_segment 0
		.amdhsa_system_sgpr_workgroup_id_x 1
		.amdhsa_system_sgpr_workgroup_id_y 1
		.amdhsa_system_sgpr_workgroup_id_z 1
		.amdhsa_system_sgpr_workgroup_info 0
		.amdhsa_system_vgpr_workitem_id 0
		.amdhsa_next_free_vgpr 55
		.amdhsa_next_free_sgpr 34
		.amdhsa_accum_offset 56
		.amdhsa_reserve_vcc 1
		.amdhsa_float_round_mode_32 0
		.amdhsa_float_round_mode_16_64 0
		.amdhsa_float_denorm_mode_32 3
		.amdhsa_float_denorm_mode_16_64 3
		.amdhsa_dx10_clamp 1
		.amdhsa_ieee_mode 1
		.amdhsa_fp16_overflow 0
		.amdhsa_tg_split 0
		.amdhsa_exception_fp_ieee_invalid_op 0
		.amdhsa_exception_fp_denorm_src 0
		.amdhsa_exception_fp_ieee_div_zero 0
		.amdhsa_exception_fp_ieee_overflow 0
		.amdhsa_exception_fp_ieee_underflow 0
		.amdhsa_exception_fp_ieee_inexact 0
		.amdhsa_exception_int_div_zero 0
	.end_amdhsa_kernel
	.section	.text._ZN4vllm25paged_attention_v1_kernelI14__hip_bfloat16S1_Li80ELi16ELi128ELNS_18Fp8KVCacheDataTypeE0ELb0EEEvPT_PKS3_PKT0_S9_ifPKiSB_iPKfiiiSD_SD_iiiii,"axG",@progbits,_ZN4vllm25paged_attention_v1_kernelI14__hip_bfloat16S1_Li80ELi16ELi128ELNS_18Fp8KVCacheDataTypeE0ELb0EEEvPT_PKS3_PKT0_S9_ifPKiSB_iPKfiiiSD_SD_iiiii,comdat
.Lfunc_end137:
	.size	_ZN4vllm25paged_attention_v1_kernelI14__hip_bfloat16S1_Li80ELi16ELi128ELNS_18Fp8KVCacheDataTypeE0ELb0EEEvPT_PKS3_PKT0_S9_ifPKiSB_iPKfiiiSD_SD_iiiii, .Lfunc_end137-_ZN4vllm25paged_attention_v1_kernelI14__hip_bfloat16S1_Li80ELi16ELi128ELNS_18Fp8KVCacheDataTypeE0ELb0EEEvPT_PKS3_PKT0_S9_ifPKiSB_iPKfiiiSD_SD_iiiii
                                        ; -- End function
	.section	.AMDGPU.csdata,"",@progbits
; Kernel info:
; codeLenInByte = 7644
; NumSgprs: 40
; NumVgprs: 55
; NumAgprs: 0
; TotalNumVgprs: 55
; ScratchSize: 0
; MemoryBound: 0
; FloatMode: 240
; IeeeMode: 1
; LDSByteSize: 176 bytes/workgroup (compile time only)
; SGPRBlocks: 4
; VGPRBlocks: 6
; NumSGPRsForWavesPerEU: 40
; NumVGPRsForWavesPerEU: 55
; AccumOffset: 56
; Occupancy: 8
; WaveLimiterHint : 1
; COMPUTE_PGM_RSRC2:SCRATCH_EN: 0
; COMPUTE_PGM_RSRC2:USER_SGPR: 2
; COMPUTE_PGM_RSRC2:TRAP_HANDLER: 0
; COMPUTE_PGM_RSRC2:TGID_X_EN: 1
; COMPUTE_PGM_RSRC2:TGID_Y_EN: 1
; COMPUTE_PGM_RSRC2:TGID_Z_EN: 1
; COMPUTE_PGM_RSRC2:TIDIG_COMP_CNT: 0
; COMPUTE_PGM_RSRC3_GFX90A:ACCUM_OFFSET: 13
; COMPUTE_PGM_RSRC3_GFX90A:TG_SPLIT: 0
	.section	.text._ZN4vllm25paged_attention_v1_kernelI14__hip_bfloat16S1_Li96ELi16ELi128ELNS_18Fp8KVCacheDataTypeE0ELb0EEEvPT_PKS3_PKT0_S9_ifPKiSB_iPKfiiiSD_SD_iiiii,"axG",@progbits,_ZN4vllm25paged_attention_v1_kernelI14__hip_bfloat16S1_Li96ELi16ELi128ELNS_18Fp8KVCacheDataTypeE0ELb0EEEvPT_PKS3_PKT0_S9_ifPKiSB_iPKfiiiSD_SD_iiiii,comdat
	.protected	_ZN4vllm25paged_attention_v1_kernelI14__hip_bfloat16S1_Li96ELi16ELi128ELNS_18Fp8KVCacheDataTypeE0ELb0EEEvPT_PKS3_PKT0_S9_ifPKiSB_iPKfiiiSD_SD_iiiii ; -- Begin function _ZN4vllm25paged_attention_v1_kernelI14__hip_bfloat16S1_Li96ELi16ELi128ELNS_18Fp8KVCacheDataTypeE0ELb0EEEvPT_PKS3_PKT0_S9_ifPKiSB_iPKfiiiSD_SD_iiiii
	.globl	_ZN4vllm25paged_attention_v1_kernelI14__hip_bfloat16S1_Li96ELi16ELi128ELNS_18Fp8KVCacheDataTypeE0ELb0EEEvPT_PKS3_PKT0_S9_ifPKiSB_iPKfiiiSD_SD_iiiii
	.p2align	8
	.type	_ZN4vllm25paged_attention_v1_kernelI14__hip_bfloat16S1_Li96ELi16ELi128ELNS_18Fp8KVCacheDataTypeE0ELb0EEEvPT_PKS3_PKT0_S9_ifPKiSB_iPKfiiiSD_SD_iiiii,@function
_ZN4vllm25paged_attention_v1_kernelI14__hip_bfloat16S1_Li96ELi16ELi128ELNS_18Fp8KVCacheDataTypeE0ELb0EEEvPT_PKS3_PKT0_S9_ifPKiSB_iPKfiiiSD_SD_iiiii: ; @_ZN4vllm25paged_attention_v1_kernelI14__hip_bfloat16S1_Li96ELi16ELi128ELNS_18Fp8KVCacheDataTypeE0ELb0EEEvPT_PKS3_PKT0_S9_ifPKiSB_iPKfiiiSD_SD_iiiii
; %bb.0:
	s_load_dword s5, s[0:1], 0x80
	s_load_dwordx2 s[6:7], s[0:1], 0x30
	s_load_dwordx2 s[8:9], s[0:1], 0x20
	s_mov_b32 s10, s3
	s_ashr_i32 s11, s3, 31
	s_lshl_b64 s[12:13], s[10:11], 2
	s_waitcnt lgkmcnt(0)
	s_add_u32 s6, s6, s12
	s_addc_u32 s7, s7, s13
	s_abs_i32 s3, s8
	v_cvt_f32_u32_e32 v1, s3
	s_sub_i32 s12, 0, s3
	s_abs_i32 s11, s5
	s_xor_b32 s8, s5, s8
	v_rcp_iflag_f32_e32 v1, v1
	s_ashr_i32 s8, s8, 31
	v_mul_f32_e32 v1, 0x4f7ffffe, v1
	v_cvt_u32_f32_e32 v1, v1
	s_nop 0
	v_readfirstlane_b32 s13, v1
	s_mul_i32 s12, s12, s13
	s_mul_hi_u32 s12, s13, s12
	s_add_i32 s13, s13, s12
	s_mul_hi_u32 s12, s11, s13
	s_mul_i32 s13, s12, s3
	s_sub_i32 s11, s11, s13
	s_add_i32 s13, s12, 1
	s_sub_i32 s14, s11, s3
	s_cmp_ge_u32 s11, s3
	s_cselect_b32 s12, s13, s12
	s_cselect_b32 s11, s14, s11
	s_add_i32 s13, s12, 1
	s_cmp_ge_u32 s11, s3
	s_cselect_b32 s3, s13, s12
	s_xor_b32 s3, s3, s8
	s_sub_i32 s16, s3, s8
	s_abs_i32 s11, s16
	v_cvt_f32_u32_e32 v1, s11
	s_load_dwordx2 s[12:13], s[0:1], 0x40
	s_sub_i32 s3, 0, s11
	s_abs_i32 s18, s2
	v_rcp_iflag_f32_e32 v1, v1
	s_mov_b32 s8, 0
	v_mul_f32_e32 v1, 0x4f7ffffe, v1
	v_cvt_u32_f32_e32 v1, v1
	s_nop 0
	v_readfirstlane_b32 s14, v1
	s_mul_i32 s3, s3, s14
	s_mul_hi_u32 s3, s14, s3
	s_add_i32 s14, s14, s3
	s_waitcnt lgkmcnt(0)
	s_cmp_eq_u64 s[12:13], 0
	s_mul_hi_u32 s19, s18, s14
	s_cbranch_scc1 .LBB138_2
; %bb.1:
	s_ashr_i32 s3, s2, 31
	s_lshl_b64 s[14:15], s[2:3], 2
	s_add_u32 s12, s12, s14
	s_addc_u32 s13, s13, s15
	s_load_dword s8, s[12:13], 0x0
.LBB138_2:
	s_load_dword s33, s[6:7], 0x0
	s_nop 0
	s_load_dwordx4 s[12:15], s[0:1], 0x48
	s_ashr_i32 s6, s2, 31
	s_ashr_i32 s7, s16, 31
	v_and_b32_e32 v4, 3, v0
	s_mul_i32 s16, s2, 0x60
	v_cmp_gt_u32_e32 vcc, 48, v0
	s_and_saveexec_b64 s[2:3], vcc
	s_cbranch_execz .LBB138_4
; %bb.3:
	s_load_dwordx2 s[20:21], s[0:1], 0x8
	s_waitcnt lgkmcnt(0)
	s_mul_i32 s22, s10, s12
	s_ashr_i32 s23, s22, 31
	s_lshl_b64 s[22:23], s[22:23], 1
	v_lshlrev_b32_e32 v1, 2, v0
	s_add_u32 s12, s20, s22
	s_addc_u32 s15, s21, s23
	s_ashr_i32 s17, s16, 31
	s_lshl_b64 s[20:21], s[16:17], 1
	s_add_u32 s20, s12, s20
	s_addc_u32 s21, s15, s21
	global_load_dword v1, v1, s[20:21]
	v_and_b32_e32 v2, 0x3fc, v0
	v_mad_u32_u24 v2, v4, 48, v2
	s_waitcnt vmcnt(0)
	ds_write_b32 v2, v1
.LBB138_4:
	s_or_b64 exec, exec, s[2:3]
	s_waitcnt lgkmcnt(0)
	s_add_i32 s3, s33, 15
	s_ashr_i32 s12, s3, 31
	s_lshr_b32 s12, s12, 28
	s_add_i32 s3, s3, s12
	s_ashr_i32 s12, s3, 4
	s_xor_b32 s3, s6, s7
	s_mul_i32 s6, s19, s11
	s_sub_i32 s6, s18, s6
	s_add_i32 s7, s19, 1
	s_sub_i32 s15, s6, s11
	s_load_dwordx2 s[20:21], s[0:1], 0x28
	s_load_dword s2, s[0:1], 0x38
	s_cmp_ge_u32 s6, s11
	s_cselect_b32 s7, s7, s19
	s_cselect_b32 s6, s15, s6
	s_add_i32 s15, s7, 1
	s_cmp_ge_u32 s6, s11
	s_cselect_b32 s6, s15, s7
	v_lshrrev_b32_e32 v1, 6, v0
	s_xor_b32 s6, s6, s3
	s_waitcnt lgkmcnt(0)
	s_mul_i32 s22, s10, s2
	s_sub_i32 s15, s6, s3
	s_ashr_i32 s23, s22, 31
	v_cmp_gt_i32_e64 s[2:3], s12, v1
	v_cmp_le_i32_e32 vcc, s12, v1
	v_mbcnt_lo_u32_b32 v5, -1, 0
	s_barrier
	s_waitcnt lgkmcnt(0)
                                        ; implicit-def: $sgpr17
                                        ; implicit-def: $vgpr7
                                        ; implicit-def: $vgpr8
	s_and_saveexec_b64 s[6:7], vcc
	s_xor_b64 s[6:7], exec, s[6:7]
; %bb.5:
	v_mbcnt_hi_u32_b32 v7, -1, v5
	v_and_b32_e32 v2, 64, v7
	v_add_u32_e32 v8, 64, v2
	s_mov_b32 s17, 0xff7fffff
                                        ; implicit-def: $vgpr4
                                        ; implicit-def: $vgpr5
; %bb.6:
	s_or_saveexec_b64 s[26:27], s[6:7]
	s_load_dwordx2 s[18:19], s[0:1], 0x0
	s_load_dwordx2 s[24:25], s[0:1], 0x18
	s_load_dword s11, s[0:1], 0x88
	v_mov_b32_e32 v30, s17
	s_mul_i32 s14, s15, s14
	v_lshrrev_b32_e32 v6, 4, v0
	s_xor_b64 exec, exec, s[26:27]
	s_cbranch_execz .LBB138_12
; %bb.7:
	s_load_dwordx2 s[0:1], s[0:1], 0x10
	s_ashr_i32 s15, s14, 31
	s_lshl_b64 s[6:7], s[14:15], 1
	v_bfe_u32 v37, v0, 2, 4
	v_lshlrev_b32_e32 v38, 4, v37
	s_waitcnt lgkmcnt(0)
	s_add_u32 s0, s0, s6
	s_addc_u32 s1, s1, s7
	v_mov_b32_e32 v39, 0
	v_lshlrev_b32_e32 v7, 2, v0
	v_lshl_add_u64 v[2:3], s[0:1], 0, v[38:39]
	v_and_b32_e32 v38, 12, v7
	v_mbcnt_hi_u32_b32 v7, -1, v5
	v_mul_u32_u24_e32 v8, 48, v4
	v_and_b32_e32 v5, 64, v7
	ds_read_b128 v[14:17], v8
	ds_read_b128 v[22:25], v8 offset:16
	ds_read_b128 v[30:33], v8 offset:32
	v_add_u32_e32 v8, 64, v5
	v_xor_b32_e32 v5, 2, v7
	v_cmp_lt_i32_e32 vcc, v5, v8
	s_sub_i32 s15, 1, s33
	s_lshl_b64 s[6:7], s[22:23], 2
	v_cndmask_b32_e32 v5, v7, v5, vcc
	v_lshlrev_b32_e32 v34, 2, v5
	v_xor_b32_e32 v5, 1, v7
	v_cmp_lt_i32_e32 vcc, v5, v8
	s_add_u32 s6, s20, s6
	v_lshl_add_u64 v[2:3], v[2:3], 0, v[38:39]
	v_cndmask_b32_e32 v5, v7, v5, vcc
	v_cmp_eq_u32_e32 vcc, 0, v4
	v_lshlrev_b32_e32 v4, 2, v37
	v_lshl_or_b32 v4, v1, 6, v4
	v_and_b32_e32 v38, 60, v6
	s_addc_u32 s7, s21, s7
	s_mov_b32 s17, s13
	s_waitcnt lgkmcnt(2)
	v_lshlrev_b32_e32 v9, 16, v14
	v_and_b32_e32 v10, 0xffff0000, v14
	v_lshlrev_b32_e32 v11, 16, v15
	v_and_b32_e32 v12, 0xffff0000, v15
	v_lshlrev_b32_e32 v13, 16, v16
	v_and_b32_e32 v14, 0xffff0000, v16
	v_lshlrev_b32_e32 v15, 16, v17
	v_and_b32_e32 v16, 0xffff0000, v17
	s_waitcnt lgkmcnt(1)
	v_lshlrev_b32_e32 v17, 16, v22
	v_and_b32_e32 v18, 0xffff0000, v22
	v_lshlrev_b32_e32 v19, 16, v23
	v_and_b32_e32 v20, 0xffff0000, v23
	v_lshlrev_b32_e32 v21, 16, v24
	v_and_b32_e32 v22, 0xffff0000, v24
	v_lshlrev_b32_e32 v23, 16, v25
	v_and_b32_e32 v24, 0xffff0000, v25
	;; [unrolled: 9-line block ×3, first 2 shown]
	v_lshlrev_b32_e32 v35, 2, v5
	v_cmp_neq_f32_e64 s[0:1], s8, 0
	v_lshl_or_b32 v36, v1, 4, v37
	v_add_u32_e32 v37, 0xd0, v4
	v_lshl_add_u64 v[4:5], s[6:7], 0, v[38:39]
	s_mov_b64 s[28:29], 0
	v_mov_b32_e32 v30, 0xff7fffff
	v_mov_b32_e32 v38, v1
	s_branch .LBB138_9
.LBB138_8:                              ;   in Loop: Header=BB138_9 Depth=1
	s_or_b64 exec, exec, s[30:31]
	v_add_u32_e32 v38, 2, v38
	v_cmp_le_i32_e64 s[6:7], s12, v38
	v_add_u32_e32 v36, 32, v36
	v_add_u32_e32 v37, 0x80, v37
	s_or_b64 s[28:29], s[6:7], s[28:29]
	v_lshl_add_u64 v[4:5], v[4:5], 0, 8
	s_andn2_b64 exec, exec, s[28:29]
	s_cbranch_execz .LBB138_11
.LBB138_9:                              ; =>This Inner Loop Header: Depth=1
	global_load_dword v39, v[4:5], off
	s_waitcnt vmcnt(0) lgkmcnt(0)
	v_mad_i64_i32 v[40:41], s[6:7], v39, s17, 0
	v_lshl_add_u64 v[40:41], v[40:41], 1, v[2:3]
	global_load_dword v39, v[40:41], off
	global_load_dword v42, v[40:41], off offset:256
	global_load_dword v43, v[40:41], off offset:512
	;; [unrolled: 1-line block ×11, first 2 shown]
	s_waitcnt vmcnt(11)
	v_lshlrev_b32_e32 v40, 16, v39
	s_waitcnt vmcnt(10)
	v_lshlrev_b32_e32 v41, 16, v42
	v_and_b32_e32 v42, 0xffff0000, v42
	v_and_b32_e32 v39, 0xffff0000, v39
	v_mul_f32_e32 v41, v11, v41
	v_mul_f32_e32 v42, v12, v42
	s_waitcnt vmcnt(9)
	v_lshlrev_b32_e32 v53, 16, v43
	v_and_b32_e32 v43, 0xffff0000, v43
	v_fmac_f32_e32 v41, v9, v40
	v_fmac_f32_e32 v42, v10, v39
	s_waitcnt vmcnt(8)
	v_lshlrev_b32_e32 v54, 16, v44
	v_and_b32_e32 v44, 0xffff0000, v44
	v_fmac_f32_e32 v41, v13, v53
	v_fmac_f32_e32 v42, v14, v43
	;; [unrolled: 5-line block ×10, first 2 shown]
	v_fmac_f32_e32 v41, v32, v62
	v_fmac_f32_e32 v42, v33, v52
	v_add_f32_e32 v39, v41, v42
	ds_bpermute_b32 v40, v34, v39
	s_waitcnt lgkmcnt(0)
	v_add_f32_e32 v39, v39, v40
	ds_bpermute_b32 v40, v35, v39
	s_and_saveexec_b64 s[30:31], vcc
	s_cbranch_execz .LBB138_8
; %bb.10:                               ;   in Loop: Header=BB138_9 Depth=1
	v_add_u32_e32 v41, s15, v36
	v_cvt_f32_i32_e32 v41, v41
	s_waitcnt lgkmcnt(0)
	v_add_f32_e32 v39, v39, v40
	v_cmp_gt_i32_e64 s[6:7], s33, v36
	v_max_f32_e32 v40, v30, v30
	v_mul_f32_e32 v41, s8, v41
	v_cndmask_b32_e64 v41, 0, v41, s[0:1]
	v_fmac_f32_e32 v41, s9, v39
	v_cndmask_b32_e64 v39, 0, v41, s[6:7]
	ds_write_b32 v37, v39
	v_max_f32_e32 v39, v40, v41
	v_cndmask_b32_e64 v30, v30, v39, s[6:7]
	s_branch .LBB138_8
.LBB138_11:
	s_or_b64 exec, exec, s[28:29]
.LBB138_12:
	s_or_b64 exec, exec, s[26:27]
	v_xor_b32_e32 v2, 32, v7
	v_cmp_lt_i32_e32 vcc, v2, v8
	v_xor_b32_e32 v5, 16, v7
	v_max_f32_e32 v4, v30, v30
	v_cndmask_b32_e32 v2, v7, v2, vcc
	v_lshlrev_b32_e32 v2, 2, v2
	ds_bpermute_b32 v3, v2, v30
	v_cmp_lt_i32_e32 vcc, v5, v8
	v_xor_b32_e32 v9, 8, v7
	v_xor_b32_e32 v10, 4, v7
	v_and_b32_e32 v18, 63, v0
	s_waitcnt lgkmcnt(0)
	v_max_f32_e32 v3, v3, v3
	v_max_f32_e32 v4, v4, v3
	v_cndmask_b32_e32 v3, v7, v5, vcc
	v_lshlrev_b32_e32 v3, 2, v3
	ds_bpermute_b32 v5, v3, v4
	v_cmp_lt_i32_e32 vcc, v9, v8
	s_waitcnt lgkmcnt(0)
	v_max_f32_e32 v5, v5, v5
	v_max_f32_e32 v4, v4, v5
	v_cndmask_b32_e32 v5, v7, v9, vcc
	v_lshlrev_b32_e32 v9, 2, v5
	ds_bpermute_b32 v5, v9, v4
	v_cmp_lt_i32_e32 vcc, v10, v8
	s_waitcnt lgkmcnt(0)
	v_max_f32_e32 v5, v5, v5
	v_max_f32_e32 v5, v4, v5
	v_cndmask_b32_e32 v4, v7, v10, vcc
	v_lshlrev_b32_e32 v10, 2, v4
	ds_bpermute_b32 v11, v10, v5
	v_cmp_eq_u32_e32 vcc, 0, v18
	v_lshlrev_b32_e32 v4, 2, v1
	s_and_saveexec_b64 s[0:1], vcc
	s_cbranch_execz .LBB138_14
; %bb.13:
	s_waitcnt lgkmcnt(0)
	v_max_f32_e32 v11, v11, v11
	v_max_f32_e32 v5, v5, v5
	;; [unrolled: 1-line block ×3, first 2 shown]
	ds_write_b32 v4, v5 offset:192
.LBB138_14:
	s_or_b64 exec, exec, s[0:1]
	v_cmp_gt_u32_e64 s[0:1], 2, v18
	s_waitcnt lgkmcnt(0)
	v_mov_b32_e32 v11, 0xff7fffff
	v_lshlrev_b32_e32 v5, 2, v18
	s_barrier
	s_and_saveexec_b64 s[6:7], s[0:1]
	s_cbranch_execz .LBB138_16
; %bb.15:
	ds_read_b32 v11, v5 offset:192
.LBB138_16:
	s_or_b64 exec, exec, s[6:7]
	v_xor_b32_e32 v12, 1, v7
	v_cmp_lt_i32_e64 s[6:7], v12, v8
	v_lshlrev_b32_e32 v13, 2, v7
	s_nop 0
	v_cndmask_b32_e64 v12, v7, v12, s[6:7]
	v_lshlrev_b32_e32 v19, 2, v12
	s_waitcnt lgkmcnt(0)
	ds_bpermute_b32 v12, v19, v11
	v_max_f32_e32 v11, v11, v11
	s_lshl_b32 s6, s12, 4
	s_min_i32 s15, s6, s33
	v_cmp_gt_i32_e64 s[6:7], s15, v0
	s_waitcnt lgkmcnt(0)
	v_max_f32_e32 v12, v12, v12
	v_max_f32_e32 v12, v11, v12
	v_and_b32_e32 v11, 0xffffff00, v13
	ds_bpermute_b32 v13, v11, v12
	v_mov_b32_e32 v12, 0
	s_and_saveexec_b64 s[26:27], s[6:7]
	s_cbranch_execz .LBB138_20
; %bb.17:
	v_mov_b32_e32 v12, 0xd0
	v_lshl_add_u32 v14, v0, 2, v12
	s_mov_b64 s[28:29], 0
	v_mov_b32_e32 v12, 0
	v_mov_b32_e32 v15, v0
.LBB138_18:                             ; =>This Inner Loop Header: Depth=1
	ds_read_b32 v16, v14
	v_add_u32_e32 v15, 0x80, v15
	v_cmp_le_i32_e64 s[8:9], s15, v15
	s_or_b64 s[28:29], s[8:9], s[28:29]
	s_waitcnt lgkmcnt(0)
	v_sub_f32_e32 v16, v16, v13
	v_mul_f32_e32 v16, 0x3fb8aa3b, v16
	v_exp_f32_e32 v16, v16
	ds_write_b32 v14, v16
	v_add_f32_e32 v12, v12, v16
	v_add_u32_e32 v14, 0x200, v14
	s_andn2_b64 exec, exec, s[28:29]
	s_cbranch_execnz .LBB138_18
; %bb.19:
	s_or_b64 exec, exec, s[28:29]
.LBB138_20:
	s_or_b64 exec, exec, s[26:27]
	ds_bpermute_b32 v2, v2, v12
	s_waitcnt lgkmcnt(0)
	v_add_f32_e32 v2, v12, v2
	ds_bpermute_b32 v3, v3, v2
	s_waitcnt lgkmcnt(0)
	v_add_f32_e32 v2, v2, v3
	ds_bpermute_b32 v3, v9, v2
	v_xor_b32_e32 v9, 2, v7
	v_cmp_lt_i32_e64 s[8:9], v9, v8
	s_waitcnt lgkmcnt(0)
	v_add_f32_e32 v2, v2, v3
	ds_bpermute_b32 v3, v10, v2
	v_cndmask_b32_e64 v7, v7, v9, s[8:9]
	s_waitcnt lgkmcnt(0)
	v_add_f32_e32 v2, v2, v3
	v_lshlrev_b32_e32 v3, 2, v7
	ds_bpermute_b32 v3, v3, v2
	s_waitcnt lgkmcnt(0)
	v_add_f32_e32 v2, v2, v3
	ds_bpermute_b32 v3, v19, v2
	s_waitcnt lgkmcnt(0)
	v_add_f32_e32 v2, v2, v3
	s_and_saveexec_b64 s[8:9], vcc
	s_cbranch_execz .LBB138_22
; %bb.21:
	ds_write_b32 v4, v2 offset:200
.LBB138_22:
	s_or_b64 exec, exec, s[8:9]
	s_waitcnt lgkmcnt(0)
	s_barrier
	s_and_saveexec_b64 s[8:9], s[0:1]
	s_cbranch_execz .LBB138_24
; %bb.23:
	ds_read_b32 v2, v5 offset:200
.LBB138_24:
	s_or_b64 exec, exec, s[8:9]
	s_waitcnt lgkmcnt(0)
	ds_bpermute_b32 v3, v19, v2
	s_waitcnt lgkmcnt(0)
	v_add_f32_e32 v2, v2, v3
	ds_bpermute_b32 v2, v11, v2
	s_and_saveexec_b64 s[0:1], s[6:7]
	s_cbranch_execz .LBB138_37
; %bb.25:
	s_waitcnt lgkmcnt(0)
	v_add_f32_e32 v2, 0x358637bd, v2
	v_div_scale_f32 v3, s[6:7], v2, v2, 1.0
	v_rcp_f32_e32 v4, v3
	v_div_scale_f32 v5, vcc, 1.0, v2, 1.0
	s_movk_i32 s6, 0x7f
	v_fma_f32 v7, -v3, v4, 1.0
	v_fmac_f32_e32 v4, v7, v4
	v_mul_f32_e32 v7, v5, v4
	v_fma_f32 v8, -v3, v7, v5
	v_fmac_f32_e32 v7, v8, v4
	v_fma_f32 v3, -v3, v7, v5
	v_div_fmas_f32 v3, v3, v4, v7
	v_xad_u32 v4, v0, -1, s15
	v_div_fixup_f32 v2, v3, v2, 1.0
	v_cmp_lt_u32_e32 vcc, s6, v4
	s_mov_b64 s[8:9], -1
	v_mov_b32_e32 v3, v0
	s_and_saveexec_b64 s[6:7], vcc
	s_cbranch_execz .LBB138_34
; %bb.26:
	v_lshrrev_b32_e32 v4, 7, v4
	v_add_u32_e32 v7, -1, v4
	v_lshrrev_b32_e32 v5, 1, v7
	v_mov_b32_e32 v3, v2
	v_add_u32_e32 v5, 1, v5
	v_cmp_lt_u32_e32 vcc, 13, v7
	v_mov_b32_e32 v9, 0
	s_and_saveexec_b64 s[8:9], vcc
	s_cbranch_execz .LBB138_30
; %bb.27:
	v_mov_b32_e32 v8, 0xd0
	v_and_b32_e32 v7, -8, v5
	v_lshl_add_u32 v8, v0, 2, v8
	s_mov_b32 s17, 0
	s_mov_b64 s[26:27], 0
.LBB138_28:                             ; =>This Inner Loop Header: Depth=1
	ds_read2st64_b32 v[10:11], v8 offset1:2
	ds_read2st64_b32 v[12:13], v8 offset0:4 offset1:6
	ds_read2st64_b32 v[14:15], v8 offset0:8 offset1:10
	ds_read2st64_b32 v[16:17], v8 offset0:12 offset1:14
	v_add_u32_e32 v7, -8, v7
	s_waitcnt lgkmcnt(3)
	v_pk_mul_f32 v[10:11], v[2:3], v[10:11]
	s_waitcnt lgkmcnt(2)
	v_pk_mul_f32 v[12:13], v[2:3], v[12:13]
	ds_write2st64_b32 v8, v10, v11 offset1:2
	ds_write2st64_b32 v8, v12, v13 offset0:4 offset1:6
	ds_read2st64_b32 v[12:13], v8 offset0:16 offset1:18
	s_waitcnt lgkmcnt(4)
	v_pk_mul_f32 v[10:11], v[2:3], v[14:15]
	ds_write2st64_b32 v8, v10, v11 offset0:8 offset1:10
	s_waitcnt lgkmcnt(4)
	v_pk_mul_f32 v[10:11], v[2:3], v[16:17]
	ds_write2st64_b32 v8, v10, v11 offset0:12 offset1:14
	ds_read2st64_b32 v[10:11], v8 offset0:20 offset1:22
	s_waitcnt lgkmcnt(3)
	v_pk_mul_f32 v[12:13], v[2:3], v[12:13]
	ds_read2st64_b32 v[14:15], v8 offset0:24 offset1:26
	ds_write2st64_b32 v8, v12, v13 offset0:16 offset1:18
	ds_read2st64_b32 v[12:13], v8 offset0:28 offset1:30
	s_waitcnt lgkmcnt(3)
	v_pk_mul_f32 v[10:11], v[2:3], v[10:11]
	ds_write2st64_b32 v8, v10, v11 offset0:20 offset1:22
	s_waitcnt lgkmcnt(3)
	v_pk_mul_f32 v[10:11], v[2:3], v[14:15]
	ds_write2st64_b32 v8, v10, v11 offset0:24 offset1:26
	s_waitcnt lgkmcnt(2)
	v_pk_mul_f32 v[10:11], v[2:3], v[12:13]
	s_add_i32 s17, s17, 16
	v_cmp_eq_u32_e32 vcc, 0, v7
	ds_write2st64_b32 v8, v10, v11 offset0:28 offset1:30
	v_add_u32_e32 v8, 0x2000, v8
	s_or_b64 s[26:27], vcc, s[26:27]
	v_mov_b32_e32 v9, s17
	s_andn2_b64 exec, exec, s[26:27]
	s_cbranch_execnz .LBB138_28
; %bb.29:
	s_or_b64 exec, exec, s[26:27]
.LBB138_30:
	s_or_b64 exec, exec, s[8:9]
	v_and_b32_e32 v5, 7, v5
	v_cmp_ne_u32_e32 vcc, 0, v5
	s_and_saveexec_b64 s[8:9], vcc
	s_cbranch_execz .LBB138_33
; %bb.31:
	v_lshlrev_b32_e32 v7, 9, v9
	v_lshlrev_b32_e32 v8, 2, v0
	s_movk_i32 s17, 0xd0
	v_add3_u32 v7, v7, v8, s17
	s_mov_b64 s[26:27], 0
.LBB138_32:                             ; =>This Inner Loop Header: Depth=1
	ds_read2st64_b32 v[8:9], v7 offset1:2
	v_add_u32_e32 v5, -1, v5
	v_cmp_eq_u32_e32 vcc, 0, v5
	s_or_b64 s[26:27], vcc, s[26:27]
	s_waitcnt lgkmcnt(0)
	v_pk_mul_f32 v[8:9], v[2:3], v[8:9]
	ds_write2st64_b32 v7, v8, v9 offset1:2
	v_add_u32_e32 v7, 0x400, v7
	s_andn2_b64 exec, exec, s[26:27]
	s_cbranch_execnz .LBB138_32
.LBB138_33:
	s_or_b64 exec, exec, s[8:9]
	v_add_u32_e32 v4, 1, v4
	v_and_b32_e32 v5, 0x3fffffe, v4
	v_cmp_ne_u32_e32 vcc, v4, v5
	v_lshl_add_u32 v3, v5, 7, v0
	s_orn2_b64 s[8:9], vcc, exec
.LBB138_34:
	s_or_b64 exec, exec, s[6:7]
	s_and_b64 exec, exec, s[8:9]
	s_cbranch_execz .LBB138_37
; %bb.35:
	v_mov_b32_e32 v4, 0xd0
	v_lshl_add_u32 v4, v3, 2, v4
	s_mov_b64 s[6:7], 0
.LBB138_36:                             ; =>This Inner Loop Header: Depth=1
	ds_read_b32 v5, v4
	v_add_u32_e32 v3, 0x80, v3
	v_cmp_le_i32_e32 vcc, s15, v3
	s_or_b64 s[6:7], vcc, s[6:7]
	s_waitcnt lgkmcnt(0)
	v_mul_f32_e32 v5, v2, v5
	ds_write_b32 v4, v5
	v_add_u32_e32 v4, 0x200, v4
	s_andn2_b64 exec, exec, s[6:7]
	s_cbranch_execnz .LBB138_36
.LBB138_37:
	s_or_b64 exec, exec, s[0:1]
	v_mov_b32_e32 v12, 0
	v_and_b32_e32 v20, 1, v0
	v_mov_b32_e32 v11, 0
	v_mov_b32_e32 v10, 0
	s_waitcnt lgkmcnt(0)
	s_barrier
	s_and_saveexec_b64 s[6:7], s[2:3]
	s_cbranch_execz .LBB138_175
; %bb.38:
	s_ashr_i32 s15, s14, 31
	s_lshl_b64 s[0:1], s[14:15], 1
	s_add_u32 s0, s24, s0
	v_lshlrev_b32_e32 v3, 4, v0
	v_lshlrev_b32_e32 v2, 3, v0
	s_addc_u32 s1, s25, s1
	v_and_b32_e32 v12, 0x3f0, v3
	v_mov_b32_e32 v13, 0
	v_and_b32_e32 v2, 8, v2
	s_add_i32 s14, s12, -1
	v_lshl_add_u64 v[14:15], s[0:1], 0, v[12:13]
	v_lshlrev_b32_e32 v3, 4, v1
	s_lshl_b64 s[0:1], s[22:23], 2
	v_or3_b32 v21, v3, v2, 7
	v_lshlrev_b32_e32 v2, 5, v20
	s_add_u32 s0, s20, s0
	v_lshl_or_b32 v2, v1, 6, v2
	v_and_b32_e32 v12, 60, v6
	s_addc_u32 s1, s21, s1
	v_add_u32_e32 v22, 0xd0, v2
	v_lshl_add_u64 v[16:17], s[0:1], 0, v[12:13]
	s_mov_b64 s[2:3], 0
	s_mov_b32 s15, 0x7f800000
	s_movk_i32 s17, 0x7fff
	v_mov_b32_e32 v10, 0
	v_mov_b32_e32 v11, 0
	;; [unrolled: 1-line block ×3, first 2 shown]
	s_branch .LBB138_40
.LBB138_39:                             ;   in Loop: Header=BB138_40 Depth=1
	s_or_b64 exec, exec, s[0:1]
	v_and_b32_e32 v30, 0xffff0000, v26
	v_and_b32_e32 v26, 0xffff0000, v25
	v_and_b32_e32 v25, 0xffff0000, v24
	v_and_b32_e32 v24, 0xffff0000, v9
	v_and_b32_e32 v9, 0xffff0000, v23
	v_and_b32_e32 v8, 0xffff0000, v8
	v_and_b32_e32 v31, 0xffff0000, v35
	v_and_b32_e32 v27, 0xffff0000, v27
	v_pk_add_f32 v[8:9], v[8:9], v[24:25]
	v_pk_add_f32 v[24:25], v[26:27], v[30:31]
	v_add_f32_e32 v8, v8, v9
	v_add_f32_e32 v8, v8, v24
	v_add_f32_e32 v8, v8, v25
	v_and_b32_e32 v27, 0xffff0000, v47
	v_and_b32_e32 v26, 0xffff0000, v45
	;; [unrolled: 1-line block ×4, first 2 shown]
	v_add_f32_e32 v10, v10, v8
	v_and_b32_e32 v9, 0xffff0000, v51
	v_and_b32_e32 v8, 0xffff0000, v49
	;; [unrolled: 1-line block ×4, first 2 shown]
	v_pk_add_f32 v[26:27], v[30:31], v[26:27]
	v_pk_add_f32 v[8:9], v[24:25], v[8:9]
	v_add_f32_e32 v23, v26, v27
	v_add_f32_e32 v8, v23, v8
	;; [unrolled: 1-line block ×3, first 2 shown]
	v_and_b32_e32 v25, 0xffff0000, v28
	v_and_b32_e32 v24, 0xffff0000, v7
	;; [unrolled: 1-line block ×4, first 2 shown]
	v_add_f32_e32 v11, v11, v8
	v_and_b32_e32 v9, 0xffff0000, v6
	v_and_b32_e32 v8, 0xffff0000, v29
	v_and_b32_e32 v5, 0xffff0000, v5
	v_and_b32_e32 v4, 0xffff0000, v4
	v_pk_add_f32 v[2:3], v[2:3], v[24:25]
	v_pk_add_f32 v[4:5], v[4:5], v[8:9]
	v_add_f32_e32 v2, v2, v3
	v_add_f32_e32 v2, v2, v4
	v_add_u32_e32 v1, 2, v1
	v_add_f32_e32 v2, v2, v5
	v_cmp_le_i32_e32 vcc, s12, v1
	v_add_f32_e32 v12, v12, v2
	v_add_u32_e32 v21, 32, v21
	v_add_u32_e32 v22, 0x80, v22
	s_or_b64 s[2:3], vcc, s[2:3]
	v_lshl_add_u64 v[16:17], v[16:17], 0, 8
	s_andn2_b64 exec, exec, s[2:3]
	s_cbranch_execz .LBB138_174
.LBB138_40:                             ; =>This Inner Loop Header: Depth=1
	global_load_dword v28, v[16:17], off
	ds_read2_b64 v[6:9], v22 offset1:1
	ds_read2_b64 v[2:5], v22 offset0:2 offset1:3
                                        ; implicit-def: $vgpr36
	s_waitcnt lgkmcnt(1)
	v_and_b32_e32 v23, 0x7f800000, v6
	v_cmp_ne_u32_e32 vcc, s15, v23
	s_and_saveexec_b64 s[0:1], vcc
	s_xor_b64 s[0:1], exec, s[0:1]
; %bb.41:                               ;   in Loop: Header=BB138_40 Depth=1
	v_bfe_u32 v23, v6, 16, 1
	v_add3_u32 v36, v6, v23, s17
; %bb.42:                               ;   in Loop: Header=BB138_40 Depth=1
	s_andn2_saveexec_b64 s[0:1], s[0:1]
; %bb.43:                               ;   in Loop: Header=BB138_40 Depth=1
	v_or_b32_e32 v23, 0x10000, v6
	v_cmp_eq_u32_sdwa vcc, v6, v13 src0_sel:WORD_0 src1_sel:DWORD
	s_nop 1
	v_cndmask_b32_e32 v36, v23, v6, vcc
; %bb.44:                               ;   in Loop: Header=BB138_40 Depth=1
	s_or_b64 exec, exec, s[0:1]
	v_and_b32_e32 v6, 0x7f800000, v7
	v_cmp_ne_u32_e32 vcc, s15, v6
                                        ; implicit-def: $vgpr37
	s_and_saveexec_b64 s[0:1], vcc
	s_xor_b64 s[0:1], exec, s[0:1]
; %bb.45:                               ;   in Loop: Header=BB138_40 Depth=1
	v_bfe_u32 v6, v7, 16, 1
	v_add3_u32 v37, v7, v6, s17
; %bb.46:                               ;   in Loop: Header=BB138_40 Depth=1
	s_andn2_saveexec_b64 s[0:1], s[0:1]
; %bb.47:                               ;   in Loop: Header=BB138_40 Depth=1
	v_or_b32_e32 v6, 0x10000, v7
	v_cmp_eq_u32_sdwa vcc, v7, v13 src0_sel:WORD_0 src1_sel:DWORD
	s_nop 1
	v_cndmask_b32_e32 v37, v6, v7, vcc
; %bb.48:                               ;   in Loop: Header=BB138_40 Depth=1
	s_or_b64 exec, exec, s[0:1]
	v_and_b32_e32 v6, 0x7f800000, v8
	v_cmp_ne_u32_e32 vcc, s15, v6
                                        ; implicit-def: $vgpr23
	s_and_saveexec_b64 s[0:1], vcc
	s_xor_b64 s[0:1], exec, s[0:1]
; %bb.49:                               ;   in Loop: Header=BB138_40 Depth=1
	v_bfe_u32 v6, v8, 16, 1
	v_add3_u32 v23, v8, v6, s17
; %bb.50:                               ;   in Loop: Header=BB138_40 Depth=1
	s_andn2_saveexec_b64 s[0:1], s[0:1]
; %bb.51:                               ;   in Loop: Header=BB138_40 Depth=1
	v_or_b32_e32 v6, 0x10000, v8
	v_cmp_eq_u32_sdwa vcc, v8, v13 src0_sel:WORD_0 src1_sel:DWORD
	s_nop 1
	v_cndmask_b32_e32 v23, v6, v8, vcc
; %bb.52:                               ;   in Loop: Header=BB138_40 Depth=1
	s_or_b64 exec, exec, s[0:1]
	v_and_b32_e32 v6, 0x7f800000, v9
	v_cmp_ne_u32_e32 vcc, s15, v6
                                        ; implicit-def: $vgpr24
	s_and_saveexec_b64 s[0:1], vcc
	s_xor_b64 s[0:1], exec, s[0:1]
; %bb.53:                               ;   in Loop: Header=BB138_40 Depth=1
	v_bfe_u32 v6, v9, 16, 1
	v_add3_u32 v24, v9, v6, s17
                                        ; implicit-def: $vgpr6_vgpr7_vgpr8_vgpr9
; %bb.54:                               ;   in Loop: Header=BB138_40 Depth=1
	s_andn2_saveexec_b64 s[0:1], s[0:1]
; %bb.55:                               ;   in Loop: Header=BB138_40 Depth=1
	v_or_b32_e32 v6, 0x10000, v9
	v_cmp_eq_u32_sdwa vcc, v9, v13 src0_sel:WORD_0 src1_sel:DWORD
	s_nop 1
	v_cndmask_b32_e32 v24, v6, v9, vcc
; %bb.56:                               ;   in Loop: Header=BB138_40 Depth=1
	s_or_b64 exec, exec, s[0:1]
	s_waitcnt lgkmcnt(0)
	v_and_b32_e32 v6, 0x7f800000, v2
	v_cmp_ne_u32_e32 vcc, s15, v6
                                        ; implicit-def: $vgpr25
	s_and_saveexec_b64 s[0:1], vcc
	s_xor_b64 s[0:1], exec, s[0:1]
; %bb.57:                               ;   in Loop: Header=BB138_40 Depth=1
	v_bfe_u32 v6, v2, 16, 1
	v_add3_u32 v25, v2, v6, s17
; %bb.58:                               ;   in Loop: Header=BB138_40 Depth=1
	s_andn2_saveexec_b64 s[0:1], s[0:1]
; %bb.59:                               ;   in Loop: Header=BB138_40 Depth=1
	v_or_b32_e32 v6, 0x10000, v2
	v_cmp_eq_u32_sdwa vcc, v2, v13 src0_sel:WORD_0 src1_sel:DWORD
	s_nop 1
	v_cndmask_b32_e32 v25, v6, v2, vcc
; %bb.60:                               ;   in Loop: Header=BB138_40 Depth=1
	s_or_b64 exec, exec, s[0:1]
	v_and_b32_e32 v2, 0x7f800000, v3
	v_cmp_ne_u32_e32 vcc, s15, v2
                                        ; implicit-def: $vgpr26
	s_and_saveexec_b64 s[0:1], vcc
	s_xor_b64 s[0:1], exec, s[0:1]
; %bb.61:                               ;   in Loop: Header=BB138_40 Depth=1
	v_bfe_u32 v2, v3, 16, 1
	v_add3_u32 v26, v3, v2, s17
; %bb.62:                               ;   in Loop: Header=BB138_40 Depth=1
	s_andn2_saveexec_b64 s[0:1], s[0:1]
; %bb.63:                               ;   in Loop: Header=BB138_40 Depth=1
	v_or_b32_e32 v2, 0x10000, v3
	v_cmp_eq_u32_sdwa vcc, v3, v13 src0_sel:WORD_0 src1_sel:DWORD
	s_nop 1
	v_cndmask_b32_e32 v26, v2, v3, vcc
; %bb.64:                               ;   in Loop: Header=BB138_40 Depth=1
	s_or_b64 exec, exec, s[0:1]
	v_and_b32_e32 v2, 0x7f800000, v4
	v_cmp_ne_u32_e32 vcc, s15, v2
                                        ; implicit-def: $vgpr27
	s_and_saveexec_b64 s[0:1], vcc
	s_xor_b64 s[0:1], exec, s[0:1]
; %bb.65:                               ;   in Loop: Header=BB138_40 Depth=1
	v_bfe_u32 v2, v4, 16, 1
	v_add3_u32 v27, v4, v2, s17
; %bb.66:                               ;   in Loop: Header=BB138_40 Depth=1
	s_andn2_saveexec_b64 s[0:1], s[0:1]
; %bb.67:                               ;   in Loop: Header=BB138_40 Depth=1
	v_or_b32_e32 v2, 0x10000, v4
	v_cmp_eq_u32_sdwa vcc, v4, v13 src0_sel:WORD_0 src1_sel:DWORD
	s_nop 1
	v_cndmask_b32_e32 v27, v2, v4, vcc
; %bb.68:                               ;   in Loop: Header=BB138_40 Depth=1
	s_or_b64 exec, exec, s[0:1]
	v_and_b32_e32 v2, 0x7f800000, v5
	v_cmp_ne_u32_e32 vcc, s15, v2
                                        ; implicit-def: $vgpr35
	s_and_saveexec_b64 s[0:1], vcc
	s_xor_b64 s[0:1], exec, s[0:1]
; %bb.69:                               ;   in Loop: Header=BB138_40 Depth=1
	v_bfe_u32 v2, v5, 16, 1
	v_add3_u32 v35, v5, v2, s17
                                        ; implicit-def: $vgpr2_vgpr3_vgpr4_vgpr5
; %bb.70:                               ;   in Loop: Header=BB138_40 Depth=1
	s_andn2_saveexec_b64 s[0:1], s[0:1]
; %bb.71:                               ;   in Loop: Header=BB138_40 Depth=1
	v_or_b32_e32 v2, 0x10000, v5
	v_cmp_eq_u32_sdwa vcc, v5, v13 src0_sel:WORD_0 src1_sel:DWORD
	s_nop 1
	v_cndmask_b32_e32 v35, v2, v5, vcc
; %bb.72:                               ;   in Loop: Header=BB138_40 Depth=1
	s_or_b64 exec, exec, s[0:1]
	s_waitcnt vmcnt(0)
	v_mad_i64_i32 v[2:3], s[0:1], v28, s13, 0
	v_lshl_add_u64 v[6:7], v[2:3], 1, v[14:15]
	global_load_dwordx4 v[2:5], v[6:7], off
	v_add_u32_e32 v28, -7, v21
	v_cmp_eq_u32_e32 vcc, s14, v1
	v_add_u32_e32 v34, -6, v21
	v_add_u32_e32 v32, -5, v21
	;; [unrolled: 1-line block ×6, first 2 shown]
	s_waitcnt vmcnt(0)
	v_lshrrev_b32_e32 v9, 16, v2
	v_lshrrev_b32_e32 v40, 16, v3
	;; [unrolled: 1-line block ×4, first 2 shown]
	s_and_saveexec_b64 s[8:9], vcc
	s_cbranch_execz .LBB138_74
; %bb.73:                               ;   in Loop: Header=BB138_40 Depth=1
	v_cmp_gt_i32_e64 s[0:1], s33, v28
	s_nop 1
	v_cndmask_b32_e64 v2, 0, v2, s[0:1]
	v_cmp_gt_i32_e64 s[0:1], s33, v34
	s_nop 1
	v_cndmask_b32_e64 v9, 0, v9, s[0:1]
	;; [unrolled: 3-line block ×8, first 2 shown]
.LBB138_74:                             ;   in Loop: Header=BB138_40 Depth=1
	s_or_b64 exec, exec, s[8:9]
	v_and_b32_e32 v36, 0xffff0000, v36
	v_lshlrev_b32_e32 v2, 16, v2
	v_mul_f32_e32 v2, v36, v2
	v_and_b32_e32 v8, 0x7f800000, v2
	v_cmp_ne_u32_e64 s[0:1], s15, v8
                                        ; implicit-def: $vgpr8
	s_and_saveexec_b64 s[8:9], s[0:1]
	s_xor_b64 s[0:1], exec, s[8:9]
; %bb.75:                               ;   in Loop: Header=BB138_40 Depth=1
	v_bfe_u32 v8, v2, 16, 1
	v_add3_u32 v8, v2, v8, s17
                                        ; implicit-def: $vgpr2
; %bb.76:                               ;   in Loop: Header=BB138_40 Depth=1
	s_andn2_saveexec_b64 s[8:9], s[0:1]
; %bb.77:                               ;   in Loop: Header=BB138_40 Depth=1
	v_or_b32_e32 v8, 0x10000, v2
	v_cmp_eq_u32_sdwa s[0:1], v2, v13 src0_sel:WORD_0 src1_sel:DWORD
	s_nop 1
	v_cndmask_b32_e64 v8, v8, v2, s[0:1]
; %bb.78:                               ;   in Loop: Header=BB138_40 Depth=1
	s_or_b64 exec, exec, s[8:9]
	v_and_b32_e32 v37, 0xffff0000, v37
	v_lshlrev_b32_e32 v2, 16, v9
	v_mul_f32_e32 v2, v37, v2
	v_and_b32_e32 v9, 0x7f800000, v2
	v_cmp_ne_u32_e64 s[0:1], s15, v9
                                        ; implicit-def: $vgpr9
	s_and_saveexec_b64 s[8:9], s[0:1]
	s_xor_b64 s[0:1], exec, s[8:9]
; %bb.79:                               ;   in Loop: Header=BB138_40 Depth=1
	v_bfe_u32 v9, v2, 16, 1
	v_add3_u32 v9, v2, v9, s17
                                        ; implicit-def: $vgpr2
; %bb.80:                               ;   in Loop: Header=BB138_40 Depth=1
	s_andn2_saveexec_b64 s[8:9], s[0:1]
; %bb.81:                               ;   in Loop: Header=BB138_40 Depth=1
	v_or_b32_e32 v9, 0x10000, v2
	v_cmp_eq_u32_sdwa s[0:1], v2, v13 src0_sel:WORD_0 src1_sel:DWORD
	s_nop 1
	v_cndmask_b32_e64 v9, v9, v2, s[0:1]
; %bb.82:                               ;   in Loop: Header=BB138_40 Depth=1
	s_or_b64 exec, exec, s[8:9]
	v_and_b32_e32 v38, 0xffff0000, v23
	v_lshlrev_b32_e32 v2, 16, v3
	v_mul_f32_e32 v2, v38, v2
	v_and_b32_e32 v3, 0x7f800000, v2
	v_cmp_ne_u32_e64 s[0:1], s15, v3
                                        ; implicit-def: $vgpr23
	s_and_saveexec_b64 s[8:9], s[0:1]
	s_xor_b64 s[0:1], exec, s[8:9]
; %bb.83:                               ;   in Loop: Header=BB138_40 Depth=1
	v_bfe_u32 v3, v2, 16, 1
	v_add3_u32 v23, v2, v3, s17
                                        ; implicit-def: $vgpr2
; %bb.84:                               ;   in Loop: Header=BB138_40 Depth=1
	s_andn2_saveexec_b64 s[8:9], s[0:1]
; %bb.85:                               ;   in Loop: Header=BB138_40 Depth=1
	v_or_b32_e32 v3, 0x10000, v2
	v_cmp_eq_u32_sdwa s[0:1], v2, v13 src0_sel:WORD_0 src1_sel:DWORD
	s_nop 1
	v_cndmask_b32_e64 v23, v3, v2, s[0:1]
; %bb.86:                               ;   in Loop: Header=BB138_40 Depth=1
	s_or_b64 exec, exec, s[8:9]
	v_and_b32_e32 v39, 0xffff0000, v24
	v_lshlrev_b32_e32 v2, 16, v40
	v_mul_f32_e32 v2, v39, v2
	v_and_b32_e32 v3, 0x7f800000, v2
	v_cmp_ne_u32_e64 s[0:1], s15, v3
                                        ; implicit-def: $vgpr24
	s_and_saveexec_b64 s[8:9], s[0:1]
	s_xor_b64 s[0:1], exec, s[8:9]
; %bb.87:                               ;   in Loop: Header=BB138_40 Depth=1
	v_bfe_u32 v3, v2, 16, 1
	v_add3_u32 v24, v2, v3, s17
                                        ; implicit-def: $vgpr2
; %bb.88:                               ;   in Loop: Header=BB138_40 Depth=1
	s_andn2_saveexec_b64 s[8:9], s[0:1]
; %bb.89:                               ;   in Loop: Header=BB138_40 Depth=1
	v_or_b32_e32 v3, 0x10000, v2
	v_cmp_eq_u32_sdwa s[0:1], v2, v13 src0_sel:WORD_0 src1_sel:DWORD
	s_nop 1
	v_cndmask_b32_e64 v24, v3, v2, s[0:1]
; %bb.90:                               ;   in Loop: Header=BB138_40 Depth=1
	s_or_b64 exec, exec, s[8:9]
	v_and_b32_e32 v40, 0xffff0000, v25
	v_lshlrev_b32_e32 v2, 16, v4
	v_mul_f32_e32 v2, v40, v2
	v_and_b32_e32 v3, 0x7f800000, v2
	v_cmp_ne_u32_e64 s[0:1], s15, v3
                                        ; implicit-def: $vgpr25
	s_and_saveexec_b64 s[8:9], s[0:1]
	s_xor_b64 s[0:1], exec, s[8:9]
; %bb.91:                               ;   in Loop: Header=BB138_40 Depth=1
	v_bfe_u32 v3, v2, 16, 1
	v_add3_u32 v25, v2, v3, s17
                                        ; implicit-def: $vgpr2
; %bb.92:                               ;   in Loop: Header=BB138_40 Depth=1
	s_andn2_saveexec_b64 s[8:9], s[0:1]
; %bb.93:                               ;   in Loop: Header=BB138_40 Depth=1
	v_or_b32_e32 v3, 0x10000, v2
	v_cmp_eq_u32_sdwa s[0:1], v2, v13 src0_sel:WORD_0 src1_sel:DWORD
	s_nop 1
	v_cndmask_b32_e64 v25, v3, v2, s[0:1]
; %bb.94:                               ;   in Loop: Header=BB138_40 Depth=1
	s_or_b64 exec, exec, s[8:9]
	v_and_b32_e32 v41, 0xffff0000, v26
	v_lshlrev_b32_e32 v2, 16, v42
	v_mul_f32_e32 v2, v41, v2
	v_and_b32_e32 v3, 0x7f800000, v2
	v_cmp_ne_u32_e64 s[0:1], s15, v3
                                        ; implicit-def: $vgpr26
	s_and_saveexec_b64 s[8:9], s[0:1]
	s_xor_b64 s[0:1], exec, s[8:9]
; %bb.95:                               ;   in Loop: Header=BB138_40 Depth=1
	v_bfe_u32 v3, v2, 16, 1
	v_add3_u32 v26, v2, v3, s17
                                        ; implicit-def: $vgpr2
; %bb.96:                               ;   in Loop: Header=BB138_40 Depth=1
	s_andn2_saveexec_b64 s[8:9], s[0:1]
; %bb.97:                               ;   in Loop: Header=BB138_40 Depth=1
	v_or_b32_e32 v3, 0x10000, v2
	v_cmp_eq_u32_sdwa s[0:1], v2, v13 src0_sel:WORD_0 src1_sel:DWORD
	s_nop 1
	v_cndmask_b32_e64 v26, v3, v2, s[0:1]
; %bb.98:                               ;   in Loop: Header=BB138_40 Depth=1
	s_or_b64 exec, exec, s[8:9]
	v_and_b32_e32 v42, 0xffff0000, v27
	v_lshlrev_b32_e32 v2, 16, v5
	v_mul_f32_e32 v2, v42, v2
	v_and_b32_e32 v3, 0x7f800000, v2
	v_cmp_ne_u32_e64 s[0:1], s15, v3
                                        ; implicit-def: $vgpr27
	s_and_saveexec_b64 s[8:9], s[0:1]
	s_xor_b64 s[0:1], exec, s[8:9]
; %bb.99:                               ;   in Loop: Header=BB138_40 Depth=1
	v_bfe_u32 v3, v2, 16, 1
	v_add3_u32 v27, v2, v3, s17
                                        ; implicit-def: $vgpr2
; %bb.100:                              ;   in Loop: Header=BB138_40 Depth=1
	s_andn2_saveexec_b64 s[8:9], s[0:1]
; %bb.101:                              ;   in Loop: Header=BB138_40 Depth=1
	v_or_b32_e32 v3, 0x10000, v2
	v_cmp_eq_u32_sdwa s[0:1], v2, v13 src0_sel:WORD_0 src1_sel:DWORD
	s_nop 1
	v_cndmask_b32_e64 v27, v3, v2, s[0:1]
; %bb.102:                              ;   in Loop: Header=BB138_40 Depth=1
	s_or_b64 exec, exec, s[8:9]
	v_and_b32_e32 v43, 0xffff0000, v35
	v_lshlrev_b32_e32 v2, 16, v44
	v_mul_f32_e32 v2, v43, v2
	v_and_b32_e32 v3, 0x7f800000, v2
	v_cmp_ne_u32_e64 s[0:1], s15, v3
                                        ; implicit-def: $vgpr35
	s_and_saveexec_b64 s[8:9], s[0:1]
	s_xor_b64 s[0:1], exec, s[8:9]
; %bb.103:                              ;   in Loop: Header=BB138_40 Depth=1
	v_bfe_u32 v3, v2, 16, 1
	v_add3_u32 v35, v2, v3, s17
                                        ; implicit-def: $vgpr2
; %bb.104:                              ;   in Loop: Header=BB138_40 Depth=1
	s_andn2_saveexec_b64 s[8:9], s[0:1]
; %bb.105:                              ;   in Loop: Header=BB138_40 Depth=1
	v_or_b32_e32 v3, 0x10000, v2
	v_cmp_eq_u32_sdwa s[0:1], v2, v13 src0_sel:WORD_0 src1_sel:DWORD
	s_nop 1
	v_cndmask_b32_e64 v35, v3, v2, s[0:1]
; %bb.106:                              ;   in Loop: Header=BB138_40 Depth=1
	s_or_b64 exec, exec, s[8:9]
	global_load_dwordx4 v[2:5], v[6:7], off offset:1024
	s_waitcnt vmcnt(0)
	v_lshrrev_b32_e32 v45, 16, v2
	v_lshrrev_b32_e32 v47, 16, v3
	;; [unrolled: 1-line block ×4, first 2 shown]
	s_and_saveexec_b64 s[8:9], vcc
	s_cbranch_execz .LBB138_108
; %bb.107:                              ;   in Loop: Header=BB138_40 Depth=1
	v_cmp_gt_i32_e64 s[0:1], s33, v28
	s_nop 1
	v_cndmask_b32_e64 v2, 0, v2, s[0:1]
	v_cmp_gt_i32_e64 s[0:1], s33, v34
	s_nop 1
	v_cndmask_b32_e64 v45, 0, v45, s[0:1]
	;; [unrolled: 3-line block ×8, first 2 shown]
.LBB138_108:                            ;   in Loop: Header=BB138_40 Depth=1
	s_or_b64 exec, exec, s[8:9]
	v_lshlrev_b32_e32 v2, 16, v2
	v_mul_f32_e32 v2, v36, v2
	v_and_b32_e32 v44, 0x7f800000, v2
	v_cmp_ne_u32_e64 s[0:1], s15, v44
                                        ; implicit-def: $vgpr44
	s_and_saveexec_b64 s[8:9], s[0:1]
	s_xor_b64 s[0:1], exec, s[8:9]
; %bb.109:                              ;   in Loop: Header=BB138_40 Depth=1
	v_bfe_u32 v44, v2, 16, 1
	v_add3_u32 v44, v2, v44, s17
                                        ; implicit-def: $vgpr2
; %bb.110:                              ;   in Loop: Header=BB138_40 Depth=1
	s_andn2_saveexec_b64 s[8:9], s[0:1]
; %bb.111:                              ;   in Loop: Header=BB138_40 Depth=1
	v_or_b32_e32 v44, 0x10000, v2
	v_cmp_eq_u32_sdwa s[0:1], v2, v13 src0_sel:WORD_0 src1_sel:DWORD
	s_nop 1
	v_cndmask_b32_e64 v44, v44, v2, s[0:1]
; %bb.112:                              ;   in Loop: Header=BB138_40 Depth=1
	s_or_b64 exec, exec, s[8:9]
	v_lshlrev_b32_e32 v2, 16, v45
	v_mul_f32_e32 v2, v37, v2
	v_and_b32_e32 v45, 0x7f800000, v2
	v_cmp_ne_u32_e64 s[0:1], s15, v45
                                        ; implicit-def: $vgpr45
	s_and_saveexec_b64 s[8:9], s[0:1]
	s_xor_b64 s[0:1], exec, s[8:9]
; %bb.113:                              ;   in Loop: Header=BB138_40 Depth=1
	v_bfe_u32 v45, v2, 16, 1
	v_add3_u32 v45, v2, v45, s17
                                        ; implicit-def: $vgpr2
; %bb.114:                              ;   in Loop: Header=BB138_40 Depth=1
	s_andn2_saveexec_b64 s[8:9], s[0:1]
; %bb.115:                              ;   in Loop: Header=BB138_40 Depth=1
	v_or_b32_e32 v45, 0x10000, v2
	v_cmp_eq_u32_sdwa s[0:1], v2, v13 src0_sel:WORD_0 src1_sel:DWORD
	s_nop 1
	v_cndmask_b32_e64 v45, v45, v2, s[0:1]
; %bb.116:                              ;   in Loop: Header=BB138_40 Depth=1
	s_or_b64 exec, exec, s[8:9]
	v_lshlrev_b32_e32 v2, 16, v3
	v_mul_f32_e32 v2, v38, v2
	v_and_b32_e32 v3, 0x7f800000, v2
	v_cmp_ne_u32_e64 s[0:1], s15, v3
                                        ; implicit-def: $vgpr46
	s_and_saveexec_b64 s[8:9], s[0:1]
	s_xor_b64 s[0:1], exec, s[8:9]
; %bb.117:                              ;   in Loop: Header=BB138_40 Depth=1
	v_bfe_u32 v3, v2, 16, 1
	v_add3_u32 v46, v2, v3, s17
                                        ; implicit-def: $vgpr2
; %bb.118:                              ;   in Loop: Header=BB138_40 Depth=1
	s_andn2_saveexec_b64 s[8:9], s[0:1]
; %bb.119:                              ;   in Loop: Header=BB138_40 Depth=1
	v_or_b32_e32 v3, 0x10000, v2
	v_cmp_eq_u32_sdwa s[0:1], v2, v13 src0_sel:WORD_0 src1_sel:DWORD
	s_nop 1
	v_cndmask_b32_e64 v46, v3, v2, s[0:1]
; %bb.120:                              ;   in Loop: Header=BB138_40 Depth=1
	s_or_b64 exec, exec, s[8:9]
	v_lshlrev_b32_e32 v2, 16, v47
	v_mul_f32_e32 v2, v39, v2
	v_and_b32_e32 v3, 0x7f800000, v2
	v_cmp_ne_u32_e64 s[0:1], s15, v3
                                        ; implicit-def: $vgpr47
	s_and_saveexec_b64 s[8:9], s[0:1]
	s_xor_b64 s[0:1], exec, s[8:9]
; %bb.121:                              ;   in Loop: Header=BB138_40 Depth=1
	v_bfe_u32 v3, v2, 16, 1
	v_add3_u32 v47, v2, v3, s17
                                        ; implicit-def: $vgpr2
; %bb.122:                              ;   in Loop: Header=BB138_40 Depth=1
	s_andn2_saveexec_b64 s[8:9], s[0:1]
; %bb.123:                              ;   in Loop: Header=BB138_40 Depth=1
	v_or_b32_e32 v3, 0x10000, v2
	v_cmp_eq_u32_sdwa s[0:1], v2, v13 src0_sel:WORD_0 src1_sel:DWORD
	s_nop 1
	v_cndmask_b32_e64 v47, v3, v2, s[0:1]
; %bb.124:                              ;   in Loop: Header=BB138_40 Depth=1
	s_or_b64 exec, exec, s[8:9]
	v_lshlrev_b32_e32 v2, 16, v4
	v_mul_f32_e32 v2, v40, v2
	v_and_b32_e32 v3, 0x7f800000, v2
	v_cmp_ne_u32_e64 s[0:1], s15, v3
                                        ; implicit-def: $vgpr48
	s_and_saveexec_b64 s[8:9], s[0:1]
	s_xor_b64 s[0:1], exec, s[8:9]
; %bb.125:                              ;   in Loop: Header=BB138_40 Depth=1
	v_bfe_u32 v3, v2, 16, 1
	v_add3_u32 v48, v2, v3, s17
                                        ; implicit-def: $vgpr2
; %bb.126:                              ;   in Loop: Header=BB138_40 Depth=1
	s_andn2_saveexec_b64 s[8:9], s[0:1]
; %bb.127:                              ;   in Loop: Header=BB138_40 Depth=1
	v_or_b32_e32 v3, 0x10000, v2
	v_cmp_eq_u32_sdwa s[0:1], v2, v13 src0_sel:WORD_0 src1_sel:DWORD
	s_nop 1
	v_cndmask_b32_e64 v48, v3, v2, s[0:1]
; %bb.128:                              ;   in Loop: Header=BB138_40 Depth=1
	s_or_b64 exec, exec, s[8:9]
	v_lshlrev_b32_e32 v2, 16, v49
	v_mul_f32_e32 v2, v41, v2
	v_and_b32_e32 v3, 0x7f800000, v2
	v_cmp_ne_u32_e64 s[0:1], s15, v3
                                        ; implicit-def: $vgpr49
	s_and_saveexec_b64 s[8:9], s[0:1]
	s_xor_b64 s[0:1], exec, s[8:9]
; %bb.129:                              ;   in Loop: Header=BB138_40 Depth=1
	v_bfe_u32 v3, v2, 16, 1
	v_add3_u32 v49, v2, v3, s17
                                        ; implicit-def: $vgpr2
; %bb.130:                              ;   in Loop: Header=BB138_40 Depth=1
	s_andn2_saveexec_b64 s[8:9], s[0:1]
; %bb.131:                              ;   in Loop: Header=BB138_40 Depth=1
	v_or_b32_e32 v3, 0x10000, v2
	v_cmp_eq_u32_sdwa s[0:1], v2, v13 src0_sel:WORD_0 src1_sel:DWORD
	s_nop 1
	v_cndmask_b32_e64 v49, v3, v2, s[0:1]
; %bb.132:                              ;   in Loop: Header=BB138_40 Depth=1
	s_or_b64 exec, exec, s[8:9]
	v_lshlrev_b32_e32 v2, 16, v5
	v_mul_f32_e32 v2, v42, v2
	v_and_b32_e32 v3, 0x7f800000, v2
	v_cmp_ne_u32_e64 s[0:1], s15, v3
                                        ; implicit-def: $vgpr50
	s_and_saveexec_b64 s[8:9], s[0:1]
	s_xor_b64 s[0:1], exec, s[8:9]
; %bb.133:                              ;   in Loop: Header=BB138_40 Depth=1
	v_bfe_u32 v3, v2, 16, 1
	v_add3_u32 v50, v2, v3, s17
                                        ; implicit-def: $vgpr2
; %bb.134:                              ;   in Loop: Header=BB138_40 Depth=1
	s_andn2_saveexec_b64 s[8:9], s[0:1]
; %bb.135:                              ;   in Loop: Header=BB138_40 Depth=1
	v_or_b32_e32 v3, 0x10000, v2
	v_cmp_eq_u32_sdwa s[0:1], v2, v13 src0_sel:WORD_0 src1_sel:DWORD
	s_nop 1
	v_cndmask_b32_e64 v50, v3, v2, s[0:1]
; %bb.136:                              ;   in Loop: Header=BB138_40 Depth=1
	s_or_b64 exec, exec, s[8:9]
	v_lshlrev_b32_e32 v2, 16, v51
	v_mul_f32_e32 v2, v43, v2
	v_and_b32_e32 v3, 0x7f800000, v2
	v_cmp_ne_u32_e64 s[0:1], s15, v3
                                        ; implicit-def: $vgpr51
	s_and_saveexec_b64 s[8:9], s[0:1]
	s_xor_b64 s[0:1], exec, s[8:9]
; %bb.137:                              ;   in Loop: Header=BB138_40 Depth=1
	v_bfe_u32 v3, v2, 16, 1
	v_add3_u32 v51, v2, v3, s17
                                        ; implicit-def: $vgpr2
; %bb.138:                              ;   in Loop: Header=BB138_40 Depth=1
	s_andn2_saveexec_b64 s[8:9], s[0:1]
; %bb.139:                              ;   in Loop: Header=BB138_40 Depth=1
	v_or_b32_e32 v3, 0x10000, v2
	v_cmp_eq_u32_sdwa s[0:1], v2, v13 src0_sel:WORD_0 src1_sel:DWORD
	s_nop 1
	v_cndmask_b32_e64 v51, v3, v2, s[0:1]
; %bb.140:                              ;   in Loop: Header=BB138_40 Depth=1
	s_or_b64 exec, exec, s[8:9]
	global_load_dwordx4 v[2:5], v[6:7], off offset:2048
	s_waitcnt vmcnt(0)
	v_lshrrev_b32_e32 v7, 16, v2
	v_lshrrev_b32_e32 v53, 16, v3
	;; [unrolled: 1-line block ×4, first 2 shown]
	s_and_saveexec_b64 s[0:1], vcc
	s_cbranch_execz .LBB138_142
; %bb.141:                              ;   in Loop: Header=BB138_40 Depth=1
	v_cmp_gt_i32_e32 vcc, s33, v28
	s_nop 1
	v_cndmask_b32_e32 v2, 0, v2, vcc
	v_cmp_gt_i32_e32 vcc, s33, v34
	s_nop 1
	v_cndmask_b32_e32 v7, 0, v7, vcc
	;; [unrolled: 3-line block ×8, first 2 shown]
.LBB138_142:                            ;   in Loop: Header=BB138_40 Depth=1
	s_or_b64 exec, exec, s[0:1]
	v_lshlrev_b32_e32 v2, 16, v2
	v_mul_f32_e32 v28, v36, v2
	v_and_b32_e32 v2, 0x7f800000, v28
	v_cmp_ne_u32_e32 vcc, s15, v2
                                        ; implicit-def: $vgpr2
	s_and_saveexec_b64 s[0:1], vcc
	s_xor_b64 s[0:1], exec, s[0:1]
; %bb.143:                              ;   in Loop: Header=BB138_40 Depth=1
	v_bfe_u32 v2, v28, 16, 1
	v_add3_u32 v2, v28, v2, s17
                                        ; implicit-def: $vgpr28
; %bb.144:                              ;   in Loop: Header=BB138_40 Depth=1
	s_andn2_saveexec_b64 s[0:1], s[0:1]
; %bb.145:                              ;   in Loop: Header=BB138_40 Depth=1
	v_or_b32_e32 v2, 0x10000, v28
	v_cmp_eq_u32_sdwa vcc, v28, v13 src0_sel:WORD_0 src1_sel:DWORD
	s_nop 1
	v_cndmask_b32_e32 v2, v2, v28, vcc
; %bb.146:                              ;   in Loop: Header=BB138_40 Depth=1
	s_or_b64 exec, exec, s[0:1]
	v_lshlrev_b32_e32 v7, 16, v7
	v_mul_f32_e32 v28, v37, v7
	v_and_b32_e32 v7, 0x7f800000, v28
	v_cmp_ne_u32_e32 vcc, s15, v7
                                        ; implicit-def: $vgpr7
	s_and_saveexec_b64 s[0:1], vcc
	s_xor_b64 s[0:1], exec, s[0:1]
; %bb.147:                              ;   in Loop: Header=BB138_40 Depth=1
	v_bfe_u32 v7, v28, 16, 1
	v_add3_u32 v7, v28, v7, s17
                                        ; implicit-def: $vgpr28
; %bb.148:                              ;   in Loop: Header=BB138_40 Depth=1
	s_andn2_saveexec_b64 s[0:1], s[0:1]
; %bb.149:                              ;   in Loop: Header=BB138_40 Depth=1
	v_or_b32_e32 v7, 0x10000, v28
	v_cmp_eq_u32_sdwa vcc, v28, v13 src0_sel:WORD_0 src1_sel:DWORD
	s_nop 1
	v_cndmask_b32_e32 v7, v7, v28, vcc
; %bb.150:                              ;   in Loop: Header=BB138_40 Depth=1
	s_or_b64 exec, exec, s[0:1]
	v_lshlrev_b32_e32 v3, 16, v3
	v_mul_f32_e32 v28, v38, v3
	v_and_b32_e32 v3, 0x7f800000, v28
	v_cmp_ne_u32_e32 vcc, s15, v3
                                        ; implicit-def: $vgpr3
	s_and_saveexec_b64 s[0:1], vcc
	s_xor_b64 s[0:1], exec, s[0:1]
; %bb.151:                              ;   in Loop: Header=BB138_40 Depth=1
	v_bfe_u32 v3, v28, 16, 1
	v_add3_u32 v3, v28, v3, s17
                                        ; implicit-def: $vgpr28
; %bb.152:                              ;   in Loop: Header=BB138_40 Depth=1
	s_andn2_saveexec_b64 s[0:1], s[0:1]
; %bb.153:                              ;   in Loop: Header=BB138_40 Depth=1
	v_or_b32_e32 v3, 0x10000, v28
	v_cmp_eq_u32_sdwa vcc, v28, v13 src0_sel:WORD_0 src1_sel:DWORD
	s_nop 1
	v_cndmask_b32_e32 v3, v3, v28, vcc
; %bb.154:                              ;   in Loop: Header=BB138_40 Depth=1
	s_or_b64 exec, exec, s[0:1]
	v_lshlrev_b32_e32 v28, 16, v53
	v_mul_f32_e32 v29, v39, v28
	v_and_b32_e32 v28, 0x7f800000, v29
	v_cmp_ne_u32_e32 vcc, s15, v28
                                        ; implicit-def: $vgpr28
	s_and_saveexec_b64 s[0:1], vcc
	s_xor_b64 s[0:1], exec, s[0:1]
; %bb.155:                              ;   in Loop: Header=BB138_40 Depth=1
	v_bfe_u32 v28, v29, 16, 1
	v_add3_u32 v28, v29, v28, s17
                                        ; implicit-def: $vgpr29
; %bb.156:                              ;   in Loop: Header=BB138_40 Depth=1
	s_andn2_saveexec_b64 s[0:1], s[0:1]
; %bb.157:                              ;   in Loop: Header=BB138_40 Depth=1
	v_or_b32_e32 v28, 0x10000, v29
	v_cmp_eq_u32_sdwa vcc, v29, v13 src0_sel:WORD_0 src1_sel:DWORD
	s_nop 1
	v_cndmask_b32_e32 v28, v28, v29, vcc
; %bb.158:                              ;   in Loop: Header=BB138_40 Depth=1
	s_or_b64 exec, exec, s[0:1]
	v_lshlrev_b32_e32 v4, 16, v4
	v_mul_f32_e32 v29, v40, v4
	v_and_b32_e32 v4, 0x7f800000, v29
	v_cmp_ne_u32_e32 vcc, s15, v4
                                        ; implicit-def: $vgpr4
	s_and_saveexec_b64 s[0:1], vcc
	s_xor_b64 s[0:1], exec, s[0:1]
; %bb.159:                              ;   in Loop: Header=BB138_40 Depth=1
	v_bfe_u32 v4, v29, 16, 1
	v_add3_u32 v4, v29, v4, s17
                                        ; implicit-def: $vgpr29
; %bb.160:                              ;   in Loop: Header=BB138_40 Depth=1
	s_andn2_saveexec_b64 s[0:1], s[0:1]
; %bb.161:                              ;   in Loop: Header=BB138_40 Depth=1
	v_or_b32_e32 v4, 0x10000, v29
	v_cmp_eq_u32_sdwa vcc, v29, v13 src0_sel:WORD_0 src1_sel:DWORD
	s_nop 1
	v_cndmask_b32_e32 v4, v4, v29, vcc
; %bb.162:                              ;   in Loop: Header=BB138_40 Depth=1
	s_or_b64 exec, exec, s[0:1]
	v_lshlrev_b32_e32 v29, 16, v52
	v_mul_f32_e32 v30, v41, v29
	v_and_b32_e32 v29, 0x7f800000, v30
	v_cmp_ne_u32_e32 vcc, s15, v29
                                        ; implicit-def: $vgpr29
	s_and_saveexec_b64 s[0:1], vcc
	s_xor_b64 s[0:1], exec, s[0:1]
; %bb.163:                              ;   in Loop: Header=BB138_40 Depth=1
	v_bfe_u32 v29, v30, 16, 1
	v_add3_u32 v29, v30, v29, s17
                                        ; implicit-def: $vgpr30
; %bb.164:                              ;   in Loop: Header=BB138_40 Depth=1
	s_andn2_saveexec_b64 s[0:1], s[0:1]
; %bb.165:                              ;   in Loop: Header=BB138_40 Depth=1
	v_or_b32_e32 v29, 0x10000, v30
	v_cmp_eq_u32_sdwa vcc, v30, v13 src0_sel:WORD_0 src1_sel:DWORD
	s_nop 1
	v_cndmask_b32_e32 v29, v29, v30, vcc
; %bb.166:                              ;   in Loop: Header=BB138_40 Depth=1
	s_or_b64 exec, exec, s[0:1]
	v_lshlrev_b32_e32 v5, 16, v5
	v_mul_f32_e32 v30, v42, v5
	v_and_b32_e32 v5, 0x7f800000, v30
	v_cmp_ne_u32_e32 vcc, s15, v5
                                        ; implicit-def: $vgpr5
	s_and_saveexec_b64 s[0:1], vcc
	s_xor_b64 s[0:1], exec, s[0:1]
; %bb.167:                              ;   in Loop: Header=BB138_40 Depth=1
	v_bfe_u32 v5, v30, 16, 1
	v_add3_u32 v5, v30, v5, s17
                                        ; implicit-def: $vgpr30
; %bb.168:                              ;   in Loop: Header=BB138_40 Depth=1
	s_andn2_saveexec_b64 s[0:1], s[0:1]
; %bb.169:                              ;   in Loop: Header=BB138_40 Depth=1
	v_or_b32_e32 v5, 0x10000, v30
	v_cmp_eq_u32_sdwa vcc, v30, v13 src0_sel:WORD_0 src1_sel:DWORD
	s_nop 1
	v_cndmask_b32_e32 v5, v5, v30, vcc
; %bb.170:                              ;   in Loop: Header=BB138_40 Depth=1
	s_or_b64 exec, exec, s[0:1]
	v_lshlrev_b32_e32 v6, 16, v6
	v_mul_f32_e32 v30, v43, v6
	v_and_b32_e32 v6, 0x7f800000, v30
	v_cmp_ne_u32_e32 vcc, s15, v6
                                        ; implicit-def: $vgpr6
	s_and_saveexec_b64 s[0:1], vcc
	s_xor_b64 s[0:1], exec, s[0:1]
; %bb.171:                              ;   in Loop: Header=BB138_40 Depth=1
	v_bfe_u32 v6, v30, 16, 1
	v_add3_u32 v6, v30, v6, s17
                                        ; implicit-def: $vgpr30
; %bb.172:                              ;   in Loop: Header=BB138_40 Depth=1
	s_andn2_saveexec_b64 s[0:1], s[0:1]
	s_cbranch_execz .LBB138_39
; %bb.173:                              ;   in Loop: Header=BB138_40 Depth=1
	v_or_b32_e32 v6, 0x10000, v30
	v_cmp_eq_u32_sdwa vcc, v30, v13 src0_sel:WORD_0 src1_sel:DWORD
	s_nop 1
	v_cndmask_b32_e32 v6, v6, v30, vcc
	s_branch .LBB138_39
.LBB138_174:
	s_or_b64 exec, exec, s[2:3]
.LBB138_175:
	s_or_b64 exec, exec, s[6:7]
	ds_bpermute_b32 v2, v19, v10
	ds_bpermute_b32 v3, v19, v11
	;; [unrolled: 1-line block ×3, first 2 shown]
	s_waitcnt lgkmcnt(0)
	s_barrier
	v_pk_add_f32 v[4:5], v[10:11], v[2:3]
	v_add_f32_e32 v2, v12, v1
	v_and_b32_e32 v1, 0x3c1, v0
	v_cmp_eq_u32_e32 vcc, 64, v1
	s_and_saveexec_b64 s[0:1], vcc
	s_cbranch_execz .LBB138_177
; %bb.176:
	v_mov_b32_e32 v1, 0xd0
	v_lshl_add_u32 v1, v18, 1, v1
	ds_write2_b32 v1, v4, v5 offset1:32
	ds_write_b32 v1, v2 offset:256
.LBB138_177:
	s_or_b64 exec, exec, s[0:1]
	v_cmp_gt_u32_e32 vcc, 64, v0
	v_cmp_lt_u32_e64 s[0:1], 63, v0
	s_waitcnt lgkmcnt(0)
	s_barrier
	s_and_saveexec_b64 s[2:3], s[0:1]
	s_xor_b64 s[0:1], exec, s[2:3]
	s_andn2_saveexec_b64 s[2:3], s[0:1]
	s_cbranch_execz .LBB138_183
; %bb.178:
	v_cmp_eq_u32_e64 s[0:1], 0, v20
	v_lshrrev_b32_e32 v1, 1, v0
	s_and_saveexec_b64 s[6:7], s[0:1]
	s_cbranch_execnz .LBB138_199
; %bb.179:
	s_or_b64 exec, exec, s[6:7]
	s_and_saveexec_b64 s[6:7], s[0:1]
	s_cbranch_execnz .LBB138_200
.LBB138_180:
	s_or_b64 exec, exec, s[6:7]
	s_and_saveexec_b64 s[6:7], s[0:1]
	s_cbranch_execz .LBB138_182
.LBB138_181:
	v_mov_b32_e32 v3, 0xd0
	v_lshl_add_u32 v1, v1, 2, v3
	ds_read_b32 v1, v1 offset:256
	s_waitcnt lgkmcnt(0)
	v_add_f32_e32 v2, v2, v1
.LBB138_182:
	s_or_b64 exec, exec, s[6:7]
.LBB138_183:
	s_or_b64 exec, exec, s[2:3]
	s_barrier
	s_and_saveexec_b64 s[0:1], vcc
	s_cbranch_execz .LBB138_198
; %bb.184:
	v_cmp_eq_u32_e32 vcc, 0, v20
	s_and_b64 exec, exec, vcc
	s_cbranch_execz .LBB138_198
; %bb.185:
	s_mov_b32 s0, 0x7f800000
	v_and_b32_e32 v1, 0x7f800000, v4
	v_cmp_ne_u32_e32 vcc, s0, v1
                                        ; implicit-def: $vgpr3
	s_and_saveexec_b64 s[0:1], vcc
	s_xor_b64 s[0:1], exec, s[0:1]
; %bb.186:
	v_bfe_u32 v1, v4, 16, 1
	s_movk_i32 s2, 0x7fff
	v_add3_u32 v3, v4, v1, s2
; %bb.187:
	s_andn2_saveexec_b64 s[0:1], s[0:1]
; %bb.188:
	v_mov_b32_e32 v1, 0
	v_or_b32_e32 v3, 0x10000, v4
	v_cmp_eq_u32_sdwa vcc, v4, v1 src0_sel:WORD_0 src1_sel:DWORD
	s_nop 1
	v_cndmask_b32_e32 v3, v3, v4, vcc
; %bb.189:
	s_or_b64 exec, exec, s[0:1]
	s_mul_i32 s0, s10, s11
	s_mul_i32 s0, s0, s5
	s_mulk_i32 s0, 0x60
	s_ashr_i32 s1, s0, 31
	s_lshl_b64 s[0:1], s[0:1], 1
	s_add_u32 s2, s18, s0
	s_mul_i32 s0, s11, s16
	s_addc_u32 s3, s19, s1
	s_ashr_i32 s1, s0, 31
	s_lshl_b64 s[0:1], s[0:1], 1
	s_add_u32 s2, s2, s0
	s_mul_i32 s0, s4, 0x60
	s_addc_u32 s3, s3, s1
	s_ashr_i32 s1, s0, 31
	s_lshl_b64 s[0:1], s[0:1], 1
	s_add_u32 s0, s2, s0
	s_addc_u32 s1, s3, s1
	v_and_b32_e32 v0, 0x3fe, v0
	global_store_short_d16_hi v0, v3, s[0:1]
	s_mov_b32 s2, 0x7f800000
	v_and_b32_e32 v3, 0x7f800000, v5
	v_mov_b32_e32 v1, 0
	v_cmp_ne_u32_e32 vcc, s2, v3
                                        ; implicit-def: $vgpr3
	s_and_saveexec_b64 s[2:3], vcc
	s_xor_b64 s[2:3], exec, s[2:3]
; %bb.190:
	v_bfe_u32 v3, v5, 16, 1
	s_movk_i32 s4, 0x7fff
	v_add3_u32 v3, v5, v3, s4
                                        ; implicit-def: $vgpr4_vgpr5_vgpr6
; %bb.191:
	s_or_saveexec_b64 s[2:3], s[2:3]
	v_lshl_add_u64 v[0:1], s[0:1], 0, v[0:1]
	s_xor_b64 exec, exec, s[2:3]
; %bb.192:
	v_mov_b32_e32 v3, 0
	v_or_b32_e32 v4, 0x10000, v5
	v_cmp_eq_u32_sdwa vcc, v5, v3 src0_sel:WORD_0 src1_sel:DWORD
	s_nop 1
	v_cndmask_b32_e32 v3, v4, v5, vcc
; %bb.193:
	s_or_b64 exec, exec, s[2:3]
	global_store_short_d16_hi v[0:1], v3, off offset:64
	s_mov_b32 s0, 0x7f800000
	v_and_b32_e32 v3, 0x7f800000, v2
	v_cmp_ne_u32_e32 vcc, s0, v3
                                        ; implicit-def: $vgpr3
	s_and_saveexec_b64 s[0:1], vcc
	s_xor_b64 s[0:1], exec, s[0:1]
; %bb.194:
	v_bfe_u32 v3, v2, 16, 1
	s_movk_i32 s2, 0x7fff
	v_add3_u32 v3, v2, v3, s2
                                        ; implicit-def: $vgpr2
; %bb.195:
	s_andn2_saveexec_b64 s[0:1], s[0:1]
; %bb.196:
	v_mov_b32_e32 v3, 0
	v_or_b32_e32 v4, 0x10000, v2
	v_cmp_eq_u32_sdwa vcc, v2, v3 src0_sel:WORD_0 src1_sel:DWORD
	s_nop 1
	v_cndmask_b32_e32 v3, v4, v2, vcc
; %bb.197:
	s_or_b64 exec, exec, s[0:1]
	global_store_short_d16_hi v[0:1], v3, off offset:128
.LBB138_198:
	s_endpgm
.LBB138_199:
	v_mov_b32_e32 v3, 0xd0
	v_lshl_add_u32 v3, v1, 2, v3
	ds_read_b32 v3, v3
	s_waitcnt lgkmcnt(0)
	v_add_f32_e32 v4, v4, v3
	s_or_b64 exec, exec, s[6:7]
	s_and_saveexec_b64 s[6:7], s[0:1]
	s_cbranch_execz .LBB138_180
.LBB138_200:
	v_mov_b32_e32 v3, 0xd0
	v_lshl_add_u32 v3, v1, 2, v3
	ds_read_b32 v3, v3 offset:128
	s_waitcnt lgkmcnt(0)
	v_add_f32_e32 v5, v5, v3
	s_or_b64 exec, exec, s[6:7]
	s_and_saveexec_b64 s[6:7], s[0:1]
	s_cbranch_execnz .LBB138_181
	s_branch .LBB138_182
	.section	.rodata,"a",@progbits
	.p2align	6, 0x0
	.amdhsa_kernel _ZN4vllm25paged_attention_v1_kernelI14__hip_bfloat16S1_Li96ELi16ELi128ELNS_18Fp8KVCacheDataTypeE0ELb0EEEvPT_PKS3_PKT0_S9_ifPKiSB_iPKfiiiSD_SD_iiiii
		.amdhsa_group_segment_fixed_size 208
		.amdhsa_private_segment_fixed_size 0
		.amdhsa_kernarg_size 384
		.amdhsa_user_sgpr_count 2
		.amdhsa_user_sgpr_dispatch_ptr 0
		.amdhsa_user_sgpr_queue_ptr 0
		.amdhsa_user_sgpr_kernarg_segment_ptr 1
		.amdhsa_user_sgpr_dispatch_id 0
		.amdhsa_user_sgpr_kernarg_preload_length 0
		.amdhsa_user_sgpr_kernarg_preload_offset 0
		.amdhsa_user_sgpr_private_segment_size 0
		.amdhsa_uses_dynamic_stack 0
		.amdhsa_enable_private_segment 0
		.amdhsa_system_sgpr_workgroup_id_x 1
		.amdhsa_system_sgpr_workgroup_id_y 1
		.amdhsa_system_sgpr_workgroup_id_z 1
		.amdhsa_system_sgpr_workgroup_info 0
		.amdhsa_system_vgpr_workitem_id 0
		.amdhsa_next_free_vgpr 63
		.amdhsa_next_free_sgpr 34
		.amdhsa_accum_offset 64
		.amdhsa_reserve_vcc 1
		.amdhsa_float_round_mode_32 0
		.amdhsa_float_round_mode_16_64 0
		.amdhsa_float_denorm_mode_32 3
		.amdhsa_float_denorm_mode_16_64 3
		.amdhsa_dx10_clamp 1
		.amdhsa_ieee_mode 1
		.amdhsa_fp16_overflow 0
		.amdhsa_tg_split 0
		.amdhsa_exception_fp_ieee_invalid_op 0
		.amdhsa_exception_fp_denorm_src 0
		.amdhsa_exception_fp_ieee_div_zero 0
		.amdhsa_exception_fp_ieee_overflow 0
		.amdhsa_exception_fp_ieee_underflow 0
		.amdhsa_exception_fp_ieee_inexact 0
		.amdhsa_exception_int_div_zero 0
	.end_amdhsa_kernel
	.section	.text._ZN4vllm25paged_attention_v1_kernelI14__hip_bfloat16S1_Li96ELi16ELi128ELNS_18Fp8KVCacheDataTypeE0ELb0EEEvPT_PKS3_PKT0_S9_ifPKiSB_iPKfiiiSD_SD_iiiii,"axG",@progbits,_ZN4vllm25paged_attention_v1_kernelI14__hip_bfloat16S1_Li96ELi16ELi128ELNS_18Fp8KVCacheDataTypeE0ELb0EEEvPT_PKS3_PKT0_S9_ifPKiSB_iPKfiiiSD_SD_iiiii,comdat
.Lfunc_end138:
	.size	_ZN4vllm25paged_attention_v1_kernelI14__hip_bfloat16S1_Li96ELi16ELi128ELNS_18Fp8KVCacheDataTypeE0ELb0EEEvPT_PKS3_PKT0_S9_ifPKiSB_iPKfiiiSD_SD_iiiii, .Lfunc_end138-_ZN4vllm25paged_attention_v1_kernelI14__hip_bfloat16S1_Li96ELi16ELi128ELNS_18Fp8KVCacheDataTypeE0ELb0EEEvPT_PKS3_PKT0_S9_ifPKiSB_iPKfiiiSD_SD_iiiii
                                        ; -- End function
	.section	.AMDGPU.csdata,"",@progbits
; Kernel info:
; codeLenInByte = 7324
; NumSgprs: 40
; NumVgprs: 63
; NumAgprs: 0
; TotalNumVgprs: 63
; ScratchSize: 0
; MemoryBound: 0
; FloatMode: 240
; IeeeMode: 1
; LDSByteSize: 208 bytes/workgroup (compile time only)
; SGPRBlocks: 4
; VGPRBlocks: 7
; NumSGPRsForWavesPerEU: 40
; NumVGPRsForWavesPerEU: 63
; AccumOffset: 64
; Occupancy: 8
; WaveLimiterHint : 1
; COMPUTE_PGM_RSRC2:SCRATCH_EN: 0
; COMPUTE_PGM_RSRC2:USER_SGPR: 2
; COMPUTE_PGM_RSRC2:TRAP_HANDLER: 0
; COMPUTE_PGM_RSRC2:TGID_X_EN: 1
; COMPUTE_PGM_RSRC2:TGID_Y_EN: 1
; COMPUTE_PGM_RSRC2:TGID_Z_EN: 1
; COMPUTE_PGM_RSRC2:TIDIG_COMP_CNT: 0
; COMPUTE_PGM_RSRC3_GFX90A:ACCUM_OFFSET: 15
; COMPUTE_PGM_RSRC3_GFX90A:TG_SPLIT: 0
	.section	.text._ZN4vllm25paged_attention_v1_kernelI14__hip_bfloat16S1_Li112ELi16ELi128ELNS_18Fp8KVCacheDataTypeE0ELb0EEEvPT_PKS3_PKT0_S9_ifPKiSB_iPKfiiiSD_SD_iiiii,"axG",@progbits,_ZN4vllm25paged_attention_v1_kernelI14__hip_bfloat16S1_Li112ELi16ELi128ELNS_18Fp8KVCacheDataTypeE0ELb0EEEvPT_PKS3_PKT0_S9_ifPKiSB_iPKfiiiSD_SD_iiiii,comdat
	.protected	_ZN4vllm25paged_attention_v1_kernelI14__hip_bfloat16S1_Li112ELi16ELi128ELNS_18Fp8KVCacheDataTypeE0ELb0EEEvPT_PKS3_PKT0_S9_ifPKiSB_iPKfiiiSD_SD_iiiii ; -- Begin function _ZN4vllm25paged_attention_v1_kernelI14__hip_bfloat16S1_Li112ELi16ELi128ELNS_18Fp8KVCacheDataTypeE0ELb0EEEvPT_PKS3_PKT0_S9_ifPKiSB_iPKfiiiSD_SD_iiiii
	.globl	_ZN4vllm25paged_attention_v1_kernelI14__hip_bfloat16S1_Li112ELi16ELi128ELNS_18Fp8KVCacheDataTypeE0ELb0EEEvPT_PKS3_PKT0_S9_ifPKiSB_iPKfiiiSD_SD_iiiii
	.p2align	8
	.type	_ZN4vllm25paged_attention_v1_kernelI14__hip_bfloat16S1_Li112ELi16ELi128ELNS_18Fp8KVCacheDataTypeE0ELb0EEEvPT_PKS3_PKT0_S9_ifPKiSB_iPKfiiiSD_SD_iiiii,@function
_ZN4vllm25paged_attention_v1_kernelI14__hip_bfloat16S1_Li112ELi16ELi128ELNS_18Fp8KVCacheDataTypeE0ELb0EEEvPT_PKS3_PKT0_S9_ifPKiSB_iPKfiiiSD_SD_iiiii: ; @_ZN4vllm25paged_attention_v1_kernelI14__hip_bfloat16S1_Li112ELi16ELi128ELNS_18Fp8KVCacheDataTypeE0ELb0EEEvPT_PKS3_PKT0_S9_ifPKiSB_iPKfiiiSD_SD_iiiii
; %bb.0:
	s_load_dword s5, s[0:1], 0x80
	s_load_dwordx2 s[6:7], s[0:1], 0x30
	s_load_dwordx2 s[8:9], s[0:1], 0x20
	s_mov_b32 s10, s3
	s_ashr_i32 s11, s3, 31
	s_lshl_b64 s[12:13], s[10:11], 2
	s_waitcnt lgkmcnt(0)
	s_add_u32 s6, s6, s12
	s_addc_u32 s7, s7, s13
	s_abs_i32 s3, s8
	v_cvt_f32_u32_e32 v1, s3
	s_sub_i32 s12, 0, s3
	s_abs_i32 s11, s5
	s_xor_b32 s8, s5, s8
	v_rcp_iflag_f32_e32 v1, v1
	s_ashr_i32 s8, s8, 31
	v_mul_f32_e32 v1, 0x4f7ffffe, v1
	v_cvt_u32_f32_e32 v1, v1
	s_nop 0
	v_readfirstlane_b32 s13, v1
	s_mul_i32 s12, s12, s13
	s_mul_hi_u32 s12, s13, s12
	s_add_i32 s13, s13, s12
	s_mul_hi_u32 s12, s11, s13
	s_mul_i32 s13, s12, s3
	s_sub_i32 s11, s11, s13
	s_add_i32 s13, s12, 1
	s_sub_i32 s14, s11, s3
	s_cmp_ge_u32 s11, s3
	s_cselect_b32 s12, s13, s12
	s_cselect_b32 s11, s14, s11
	s_add_i32 s13, s12, 1
	s_cmp_ge_u32 s11, s3
	s_cselect_b32 s3, s13, s12
	s_xor_b32 s3, s3, s8
	s_sub_i32 s16, s3, s8
	s_abs_i32 s11, s16
	v_cvt_f32_u32_e32 v1, s11
	s_load_dwordx2 s[12:13], s[0:1], 0x40
	s_sub_i32 s3, 0, s11
	s_abs_i32 s18, s2
	v_rcp_iflag_f32_e32 v1, v1
	s_mov_b32 s8, 0
	v_mul_f32_e32 v1, 0x4f7ffffe, v1
	v_cvt_u32_f32_e32 v1, v1
	s_nop 0
	v_readfirstlane_b32 s14, v1
	s_mul_i32 s3, s3, s14
	s_mul_hi_u32 s3, s14, s3
	s_add_i32 s14, s14, s3
	s_waitcnt lgkmcnt(0)
	s_cmp_eq_u64 s[12:13], 0
	s_mul_hi_u32 s19, s18, s14
	s_cbranch_scc1 .LBB139_2
; %bb.1:
	s_ashr_i32 s3, s2, 31
	s_lshl_b64 s[14:15], s[2:3], 2
	s_add_u32 s12, s12, s14
	s_addc_u32 s13, s13, s15
	s_load_dword s8, s[12:13], 0x0
.LBB139_2:
	s_load_dword s33, s[6:7], 0x0
	s_nop 0
	s_load_dwordx4 s[12:15], s[0:1], 0x48
	s_ashr_i32 s6, s2, 31
	s_ashr_i32 s7, s16, 31
	v_and_b32_e32 v4, 3, v0
	s_mul_i32 s16, s2, 0x70
	v_cmp_gt_u32_e32 vcc, 56, v0
	s_and_saveexec_b64 s[2:3], vcc
	s_cbranch_execz .LBB139_4
; %bb.3:
	s_load_dwordx2 s[20:21], s[0:1], 0x8
	s_waitcnt lgkmcnt(0)
	s_mul_i32 s22, s10, s12
	s_ashr_i32 s23, s22, 31
	s_lshl_b64 s[22:23], s[22:23], 1
	v_lshlrev_b32_e32 v1, 2, v0
	s_add_u32 s12, s20, s22
	s_addc_u32 s15, s21, s23
	s_ashr_i32 s17, s16, 31
	s_lshl_b64 s[20:21], s[16:17], 1
	s_add_u32 s20, s12, s20
	s_addc_u32 s21, s15, s21
	global_load_dword v1, v1, s[20:21]
	v_and_b32_e32 v2, 0x3fc, v0
	v_mad_u32_u24 v2, v4, 56, v2
	s_waitcnt vmcnt(0)
	ds_write_b32 v2, v1
.LBB139_4:
	s_or_b64 exec, exec, s[2:3]
	s_waitcnt lgkmcnt(0)
	s_add_i32 s3, s33, 15
	s_ashr_i32 s12, s3, 31
	s_lshr_b32 s12, s12, 28
	s_add_i32 s3, s3, s12
	s_ashr_i32 s17, s3, 4
	s_xor_b32 s3, s6, s7
	s_mul_i32 s6, s19, s11
	s_sub_i32 s6, s18, s6
	s_add_i32 s7, s19, 1
	s_sub_i32 s12, s6, s11
	s_load_dwordx2 s[20:21], s[0:1], 0x28
	s_load_dword s2, s[0:1], 0x38
	s_cmp_ge_u32 s6, s11
	s_cselect_b32 s7, s7, s19
	s_cselect_b32 s6, s12, s6
	s_add_i32 s12, s7, 1
	s_cmp_ge_u32 s6, s11
	s_cselect_b32 s6, s12, s7
	v_lshrrev_b32_e32 v1, 6, v0
	s_xor_b32 s6, s6, s3
	s_waitcnt lgkmcnt(0)
	s_mul_i32 s22, s10, s2
	s_sub_i32 s12, s6, s3
	s_ashr_i32 s23, s22, 31
	v_cmp_gt_i32_e64 s[6:7], s17, v1
	v_cmp_le_i32_e32 vcc, s17, v1
	v_mbcnt_lo_u32_b32 v5, -1, 0
	s_barrier
	s_waitcnt lgkmcnt(0)
                                        ; implicit-def: $sgpr15
                                        ; implicit-def: $vgpr7
                                        ; implicit-def: $vgpr8
	s_and_saveexec_b64 s[2:3], vcc
	s_xor_b64 s[2:3], exec, s[2:3]
; %bb.5:
	v_mbcnt_hi_u32_b32 v7, -1, v5
	v_and_b32_e32 v2, 64, v7
	v_add_u32_e32 v8, 64, v2
	s_mov_b32 s15, 0xff7fffff
                                        ; implicit-def: $vgpr4
                                        ; implicit-def: $vgpr5
; %bb.6:
	s_or_saveexec_b64 s[26:27], s[2:3]
	s_load_dwordx2 s[18:19], s[0:1], 0x0
	s_load_dwordx2 s[24:25], s[0:1], 0x18
	s_load_dword s11, s[0:1], 0x88
	v_mov_b32_e32 v34, s15
	s_mul_i32 s14, s12, s14
	v_lshrrev_b32_e32 v6, 4, v0
	s_xor_b64 exec, exec, s[26:27]
	s_cbranch_execz .LBB139_12
; %bb.7:
	s_load_dwordx2 s[0:1], s[0:1], 0x10
	s_ashr_i32 s15, s14, 31
	s_lshl_b64 s[2:3], s[14:15], 1
	v_mul_u32_u24_e32 v7, 56, v4
	v_bfe_u32 v34, v0, 2, 4
	s_waitcnt lgkmcnt(0)
	s_add_u32 s0, s0, s2
	ds_read2_b64 v[14:17], v7 offset1:1
	ds_read2_b64 v[22:25], v7 offset0:2 offset1:3
	ds_read2_b64 v[30:33], v7 offset0:4 offset1:5
	ds_read_b64 v[36:37], v7 offset:48
	v_mbcnt_hi_u32_b32 v7, -1, v5
	s_addc_u32 s1, s1, s3
	v_lshlrev_b32_e32 v42, 4, v34
	v_mov_b32_e32 v43, 0
	v_lshlrev_b32_e32 v8, 2, v0
	v_and_b32_e32 v5, 64, v7
	v_lshl_add_u64 v[2:3], s[0:1], 0, v[42:43]
	v_and_b32_e32 v42, 12, v8
	v_add_u32_e32 v8, 64, v5
	v_xor_b32_e32 v5, 2, v7
	v_cmp_lt_i32_e32 vcc, v5, v8
	s_sub_i32 s15, 1, s33
	s_lshl_b64 s[0:1], s[22:23], 2
	v_cndmask_b32_e32 v5, v7, v5, vcc
	v_lshlrev_b32_e32 v38, 2, v5
	v_xor_b32_e32 v5, 1, v7
	v_cmp_lt_i32_e32 vcc, v5, v8
	s_add_u32 s0, s20, s0
	v_lshl_add_u64 v[2:3], v[2:3], 0, v[42:43]
	v_cndmask_b32_e32 v5, v7, v5, vcc
	v_cmp_eq_u32_e32 vcc, 0, v4
	v_lshlrev_b32_e32 v4, 2, v34
	v_lshl_or_b32 v4, v1, 6, v4
	v_and_b32_e32 v42, 60, v6
	s_addc_u32 s1, s21, s1
	s_mov_b32 s12, s13
	s_waitcnt lgkmcnt(3)
	v_lshlrev_b32_e32 v9, 16, v14
	v_and_b32_e32 v10, 0xffff0000, v14
	v_lshlrev_b32_e32 v11, 16, v15
	v_and_b32_e32 v12, 0xffff0000, v15
	v_lshlrev_b32_e32 v13, 16, v16
	v_and_b32_e32 v14, 0xffff0000, v16
	v_lshlrev_b32_e32 v15, 16, v17
	v_and_b32_e32 v16, 0xffff0000, v17
	s_waitcnt lgkmcnt(2)
	v_lshlrev_b32_e32 v17, 16, v22
	v_and_b32_e32 v18, 0xffff0000, v22
	v_lshlrev_b32_e32 v19, 16, v23
	v_and_b32_e32 v20, 0xffff0000, v23
	v_lshlrev_b32_e32 v21, 16, v24
	v_and_b32_e32 v22, 0xffff0000, v24
	v_lshlrev_b32_e32 v23, 16, v25
	v_and_b32_e32 v24, 0xffff0000, v25
	s_waitcnt lgkmcnt(1)
	v_lshlrev_b32_e32 v25, 16, v30
	v_and_b32_e32 v26, 0xffff0000, v30
	v_lshlrev_b32_e32 v27, 16, v31
	v_and_b32_e32 v28, 0xffff0000, v31
	v_lshlrev_b32_e32 v29, 16, v32
	v_and_b32_e32 v30, 0xffff0000, v32
	v_lshlrev_b32_e32 v31, 16, v33
	v_and_b32_e32 v32, 0xffff0000, v33
	s_waitcnt lgkmcnt(0)
	v_lshlrev_b32_e32 v33, 16, v36
	v_and_b32_e32 v35, 0xffff0000, v36
	v_lshlrev_b32_e32 v36, 16, v37
	v_and_b32_e32 v37, 0xffff0000, v37
	v_lshlrev_b32_e32 v39, 2, v5
	v_cmp_neq_f32_e64 s[2:3], s8, 0
	v_lshl_or_b32 v40, v1, 4, v34
	v_add_u32_e32 v41, 0xf0, v4
	v_lshl_add_u64 v[4:5], s[0:1], 0, v[42:43]
	s_mov_b64 s[28:29], 0
	v_mov_b32_e32 v34, 0xff7fffff
	v_mov_b32_e32 v42, v1
	s_branch .LBB139_9
.LBB139_8:                              ;   in Loop: Header=BB139_9 Depth=1
	s_or_b64 exec, exec, s[30:31]
	v_add_u32_e32 v42, 2, v42
	v_cmp_le_i32_e64 s[0:1], s17, v42
	v_add_u32_e32 v40, 32, v40
	v_add_u32_e32 v41, 0x80, v41
	s_or_b64 s[28:29], s[0:1], s[28:29]
	v_lshl_add_u64 v[4:5], v[4:5], 0, 8
	s_andn2_b64 exec, exec, s[28:29]
	s_cbranch_execz .LBB139_11
.LBB139_9:                              ; =>This Inner Loop Header: Depth=1
	global_load_dword v43, v[4:5], off
	s_waitcnt vmcnt(0) lgkmcnt(0)
	v_mad_i64_i32 v[44:45], s[0:1], v43, s12, 0
	v_lshl_add_u64 v[44:45], v[44:45], 1, v[2:3]
	global_load_dword v43, v[44:45], off
	global_load_dword v46, v[44:45], off offset:256
	global_load_dword v47, v[44:45], off offset:512
	;; [unrolled: 1-line block ×13, first 2 shown]
	s_waitcnt vmcnt(13)
	v_lshlrev_b32_e32 v44, 16, v43
	s_waitcnt vmcnt(12)
	v_lshlrev_b32_e32 v45, 16, v46
	v_and_b32_e32 v46, 0xffff0000, v46
	v_and_b32_e32 v43, 0xffff0000, v43
	v_mul_f32_e32 v45, v11, v45
	v_mul_f32_e32 v46, v12, v46
	s_waitcnt vmcnt(11)
	v_lshlrev_b32_e32 v59, 16, v47
	v_and_b32_e32 v47, 0xffff0000, v47
	v_fmac_f32_e32 v45, v9, v44
	v_fmac_f32_e32 v46, v10, v43
	s_waitcnt vmcnt(10)
	v_lshlrev_b32_e32 v60, 16, v48
	v_and_b32_e32 v48, 0xffff0000, v48
	v_fmac_f32_e32 v45, v13, v59
	v_fmac_f32_e32 v46, v14, v47
	s_waitcnt vmcnt(9)
	v_lshlrev_b32_e32 v61, 16, v49
	v_and_b32_e32 v49, 0xffff0000, v49
	v_fmac_f32_e32 v45, v15, v60
	v_fmac_f32_e32 v46, v16, v48
	s_waitcnt vmcnt(8)
	v_lshlrev_b32_e32 v44, 16, v50
	v_and_b32_e32 v50, 0xffff0000, v50
	v_fmac_f32_e32 v45, v17, v61
	v_fmac_f32_e32 v46, v18, v49
	s_waitcnt vmcnt(7)
	v_lshlrev_b32_e32 v43, 16, v51
	v_and_b32_e32 v51, 0xffff0000, v51
	v_fmac_f32_e32 v45, v19, v44
	v_fmac_f32_e32 v46, v20, v50
	s_waitcnt vmcnt(6)
	v_lshlrev_b32_e32 v59, 16, v52
	v_and_b32_e32 v52, 0xffff0000, v52
	v_fmac_f32_e32 v45, v21, v43
	v_fmac_f32_e32 v46, v22, v51
	s_waitcnt vmcnt(5)
	v_lshlrev_b32_e32 v47, 16, v53
	v_and_b32_e32 v53, 0xffff0000, v53
	v_fmac_f32_e32 v45, v23, v59
	v_fmac_f32_e32 v46, v24, v52
	s_waitcnt vmcnt(4)
	v_lshlrev_b32_e32 v60, 16, v54
	v_and_b32_e32 v54, 0xffff0000, v54
	v_fmac_f32_e32 v45, v25, v47
	v_fmac_f32_e32 v46, v26, v53
	s_waitcnt vmcnt(3)
	v_lshlrev_b32_e32 v48, 16, v55
	v_and_b32_e32 v55, 0xffff0000, v55
	v_fmac_f32_e32 v45, v27, v60
	v_fmac_f32_e32 v46, v28, v54
	s_waitcnt vmcnt(2)
	v_lshlrev_b32_e32 v61, 16, v56
	v_and_b32_e32 v56, 0xffff0000, v56
	v_fmac_f32_e32 v45, v29, v48
	v_fmac_f32_e32 v46, v30, v55
	s_waitcnt vmcnt(1)
	v_lshlrev_b32_e32 v49, 16, v57
	v_and_b32_e32 v57, 0xffff0000, v57
	v_fmac_f32_e32 v45, v31, v61
	v_fmac_f32_e32 v46, v32, v56
	s_waitcnt vmcnt(0)
	v_lshlrev_b32_e32 v44, 16, v58
	v_and_b32_e32 v58, 0xffff0000, v58
	v_fmac_f32_e32 v45, v33, v49
	v_fmac_f32_e32 v46, v35, v57
	v_fmac_f32_e32 v45, v36, v44
	v_fmac_f32_e32 v46, v37, v58
	v_add_f32_e32 v43, v45, v46
	ds_bpermute_b32 v44, v38, v43
	s_waitcnt lgkmcnt(0)
	v_add_f32_e32 v43, v43, v44
	ds_bpermute_b32 v44, v39, v43
	s_and_saveexec_b64 s[30:31], vcc
	s_cbranch_execz .LBB139_8
; %bb.10:                               ;   in Loop: Header=BB139_9 Depth=1
	v_add_u32_e32 v45, s15, v40
	v_cvt_f32_i32_e32 v45, v45
	s_waitcnt lgkmcnt(0)
	v_add_f32_e32 v43, v43, v44
	v_cmp_gt_i32_e64 s[0:1], s33, v40
	v_max_f32_e32 v44, v34, v34
	v_mul_f32_e32 v45, s8, v45
	v_cndmask_b32_e64 v45, 0, v45, s[2:3]
	v_fmac_f32_e32 v45, s9, v43
	v_cndmask_b32_e64 v43, 0, v45, s[0:1]
	ds_write_b32 v41, v43
	v_max_f32_e32 v43, v44, v45
	v_cndmask_b32_e64 v34, v34, v43, s[0:1]
	s_branch .LBB139_8
.LBB139_11:
	s_or_b64 exec, exec, s[28:29]
.LBB139_12:
	s_or_b64 exec, exec, s[26:27]
	v_xor_b32_e32 v2, 32, v7
	v_cmp_lt_i32_e32 vcc, v2, v8
	v_xor_b32_e32 v5, 16, v7
	v_max_f32_e32 v4, v34, v34
	v_cndmask_b32_e32 v2, v7, v2, vcc
	v_lshlrev_b32_e32 v2, 2, v2
	ds_bpermute_b32 v3, v2, v34
	v_cmp_lt_i32_e32 vcc, v5, v8
	v_xor_b32_e32 v9, 8, v7
	v_xor_b32_e32 v11, 4, v7
	s_waitcnt lgkmcnt(0)
	v_max_f32_e32 v3, v3, v3
	v_max_f32_e32 v4, v4, v3
	v_cndmask_b32_e32 v3, v7, v5, vcc
	v_lshlrev_b32_e32 v3, 2, v3
	ds_bpermute_b32 v5, v3, v4
	v_cmp_lt_i32_e32 vcc, v9, v8
	s_waitcnt lgkmcnt(0)
	v_max_f32_e32 v5, v5, v5
	v_max_f32_e32 v4, v4, v5
	v_cndmask_b32_e32 v5, v7, v9, vcc
	v_lshlrev_b32_e32 v10, 2, v5
	ds_bpermute_b32 v5, v10, v4
	v_cmp_lt_i32_e32 vcc, v11, v8
	s_waitcnt lgkmcnt(0)
	v_max_f32_e32 v5, v5, v5
	v_max_f32_e32 v9, v4, v5
	v_cndmask_b32_e32 v4, v7, v11, vcc
	v_lshlrev_b32_e32 v11, 2, v4
	ds_bpermute_b32 v12, v11, v9
	v_and_b32_e32 v4, 63, v0
	v_cmp_eq_u32_e32 vcc, 0, v4
	v_lshlrev_b32_e32 v5, 2, v1
	s_and_saveexec_b64 s[0:1], vcc
	s_cbranch_execz .LBB139_14
; %bb.13:
	s_waitcnt lgkmcnt(0)
	v_max_f32_e32 v12, v12, v12
	v_max_f32_e32 v9, v9, v9
	;; [unrolled: 1-line block ×3, first 2 shown]
	ds_write_b32 v5, v9 offset:224
.LBB139_14:
	s_or_b64 exec, exec, s[0:1]
	v_cmp_gt_u32_e64 s[0:1], 2, v4
	s_waitcnt lgkmcnt(0)
	v_mov_b32_e32 v12, 0xff7fffff
	v_lshlrev_b32_e32 v9, 2, v4
	s_barrier
	s_and_saveexec_b64 s[2:3], s[0:1]
	s_cbranch_execz .LBB139_16
; %bb.15:
	ds_read_b32 v12, v9 offset:224
.LBB139_16:
	s_or_b64 exec, exec, s[2:3]
	v_xor_b32_e32 v13, 1, v7
	v_cmp_lt_i32_e64 s[2:3], v13, v8
	v_lshlrev_b32_e32 v14, 2, v7
	s_nop 0
	v_cndmask_b32_e64 v13, v7, v13, s[2:3]
	v_lshlrev_b32_e32 v20, 2, v13
	s_waitcnt lgkmcnt(0)
	ds_bpermute_b32 v13, v20, v12
	v_max_f32_e32 v12, v12, v12
	s_lshl_b32 s2, s17, 4
	s_min_i32 s12, s2, s33
	v_cmp_gt_i32_e64 s[2:3], s12, v0
	s_waitcnt lgkmcnt(0)
	v_max_f32_e32 v13, v13, v13
	v_max_f32_e32 v13, v12, v13
	v_and_b32_e32 v12, 0xffffff00, v14
	ds_bpermute_b32 v14, v12, v13
	v_mov_b32_e32 v13, 0
	s_and_saveexec_b64 s[26:27], s[2:3]
	s_cbranch_execz .LBB139_20
; %bb.17:
	v_mov_b32_e32 v13, 0xf0
	v_lshl_add_u32 v15, v0, 2, v13
	s_mov_b64 s[28:29], 0
	v_mov_b32_e32 v13, 0
	v_mov_b32_e32 v16, v0
.LBB139_18:                             ; =>This Inner Loop Header: Depth=1
	ds_read_b32 v17, v15
	v_add_u32_e32 v16, 0x80, v16
	v_cmp_le_i32_e64 s[8:9], s12, v16
	s_or_b64 s[28:29], s[8:9], s[28:29]
	s_waitcnt lgkmcnt(0)
	v_sub_f32_e32 v17, v17, v14
	v_mul_f32_e32 v17, 0x3fb8aa3b, v17
	v_exp_f32_e32 v17, v17
	ds_write_b32 v15, v17
	v_add_f32_e32 v13, v13, v17
	v_add_u32_e32 v15, 0x200, v15
	s_andn2_b64 exec, exec, s[28:29]
	s_cbranch_execnz .LBB139_18
; %bb.19:
	s_or_b64 exec, exec, s[28:29]
.LBB139_20:
	s_or_b64 exec, exec, s[26:27]
	ds_bpermute_b32 v2, v2, v13
	s_waitcnt lgkmcnt(0)
	v_add_f32_e32 v2, v13, v2
	ds_bpermute_b32 v3, v3, v2
	s_waitcnt lgkmcnt(0)
	v_add_f32_e32 v2, v2, v3
	ds_bpermute_b32 v3, v10, v2
	v_xor_b32_e32 v10, 2, v7
	v_cmp_lt_i32_e64 s[8:9], v10, v8
	s_waitcnt lgkmcnt(0)
	v_add_f32_e32 v2, v2, v3
	ds_bpermute_b32 v3, v11, v2
	v_cndmask_b32_e64 v7, v7, v10, s[8:9]
	s_waitcnt lgkmcnt(0)
	v_add_f32_e32 v2, v2, v3
	v_lshlrev_b32_e32 v3, 2, v7
	ds_bpermute_b32 v3, v3, v2
	s_waitcnt lgkmcnt(0)
	v_add_f32_e32 v2, v2, v3
	ds_bpermute_b32 v3, v20, v2
	s_waitcnt lgkmcnt(0)
	v_add_f32_e32 v2, v2, v3
	s_and_saveexec_b64 s[8:9], vcc
	s_cbranch_execz .LBB139_22
; %bb.21:
	ds_write_b32 v5, v2 offset:232
.LBB139_22:
	s_or_b64 exec, exec, s[8:9]
	s_waitcnt lgkmcnt(0)
	s_barrier
	s_and_saveexec_b64 s[8:9], s[0:1]
	s_cbranch_execz .LBB139_24
; %bb.23:
	ds_read_b32 v2, v9 offset:232
.LBB139_24:
	s_or_b64 exec, exec, s[8:9]
	s_waitcnt lgkmcnt(0)
	ds_bpermute_b32 v3, v20, v2
	s_waitcnt lgkmcnt(0)
	v_add_f32_e32 v2, v2, v3
	ds_bpermute_b32 v2, v12, v2
	s_and_saveexec_b64 s[0:1], s[2:3]
	s_cbranch_execz .LBB139_37
; %bb.25:
	s_waitcnt lgkmcnt(0)
	v_add_f32_e32 v2, 0x358637bd, v2
	v_div_scale_f32 v3, s[2:3], v2, v2, 1.0
	v_rcp_f32_e32 v5, v3
	v_div_scale_f32 v7, vcc, 1.0, v2, 1.0
	s_movk_i32 s2, 0x7f
	v_fma_f32 v8, -v3, v5, 1.0
	v_fmac_f32_e32 v5, v8, v5
	v_mul_f32_e32 v8, v7, v5
	v_fma_f32 v9, -v3, v8, v7
	v_fmac_f32_e32 v8, v9, v5
	v_fma_f32 v3, -v3, v8, v7
	v_div_fmas_f32 v3, v3, v5, v8
	v_xad_u32 v5, v0, -1, s12
	v_div_fixup_f32 v2, v3, v2, 1.0
	v_cmp_lt_u32_e32 vcc, s2, v5
	s_mov_b64 s[8:9], -1
	v_mov_b32_e32 v3, v0
	s_and_saveexec_b64 s[2:3], vcc
	s_cbranch_execz .LBB139_34
; %bb.26:
	v_lshrrev_b32_e32 v5, 7, v5
	v_add_u32_e32 v8, -1, v5
	v_lshrrev_b32_e32 v7, 1, v8
	v_mov_b32_e32 v3, v2
	v_add_u32_e32 v7, 1, v7
	v_cmp_lt_u32_e32 vcc, 13, v8
	v_mov_b32_e32 v10, 0
	s_and_saveexec_b64 s[8:9], vcc
	s_cbranch_execz .LBB139_30
; %bb.27:
	v_mov_b32_e32 v9, 0xf0
	v_and_b32_e32 v8, -8, v7
	v_lshl_add_u32 v9, v0, 2, v9
	s_mov_b32 s15, 0
	s_mov_b64 s[26:27], 0
.LBB139_28:                             ; =>This Inner Loop Header: Depth=1
	ds_read2st64_b32 v[10:11], v9 offset1:2
	ds_read2st64_b32 v[12:13], v9 offset0:4 offset1:6
	ds_read2st64_b32 v[14:15], v9 offset0:8 offset1:10
	;; [unrolled: 1-line block ×3, first 2 shown]
	v_add_u32_e32 v8, -8, v8
	s_waitcnt lgkmcnt(3)
	v_pk_mul_f32 v[10:11], v[2:3], v[10:11]
	s_waitcnt lgkmcnt(2)
	v_pk_mul_f32 v[12:13], v[2:3], v[12:13]
	ds_write2st64_b32 v9, v10, v11 offset1:2
	ds_write2st64_b32 v9, v12, v13 offset0:4 offset1:6
	ds_read2st64_b32 v[12:13], v9 offset0:16 offset1:18
	s_waitcnt lgkmcnt(4)
	v_pk_mul_f32 v[10:11], v[2:3], v[14:15]
	ds_write2st64_b32 v9, v10, v11 offset0:8 offset1:10
	s_waitcnt lgkmcnt(4)
	v_pk_mul_f32 v[10:11], v[2:3], v[16:17]
	ds_write2st64_b32 v9, v10, v11 offset0:12 offset1:14
	ds_read2st64_b32 v[10:11], v9 offset0:20 offset1:22
	s_waitcnt lgkmcnt(3)
	v_pk_mul_f32 v[12:13], v[2:3], v[12:13]
	ds_read2st64_b32 v[14:15], v9 offset0:24 offset1:26
	ds_write2st64_b32 v9, v12, v13 offset0:16 offset1:18
	ds_read2st64_b32 v[12:13], v9 offset0:28 offset1:30
	s_waitcnt lgkmcnt(3)
	v_pk_mul_f32 v[10:11], v[2:3], v[10:11]
	ds_write2st64_b32 v9, v10, v11 offset0:20 offset1:22
	s_waitcnt lgkmcnt(3)
	v_pk_mul_f32 v[10:11], v[2:3], v[14:15]
	ds_write2st64_b32 v9, v10, v11 offset0:24 offset1:26
	s_waitcnt lgkmcnt(2)
	v_pk_mul_f32 v[10:11], v[2:3], v[12:13]
	s_add_i32 s15, s15, 16
	v_cmp_eq_u32_e32 vcc, 0, v8
	ds_write2st64_b32 v9, v10, v11 offset0:28 offset1:30
	v_add_u32_e32 v9, 0x2000, v9
	s_or_b64 s[26:27], vcc, s[26:27]
	v_mov_b32_e32 v10, s15
	s_andn2_b64 exec, exec, s[26:27]
	s_cbranch_execnz .LBB139_28
; %bb.29:
	s_or_b64 exec, exec, s[26:27]
.LBB139_30:
	s_or_b64 exec, exec, s[8:9]
	v_and_b32_e32 v7, 7, v7
	v_cmp_ne_u32_e32 vcc, 0, v7
	s_and_saveexec_b64 s[8:9], vcc
	s_cbranch_execz .LBB139_33
; %bb.31:
	v_lshlrev_b32_e32 v8, 9, v10
	v_lshlrev_b32_e32 v9, 2, v0
	s_movk_i32 s15, 0xf0
	v_add3_u32 v8, v8, v9, s15
	s_mov_b64 s[26:27], 0
.LBB139_32:                             ; =>This Inner Loop Header: Depth=1
	ds_read2st64_b32 v[10:11], v8 offset1:2
	v_add_u32_e32 v7, -1, v7
	v_cmp_eq_u32_e32 vcc, 0, v7
	s_or_b64 s[26:27], vcc, s[26:27]
	s_waitcnt lgkmcnt(0)
	v_pk_mul_f32 v[10:11], v[2:3], v[10:11]
	ds_write2st64_b32 v8, v10, v11 offset1:2
	v_add_u32_e32 v8, 0x400, v8
	s_andn2_b64 exec, exec, s[26:27]
	s_cbranch_execnz .LBB139_32
.LBB139_33:
	s_or_b64 exec, exec, s[8:9]
	v_add_u32_e32 v5, 1, v5
	v_and_b32_e32 v7, 0x3fffffe, v5
	v_cmp_ne_u32_e32 vcc, v5, v7
	v_lshl_add_u32 v3, v7, 7, v0
	s_orn2_b64 s[8:9], vcc, exec
.LBB139_34:
	s_or_b64 exec, exec, s[2:3]
	s_and_b64 exec, exec, s[8:9]
	s_cbranch_execz .LBB139_37
; %bb.35:
	v_mov_b32_e32 v5, 0xf0
	v_lshl_add_u32 v5, v3, 2, v5
	s_mov_b64 s[2:3], 0
.LBB139_36:                             ; =>This Inner Loop Header: Depth=1
	ds_read_b32 v7, v5
	v_add_u32_e32 v3, 0x80, v3
	v_cmp_le_i32_e32 vcc, s12, v3
	s_or_b64 s[2:3], vcc, s[2:3]
	s_waitcnt lgkmcnt(0)
	v_mul_f32_e32 v7, v2, v7
	ds_write_b32 v5, v7
	v_add_u32_e32 v5, 0x200, v5
	s_andn2_b64 exec, exec, s[2:3]
	s_cbranch_execnz .LBB139_36
.LBB139_37:
	s_or_b64 exec, exec, s[0:1]
	v_mov_b32_e32 v11, 0
	v_lshrrev_b32_e32 v22, 1, v4
	v_and_b32_e32 v21, 1, v0
	v_mov_b32_e32 v10, 0
	v_mov_b32_e32 v13, 0
	;; [unrolled: 1-line block ×3, first 2 shown]
	s_waitcnt lgkmcnt(0)
	s_barrier
	s_and_saveexec_b64 s[8:9], s[6:7]
	s_cbranch_execz .LBB139_211
; %bb.38:
	s_ashr_i32 s15, s14, 31
	s_lshl_b64 s[0:1], s[14:15], 1
	v_lshlrev_b32_e32 v2, 3, v0
	s_add_u32 s6, s24, s0
	v_or_b32_e32 v4, 0x60, v22
	s_movk_i32 s0, 0x70
	v_and_b32_e32 v3, 8, v2
	s_addc_u32 s7, s25, s1
	s_add_i32 s24, s17, -1
	v_cmp_gt_u32_e32 vcc, s0, v4
	v_lshlrev_b32_e32 v5, 4, v1
	s_lshl_b64 s[0:1], s[22:23], 2
	v_lshl_or_b32 v2, v22, 4, v3
	v_lshl_or_b32 v4, v4, 4, v3
	v_or3_b32 v23, v5, v3, 7
	v_lshlrev_b32_e32 v3, 5, v21
	s_add_u32 s0, s20, s0
	v_mov_b32_e32 v15, 0
	v_lshl_or_b32 v3, v1, 6, v3
	v_and_b32_e32 v14, 60, v6
	s_addc_u32 s1, s21, s1
	s_mov_b32 s26, s13
	v_add_u32_e32 v24, 0xf0, v3
	v_lshl_add_u64 v[16:17], s[0:1], 0, v[14:15]
	s_mov_b64 s[12:13], 0
	s_mov_b32 s20, 0x7f800000
	s_movk_i32 s21, 0x7fff
	v_lshlrev_b32_e32 v14, 1, v2
	v_lshlrev_b32_e32 v18, 1, v4
	v_mov_b32_e32 v12, v15
	v_mov_b32_e32 v13, v15
	;; [unrolled: 1-line block ×4, first 2 shown]
	s_branch .LBB139_41
.LBB139_39:                             ;   in Loop: Header=BB139_41 Depth=1
	s_or_b64 exec, exec, s[14:15]
	v_and_b32_e32 v37, 0xffff0000, v33
	v_and_b32_e32 v36, 0xffff0000, v7
	v_and_b32_e32 v3, 0xffff0000, v3
	v_and_b32_e32 v2, 0xffff0000, v2
	v_and_b32_e32 v35, 0xffff0000, v34
	v_and_b32_e32 v34, 0xffff0000, v19
	v_and_b32_e32 v5, 0xffff0000, v5
	v_and_b32_e32 v4, 0xffff0000, v4
	v_pk_add_f32 v[2:3], v[2:3], v[36:37]
	v_pk_add_f32 v[4:5], v[4:5], v[34:35]
	v_add_f32_e32 v2, v2, v3
	v_add_f32_e32 v2, v2, v4
	;; [unrolled: 1-line block ×4, first 2 shown]
.LBB139_40:                             ;   in Loop: Header=BB139_41 Depth=1
	s_or_b64 exec, exec, s[2:3]
	v_and_b32_e32 v7, 0xffff0000, v28
	v_and_b32_e32 v6, 0xffff0000, v26
	;; [unrolled: 1-line block ×8, first 2 shown]
	v_pk_add_f32 v[6:7], v[26:27], v[6:7]
	v_pk_add_f32 v[2:3], v[4:5], v[2:3]
	v_add_f32_e32 v4, v6, v7
	v_add_f32_e32 v2, v4, v2
	;; [unrolled: 1-line block ×3, first 2 shown]
	v_and_b32_e32 v7, 0xffff0000, v45
	v_and_b32_e32 v6, 0xffff0000, v43
	;; [unrolled: 1-line block ×4, first 2 shown]
	v_add_f32_e32 v12, v12, v2
	v_and_b32_e32 v3, 0xffff0000, v49
	v_and_b32_e32 v2, 0xffff0000, v47
	;; [unrolled: 1-line block ×4, first 2 shown]
	v_pk_add_f32 v[6:7], v[26:27], v[6:7]
	v_pk_add_f32 v[2:3], v[4:5], v[2:3]
	v_add_f32_e32 v4, v6, v7
	v_add_f32_e32 v2, v4, v2
	;; [unrolled: 1-line block ×3, first 2 shown]
	v_and_b32_e32 v7, 0xffff0000, v51
	v_and_b32_e32 v6, 0xffff0000, v9
	v_and_b32_e32 v9, 0xffff0000, v50
	v_and_b32_e32 v8, 0xffff0000, v8
	v_add_f32_e32 v13, v13, v2
	v_and_b32_e32 v3, 0xffff0000, v55
	v_and_b32_e32 v2, 0xffff0000, v53
	;; [unrolled: 1-line block ×4, first 2 shown]
	v_pk_add_f32 v[6:7], v[8:9], v[6:7]
	v_pk_add_f32 v[2:3], v[4:5], v[2:3]
	v_add_f32_e32 v4, v6, v7
	v_add_f32_e32 v2, v4, v2
	v_add_u32_e32 v1, 2, v1
	v_add_f32_e32 v2, v2, v3
	v_cmp_le_i32_e64 s[0:1], s17, v1
	v_add_f32_e32 v10, v10, v2
	v_add_u32_e32 v23, 32, v23
	v_add_u32_e32 v24, 0x80, v24
	s_or_b64 s[12:13], s[0:1], s[12:13]
	v_lshl_add_u64 v[16:17], v[16:17], 0, 8
	s_andn2_b64 exec, exec, s[12:13]
	s_cbranch_execz .LBB139_210
.LBB139_41:                             ; =>This Inner Loop Header: Depth=1
	global_load_dword v32, v[16:17], off
	ds_read2_b64 v[6:9], v24 offset1:1
	ds_read2_b64 v[2:5], v24 offset0:2 offset1:3
                                        ; implicit-def: $vgpr25
	s_waitcnt lgkmcnt(1)
	v_and_b32_e32 v19, 0x7f800000, v6
	v_cmp_ne_u32_e64 s[0:1], s20, v19
	s_and_saveexec_b64 s[2:3], s[0:1]
	s_xor_b64 s[0:1], exec, s[2:3]
; %bb.42:                               ;   in Loop: Header=BB139_41 Depth=1
	v_bfe_u32 v19, v6, 16, 1
	v_add3_u32 v25, v6, v19, s21
; %bb.43:                               ;   in Loop: Header=BB139_41 Depth=1
	s_andn2_saveexec_b64 s[2:3], s[0:1]
; %bb.44:                               ;   in Loop: Header=BB139_41 Depth=1
	v_or_b32_e32 v19, 0x10000, v6
	v_cmp_eq_u32_sdwa s[0:1], v6, v15 src0_sel:WORD_0 src1_sel:DWORD
	s_nop 1
	v_cndmask_b32_e64 v25, v19, v6, s[0:1]
; %bb.45:                               ;   in Loop: Header=BB139_41 Depth=1
	s_or_b64 exec, exec, s[2:3]
	v_and_b32_e32 v6, 0x7f800000, v7
	v_cmp_ne_u32_e64 s[0:1], s20, v6
                                        ; implicit-def: $vgpr26
	s_and_saveexec_b64 s[2:3], s[0:1]
	s_xor_b64 s[0:1], exec, s[2:3]
; %bb.46:                               ;   in Loop: Header=BB139_41 Depth=1
	v_bfe_u32 v6, v7, 16, 1
	v_add3_u32 v26, v7, v6, s21
; %bb.47:                               ;   in Loop: Header=BB139_41 Depth=1
	s_andn2_saveexec_b64 s[2:3], s[0:1]
; %bb.48:                               ;   in Loop: Header=BB139_41 Depth=1
	v_or_b32_e32 v6, 0x10000, v7
	v_cmp_eq_u32_sdwa s[0:1], v7, v15 src0_sel:WORD_0 src1_sel:DWORD
	s_nop 1
	v_cndmask_b32_e64 v26, v6, v7, s[0:1]
; %bb.49:                               ;   in Loop: Header=BB139_41 Depth=1
	s_or_b64 exec, exec, s[2:3]
	v_and_b32_e32 v6, 0x7f800000, v8
	v_cmp_ne_u32_e64 s[0:1], s20, v6
                                        ; implicit-def: $vgpr27
	s_and_saveexec_b64 s[2:3], s[0:1]
	s_xor_b64 s[0:1], exec, s[2:3]
; %bb.50:                               ;   in Loop: Header=BB139_41 Depth=1
	v_bfe_u32 v6, v8, 16, 1
	v_add3_u32 v27, v8, v6, s21
; %bb.51:                               ;   in Loop: Header=BB139_41 Depth=1
	s_andn2_saveexec_b64 s[2:3], s[0:1]
; %bb.52:                               ;   in Loop: Header=BB139_41 Depth=1
	v_or_b32_e32 v6, 0x10000, v8
	v_cmp_eq_u32_sdwa s[0:1], v8, v15 src0_sel:WORD_0 src1_sel:DWORD
	s_nop 1
	v_cndmask_b32_e64 v27, v6, v8, s[0:1]
; %bb.53:                               ;   in Loop: Header=BB139_41 Depth=1
	s_or_b64 exec, exec, s[2:3]
	v_and_b32_e32 v6, 0x7f800000, v9
	v_cmp_ne_u32_e64 s[0:1], s20, v6
                                        ; implicit-def: $vgpr28
	s_and_saveexec_b64 s[2:3], s[0:1]
	s_xor_b64 s[0:1], exec, s[2:3]
; %bb.54:                               ;   in Loop: Header=BB139_41 Depth=1
	v_bfe_u32 v6, v9, 16, 1
	v_add3_u32 v28, v9, v6, s21
                                        ; implicit-def: $vgpr6_vgpr7_vgpr8_vgpr9
; %bb.55:                               ;   in Loop: Header=BB139_41 Depth=1
	s_andn2_saveexec_b64 s[2:3], s[0:1]
; %bb.56:                               ;   in Loop: Header=BB139_41 Depth=1
	v_or_b32_e32 v6, 0x10000, v9
	v_cmp_eq_u32_sdwa s[0:1], v9, v15 src0_sel:WORD_0 src1_sel:DWORD
	s_nop 1
	v_cndmask_b32_e64 v28, v6, v9, s[0:1]
; %bb.57:                               ;   in Loop: Header=BB139_41 Depth=1
	s_or_b64 exec, exec, s[2:3]
	s_waitcnt lgkmcnt(0)
	v_and_b32_e32 v6, 0x7f800000, v2
	v_cmp_ne_u32_e64 s[0:1], s20, v6
                                        ; implicit-def: $vgpr29
	s_and_saveexec_b64 s[2:3], s[0:1]
	s_xor_b64 s[0:1], exec, s[2:3]
; %bb.58:                               ;   in Loop: Header=BB139_41 Depth=1
	v_bfe_u32 v6, v2, 16, 1
	v_add3_u32 v29, v2, v6, s21
; %bb.59:                               ;   in Loop: Header=BB139_41 Depth=1
	s_andn2_saveexec_b64 s[2:3], s[0:1]
; %bb.60:                               ;   in Loop: Header=BB139_41 Depth=1
	v_or_b32_e32 v6, 0x10000, v2
	v_cmp_eq_u32_sdwa s[0:1], v2, v15 src0_sel:WORD_0 src1_sel:DWORD
	s_nop 1
	v_cndmask_b32_e64 v29, v6, v2, s[0:1]
; %bb.61:                               ;   in Loop: Header=BB139_41 Depth=1
	s_or_b64 exec, exec, s[2:3]
	v_and_b32_e32 v2, 0x7f800000, v3
	v_cmp_ne_u32_e64 s[0:1], s20, v2
                                        ; implicit-def: $vgpr30
	s_and_saveexec_b64 s[2:3], s[0:1]
	s_xor_b64 s[0:1], exec, s[2:3]
; %bb.62:                               ;   in Loop: Header=BB139_41 Depth=1
	v_bfe_u32 v2, v3, 16, 1
	v_add3_u32 v30, v3, v2, s21
; %bb.63:                               ;   in Loop: Header=BB139_41 Depth=1
	s_andn2_saveexec_b64 s[2:3], s[0:1]
; %bb.64:                               ;   in Loop: Header=BB139_41 Depth=1
	v_or_b32_e32 v2, 0x10000, v3
	v_cmp_eq_u32_sdwa s[0:1], v3, v15 src0_sel:WORD_0 src1_sel:DWORD
	s_nop 1
	v_cndmask_b32_e64 v30, v2, v3, s[0:1]
; %bb.65:                               ;   in Loop: Header=BB139_41 Depth=1
	s_or_b64 exec, exec, s[2:3]
	v_and_b32_e32 v2, 0x7f800000, v4
	v_cmp_ne_u32_e64 s[0:1], s20, v2
                                        ; implicit-def: $vgpr31
	s_and_saveexec_b64 s[2:3], s[0:1]
	s_xor_b64 s[0:1], exec, s[2:3]
; %bb.66:                               ;   in Loop: Header=BB139_41 Depth=1
	v_bfe_u32 v2, v4, 16, 1
	v_add3_u32 v31, v4, v2, s21
; %bb.67:                               ;   in Loop: Header=BB139_41 Depth=1
	s_andn2_saveexec_b64 s[2:3], s[0:1]
; %bb.68:                               ;   in Loop: Header=BB139_41 Depth=1
	v_or_b32_e32 v2, 0x10000, v4
	v_cmp_eq_u32_sdwa s[0:1], v4, v15 src0_sel:WORD_0 src1_sel:DWORD
	s_nop 1
	v_cndmask_b32_e64 v31, v2, v4, s[0:1]
; %bb.69:                               ;   in Loop: Header=BB139_41 Depth=1
	s_or_b64 exec, exec, s[2:3]
	v_and_b32_e32 v2, 0x7f800000, v5
	v_cmp_ne_u32_e64 s[0:1], s20, v2
                                        ; implicit-def: $vgpr19
	s_and_saveexec_b64 s[2:3], s[0:1]
	s_xor_b64 s[0:1], exec, s[2:3]
; %bb.70:                               ;   in Loop: Header=BB139_41 Depth=1
	v_bfe_u32 v2, v5, 16, 1
	v_add3_u32 v19, v5, v2, s21
                                        ; implicit-def: $vgpr2_vgpr3_vgpr4_vgpr5
; %bb.71:                               ;   in Loop: Header=BB139_41 Depth=1
	s_andn2_saveexec_b64 s[2:3], s[0:1]
; %bb.72:                               ;   in Loop: Header=BB139_41 Depth=1
	v_or_b32_e32 v2, 0x10000, v5
	v_cmp_eq_u32_sdwa s[0:1], v5, v15 src0_sel:WORD_0 src1_sel:DWORD
	s_nop 1
	v_cndmask_b32_e64 v19, v2, v5, s[0:1]
; %bb.73:                               ;   in Loop: Header=BB139_41 Depth=1
	s_or_b64 exec, exec, s[2:3]
	s_waitcnt vmcnt(0)
	v_mad_i64_i32 v[2:3], s[0:1], v32, s26, 0
	v_lshl_add_u64 v[6:7], v[2:3], 1, s[6:7]
	v_lshl_add_u64 v[8:9], v[6:7], 0, v[14:15]
	global_load_dwordx4 v[2:5], v[8:9], off
	v_add_u32_e32 v33, -7, v23
	v_cmp_eq_u32_e64 s[0:1], s24, v1
	s_waitcnt vmcnt(0)
	v_lshrrev_b32_e32 v36, 16, v2
	v_lshrrev_b32_e32 v38, 16, v3
	;; [unrolled: 1-line block ×4, first 2 shown]
	s_and_saveexec_b64 s[14:15], s[0:1]
	s_cbranch_execz .LBB139_75
; %bb.74:                               ;   in Loop: Header=BB139_41 Depth=1
	v_cmp_gt_i32_e64 s[2:3], s33, v33
	v_add_u32_e32 v34, -6, v23
	s_nop 0
	v_cndmask_b32_e64 v2, 0, v2, s[2:3]
	v_cmp_gt_i32_e64 s[2:3], s33, v34
	v_add_u32_e32 v34, -5, v23
	s_nop 0
	v_cndmask_b32_e64 v36, 0, v36, s[2:3]
	;; [unrolled: 4-line block ×6, first 2 shown]
	v_cmp_gt_i32_e64 s[2:3], s33, v34
	s_nop 1
	v_cndmask_b32_e64 v5, 0, v5, s[2:3]
	v_cmp_gt_i32_e64 s[2:3], s33, v23
	s_nop 1
	v_cndmask_b32_e64 v32, 0, v32, s[2:3]
.LBB139_75:                             ;   in Loop: Header=BB139_41 Depth=1
	s_or_b64 exec, exec, s[14:15]
	v_and_b32_e32 v34, 0xffff0000, v25
	v_lshlrev_b32_e32 v2, 16, v2
	v_mul_f32_e32 v2, v34, v2
	v_and_b32_e32 v25, 0x7f800000, v2
	v_cmp_ne_u32_e64 s[2:3], s20, v25
                                        ; implicit-def: $vgpr25
	s_and_saveexec_b64 s[14:15], s[2:3]
	s_xor_b64 s[2:3], exec, s[14:15]
; %bb.76:                               ;   in Loop: Header=BB139_41 Depth=1
	v_bfe_u32 v25, v2, 16, 1
	v_add3_u32 v25, v2, v25, s21
                                        ; implicit-def: $vgpr2
; %bb.77:                               ;   in Loop: Header=BB139_41 Depth=1
	s_andn2_saveexec_b64 s[14:15], s[2:3]
; %bb.78:                               ;   in Loop: Header=BB139_41 Depth=1
	v_or_b32_e32 v25, 0x10000, v2
	v_cmp_eq_u32_sdwa s[2:3], v2, v15 src0_sel:WORD_0 src1_sel:DWORD
	s_nop 1
	v_cndmask_b32_e64 v25, v25, v2, s[2:3]
; %bb.79:                               ;   in Loop: Header=BB139_41 Depth=1
	s_or_b64 exec, exec, s[14:15]
	v_and_b32_e32 v35, 0xffff0000, v26
	v_lshlrev_b32_e32 v2, 16, v36
	v_mul_f32_e32 v2, v35, v2
	v_and_b32_e32 v26, 0x7f800000, v2
	v_cmp_ne_u32_e64 s[2:3], s20, v26
                                        ; implicit-def: $vgpr26
	s_and_saveexec_b64 s[14:15], s[2:3]
	s_xor_b64 s[2:3], exec, s[14:15]
; %bb.80:                               ;   in Loop: Header=BB139_41 Depth=1
	v_bfe_u32 v26, v2, 16, 1
	v_add3_u32 v26, v2, v26, s21
                                        ; implicit-def: $vgpr2
; %bb.81:                               ;   in Loop: Header=BB139_41 Depth=1
	s_andn2_saveexec_b64 s[14:15], s[2:3]
; %bb.82:                               ;   in Loop: Header=BB139_41 Depth=1
	v_or_b32_e32 v26, 0x10000, v2
	v_cmp_eq_u32_sdwa s[2:3], v2, v15 src0_sel:WORD_0 src1_sel:DWORD
	s_nop 1
	v_cndmask_b32_e64 v26, v26, v2, s[2:3]
; %bb.83:                               ;   in Loop: Header=BB139_41 Depth=1
	s_or_b64 exec, exec, s[14:15]
	v_and_b32_e32 v36, 0xffff0000, v27
	v_lshlrev_b32_e32 v2, 16, v3
	v_mul_f32_e32 v2, v36, v2
	v_and_b32_e32 v3, 0x7f800000, v2
	v_cmp_ne_u32_e64 s[2:3], s20, v3
                                        ; implicit-def: $vgpr27
	s_and_saveexec_b64 s[14:15], s[2:3]
	s_xor_b64 s[2:3], exec, s[14:15]
; %bb.84:                               ;   in Loop: Header=BB139_41 Depth=1
	v_bfe_u32 v3, v2, 16, 1
	v_add3_u32 v27, v2, v3, s21
                                        ; implicit-def: $vgpr2
; %bb.85:                               ;   in Loop: Header=BB139_41 Depth=1
	s_andn2_saveexec_b64 s[14:15], s[2:3]
; %bb.86:                               ;   in Loop: Header=BB139_41 Depth=1
	v_or_b32_e32 v3, 0x10000, v2
	v_cmp_eq_u32_sdwa s[2:3], v2, v15 src0_sel:WORD_0 src1_sel:DWORD
	s_nop 1
	v_cndmask_b32_e64 v27, v3, v2, s[2:3]
; %bb.87:                               ;   in Loop: Header=BB139_41 Depth=1
	s_or_b64 exec, exec, s[14:15]
	v_and_b32_e32 v37, 0xffff0000, v28
	v_lshlrev_b32_e32 v2, 16, v38
	v_mul_f32_e32 v2, v37, v2
	v_and_b32_e32 v3, 0x7f800000, v2
	v_cmp_ne_u32_e64 s[2:3], s20, v3
                                        ; implicit-def: $vgpr28
	s_and_saveexec_b64 s[14:15], s[2:3]
	s_xor_b64 s[2:3], exec, s[14:15]
; %bb.88:                               ;   in Loop: Header=BB139_41 Depth=1
	v_bfe_u32 v3, v2, 16, 1
	v_add3_u32 v28, v2, v3, s21
                                        ; implicit-def: $vgpr2
; %bb.89:                               ;   in Loop: Header=BB139_41 Depth=1
	s_andn2_saveexec_b64 s[14:15], s[2:3]
; %bb.90:                               ;   in Loop: Header=BB139_41 Depth=1
	v_or_b32_e32 v3, 0x10000, v2
	v_cmp_eq_u32_sdwa s[2:3], v2, v15 src0_sel:WORD_0 src1_sel:DWORD
	s_nop 1
	v_cndmask_b32_e64 v28, v3, v2, s[2:3]
; %bb.91:                               ;   in Loop: Header=BB139_41 Depth=1
	s_or_b64 exec, exec, s[14:15]
	v_and_b32_e32 v38, 0xffff0000, v29
	v_lshlrev_b32_e32 v2, 16, v4
	v_mul_f32_e32 v2, v38, v2
	v_and_b32_e32 v3, 0x7f800000, v2
	v_cmp_ne_u32_e64 s[2:3], s20, v3
                                        ; implicit-def: $vgpr29
	s_and_saveexec_b64 s[14:15], s[2:3]
	s_xor_b64 s[2:3], exec, s[14:15]
; %bb.92:                               ;   in Loop: Header=BB139_41 Depth=1
	v_bfe_u32 v3, v2, 16, 1
	v_add3_u32 v29, v2, v3, s21
                                        ; implicit-def: $vgpr2
; %bb.93:                               ;   in Loop: Header=BB139_41 Depth=1
	s_andn2_saveexec_b64 s[14:15], s[2:3]
; %bb.94:                               ;   in Loop: Header=BB139_41 Depth=1
	v_or_b32_e32 v3, 0x10000, v2
	v_cmp_eq_u32_sdwa s[2:3], v2, v15 src0_sel:WORD_0 src1_sel:DWORD
	s_nop 1
	v_cndmask_b32_e64 v29, v3, v2, s[2:3]
; %bb.95:                               ;   in Loop: Header=BB139_41 Depth=1
	s_or_b64 exec, exec, s[14:15]
	v_and_b32_e32 v39, 0xffff0000, v30
	v_lshlrev_b32_e32 v2, 16, v40
	v_mul_f32_e32 v2, v39, v2
	v_and_b32_e32 v3, 0x7f800000, v2
	v_cmp_ne_u32_e64 s[2:3], s20, v3
                                        ; implicit-def: $vgpr30
	s_and_saveexec_b64 s[14:15], s[2:3]
	s_xor_b64 s[2:3], exec, s[14:15]
; %bb.96:                               ;   in Loop: Header=BB139_41 Depth=1
	v_bfe_u32 v3, v2, 16, 1
	v_add3_u32 v30, v2, v3, s21
                                        ; implicit-def: $vgpr2
; %bb.97:                               ;   in Loop: Header=BB139_41 Depth=1
	s_andn2_saveexec_b64 s[14:15], s[2:3]
; %bb.98:                               ;   in Loop: Header=BB139_41 Depth=1
	v_or_b32_e32 v3, 0x10000, v2
	v_cmp_eq_u32_sdwa s[2:3], v2, v15 src0_sel:WORD_0 src1_sel:DWORD
	s_nop 1
	v_cndmask_b32_e64 v30, v3, v2, s[2:3]
; %bb.99:                               ;   in Loop: Header=BB139_41 Depth=1
	s_or_b64 exec, exec, s[14:15]
	v_and_b32_e32 v40, 0xffff0000, v31
	v_lshlrev_b32_e32 v2, 16, v5
	v_mul_f32_e32 v2, v40, v2
	v_and_b32_e32 v3, 0x7f800000, v2
	v_cmp_ne_u32_e64 s[2:3], s20, v3
                                        ; implicit-def: $vgpr31
	s_and_saveexec_b64 s[14:15], s[2:3]
	s_xor_b64 s[2:3], exec, s[14:15]
; %bb.100:                              ;   in Loop: Header=BB139_41 Depth=1
	v_bfe_u32 v3, v2, 16, 1
	v_add3_u32 v31, v2, v3, s21
                                        ; implicit-def: $vgpr2
; %bb.101:                              ;   in Loop: Header=BB139_41 Depth=1
	s_andn2_saveexec_b64 s[14:15], s[2:3]
; %bb.102:                              ;   in Loop: Header=BB139_41 Depth=1
	v_or_b32_e32 v3, 0x10000, v2
	v_cmp_eq_u32_sdwa s[2:3], v2, v15 src0_sel:WORD_0 src1_sel:DWORD
	s_nop 1
	v_cndmask_b32_e64 v31, v3, v2, s[2:3]
; %bb.103:                              ;   in Loop: Header=BB139_41 Depth=1
	s_or_b64 exec, exec, s[14:15]
	v_and_b32_e32 v41, 0xffff0000, v19
	v_lshlrev_b32_e32 v2, 16, v32
	v_mul_f32_e32 v2, v41, v2
	v_and_b32_e32 v3, 0x7f800000, v2
	v_cmp_ne_u32_e64 s[2:3], s20, v3
                                        ; implicit-def: $vgpr32
	s_and_saveexec_b64 s[14:15], s[2:3]
	s_xor_b64 s[2:3], exec, s[14:15]
; %bb.104:                              ;   in Loop: Header=BB139_41 Depth=1
	v_bfe_u32 v3, v2, 16, 1
	v_add3_u32 v32, v2, v3, s21
                                        ; implicit-def: $vgpr2
; %bb.105:                              ;   in Loop: Header=BB139_41 Depth=1
	s_andn2_saveexec_b64 s[14:15], s[2:3]
; %bb.106:                              ;   in Loop: Header=BB139_41 Depth=1
	v_or_b32_e32 v3, 0x10000, v2
	v_cmp_eq_u32_sdwa s[2:3], v2, v15 src0_sel:WORD_0 src1_sel:DWORD
	s_nop 1
	v_cndmask_b32_e64 v32, v3, v2, s[2:3]
; %bb.107:                              ;   in Loop: Header=BB139_41 Depth=1
	s_or_b64 exec, exec, s[14:15]
	global_load_dwordx4 v[2:5], v[8:9], off offset:1024
	s_waitcnt vmcnt(0)
	v_lshrrev_b32_e32 v43, 16, v2
	v_lshrrev_b32_e32 v45, 16, v3
	;; [unrolled: 1-line block ×4, first 2 shown]
	s_and_saveexec_b64 s[14:15], s[0:1]
	s_cbranch_execz .LBB139_109
; %bb.108:                              ;   in Loop: Header=BB139_41 Depth=1
	v_cmp_gt_i32_e64 s[2:3], s33, v33
	v_add_u32_e32 v42, -6, v23
	s_nop 0
	v_cndmask_b32_e64 v2, 0, v2, s[2:3]
	v_cmp_gt_i32_e64 s[2:3], s33, v42
	v_add_u32_e32 v42, -5, v23
	s_nop 0
	v_cndmask_b32_e64 v43, 0, v43, s[2:3]
	;; [unrolled: 4-line block ×6, first 2 shown]
	v_cmp_gt_i32_e64 s[2:3], s33, v42
	s_nop 1
	v_cndmask_b32_e64 v5, 0, v5, s[2:3]
	v_cmp_gt_i32_e64 s[2:3], s33, v23
	s_nop 1
	v_cndmask_b32_e64 v19, 0, v19, s[2:3]
.LBB139_109:                            ;   in Loop: Header=BB139_41 Depth=1
	s_or_b64 exec, exec, s[14:15]
	v_lshlrev_b32_e32 v2, 16, v2
	v_mul_f32_e32 v2, v34, v2
	v_and_b32_e32 v42, 0x7f800000, v2
	v_cmp_ne_u32_e64 s[2:3], s20, v42
                                        ; implicit-def: $vgpr42
	s_and_saveexec_b64 s[14:15], s[2:3]
	s_xor_b64 s[2:3], exec, s[14:15]
; %bb.110:                              ;   in Loop: Header=BB139_41 Depth=1
	v_bfe_u32 v42, v2, 16, 1
	v_add3_u32 v42, v2, v42, s21
                                        ; implicit-def: $vgpr2
; %bb.111:                              ;   in Loop: Header=BB139_41 Depth=1
	s_andn2_saveexec_b64 s[14:15], s[2:3]
; %bb.112:                              ;   in Loop: Header=BB139_41 Depth=1
	v_or_b32_e32 v42, 0x10000, v2
	v_cmp_eq_u32_sdwa s[2:3], v2, v15 src0_sel:WORD_0 src1_sel:DWORD
	s_nop 1
	v_cndmask_b32_e64 v42, v42, v2, s[2:3]
; %bb.113:                              ;   in Loop: Header=BB139_41 Depth=1
	s_or_b64 exec, exec, s[14:15]
	v_lshlrev_b32_e32 v2, 16, v43
	v_mul_f32_e32 v2, v35, v2
	v_and_b32_e32 v43, 0x7f800000, v2
	v_cmp_ne_u32_e64 s[2:3], s20, v43
                                        ; implicit-def: $vgpr43
	s_and_saveexec_b64 s[14:15], s[2:3]
	s_xor_b64 s[2:3], exec, s[14:15]
; %bb.114:                              ;   in Loop: Header=BB139_41 Depth=1
	v_bfe_u32 v43, v2, 16, 1
	v_add3_u32 v43, v2, v43, s21
                                        ; implicit-def: $vgpr2
; %bb.115:                              ;   in Loop: Header=BB139_41 Depth=1
	s_andn2_saveexec_b64 s[14:15], s[2:3]
; %bb.116:                              ;   in Loop: Header=BB139_41 Depth=1
	v_or_b32_e32 v43, 0x10000, v2
	v_cmp_eq_u32_sdwa s[2:3], v2, v15 src0_sel:WORD_0 src1_sel:DWORD
	s_nop 1
	v_cndmask_b32_e64 v43, v43, v2, s[2:3]
; %bb.117:                              ;   in Loop: Header=BB139_41 Depth=1
	s_or_b64 exec, exec, s[14:15]
	v_lshlrev_b32_e32 v2, 16, v3
	v_mul_f32_e32 v2, v36, v2
	v_and_b32_e32 v3, 0x7f800000, v2
	v_cmp_ne_u32_e64 s[2:3], s20, v3
                                        ; implicit-def: $vgpr44
	s_and_saveexec_b64 s[14:15], s[2:3]
	s_xor_b64 s[2:3], exec, s[14:15]
; %bb.118:                              ;   in Loop: Header=BB139_41 Depth=1
	v_bfe_u32 v3, v2, 16, 1
	v_add3_u32 v44, v2, v3, s21
                                        ; implicit-def: $vgpr2
; %bb.119:                              ;   in Loop: Header=BB139_41 Depth=1
	s_andn2_saveexec_b64 s[14:15], s[2:3]
; %bb.120:                              ;   in Loop: Header=BB139_41 Depth=1
	v_or_b32_e32 v3, 0x10000, v2
	v_cmp_eq_u32_sdwa s[2:3], v2, v15 src0_sel:WORD_0 src1_sel:DWORD
	s_nop 1
	v_cndmask_b32_e64 v44, v3, v2, s[2:3]
; %bb.121:                              ;   in Loop: Header=BB139_41 Depth=1
	s_or_b64 exec, exec, s[14:15]
	v_lshlrev_b32_e32 v2, 16, v45
	v_mul_f32_e32 v2, v37, v2
	v_and_b32_e32 v3, 0x7f800000, v2
	v_cmp_ne_u32_e64 s[2:3], s20, v3
                                        ; implicit-def: $vgpr45
	s_and_saveexec_b64 s[14:15], s[2:3]
	s_xor_b64 s[2:3], exec, s[14:15]
; %bb.122:                              ;   in Loop: Header=BB139_41 Depth=1
	v_bfe_u32 v3, v2, 16, 1
	v_add3_u32 v45, v2, v3, s21
                                        ; implicit-def: $vgpr2
; %bb.123:                              ;   in Loop: Header=BB139_41 Depth=1
	s_andn2_saveexec_b64 s[14:15], s[2:3]
; %bb.124:                              ;   in Loop: Header=BB139_41 Depth=1
	v_or_b32_e32 v3, 0x10000, v2
	v_cmp_eq_u32_sdwa s[2:3], v2, v15 src0_sel:WORD_0 src1_sel:DWORD
	s_nop 1
	v_cndmask_b32_e64 v45, v3, v2, s[2:3]
; %bb.125:                              ;   in Loop: Header=BB139_41 Depth=1
	s_or_b64 exec, exec, s[14:15]
	v_lshlrev_b32_e32 v2, 16, v4
	v_mul_f32_e32 v2, v38, v2
	v_and_b32_e32 v3, 0x7f800000, v2
	v_cmp_ne_u32_e64 s[2:3], s20, v3
                                        ; implicit-def: $vgpr46
	s_and_saveexec_b64 s[14:15], s[2:3]
	s_xor_b64 s[2:3], exec, s[14:15]
; %bb.126:                              ;   in Loop: Header=BB139_41 Depth=1
	v_bfe_u32 v3, v2, 16, 1
	v_add3_u32 v46, v2, v3, s21
                                        ; implicit-def: $vgpr2
; %bb.127:                              ;   in Loop: Header=BB139_41 Depth=1
	s_andn2_saveexec_b64 s[14:15], s[2:3]
; %bb.128:                              ;   in Loop: Header=BB139_41 Depth=1
	v_or_b32_e32 v3, 0x10000, v2
	v_cmp_eq_u32_sdwa s[2:3], v2, v15 src0_sel:WORD_0 src1_sel:DWORD
	s_nop 1
	v_cndmask_b32_e64 v46, v3, v2, s[2:3]
; %bb.129:                              ;   in Loop: Header=BB139_41 Depth=1
	s_or_b64 exec, exec, s[14:15]
	v_lshlrev_b32_e32 v2, 16, v47
	v_mul_f32_e32 v2, v39, v2
	v_and_b32_e32 v3, 0x7f800000, v2
	v_cmp_ne_u32_e64 s[2:3], s20, v3
                                        ; implicit-def: $vgpr47
	s_and_saveexec_b64 s[14:15], s[2:3]
	s_xor_b64 s[2:3], exec, s[14:15]
; %bb.130:                              ;   in Loop: Header=BB139_41 Depth=1
	v_bfe_u32 v3, v2, 16, 1
	v_add3_u32 v47, v2, v3, s21
                                        ; implicit-def: $vgpr2
; %bb.131:                              ;   in Loop: Header=BB139_41 Depth=1
	s_andn2_saveexec_b64 s[14:15], s[2:3]
; %bb.132:                              ;   in Loop: Header=BB139_41 Depth=1
	v_or_b32_e32 v3, 0x10000, v2
	v_cmp_eq_u32_sdwa s[2:3], v2, v15 src0_sel:WORD_0 src1_sel:DWORD
	s_nop 1
	v_cndmask_b32_e64 v47, v3, v2, s[2:3]
; %bb.133:                              ;   in Loop: Header=BB139_41 Depth=1
	s_or_b64 exec, exec, s[14:15]
	v_lshlrev_b32_e32 v2, 16, v5
	v_mul_f32_e32 v2, v40, v2
	v_and_b32_e32 v3, 0x7f800000, v2
	v_cmp_ne_u32_e64 s[2:3], s20, v3
                                        ; implicit-def: $vgpr48
	s_and_saveexec_b64 s[14:15], s[2:3]
	s_xor_b64 s[2:3], exec, s[14:15]
; %bb.134:                              ;   in Loop: Header=BB139_41 Depth=1
	v_bfe_u32 v3, v2, 16, 1
	v_add3_u32 v48, v2, v3, s21
                                        ; implicit-def: $vgpr2
; %bb.135:                              ;   in Loop: Header=BB139_41 Depth=1
	s_andn2_saveexec_b64 s[14:15], s[2:3]
; %bb.136:                              ;   in Loop: Header=BB139_41 Depth=1
	v_or_b32_e32 v3, 0x10000, v2
	v_cmp_eq_u32_sdwa s[2:3], v2, v15 src0_sel:WORD_0 src1_sel:DWORD
	s_nop 1
	v_cndmask_b32_e64 v48, v3, v2, s[2:3]
; %bb.137:                              ;   in Loop: Header=BB139_41 Depth=1
	s_or_b64 exec, exec, s[14:15]
	v_lshlrev_b32_e32 v2, 16, v19
	v_mul_f32_e32 v2, v41, v2
	v_and_b32_e32 v3, 0x7f800000, v2
	v_cmp_ne_u32_e64 s[2:3], s20, v3
                                        ; implicit-def: $vgpr49
	s_and_saveexec_b64 s[14:15], s[2:3]
	s_xor_b64 s[2:3], exec, s[14:15]
; %bb.138:                              ;   in Loop: Header=BB139_41 Depth=1
	v_bfe_u32 v3, v2, 16, 1
	v_add3_u32 v49, v2, v3, s21
                                        ; implicit-def: $vgpr2
; %bb.139:                              ;   in Loop: Header=BB139_41 Depth=1
	s_andn2_saveexec_b64 s[14:15], s[2:3]
; %bb.140:                              ;   in Loop: Header=BB139_41 Depth=1
	v_or_b32_e32 v3, 0x10000, v2
	v_cmp_eq_u32_sdwa s[2:3], v2, v15 src0_sel:WORD_0 src1_sel:DWORD
	s_nop 1
	v_cndmask_b32_e64 v49, v3, v2, s[2:3]
; %bb.141:                              ;   in Loop: Header=BB139_41 Depth=1
	s_or_b64 exec, exec, s[14:15]
	global_load_dwordx4 v[2:5], v[8:9], off offset:2048
	s_waitcnt vmcnt(0)
	v_lshrrev_b32_e32 v9, 16, v2
	v_lshrrev_b32_e32 v51, 16, v3
	v_lshrrev_b32_e32 v53, 16, v4
	v_lshrrev_b32_e32 v19, 16, v5
	s_and_saveexec_b64 s[14:15], s[0:1]
	s_cbranch_execz .LBB139_143
; %bb.142:                              ;   in Loop: Header=BB139_41 Depth=1
	v_cmp_gt_i32_e64 s[2:3], s33, v33
	v_add_u32_e32 v8, -6, v23
	s_nop 0
	v_cndmask_b32_e64 v2, 0, v2, s[2:3]
	v_cmp_gt_i32_e64 s[2:3], s33, v8
	v_add_u32_e32 v8, -5, v23
	s_nop 0
	v_cndmask_b32_e64 v9, 0, v9, s[2:3]
	;; [unrolled: 4-line block ×6, first 2 shown]
	v_cmp_gt_i32_e64 s[2:3], s33, v8
	s_nop 1
	v_cndmask_b32_e64 v5, 0, v5, s[2:3]
	v_cmp_gt_i32_e64 s[2:3], s33, v23
	s_nop 1
	v_cndmask_b32_e64 v19, 0, v19, s[2:3]
.LBB139_143:                            ;   in Loop: Header=BB139_41 Depth=1
	s_or_b64 exec, exec, s[14:15]
	v_lshlrev_b32_e32 v2, 16, v2
	v_mul_f32_e32 v2, v34, v2
	v_and_b32_e32 v8, 0x7f800000, v2
	v_cmp_ne_u32_e64 s[2:3], s20, v8
                                        ; implicit-def: $vgpr8
	s_and_saveexec_b64 s[14:15], s[2:3]
	s_xor_b64 s[2:3], exec, s[14:15]
; %bb.144:                              ;   in Loop: Header=BB139_41 Depth=1
	v_bfe_u32 v8, v2, 16, 1
	v_add3_u32 v8, v2, v8, s21
                                        ; implicit-def: $vgpr2
; %bb.145:                              ;   in Loop: Header=BB139_41 Depth=1
	s_andn2_saveexec_b64 s[14:15], s[2:3]
; %bb.146:                              ;   in Loop: Header=BB139_41 Depth=1
	v_or_b32_e32 v8, 0x10000, v2
	v_cmp_eq_u32_sdwa s[2:3], v2, v15 src0_sel:WORD_0 src1_sel:DWORD
	s_nop 1
	v_cndmask_b32_e64 v8, v8, v2, s[2:3]
; %bb.147:                              ;   in Loop: Header=BB139_41 Depth=1
	s_or_b64 exec, exec, s[14:15]
	v_lshlrev_b32_e32 v2, 16, v9
	v_mul_f32_e32 v2, v35, v2
	v_and_b32_e32 v9, 0x7f800000, v2
	v_cmp_ne_u32_e64 s[2:3], s20, v9
                                        ; implicit-def: $vgpr9
	s_and_saveexec_b64 s[14:15], s[2:3]
	s_xor_b64 s[2:3], exec, s[14:15]
; %bb.148:                              ;   in Loop: Header=BB139_41 Depth=1
	v_bfe_u32 v9, v2, 16, 1
	v_add3_u32 v9, v2, v9, s21
                                        ; implicit-def: $vgpr2
; %bb.149:                              ;   in Loop: Header=BB139_41 Depth=1
	s_andn2_saveexec_b64 s[14:15], s[2:3]
; %bb.150:                              ;   in Loop: Header=BB139_41 Depth=1
	v_or_b32_e32 v9, 0x10000, v2
	v_cmp_eq_u32_sdwa s[2:3], v2, v15 src0_sel:WORD_0 src1_sel:DWORD
	s_nop 1
	v_cndmask_b32_e64 v9, v9, v2, s[2:3]
; %bb.151:                              ;   in Loop: Header=BB139_41 Depth=1
	s_or_b64 exec, exec, s[14:15]
	v_lshlrev_b32_e32 v2, 16, v3
	v_mul_f32_e32 v2, v36, v2
	v_and_b32_e32 v3, 0x7f800000, v2
	v_cmp_ne_u32_e64 s[2:3], s20, v3
                                        ; implicit-def: $vgpr50
	s_and_saveexec_b64 s[14:15], s[2:3]
	s_xor_b64 s[2:3], exec, s[14:15]
; %bb.152:                              ;   in Loop: Header=BB139_41 Depth=1
	v_bfe_u32 v3, v2, 16, 1
	v_add3_u32 v50, v2, v3, s21
                                        ; implicit-def: $vgpr2
; %bb.153:                              ;   in Loop: Header=BB139_41 Depth=1
	s_andn2_saveexec_b64 s[14:15], s[2:3]
; %bb.154:                              ;   in Loop: Header=BB139_41 Depth=1
	v_or_b32_e32 v3, 0x10000, v2
	v_cmp_eq_u32_sdwa s[2:3], v2, v15 src0_sel:WORD_0 src1_sel:DWORD
	s_nop 1
	v_cndmask_b32_e64 v50, v3, v2, s[2:3]
; %bb.155:                              ;   in Loop: Header=BB139_41 Depth=1
	s_or_b64 exec, exec, s[14:15]
	v_lshlrev_b32_e32 v2, 16, v51
	v_mul_f32_e32 v2, v37, v2
	v_and_b32_e32 v3, 0x7f800000, v2
	v_cmp_ne_u32_e64 s[2:3], s20, v3
                                        ; implicit-def: $vgpr51
	s_and_saveexec_b64 s[14:15], s[2:3]
	s_xor_b64 s[2:3], exec, s[14:15]
; %bb.156:                              ;   in Loop: Header=BB139_41 Depth=1
	v_bfe_u32 v3, v2, 16, 1
	v_add3_u32 v51, v2, v3, s21
                                        ; implicit-def: $vgpr2
; %bb.157:                              ;   in Loop: Header=BB139_41 Depth=1
	s_andn2_saveexec_b64 s[14:15], s[2:3]
; %bb.158:                              ;   in Loop: Header=BB139_41 Depth=1
	v_or_b32_e32 v3, 0x10000, v2
	v_cmp_eq_u32_sdwa s[2:3], v2, v15 src0_sel:WORD_0 src1_sel:DWORD
	s_nop 1
	v_cndmask_b32_e64 v51, v3, v2, s[2:3]
; %bb.159:                              ;   in Loop: Header=BB139_41 Depth=1
	s_or_b64 exec, exec, s[14:15]
	v_lshlrev_b32_e32 v2, 16, v4
	v_mul_f32_e32 v2, v38, v2
	v_and_b32_e32 v3, 0x7f800000, v2
	v_cmp_ne_u32_e64 s[2:3], s20, v3
                                        ; implicit-def: $vgpr52
	s_and_saveexec_b64 s[14:15], s[2:3]
	s_xor_b64 s[2:3], exec, s[14:15]
; %bb.160:                              ;   in Loop: Header=BB139_41 Depth=1
	v_bfe_u32 v3, v2, 16, 1
	v_add3_u32 v52, v2, v3, s21
                                        ; implicit-def: $vgpr2
; %bb.161:                              ;   in Loop: Header=BB139_41 Depth=1
	s_andn2_saveexec_b64 s[14:15], s[2:3]
; %bb.162:                              ;   in Loop: Header=BB139_41 Depth=1
	v_or_b32_e32 v3, 0x10000, v2
	v_cmp_eq_u32_sdwa s[2:3], v2, v15 src0_sel:WORD_0 src1_sel:DWORD
	s_nop 1
	v_cndmask_b32_e64 v52, v3, v2, s[2:3]
; %bb.163:                              ;   in Loop: Header=BB139_41 Depth=1
	s_or_b64 exec, exec, s[14:15]
	v_lshlrev_b32_e32 v2, 16, v53
	v_mul_f32_e32 v2, v39, v2
	v_and_b32_e32 v3, 0x7f800000, v2
	v_cmp_ne_u32_e64 s[2:3], s20, v3
                                        ; implicit-def: $vgpr53
	s_and_saveexec_b64 s[14:15], s[2:3]
	s_xor_b64 s[2:3], exec, s[14:15]
; %bb.164:                              ;   in Loop: Header=BB139_41 Depth=1
	v_bfe_u32 v3, v2, 16, 1
	v_add3_u32 v53, v2, v3, s21
                                        ; implicit-def: $vgpr2
; %bb.165:                              ;   in Loop: Header=BB139_41 Depth=1
	s_andn2_saveexec_b64 s[14:15], s[2:3]
; %bb.166:                              ;   in Loop: Header=BB139_41 Depth=1
	v_or_b32_e32 v3, 0x10000, v2
	v_cmp_eq_u32_sdwa s[2:3], v2, v15 src0_sel:WORD_0 src1_sel:DWORD
	s_nop 1
	v_cndmask_b32_e64 v53, v3, v2, s[2:3]
; %bb.167:                              ;   in Loop: Header=BB139_41 Depth=1
	s_or_b64 exec, exec, s[14:15]
	v_lshlrev_b32_e32 v2, 16, v5
	v_mul_f32_e32 v2, v40, v2
	v_and_b32_e32 v3, 0x7f800000, v2
	v_cmp_ne_u32_e64 s[2:3], s20, v3
                                        ; implicit-def: $vgpr54
	s_and_saveexec_b64 s[14:15], s[2:3]
	s_xor_b64 s[2:3], exec, s[14:15]
; %bb.168:                              ;   in Loop: Header=BB139_41 Depth=1
	v_bfe_u32 v3, v2, 16, 1
	v_add3_u32 v54, v2, v3, s21
                                        ; implicit-def: $vgpr2
; %bb.169:                              ;   in Loop: Header=BB139_41 Depth=1
	s_andn2_saveexec_b64 s[14:15], s[2:3]
; %bb.170:                              ;   in Loop: Header=BB139_41 Depth=1
	v_or_b32_e32 v3, 0x10000, v2
	v_cmp_eq_u32_sdwa s[2:3], v2, v15 src0_sel:WORD_0 src1_sel:DWORD
	s_nop 1
	v_cndmask_b32_e64 v54, v3, v2, s[2:3]
; %bb.171:                              ;   in Loop: Header=BB139_41 Depth=1
	s_or_b64 exec, exec, s[14:15]
	v_lshlrev_b32_e32 v2, 16, v19
	v_mul_f32_e32 v2, v41, v2
	v_and_b32_e32 v3, 0x7f800000, v2
	v_cmp_ne_u32_e64 s[2:3], s20, v3
                                        ; implicit-def: $vgpr55
	s_and_saveexec_b64 s[14:15], s[2:3]
	s_xor_b64 s[2:3], exec, s[14:15]
	s_cbranch_execnz .LBB139_174
; %bb.172:                              ;   in Loop: Header=BB139_41 Depth=1
	s_andn2_saveexec_b64 s[14:15], s[2:3]
	s_cbranch_execnz .LBB139_175
.LBB139_173:                            ;   in Loop: Header=BB139_41 Depth=1
	s_or_b64 exec, exec, s[14:15]
	s_and_saveexec_b64 s[2:3], vcc
	s_cbranch_execz .LBB139_40
	s_branch .LBB139_176
.LBB139_174:                            ;   in Loop: Header=BB139_41 Depth=1
	v_bfe_u32 v3, v2, 16, 1
	v_add3_u32 v55, v2, v3, s21
                                        ; implicit-def: $vgpr2
	s_andn2_saveexec_b64 s[14:15], s[2:3]
	s_cbranch_execz .LBB139_173
.LBB139_175:                            ;   in Loop: Header=BB139_41 Depth=1
	v_or_b32_e32 v3, 0x10000, v2
	v_cmp_eq_u32_sdwa s[2:3], v2, v15 src0_sel:WORD_0 src1_sel:DWORD
	s_nop 1
	v_cndmask_b32_e64 v55, v3, v2, s[2:3]
	s_or_b64 exec, exec, s[14:15]
	s_and_saveexec_b64 s[2:3], vcc
	s_cbranch_execz .LBB139_40
.LBB139_176:                            ;   in Loop: Header=BB139_41 Depth=1
	v_mov_b32_e32 v19, v15
	v_lshl_add_u64 v[2:3], v[6:7], 0, v[18:19]
	global_load_dwordx4 v[2:5], v[2:3], off
	s_waitcnt vmcnt(0)
	v_lshrrev_b32_e32 v7, 16, v2
	v_lshrrev_b32_e32 v56, 16, v3
	;; [unrolled: 1-line block ×4, first 2 shown]
	s_and_saveexec_b64 s[14:15], s[0:1]
	s_cbranch_execz .LBB139_178
; %bb.177:                              ;   in Loop: Header=BB139_41 Depth=1
	v_cmp_gt_i32_e64 s[0:1], s33, v33
	v_add_u32_e32 v33, -6, v23
	s_nop 0
	v_cndmask_b32_e64 v2, 0, v2, s[0:1]
	v_cmp_gt_i32_e64 s[0:1], s33, v33
	v_add_u32_e32 v33, -5, v23
	s_nop 0
	v_cndmask_b32_e64 v7, 0, v7, s[0:1]
	;; [unrolled: 4-line block ×6, first 2 shown]
	v_cmp_gt_i32_e64 s[0:1], s33, v33
	s_nop 1
	v_cndmask_b32_e64 v5, 0, v5, s[0:1]
	v_cmp_gt_i32_e64 s[0:1], s33, v23
	s_nop 1
	v_cndmask_b32_e64 v6, 0, v6, s[0:1]
.LBB139_178:                            ;   in Loop: Header=BB139_41 Depth=1
	s_or_b64 exec, exec, s[14:15]
	v_lshlrev_b32_e32 v2, 16, v2
	v_mul_f32_e32 v33, v34, v2
	v_and_b32_e32 v2, 0x7f800000, v33
	v_cmp_ne_u32_e64 s[0:1], s20, v2
                                        ; implicit-def: $vgpr2
	s_and_saveexec_b64 s[14:15], s[0:1]
	s_xor_b64 s[0:1], exec, s[14:15]
; %bb.179:                              ;   in Loop: Header=BB139_41 Depth=1
	v_bfe_u32 v2, v33, 16, 1
	v_add3_u32 v2, v33, v2, s21
                                        ; implicit-def: $vgpr33
; %bb.180:                              ;   in Loop: Header=BB139_41 Depth=1
	s_andn2_saveexec_b64 s[14:15], s[0:1]
; %bb.181:                              ;   in Loop: Header=BB139_41 Depth=1
	v_or_b32_e32 v2, 0x10000, v33
	v_cmp_eq_u32_sdwa s[0:1], v33, v15 src0_sel:WORD_0 src1_sel:DWORD
	s_nop 1
	v_cndmask_b32_e64 v2, v2, v33, s[0:1]
; %bb.182:                              ;   in Loop: Header=BB139_41 Depth=1
	s_or_b64 exec, exec, s[14:15]
	v_lshlrev_b32_e32 v7, 16, v7
	v_mul_f32_e32 v33, v35, v7
	v_and_b32_e32 v7, 0x7f800000, v33
	v_cmp_ne_u32_e64 s[0:1], s20, v7
                                        ; implicit-def: $vgpr7
	s_and_saveexec_b64 s[14:15], s[0:1]
	s_xor_b64 s[0:1], exec, s[14:15]
; %bb.183:                              ;   in Loop: Header=BB139_41 Depth=1
	v_bfe_u32 v7, v33, 16, 1
	v_add3_u32 v7, v33, v7, s21
                                        ; implicit-def: $vgpr33
; %bb.184:                              ;   in Loop: Header=BB139_41 Depth=1
	s_andn2_saveexec_b64 s[14:15], s[0:1]
; %bb.185:                              ;   in Loop: Header=BB139_41 Depth=1
	v_or_b32_e32 v7, 0x10000, v33
	v_cmp_eq_u32_sdwa s[0:1], v33, v15 src0_sel:WORD_0 src1_sel:DWORD
	s_nop 1
	v_cndmask_b32_e64 v7, v7, v33, s[0:1]
; %bb.186:                              ;   in Loop: Header=BB139_41 Depth=1
	s_or_b64 exec, exec, s[14:15]
	v_lshlrev_b32_e32 v3, 16, v3
	v_mul_f32_e32 v33, v36, v3
	v_and_b32_e32 v3, 0x7f800000, v33
	v_cmp_ne_u32_e64 s[0:1], s20, v3
                                        ; implicit-def: $vgpr3
	s_and_saveexec_b64 s[14:15], s[0:1]
	s_xor_b64 s[0:1], exec, s[14:15]
; %bb.187:                              ;   in Loop: Header=BB139_41 Depth=1
	v_bfe_u32 v3, v33, 16, 1
	v_add3_u32 v3, v33, v3, s21
                                        ; implicit-def: $vgpr33
; %bb.188:                              ;   in Loop: Header=BB139_41 Depth=1
	s_andn2_saveexec_b64 s[14:15], s[0:1]
; %bb.189:                              ;   in Loop: Header=BB139_41 Depth=1
	v_or_b32_e32 v3, 0x10000, v33
	v_cmp_eq_u32_sdwa s[0:1], v33, v15 src0_sel:WORD_0 src1_sel:DWORD
	s_nop 1
	v_cndmask_b32_e64 v3, v3, v33, s[0:1]
; %bb.190:                              ;   in Loop: Header=BB139_41 Depth=1
	s_or_b64 exec, exec, s[14:15]
	v_lshlrev_b32_e32 v33, 16, v56
	v_mul_f32_e32 v34, v37, v33
	v_and_b32_e32 v33, 0x7f800000, v34
	v_cmp_ne_u32_e64 s[0:1], s20, v33
                                        ; implicit-def: $vgpr33
	s_and_saveexec_b64 s[14:15], s[0:1]
	s_xor_b64 s[0:1], exec, s[14:15]
; %bb.191:                              ;   in Loop: Header=BB139_41 Depth=1
	v_bfe_u32 v33, v34, 16, 1
	v_add3_u32 v33, v34, v33, s21
                                        ; implicit-def: $vgpr34
; %bb.192:                              ;   in Loop: Header=BB139_41 Depth=1
	s_andn2_saveexec_b64 s[14:15], s[0:1]
; %bb.193:                              ;   in Loop: Header=BB139_41 Depth=1
	v_or_b32_e32 v33, 0x10000, v34
	v_cmp_eq_u32_sdwa s[0:1], v34, v15 src0_sel:WORD_0 src1_sel:DWORD
	s_nop 1
	v_cndmask_b32_e64 v33, v33, v34, s[0:1]
; %bb.194:                              ;   in Loop: Header=BB139_41 Depth=1
	s_or_b64 exec, exec, s[14:15]
	v_lshlrev_b32_e32 v4, 16, v4
	v_mul_f32_e32 v34, v38, v4
	v_and_b32_e32 v4, 0x7f800000, v34
	v_cmp_ne_u32_e64 s[0:1], s20, v4
                                        ; implicit-def: $vgpr4
	s_and_saveexec_b64 s[14:15], s[0:1]
	s_xor_b64 s[0:1], exec, s[14:15]
; %bb.195:                              ;   in Loop: Header=BB139_41 Depth=1
	v_bfe_u32 v4, v34, 16, 1
	v_add3_u32 v4, v34, v4, s21
                                        ; implicit-def: $vgpr34
; %bb.196:                              ;   in Loop: Header=BB139_41 Depth=1
	s_andn2_saveexec_b64 s[14:15], s[0:1]
; %bb.197:                              ;   in Loop: Header=BB139_41 Depth=1
	v_or_b32_e32 v4, 0x10000, v34
	v_cmp_eq_u32_sdwa s[0:1], v34, v15 src0_sel:WORD_0 src1_sel:DWORD
	s_nop 1
	v_cndmask_b32_e64 v4, v4, v34, s[0:1]
; %bb.198:                              ;   in Loop: Header=BB139_41 Depth=1
	s_or_b64 exec, exec, s[14:15]
	v_lshlrev_b32_e32 v19, 16, v19
	v_mul_f32_e32 v34, v39, v19
	v_and_b32_e32 v19, 0x7f800000, v34
	v_cmp_ne_u32_e64 s[0:1], s20, v19
                                        ; implicit-def: $vgpr19
	s_and_saveexec_b64 s[14:15], s[0:1]
	s_xor_b64 s[0:1], exec, s[14:15]
; %bb.199:                              ;   in Loop: Header=BB139_41 Depth=1
	v_bfe_u32 v19, v34, 16, 1
	v_add3_u32 v19, v34, v19, s21
                                        ; implicit-def: $vgpr34
; %bb.200:                              ;   in Loop: Header=BB139_41 Depth=1
	s_andn2_saveexec_b64 s[14:15], s[0:1]
; %bb.201:                              ;   in Loop: Header=BB139_41 Depth=1
	v_or_b32_e32 v19, 0x10000, v34
	v_cmp_eq_u32_sdwa s[0:1], v34, v15 src0_sel:WORD_0 src1_sel:DWORD
	s_nop 1
	v_cndmask_b32_e64 v19, v19, v34, s[0:1]
; %bb.202:                              ;   in Loop: Header=BB139_41 Depth=1
	s_or_b64 exec, exec, s[14:15]
	v_lshlrev_b32_e32 v5, 16, v5
	v_mul_f32_e32 v34, v40, v5
	v_and_b32_e32 v5, 0x7f800000, v34
	v_cmp_ne_u32_e64 s[0:1], s20, v5
                                        ; implicit-def: $vgpr5
	s_and_saveexec_b64 s[14:15], s[0:1]
	s_xor_b64 s[0:1], exec, s[14:15]
; %bb.203:                              ;   in Loop: Header=BB139_41 Depth=1
	v_bfe_u32 v5, v34, 16, 1
	v_add3_u32 v5, v34, v5, s21
                                        ; implicit-def: $vgpr34
; %bb.204:                              ;   in Loop: Header=BB139_41 Depth=1
	s_andn2_saveexec_b64 s[14:15], s[0:1]
; %bb.205:                              ;   in Loop: Header=BB139_41 Depth=1
	v_or_b32_e32 v5, 0x10000, v34
	v_cmp_eq_u32_sdwa s[0:1], v34, v15 src0_sel:WORD_0 src1_sel:DWORD
	s_nop 1
	v_cndmask_b32_e64 v5, v5, v34, s[0:1]
; %bb.206:                              ;   in Loop: Header=BB139_41 Depth=1
	s_or_b64 exec, exec, s[14:15]
	v_lshlrev_b32_e32 v6, 16, v6
	v_mul_f32_e32 v6, v41, v6
	v_and_b32_e32 v34, 0x7f800000, v6
	v_cmp_ne_u32_e64 s[0:1], s20, v34
                                        ; implicit-def: $vgpr34
	s_and_saveexec_b64 s[14:15], s[0:1]
	s_xor_b64 s[0:1], exec, s[14:15]
; %bb.207:                              ;   in Loop: Header=BB139_41 Depth=1
	v_bfe_u32 v34, v6, 16, 1
	v_add3_u32 v34, v6, v34, s21
                                        ; implicit-def: $vgpr6
; %bb.208:                              ;   in Loop: Header=BB139_41 Depth=1
	s_andn2_saveexec_b64 s[14:15], s[0:1]
	s_cbranch_execz .LBB139_39
; %bb.209:                              ;   in Loop: Header=BB139_41 Depth=1
	v_or_b32_e32 v34, 0x10000, v6
	v_cmp_eq_u32_sdwa s[0:1], v6, v15 src0_sel:WORD_0 src1_sel:DWORD
	s_nop 1
	v_cndmask_b32_e64 v34, v34, v6, s[0:1]
	s_branch .LBB139_39
.LBB139_210:
	s_or_b64 exec, exec, s[12:13]
.LBB139_211:
	s_or_b64 exec, exec, s[8:9]
	ds_bpermute_b32 v2, v20, v12
	ds_bpermute_b32 v3, v20, v13
	;; [unrolled: 1-line block ×4, first 2 shown]
	v_and_b32_e32 v1, 0x3c0, v0
	v_cmp_eq_u32_e32 vcc, 64, v1
	s_waitcnt lgkmcnt(2)
	v_pk_add_f32 v[4:5], v[12:13], v[2:3]
	s_waitcnt lgkmcnt(0)
	v_pk_add_f32 v[2:3], v[10:11], v[6:7]
	s_barrier
	s_and_saveexec_b64 s[2:3], vcc
	s_cbranch_execz .LBB139_216
; %bb.212:
	v_cmp_eq_u32_e32 vcc, 0, v21
	s_and_saveexec_b64 s[0:1], vcc
	s_cbranch_execz .LBB139_214
; %bb.213:
	v_mov_b32_e32 v1, 0xf0
	v_lshl_add_u32 v1, v22, 2, v1
	ds_write2_b32 v1, v4, v5 offset1:32
	ds_write_b32 v1, v2 offset:256
.LBB139_214:
	s_or_b64 exec, exec, s[0:1]
	v_or_b32_e32 v1, 0x60, v22
	s_movk_i32 s0, 0x70
	v_cmp_gt_u32_e64 s[0:1], s0, v1
	s_and_b64 s[0:1], vcc, s[0:1]
	s_and_b64 exec, exec, s[0:1]
	s_cbranch_execz .LBB139_216
; %bb.215:
	v_mov_b32_e32 v1, 0xf0
	v_lshl_add_u32 v1, v22, 2, v1
	ds_write_b32 v1, v3 offset:384
.LBB139_216:
	s_or_b64 exec, exec, s[2:3]
	v_cmp_gt_u32_e32 vcc, 64, v0
	v_lshrrev_b32_e32 v6, 1, v0
	s_waitcnt lgkmcnt(0)
	s_barrier
	s_and_saveexec_b64 s[6:7], vcc
	s_cbranch_execz .LBB139_224
; %bb.217:
	v_cmp_eq_u32_e64 s[0:1], 0, v21
	s_and_saveexec_b64 s[2:3], s[0:1]
	s_cbranch_execnz .LBB139_246
; %bb.218:
	s_or_b64 exec, exec, s[2:3]
	s_and_saveexec_b64 s[2:3], s[0:1]
	s_cbranch_execnz .LBB139_247
.LBB139_219:
	s_or_b64 exec, exec, s[2:3]
	s_and_saveexec_b64 s[2:3], s[0:1]
	s_cbranch_execz .LBB139_221
.LBB139_220:
	v_mov_b32_e32 v0, 0xf0
	v_lshl_add_u32 v0, v6, 2, v0
	ds_read_b32 v0, v0 offset:256
	s_waitcnt lgkmcnt(0)
	v_add_f32_e32 v2, v2, v0
.LBB139_221:
	s_or_b64 exec, exec, s[2:3]
	v_or_b32_e32 v0, 0x60, v6
	s_movk_i32 s2, 0x70
	v_cmp_gt_u32_e64 s[2:3], s2, v0
	s_and_b64 s[2:3], s[0:1], s[2:3]
	s_and_saveexec_b64 s[0:1], s[2:3]
	s_cbranch_execz .LBB139_223
; %bb.222:
	v_mov_b32_e32 v0, 0xf0
	v_lshl_add_u32 v0, v6, 2, v0
	ds_read_b32 v0, v0 offset:384
	s_waitcnt lgkmcnt(0)
	v_add_f32_e32 v3, v3, v0
.LBB139_223:
	s_or_b64 exec, exec, s[0:1]
.LBB139_224:
	s_or_b64 exec, exec, s[6:7]
	s_barrier
	s_and_saveexec_b64 s[0:1], vcc
	s_cbranch_execz .LBB139_245
; %bb.225:
	s_mul_i32 s0, s10, s11
	s_mul_i32 s0, s0, s5
	s_mulk_i32 s0, 0x70
	s_ashr_i32 s1, s0, 31
	s_lshl_b64 s[0:1], s[0:1], 1
	s_add_u32 s2, s18, s0
	s_mul_i32 s0, s11, s16
	s_addc_u32 s3, s19, s1
	s_ashr_i32 s1, s0, 31
	s_lshl_b64 s[0:1], s[0:1], 1
	s_add_u32 s2, s2, s0
	s_mul_i32 s0, s4, 0x70
	s_addc_u32 s3, s3, s1
	s_ashr_i32 s1, s0, 31
	s_lshl_b64 s[0:1], s[0:1], 1
	s_add_u32 s2, s2, s0
	s_addc_u32 s3, s3, s1
	v_cmp_eq_u32_e32 vcc, 0, v21
	s_and_saveexec_b64 s[4:5], vcc
	s_cbranch_execz .LBB139_239
; %bb.226:
	s_mov_b32 s0, 0x7f800000
	v_and_b32_e32 v0, 0x7f800000, v4
	v_cmp_ne_u32_e64 s[0:1], s0, v0
                                        ; implicit-def: $vgpr7
	s_and_saveexec_b64 s[6:7], s[0:1]
	s_xor_b64 s[0:1], exec, s[6:7]
; %bb.227:
	v_bfe_u32 v0, v4, 16, 1
	s_movk_i32 s6, 0x7fff
	v_add3_u32 v7, v4, v0, s6
; %bb.228:
	s_andn2_saveexec_b64 s[6:7], s[0:1]
; %bb.229:
	v_mov_b32_e32 v0, 0
	v_or_b32_e32 v1, 0x10000, v4
	v_cmp_eq_u32_sdwa s[0:1], v4, v0 src0_sel:WORD_0 src1_sel:DWORD
	s_nop 1
	v_cndmask_b32_e64 v7, v1, v4, s[0:1]
; %bb.230:
	s_or_b64 exec, exec, s[6:7]
	s_mov_b32 s0, 0x7f800000
	v_and_b32_e32 v4, 0x7f800000, v5
	v_lshlrev_b32_e32 v0, 1, v6
	v_mov_b32_e32 v1, 0
	v_cmp_ne_u32_e64 s[0:1], s0, v4
	global_store_short_d16_hi v0, v7, s[2:3]
                                        ; implicit-def: $vgpr4
	s_and_saveexec_b64 s[6:7], s[0:1]
	s_xor_b64 s[0:1], exec, s[6:7]
; %bb.231:
	v_bfe_u32 v4, v5, 16, 1
	s_movk_i32 s6, 0x7fff
	v_add3_u32 v4, v5, v4, s6
; %bb.232:
	s_or_saveexec_b64 s[6:7], s[0:1]
	v_lshl_add_u64 v[0:1], s[2:3], 0, v[0:1]
	s_xor_b64 exec, exec, s[6:7]
; %bb.233:
	v_mov_b32_e32 v4, 0
	v_or_b32_e32 v7, 0x10000, v5
	v_cmp_eq_u32_sdwa s[0:1], v5, v4 src0_sel:WORD_0 src1_sel:DWORD
	s_nop 1
	v_cndmask_b32_e64 v4, v7, v5, s[0:1]
; %bb.234:
	s_or_b64 exec, exec, s[6:7]
	global_store_short_d16_hi v[0:1], v4, off offset:64
	s_mov_b32 s0, 0x7f800000
	v_and_b32_e32 v4, 0x7f800000, v2
	v_cmp_ne_u32_e64 s[0:1], s0, v4
                                        ; implicit-def: $vgpr4
	s_and_saveexec_b64 s[6:7], s[0:1]
	s_xor_b64 s[0:1], exec, s[6:7]
; %bb.235:
	v_bfe_u32 v4, v2, 16, 1
	s_movk_i32 s6, 0x7fff
	v_add3_u32 v4, v2, v4, s6
; %bb.236:
	s_andn2_saveexec_b64 s[6:7], s[0:1]
; %bb.237:
	v_mov_b32_e32 v4, 0
	v_or_b32_e32 v5, 0x10000, v2
	v_cmp_eq_u32_sdwa s[0:1], v2, v4 src0_sel:WORD_0 src1_sel:DWORD
	s_nop 1
	v_cndmask_b32_e64 v4, v5, v2, s[0:1]
; %bb.238:
	s_or_b64 exec, exec, s[6:7]
	global_store_short_d16_hi v[0:1], v4, off offset:128
.LBB139_239:
	s_or_b64 exec, exec, s[4:5]
	v_or_b32_e32 v0, 0x60, v6
	s_movk_i32 s0, 0x70
	v_cmp_gt_u32_e64 s[0:1], s0, v0
	s_and_b64 s[0:1], vcc, s[0:1]
	s_and_b64 exec, exec, s[0:1]
	s_cbranch_execz .LBB139_245
; %bb.240:
	s_mov_b32 s0, 0x7f800000
	v_and_b32_e32 v0, 0x7f800000, v3
	v_cmp_ne_u32_e32 vcc, s0, v0
                                        ; implicit-def: $vgpr4
	s_and_saveexec_b64 s[0:1], vcc
	s_xor_b64 s[0:1], exec, s[0:1]
; %bb.241:
	v_bfe_u32 v0, v3, 16, 1
	s_movk_i32 s4, 0x7fff
	v_add3_u32 v4, v3, v0, s4
                                        ; implicit-def: $vgpr0_vgpr1_vgpr2_vgpr3
; %bb.242:
	s_andn2_saveexec_b64 s[0:1], s[0:1]
; %bb.243:
	v_mov_b32_e32 v0, 0
	v_or_b32_e32 v1, 0x10000, v3
	v_cmp_eq_u32_sdwa vcc, v3, v0 src0_sel:WORD_0 src1_sel:DWORD
	s_nop 1
	v_cndmask_b32_e32 v4, v1, v3, vcc
; %bb.244:
	s_or_b64 exec, exec, s[0:1]
	v_lshlrev_b32_e32 v0, 1, v6
	global_store_short_d16_hi v0, v4, s[2:3] offset:192
.LBB139_245:
	s_endpgm
.LBB139_246:
	v_mov_b32_e32 v0, 0xf0
	v_lshl_add_u32 v0, v6, 2, v0
	ds_read_b32 v0, v0
	s_waitcnt lgkmcnt(0)
	v_add_f32_e32 v4, v4, v0
	s_or_b64 exec, exec, s[2:3]
	s_and_saveexec_b64 s[2:3], s[0:1]
	s_cbranch_execz .LBB139_219
.LBB139_247:
	v_mov_b32_e32 v0, 0xf0
	v_lshl_add_u32 v0, v6, 2, v0
	ds_read_b32 v0, v0 offset:128
	s_waitcnt lgkmcnt(0)
	v_add_f32_e32 v5, v5, v0
	s_or_b64 exec, exec, s[2:3]
	s_and_saveexec_b64 s[2:3], s[0:1]
	s_cbranch_execnz .LBB139_220
	s_branch .LBB139_221
	.section	.rodata,"a",@progbits
	.p2align	6, 0x0
	.amdhsa_kernel _ZN4vllm25paged_attention_v1_kernelI14__hip_bfloat16S1_Li112ELi16ELi128ELNS_18Fp8KVCacheDataTypeE0ELb0EEEvPT_PKS3_PKT0_S9_ifPKiSB_iPKfiiiSD_SD_iiiii
		.amdhsa_group_segment_fixed_size 240
		.amdhsa_private_segment_fixed_size 0
		.amdhsa_kernarg_size 384
		.amdhsa_user_sgpr_count 2
		.amdhsa_user_sgpr_dispatch_ptr 0
		.amdhsa_user_sgpr_queue_ptr 0
		.amdhsa_user_sgpr_kernarg_segment_ptr 1
		.amdhsa_user_sgpr_dispatch_id 0
		.amdhsa_user_sgpr_kernarg_preload_length 0
		.amdhsa_user_sgpr_kernarg_preload_offset 0
		.amdhsa_user_sgpr_private_segment_size 0
		.amdhsa_uses_dynamic_stack 0
		.amdhsa_enable_private_segment 0
		.amdhsa_system_sgpr_workgroup_id_x 1
		.amdhsa_system_sgpr_workgroup_id_y 1
		.amdhsa_system_sgpr_workgroup_id_z 1
		.amdhsa_system_sgpr_workgroup_info 0
		.amdhsa_system_vgpr_workitem_id 0
		.amdhsa_next_free_vgpr 62
		.amdhsa_next_free_sgpr 34
		.amdhsa_accum_offset 64
		.amdhsa_reserve_vcc 1
		.amdhsa_float_round_mode_32 0
		.amdhsa_float_round_mode_16_64 0
		.amdhsa_float_denorm_mode_32 3
		.amdhsa_float_denorm_mode_16_64 3
		.amdhsa_dx10_clamp 1
		.amdhsa_ieee_mode 1
		.amdhsa_fp16_overflow 0
		.amdhsa_tg_split 0
		.amdhsa_exception_fp_ieee_invalid_op 0
		.amdhsa_exception_fp_denorm_src 0
		.amdhsa_exception_fp_ieee_div_zero 0
		.amdhsa_exception_fp_ieee_overflow 0
		.amdhsa_exception_fp_ieee_underflow 0
		.amdhsa_exception_fp_ieee_inexact 0
		.amdhsa_exception_int_div_zero 0
	.end_amdhsa_kernel
	.section	.text._ZN4vllm25paged_attention_v1_kernelI14__hip_bfloat16S1_Li112ELi16ELi128ELNS_18Fp8KVCacheDataTypeE0ELb0EEEvPT_PKS3_PKT0_S9_ifPKiSB_iPKfiiiSD_SD_iiiii,"axG",@progbits,_ZN4vllm25paged_attention_v1_kernelI14__hip_bfloat16S1_Li112ELi16ELi128ELNS_18Fp8KVCacheDataTypeE0ELb0EEEvPT_PKS3_PKT0_S9_ifPKiSB_iPKfiiiSD_SD_iiiii,comdat
.Lfunc_end139:
	.size	_ZN4vllm25paged_attention_v1_kernelI14__hip_bfloat16S1_Li112ELi16ELi128ELNS_18Fp8KVCacheDataTypeE0ELb0EEEvPT_PKS3_PKT0_S9_ifPKiSB_iPKfiiiSD_SD_iiiii, .Lfunc_end139-_ZN4vllm25paged_attention_v1_kernelI14__hip_bfloat16S1_Li112ELi16ELi128ELNS_18Fp8KVCacheDataTypeE0ELb0EEEvPT_PKS3_PKT0_S9_ifPKiSB_iPKfiiiSD_SD_iiiii
                                        ; -- End function
	.section	.AMDGPU.csdata,"",@progbits
; Kernel info:
; codeLenInByte = 9056
; NumSgprs: 40
; NumVgprs: 62
; NumAgprs: 0
; TotalNumVgprs: 62
; ScratchSize: 0
; MemoryBound: 0
; FloatMode: 240
; IeeeMode: 1
; LDSByteSize: 240 bytes/workgroup (compile time only)
; SGPRBlocks: 4
; VGPRBlocks: 7
; NumSGPRsForWavesPerEU: 40
; NumVGPRsForWavesPerEU: 62
; AccumOffset: 64
; Occupancy: 8
; WaveLimiterHint : 1
; COMPUTE_PGM_RSRC2:SCRATCH_EN: 0
; COMPUTE_PGM_RSRC2:USER_SGPR: 2
; COMPUTE_PGM_RSRC2:TRAP_HANDLER: 0
; COMPUTE_PGM_RSRC2:TGID_X_EN: 1
; COMPUTE_PGM_RSRC2:TGID_Y_EN: 1
; COMPUTE_PGM_RSRC2:TGID_Z_EN: 1
; COMPUTE_PGM_RSRC2:TIDIG_COMP_CNT: 0
; COMPUTE_PGM_RSRC3_GFX90A:ACCUM_OFFSET: 15
; COMPUTE_PGM_RSRC3_GFX90A:TG_SPLIT: 0
	.section	.text._ZN4vllm25paged_attention_v1_kernelI14__hip_bfloat16S1_Li120ELi16ELi128ELNS_18Fp8KVCacheDataTypeE0ELb0EEEvPT_PKS3_PKT0_S9_ifPKiSB_iPKfiiiSD_SD_iiiii,"axG",@progbits,_ZN4vllm25paged_attention_v1_kernelI14__hip_bfloat16S1_Li120ELi16ELi128ELNS_18Fp8KVCacheDataTypeE0ELb0EEEvPT_PKS3_PKT0_S9_ifPKiSB_iPKfiiiSD_SD_iiiii,comdat
	.protected	_ZN4vllm25paged_attention_v1_kernelI14__hip_bfloat16S1_Li120ELi16ELi128ELNS_18Fp8KVCacheDataTypeE0ELb0EEEvPT_PKS3_PKT0_S9_ifPKiSB_iPKfiiiSD_SD_iiiii ; -- Begin function _ZN4vllm25paged_attention_v1_kernelI14__hip_bfloat16S1_Li120ELi16ELi128ELNS_18Fp8KVCacheDataTypeE0ELb0EEEvPT_PKS3_PKT0_S9_ifPKiSB_iPKfiiiSD_SD_iiiii
	.globl	_ZN4vllm25paged_attention_v1_kernelI14__hip_bfloat16S1_Li120ELi16ELi128ELNS_18Fp8KVCacheDataTypeE0ELb0EEEvPT_PKS3_PKT0_S9_ifPKiSB_iPKfiiiSD_SD_iiiii
	.p2align	8
	.type	_ZN4vllm25paged_attention_v1_kernelI14__hip_bfloat16S1_Li120ELi16ELi128ELNS_18Fp8KVCacheDataTypeE0ELb0EEEvPT_PKS3_PKT0_S9_ifPKiSB_iPKfiiiSD_SD_iiiii,@function
_ZN4vllm25paged_attention_v1_kernelI14__hip_bfloat16S1_Li120ELi16ELi128ELNS_18Fp8KVCacheDataTypeE0ELb0EEEvPT_PKS3_PKT0_S9_ifPKiSB_iPKfiiiSD_SD_iiiii: ; @_ZN4vllm25paged_attention_v1_kernelI14__hip_bfloat16S1_Li120ELi16ELi128ELNS_18Fp8KVCacheDataTypeE0ELb0EEEvPT_PKS3_PKT0_S9_ifPKiSB_iPKfiiiSD_SD_iiiii
; %bb.0:
	s_load_dword s5, s[0:1], 0x80
	s_load_dwordx2 s[6:7], s[0:1], 0x30
	s_load_dwordx2 s[8:9], s[0:1], 0x20
	s_mov_b32 s10, s3
	s_ashr_i32 s11, s3, 31
	s_lshl_b64 s[12:13], s[10:11], 2
	s_waitcnt lgkmcnt(0)
	s_add_u32 s6, s6, s12
	s_addc_u32 s7, s7, s13
	s_abs_i32 s3, s8
	v_cvt_f32_u32_e32 v1, s3
	s_sub_i32 s12, 0, s3
	s_abs_i32 s11, s5
	s_xor_b32 s8, s5, s8
	v_rcp_iflag_f32_e32 v1, v1
	s_ashr_i32 s8, s8, 31
	v_mul_f32_e32 v1, 0x4f7ffffe, v1
	v_cvt_u32_f32_e32 v1, v1
	s_nop 0
	v_readfirstlane_b32 s13, v1
	s_mul_i32 s12, s12, s13
	s_mul_hi_u32 s12, s13, s12
	s_add_i32 s13, s13, s12
	s_mul_hi_u32 s12, s11, s13
	s_mul_i32 s13, s12, s3
	s_sub_i32 s11, s11, s13
	s_add_i32 s13, s12, 1
	s_sub_i32 s14, s11, s3
	s_cmp_ge_u32 s11, s3
	s_cselect_b32 s12, s13, s12
	s_cselect_b32 s11, s14, s11
	s_add_i32 s13, s12, 1
	s_cmp_ge_u32 s11, s3
	s_cselect_b32 s3, s13, s12
	s_xor_b32 s3, s3, s8
	s_sub_i32 s16, s3, s8
	s_abs_i32 s11, s16
	v_cvt_f32_u32_e32 v1, s11
	s_load_dwordx2 s[12:13], s[0:1], 0x40
	s_sub_i32 s3, 0, s11
	s_abs_i32 s18, s2
	v_rcp_iflag_f32_e32 v1, v1
	s_mov_b32 s8, 0
	v_mul_f32_e32 v1, 0x4f7ffffe, v1
	v_cvt_u32_f32_e32 v1, v1
	s_nop 0
	v_readfirstlane_b32 s14, v1
	s_mul_i32 s3, s3, s14
	s_mul_hi_u32 s3, s14, s3
	s_add_i32 s14, s14, s3
	s_waitcnt lgkmcnt(0)
	s_cmp_eq_u64 s[12:13], 0
	s_mul_hi_u32 s19, s18, s14
	s_cbranch_scc1 .LBB140_2
; %bb.1:
	s_ashr_i32 s3, s2, 31
	s_lshl_b64 s[14:15], s[2:3], 2
	s_add_u32 s12, s12, s14
	s_addc_u32 s13, s13, s15
	s_load_dword s8, s[12:13], 0x0
.LBB140_2:
	s_load_dword s33, s[6:7], 0x0
	s_nop 0
	s_load_dwordx4 s[12:15], s[0:1], 0x48
	s_ashr_i32 s6, s2, 31
	s_ashr_i32 s7, s16, 31
	v_and_b32_e32 v4, 3, v0
	s_mul_i32 s16, s2, 0x78
	v_cmp_gt_u32_e32 vcc, 60, v0
	s_and_saveexec_b64 s[2:3], vcc
	s_cbranch_execz .LBB140_4
; %bb.3:
	s_load_dwordx2 s[20:21], s[0:1], 0x8
	s_waitcnt lgkmcnt(0)
	s_mul_i32 s22, s10, s12
	s_ashr_i32 s23, s22, 31
	s_lshl_b64 s[22:23], s[22:23], 1
	v_lshlrev_b32_e32 v1, 2, v0
	s_add_u32 s12, s20, s22
	s_addc_u32 s15, s21, s23
	s_ashr_i32 s17, s16, 31
	s_lshl_b64 s[20:21], s[16:17], 1
	s_add_u32 s20, s12, s20
	s_addc_u32 s21, s15, s21
	global_load_dword v1, v1, s[20:21]
	v_and_b32_e32 v2, 0x3fc, v0
	v_mad_u32_u24 v2, v4, 60, v2
	s_waitcnt vmcnt(0)
	ds_write_b32 v2, v1
.LBB140_4:
	s_or_b64 exec, exec, s[2:3]
	s_waitcnt lgkmcnt(0)
	s_add_i32 s3, s33, 15
	s_ashr_i32 s12, s3, 31
	s_lshr_b32 s12, s12, 28
	s_add_i32 s3, s3, s12
	s_ashr_i32 s17, s3, 4
	s_xor_b32 s3, s6, s7
	s_mul_i32 s6, s19, s11
	s_sub_i32 s6, s18, s6
	s_add_i32 s7, s19, 1
	s_sub_i32 s12, s6, s11
	s_load_dwordx2 s[20:21], s[0:1], 0x28
	s_load_dword s2, s[0:1], 0x38
	s_cmp_ge_u32 s6, s11
	s_cselect_b32 s7, s7, s19
	s_cselect_b32 s6, s12, s6
	s_add_i32 s12, s7, 1
	s_cmp_ge_u32 s6, s11
	s_cselect_b32 s6, s12, s7
	v_lshrrev_b32_e32 v1, 6, v0
	s_xor_b32 s6, s6, s3
	s_waitcnt lgkmcnt(0)
	s_mul_i32 s22, s10, s2
	s_sub_i32 s12, s6, s3
	s_ashr_i32 s23, s22, 31
	v_cmp_gt_i32_e64 s[6:7], s17, v1
	v_cmp_le_i32_e32 vcc, s17, v1
	v_mbcnt_lo_u32_b32 v5, -1, 0
	s_barrier
	s_waitcnt lgkmcnt(0)
                                        ; implicit-def: $sgpr15
                                        ; implicit-def: $vgpr7
                                        ; implicit-def: $vgpr8
	s_and_saveexec_b64 s[2:3], vcc
	s_xor_b64 s[2:3], exec, s[2:3]
; %bb.5:
	v_mbcnt_hi_u32_b32 v7, -1, v5
	v_and_b32_e32 v2, 64, v7
	v_add_u32_e32 v8, 64, v2
	s_mov_b32 s15, 0xff7fffff
                                        ; implicit-def: $vgpr4
                                        ; implicit-def: $vgpr5
; %bb.6:
	s_or_saveexec_b64 s[26:27], s[2:3]
	s_load_dwordx2 s[18:19], s[0:1], 0x0
	s_load_dwordx2 s[24:25], s[0:1], 0x18
	s_load_dword s11, s[0:1], 0x88
	v_mov_b32_e32 v36, s15
	s_mul_i32 s14, s12, s14
	v_lshrrev_b32_e32 v6, 4, v0
	s_xor_b64 exec, exec, s[26:27]
	s_cbranch_execz .LBB140_12
; %bb.7:
	s_load_dwordx2 s[0:1], s[0:1], 0x10
	s_ashr_i32 s15, s14, 31
	s_lshl_b64 s[2:3], s[14:15], 1
	v_bfe_u32 v43, v0, 2, 4
	v_lshlrev_b32_e32 v44, 4, v43
	s_waitcnt lgkmcnt(0)
	s_add_u32 s0, s0, s2
	s_addc_u32 s1, s1, s3
	v_mov_b32_e32 v45, 0
	v_lshlrev_b32_e32 v7, 2, v0
	v_lshl_add_u64 v[2:3], s[0:1], 0, v[44:45]
	v_and_b32_e32 v44, 12, v7
	v_mul_u32_u24_e32 v7, 60, v4
	ds_read2_b32 v[12:13], v7 offset1:1
	ds_read2_b32 v[16:17], v7 offset0:2 offset1:3
	ds_read2_b32 v[20:21], v7 offset0:4 offset1:5
	;; [unrolled: 1-line block ×6, first 2 shown]
	ds_read_b32 v7, v7 offset:56
	s_sub_i32 s15, 1, s33
	s_lshl_b64 s[0:1], s[22:23], 2
	s_add_u32 s0, s20, s0
	v_lshl_add_u64 v[2:3], v[2:3], 0, v[44:45]
	s_waitcnt lgkmcnt(0)
	v_lshlrev_b32_e32 v38, 16, v7
	v_and_b32_e32 v39, 0xffff0000, v7
	v_mbcnt_hi_u32_b32 v7, -1, v5
	v_and_b32_e32 v5, 64, v7
	v_add_u32_e32 v8, 64, v5
	v_xor_b32_e32 v5, 2, v7
	v_cmp_lt_i32_e32 vcc, v5, v8
	v_and_b32_e32 v44, 60, v6
	s_addc_u32 s1, s21, s1
	v_cndmask_b32_e32 v5, v7, v5, vcc
	v_lshlrev_b32_e32 v40, 2, v5
	v_xor_b32_e32 v5, 1, v7
	v_cmp_lt_i32_e32 vcc, v5, v8
	s_mov_b32 s12, s13
	v_lshlrev_b32_e32 v9, 16, v12
	v_cndmask_b32_e32 v5, v7, v5, vcc
	v_cmp_eq_u32_e32 vcc, 0, v4
	v_lshlrev_b32_e32 v4, 2, v43
	v_lshl_or_b32 v4, v1, 6, v4
	v_and_b32_e32 v10, 0xffff0000, v12
	v_lshlrev_b32_e32 v11, 16, v13
	v_and_b32_e32 v12, 0xffff0000, v13
	v_lshlrev_b32_e32 v13, 16, v16
	v_and_b32_e32 v14, 0xffff0000, v16
	v_lshlrev_b32_e32 v15, 16, v17
	v_and_b32_e32 v16, 0xffff0000, v17
	v_lshlrev_b32_e32 v17, 16, v20
	v_and_b32_e32 v18, 0xffff0000, v20
	v_lshlrev_b32_e32 v19, 16, v21
	v_and_b32_e32 v20, 0xffff0000, v21
	v_lshlrev_b32_e32 v21, 16, v24
	v_and_b32_e32 v22, 0xffff0000, v24
	v_lshlrev_b32_e32 v23, 16, v25
	v_and_b32_e32 v24, 0xffff0000, v25
	v_lshlrev_b32_e32 v25, 16, v28
	v_and_b32_e32 v26, 0xffff0000, v28
	v_lshlrev_b32_e32 v27, 16, v29
	v_and_b32_e32 v28, 0xffff0000, v29
	v_lshlrev_b32_e32 v29, 16, v32
	v_and_b32_e32 v30, 0xffff0000, v32
	v_lshlrev_b32_e32 v31, 16, v33
	v_and_b32_e32 v32, 0xffff0000, v33
	v_lshlrev_b32_e32 v33, 16, v36
	v_and_b32_e32 v34, 0xffff0000, v36
	v_lshlrev_b32_e32 v35, 16, v37
	v_and_b32_e32 v37, 0xffff0000, v37
	v_lshlrev_b32_e32 v41, 2, v5
	v_cmp_neq_f32_e64 s[2:3], s8, 0
	v_lshl_or_b32 v42, v1, 4, v43
	v_add_u32_e32 v43, 0x100, v4
	v_lshl_add_u64 v[4:5], s[0:1], 0, v[44:45]
	s_mov_b64 s[28:29], 0
	v_mov_b32_e32 v36, 0xff7fffff
	v_mov_b32_e32 v44, v1
	s_branch .LBB140_9
.LBB140_8:                              ;   in Loop: Header=BB140_9 Depth=1
	s_or_b64 exec, exec, s[30:31]
	v_add_u32_e32 v44, 2, v44
	v_cmp_le_i32_e64 s[0:1], s17, v44
	v_add_u32_e32 v42, 32, v42
	v_add_u32_e32 v43, 0x80, v43
	s_or_b64 s[28:29], s[0:1], s[28:29]
	v_lshl_add_u64 v[4:5], v[4:5], 0, 8
	s_andn2_b64 exec, exec, s[28:29]
	s_cbranch_execz .LBB140_11
.LBB140_9:                              ; =>This Inner Loop Header: Depth=1
	global_load_dword v45, v[4:5], off
	s_waitcnt vmcnt(0) lgkmcnt(0)
	v_mad_i64_i32 v[46:47], s[0:1], v45, s12, 0
	v_lshl_add_u64 v[46:47], v[46:47], 1, v[2:3]
	global_load_dword v45, v[46:47], off
	global_load_dword v48, v[46:47], off offset:256
	global_load_dword v49, v[46:47], off offset:512
	;; [unrolled: 1-line block ×14, first 2 shown]
	s_waitcnt vmcnt(14)
	v_lshlrev_b32_e32 v46, 16, v45
	s_waitcnt vmcnt(13)
	v_lshlrev_b32_e32 v47, 16, v48
	v_and_b32_e32 v48, 0xffff0000, v48
	v_and_b32_e32 v45, 0xffff0000, v45
	v_mul_f32_e32 v47, v11, v47
	v_mul_f32_e32 v48, v12, v48
	v_fmac_f32_e32 v47, v9, v46
	s_waitcnt vmcnt(12)
	v_lshlrev_b32_e32 v46, 16, v49
	v_and_b32_e32 v49, 0xffff0000, v49
	v_fmac_f32_e32 v48, v10, v45
	s_waitcnt vmcnt(11)
	v_lshlrev_b32_e32 v45, 16, v50
	v_and_b32_e32 v50, 0xffff0000, v50
	v_fmac_f32_e32 v47, v13, v46
	v_fmac_f32_e32 v48, v14, v49
	s_waitcnt vmcnt(10)
	v_lshlrev_b32_e32 v46, 16, v51
	v_and_b32_e32 v51, 0xffff0000, v51
	v_fmac_f32_e32 v47, v15, v45
	;; [unrolled: 5-line block ×12, first 2 shown]
	v_fmac_f32_e32 v48, v37, v60
	v_fmac_f32_e32 v47, v38, v50
	;; [unrolled: 1-line block ×3, first 2 shown]
	v_add_f32_e32 v45, v47, v48
	ds_bpermute_b32 v46, v40, v45
	s_waitcnt lgkmcnt(0)
	v_add_f32_e32 v45, v45, v46
	ds_bpermute_b32 v46, v41, v45
	s_and_saveexec_b64 s[30:31], vcc
	s_cbranch_execz .LBB140_8
; %bb.10:                               ;   in Loop: Header=BB140_9 Depth=1
	v_add_u32_e32 v47, s15, v42
	v_cvt_f32_i32_e32 v47, v47
	s_waitcnt lgkmcnt(0)
	v_add_f32_e32 v45, v45, v46
	v_cmp_gt_i32_e64 s[0:1], s33, v42
	v_max_f32_e32 v46, v36, v36
	v_mul_f32_e32 v47, s8, v47
	v_cndmask_b32_e64 v47, 0, v47, s[2:3]
	v_fmac_f32_e32 v47, s9, v45
	v_cndmask_b32_e64 v45, 0, v47, s[0:1]
	ds_write_b32 v43, v45
	v_max_f32_e32 v45, v46, v47
	v_cndmask_b32_e64 v36, v36, v45, s[0:1]
	s_branch .LBB140_8
.LBB140_11:
	s_or_b64 exec, exec, s[28:29]
.LBB140_12:
	s_or_b64 exec, exec, s[26:27]
	v_xor_b32_e32 v2, 32, v7
	v_cmp_lt_i32_e32 vcc, v2, v8
	v_xor_b32_e32 v5, 16, v7
	v_max_f32_e32 v4, v36, v36
	v_cndmask_b32_e32 v2, v7, v2, vcc
	v_lshlrev_b32_e32 v2, 2, v2
	ds_bpermute_b32 v3, v2, v36
	v_cmp_lt_i32_e32 vcc, v5, v8
	v_xor_b32_e32 v9, 8, v7
	v_xor_b32_e32 v11, 4, v7
	s_waitcnt lgkmcnt(0)
	v_max_f32_e32 v3, v3, v3
	v_max_f32_e32 v4, v4, v3
	v_cndmask_b32_e32 v3, v7, v5, vcc
	v_lshlrev_b32_e32 v3, 2, v3
	ds_bpermute_b32 v5, v3, v4
	v_cmp_lt_i32_e32 vcc, v9, v8
	s_waitcnt lgkmcnt(0)
	v_max_f32_e32 v5, v5, v5
	v_max_f32_e32 v4, v4, v5
	v_cndmask_b32_e32 v5, v7, v9, vcc
	v_lshlrev_b32_e32 v10, 2, v5
	ds_bpermute_b32 v5, v10, v4
	v_cmp_lt_i32_e32 vcc, v11, v8
	s_waitcnt lgkmcnt(0)
	v_max_f32_e32 v5, v5, v5
	v_max_f32_e32 v9, v4, v5
	v_cndmask_b32_e32 v4, v7, v11, vcc
	v_lshlrev_b32_e32 v11, 2, v4
	ds_bpermute_b32 v12, v11, v9
	v_and_b32_e32 v4, 63, v0
	v_cmp_eq_u32_e32 vcc, 0, v4
	v_lshlrev_b32_e32 v5, 2, v1
	s_and_saveexec_b64 s[0:1], vcc
	s_cbranch_execz .LBB140_14
; %bb.13:
	s_waitcnt lgkmcnt(0)
	v_max_f32_e32 v12, v12, v12
	v_max_f32_e32 v9, v9, v9
	;; [unrolled: 1-line block ×3, first 2 shown]
	ds_write_b32 v5, v9 offset:240
.LBB140_14:
	s_or_b64 exec, exec, s[0:1]
	v_cmp_gt_u32_e64 s[0:1], 2, v4
	s_waitcnt lgkmcnt(0)
	v_mov_b32_e32 v12, 0xff7fffff
	v_lshlrev_b32_e32 v9, 2, v4
	s_barrier
	s_and_saveexec_b64 s[2:3], s[0:1]
	s_cbranch_execz .LBB140_16
; %bb.15:
	ds_read_b32 v12, v9 offset:240
.LBB140_16:
	s_or_b64 exec, exec, s[2:3]
	v_xor_b32_e32 v13, 1, v7
	v_cmp_lt_i32_e64 s[2:3], v13, v8
	v_lshlrev_b32_e32 v14, 2, v7
	s_nop 0
	v_cndmask_b32_e64 v13, v7, v13, s[2:3]
	v_lshlrev_b32_e32 v20, 2, v13
	s_waitcnt lgkmcnt(0)
	ds_bpermute_b32 v13, v20, v12
	v_max_f32_e32 v12, v12, v12
	s_lshl_b32 s2, s17, 4
	s_min_i32 s12, s2, s33
	v_cmp_gt_i32_e64 s[2:3], s12, v0
	s_waitcnt lgkmcnt(0)
	v_max_f32_e32 v13, v13, v13
	v_max_f32_e32 v13, v12, v13
	v_and_b32_e32 v12, 0xffffff00, v14
	ds_bpermute_b32 v14, v12, v13
	v_mov_b32_e32 v13, 0
	s_and_saveexec_b64 s[26:27], s[2:3]
	s_cbranch_execz .LBB140_20
; %bb.17:
	v_mov_b32_e32 v13, 0x100
	v_lshl_add_u32 v15, v0, 2, v13
	s_mov_b64 s[28:29], 0
	v_mov_b32_e32 v13, 0
	v_mov_b32_e32 v16, v0
.LBB140_18:                             ; =>This Inner Loop Header: Depth=1
	ds_read_b32 v17, v15
	v_add_u32_e32 v16, 0x80, v16
	v_cmp_le_i32_e64 s[8:9], s12, v16
	s_or_b64 s[28:29], s[8:9], s[28:29]
	s_waitcnt lgkmcnt(0)
	v_sub_f32_e32 v17, v17, v14
	v_mul_f32_e32 v17, 0x3fb8aa3b, v17
	v_exp_f32_e32 v17, v17
	ds_write_b32 v15, v17
	v_add_f32_e32 v13, v13, v17
	v_add_u32_e32 v15, 0x200, v15
	s_andn2_b64 exec, exec, s[28:29]
	s_cbranch_execnz .LBB140_18
; %bb.19:
	s_or_b64 exec, exec, s[28:29]
.LBB140_20:
	s_or_b64 exec, exec, s[26:27]
	ds_bpermute_b32 v2, v2, v13
	s_waitcnt lgkmcnt(0)
	v_add_f32_e32 v2, v13, v2
	ds_bpermute_b32 v3, v3, v2
	s_waitcnt lgkmcnt(0)
	v_add_f32_e32 v2, v2, v3
	ds_bpermute_b32 v3, v10, v2
	v_xor_b32_e32 v10, 2, v7
	v_cmp_lt_i32_e64 s[8:9], v10, v8
	s_waitcnt lgkmcnt(0)
	v_add_f32_e32 v2, v2, v3
	ds_bpermute_b32 v3, v11, v2
	v_cndmask_b32_e64 v7, v7, v10, s[8:9]
	s_waitcnt lgkmcnt(0)
	v_add_f32_e32 v2, v2, v3
	v_lshlrev_b32_e32 v3, 2, v7
	ds_bpermute_b32 v3, v3, v2
	s_waitcnt lgkmcnt(0)
	v_add_f32_e32 v2, v2, v3
	ds_bpermute_b32 v3, v20, v2
	s_waitcnt lgkmcnt(0)
	v_add_f32_e32 v2, v2, v3
	s_and_saveexec_b64 s[8:9], vcc
	s_cbranch_execz .LBB140_22
; %bb.21:
	ds_write_b32 v5, v2 offset:248
.LBB140_22:
	s_or_b64 exec, exec, s[8:9]
	s_waitcnt lgkmcnt(0)
	s_barrier
	s_and_saveexec_b64 s[8:9], s[0:1]
	s_cbranch_execz .LBB140_24
; %bb.23:
	ds_read_b32 v2, v9 offset:248
.LBB140_24:
	s_or_b64 exec, exec, s[8:9]
	s_waitcnt lgkmcnt(0)
	ds_bpermute_b32 v3, v20, v2
	s_waitcnt lgkmcnt(0)
	v_add_f32_e32 v2, v2, v3
	ds_bpermute_b32 v2, v12, v2
	s_and_saveexec_b64 s[0:1], s[2:3]
	s_cbranch_execz .LBB140_37
; %bb.25:
	s_waitcnt lgkmcnt(0)
	v_add_f32_e32 v2, 0x358637bd, v2
	v_div_scale_f32 v3, s[2:3], v2, v2, 1.0
	v_rcp_f32_e32 v5, v3
	v_div_scale_f32 v7, vcc, 1.0, v2, 1.0
	s_movk_i32 s2, 0x7f
	v_fma_f32 v8, -v3, v5, 1.0
	v_fmac_f32_e32 v5, v8, v5
	v_mul_f32_e32 v8, v7, v5
	v_fma_f32 v9, -v3, v8, v7
	v_fmac_f32_e32 v8, v9, v5
	v_fma_f32 v3, -v3, v8, v7
	v_div_fmas_f32 v3, v3, v5, v8
	v_xad_u32 v5, v0, -1, s12
	v_div_fixup_f32 v2, v3, v2, 1.0
	v_cmp_lt_u32_e32 vcc, s2, v5
	s_mov_b64 s[8:9], -1
	v_mov_b32_e32 v3, v0
	s_and_saveexec_b64 s[2:3], vcc
	s_cbranch_execz .LBB140_34
; %bb.26:
	v_lshrrev_b32_e32 v5, 7, v5
	v_add_u32_e32 v8, -1, v5
	v_lshrrev_b32_e32 v7, 1, v8
	v_mov_b32_e32 v3, v2
	v_add_u32_e32 v7, 1, v7
	v_cmp_lt_u32_e32 vcc, 13, v8
	v_mov_b32_e32 v10, 0
	s_and_saveexec_b64 s[8:9], vcc
	s_cbranch_execz .LBB140_30
; %bb.27:
	v_mov_b32_e32 v9, 0x100
	v_and_b32_e32 v8, -8, v7
	v_lshl_add_u32 v9, v0, 2, v9
	s_mov_b32 s15, 0
	s_mov_b64 s[26:27], 0
.LBB140_28:                             ; =>This Inner Loop Header: Depth=1
	ds_read2st64_b32 v[10:11], v9 offset1:2
	ds_read2st64_b32 v[12:13], v9 offset0:4 offset1:6
	ds_read2st64_b32 v[14:15], v9 offset0:8 offset1:10
	;; [unrolled: 1-line block ×3, first 2 shown]
	v_add_u32_e32 v8, -8, v8
	s_waitcnt lgkmcnt(3)
	v_pk_mul_f32 v[10:11], v[2:3], v[10:11]
	s_waitcnt lgkmcnt(2)
	v_pk_mul_f32 v[12:13], v[2:3], v[12:13]
	ds_write2st64_b32 v9, v10, v11 offset1:2
	ds_write2st64_b32 v9, v12, v13 offset0:4 offset1:6
	ds_read2st64_b32 v[12:13], v9 offset0:16 offset1:18
	s_waitcnt lgkmcnt(4)
	v_pk_mul_f32 v[10:11], v[2:3], v[14:15]
	ds_write2st64_b32 v9, v10, v11 offset0:8 offset1:10
	s_waitcnt lgkmcnt(4)
	v_pk_mul_f32 v[10:11], v[2:3], v[16:17]
	ds_write2st64_b32 v9, v10, v11 offset0:12 offset1:14
	ds_read2st64_b32 v[10:11], v9 offset0:20 offset1:22
	s_waitcnt lgkmcnt(3)
	v_pk_mul_f32 v[12:13], v[2:3], v[12:13]
	ds_read2st64_b32 v[14:15], v9 offset0:24 offset1:26
	ds_write2st64_b32 v9, v12, v13 offset0:16 offset1:18
	ds_read2st64_b32 v[12:13], v9 offset0:28 offset1:30
	s_waitcnt lgkmcnt(3)
	v_pk_mul_f32 v[10:11], v[2:3], v[10:11]
	ds_write2st64_b32 v9, v10, v11 offset0:20 offset1:22
	s_waitcnt lgkmcnt(3)
	v_pk_mul_f32 v[10:11], v[2:3], v[14:15]
	ds_write2st64_b32 v9, v10, v11 offset0:24 offset1:26
	s_waitcnt lgkmcnt(2)
	v_pk_mul_f32 v[10:11], v[2:3], v[12:13]
	s_add_i32 s15, s15, 16
	v_cmp_eq_u32_e32 vcc, 0, v8
	ds_write2st64_b32 v9, v10, v11 offset0:28 offset1:30
	v_add_u32_e32 v9, 0x2000, v9
	s_or_b64 s[26:27], vcc, s[26:27]
	v_mov_b32_e32 v10, s15
	s_andn2_b64 exec, exec, s[26:27]
	s_cbranch_execnz .LBB140_28
; %bb.29:
	s_or_b64 exec, exec, s[26:27]
.LBB140_30:
	s_or_b64 exec, exec, s[8:9]
	v_and_b32_e32 v7, 7, v7
	v_cmp_ne_u32_e32 vcc, 0, v7
	s_and_saveexec_b64 s[8:9], vcc
	s_cbranch_execz .LBB140_33
; %bb.31:
	v_lshlrev_b32_e32 v8, 9, v10
	v_lshlrev_b32_e32 v9, 2, v0
	s_movk_i32 s15, 0x100
	v_add3_u32 v8, v8, v9, s15
	s_mov_b64 s[26:27], 0
.LBB140_32:                             ; =>This Inner Loop Header: Depth=1
	ds_read2st64_b32 v[10:11], v8 offset1:2
	v_add_u32_e32 v7, -1, v7
	v_cmp_eq_u32_e32 vcc, 0, v7
	s_or_b64 s[26:27], vcc, s[26:27]
	s_waitcnt lgkmcnt(0)
	v_pk_mul_f32 v[10:11], v[2:3], v[10:11]
	ds_write2st64_b32 v8, v10, v11 offset1:2
	v_add_u32_e32 v8, 0x400, v8
	s_andn2_b64 exec, exec, s[26:27]
	s_cbranch_execnz .LBB140_32
.LBB140_33:
	s_or_b64 exec, exec, s[8:9]
	v_add_u32_e32 v5, 1, v5
	v_and_b32_e32 v7, 0x3fffffe, v5
	v_cmp_ne_u32_e32 vcc, v5, v7
	v_lshl_add_u32 v3, v7, 7, v0
	s_orn2_b64 s[8:9], vcc, exec
.LBB140_34:
	s_or_b64 exec, exec, s[2:3]
	s_and_b64 exec, exec, s[8:9]
	s_cbranch_execz .LBB140_37
; %bb.35:
	v_mov_b32_e32 v5, 0x100
	v_lshl_add_u32 v5, v3, 2, v5
	s_mov_b64 s[2:3], 0
.LBB140_36:                             ; =>This Inner Loop Header: Depth=1
	ds_read_b32 v7, v5
	v_add_u32_e32 v3, 0x80, v3
	v_cmp_le_i32_e32 vcc, s12, v3
	s_or_b64 s[2:3], vcc, s[2:3]
	s_waitcnt lgkmcnt(0)
	v_mul_f32_e32 v7, v2, v7
	ds_write_b32 v5, v7
	v_add_u32_e32 v5, 0x200, v5
	s_andn2_b64 exec, exec, s[2:3]
	s_cbranch_execnz .LBB140_36
.LBB140_37:
	s_or_b64 exec, exec, s[0:1]
	v_mov_b32_e32 v11, 0
	v_lshrrev_b32_e32 v22, 1, v4
	v_and_b32_e32 v21, 1, v0
	v_mov_b32_e32 v10, 0
	v_mov_b32_e32 v13, 0
	;; [unrolled: 1-line block ×3, first 2 shown]
	s_waitcnt lgkmcnt(0)
	s_barrier
	s_and_saveexec_b64 s[8:9], s[6:7]
	s_cbranch_execz .LBB140_211
; %bb.38:
	s_ashr_i32 s15, s14, 31
	s_lshl_b64 s[0:1], s[14:15], 1
	v_lshlrev_b32_e32 v2, 3, v0
	s_add_u32 s6, s24, s0
	v_or_b32_e32 v4, 0x60, v22
	s_movk_i32 s0, 0x78
	v_and_b32_e32 v3, 8, v2
	s_addc_u32 s7, s25, s1
	s_add_i32 s24, s17, -1
	v_cmp_gt_u32_e32 vcc, s0, v4
	v_lshlrev_b32_e32 v5, 4, v1
	s_lshl_b64 s[0:1], s[22:23], 2
	v_lshl_or_b32 v2, v22, 4, v3
	v_lshl_or_b32 v4, v4, 4, v3
	v_or3_b32 v23, v5, v3, 7
	v_lshlrev_b32_e32 v3, 5, v21
	s_add_u32 s0, s20, s0
	v_mov_b32_e32 v15, 0
	v_lshl_or_b32 v3, v1, 6, v3
	v_and_b32_e32 v14, 60, v6
	s_addc_u32 s1, s21, s1
	s_mov_b32 s26, s13
	v_add_u32_e32 v24, 0x100, v3
	v_lshl_add_u64 v[16:17], s[0:1], 0, v[14:15]
	s_mov_b64 s[12:13], 0
	s_mov_b32 s20, 0x7f800000
	s_movk_i32 s21, 0x7fff
	v_lshlrev_b32_e32 v14, 1, v2
	v_lshlrev_b32_e32 v18, 1, v4
	v_mov_b32_e32 v12, v15
	v_mov_b32_e32 v13, v15
	;; [unrolled: 1-line block ×4, first 2 shown]
	s_branch .LBB140_41
.LBB140_39:                             ;   in Loop: Header=BB140_41 Depth=1
	s_or_b64 exec, exec, s[14:15]
	v_and_b32_e32 v37, 0xffff0000, v33
	v_and_b32_e32 v36, 0xffff0000, v7
	;; [unrolled: 1-line block ×8, first 2 shown]
	v_pk_add_f32 v[2:3], v[2:3], v[36:37]
	v_pk_add_f32 v[4:5], v[4:5], v[34:35]
	v_add_f32_e32 v2, v2, v3
	v_add_f32_e32 v2, v2, v4
	;; [unrolled: 1-line block ×4, first 2 shown]
.LBB140_40:                             ;   in Loop: Header=BB140_41 Depth=1
	s_or_b64 exec, exec, s[2:3]
	v_and_b32_e32 v7, 0xffff0000, v28
	v_and_b32_e32 v6, 0xffff0000, v26
	;; [unrolled: 1-line block ×8, first 2 shown]
	v_pk_add_f32 v[6:7], v[26:27], v[6:7]
	v_pk_add_f32 v[2:3], v[4:5], v[2:3]
	v_add_f32_e32 v4, v6, v7
	v_add_f32_e32 v2, v4, v2
	;; [unrolled: 1-line block ×3, first 2 shown]
	v_and_b32_e32 v7, 0xffff0000, v45
	v_and_b32_e32 v6, 0xffff0000, v43
	;; [unrolled: 1-line block ×4, first 2 shown]
	v_add_f32_e32 v12, v12, v2
	v_and_b32_e32 v3, 0xffff0000, v49
	v_and_b32_e32 v2, 0xffff0000, v47
	;; [unrolled: 1-line block ×4, first 2 shown]
	v_pk_add_f32 v[6:7], v[26:27], v[6:7]
	v_pk_add_f32 v[2:3], v[4:5], v[2:3]
	v_add_f32_e32 v4, v6, v7
	v_add_f32_e32 v2, v4, v2
	;; [unrolled: 1-line block ×3, first 2 shown]
	v_and_b32_e32 v7, 0xffff0000, v51
	v_and_b32_e32 v6, 0xffff0000, v9
	;; [unrolled: 1-line block ×4, first 2 shown]
	v_add_f32_e32 v13, v13, v2
	v_and_b32_e32 v3, 0xffff0000, v55
	v_and_b32_e32 v2, 0xffff0000, v53
	;; [unrolled: 1-line block ×4, first 2 shown]
	v_pk_add_f32 v[6:7], v[8:9], v[6:7]
	v_pk_add_f32 v[2:3], v[4:5], v[2:3]
	v_add_f32_e32 v4, v6, v7
	v_add_f32_e32 v2, v4, v2
	v_add_u32_e32 v1, 2, v1
	v_add_f32_e32 v2, v2, v3
	v_cmp_le_i32_e64 s[0:1], s17, v1
	v_add_f32_e32 v10, v10, v2
	v_add_u32_e32 v23, 32, v23
	v_add_u32_e32 v24, 0x80, v24
	s_or_b64 s[12:13], s[0:1], s[12:13]
	v_lshl_add_u64 v[16:17], v[16:17], 0, 8
	s_andn2_b64 exec, exec, s[12:13]
	s_cbranch_execz .LBB140_210
.LBB140_41:                             ; =>This Inner Loop Header: Depth=1
	global_load_dword v32, v[16:17], off
	ds_read2_b64 v[6:9], v24 offset1:1
	ds_read2_b64 v[2:5], v24 offset0:2 offset1:3
                                        ; implicit-def: $vgpr25
	s_waitcnt lgkmcnt(1)
	v_and_b32_e32 v19, 0x7f800000, v6
	v_cmp_ne_u32_e64 s[0:1], s20, v19
	s_and_saveexec_b64 s[2:3], s[0:1]
	s_xor_b64 s[0:1], exec, s[2:3]
; %bb.42:                               ;   in Loop: Header=BB140_41 Depth=1
	v_bfe_u32 v19, v6, 16, 1
	v_add3_u32 v25, v6, v19, s21
; %bb.43:                               ;   in Loop: Header=BB140_41 Depth=1
	s_andn2_saveexec_b64 s[2:3], s[0:1]
; %bb.44:                               ;   in Loop: Header=BB140_41 Depth=1
	v_or_b32_e32 v19, 0x10000, v6
	v_cmp_eq_u32_sdwa s[0:1], v6, v15 src0_sel:WORD_0 src1_sel:DWORD
	s_nop 1
	v_cndmask_b32_e64 v25, v19, v6, s[0:1]
; %bb.45:                               ;   in Loop: Header=BB140_41 Depth=1
	s_or_b64 exec, exec, s[2:3]
	v_and_b32_e32 v6, 0x7f800000, v7
	v_cmp_ne_u32_e64 s[0:1], s20, v6
                                        ; implicit-def: $vgpr26
	s_and_saveexec_b64 s[2:3], s[0:1]
	s_xor_b64 s[0:1], exec, s[2:3]
; %bb.46:                               ;   in Loop: Header=BB140_41 Depth=1
	v_bfe_u32 v6, v7, 16, 1
	v_add3_u32 v26, v7, v6, s21
; %bb.47:                               ;   in Loop: Header=BB140_41 Depth=1
	s_andn2_saveexec_b64 s[2:3], s[0:1]
; %bb.48:                               ;   in Loop: Header=BB140_41 Depth=1
	v_or_b32_e32 v6, 0x10000, v7
	v_cmp_eq_u32_sdwa s[0:1], v7, v15 src0_sel:WORD_0 src1_sel:DWORD
	s_nop 1
	v_cndmask_b32_e64 v26, v6, v7, s[0:1]
; %bb.49:                               ;   in Loop: Header=BB140_41 Depth=1
	s_or_b64 exec, exec, s[2:3]
	v_and_b32_e32 v6, 0x7f800000, v8
	v_cmp_ne_u32_e64 s[0:1], s20, v6
                                        ; implicit-def: $vgpr27
	s_and_saveexec_b64 s[2:3], s[0:1]
	s_xor_b64 s[0:1], exec, s[2:3]
; %bb.50:                               ;   in Loop: Header=BB140_41 Depth=1
	v_bfe_u32 v6, v8, 16, 1
	v_add3_u32 v27, v8, v6, s21
; %bb.51:                               ;   in Loop: Header=BB140_41 Depth=1
	s_andn2_saveexec_b64 s[2:3], s[0:1]
; %bb.52:                               ;   in Loop: Header=BB140_41 Depth=1
	v_or_b32_e32 v6, 0x10000, v8
	v_cmp_eq_u32_sdwa s[0:1], v8, v15 src0_sel:WORD_0 src1_sel:DWORD
	s_nop 1
	v_cndmask_b32_e64 v27, v6, v8, s[0:1]
; %bb.53:                               ;   in Loop: Header=BB140_41 Depth=1
	s_or_b64 exec, exec, s[2:3]
	v_and_b32_e32 v6, 0x7f800000, v9
	v_cmp_ne_u32_e64 s[0:1], s20, v6
                                        ; implicit-def: $vgpr28
	s_and_saveexec_b64 s[2:3], s[0:1]
	s_xor_b64 s[0:1], exec, s[2:3]
; %bb.54:                               ;   in Loop: Header=BB140_41 Depth=1
	v_bfe_u32 v6, v9, 16, 1
	v_add3_u32 v28, v9, v6, s21
                                        ; implicit-def: $vgpr6_vgpr7_vgpr8_vgpr9
; %bb.55:                               ;   in Loop: Header=BB140_41 Depth=1
	s_andn2_saveexec_b64 s[2:3], s[0:1]
; %bb.56:                               ;   in Loop: Header=BB140_41 Depth=1
	v_or_b32_e32 v6, 0x10000, v9
	v_cmp_eq_u32_sdwa s[0:1], v9, v15 src0_sel:WORD_0 src1_sel:DWORD
	s_nop 1
	v_cndmask_b32_e64 v28, v6, v9, s[0:1]
; %bb.57:                               ;   in Loop: Header=BB140_41 Depth=1
	s_or_b64 exec, exec, s[2:3]
	s_waitcnt lgkmcnt(0)
	v_and_b32_e32 v6, 0x7f800000, v2
	v_cmp_ne_u32_e64 s[0:1], s20, v6
                                        ; implicit-def: $vgpr29
	s_and_saveexec_b64 s[2:3], s[0:1]
	s_xor_b64 s[0:1], exec, s[2:3]
; %bb.58:                               ;   in Loop: Header=BB140_41 Depth=1
	v_bfe_u32 v6, v2, 16, 1
	v_add3_u32 v29, v2, v6, s21
; %bb.59:                               ;   in Loop: Header=BB140_41 Depth=1
	s_andn2_saveexec_b64 s[2:3], s[0:1]
; %bb.60:                               ;   in Loop: Header=BB140_41 Depth=1
	v_or_b32_e32 v6, 0x10000, v2
	v_cmp_eq_u32_sdwa s[0:1], v2, v15 src0_sel:WORD_0 src1_sel:DWORD
	s_nop 1
	v_cndmask_b32_e64 v29, v6, v2, s[0:1]
; %bb.61:                               ;   in Loop: Header=BB140_41 Depth=1
	s_or_b64 exec, exec, s[2:3]
	v_and_b32_e32 v2, 0x7f800000, v3
	v_cmp_ne_u32_e64 s[0:1], s20, v2
                                        ; implicit-def: $vgpr30
	s_and_saveexec_b64 s[2:3], s[0:1]
	s_xor_b64 s[0:1], exec, s[2:3]
; %bb.62:                               ;   in Loop: Header=BB140_41 Depth=1
	v_bfe_u32 v2, v3, 16, 1
	v_add3_u32 v30, v3, v2, s21
; %bb.63:                               ;   in Loop: Header=BB140_41 Depth=1
	s_andn2_saveexec_b64 s[2:3], s[0:1]
; %bb.64:                               ;   in Loop: Header=BB140_41 Depth=1
	v_or_b32_e32 v2, 0x10000, v3
	v_cmp_eq_u32_sdwa s[0:1], v3, v15 src0_sel:WORD_0 src1_sel:DWORD
	s_nop 1
	v_cndmask_b32_e64 v30, v2, v3, s[0:1]
; %bb.65:                               ;   in Loop: Header=BB140_41 Depth=1
	s_or_b64 exec, exec, s[2:3]
	v_and_b32_e32 v2, 0x7f800000, v4
	v_cmp_ne_u32_e64 s[0:1], s20, v2
                                        ; implicit-def: $vgpr31
	s_and_saveexec_b64 s[2:3], s[0:1]
	s_xor_b64 s[0:1], exec, s[2:3]
; %bb.66:                               ;   in Loop: Header=BB140_41 Depth=1
	v_bfe_u32 v2, v4, 16, 1
	v_add3_u32 v31, v4, v2, s21
; %bb.67:                               ;   in Loop: Header=BB140_41 Depth=1
	s_andn2_saveexec_b64 s[2:3], s[0:1]
; %bb.68:                               ;   in Loop: Header=BB140_41 Depth=1
	v_or_b32_e32 v2, 0x10000, v4
	v_cmp_eq_u32_sdwa s[0:1], v4, v15 src0_sel:WORD_0 src1_sel:DWORD
	s_nop 1
	v_cndmask_b32_e64 v31, v2, v4, s[0:1]
; %bb.69:                               ;   in Loop: Header=BB140_41 Depth=1
	s_or_b64 exec, exec, s[2:3]
	v_and_b32_e32 v2, 0x7f800000, v5
	v_cmp_ne_u32_e64 s[0:1], s20, v2
                                        ; implicit-def: $vgpr19
	s_and_saveexec_b64 s[2:3], s[0:1]
	s_xor_b64 s[0:1], exec, s[2:3]
; %bb.70:                               ;   in Loop: Header=BB140_41 Depth=1
	v_bfe_u32 v2, v5, 16, 1
	v_add3_u32 v19, v5, v2, s21
                                        ; implicit-def: $vgpr2_vgpr3_vgpr4_vgpr5
; %bb.71:                               ;   in Loop: Header=BB140_41 Depth=1
	s_andn2_saveexec_b64 s[2:3], s[0:1]
; %bb.72:                               ;   in Loop: Header=BB140_41 Depth=1
	v_or_b32_e32 v2, 0x10000, v5
	v_cmp_eq_u32_sdwa s[0:1], v5, v15 src0_sel:WORD_0 src1_sel:DWORD
	s_nop 1
	v_cndmask_b32_e64 v19, v2, v5, s[0:1]
; %bb.73:                               ;   in Loop: Header=BB140_41 Depth=1
	s_or_b64 exec, exec, s[2:3]
	s_waitcnt vmcnt(0)
	v_mad_i64_i32 v[2:3], s[0:1], v32, s26, 0
	v_lshl_add_u64 v[6:7], v[2:3], 1, s[6:7]
	v_lshl_add_u64 v[8:9], v[6:7], 0, v[14:15]
	global_load_dwordx4 v[2:5], v[8:9], off
	v_add_u32_e32 v33, -7, v23
	v_cmp_eq_u32_e64 s[0:1], s24, v1
	s_waitcnt vmcnt(0)
	v_lshrrev_b32_e32 v36, 16, v2
	v_lshrrev_b32_e32 v38, 16, v3
	;; [unrolled: 1-line block ×4, first 2 shown]
	s_and_saveexec_b64 s[14:15], s[0:1]
	s_cbranch_execz .LBB140_75
; %bb.74:                               ;   in Loop: Header=BB140_41 Depth=1
	v_cmp_gt_i32_e64 s[2:3], s33, v33
	v_add_u32_e32 v34, -6, v23
	s_nop 0
	v_cndmask_b32_e64 v2, 0, v2, s[2:3]
	v_cmp_gt_i32_e64 s[2:3], s33, v34
	v_add_u32_e32 v34, -5, v23
	s_nop 0
	v_cndmask_b32_e64 v36, 0, v36, s[2:3]
	;; [unrolled: 4-line block ×6, first 2 shown]
	v_cmp_gt_i32_e64 s[2:3], s33, v34
	s_nop 1
	v_cndmask_b32_e64 v5, 0, v5, s[2:3]
	v_cmp_gt_i32_e64 s[2:3], s33, v23
	s_nop 1
	v_cndmask_b32_e64 v32, 0, v32, s[2:3]
.LBB140_75:                             ;   in Loop: Header=BB140_41 Depth=1
	s_or_b64 exec, exec, s[14:15]
	v_and_b32_e32 v34, 0xffff0000, v25
	v_lshlrev_b32_e32 v2, 16, v2
	v_mul_f32_e32 v2, v34, v2
	v_and_b32_e32 v25, 0x7f800000, v2
	v_cmp_ne_u32_e64 s[2:3], s20, v25
                                        ; implicit-def: $vgpr25
	s_and_saveexec_b64 s[14:15], s[2:3]
	s_xor_b64 s[2:3], exec, s[14:15]
; %bb.76:                               ;   in Loop: Header=BB140_41 Depth=1
	v_bfe_u32 v25, v2, 16, 1
	v_add3_u32 v25, v2, v25, s21
                                        ; implicit-def: $vgpr2
; %bb.77:                               ;   in Loop: Header=BB140_41 Depth=1
	s_andn2_saveexec_b64 s[14:15], s[2:3]
; %bb.78:                               ;   in Loop: Header=BB140_41 Depth=1
	v_or_b32_e32 v25, 0x10000, v2
	v_cmp_eq_u32_sdwa s[2:3], v2, v15 src0_sel:WORD_0 src1_sel:DWORD
	s_nop 1
	v_cndmask_b32_e64 v25, v25, v2, s[2:3]
; %bb.79:                               ;   in Loop: Header=BB140_41 Depth=1
	s_or_b64 exec, exec, s[14:15]
	v_and_b32_e32 v35, 0xffff0000, v26
	v_lshlrev_b32_e32 v2, 16, v36
	v_mul_f32_e32 v2, v35, v2
	v_and_b32_e32 v26, 0x7f800000, v2
	v_cmp_ne_u32_e64 s[2:3], s20, v26
                                        ; implicit-def: $vgpr26
	s_and_saveexec_b64 s[14:15], s[2:3]
	s_xor_b64 s[2:3], exec, s[14:15]
; %bb.80:                               ;   in Loop: Header=BB140_41 Depth=1
	v_bfe_u32 v26, v2, 16, 1
	v_add3_u32 v26, v2, v26, s21
                                        ; implicit-def: $vgpr2
; %bb.81:                               ;   in Loop: Header=BB140_41 Depth=1
	s_andn2_saveexec_b64 s[14:15], s[2:3]
; %bb.82:                               ;   in Loop: Header=BB140_41 Depth=1
	v_or_b32_e32 v26, 0x10000, v2
	v_cmp_eq_u32_sdwa s[2:3], v2, v15 src0_sel:WORD_0 src1_sel:DWORD
	s_nop 1
	v_cndmask_b32_e64 v26, v26, v2, s[2:3]
; %bb.83:                               ;   in Loop: Header=BB140_41 Depth=1
	s_or_b64 exec, exec, s[14:15]
	v_and_b32_e32 v36, 0xffff0000, v27
	v_lshlrev_b32_e32 v2, 16, v3
	v_mul_f32_e32 v2, v36, v2
	v_and_b32_e32 v3, 0x7f800000, v2
	v_cmp_ne_u32_e64 s[2:3], s20, v3
                                        ; implicit-def: $vgpr27
	s_and_saveexec_b64 s[14:15], s[2:3]
	s_xor_b64 s[2:3], exec, s[14:15]
; %bb.84:                               ;   in Loop: Header=BB140_41 Depth=1
	v_bfe_u32 v3, v2, 16, 1
	v_add3_u32 v27, v2, v3, s21
                                        ; implicit-def: $vgpr2
; %bb.85:                               ;   in Loop: Header=BB140_41 Depth=1
	s_andn2_saveexec_b64 s[14:15], s[2:3]
; %bb.86:                               ;   in Loop: Header=BB140_41 Depth=1
	v_or_b32_e32 v3, 0x10000, v2
	v_cmp_eq_u32_sdwa s[2:3], v2, v15 src0_sel:WORD_0 src1_sel:DWORD
	s_nop 1
	v_cndmask_b32_e64 v27, v3, v2, s[2:3]
; %bb.87:                               ;   in Loop: Header=BB140_41 Depth=1
	s_or_b64 exec, exec, s[14:15]
	v_and_b32_e32 v37, 0xffff0000, v28
	v_lshlrev_b32_e32 v2, 16, v38
	v_mul_f32_e32 v2, v37, v2
	v_and_b32_e32 v3, 0x7f800000, v2
	v_cmp_ne_u32_e64 s[2:3], s20, v3
                                        ; implicit-def: $vgpr28
	s_and_saveexec_b64 s[14:15], s[2:3]
	s_xor_b64 s[2:3], exec, s[14:15]
; %bb.88:                               ;   in Loop: Header=BB140_41 Depth=1
	v_bfe_u32 v3, v2, 16, 1
	v_add3_u32 v28, v2, v3, s21
                                        ; implicit-def: $vgpr2
; %bb.89:                               ;   in Loop: Header=BB140_41 Depth=1
	s_andn2_saveexec_b64 s[14:15], s[2:3]
; %bb.90:                               ;   in Loop: Header=BB140_41 Depth=1
	v_or_b32_e32 v3, 0x10000, v2
	v_cmp_eq_u32_sdwa s[2:3], v2, v15 src0_sel:WORD_0 src1_sel:DWORD
	s_nop 1
	v_cndmask_b32_e64 v28, v3, v2, s[2:3]
; %bb.91:                               ;   in Loop: Header=BB140_41 Depth=1
	s_or_b64 exec, exec, s[14:15]
	v_and_b32_e32 v38, 0xffff0000, v29
	v_lshlrev_b32_e32 v2, 16, v4
	v_mul_f32_e32 v2, v38, v2
	v_and_b32_e32 v3, 0x7f800000, v2
	v_cmp_ne_u32_e64 s[2:3], s20, v3
                                        ; implicit-def: $vgpr29
	s_and_saveexec_b64 s[14:15], s[2:3]
	s_xor_b64 s[2:3], exec, s[14:15]
; %bb.92:                               ;   in Loop: Header=BB140_41 Depth=1
	v_bfe_u32 v3, v2, 16, 1
	v_add3_u32 v29, v2, v3, s21
                                        ; implicit-def: $vgpr2
; %bb.93:                               ;   in Loop: Header=BB140_41 Depth=1
	s_andn2_saveexec_b64 s[14:15], s[2:3]
; %bb.94:                               ;   in Loop: Header=BB140_41 Depth=1
	v_or_b32_e32 v3, 0x10000, v2
	v_cmp_eq_u32_sdwa s[2:3], v2, v15 src0_sel:WORD_0 src1_sel:DWORD
	s_nop 1
	v_cndmask_b32_e64 v29, v3, v2, s[2:3]
; %bb.95:                               ;   in Loop: Header=BB140_41 Depth=1
	s_or_b64 exec, exec, s[14:15]
	v_and_b32_e32 v39, 0xffff0000, v30
	v_lshlrev_b32_e32 v2, 16, v40
	v_mul_f32_e32 v2, v39, v2
	v_and_b32_e32 v3, 0x7f800000, v2
	v_cmp_ne_u32_e64 s[2:3], s20, v3
                                        ; implicit-def: $vgpr30
	s_and_saveexec_b64 s[14:15], s[2:3]
	s_xor_b64 s[2:3], exec, s[14:15]
; %bb.96:                               ;   in Loop: Header=BB140_41 Depth=1
	v_bfe_u32 v3, v2, 16, 1
	v_add3_u32 v30, v2, v3, s21
                                        ; implicit-def: $vgpr2
; %bb.97:                               ;   in Loop: Header=BB140_41 Depth=1
	s_andn2_saveexec_b64 s[14:15], s[2:3]
; %bb.98:                               ;   in Loop: Header=BB140_41 Depth=1
	v_or_b32_e32 v3, 0x10000, v2
	v_cmp_eq_u32_sdwa s[2:3], v2, v15 src0_sel:WORD_0 src1_sel:DWORD
	s_nop 1
	v_cndmask_b32_e64 v30, v3, v2, s[2:3]
; %bb.99:                               ;   in Loop: Header=BB140_41 Depth=1
	s_or_b64 exec, exec, s[14:15]
	v_and_b32_e32 v40, 0xffff0000, v31
	v_lshlrev_b32_e32 v2, 16, v5
	v_mul_f32_e32 v2, v40, v2
	v_and_b32_e32 v3, 0x7f800000, v2
	v_cmp_ne_u32_e64 s[2:3], s20, v3
                                        ; implicit-def: $vgpr31
	s_and_saveexec_b64 s[14:15], s[2:3]
	s_xor_b64 s[2:3], exec, s[14:15]
; %bb.100:                              ;   in Loop: Header=BB140_41 Depth=1
	v_bfe_u32 v3, v2, 16, 1
	v_add3_u32 v31, v2, v3, s21
                                        ; implicit-def: $vgpr2
; %bb.101:                              ;   in Loop: Header=BB140_41 Depth=1
	s_andn2_saveexec_b64 s[14:15], s[2:3]
; %bb.102:                              ;   in Loop: Header=BB140_41 Depth=1
	v_or_b32_e32 v3, 0x10000, v2
	v_cmp_eq_u32_sdwa s[2:3], v2, v15 src0_sel:WORD_0 src1_sel:DWORD
	s_nop 1
	v_cndmask_b32_e64 v31, v3, v2, s[2:3]
; %bb.103:                              ;   in Loop: Header=BB140_41 Depth=1
	s_or_b64 exec, exec, s[14:15]
	v_and_b32_e32 v41, 0xffff0000, v19
	v_lshlrev_b32_e32 v2, 16, v32
	v_mul_f32_e32 v2, v41, v2
	v_and_b32_e32 v3, 0x7f800000, v2
	v_cmp_ne_u32_e64 s[2:3], s20, v3
                                        ; implicit-def: $vgpr32
	s_and_saveexec_b64 s[14:15], s[2:3]
	s_xor_b64 s[2:3], exec, s[14:15]
; %bb.104:                              ;   in Loop: Header=BB140_41 Depth=1
	v_bfe_u32 v3, v2, 16, 1
	v_add3_u32 v32, v2, v3, s21
                                        ; implicit-def: $vgpr2
; %bb.105:                              ;   in Loop: Header=BB140_41 Depth=1
	s_andn2_saveexec_b64 s[14:15], s[2:3]
; %bb.106:                              ;   in Loop: Header=BB140_41 Depth=1
	v_or_b32_e32 v3, 0x10000, v2
	v_cmp_eq_u32_sdwa s[2:3], v2, v15 src0_sel:WORD_0 src1_sel:DWORD
	s_nop 1
	v_cndmask_b32_e64 v32, v3, v2, s[2:3]
; %bb.107:                              ;   in Loop: Header=BB140_41 Depth=1
	s_or_b64 exec, exec, s[14:15]
	global_load_dwordx4 v[2:5], v[8:9], off offset:1024
	s_waitcnt vmcnt(0)
	v_lshrrev_b32_e32 v43, 16, v2
	v_lshrrev_b32_e32 v45, 16, v3
	;; [unrolled: 1-line block ×4, first 2 shown]
	s_and_saveexec_b64 s[14:15], s[0:1]
	s_cbranch_execz .LBB140_109
; %bb.108:                              ;   in Loop: Header=BB140_41 Depth=1
	v_cmp_gt_i32_e64 s[2:3], s33, v33
	v_add_u32_e32 v42, -6, v23
	s_nop 0
	v_cndmask_b32_e64 v2, 0, v2, s[2:3]
	v_cmp_gt_i32_e64 s[2:3], s33, v42
	v_add_u32_e32 v42, -5, v23
	s_nop 0
	v_cndmask_b32_e64 v43, 0, v43, s[2:3]
	;; [unrolled: 4-line block ×6, first 2 shown]
	v_cmp_gt_i32_e64 s[2:3], s33, v42
	s_nop 1
	v_cndmask_b32_e64 v5, 0, v5, s[2:3]
	v_cmp_gt_i32_e64 s[2:3], s33, v23
	s_nop 1
	v_cndmask_b32_e64 v19, 0, v19, s[2:3]
.LBB140_109:                            ;   in Loop: Header=BB140_41 Depth=1
	s_or_b64 exec, exec, s[14:15]
	v_lshlrev_b32_e32 v2, 16, v2
	v_mul_f32_e32 v2, v34, v2
	v_and_b32_e32 v42, 0x7f800000, v2
	v_cmp_ne_u32_e64 s[2:3], s20, v42
                                        ; implicit-def: $vgpr42
	s_and_saveexec_b64 s[14:15], s[2:3]
	s_xor_b64 s[2:3], exec, s[14:15]
; %bb.110:                              ;   in Loop: Header=BB140_41 Depth=1
	v_bfe_u32 v42, v2, 16, 1
	v_add3_u32 v42, v2, v42, s21
                                        ; implicit-def: $vgpr2
; %bb.111:                              ;   in Loop: Header=BB140_41 Depth=1
	s_andn2_saveexec_b64 s[14:15], s[2:3]
; %bb.112:                              ;   in Loop: Header=BB140_41 Depth=1
	v_or_b32_e32 v42, 0x10000, v2
	v_cmp_eq_u32_sdwa s[2:3], v2, v15 src0_sel:WORD_0 src1_sel:DWORD
	s_nop 1
	v_cndmask_b32_e64 v42, v42, v2, s[2:3]
; %bb.113:                              ;   in Loop: Header=BB140_41 Depth=1
	s_or_b64 exec, exec, s[14:15]
	v_lshlrev_b32_e32 v2, 16, v43
	v_mul_f32_e32 v2, v35, v2
	v_and_b32_e32 v43, 0x7f800000, v2
	v_cmp_ne_u32_e64 s[2:3], s20, v43
                                        ; implicit-def: $vgpr43
	s_and_saveexec_b64 s[14:15], s[2:3]
	s_xor_b64 s[2:3], exec, s[14:15]
; %bb.114:                              ;   in Loop: Header=BB140_41 Depth=1
	v_bfe_u32 v43, v2, 16, 1
	v_add3_u32 v43, v2, v43, s21
                                        ; implicit-def: $vgpr2
; %bb.115:                              ;   in Loop: Header=BB140_41 Depth=1
	s_andn2_saveexec_b64 s[14:15], s[2:3]
; %bb.116:                              ;   in Loop: Header=BB140_41 Depth=1
	v_or_b32_e32 v43, 0x10000, v2
	v_cmp_eq_u32_sdwa s[2:3], v2, v15 src0_sel:WORD_0 src1_sel:DWORD
	s_nop 1
	v_cndmask_b32_e64 v43, v43, v2, s[2:3]
; %bb.117:                              ;   in Loop: Header=BB140_41 Depth=1
	s_or_b64 exec, exec, s[14:15]
	v_lshlrev_b32_e32 v2, 16, v3
	v_mul_f32_e32 v2, v36, v2
	v_and_b32_e32 v3, 0x7f800000, v2
	v_cmp_ne_u32_e64 s[2:3], s20, v3
                                        ; implicit-def: $vgpr44
	s_and_saveexec_b64 s[14:15], s[2:3]
	s_xor_b64 s[2:3], exec, s[14:15]
; %bb.118:                              ;   in Loop: Header=BB140_41 Depth=1
	v_bfe_u32 v3, v2, 16, 1
	v_add3_u32 v44, v2, v3, s21
                                        ; implicit-def: $vgpr2
; %bb.119:                              ;   in Loop: Header=BB140_41 Depth=1
	s_andn2_saveexec_b64 s[14:15], s[2:3]
; %bb.120:                              ;   in Loop: Header=BB140_41 Depth=1
	v_or_b32_e32 v3, 0x10000, v2
	v_cmp_eq_u32_sdwa s[2:3], v2, v15 src0_sel:WORD_0 src1_sel:DWORD
	s_nop 1
	v_cndmask_b32_e64 v44, v3, v2, s[2:3]
; %bb.121:                              ;   in Loop: Header=BB140_41 Depth=1
	s_or_b64 exec, exec, s[14:15]
	v_lshlrev_b32_e32 v2, 16, v45
	v_mul_f32_e32 v2, v37, v2
	v_and_b32_e32 v3, 0x7f800000, v2
	v_cmp_ne_u32_e64 s[2:3], s20, v3
                                        ; implicit-def: $vgpr45
	s_and_saveexec_b64 s[14:15], s[2:3]
	s_xor_b64 s[2:3], exec, s[14:15]
; %bb.122:                              ;   in Loop: Header=BB140_41 Depth=1
	v_bfe_u32 v3, v2, 16, 1
	v_add3_u32 v45, v2, v3, s21
                                        ; implicit-def: $vgpr2
; %bb.123:                              ;   in Loop: Header=BB140_41 Depth=1
	s_andn2_saveexec_b64 s[14:15], s[2:3]
; %bb.124:                              ;   in Loop: Header=BB140_41 Depth=1
	v_or_b32_e32 v3, 0x10000, v2
	v_cmp_eq_u32_sdwa s[2:3], v2, v15 src0_sel:WORD_0 src1_sel:DWORD
	s_nop 1
	v_cndmask_b32_e64 v45, v3, v2, s[2:3]
; %bb.125:                              ;   in Loop: Header=BB140_41 Depth=1
	s_or_b64 exec, exec, s[14:15]
	v_lshlrev_b32_e32 v2, 16, v4
	v_mul_f32_e32 v2, v38, v2
	v_and_b32_e32 v3, 0x7f800000, v2
	v_cmp_ne_u32_e64 s[2:3], s20, v3
                                        ; implicit-def: $vgpr46
	s_and_saveexec_b64 s[14:15], s[2:3]
	s_xor_b64 s[2:3], exec, s[14:15]
; %bb.126:                              ;   in Loop: Header=BB140_41 Depth=1
	v_bfe_u32 v3, v2, 16, 1
	v_add3_u32 v46, v2, v3, s21
                                        ; implicit-def: $vgpr2
; %bb.127:                              ;   in Loop: Header=BB140_41 Depth=1
	s_andn2_saveexec_b64 s[14:15], s[2:3]
; %bb.128:                              ;   in Loop: Header=BB140_41 Depth=1
	v_or_b32_e32 v3, 0x10000, v2
	v_cmp_eq_u32_sdwa s[2:3], v2, v15 src0_sel:WORD_0 src1_sel:DWORD
	s_nop 1
	v_cndmask_b32_e64 v46, v3, v2, s[2:3]
; %bb.129:                              ;   in Loop: Header=BB140_41 Depth=1
	s_or_b64 exec, exec, s[14:15]
	v_lshlrev_b32_e32 v2, 16, v47
	v_mul_f32_e32 v2, v39, v2
	v_and_b32_e32 v3, 0x7f800000, v2
	v_cmp_ne_u32_e64 s[2:3], s20, v3
                                        ; implicit-def: $vgpr47
	s_and_saveexec_b64 s[14:15], s[2:3]
	s_xor_b64 s[2:3], exec, s[14:15]
; %bb.130:                              ;   in Loop: Header=BB140_41 Depth=1
	v_bfe_u32 v3, v2, 16, 1
	v_add3_u32 v47, v2, v3, s21
                                        ; implicit-def: $vgpr2
; %bb.131:                              ;   in Loop: Header=BB140_41 Depth=1
	s_andn2_saveexec_b64 s[14:15], s[2:3]
; %bb.132:                              ;   in Loop: Header=BB140_41 Depth=1
	v_or_b32_e32 v3, 0x10000, v2
	v_cmp_eq_u32_sdwa s[2:3], v2, v15 src0_sel:WORD_0 src1_sel:DWORD
	s_nop 1
	v_cndmask_b32_e64 v47, v3, v2, s[2:3]
; %bb.133:                              ;   in Loop: Header=BB140_41 Depth=1
	s_or_b64 exec, exec, s[14:15]
	v_lshlrev_b32_e32 v2, 16, v5
	v_mul_f32_e32 v2, v40, v2
	v_and_b32_e32 v3, 0x7f800000, v2
	v_cmp_ne_u32_e64 s[2:3], s20, v3
                                        ; implicit-def: $vgpr48
	s_and_saveexec_b64 s[14:15], s[2:3]
	s_xor_b64 s[2:3], exec, s[14:15]
; %bb.134:                              ;   in Loop: Header=BB140_41 Depth=1
	v_bfe_u32 v3, v2, 16, 1
	v_add3_u32 v48, v2, v3, s21
                                        ; implicit-def: $vgpr2
; %bb.135:                              ;   in Loop: Header=BB140_41 Depth=1
	s_andn2_saveexec_b64 s[14:15], s[2:3]
; %bb.136:                              ;   in Loop: Header=BB140_41 Depth=1
	v_or_b32_e32 v3, 0x10000, v2
	v_cmp_eq_u32_sdwa s[2:3], v2, v15 src0_sel:WORD_0 src1_sel:DWORD
	s_nop 1
	v_cndmask_b32_e64 v48, v3, v2, s[2:3]
; %bb.137:                              ;   in Loop: Header=BB140_41 Depth=1
	s_or_b64 exec, exec, s[14:15]
	v_lshlrev_b32_e32 v2, 16, v19
	v_mul_f32_e32 v2, v41, v2
	v_and_b32_e32 v3, 0x7f800000, v2
	v_cmp_ne_u32_e64 s[2:3], s20, v3
                                        ; implicit-def: $vgpr49
	s_and_saveexec_b64 s[14:15], s[2:3]
	s_xor_b64 s[2:3], exec, s[14:15]
; %bb.138:                              ;   in Loop: Header=BB140_41 Depth=1
	v_bfe_u32 v3, v2, 16, 1
	v_add3_u32 v49, v2, v3, s21
                                        ; implicit-def: $vgpr2
; %bb.139:                              ;   in Loop: Header=BB140_41 Depth=1
	s_andn2_saveexec_b64 s[14:15], s[2:3]
; %bb.140:                              ;   in Loop: Header=BB140_41 Depth=1
	v_or_b32_e32 v3, 0x10000, v2
	v_cmp_eq_u32_sdwa s[2:3], v2, v15 src0_sel:WORD_0 src1_sel:DWORD
	s_nop 1
	v_cndmask_b32_e64 v49, v3, v2, s[2:3]
; %bb.141:                              ;   in Loop: Header=BB140_41 Depth=1
	s_or_b64 exec, exec, s[14:15]
	global_load_dwordx4 v[2:5], v[8:9], off offset:2048
	s_waitcnt vmcnt(0)
	v_lshrrev_b32_e32 v9, 16, v2
	v_lshrrev_b32_e32 v51, 16, v3
	v_lshrrev_b32_e32 v53, 16, v4
	v_lshrrev_b32_e32 v19, 16, v5
	s_and_saveexec_b64 s[14:15], s[0:1]
	s_cbranch_execz .LBB140_143
; %bb.142:                              ;   in Loop: Header=BB140_41 Depth=1
	v_cmp_gt_i32_e64 s[2:3], s33, v33
	v_add_u32_e32 v8, -6, v23
	s_nop 0
	v_cndmask_b32_e64 v2, 0, v2, s[2:3]
	v_cmp_gt_i32_e64 s[2:3], s33, v8
	v_add_u32_e32 v8, -5, v23
	s_nop 0
	v_cndmask_b32_e64 v9, 0, v9, s[2:3]
	;; [unrolled: 4-line block ×6, first 2 shown]
	v_cmp_gt_i32_e64 s[2:3], s33, v8
	s_nop 1
	v_cndmask_b32_e64 v5, 0, v5, s[2:3]
	v_cmp_gt_i32_e64 s[2:3], s33, v23
	s_nop 1
	v_cndmask_b32_e64 v19, 0, v19, s[2:3]
.LBB140_143:                            ;   in Loop: Header=BB140_41 Depth=1
	s_or_b64 exec, exec, s[14:15]
	v_lshlrev_b32_e32 v2, 16, v2
	v_mul_f32_e32 v2, v34, v2
	v_and_b32_e32 v8, 0x7f800000, v2
	v_cmp_ne_u32_e64 s[2:3], s20, v8
                                        ; implicit-def: $vgpr8
	s_and_saveexec_b64 s[14:15], s[2:3]
	s_xor_b64 s[2:3], exec, s[14:15]
; %bb.144:                              ;   in Loop: Header=BB140_41 Depth=1
	v_bfe_u32 v8, v2, 16, 1
	v_add3_u32 v8, v2, v8, s21
                                        ; implicit-def: $vgpr2
; %bb.145:                              ;   in Loop: Header=BB140_41 Depth=1
	s_andn2_saveexec_b64 s[14:15], s[2:3]
; %bb.146:                              ;   in Loop: Header=BB140_41 Depth=1
	v_or_b32_e32 v8, 0x10000, v2
	v_cmp_eq_u32_sdwa s[2:3], v2, v15 src0_sel:WORD_0 src1_sel:DWORD
	s_nop 1
	v_cndmask_b32_e64 v8, v8, v2, s[2:3]
; %bb.147:                              ;   in Loop: Header=BB140_41 Depth=1
	s_or_b64 exec, exec, s[14:15]
	v_lshlrev_b32_e32 v2, 16, v9
	v_mul_f32_e32 v2, v35, v2
	v_and_b32_e32 v9, 0x7f800000, v2
	v_cmp_ne_u32_e64 s[2:3], s20, v9
                                        ; implicit-def: $vgpr9
	s_and_saveexec_b64 s[14:15], s[2:3]
	s_xor_b64 s[2:3], exec, s[14:15]
; %bb.148:                              ;   in Loop: Header=BB140_41 Depth=1
	v_bfe_u32 v9, v2, 16, 1
	v_add3_u32 v9, v2, v9, s21
                                        ; implicit-def: $vgpr2
; %bb.149:                              ;   in Loop: Header=BB140_41 Depth=1
	s_andn2_saveexec_b64 s[14:15], s[2:3]
; %bb.150:                              ;   in Loop: Header=BB140_41 Depth=1
	v_or_b32_e32 v9, 0x10000, v2
	v_cmp_eq_u32_sdwa s[2:3], v2, v15 src0_sel:WORD_0 src1_sel:DWORD
	s_nop 1
	v_cndmask_b32_e64 v9, v9, v2, s[2:3]
; %bb.151:                              ;   in Loop: Header=BB140_41 Depth=1
	s_or_b64 exec, exec, s[14:15]
	v_lshlrev_b32_e32 v2, 16, v3
	v_mul_f32_e32 v2, v36, v2
	v_and_b32_e32 v3, 0x7f800000, v2
	v_cmp_ne_u32_e64 s[2:3], s20, v3
                                        ; implicit-def: $vgpr50
	s_and_saveexec_b64 s[14:15], s[2:3]
	s_xor_b64 s[2:3], exec, s[14:15]
; %bb.152:                              ;   in Loop: Header=BB140_41 Depth=1
	v_bfe_u32 v3, v2, 16, 1
	v_add3_u32 v50, v2, v3, s21
                                        ; implicit-def: $vgpr2
; %bb.153:                              ;   in Loop: Header=BB140_41 Depth=1
	s_andn2_saveexec_b64 s[14:15], s[2:3]
; %bb.154:                              ;   in Loop: Header=BB140_41 Depth=1
	v_or_b32_e32 v3, 0x10000, v2
	v_cmp_eq_u32_sdwa s[2:3], v2, v15 src0_sel:WORD_0 src1_sel:DWORD
	s_nop 1
	v_cndmask_b32_e64 v50, v3, v2, s[2:3]
; %bb.155:                              ;   in Loop: Header=BB140_41 Depth=1
	s_or_b64 exec, exec, s[14:15]
	v_lshlrev_b32_e32 v2, 16, v51
	v_mul_f32_e32 v2, v37, v2
	v_and_b32_e32 v3, 0x7f800000, v2
	v_cmp_ne_u32_e64 s[2:3], s20, v3
                                        ; implicit-def: $vgpr51
	s_and_saveexec_b64 s[14:15], s[2:3]
	s_xor_b64 s[2:3], exec, s[14:15]
; %bb.156:                              ;   in Loop: Header=BB140_41 Depth=1
	v_bfe_u32 v3, v2, 16, 1
	v_add3_u32 v51, v2, v3, s21
                                        ; implicit-def: $vgpr2
; %bb.157:                              ;   in Loop: Header=BB140_41 Depth=1
	s_andn2_saveexec_b64 s[14:15], s[2:3]
; %bb.158:                              ;   in Loop: Header=BB140_41 Depth=1
	v_or_b32_e32 v3, 0x10000, v2
	v_cmp_eq_u32_sdwa s[2:3], v2, v15 src0_sel:WORD_0 src1_sel:DWORD
	s_nop 1
	v_cndmask_b32_e64 v51, v3, v2, s[2:3]
; %bb.159:                              ;   in Loop: Header=BB140_41 Depth=1
	s_or_b64 exec, exec, s[14:15]
	v_lshlrev_b32_e32 v2, 16, v4
	v_mul_f32_e32 v2, v38, v2
	v_and_b32_e32 v3, 0x7f800000, v2
	v_cmp_ne_u32_e64 s[2:3], s20, v3
                                        ; implicit-def: $vgpr52
	s_and_saveexec_b64 s[14:15], s[2:3]
	s_xor_b64 s[2:3], exec, s[14:15]
; %bb.160:                              ;   in Loop: Header=BB140_41 Depth=1
	v_bfe_u32 v3, v2, 16, 1
	v_add3_u32 v52, v2, v3, s21
                                        ; implicit-def: $vgpr2
; %bb.161:                              ;   in Loop: Header=BB140_41 Depth=1
	s_andn2_saveexec_b64 s[14:15], s[2:3]
; %bb.162:                              ;   in Loop: Header=BB140_41 Depth=1
	v_or_b32_e32 v3, 0x10000, v2
	v_cmp_eq_u32_sdwa s[2:3], v2, v15 src0_sel:WORD_0 src1_sel:DWORD
	s_nop 1
	v_cndmask_b32_e64 v52, v3, v2, s[2:3]
; %bb.163:                              ;   in Loop: Header=BB140_41 Depth=1
	s_or_b64 exec, exec, s[14:15]
	v_lshlrev_b32_e32 v2, 16, v53
	v_mul_f32_e32 v2, v39, v2
	v_and_b32_e32 v3, 0x7f800000, v2
	v_cmp_ne_u32_e64 s[2:3], s20, v3
                                        ; implicit-def: $vgpr53
	s_and_saveexec_b64 s[14:15], s[2:3]
	s_xor_b64 s[2:3], exec, s[14:15]
; %bb.164:                              ;   in Loop: Header=BB140_41 Depth=1
	v_bfe_u32 v3, v2, 16, 1
	v_add3_u32 v53, v2, v3, s21
                                        ; implicit-def: $vgpr2
; %bb.165:                              ;   in Loop: Header=BB140_41 Depth=1
	s_andn2_saveexec_b64 s[14:15], s[2:3]
; %bb.166:                              ;   in Loop: Header=BB140_41 Depth=1
	v_or_b32_e32 v3, 0x10000, v2
	v_cmp_eq_u32_sdwa s[2:3], v2, v15 src0_sel:WORD_0 src1_sel:DWORD
	s_nop 1
	v_cndmask_b32_e64 v53, v3, v2, s[2:3]
; %bb.167:                              ;   in Loop: Header=BB140_41 Depth=1
	s_or_b64 exec, exec, s[14:15]
	v_lshlrev_b32_e32 v2, 16, v5
	v_mul_f32_e32 v2, v40, v2
	v_and_b32_e32 v3, 0x7f800000, v2
	v_cmp_ne_u32_e64 s[2:3], s20, v3
                                        ; implicit-def: $vgpr54
	s_and_saveexec_b64 s[14:15], s[2:3]
	s_xor_b64 s[2:3], exec, s[14:15]
; %bb.168:                              ;   in Loop: Header=BB140_41 Depth=1
	v_bfe_u32 v3, v2, 16, 1
	v_add3_u32 v54, v2, v3, s21
                                        ; implicit-def: $vgpr2
; %bb.169:                              ;   in Loop: Header=BB140_41 Depth=1
	s_andn2_saveexec_b64 s[14:15], s[2:3]
; %bb.170:                              ;   in Loop: Header=BB140_41 Depth=1
	v_or_b32_e32 v3, 0x10000, v2
	v_cmp_eq_u32_sdwa s[2:3], v2, v15 src0_sel:WORD_0 src1_sel:DWORD
	s_nop 1
	v_cndmask_b32_e64 v54, v3, v2, s[2:3]
; %bb.171:                              ;   in Loop: Header=BB140_41 Depth=1
	s_or_b64 exec, exec, s[14:15]
	v_lshlrev_b32_e32 v2, 16, v19
	v_mul_f32_e32 v2, v41, v2
	v_and_b32_e32 v3, 0x7f800000, v2
	v_cmp_ne_u32_e64 s[2:3], s20, v3
                                        ; implicit-def: $vgpr55
	s_and_saveexec_b64 s[14:15], s[2:3]
	s_xor_b64 s[2:3], exec, s[14:15]
	s_cbranch_execnz .LBB140_174
; %bb.172:                              ;   in Loop: Header=BB140_41 Depth=1
	s_andn2_saveexec_b64 s[14:15], s[2:3]
	s_cbranch_execnz .LBB140_175
.LBB140_173:                            ;   in Loop: Header=BB140_41 Depth=1
	s_or_b64 exec, exec, s[14:15]
	s_and_saveexec_b64 s[2:3], vcc
	s_cbranch_execz .LBB140_40
	s_branch .LBB140_176
.LBB140_174:                            ;   in Loop: Header=BB140_41 Depth=1
	v_bfe_u32 v3, v2, 16, 1
	v_add3_u32 v55, v2, v3, s21
                                        ; implicit-def: $vgpr2
	s_andn2_saveexec_b64 s[14:15], s[2:3]
	s_cbranch_execz .LBB140_173
.LBB140_175:                            ;   in Loop: Header=BB140_41 Depth=1
	v_or_b32_e32 v3, 0x10000, v2
	v_cmp_eq_u32_sdwa s[2:3], v2, v15 src0_sel:WORD_0 src1_sel:DWORD
	s_nop 1
	v_cndmask_b32_e64 v55, v3, v2, s[2:3]
	s_or_b64 exec, exec, s[14:15]
	s_and_saveexec_b64 s[2:3], vcc
	s_cbranch_execz .LBB140_40
.LBB140_176:                            ;   in Loop: Header=BB140_41 Depth=1
	v_mov_b32_e32 v19, v15
	v_lshl_add_u64 v[2:3], v[6:7], 0, v[18:19]
	global_load_dwordx4 v[2:5], v[2:3], off
	s_waitcnt vmcnt(0)
	v_lshrrev_b32_e32 v7, 16, v2
	v_lshrrev_b32_e32 v56, 16, v3
	;; [unrolled: 1-line block ×4, first 2 shown]
	s_and_saveexec_b64 s[14:15], s[0:1]
	s_cbranch_execz .LBB140_178
; %bb.177:                              ;   in Loop: Header=BB140_41 Depth=1
	v_cmp_gt_i32_e64 s[0:1], s33, v33
	v_add_u32_e32 v33, -6, v23
	s_nop 0
	v_cndmask_b32_e64 v2, 0, v2, s[0:1]
	v_cmp_gt_i32_e64 s[0:1], s33, v33
	v_add_u32_e32 v33, -5, v23
	s_nop 0
	v_cndmask_b32_e64 v7, 0, v7, s[0:1]
	;; [unrolled: 4-line block ×6, first 2 shown]
	v_cmp_gt_i32_e64 s[0:1], s33, v33
	s_nop 1
	v_cndmask_b32_e64 v5, 0, v5, s[0:1]
	v_cmp_gt_i32_e64 s[0:1], s33, v23
	s_nop 1
	v_cndmask_b32_e64 v6, 0, v6, s[0:1]
.LBB140_178:                            ;   in Loop: Header=BB140_41 Depth=1
	s_or_b64 exec, exec, s[14:15]
	v_lshlrev_b32_e32 v2, 16, v2
	v_mul_f32_e32 v33, v34, v2
	v_and_b32_e32 v2, 0x7f800000, v33
	v_cmp_ne_u32_e64 s[0:1], s20, v2
                                        ; implicit-def: $vgpr2
	s_and_saveexec_b64 s[14:15], s[0:1]
	s_xor_b64 s[0:1], exec, s[14:15]
; %bb.179:                              ;   in Loop: Header=BB140_41 Depth=1
	v_bfe_u32 v2, v33, 16, 1
	v_add3_u32 v2, v33, v2, s21
                                        ; implicit-def: $vgpr33
; %bb.180:                              ;   in Loop: Header=BB140_41 Depth=1
	s_andn2_saveexec_b64 s[14:15], s[0:1]
; %bb.181:                              ;   in Loop: Header=BB140_41 Depth=1
	v_or_b32_e32 v2, 0x10000, v33
	v_cmp_eq_u32_sdwa s[0:1], v33, v15 src0_sel:WORD_0 src1_sel:DWORD
	s_nop 1
	v_cndmask_b32_e64 v2, v2, v33, s[0:1]
; %bb.182:                              ;   in Loop: Header=BB140_41 Depth=1
	s_or_b64 exec, exec, s[14:15]
	v_lshlrev_b32_e32 v7, 16, v7
	v_mul_f32_e32 v33, v35, v7
	v_and_b32_e32 v7, 0x7f800000, v33
	v_cmp_ne_u32_e64 s[0:1], s20, v7
                                        ; implicit-def: $vgpr7
	s_and_saveexec_b64 s[14:15], s[0:1]
	s_xor_b64 s[0:1], exec, s[14:15]
; %bb.183:                              ;   in Loop: Header=BB140_41 Depth=1
	v_bfe_u32 v7, v33, 16, 1
	v_add3_u32 v7, v33, v7, s21
                                        ; implicit-def: $vgpr33
; %bb.184:                              ;   in Loop: Header=BB140_41 Depth=1
	s_andn2_saveexec_b64 s[14:15], s[0:1]
; %bb.185:                              ;   in Loop: Header=BB140_41 Depth=1
	v_or_b32_e32 v7, 0x10000, v33
	v_cmp_eq_u32_sdwa s[0:1], v33, v15 src0_sel:WORD_0 src1_sel:DWORD
	s_nop 1
	v_cndmask_b32_e64 v7, v7, v33, s[0:1]
; %bb.186:                              ;   in Loop: Header=BB140_41 Depth=1
	s_or_b64 exec, exec, s[14:15]
	v_lshlrev_b32_e32 v3, 16, v3
	v_mul_f32_e32 v33, v36, v3
	v_and_b32_e32 v3, 0x7f800000, v33
	v_cmp_ne_u32_e64 s[0:1], s20, v3
                                        ; implicit-def: $vgpr3
	s_and_saveexec_b64 s[14:15], s[0:1]
	s_xor_b64 s[0:1], exec, s[14:15]
; %bb.187:                              ;   in Loop: Header=BB140_41 Depth=1
	v_bfe_u32 v3, v33, 16, 1
	v_add3_u32 v3, v33, v3, s21
                                        ; implicit-def: $vgpr33
; %bb.188:                              ;   in Loop: Header=BB140_41 Depth=1
	s_andn2_saveexec_b64 s[14:15], s[0:1]
; %bb.189:                              ;   in Loop: Header=BB140_41 Depth=1
	v_or_b32_e32 v3, 0x10000, v33
	v_cmp_eq_u32_sdwa s[0:1], v33, v15 src0_sel:WORD_0 src1_sel:DWORD
	s_nop 1
	v_cndmask_b32_e64 v3, v3, v33, s[0:1]
; %bb.190:                              ;   in Loop: Header=BB140_41 Depth=1
	s_or_b64 exec, exec, s[14:15]
	v_lshlrev_b32_e32 v33, 16, v56
	v_mul_f32_e32 v34, v37, v33
	v_and_b32_e32 v33, 0x7f800000, v34
	v_cmp_ne_u32_e64 s[0:1], s20, v33
                                        ; implicit-def: $vgpr33
	s_and_saveexec_b64 s[14:15], s[0:1]
	s_xor_b64 s[0:1], exec, s[14:15]
; %bb.191:                              ;   in Loop: Header=BB140_41 Depth=1
	v_bfe_u32 v33, v34, 16, 1
	v_add3_u32 v33, v34, v33, s21
                                        ; implicit-def: $vgpr34
; %bb.192:                              ;   in Loop: Header=BB140_41 Depth=1
	s_andn2_saveexec_b64 s[14:15], s[0:1]
; %bb.193:                              ;   in Loop: Header=BB140_41 Depth=1
	v_or_b32_e32 v33, 0x10000, v34
	v_cmp_eq_u32_sdwa s[0:1], v34, v15 src0_sel:WORD_0 src1_sel:DWORD
	s_nop 1
	v_cndmask_b32_e64 v33, v33, v34, s[0:1]
; %bb.194:                              ;   in Loop: Header=BB140_41 Depth=1
	s_or_b64 exec, exec, s[14:15]
	v_lshlrev_b32_e32 v4, 16, v4
	v_mul_f32_e32 v34, v38, v4
	v_and_b32_e32 v4, 0x7f800000, v34
	v_cmp_ne_u32_e64 s[0:1], s20, v4
                                        ; implicit-def: $vgpr4
	s_and_saveexec_b64 s[14:15], s[0:1]
	s_xor_b64 s[0:1], exec, s[14:15]
; %bb.195:                              ;   in Loop: Header=BB140_41 Depth=1
	v_bfe_u32 v4, v34, 16, 1
	v_add3_u32 v4, v34, v4, s21
                                        ; implicit-def: $vgpr34
; %bb.196:                              ;   in Loop: Header=BB140_41 Depth=1
	s_andn2_saveexec_b64 s[14:15], s[0:1]
; %bb.197:                              ;   in Loop: Header=BB140_41 Depth=1
	v_or_b32_e32 v4, 0x10000, v34
	v_cmp_eq_u32_sdwa s[0:1], v34, v15 src0_sel:WORD_0 src1_sel:DWORD
	s_nop 1
	v_cndmask_b32_e64 v4, v4, v34, s[0:1]
; %bb.198:                              ;   in Loop: Header=BB140_41 Depth=1
	s_or_b64 exec, exec, s[14:15]
	v_lshlrev_b32_e32 v19, 16, v19
	v_mul_f32_e32 v34, v39, v19
	v_and_b32_e32 v19, 0x7f800000, v34
	v_cmp_ne_u32_e64 s[0:1], s20, v19
                                        ; implicit-def: $vgpr19
	s_and_saveexec_b64 s[14:15], s[0:1]
	s_xor_b64 s[0:1], exec, s[14:15]
; %bb.199:                              ;   in Loop: Header=BB140_41 Depth=1
	v_bfe_u32 v19, v34, 16, 1
	v_add3_u32 v19, v34, v19, s21
                                        ; implicit-def: $vgpr34
; %bb.200:                              ;   in Loop: Header=BB140_41 Depth=1
	s_andn2_saveexec_b64 s[14:15], s[0:1]
; %bb.201:                              ;   in Loop: Header=BB140_41 Depth=1
	v_or_b32_e32 v19, 0x10000, v34
	v_cmp_eq_u32_sdwa s[0:1], v34, v15 src0_sel:WORD_0 src1_sel:DWORD
	s_nop 1
	v_cndmask_b32_e64 v19, v19, v34, s[0:1]
; %bb.202:                              ;   in Loop: Header=BB140_41 Depth=1
	s_or_b64 exec, exec, s[14:15]
	v_lshlrev_b32_e32 v5, 16, v5
	v_mul_f32_e32 v34, v40, v5
	v_and_b32_e32 v5, 0x7f800000, v34
	v_cmp_ne_u32_e64 s[0:1], s20, v5
                                        ; implicit-def: $vgpr5
	s_and_saveexec_b64 s[14:15], s[0:1]
	s_xor_b64 s[0:1], exec, s[14:15]
; %bb.203:                              ;   in Loop: Header=BB140_41 Depth=1
	v_bfe_u32 v5, v34, 16, 1
	v_add3_u32 v5, v34, v5, s21
                                        ; implicit-def: $vgpr34
; %bb.204:                              ;   in Loop: Header=BB140_41 Depth=1
	s_andn2_saveexec_b64 s[14:15], s[0:1]
; %bb.205:                              ;   in Loop: Header=BB140_41 Depth=1
	v_or_b32_e32 v5, 0x10000, v34
	v_cmp_eq_u32_sdwa s[0:1], v34, v15 src0_sel:WORD_0 src1_sel:DWORD
	s_nop 1
	v_cndmask_b32_e64 v5, v5, v34, s[0:1]
; %bb.206:                              ;   in Loop: Header=BB140_41 Depth=1
	s_or_b64 exec, exec, s[14:15]
	v_lshlrev_b32_e32 v6, 16, v6
	v_mul_f32_e32 v6, v41, v6
	v_and_b32_e32 v34, 0x7f800000, v6
	v_cmp_ne_u32_e64 s[0:1], s20, v34
                                        ; implicit-def: $vgpr34
	s_and_saveexec_b64 s[14:15], s[0:1]
	s_xor_b64 s[0:1], exec, s[14:15]
; %bb.207:                              ;   in Loop: Header=BB140_41 Depth=1
	v_bfe_u32 v34, v6, 16, 1
	v_add3_u32 v34, v6, v34, s21
                                        ; implicit-def: $vgpr6
; %bb.208:                              ;   in Loop: Header=BB140_41 Depth=1
	s_andn2_saveexec_b64 s[14:15], s[0:1]
	s_cbranch_execz .LBB140_39
; %bb.209:                              ;   in Loop: Header=BB140_41 Depth=1
	v_or_b32_e32 v34, 0x10000, v6
	v_cmp_eq_u32_sdwa s[0:1], v6, v15 src0_sel:WORD_0 src1_sel:DWORD
	s_nop 1
	v_cndmask_b32_e64 v34, v34, v6, s[0:1]
	s_branch .LBB140_39
.LBB140_210:
	s_or_b64 exec, exec, s[12:13]
.LBB140_211:
	s_or_b64 exec, exec, s[8:9]
	ds_bpermute_b32 v2, v20, v12
	ds_bpermute_b32 v3, v20, v13
	;; [unrolled: 1-line block ×4, first 2 shown]
	v_and_b32_e32 v1, 0x3c0, v0
	v_cmp_eq_u32_e32 vcc, 64, v1
	s_waitcnt lgkmcnt(2)
	v_pk_add_f32 v[4:5], v[12:13], v[2:3]
	s_waitcnt lgkmcnt(0)
	v_pk_add_f32 v[2:3], v[10:11], v[6:7]
	s_barrier
	s_and_saveexec_b64 s[2:3], vcc
	s_cbranch_execz .LBB140_216
; %bb.212:
	v_cmp_eq_u32_e32 vcc, 0, v21
	s_and_saveexec_b64 s[0:1], vcc
	s_cbranch_execz .LBB140_214
; %bb.213:
	v_mov_b32_e32 v1, 0x100
	v_lshl_add_u32 v1, v22, 2, v1
	ds_write2_b32 v1, v4, v5 offset1:32
	ds_write_b32 v1, v2 offset:256
.LBB140_214:
	s_or_b64 exec, exec, s[0:1]
	v_or_b32_e32 v1, 0x60, v22
	s_movk_i32 s0, 0x78
	v_cmp_gt_u32_e64 s[0:1], s0, v1
	s_and_b64 s[0:1], vcc, s[0:1]
	s_and_b64 exec, exec, s[0:1]
	s_cbranch_execz .LBB140_216
; %bb.215:
	v_mov_b32_e32 v1, 0x100
	v_lshl_add_u32 v1, v22, 2, v1
	ds_write_b32 v1, v3 offset:384
.LBB140_216:
	s_or_b64 exec, exec, s[2:3]
	v_cmp_gt_u32_e32 vcc, 64, v0
	v_lshrrev_b32_e32 v6, 1, v0
	s_waitcnt lgkmcnt(0)
	s_barrier
	s_and_saveexec_b64 s[6:7], vcc
	s_cbranch_execz .LBB140_224
; %bb.217:
	v_cmp_eq_u32_e64 s[0:1], 0, v21
	s_and_saveexec_b64 s[2:3], s[0:1]
	s_cbranch_execnz .LBB140_246
; %bb.218:
	s_or_b64 exec, exec, s[2:3]
	s_and_saveexec_b64 s[2:3], s[0:1]
	s_cbranch_execnz .LBB140_247
.LBB140_219:
	s_or_b64 exec, exec, s[2:3]
	s_and_saveexec_b64 s[2:3], s[0:1]
	s_cbranch_execz .LBB140_221
.LBB140_220:
	v_mov_b32_e32 v0, 0x100
	v_lshl_add_u32 v0, v6, 2, v0
	ds_read_b32 v0, v0 offset:256
	s_waitcnt lgkmcnt(0)
	v_add_f32_e32 v2, v2, v0
.LBB140_221:
	s_or_b64 exec, exec, s[2:3]
	v_or_b32_e32 v0, 0x60, v6
	s_movk_i32 s2, 0x78
	v_cmp_gt_u32_e64 s[2:3], s2, v0
	s_and_b64 s[2:3], s[0:1], s[2:3]
	s_and_saveexec_b64 s[0:1], s[2:3]
	s_cbranch_execz .LBB140_223
; %bb.222:
	v_mov_b32_e32 v0, 0x100
	v_lshl_add_u32 v0, v6, 2, v0
	ds_read_b32 v0, v0 offset:384
	s_waitcnt lgkmcnt(0)
	v_add_f32_e32 v3, v3, v0
.LBB140_223:
	s_or_b64 exec, exec, s[0:1]
.LBB140_224:
	s_or_b64 exec, exec, s[6:7]
	s_barrier
	s_and_saveexec_b64 s[0:1], vcc
	s_cbranch_execz .LBB140_245
; %bb.225:
	s_mul_i32 s0, s10, s11
	s_mul_i32 s0, s0, s5
	s_mulk_i32 s0, 0x78
	s_ashr_i32 s1, s0, 31
	s_lshl_b64 s[0:1], s[0:1], 1
	s_add_u32 s2, s18, s0
	s_mul_i32 s0, s11, s16
	s_addc_u32 s3, s19, s1
	s_ashr_i32 s1, s0, 31
	s_lshl_b64 s[0:1], s[0:1], 1
	s_add_u32 s2, s2, s0
	s_mul_i32 s0, s4, 0x78
	s_addc_u32 s3, s3, s1
	s_ashr_i32 s1, s0, 31
	s_lshl_b64 s[0:1], s[0:1], 1
	s_add_u32 s2, s2, s0
	s_addc_u32 s3, s3, s1
	v_cmp_eq_u32_e32 vcc, 0, v21
	s_and_saveexec_b64 s[4:5], vcc
	s_cbranch_execz .LBB140_239
; %bb.226:
	s_mov_b32 s0, 0x7f800000
	v_and_b32_e32 v0, 0x7f800000, v4
	v_cmp_ne_u32_e64 s[0:1], s0, v0
                                        ; implicit-def: $vgpr7
	s_and_saveexec_b64 s[6:7], s[0:1]
	s_xor_b64 s[0:1], exec, s[6:7]
; %bb.227:
	v_bfe_u32 v0, v4, 16, 1
	s_movk_i32 s6, 0x7fff
	v_add3_u32 v7, v4, v0, s6
; %bb.228:
	s_andn2_saveexec_b64 s[6:7], s[0:1]
; %bb.229:
	v_mov_b32_e32 v0, 0
	v_or_b32_e32 v1, 0x10000, v4
	v_cmp_eq_u32_sdwa s[0:1], v4, v0 src0_sel:WORD_0 src1_sel:DWORD
	s_nop 1
	v_cndmask_b32_e64 v7, v1, v4, s[0:1]
; %bb.230:
	s_or_b64 exec, exec, s[6:7]
	s_mov_b32 s0, 0x7f800000
	v_and_b32_e32 v4, 0x7f800000, v5
	v_lshlrev_b32_e32 v0, 1, v6
	v_mov_b32_e32 v1, 0
	v_cmp_ne_u32_e64 s[0:1], s0, v4
	global_store_short_d16_hi v0, v7, s[2:3]
                                        ; implicit-def: $vgpr4
	s_and_saveexec_b64 s[6:7], s[0:1]
	s_xor_b64 s[0:1], exec, s[6:7]
; %bb.231:
	v_bfe_u32 v4, v5, 16, 1
	s_movk_i32 s6, 0x7fff
	v_add3_u32 v4, v5, v4, s6
; %bb.232:
	s_or_saveexec_b64 s[6:7], s[0:1]
	v_lshl_add_u64 v[0:1], s[2:3], 0, v[0:1]
	s_xor_b64 exec, exec, s[6:7]
; %bb.233:
	v_mov_b32_e32 v4, 0
	v_or_b32_e32 v7, 0x10000, v5
	v_cmp_eq_u32_sdwa s[0:1], v5, v4 src0_sel:WORD_0 src1_sel:DWORD
	s_nop 1
	v_cndmask_b32_e64 v4, v7, v5, s[0:1]
; %bb.234:
	s_or_b64 exec, exec, s[6:7]
	global_store_short_d16_hi v[0:1], v4, off offset:64
	s_mov_b32 s0, 0x7f800000
	v_and_b32_e32 v4, 0x7f800000, v2
	v_cmp_ne_u32_e64 s[0:1], s0, v4
                                        ; implicit-def: $vgpr4
	s_and_saveexec_b64 s[6:7], s[0:1]
	s_xor_b64 s[0:1], exec, s[6:7]
; %bb.235:
	v_bfe_u32 v4, v2, 16, 1
	s_movk_i32 s6, 0x7fff
	v_add3_u32 v4, v2, v4, s6
; %bb.236:
	s_andn2_saveexec_b64 s[6:7], s[0:1]
; %bb.237:
	v_mov_b32_e32 v4, 0
	v_or_b32_e32 v5, 0x10000, v2
	v_cmp_eq_u32_sdwa s[0:1], v2, v4 src0_sel:WORD_0 src1_sel:DWORD
	s_nop 1
	v_cndmask_b32_e64 v4, v5, v2, s[0:1]
; %bb.238:
	s_or_b64 exec, exec, s[6:7]
	global_store_short_d16_hi v[0:1], v4, off offset:128
.LBB140_239:
	s_or_b64 exec, exec, s[4:5]
	v_or_b32_e32 v0, 0x60, v6
	s_movk_i32 s0, 0x78
	v_cmp_gt_u32_e64 s[0:1], s0, v0
	s_and_b64 s[0:1], vcc, s[0:1]
	s_and_b64 exec, exec, s[0:1]
	s_cbranch_execz .LBB140_245
; %bb.240:
	s_mov_b32 s0, 0x7f800000
	v_and_b32_e32 v0, 0x7f800000, v3
	v_cmp_ne_u32_e32 vcc, s0, v0
                                        ; implicit-def: $vgpr4
	s_and_saveexec_b64 s[0:1], vcc
	s_xor_b64 s[0:1], exec, s[0:1]
; %bb.241:
	v_bfe_u32 v0, v3, 16, 1
	s_movk_i32 s4, 0x7fff
	v_add3_u32 v4, v3, v0, s4
                                        ; implicit-def: $vgpr0_vgpr1_vgpr2_vgpr3
; %bb.242:
	s_andn2_saveexec_b64 s[0:1], s[0:1]
; %bb.243:
	v_mov_b32_e32 v0, 0
	v_or_b32_e32 v1, 0x10000, v3
	v_cmp_eq_u32_sdwa vcc, v3, v0 src0_sel:WORD_0 src1_sel:DWORD
	s_nop 1
	v_cndmask_b32_e32 v4, v1, v3, vcc
; %bb.244:
	s_or_b64 exec, exec, s[0:1]
	v_lshlrev_b32_e32 v0, 1, v6
	global_store_short_d16_hi v0, v4, s[2:3] offset:192
.LBB140_245:
	s_endpgm
.LBB140_246:
	v_mov_b32_e32 v0, 0x100
	v_lshl_add_u32 v0, v6, 2, v0
	ds_read_b32 v0, v0
	s_waitcnt lgkmcnt(0)
	v_add_f32_e32 v4, v4, v0
	s_or_b64 exec, exec, s[2:3]
	s_and_saveexec_b64 s[2:3], s[0:1]
	s_cbranch_execz .LBB140_219
.LBB140_247:
	v_mov_b32_e32 v0, 0x100
	v_lshl_add_u32 v0, v6, 2, v0
	ds_read_b32 v0, v0 offset:128
	s_waitcnt lgkmcnt(0)
	v_add_f32_e32 v5, v5, v0
	s_or_b64 exec, exec, s[2:3]
	s_and_saveexec_b64 s[2:3], s[0:1]
	s_cbranch_execnz .LBB140_220
	s_branch .LBB140_221
	.section	.rodata,"a",@progbits
	.p2align	6, 0x0
	.amdhsa_kernel _ZN4vllm25paged_attention_v1_kernelI14__hip_bfloat16S1_Li120ELi16ELi128ELNS_18Fp8KVCacheDataTypeE0ELb0EEEvPT_PKS3_PKT0_S9_ifPKiSB_iPKfiiiSD_SD_iiiii
		.amdhsa_group_segment_fixed_size 256
		.amdhsa_private_segment_fixed_size 0
		.amdhsa_kernarg_size 384
		.amdhsa_user_sgpr_count 2
		.amdhsa_user_sgpr_dispatch_ptr 0
		.amdhsa_user_sgpr_queue_ptr 0
		.amdhsa_user_sgpr_kernarg_segment_ptr 1
		.amdhsa_user_sgpr_dispatch_id 0
		.amdhsa_user_sgpr_kernarg_preload_length 0
		.amdhsa_user_sgpr_kernarg_preload_offset 0
		.amdhsa_user_sgpr_private_segment_size 0
		.amdhsa_uses_dynamic_stack 0
		.amdhsa_enable_private_segment 0
		.amdhsa_system_sgpr_workgroup_id_x 1
		.amdhsa_system_sgpr_workgroup_id_y 1
		.amdhsa_system_sgpr_workgroup_id_z 1
		.amdhsa_system_sgpr_workgroup_info 0
		.amdhsa_system_vgpr_workitem_id 0
		.amdhsa_next_free_vgpr 62
		.amdhsa_next_free_sgpr 34
		.amdhsa_accum_offset 64
		.amdhsa_reserve_vcc 1
		.amdhsa_float_round_mode_32 0
		.amdhsa_float_round_mode_16_64 0
		.amdhsa_float_denorm_mode_32 3
		.amdhsa_float_denorm_mode_16_64 3
		.amdhsa_dx10_clamp 1
		.amdhsa_ieee_mode 1
		.amdhsa_fp16_overflow 0
		.amdhsa_tg_split 0
		.amdhsa_exception_fp_ieee_invalid_op 0
		.amdhsa_exception_fp_denorm_src 0
		.amdhsa_exception_fp_ieee_div_zero 0
		.amdhsa_exception_fp_ieee_overflow 0
		.amdhsa_exception_fp_ieee_underflow 0
		.amdhsa_exception_fp_ieee_inexact 0
		.amdhsa_exception_int_div_zero 0
	.end_amdhsa_kernel
	.section	.text._ZN4vllm25paged_attention_v1_kernelI14__hip_bfloat16S1_Li120ELi16ELi128ELNS_18Fp8KVCacheDataTypeE0ELb0EEEvPT_PKS3_PKT0_S9_ifPKiSB_iPKfiiiSD_SD_iiiii,"axG",@progbits,_ZN4vllm25paged_attention_v1_kernelI14__hip_bfloat16S1_Li120ELi16ELi128ELNS_18Fp8KVCacheDataTypeE0ELb0EEEvPT_PKS3_PKT0_S9_ifPKiSB_iPKfiiiSD_SD_iiiii,comdat
.Lfunc_end140:
	.size	_ZN4vllm25paged_attention_v1_kernelI14__hip_bfloat16S1_Li120ELi16ELi128ELNS_18Fp8KVCacheDataTypeE0ELb0EEEvPT_PKS3_PKT0_S9_ifPKiSB_iPKfiiiSD_SD_iiiii, .Lfunc_end140-_ZN4vllm25paged_attention_v1_kernelI14__hip_bfloat16S1_Li120ELi16ELi128ELNS_18Fp8KVCacheDataTypeE0ELb0EEEvPT_PKS3_PKT0_S9_ifPKiSB_iPKfiiiSD_SD_iiiii
                                        ; -- End function
	.section	.AMDGPU.csdata,"",@progbits
; Kernel info:
; codeLenInByte = 9120
; NumSgprs: 40
; NumVgprs: 62
; NumAgprs: 0
; TotalNumVgprs: 62
; ScratchSize: 0
; MemoryBound: 0
; FloatMode: 240
; IeeeMode: 1
; LDSByteSize: 256 bytes/workgroup (compile time only)
; SGPRBlocks: 4
; VGPRBlocks: 7
; NumSGPRsForWavesPerEU: 40
; NumVGPRsForWavesPerEU: 62
; AccumOffset: 64
; Occupancy: 8
; WaveLimiterHint : 1
; COMPUTE_PGM_RSRC2:SCRATCH_EN: 0
; COMPUTE_PGM_RSRC2:USER_SGPR: 2
; COMPUTE_PGM_RSRC2:TRAP_HANDLER: 0
; COMPUTE_PGM_RSRC2:TGID_X_EN: 1
; COMPUTE_PGM_RSRC2:TGID_Y_EN: 1
; COMPUTE_PGM_RSRC2:TGID_Z_EN: 1
; COMPUTE_PGM_RSRC2:TIDIG_COMP_CNT: 0
; COMPUTE_PGM_RSRC3_GFX90A:ACCUM_OFFSET: 15
; COMPUTE_PGM_RSRC3_GFX90A:TG_SPLIT: 0
	.section	.text._ZN4vllm25paged_attention_v1_kernelI14__hip_bfloat16S1_Li128ELi16ELi128ELNS_18Fp8KVCacheDataTypeE0ELb0EEEvPT_PKS3_PKT0_S9_ifPKiSB_iPKfiiiSD_SD_iiiii,"axG",@progbits,_ZN4vllm25paged_attention_v1_kernelI14__hip_bfloat16S1_Li128ELi16ELi128ELNS_18Fp8KVCacheDataTypeE0ELb0EEEvPT_PKS3_PKT0_S9_ifPKiSB_iPKfiiiSD_SD_iiiii,comdat
	.protected	_ZN4vllm25paged_attention_v1_kernelI14__hip_bfloat16S1_Li128ELi16ELi128ELNS_18Fp8KVCacheDataTypeE0ELb0EEEvPT_PKS3_PKT0_S9_ifPKiSB_iPKfiiiSD_SD_iiiii ; -- Begin function _ZN4vllm25paged_attention_v1_kernelI14__hip_bfloat16S1_Li128ELi16ELi128ELNS_18Fp8KVCacheDataTypeE0ELb0EEEvPT_PKS3_PKT0_S9_ifPKiSB_iPKfiiiSD_SD_iiiii
	.globl	_ZN4vllm25paged_attention_v1_kernelI14__hip_bfloat16S1_Li128ELi16ELi128ELNS_18Fp8KVCacheDataTypeE0ELb0EEEvPT_PKS3_PKT0_S9_ifPKiSB_iPKfiiiSD_SD_iiiii
	.p2align	8
	.type	_ZN4vllm25paged_attention_v1_kernelI14__hip_bfloat16S1_Li128ELi16ELi128ELNS_18Fp8KVCacheDataTypeE0ELb0EEEvPT_PKS3_PKT0_S9_ifPKiSB_iPKfiiiSD_SD_iiiii,@function
_ZN4vllm25paged_attention_v1_kernelI14__hip_bfloat16S1_Li128ELi16ELi128ELNS_18Fp8KVCacheDataTypeE0ELb0EEEvPT_PKS3_PKT0_S9_ifPKiSB_iPKfiiiSD_SD_iiiii: ; @_ZN4vllm25paged_attention_v1_kernelI14__hip_bfloat16S1_Li128ELi16ELi128ELNS_18Fp8KVCacheDataTypeE0ELb0EEEvPT_PKS3_PKT0_S9_ifPKiSB_iPKfiiiSD_SD_iiiii
; %bb.0:
	s_load_dword s5, s[0:1], 0x80
	s_load_dwordx2 s[6:7], s[0:1], 0x30
	s_load_dwordx2 s[10:11], s[0:1], 0x20
	s_mov_b32 s16, s3
	s_ashr_i32 s17, s3, 31
	s_lshl_b64 s[8:9], s[16:17], 2
	s_waitcnt lgkmcnt(0)
	s_add_u32 s6, s6, s8
	s_addc_u32 s7, s7, s9
	s_abs_i32 s3, s10
	v_cvt_f32_u32_e32 v1, s3
	s_xor_b32 s8, s5, s10
	s_sub_i32 s10, 0, s3
	s_abs_i32 s9, s5
	v_rcp_iflag_f32_e32 v1, v1
	s_ashr_i32 s8, s8, 31
	v_mul_f32_e32 v1, 0x4f7ffffe, v1
	v_cvt_u32_f32_e32 v1, v1
	s_nop 0
	v_readfirstlane_b32 s12, v1
	s_mul_i32 s10, s10, s12
	s_mul_hi_u32 s10, s12, s10
	s_add_i32 s12, s12, s10
	s_mul_hi_u32 s10, s9, s12
	s_mul_i32 s12, s10, s3
	s_sub_i32 s9, s9, s12
	s_add_i32 s12, s10, 1
	s_sub_i32 s13, s9, s3
	s_cmp_ge_u32 s9, s3
	s_cselect_b32 s10, s12, s10
	s_cselect_b32 s9, s13, s9
	s_add_i32 s12, s10, 1
	s_cmp_ge_u32 s9, s3
	s_cselect_b32 s3, s12, s10
	s_xor_b32 s3, s3, s8
	s_sub_i32 s18, s3, s8
	s_abs_i32 s20, s18
	v_cvt_f32_u32_e32 v1, s20
	s_load_dwordx2 s[8:9], s[0:1], 0x40
	s_sub_i32 s3, 0, s20
	s_abs_i32 s21, s2
	v_rcp_iflag_f32_e32 v1, v1
	s_mov_b32 s10, 0
	v_mul_f32_e32 v1, 0x4f7ffffe, v1
	v_cvt_u32_f32_e32 v1, v1
	s_nop 0
	v_readfirstlane_b32 s12, v1
	s_mul_i32 s3, s3, s12
	s_mul_hi_u32 s3, s12, s3
	s_add_i32 s12, s12, s3
	s_waitcnt lgkmcnt(0)
	s_cmp_eq_u64 s[8:9], 0
	s_mul_hi_u32 s24, s21, s12
	s_cbranch_scc1 .LBB141_2
; %bb.1:
	s_ashr_i32 s3, s2, 31
	s_lshl_b64 s[12:13], s[2:3], 2
	s_add_u32 s8, s8, s12
	s_addc_u32 s9, s9, s13
	s_load_dword s10, s[8:9], 0x0
.LBB141_2:
	s_load_dword s17, s[6:7], 0x0
	s_load_dwordx4 s[12:15], s[0:1], 0x48
	s_ashr_i32 s8, s2, 31
	s_ashr_i32 s9, s18, 31
	v_and_b32_e32 v4, 3, v0
	s_lshl_b32 s18, s2, 7
	v_cmp_gt_u32_e64 s[6:7], 64, v0
	s_and_saveexec_b64 s[2:3], s[6:7]
	s_cbranch_execz .LBB141_4
; %bb.3:
	s_load_dwordx2 s[22:23], s[0:1], 0x8
	s_waitcnt lgkmcnt(0)
	s_mul_i32 s26, s16, s12
	s_ashr_i32 s27, s26, 31
	s_lshl_b64 s[26:27], s[26:27], 1
	v_lshlrev_b32_e32 v1, 2, v0
	s_add_u32 s12, s22, s26
	s_addc_u32 s15, s23, s27
	s_ashr_i32 s19, s18, 31
	s_lshl_b64 s[22:23], s[18:19], 1
	s_add_u32 s22, s12, s22
	s_addc_u32 s23, s15, s23
	global_load_dword v1, v1, s[22:23]
	v_and_b32_e32 v2, 0x3fc, v0
	v_lshl_add_u32 v2, v4, 6, v2
	s_waitcnt vmcnt(0)
	ds_write_b32 v2, v1
.LBB141_4:
	s_or_b64 exec, exec, s[2:3]
	s_waitcnt lgkmcnt(0)
	s_add_i32 s3, s17, 15
	s_ashr_i32 s12, s3, 31
	s_lshr_b32 s12, s12, 28
	s_add_i32 s3, s3, s12
	s_ashr_i32 s19, s3, 4
	s_xor_b32 s3, s8, s9
	s_mul_i32 s8, s24, s20
	s_sub_i32 s8, s21, s8
	s_add_i32 s9, s24, 1
	s_sub_i32 s12, s8, s20
	s_load_dwordx2 s[22:23], s[0:1], 0x28
	s_load_dword s2, s[0:1], 0x38
	s_cmp_ge_u32 s8, s20
	s_cselect_b32 s9, s9, s24
	s_cselect_b32 s8, s12, s8
	s_add_i32 s12, s9, 1
	s_cmp_ge_u32 s8, s20
	s_cselect_b32 s8, s12, s9
	v_lshrrev_b32_e32 v1, 6, v0
	s_xor_b32 s8, s8, s3
	s_waitcnt lgkmcnt(0)
	s_mul_i32 s24, s16, s2
	s_sub_i32 s15, s8, s3
	s_ashr_i32 s25, s24, 31
	v_cmp_gt_i32_e64 s[2:3], s19, v1
	v_cmp_le_i32_e32 vcc, s19, v1
	v_mbcnt_lo_u32_b32 v5, -1, 0
	s_barrier
	s_waitcnt lgkmcnt(0)
                                        ; implicit-def: $sgpr30
                                        ; implicit-def: $vgpr7
                                        ; implicit-def: $vgpr8
	s_and_saveexec_b64 s[8:9], vcc
	s_xor_b64 s[8:9], exec, s[8:9]
; %bb.5:
	v_mbcnt_hi_u32_b32 v7, -1, v5
	v_and_b32_e32 v2, 64, v7
	v_add_u32_e32 v8, 64, v2
	s_mov_b32 s30, 0xff7fffff
                                        ; implicit-def: $vgpr4
                                        ; implicit-def: $vgpr5
; %bb.6:
	s_or_saveexec_b64 s[28:29], s[8:9]
	s_load_dwordx2 s[20:21], s[0:1], 0x0
	s_load_dwordx2 s[26:27], s[0:1], 0x18
	s_load_dword s12, s[0:1], 0x88
	v_mov_b32_e32 v38, s30
	s_mul_i32 s14, s15, s14
	v_lshrrev_b32_e32 v6, 4, v0
	s_xor_b64 exec, exec, s[28:29]
	s_cbranch_execz .LBB141_12
; %bb.7:
	s_load_dwordx2 s[0:1], s[0:1], 0x10
	s_ashr_i32 s15, s14, 31
	s_lshl_b64 s[8:9], s[14:15], 1
	v_bfe_u32 v45, v0, 2, 4
	v_lshlrev_b32_e32 v46, 4, v45
	s_waitcnt lgkmcnt(0)
	s_add_u32 s0, s0, s8
	s_addc_u32 s1, s1, s9
	v_mov_b32_e32 v47, 0
	v_lshlrev_b32_e32 v7, 2, v0
	v_lshl_add_u64 v[2:3], s[0:1], 0, v[46:47]
	v_and_b32_e32 v46, 12, v7
	v_lshlrev_b32_e32 v7, 6, v4
	ds_read_b128 v[14:17], v7
	ds_read_b128 v[22:25], v7 offset:16
	ds_read_b128 v[30:33], v7 offset:32
	ds_read_b128 v[38:41], v7 offset:48
	v_mbcnt_hi_u32_b32 v7, -1, v5
	v_and_b32_e32 v5, 64, v7
	v_add_u32_e32 v8, 64, v5
	v_xor_b32_e32 v5, 2, v7
	v_cmp_lt_i32_e32 vcc, v5, v8
	s_sub_i32 s15, 1, s17
	s_lshl_b64 s[8:9], s[24:25], 2
	v_cndmask_b32_e32 v5, v7, v5, vcc
	v_lshlrev_b32_e32 v42, 2, v5
	v_xor_b32_e32 v5, 1, v7
	v_cmp_lt_i32_e32 vcc, v5, v8
	s_add_u32 s8, s22, s8
	v_lshl_add_u64 v[2:3], v[2:3], 0, v[46:47]
	v_cndmask_b32_e32 v5, v7, v5, vcc
	v_cmp_eq_u32_e32 vcc, 0, v4
	v_lshlrev_b32_e32 v4, 2, v45
	v_lshl_or_b32 v4, v1, 6, v4
	v_and_b32_e32 v46, 60, v6
	s_addc_u32 s9, s23, s9
	s_mov_b32 s33, s13
	s_waitcnt lgkmcnt(3)
	v_lshlrev_b32_e32 v9, 16, v14
	v_and_b32_e32 v10, 0xffff0000, v14
	v_lshlrev_b32_e32 v11, 16, v15
	v_and_b32_e32 v12, 0xffff0000, v15
	v_lshlrev_b32_e32 v13, 16, v16
	v_and_b32_e32 v14, 0xffff0000, v16
	v_lshlrev_b32_e32 v15, 16, v17
	v_and_b32_e32 v16, 0xffff0000, v17
	s_waitcnt lgkmcnt(2)
	v_lshlrev_b32_e32 v17, 16, v22
	v_and_b32_e32 v18, 0xffff0000, v22
	v_lshlrev_b32_e32 v19, 16, v23
	v_and_b32_e32 v20, 0xffff0000, v23
	v_lshlrev_b32_e32 v21, 16, v24
	v_and_b32_e32 v22, 0xffff0000, v24
	v_lshlrev_b32_e32 v23, 16, v25
	v_and_b32_e32 v24, 0xffff0000, v25
	;; [unrolled: 9-line block ×4, first 2 shown]
	v_lshlrev_b32_e32 v43, 2, v5
	v_cmp_neq_f32_e64 s[0:1], s10, 0
	v_lshl_or_b32 v44, v1, 4, v45
	v_add_u32_e32 v45, 0x110, v4
	v_lshl_add_u64 v[4:5], s[8:9], 0, v[46:47]
	s_mov_b64 s[30:31], 0
	v_mov_b32_e32 v38, 0xff7fffff
	v_mov_b32_e32 v46, v1
	s_branch .LBB141_9
.LBB141_8:                              ;   in Loop: Header=BB141_9 Depth=1
	s_or_b64 exec, exec, s[34:35]
	v_add_u32_e32 v46, 2, v46
	v_cmp_le_i32_e64 s[8:9], s19, v46
	v_add_u32_e32 v44, 32, v44
	v_add_u32_e32 v45, 0x80, v45
	s_or_b64 s[30:31], s[8:9], s[30:31]
	v_lshl_add_u64 v[4:5], v[4:5], 0, 8
	s_andn2_b64 exec, exec, s[30:31]
	s_cbranch_execz .LBB141_11
.LBB141_9:                              ; =>This Inner Loop Header: Depth=1
	global_load_dword v47, v[4:5], off
	s_waitcnt vmcnt(0) lgkmcnt(0)
	v_mad_i64_i32 v[48:49], s[8:9], v47, s33, 0
	v_lshl_add_u64 v[48:49], v[48:49], 1, v[2:3]
	global_load_dword v47, v[48:49], off offset:512
	global_load_dword v50, v[48:49], off offset:768
	;; [unrolled: 1-line block ×7, first 2 shown]
	global_load_dword v56, v[48:49], off
	global_load_dword v57, v[48:49], off offset:2048
	global_load_dword v58, v[48:49], off offset:2304
	;; [unrolled: 1-line block ×7, first 2 shown]
	s_nop 0
	global_load_dword v48, v[48:49], off offset:3840
	s_waitcnt vmcnt(15)
	v_lshlrev_b32_e32 v65, 16, v47
	v_and_b32_e32 v47, 0xffff0000, v47
	s_waitcnt vmcnt(14)
	v_lshlrev_b32_e32 v66, 16, v50
	v_and_b32_e32 v50, 0xffff0000, v50
	;; [unrolled: 3-line block ×5, first 2 shown]
	v_mul_f32_e32 v49, v11, v49
	v_mul_f32_e32 v55, v12, v55
	v_fmac_f32_e32 v49, v9, v64
	v_fmac_f32_e32 v55, v10, v56
	;; [unrolled: 1-line block ×6, first 2 shown]
	v_lshlrev_b32_e32 v68, 16, v52
	v_and_b32_e32 v52, 0xffff0000, v52
	v_fmac_f32_e32 v49, v17, v67
	v_fmac_f32_e32 v55, v18, v51
	v_lshlrev_b32_e32 v69, 16, v53
	v_and_b32_e32 v53, 0xffff0000, v53
	v_fmac_f32_e32 v49, v19, v68
	v_fmac_f32_e32 v55, v20, v52
	;; [unrolled: 4-line block ×3, first 2 shown]
	s_waitcnt vmcnt(7)
	v_lshlrev_b32_e32 v71, 16, v57
	v_and_b32_e32 v57, 0xffff0000, v57
	v_fmac_f32_e32 v49, v23, v70
	v_fmac_f32_e32 v55, v24, v54
	s_waitcnt vmcnt(6)
	v_lshlrev_b32_e32 v72, 16, v58
	v_and_b32_e32 v58, 0xffff0000, v58
	v_fmac_f32_e32 v49, v25, v71
	v_fmac_f32_e32 v55, v26, v57
	s_waitcnt vmcnt(5)
	v_lshlrev_b32_e32 v73, 16, v59
	v_and_b32_e32 v59, 0xffff0000, v59
	v_fmac_f32_e32 v49, v27, v72
	v_fmac_f32_e32 v55, v28, v58
	s_waitcnt vmcnt(4)
	v_lshlrev_b32_e32 v74, 16, v60
	v_and_b32_e32 v60, 0xffff0000, v60
	v_fmac_f32_e32 v49, v29, v73
	v_fmac_f32_e32 v55, v30, v59
	s_waitcnt vmcnt(3)
	v_lshlrev_b32_e32 v75, 16, v61
	v_and_b32_e32 v61, 0xffff0000, v61
	v_fmac_f32_e32 v49, v31, v74
	v_fmac_f32_e32 v55, v32, v60
	s_waitcnt vmcnt(2)
	v_lshlrev_b32_e32 v76, 16, v62
	v_and_b32_e32 v62, 0xffff0000, v62
	v_fmac_f32_e32 v49, v33, v75
	v_fmac_f32_e32 v55, v34, v61
	s_waitcnt vmcnt(1)
	v_lshlrev_b32_e32 v64, 16, v63
	v_and_b32_e32 v63, 0xffff0000, v63
	v_fmac_f32_e32 v49, v35, v76
	v_fmac_f32_e32 v55, v36, v62
	s_waitcnt vmcnt(0)
	v_lshlrev_b32_e32 v56, 16, v48
	v_and_b32_e32 v48, 0xffff0000, v48
	v_fmac_f32_e32 v49, v37, v64
	v_fmac_f32_e32 v55, v39, v63
	v_fmac_f32_e32 v49, v40, v56
	v_fmac_f32_e32 v55, v41, v48
	v_add_f32_e32 v47, v49, v55
	ds_bpermute_b32 v48, v42, v47
	s_waitcnt lgkmcnt(0)
	v_add_f32_e32 v47, v47, v48
	ds_bpermute_b32 v48, v43, v47
	s_and_saveexec_b64 s[34:35], vcc
	s_cbranch_execz .LBB141_8
; %bb.10:                               ;   in Loop: Header=BB141_9 Depth=1
	v_add_u32_e32 v49, s15, v44
	v_cvt_f32_i32_e32 v49, v49
	s_waitcnt lgkmcnt(0)
	v_add_f32_e32 v47, v47, v48
	v_cmp_gt_i32_e64 s[8:9], s17, v44
	v_max_f32_e32 v48, v38, v38
	v_mul_f32_e32 v49, s10, v49
	v_cndmask_b32_e64 v49, 0, v49, s[0:1]
	v_fmac_f32_e32 v49, s11, v47
	v_cndmask_b32_e64 v47, 0, v49, s[8:9]
	ds_write_b32 v45, v47
	v_max_f32_e32 v47, v48, v49
	v_cndmask_b32_e64 v38, v38, v47, s[8:9]
	s_branch .LBB141_8
.LBB141_11:
	s_or_b64 exec, exec, s[30:31]
.LBB141_12:
	s_or_b64 exec, exec, s[28:29]
	v_xor_b32_e32 v2, 32, v7
	v_cmp_lt_i32_e32 vcc, v2, v8
	v_xor_b32_e32 v5, 16, v7
	v_max_f32_e32 v4, v38, v38
	v_cndmask_b32_e32 v2, v7, v2, vcc
	v_lshlrev_b32_e32 v2, 2, v2
	ds_bpermute_b32 v3, v2, v38
	v_cmp_lt_i32_e32 vcc, v5, v8
	v_xor_b32_e32 v9, 8, v7
	v_xor_b32_e32 v10, 4, v7
	v_and_b32_e32 v20, 63, v0
	s_waitcnt lgkmcnt(0)
	v_max_f32_e32 v3, v3, v3
	v_max_f32_e32 v4, v4, v3
	v_cndmask_b32_e32 v3, v7, v5, vcc
	v_lshlrev_b32_e32 v3, 2, v3
	ds_bpermute_b32 v5, v3, v4
	v_cmp_lt_i32_e32 vcc, v9, v8
	s_waitcnt lgkmcnt(0)
	v_max_f32_e32 v5, v5, v5
	v_max_f32_e32 v4, v4, v5
	v_cndmask_b32_e32 v5, v7, v9, vcc
	v_lshlrev_b32_e32 v9, 2, v5
	ds_bpermute_b32 v5, v9, v4
	v_cmp_lt_i32_e32 vcc, v10, v8
	s_waitcnt lgkmcnt(0)
	v_max_f32_e32 v5, v5, v5
	v_max_f32_e32 v5, v4, v5
	v_cndmask_b32_e32 v4, v7, v10, vcc
	v_lshlrev_b32_e32 v10, 2, v4
	ds_bpermute_b32 v11, v10, v5
	v_cmp_eq_u32_e32 vcc, 0, v20
	v_lshlrev_b32_e32 v4, 2, v1
	s_and_saveexec_b64 s[0:1], vcc
	s_cbranch_execz .LBB141_14
; %bb.13:
	s_waitcnt lgkmcnt(0)
	v_max_f32_e32 v11, v11, v11
	v_max_f32_e32 v5, v5, v5
	;; [unrolled: 1-line block ×3, first 2 shown]
	ds_write_b32 v4, v5 offset:256
.LBB141_14:
	s_or_b64 exec, exec, s[0:1]
	v_cmp_gt_u32_e64 s[0:1], 2, v20
	s_waitcnt lgkmcnt(0)
	v_mov_b32_e32 v11, 0xff7fffff
	v_lshlrev_b32_e32 v5, 2, v20
	s_barrier
	s_and_saveexec_b64 s[8:9], s[0:1]
	s_cbranch_execz .LBB141_16
; %bb.15:
	ds_read_b32 v11, v5 offset:256
.LBB141_16:
	s_or_b64 exec, exec, s[8:9]
	v_xor_b32_e32 v12, 1, v7
	v_cmp_lt_i32_e64 s[8:9], v12, v8
	v_lshlrev_b32_e32 v13, 2, v7
	s_nop 0
	v_cndmask_b32_e64 v12, v7, v12, s[8:9]
	v_lshlrev_b32_e32 v21, 2, v12
	s_waitcnt lgkmcnt(0)
	ds_bpermute_b32 v12, v21, v11
	v_max_f32_e32 v11, v11, v11
	s_lshl_b32 s8, s19, 4
	s_min_i32 s15, s8, s17
	v_cmp_gt_i32_e64 s[8:9], s15, v0
	s_waitcnt lgkmcnt(0)
	v_max_f32_e32 v12, v12, v12
	v_max_f32_e32 v12, v11, v12
	v_and_b32_e32 v11, 0xffffff00, v13
	ds_bpermute_b32 v13, v11, v12
	v_mov_b32_e32 v12, 0
	s_and_saveexec_b64 s[28:29], s[8:9]
	s_cbranch_execz .LBB141_20
; %bb.17:
	v_mov_b32_e32 v12, 0x110
	v_lshl_add_u32 v14, v0, 2, v12
	s_mov_b64 s[30:31], 0
	v_mov_b32_e32 v12, 0
	v_mov_b32_e32 v15, v0
.LBB141_18:                             ; =>This Inner Loop Header: Depth=1
	ds_read_b32 v16, v14
	v_add_u32_e32 v15, 0x80, v15
	v_cmp_le_i32_e64 s[10:11], s15, v15
	s_or_b64 s[30:31], s[10:11], s[30:31]
	s_waitcnt lgkmcnt(0)
	v_sub_f32_e32 v16, v16, v13
	v_mul_f32_e32 v16, 0x3fb8aa3b, v16
	v_exp_f32_e32 v16, v16
	ds_write_b32 v14, v16
	v_add_f32_e32 v12, v12, v16
	v_add_u32_e32 v14, 0x200, v14
	s_andn2_b64 exec, exec, s[30:31]
	s_cbranch_execnz .LBB141_18
; %bb.19:
	s_or_b64 exec, exec, s[30:31]
.LBB141_20:
	s_or_b64 exec, exec, s[28:29]
	ds_bpermute_b32 v2, v2, v12
	s_waitcnt lgkmcnt(0)
	v_add_f32_e32 v2, v12, v2
	ds_bpermute_b32 v3, v3, v2
	s_waitcnt lgkmcnt(0)
	v_add_f32_e32 v2, v2, v3
	ds_bpermute_b32 v3, v9, v2
	v_xor_b32_e32 v9, 2, v7
	v_cmp_lt_i32_e64 s[10:11], v9, v8
	s_waitcnt lgkmcnt(0)
	v_add_f32_e32 v2, v2, v3
	ds_bpermute_b32 v3, v10, v2
	v_cndmask_b32_e64 v7, v7, v9, s[10:11]
	s_waitcnt lgkmcnt(0)
	v_add_f32_e32 v2, v2, v3
	v_lshlrev_b32_e32 v3, 2, v7
	ds_bpermute_b32 v3, v3, v2
	s_waitcnt lgkmcnt(0)
	v_add_f32_e32 v2, v2, v3
	ds_bpermute_b32 v3, v21, v2
	s_waitcnt lgkmcnt(0)
	v_add_f32_e32 v2, v2, v3
	s_and_saveexec_b64 s[10:11], vcc
	s_cbranch_execz .LBB141_22
; %bb.21:
	ds_write_b32 v4, v2 offset:264
.LBB141_22:
	s_or_b64 exec, exec, s[10:11]
	s_waitcnt lgkmcnt(0)
	s_barrier
	s_and_saveexec_b64 s[10:11], s[0:1]
	s_cbranch_execz .LBB141_24
; %bb.23:
	ds_read_b32 v2, v5 offset:264
.LBB141_24:
	s_or_b64 exec, exec, s[10:11]
	s_waitcnt lgkmcnt(0)
	ds_bpermute_b32 v3, v21, v2
	s_waitcnt lgkmcnt(0)
	v_add_f32_e32 v2, v2, v3
	ds_bpermute_b32 v2, v11, v2
	s_and_saveexec_b64 s[0:1], s[8:9]
	s_cbranch_execz .LBB141_37
; %bb.25:
	s_waitcnt lgkmcnt(0)
	v_add_f32_e32 v2, 0x358637bd, v2
	v_div_scale_f32 v3, s[8:9], v2, v2, 1.0
	v_rcp_f32_e32 v4, v3
	v_div_scale_f32 v5, vcc, 1.0, v2, 1.0
	s_movk_i32 s8, 0x7f
	v_fma_f32 v7, -v3, v4, 1.0
	v_fmac_f32_e32 v4, v7, v4
	v_mul_f32_e32 v7, v5, v4
	v_fma_f32 v8, -v3, v7, v5
	v_fmac_f32_e32 v7, v8, v4
	v_fma_f32 v3, -v3, v7, v5
	v_div_fmas_f32 v3, v3, v4, v7
	v_xad_u32 v4, v0, -1, s15
	v_div_fixup_f32 v2, v3, v2, 1.0
	v_cmp_lt_u32_e32 vcc, s8, v4
	s_mov_b64 s[10:11], -1
	v_mov_b32_e32 v3, v0
	s_and_saveexec_b64 s[8:9], vcc
	s_cbranch_execz .LBB141_34
; %bb.26:
	v_lshrrev_b32_e32 v4, 7, v4
	v_add_u32_e32 v7, -1, v4
	v_lshrrev_b32_e32 v5, 1, v7
	v_mov_b32_e32 v3, v2
	v_add_u32_e32 v5, 1, v5
	v_cmp_lt_u32_e32 vcc, 13, v7
	v_mov_b32_e32 v9, 0
	s_and_saveexec_b64 s[10:11], vcc
	s_cbranch_execz .LBB141_30
; %bb.27:
	v_mov_b32_e32 v8, 0x110
	v_and_b32_e32 v7, -8, v5
	v_lshl_add_u32 v8, v0, 2, v8
	s_mov_b32 s30, 0
	s_mov_b64 s[28:29], 0
.LBB141_28:                             ; =>This Inner Loop Header: Depth=1
	ds_read2st64_b32 v[10:11], v8 offset1:2
	ds_read2st64_b32 v[12:13], v8 offset0:4 offset1:6
	ds_read2st64_b32 v[14:15], v8 offset0:8 offset1:10
	ds_read2st64_b32 v[16:17], v8 offset0:12 offset1:14
	v_add_u32_e32 v7, -8, v7
	s_waitcnt lgkmcnt(3)
	v_pk_mul_f32 v[10:11], v[2:3], v[10:11]
	s_waitcnt lgkmcnt(2)
	v_pk_mul_f32 v[12:13], v[2:3], v[12:13]
	ds_write2st64_b32 v8, v10, v11 offset1:2
	ds_write2st64_b32 v8, v12, v13 offset0:4 offset1:6
	ds_read2st64_b32 v[12:13], v8 offset0:16 offset1:18
	s_waitcnt lgkmcnt(4)
	v_pk_mul_f32 v[10:11], v[2:3], v[14:15]
	ds_write2st64_b32 v8, v10, v11 offset0:8 offset1:10
	s_waitcnt lgkmcnt(4)
	v_pk_mul_f32 v[10:11], v[2:3], v[16:17]
	ds_write2st64_b32 v8, v10, v11 offset0:12 offset1:14
	ds_read2st64_b32 v[10:11], v8 offset0:20 offset1:22
	s_waitcnt lgkmcnt(3)
	v_pk_mul_f32 v[12:13], v[2:3], v[12:13]
	ds_read2st64_b32 v[14:15], v8 offset0:24 offset1:26
	ds_write2st64_b32 v8, v12, v13 offset0:16 offset1:18
	ds_read2st64_b32 v[12:13], v8 offset0:28 offset1:30
	s_waitcnt lgkmcnt(3)
	v_pk_mul_f32 v[10:11], v[2:3], v[10:11]
	ds_write2st64_b32 v8, v10, v11 offset0:20 offset1:22
	s_waitcnt lgkmcnt(3)
	v_pk_mul_f32 v[10:11], v[2:3], v[14:15]
	ds_write2st64_b32 v8, v10, v11 offset0:24 offset1:26
	s_waitcnt lgkmcnt(2)
	v_pk_mul_f32 v[10:11], v[2:3], v[12:13]
	s_add_i32 s30, s30, 16
	v_cmp_eq_u32_e32 vcc, 0, v7
	ds_write2st64_b32 v8, v10, v11 offset0:28 offset1:30
	v_add_u32_e32 v8, 0x2000, v8
	s_or_b64 s[28:29], vcc, s[28:29]
	v_mov_b32_e32 v9, s30
	s_andn2_b64 exec, exec, s[28:29]
	s_cbranch_execnz .LBB141_28
; %bb.29:
	s_or_b64 exec, exec, s[28:29]
.LBB141_30:
	s_or_b64 exec, exec, s[10:11]
	v_and_b32_e32 v5, 7, v5
	v_cmp_ne_u32_e32 vcc, 0, v5
	s_and_saveexec_b64 s[10:11], vcc
	s_cbranch_execz .LBB141_33
; %bb.31:
	v_lshlrev_b32_e32 v7, 9, v9
	v_lshlrev_b32_e32 v8, 2, v0
	s_movk_i32 s28, 0x110
	v_add3_u32 v7, v7, v8, s28
	s_mov_b64 s[28:29], 0
.LBB141_32:                             ; =>This Inner Loop Header: Depth=1
	ds_read2st64_b32 v[8:9], v7 offset1:2
	v_add_u32_e32 v5, -1, v5
	v_cmp_eq_u32_e32 vcc, 0, v5
	s_or_b64 s[28:29], vcc, s[28:29]
	s_waitcnt lgkmcnt(0)
	v_pk_mul_f32 v[8:9], v[2:3], v[8:9]
	ds_write2st64_b32 v7, v8, v9 offset1:2
	v_add_u32_e32 v7, 0x400, v7
	s_andn2_b64 exec, exec, s[28:29]
	s_cbranch_execnz .LBB141_32
.LBB141_33:
	s_or_b64 exec, exec, s[10:11]
	v_add_u32_e32 v4, 1, v4
	v_and_b32_e32 v5, 0x3fffffe, v4
	v_cmp_ne_u32_e32 vcc, v4, v5
	v_lshl_add_u32 v3, v5, 7, v0
	s_orn2_b64 s[10:11], vcc, exec
.LBB141_34:
	s_or_b64 exec, exec, s[8:9]
	s_and_b64 exec, exec, s[10:11]
	s_cbranch_execz .LBB141_37
; %bb.35:
	v_mov_b32_e32 v4, 0x110
	v_lshl_add_u32 v4, v3, 2, v4
	s_mov_b64 s[8:9], 0
.LBB141_36:                             ; =>This Inner Loop Header: Depth=1
	ds_read_b32 v5, v4
	v_add_u32_e32 v3, 0x80, v3
	v_cmp_le_i32_e32 vcc, s15, v3
	s_or_b64 s[8:9], vcc, s[8:9]
	s_waitcnt lgkmcnt(0)
	v_mul_f32_e32 v5, v2, v5
	ds_write_b32 v4, v5
	v_add_u32_e32 v4, 0x200, v4
	s_andn2_b64 exec, exec, s[8:9]
	s_cbranch_execnz .LBB141_36
.LBB141_37:
	s_or_b64 exec, exec, s[0:1]
	v_mov_b32_e32 v11, 0
	v_and_b32_e32 v22, 1, v0
	v_mov_b32_e32 v10, 0
	v_mov_b32_e32 v13, 0
	;; [unrolled: 1-line block ×3, first 2 shown]
	s_waitcnt lgkmcnt(0)
	s_barrier
	s_and_saveexec_b64 s[8:9], s[2:3]
	s_cbranch_execz .LBB141_209
; %bb.38:
	s_ashr_i32 s15, s14, 31
	s_lshl_b64 s[0:1], s[14:15], 1
	s_add_u32 s0, s26, s0
	v_lshlrev_b32_e32 v3, 4, v0
	v_lshlrev_b32_e32 v2, 3, v0
	s_addc_u32 s1, s27, s1
	v_and_b32_e32 v14, 0x3f0, v3
	v_mov_b32_e32 v15, 0
	v_and_b32_e32 v2, 8, v2
	s_add_i32 s14, s19, -1
	v_lshl_add_u64 v[16:17], s[0:1], 0, v[14:15]
	v_lshlrev_b32_e32 v3, 4, v1
	s_lshl_b64 s[0:1], s[24:25], 2
	v_or3_b32 v23, v3, v2, 7
	v_lshlrev_b32_e32 v2, 5, v22
	s_add_u32 s0, s22, s0
	v_lshl_or_b32 v2, v1, 6, v2
	v_and_b32_e32 v14, 60, v6
	s_addc_u32 s1, s23, s1
	v_add_u32_e32 v24, 0x110, v2
	v_lshl_add_u64 v[18:19], s[0:1], 0, v[14:15]
	s_mov_b64 s[2:3], 0
	s_mov_b32 s15, 0x7f800000
	s_movk_i32 s22, 0x7fff
	v_mov_b32_e32 v12, 0
	v_mov_b32_e32 v13, 0
	;; [unrolled: 1-line block ×4, first 2 shown]
	s_branch .LBB141_40
.LBB141_39:                             ;   in Loop: Header=BB141_40 Depth=1
	s_or_b64 exec, exec, s[0:1]
	v_and_b32_e32 v35, 0xffff0000, v25
	v_and_b32_e32 v34, 0xffff0000, v9
	;; [unrolled: 1-line block ×8, first 2 shown]
	v_pk_add_f32 v[8:9], v[8:9], v[34:35]
	v_pk_add_f32 v[26:27], v[26:27], v[32:33]
	v_add_f32_e32 v8, v8, v9
	v_add_f32_e32 v8, v8, v26
	;; [unrolled: 1-line block ×3, first 2 shown]
	v_and_b32_e32 v33, 0xffff0000, v48
	v_and_b32_e32 v32, 0xffff0000, v46
	;; [unrolled: 1-line block ×4, first 2 shown]
	v_add_f32_e32 v12, v12, v8
	v_and_b32_e32 v9, 0xffff0000, v52
	v_and_b32_e32 v8, 0xffff0000, v50
	;; [unrolled: 1-line block ×4, first 2 shown]
	v_pk_add_f32 v[32:33], v[34:35], v[32:33]
	v_pk_add_f32 v[8:9], v[26:27], v[8:9]
	v_add_f32_e32 v14, v32, v33
	v_add_f32_e32 v8, v14, v8
	v_add_f32_e32 v8, v8, v9
	v_and_b32_e32 v33, 0xffff0000, v56
	v_and_b32_e32 v32, 0xffff0000, v54
	;; [unrolled: 1-line block ×4, first 2 shown]
	v_add_f32_e32 v13, v13, v8
	v_and_b32_e32 v9, 0xffff0000, v60
	v_and_b32_e32 v8, 0xffff0000, v58
	;; [unrolled: 1-line block ×4, first 2 shown]
	v_pk_add_f32 v[32:33], v[34:35], v[32:33]
	v_pk_add_f32 v[8:9], v[26:27], v[8:9]
	v_add_f32_e32 v14, v32, v33
	v_add_f32_e32 v8, v14, v8
	;; [unrolled: 1-line block ×3, first 2 shown]
	v_and_b32_e32 v9, 0xffff0000, v7
	v_and_b32_e32 v7, 0xffff0000, v29
	;; [unrolled: 1-line block ×5, first 2 shown]
	v_add_f32_e32 v10, v10, v8
	v_and_b32_e32 v8, 0xffff0000, v30
	v_and_b32_e32 v5, 0xffff0000, v5
	;; [unrolled: 1-line block ×3, first 2 shown]
	v_pk_add_f32 v[2:3], v[2:3], v[6:7]
	v_pk_add_f32 v[4:5], v[4:5], v[8:9]
	v_add_f32_e32 v2, v2, v3
	v_add_f32_e32 v2, v2, v4
	v_add_u32_e32 v1, 2, v1
	v_add_f32_e32 v2, v2, v5
	v_cmp_le_i32_e32 vcc, s19, v1
	v_add_f32_e32 v11, v11, v2
	v_add_u32_e32 v23, 32, v23
	v_add_u32_e32 v24, 0x80, v24
	s_or_b64 s[2:3], vcc, s[2:3]
	v_lshl_add_u64 v[18:19], v[18:19], 0, 8
	s_andn2_b64 exec, exec, s[2:3]
	s_cbranch_execz .LBB141_208
.LBB141_40:                             ; =>This Inner Loop Header: Depth=1
	global_load_dword v29, v[18:19], off
	ds_read2_b64 v[6:9], v24 offset1:1
	ds_read2_b64 v[2:5], v24 offset0:2 offset1:3
                                        ; implicit-def: $vgpr37
	s_waitcnt lgkmcnt(1)
	v_and_b32_e32 v14, 0x7f800000, v6
	v_cmp_ne_u32_e32 vcc, s15, v14
	s_and_saveexec_b64 s[0:1], vcc
	s_xor_b64 s[0:1], exec, s[0:1]
; %bb.41:                               ;   in Loop: Header=BB141_40 Depth=1
	v_bfe_u32 v14, v6, 16, 1
	v_add3_u32 v37, v6, v14, s22
; %bb.42:                               ;   in Loop: Header=BB141_40 Depth=1
	s_andn2_saveexec_b64 s[0:1], s[0:1]
; %bb.43:                               ;   in Loop: Header=BB141_40 Depth=1
	v_or_b32_e32 v14, 0x10000, v6
	v_cmp_eq_u32_sdwa vcc, v6, v15 src0_sel:WORD_0 src1_sel:DWORD
	s_nop 1
	v_cndmask_b32_e32 v37, v14, v6, vcc
; %bb.44:                               ;   in Loop: Header=BB141_40 Depth=1
	s_or_b64 exec, exec, s[0:1]
	v_and_b32_e32 v6, 0x7f800000, v7
	v_cmp_ne_u32_e32 vcc, s15, v6
                                        ; implicit-def: $vgpr38
	s_and_saveexec_b64 s[0:1], vcc
	s_xor_b64 s[0:1], exec, s[0:1]
; %bb.45:                               ;   in Loop: Header=BB141_40 Depth=1
	v_bfe_u32 v6, v7, 16, 1
	v_add3_u32 v38, v7, v6, s22
; %bb.46:                               ;   in Loop: Header=BB141_40 Depth=1
	s_andn2_saveexec_b64 s[0:1], s[0:1]
; %bb.47:                               ;   in Loop: Header=BB141_40 Depth=1
	v_or_b32_e32 v6, 0x10000, v7
	v_cmp_eq_u32_sdwa vcc, v7, v15 src0_sel:WORD_0 src1_sel:DWORD
	s_nop 1
	v_cndmask_b32_e32 v38, v6, v7, vcc
; %bb.48:                               ;   in Loop: Header=BB141_40 Depth=1
	s_or_b64 exec, exec, s[0:1]
	v_and_b32_e32 v6, 0x7f800000, v8
	v_cmp_ne_u32_e32 vcc, s15, v6
                                        ; implicit-def: $vgpr14
	s_and_saveexec_b64 s[0:1], vcc
	s_xor_b64 s[0:1], exec, s[0:1]
; %bb.49:                               ;   in Loop: Header=BB141_40 Depth=1
	v_bfe_u32 v6, v8, 16, 1
	v_add3_u32 v14, v8, v6, s22
; %bb.50:                               ;   in Loop: Header=BB141_40 Depth=1
	s_andn2_saveexec_b64 s[0:1], s[0:1]
; %bb.51:                               ;   in Loop: Header=BB141_40 Depth=1
	v_or_b32_e32 v6, 0x10000, v8
	v_cmp_eq_u32_sdwa vcc, v8, v15 src0_sel:WORD_0 src1_sel:DWORD
	s_nop 1
	v_cndmask_b32_e32 v14, v6, v8, vcc
; %bb.52:                               ;   in Loop: Header=BB141_40 Depth=1
	s_or_b64 exec, exec, s[0:1]
	v_and_b32_e32 v6, 0x7f800000, v9
	v_cmp_ne_u32_e32 vcc, s15, v6
                                        ; implicit-def: $vgpr25
	s_and_saveexec_b64 s[0:1], vcc
	s_xor_b64 s[0:1], exec, s[0:1]
; %bb.53:                               ;   in Loop: Header=BB141_40 Depth=1
	v_bfe_u32 v6, v9, 16, 1
	v_add3_u32 v25, v9, v6, s22
                                        ; implicit-def: $vgpr6_vgpr7_vgpr8_vgpr9
; %bb.54:                               ;   in Loop: Header=BB141_40 Depth=1
	s_andn2_saveexec_b64 s[0:1], s[0:1]
; %bb.55:                               ;   in Loop: Header=BB141_40 Depth=1
	v_or_b32_e32 v6, 0x10000, v9
	v_cmp_eq_u32_sdwa vcc, v9, v15 src0_sel:WORD_0 src1_sel:DWORD
	s_nop 1
	v_cndmask_b32_e32 v25, v6, v9, vcc
; %bb.56:                               ;   in Loop: Header=BB141_40 Depth=1
	s_or_b64 exec, exec, s[0:1]
	s_waitcnt lgkmcnt(0)
	v_and_b32_e32 v6, 0x7f800000, v2
	v_cmp_ne_u32_e32 vcc, s15, v6
                                        ; implicit-def: $vgpr26
	s_and_saveexec_b64 s[0:1], vcc
	s_xor_b64 s[0:1], exec, s[0:1]
; %bb.57:                               ;   in Loop: Header=BB141_40 Depth=1
	v_bfe_u32 v6, v2, 16, 1
	v_add3_u32 v26, v2, v6, s22
; %bb.58:                               ;   in Loop: Header=BB141_40 Depth=1
	s_andn2_saveexec_b64 s[0:1], s[0:1]
; %bb.59:                               ;   in Loop: Header=BB141_40 Depth=1
	v_or_b32_e32 v6, 0x10000, v2
	v_cmp_eq_u32_sdwa vcc, v2, v15 src0_sel:WORD_0 src1_sel:DWORD
	s_nop 1
	v_cndmask_b32_e32 v26, v6, v2, vcc
; %bb.60:                               ;   in Loop: Header=BB141_40 Depth=1
	s_or_b64 exec, exec, s[0:1]
	v_and_b32_e32 v2, 0x7f800000, v3
	v_cmp_ne_u32_e32 vcc, s15, v2
                                        ; implicit-def: $vgpr27
	s_and_saveexec_b64 s[0:1], vcc
	s_xor_b64 s[0:1], exec, s[0:1]
; %bb.61:                               ;   in Loop: Header=BB141_40 Depth=1
	v_bfe_u32 v2, v3, 16, 1
	v_add3_u32 v27, v3, v2, s22
; %bb.62:                               ;   in Loop: Header=BB141_40 Depth=1
	s_andn2_saveexec_b64 s[0:1], s[0:1]
; %bb.63:                               ;   in Loop: Header=BB141_40 Depth=1
	v_or_b32_e32 v2, 0x10000, v3
	v_cmp_eq_u32_sdwa vcc, v3, v15 src0_sel:WORD_0 src1_sel:DWORD
	s_nop 1
	v_cndmask_b32_e32 v27, v2, v3, vcc
; %bb.64:                               ;   in Loop: Header=BB141_40 Depth=1
	s_or_b64 exec, exec, s[0:1]
	v_and_b32_e32 v2, 0x7f800000, v4
	v_cmp_ne_u32_e32 vcc, s15, v2
                                        ; implicit-def: $vgpr28
	s_and_saveexec_b64 s[0:1], vcc
	s_xor_b64 s[0:1], exec, s[0:1]
; %bb.65:                               ;   in Loop: Header=BB141_40 Depth=1
	v_bfe_u32 v2, v4, 16, 1
	v_add3_u32 v28, v4, v2, s22
; %bb.66:                               ;   in Loop: Header=BB141_40 Depth=1
	s_andn2_saveexec_b64 s[0:1], s[0:1]
; %bb.67:                               ;   in Loop: Header=BB141_40 Depth=1
	v_or_b32_e32 v2, 0x10000, v4
	v_cmp_eq_u32_sdwa vcc, v4, v15 src0_sel:WORD_0 src1_sel:DWORD
	s_nop 1
	v_cndmask_b32_e32 v28, v2, v4, vcc
; %bb.68:                               ;   in Loop: Header=BB141_40 Depth=1
	s_or_b64 exec, exec, s[0:1]
	v_and_b32_e32 v2, 0x7f800000, v5
	v_cmp_ne_u32_e32 vcc, s15, v2
                                        ; implicit-def: $vgpr36
	s_and_saveexec_b64 s[0:1], vcc
	s_xor_b64 s[0:1], exec, s[0:1]
; %bb.69:                               ;   in Loop: Header=BB141_40 Depth=1
	v_bfe_u32 v2, v5, 16, 1
	v_add3_u32 v36, v5, v2, s22
                                        ; implicit-def: $vgpr2_vgpr3_vgpr4_vgpr5
; %bb.70:                               ;   in Loop: Header=BB141_40 Depth=1
	s_andn2_saveexec_b64 s[0:1], s[0:1]
; %bb.71:                               ;   in Loop: Header=BB141_40 Depth=1
	v_or_b32_e32 v2, 0x10000, v5
	v_cmp_eq_u32_sdwa vcc, v5, v15 src0_sel:WORD_0 src1_sel:DWORD
	s_nop 1
	v_cndmask_b32_e32 v36, v2, v5, vcc
; %bb.72:                               ;   in Loop: Header=BB141_40 Depth=1
	s_or_b64 exec, exec, s[0:1]
	s_waitcnt vmcnt(0)
	v_mad_i64_i32 v[2:3], s[0:1], v29, s13, 0
	v_lshl_add_u64 v[6:7], v[2:3], 1, v[16:17]
	global_load_dwordx4 v[2:5], v[6:7], off
	v_add_u32_e32 v29, -7, v23
	v_cmp_eq_u32_e32 vcc, s14, v1
	v_add_u32_e32 v35, -6, v23
	v_add_u32_e32 v33, -5, v23
	;; [unrolled: 1-line block ×6, first 2 shown]
	s_waitcnt vmcnt(0)
	v_lshrrev_b32_e32 v9, 16, v2
	v_lshrrev_b32_e32 v41, 16, v3
	;; [unrolled: 1-line block ×4, first 2 shown]
	s_and_saveexec_b64 s[10:11], vcc
	s_cbranch_execz .LBB141_74
; %bb.73:                               ;   in Loop: Header=BB141_40 Depth=1
	v_cmp_gt_i32_e64 s[0:1], s17, v29
	s_nop 1
	v_cndmask_b32_e64 v2, 0, v2, s[0:1]
	v_cmp_gt_i32_e64 s[0:1], s17, v35
	s_nop 1
	v_cndmask_b32_e64 v9, 0, v9, s[0:1]
	;; [unrolled: 3-line block ×8, first 2 shown]
.LBB141_74:                             ;   in Loop: Header=BB141_40 Depth=1
	s_or_b64 exec, exec, s[10:11]
	v_and_b32_e32 v37, 0xffff0000, v37
	v_lshlrev_b32_e32 v2, 16, v2
	v_mul_f32_e32 v2, v37, v2
	v_and_b32_e32 v8, 0x7f800000, v2
	v_cmp_ne_u32_e64 s[0:1], s15, v8
                                        ; implicit-def: $vgpr8
	s_and_saveexec_b64 s[10:11], s[0:1]
	s_xor_b64 s[0:1], exec, s[10:11]
; %bb.75:                               ;   in Loop: Header=BB141_40 Depth=1
	v_bfe_u32 v8, v2, 16, 1
	v_add3_u32 v8, v2, v8, s22
                                        ; implicit-def: $vgpr2
; %bb.76:                               ;   in Loop: Header=BB141_40 Depth=1
	s_andn2_saveexec_b64 s[10:11], s[0:1]
; %bb.77:                               ;   in Loop: Header=BB141_40 Depth=1
	v_or_b32_e32 v8, 0x10000, v2
	v_cmp_eq_u32_sdwa s[0:1], v2, v15 src0_sel:WORD_0 src1_sel:DWORD
	s_nop 1
	v_cndmask_b32_e64 v8, v8, v2, s[0:1]
; %bb.78:                               ;   in Loop: Header=BB141_40 Depth=1
	s_or_b64 exec, exec, s[10:11]
	v_and_b32_e32 v38, 0xffff0000, v38
	v_lshlrev_b32_e32 v2, 16, v9
	v_mul_f32_e32 v2, v38, v2
	v_and_b32_e32 v9, 0x7f800000, v2
	v_cmp_ne_u32_e64 s[0:1], s15, v9
                                        ; implicit-def: $vgpr9
	s_and_saveexec_b64 s[10:11], s[0:1]
	s_xor_b64 s[0:1], exec, s[10:11]
; %bb.79:                               ;   in Loop: Header=BB141_40 Depth=1
	v_bfe_u32 v9, v2, 16, 1
	v_add3_u32 v9, v2, v9, s22
                                        ; implicit-def: $vgpr2
; %bb.80:                               ;   in Loop: Header=BB141_40 Depth=1
	s_andn2_saveexec_b64 s[10:11], s[0:1]
; %bb.81:                               ;   in Loop: Header=BB141_40 Depth=1
	v_or_b32_e32 v9, 0x10000, v2
	v_cmp_eq_u32_sdwa s[0:1], v2, v15 src0_sel:WORD_0 src1_sel:DWORD
	s_nop 1
	v_cndmask_b32_e64 v9, v9, v2, s[0:1]
; %bb.82:                               ;   in Loop: Header=BB141_40 Depth=1
	s_or_b64 exec, exec, s[10:11]
	v_and_b32_e32 v39, 0xffff0000, v14
	v_lshlrev_b32_e32 v2, 16, v3
	v_mul_f32_e32 v2, v39, v2
	v_and_b32_e32 v3, 0x7f800000, v2
	v_cmp_ne_u32_e64 s[0:1], s15, v3
                                        ; implicit-def: $vgpr14
	s_and_saveexec_b64 s[10:11], s[0:1]
	s_xor_b64 s[0:1], exec, s[10:11]
; %bb.83:                               ;   in Loop: Header=BB141_40 Depth=1
	v_bfe_u32 v3, v2, 16, 1
	v_add3_u32 v14, v2, v3, s22
                                        ; implicit-def: $vgpr2
; %bb.84:                               ;   in Loop: Header=BB141_40 Depth=1
	s_andn2_saveexec_b64 s[10:11], s[0:1]
; %bb.85:                               ;   in Loop: Header=BB141_40 Depth=1
	v_or_b32_e32 v3, 0x10000, v2
	v_cmp_eq_u32_sdwa s[0:1], v2, v15 src0_sel:WORD_0 src1_sel:DWORD
	s_nop 1
	v_cndmask_b32_e64 v14, v3, v2, s[0:1]
; %bb.86:                               ;   in Loop: Header=BB141_40 Depth=1
	s_or_b64 exec, exec, s[10:11]
	v_and_b32_e32 v40, 0xffff0000, v25
	v_lshlrev_b32_e32 v2, 16, v41
	v_mul_f32_e32 v2, v40, v2
	v_and_b32_e32 v3, 0x7f800000, v2
	v_cmp_ne_u32_e64 s[0:1], s15, v3
                                        ; implicit-def: $vgpr25
	s_and_saveexec_b64 s[10:11], s[0:1]
	s_xor_b64 s[0:1], exec, s[10:11]
; %bb.87:                               ;   in Loop: Header=BB141_40 Depth=1
	v_bfe_u32 v3, v2, 16, 1
	v_add3_u32 v25, v2, v3, s22
                                        ; implicit-def: $vgpr2
; %bb.88:                               ;   in Loop: Header=BB141_40 Depth=1
	s_andn2_saveexec_b64 s[10:11], s[0:1]
; %bb.89:                               ;   in Loop: Header=BB141_40 Depth=1
	v_or_b32_e32 v3, 0x10000, v2
	v_cmp_eq_u32_sdwa s[0:1], v2, v15 src0_sel:WORD_0 src1_sel:DWORD
	s_nop 1
	v_cndmask_b32_e64 v25, v3, v2, s[0:1]
; %bb.90:                               ;   in Loop: Header=BB141_40 Depth=1
	s_or_b64 exec, exec, s[10:11]
	v_and_b32_e32 v41, 0xffff0000, v26
	v_lshlrev_b32_e32 v2, 16, v4
	v_mul_f32_e32 v2, v41, v2
	v_and_b32_e32 v3, 0x7f800000, v2
	v_cmp_ne_u32_e64 s[0:1], s15, v3
                                        ; implicit-def: $vgpr26
	s_and_saveexec_b64 s[10:11], s[0:1]
	s_xor_b64 s[0:1], exec, s[10:11]
; %bb.91:                               ;   in Loop: Header=BB141_40 Depth=1
	v_bfe_u32 v3, v2, 16, 1
	v_add3_u32 v26, v2, v3, s22
                                        ; implicit-def: $vgpr2
; %bb.92:                               ;   in Loop: Header=BB141_40 Depth=1
	s_andn2_saveexec_b64 s[10:11], s[0:1]
; %bb.93:                               ;   in Loop: Header=BB141_40 Depth=1
	v_or_b32_e32 v3, 0x10000, v2
	v_cmp_eq_u32_sdwa s[0:1], v2, v15 src0_sel:WORD_0 src1_sel:DWORD
	s_nop 1
	v_cndmask_b32_e64 v26, v3, v2, s[0:1]
; %bb.94:                               ;   in Loop: Header=BB141_40 Depth=1
	s_or_b64 exec, exec, s[10:11]
	v_and_b32_e32 v42, 0xffff0000, v27
	v_lshlrev_b32_e32 v2, 16, v43
	v_mul_f32_e32 v2, v42, v2
	v_and_b32_e32 v3, 0x7f800000, v2
	v_cmp_ne_u32_e64 s[0:1], s15, v3
                                        ; implicit-def: $vgpr27
	s_and_saveexec_b64 s[10:11], s[0:1]
	s_xor_b64 s[0:1], exec, s[10:11]
; %bb.95:                               ;   in Loop: Header=BB141_40 Depth=1
	v_bfe_u32 v3, v2, 16, 1
	v_add3_u32 v27, v2, v3, s22
                                        ; implicit-def: $vgpr2
; %bb.96:                               ;   in Loop: Header=BB141_40 Depth=1
	s_andn2_saveexec_b64 s[10:11], s[0:1]
; %bb.97:                               ;   in Loop: Header=BB141_40 Depth=1
	v_or_b32_e32 v3, 0x10000, v2
	v_cmp_eq_u32_sdwa s[0:1], v2, v15 src0_sel:WORD_0 src1_sel:DWORD
	s_nop 1
	v_cndmask_b32_e64 v27, v3, v2, s[0:1]
; %bb.98:                               ;   in Loop: Header=BB141_40 Depth=1
	s_or_b64 exec, exec, s[10:11]
	v_and_b32_e32 v43, 0xffff0000, v28
	v_lshlrev_b32_e32 v2, 16, v5
	v_mul_f32_e32 v2, v43, v2
	v_and_b32_e32 v3, 0x7f800000, v2
	v_cmp_ne_u32_e64 s[0:1], s15, v3
                                        ; implicit-def: $vgpr28
	s_and_saveexec_b64 s[10:11], s[0:1]
	s_xor_b64 s[0:1], exec, s[10:11]
; %bb.99:                               ;   in Loop: Header=BB141_40 Depth=1
	v_bfe_u32 v3, v2, 16, 1
	v_add3_u32 v28, v2, v3, s22
                                        ; implicit-def: $vgpr2
; %bb.100:                              ;   in Loop: Header=BB141_40 Depth=1
	s_andn2_saveexec_b64 s[10:11], s[0:1]
; %bb.101:                              ;   in Loop: Header=BB141_40 Depth=1
	v_or_b32_e32 v3, 0x10000, v2
	v_cmp_eq_u32_sdwa s[0:1], v2, v15 src0_sel:WORD_0 src1_sel:DWORD
	s_nop 1
	v_cndmask_b32_e64 v28, v3, v2, s[0:1]
; %bb.102:                              ;   in Loop: Header=BB141_40 Depth=1
	s_or_b64 exec, exec, s[10:11]
	v_and_b32_e32 v44, 0xffff0000, v36
	v_lshlrev_b32_e32 v2, 16, v45
	v_mul_f32_e32 v2, v44, v2
	v_and_b32_e32 v3, 0x7f800000, v2
	v_cmp_ne_u32_e64 s[0:1], s15, v3
                                        ; implicit-def: $vgpr36
	s_and_saveexec_b64 s[10:11], s[0:1]
	s_xor_b64 s[0:1], exec, s[10:11]
; %bb.103:                              ;   in Loop: Header=BB141_40 Depth=1
	v_bfe_u32 v3, v2, 16, 1
	v_add3_u32 v36, v2, v3, s22
                                        ; implicit-def: $vgpr2
; %bb.104:                              ;   in Loop: Header=BB141_40 Depth=1
	s_andn2_saveexec_b64 s[10:11], s[0:1]
; %bb.105:                              ;   in Loop: Header=BB141_40 Depth=1
	v_or_b32_e32 v3, 0x10000, v2
	v_cmp_eq_u32_sdwa s[0:1], v2, v15 src0_sel:WORD_0 src1_sel:DWORD
	s_nop 1
	v_cndmask_b32_e64 v36, v3, v2, s[0:1]
; %bb.106:                              ;   in Loop: Header=BB141_40 Depth=1
	s_or_b64 exec, exec, s[10:11]
	global_load_dwordx4 v[2:5], v[6:7], off offset:1024
	s_waitcnt vmcnt(0)
	v_lshrrev_b32_e32 v46, 16, v2
	v_lshrrev_b32_e32 v48, 16, v3
	;; [unrolled: 1-line block ×4, first 2 shown]
	s_and_saveexec_b64 s[10:11], vcc
	s_cbranch_execz .LBB141_108
; %bb.107:                              ;   in Loop: Header=BB141_40 Depth=1
	v_cmp_gt_i32_e64 s[0:1], s17, v29
	s_nop 1
	v_cndmask_b32_e64 v2, 0, v2, s[0:1]
	v_cmp_gt_i32_e64 s[0:1], s17, v35
	s_nop 1
	v_cndmask_b32_e64 v46, 0, v46, s[0:1]
	v_cmp_gt_i32_e64 s[0:1], s17, v33
	s_nop 1
	v_cndmask_b32_e64 v3, 0, v3, s[0:1]
	v_cmp_gt_i32_e64 s[0:1], s17, v32
	s_nop 1
	v_cndmask_b32_e64 v48, 0, v48, s[0:1]
	v_cmp_gt_i32_e64 s[0:1], s17, v31
	s_nop 1
	v_cndmask_b32_e64 v4, 0, v4, s[0:1]
	v_cmp_gt_i32_e64 s[0:1], s17, v30
	s_nop 1
	v_cndmask_b32_e64 v50, 0, v50, s[0:1]
	v_cmp_gt_i32_e64 s[0:1], s17, v34
	s_nop 1
	v_cndmask_b32_e64 v5, 0, v5, s[0:1]
	v_cmp_gt_i32_e64 s[0:1], s17, v23
	s_nop 1
	v_cndmask_b32_e64 v52, 0, v52, s[0:1]
.LBB141_108:                            ;   in Loop: Header=BB141_40 Depth=1
	s_or_b64 exec, exec, s[10:11]
	v_lshlrev_b32_e32 v2, 16, v2
	v_mul_f32_e32 v2, v37, v2
	v_and_b32_e32 v45, 0x7f800000, v2
	v_cmp_ne_u32_e64 s[0:1], s15, v45
                                        ; implicit-def: $vgpr45
	s_and_saveexec_b64 s[10:11], s[0:1]
	s_xor_b64 s[0:1], exec, s[10:11]
; %bb.109:                              ;   in Loop: Header=BB141_40 Depth=1
	v_bfe_u32 v45, v2, 16, 1
	v_add3_u32 v45, v2, v45, s22
                                        ; implicit-def: $vgpr2
; %bb.110:                              ;   in Loop: Header=BB141_40 Depth=1
	s_andn2_saveexec_b64 s[10:11], s[0:1]
; %bb.111:                              ;   in Loop: Header=BB141_40 Depth=1
	v_or_b32_e32 v45, 0x10000, v2
	v_cmp_eq_u32_sdwa s[0:1], v2, v15 src0_sel:WORD_0 src1_sel:DWORD
	s_nop 1
	v_cndmask_b32_e64 v45, v45, v2, s[0:1]
; %bb.112:                              ;   in Loop: Header=BB141_40 Depth=1
	s_or_b64 exec, exec, s[10:11]
	v_lshlrev_b32_e32 v2, 16, v46
	v_mul_f32_e32 v2, v38, v2
	v_and_b32_e32 v46, 0x7f800000, v2
	v_cmp_ne_u32_e64 s[0:1], s15, v46
                                        ; implicit-def: $vgpr46
	s_and_saveexec_b64 s[10:11], s[0:1]
	s_xor_b64 s[0:1], exec, s[10:11]
; %bb.113:                              ;   in Loop: Header=BB141_40 Depth=1
	v_bfe_u32 v46, v2, 16, 1
	v_add3_u32 v46, v2, v46, s22
                                        ; implicit-def: $vgpr2
; %bb.114:                              ;   in Loop: Header=BB141_40 Depth=1
	s_andn2_saveexec_b64 s[10:11], s[0:1]
; %bb.115:                              ;   in Loop: Header=BB141_40 Depth=1
	v_or_b32_e32 v46, 0x10000, v2
	v_cmp_eq_u32_sdwa s[0:1], v2, v15 src0_sel:WORD_0 src1_sel:DWORD
	s_nop 1
	v_cndmask_b32_e64 v46, v46, v2, s[0:1]
; %bb.116:                              ;   in Loop: Header=BB141_40 Depth=1
	s_or_b64 exec, exec, s[10:11]
	v_lshlrev_b32_e32 v2, 16, v3
	v_mul_f32_e32 v2, v39, v2
	v_and_b32_e32 v3, 0x7f800000, v2
	v_cmp_ne_u32_e64 s[0:1], s15, v3
                                        ; implicit-def: $vgpr47
	s_and_saveexec_b64 s[10:11], s[0:1]
	s_xor_b64 s[0:1], exec, s[10:11]
; %bb.117:                              ;   in Loop: Header=BB141_40 Depth=1
	v_bfe_u32 v3, v2, 16, 1
	v_add3_u32 v47, v2, v3, s22
                                        ; implicit-def: $vgpr2
; %bb.118:                              ;   in Loop: Header=BB141_40 Depth=1
	s_andn2_saveexec_b64 s[10:11], s[0:1]
; %bb.119:                              ;   in Loop: Header=BB141_40 Depth=1
	v_or_b32_e32 v3, 0x10000, v2
	v_cmp_eq_u32_sdwa s[0:1], v2, v15 src0_sel:WORD_0 src1_sel:DWORD
	s_nop 1
	v_cndmask_b32_e64 v47, v3, v2, s[0:1]
; %bb.120:                              ;   in Loop: Header=BB141_40 Depth=1
	s_or_b64 exec, exec, s[10:11]
	v_lshlrev_b32_e32 v2, 16, v48
	v_mul_f32_e32 v2, v40, v2
	v_and_b32_e32 v3, 0x7f800000, v2
	v_cmp_ne_u32_e64 s[0:1], s15, v3
                                        ; implicit-def: $vgpr48
	s_and_saveexec_b64 s[10:11], s[0:1]
	s_xor_b64 s[0:1], exec, s[10:11]
; %bb.121:                              ;   in Loop: Header=BB141_40 Depth=1
	v_bfe_u32 v3, v2, 16, 1
	v_add3_u32 v48, v2, v3, s22
                                        ; implicit-def: $vgpr2
; %bb.122:                              ;   in Loop: Header=BB141_40 Depth=1
	s_andn2_saveexec_b64 s[10:11], s[0:1]
; %bb.123:                              ;   in Loop: Header=BB141_40 Depth=1
	v_or_b32_e32 v3, 0x10000, v2
	v_cmp_eq_u32_sdwa s[0:1], v2, v15 src0_sel:WORD_0 src1_sel:DWORD
	s_nop 1
	v_cndmask_b32_e64 v48, v3, v2, s[0:1]
; %bb.124:                              ;   in Loop: Header=BB141_40 Depth=1
	s_or_b64 exec, exec, s[10:11]
	v_lshlrev_b32_e32 v2, 16, v4
	v_mul_f32_e32 v2, v41, v2
	v_and_b32_e32 v3, 0x7f800000, v2
	v_cmp_ne_u32_e64 s[0:1], s15, v3
                                        ; implicit-def: $vgpr49
	s_and_saveexec_b64 s[10:11], s[0:1]
	s_xor_b64 s[0:1], exec, s[10:11]
; %bb.125:                              ;   in Loop: Header=BB141_40 Depth=1
	v_bfe_u32 v3, v2, 16, 1
	v_add3_u32 v49, v2, v3, s22
                                        ; implicit-def: $vgpr2
; %bb.126:                              ;   in Loop: Header=BB141_40 Depth=1
	s_andn2_saveexec_b64 s[10:11], s[0:1]
; %bb.127:                              ;   in Loop: Header=BB141_40 Depth=1
	v_or_b32_e32 v3, 0x10000, v2
	v_cmp_eq_u32_sdwa s[0:1], v2, v15 src0_sel:WORD_0 src1_sel:DWORD
	s_nop 1
	v_cndmask_b32_e64 v49, v3, v2, s[0:1]
; %bb.128:                              ;   in Loop: Header=BB141_40 Depth=1
	s_or_b64 exec, exec, s[10:11]
	v_lshlrev_b32_e32 v2, 16, v50
	v_mul_f32_e32 v2, v42, v2
	v_and_b32_e32 v3, 0x7f800000, v2
	v_cmp_ne_u32_e64 s[0:1], s15, v3
                                        ; implicit-def: $vgpr50
	s_and_saveexec_b64 s[10:11], s[0:1]
	s_xor_b64 s[0:1], exec, s[10:11]
; %bb.129:                              ;   in Loop: Header=BB141_40 Depth=1
	v_bfe_u32 v3, v2, 16, 1
	v_add3_u32 v50, v2, v3, s22
                                        ; implicit-def: $vgpr2
; %bb.130:                              ;   in Loop: Header=BB141_40 Depth=1
	s_andn2_saveexec_b64 s[10:11], s[0:1]
; %bb.131:                              ;   in Loop: Header=BB141_40 Depth=1
	v_or_b32_e32 v3, 0x10000, v2
	v_cmp_eq_u32_sdwa s[0:1], v2, v15 src0_sel:WORD_0 src1_sel:DWORD
	s_nop 1
	v_cndmask_b32_e64 v50, v3, v2, s[0:1]
; %bb.132:                              ;   in Loop: Header=BB141_40 Depth=1
	s_or_b64 exec, exec, s[10:11]
	v_lshlrev_b32_e32 v2, 16, v5
	v_mul_f32_e32 v2, v43, v2
	v_and_b32_e32 v3, 0x7f800000, v2
	v_cmp_ne_u32_e64 s[0:1], s15, v3
                                        ; implicit-def: $vgpr51
	s_and_saveexec_b64 s[10:11], s[0:1]
	s_xor_b64 s[0:1], exec, s[10:11]
; %bb.133:                              ;   in Loop: Header=BB141_40 Depth=1
	v_bfe_u32 v3, v2, 16, 1
	v_add3_u32 v51, v2, v3, s22
                                        ; implicit-def: $vgpr2
; %bb.134:                              ;   in Loop: Header=BB141_40 Depth=1
	s_andn2_saveexec_b64 s[10:11], s[0:1]
; %bb.135:                              ;   in Loop: Header=BB141_40 Depth=1
	v_or_b32_e32 v3, 0x10000, v2
	v_cmp_eq_u32_sdwa s[0:1], v2, v15 src0_sel:WORD_0 src1_sel:DWORD
	s_nop 1
	v_cndmask_b32_e64 v51, v3, v2, s[0:1]
; %bb.136:                              ;   in Loop: Header=BB141_40 Depth=1
	s_or_b64 exec, exec, s[10:11]
	v_lshlrev_b32_e32 v2, 16, v52
	v_mul_f32_e32 v2, v44, v2
	v_and_b32_e32 v3, 0x7f800000, v2
	v_cmp_ne_u32_e64 s[0:1], s15, v3
                                        ; implicit-def: $vgpr52
	s_and_saveexec_b64 s[10:11], s[0:1]
	s_xor_b64 s[0:1], exec, s[10:11]
; %bb.137:                              ;   in Loop: Header=BB141_40 Depth=1
	v_bfe_u32 v3, v2, 16, 1
	v_add3_u32 v52, v2, v3, s22
                                        ; implicit-def: $vgpr2
; %bb.138:                              ;   in Loop: Header=BB141_40 Depth=1
	s_andn2_saveexec_b64 s[10:11], s[0:1]
; %bb.139:                              ;   in Loop: Header=BB141_40 Depth=1
	v_or_b32_e32 v3, 0x10000, v2
	v_cmp_eq_u32_sdwa s[0:1], v2, v15 src0_sel:WORD_0 src1_sel:DWORD
	s_nop 1
	v_cndmask_b32_e64 v52, v3, v2, s[0:1]
; %bb.140:                              ;   in Loop: Header=BB141_40 Depth=1
	s_or_b64 exec, exec, s[10:11]
	global_load_dwordx4 v[2:5], v[6:7], off offset:2048
	s_waitcnt vmcnt(0)
	v_lshrrev_b32_e32 v54, 16, v2
	v_lshrrev_b32_e32 v56, 16, v3
	;; [unrolled: 1-line block ×4, first 2 shown]
	s_and_saveexec_b64 s[10:11], vcc
	s_cbranch_execz .LBB141_142
; %bb.141:                              ;   in Loop: Header=BB141_40 Depth=1
	v_cmp_gt_i32_e64 s[0:1], s17, v29
	s_nop 1
	v_cndmask_b32_e64 v2, 0, v2, s[0:1]
	v_cmp_gt_i32_e64 s[0:1], s17, v35
	s_nop 1
	v_cndmask_b32_e64 v54, 0, v54, s[0:1]
	;; [unrolled: 3-line block ×8, first 2 shown]
.LBB141_142:                            ;   in Loop: Header=BB141_40 Depth=1
	s_or_b64 exec, exec, s[10:11]
	v_lshlrev_b32_e32 v2, 16, v2
	v_mul_f32_e32 v2, v37, v2
	v_and_b32_e32 v53, 0x7f800000, v2
	v_cmp_ne_u32_e64 s[0:1], s15, v53
                                        ; implicit-def: $vgpr53
	s_and_saveexec_b64 s[10:11], s[0:1]
	s_xor_b64 s[0:1], exec, s[10:11]
; %bb.143:                              ;   in Loop: Header=BB141_40 Depth=1
	v_bfe_u32 v53, v2, 16, 1
	v_add3_u32 v53, v2, v53, s22
                                        ; implicit-def: $vgpr2
; %bb.144:                              ;   in Loop: Header=BB141_40 Depth=1
	s_andn2_saveexec_b64 s[10:11], s[0:1]
; %bb.145:                              ;   in Loop: Header=BB141_40 Depth=1
	v_or_b32_e32 v53, 0x10000, v2
	v_cmp_eq_u32_sdwa s[0:1], v2, v15 src0_sel:WORD_0 src1_sel:DWORD
	s_nop 1
	v_cndmask_b32_e64 v53, v53, v2, s[0:1]
; %bb.146:                              ;   in Loop: Header=BB141_40 Depth=1
	s_or_b64 exec, exec, s[10:11]
	v_lshlrev_b32_e32 v2, 16, v54
	v_mul_f32_e32 v2, v38, v2
	v_and_b32_e32 v54, 0x7f800000, v2
	v_cmp_ne_u32_e64 s[0:1], s15, v54
                                        ; implicit-def: $vgpr54
	s_and_saveexec_b64 s[10:11], s[0:1]
	s_xor_b64 s[0:1], exec, s[10:11]
; %bb.147:                              ;   in Loop: Header=BB141_40 Depth=1
	v_bfe_u32 v54, v2, 16, 1
	v_add3_u32 v54, v2, v54, s22
                                        ; implicit-def: $vgpr2
; %bb.148:                              ;   in Loop: Header=BB141_40 Depth=1
	s_andn2_saveexec_b64 s[10:11], s[0:1]
; %bb.149:                              ;   in Loop: Header=BB141_40 Depth=1
	v_or_b32_e32 v54, 0x10000, v2
	v_cmp_eq_u32_sdwa s[0:1], v2, v15 src0_sel:WORD_0 src1_sel:DWORD
	s_nop 1
	v_cndmask_b32_e64 v54, v54, v2, s[0:1]
; %bb.150:                              ;   in Loop: Header=BB141_40 Depth=1
	s_or_b64 exec, exec, s[10:11]
	v_lshlrev_b32_e32 v2, 16, v3
	v_mul_f32_e32 v2, v39, v2
	v_and_b32_e32 v3, 0x7f800000, v2
	v_cmp_ne_u32_e64 s[0:1], s15, v3
                                        ; implicit-def: $vgpr55
	s_and_saveexec_b64 s[10:11], s[0:1]
	s_xor_b64 s[0:1], exec, s[10:11]
; %bb.151:                              ;   in Loop: Header=BB141_40 Depth=1
	v_bfe_u32 v3, v2, 16, 1
	v_add3_u32 v55, v2, v3, s22
                                        ; implicit-def: $vgpr2
; %bb.152:                              ;   in Loop: Header=BB141_40 Depth=1
	s_andn2_saveexec_b64 s[10:11], s[0:1]
; %bb.153:                              ;   in Loop: Header=BB141_40 Depth=1
	v_or_b32_e32 v3, 0x10000, v2
	v_cmp_eq_u32_sdwa s[0:1], v2, v15 src0_sel:WORD_0 src1_sel:DWORD
	s_nop 1
	v_cndmask_b32_e64 v55, v3, v2, s[0:1]
; %bb.154:                              ;   in Loop: Header=BB141_40 Depth=1
	s_or_b64 exec, exec, s[10:11]
	v_lshlrev_b32_e32 v2, 16, v56
	v_mul_f32_e32 v2, v40, v2
	v_and_b32_e32 v3, 0x7f800000, v2
	v_cmp_ne_u32_e64 s[0:1], s15, v3
                                        ; implicit-def: $vgpr56
	s_and_saveexec_b64 s[10:11], s[0:1]
	s_xor_b64 s[0:1], exec, s[10:11]
; %bb.155:                              ;   in Loop: Header=BB141_40 Depth=1
	v_bfe_u32 v3, v2, 16, 1
	v_add3_u32 v56, v2, v3, s22
                                        ; implicit-def: $vgpr2
; %bb.156:                              ;   in Loop: Header=BB141_40 Depth=1
	s_andn2_saveexec_b64 s[10:11], s[0:1]
; %bb.157:                              ;   in Loop: Header=BB141_40 Depth=1
	v_or_b32_e32 v3, 0x10000, v2
	v_cmp_eq_u32_sdwa s[0:1], v2, v15 src0_sel:WORD_0 src1_sel:DWORD
	s_nop 1
	v_cndmask_b32_e64 v56, v3, v2, s[0:1]
; %bb.158:                              ;   in Loop: Header=BB141_40 Depth=1
	s_or_b64 exec, exec, s[10:11]
	v_lshlrev_b32_e32 v2, 16, v4
	v_mul_f32_e32 v2, v41, v2
	v_and_b32_e32 v3, 0x7f800000, v2
	v_cmp_ne_u32_e64 s[0:1], s15, v3
                                        ; implicit-def: $vgpr57
	s_and_saveexec_b64 s[10:11], s[0:1]
	s_xor_b64 s[0:1], exec, s[10:11]
; %bb.159:                              ;   in Loop: Header=BB141_40 Depth=1
	v_bfe_u32 v3, v2, 16, 1
	v_add3_u32 v57, v2, v3, s22
                                        ; implicit-def: $vgpr2
; %bb.160:                              ;   in Loop: Header=BB141_40 Depth=1
	s_andn2_saveexec_b64 s[10:11], s[0:1]
; %bb.161:                              ;   in Loop: Header=BB141_40 Depth=1
	v_or_b32_e32 v3, 0x10000, v2
	v_cmp_eq_u32_sdwa s[0:1], v2, v15 src0_sel:WORD_0 src1_sel:DWORD
	s_nop 1
	v_cndmask_b32_e64 v57, v3, v2, s[0:1]
; %bb.162:                              ;   in Loop: Header=BB141_40 Depth=1
	s_or_b64 exec, exec, s[10:11]
	v_lshlrev_b32_e32 v2, 16, v58
	v_mul_f32_e32 v2, v42, v2
	v_and_b32_e32 v3, 0x7f800000, v2
	v_cmp_ne_u32_e64 s[0:1], s15, v3
                                        ; implicit-def: $vgpr58
	s_and_saveexec_b64 s[10:11], s[0:1]
	s_xor_b64 s[0:1], exec, s[10:11]
; %bb.163:                              ;   in Loop: Header=BB141_40 Depth=1
	v_bfe_u32 v3, v2, 16, 1
	v_add3_u32 v58, v2, v3, s22
                                        ; implicit-def: $vgpr2
; %bb.164:                              ;   in Loop: Header=BB141_40 Depth=1
	s_andn2_saveexec_b64 s[10:11], s[0:1]
; %bb.165:                              ;   in Loop: Header=BB141_40 Depth=1
	v_or_b32_e32 v3, 0x10000, v2
	v_cmp_eq_u32_sdwa s[0:1], v2, v15 src0_sel:WORD_0 src1_sel:DWORD
	s_nop 1
	v_cndmask_b32_e64 v58, v3, v2, s[0:1]
; %bb.166:                              ;   in Loop: Header=BB141_40 Depth=1
	s_or_b64 exec, exec, s[10:11]
	v_lshlrev_b32_e32 v2, 16, v5
	v_mul_f32_e32 v2, v43, v2
	v_and_b32_e32 v3, 0x7f800000, v2
	v_cmp_ne_u32_e64 s[0:1], s15, v3
                                        ; implicit-def: $vgpr59
	s_and_saveexec_b64 s[10:11], s[0:1]
	s_xor_b64 s[0:1], exec, s[10:11]
; %bb.167:                              ;   in Loop: Header=BB141_40 Depth=1
	v_bfe_u32 v3, v2, 16, 1
	v_add3_u32 v59, v2, v3, s22
                                        ; implicit-def: $vgpr2
; %bb.168:                              ;   in Loop: Header=BB141_40 Depth=1
	s_andn2_saveexec_b64 s[10:11], s[0:1]
; %bb.169:                              ;   in Loop: Header=BB141_40 Depth=1
	v_or_b32_e32 v3, 0x10000, v2
	v_cmp_eq_u32_sdwa s[0:1], v2, v15 src0_sel:WORD_0 src1_sel:DWORD
	s_nop 1
	v_cndmask_b32_e64 v59, v3, v2, s[0:1]
; %bb.170:                              ;   in Loop: Header=BB141_40 Depth=1
	s_or_b64 exec, exec, s[10:11]
	v_lshlrev_b32_e32 v2, 16, v60
	v_mul_f32_e32 v2, v44, v2
	v_and_b32_e32 v3, 0x7f800000, v2
	v_cmp_ne_u32_e64 s[0:1], s15, v3
                                        ; implicit-def: $vgpr60
	s_and_saveexec_b64 s[10:11], s[0:1]
	s_xor_b64 s[0:1], exec, s[10:11]
; %bb.171:                              ;   in Loop: Header=BB141_40 Depth=1
	v_bfe_u32 v3, v2, 16, 1
	v_add3_u32 v60, v2, v3, s22
                                        ; implicit-def: $vgpr2
; %bb.172:                              ;   in Loop: Header=BB141_40 Depth=1
	s_andn2_saveexec_b64 s[10:11], s[0:1]
; %bb.173:                              ;   in Loop: Header=BB141_40 Depth=1
	v_or_b32_e32 v3, 0x10000, v2
	v_cmp_eq_u32_sdwa s[0:1], v2, v15 src0_sel:WORD_0 src1_sel:DWORD
	s_nop 1
	v_cndmask_b32_e64 v60, v3, v2, s[0:1]
; %bb.174:                              ;   in Loop: Header=BB141_40 Depth=1
	s_or_b64 exec, exec, s[10:11]
	global_load_dwordx4 v[2:5], v[6:7], off offset:3072
	s_waitcnt vmcnt(0)
	v_lshrrev_b32_e32 v6, 16, v2
	v_lshrrev_b32_e32 v62, 16, v3
	;; [unrolled: 1-line block ×4, first 2 shown]
	s_and_saveexec_b64 s[0:1], vcc
	s_cbranch_execz .LBB141_176
; %bb.175:                              ;   in Loop: Header=BB141_40 Depth=1
	v_cmp_gt_i32_e32 vcc, s17, v29
	s_nop 1
	v_cndmask_b32_e32 v2, 0, v2, vcc
	v_cmp_gt_i32_e32 vcc, s17, v35
	s_nop 1
	v_cndmask_b32_e32 v6, 0, v6, vcc
	v_cmp_gt_i32_e32 vcc, s17, v33
	s_nop 1
	v_cndmask_b32_e32 v3, 0, v3, vcc
	v_cmp_gt_i32_e32 vcc, s17, v32
	s_nop 1
	v_cndmask_b32_e32 v62, 0, v62, vcc
	v_cmp_gt_i32_e32 vcc, s17, v31
	s_nop 1
	v_cndmask_b32_e32 v4, 0, v4, vcc
	v_cmp_gt_i32_e32 vcc, s17, v30
	s_nop 1
	v_cndmask_b32_e32 v61, 0, v61, vcc
	v_cmp_gt_i32_e32 vcc, s17, v34
	s_nop 1
	v_cndmask_b32_e32 v5, 0, v5, vcc
	v_cmp_gt_i32_e32 vcc, s17, v23
	s_nop 1
	v_cndmask_b32_e32 v7, 0, v7, vcc
.LBB141_176:                            ;   in Loop: Header=BB141_40 Depth=1
	s_or_b64 exec, exec, s[0:1]
	v_lshlrev_b32_e32 v2, 16, v2
	v_mul_f32_e32 v29, v37, v2
	v_and_b32_e32 v2, 0x7f800000, v29
	v_cmp_ne_u32_e32 vcc, s15, v2
                                        ; implicit-def: $vgpr2
	s_and_saveexec_b64 s[0:1], vcc
	s_xor_b64 s[0:1], exec, s[0:1]
; %bb.177:                              ;   in Loop: Header=BB141_40 Depth=1
	v_bfe_u32 v2, v29, 16, 1
	v_add3_u32 v2, v29, v2, s22
                                        ; implicit-def: $vgpr29
; %bb.178:                              ;   in Loop: Header=BB141_40 Depth=1
	s_andn2_saveexec_b64 s[0:1], s[0:1]
; %bb.179:                              ;   in Loop: Header=BB141_40 Depth=1
	v_or_b32_e32 v2, 0x10000, v29
	v_cmp_eq_u32_sdwa vcc, v29, v15 src0_sel:WORD_0 src1_sel:DWORD
	s_nop 1
	v_cndmask_b32_e32 v2, v2, v29, vcc
; %bb.180:                              ;   in Loop: Header=BB141_40 Depth=1
	s_or_b64 exec, exec, s[0:1]
	v_lshlrev_b32_e32 v6, 16, v6
	v_mul_f32_e32 v29, v38, v6
	v_and_b32_e32 v6, 0x7f800000, v29
	v_cmp_ne_u32_e32 vcc, s15, v6
                                        ; implicit-def: $vgpr6
	s_and_saveexec_b64 s[0:1], vcc
	s_xor_b64 s[0:1], exec, s[0:1]
; %bb.181:                              ;   in Loop: Header=BB141_40 Depth=1
	v_bfe_u32 v6, v29, 16, 1
	v_add3_u32 v6, v29, v6, s22
                                        ; implicit-def: $vgpr29
; %bb.182:                              ;   in Loop: Header=BB141_40 Depth=1
	s_andn2_saveexec_b64 s[0:1], s[0:1]
; %bb.183:                              ;   in Loop: Header=BB141_40 Depth=1
	v_or_b32_e32 v6, 0x10000, v29
	v_cmp_eq_u32_sdwa vcc, v29, v15 src0_sel:WORD_0 src1_sel:DWORD
	s_nop 1
	v_cndmask_b32_e32 v6, v6, v29, vcc
; %bb.184:                              ;   in Loop: Header=BB141_40 Depth=1
	s_or_b64 exec, exec, s[0:1]
	v_lshlrev_b32_e32 v3, 16, v3
	v_mul_f32_e32 v29, v39, v3
	v_and_b32_e32 v3, 0x7f800000, v29
	v_cmp_ne_u32_e32 vcc, s15, v3
                                        ; implicit-def: $vgpr3
	s_and_saveexec_b64 s[0:1], vcc
	s_xor_b64 s[0:1], exec, s[0:1]
; %bb.185:                              ;   in Loop: Header=BB141_40 Depth=1
	v_bfe_u32 v3, v29, 16, 1
	v_add3_u32 v3, v29, v3, s22
                                        ; implicit-def: $vgpr29
; %bb.186:                              ;   in Loop: Header=BB141_40 Depth=1
	s_andn2_saveexec_b64 s[0:1], s[0:1]
; %bb.187:                              ;   in Loop: Header=BB141_40 Depth=1
	v_or_b32_e32 v3, 0x10000, v29
	v_cmp_eq_u32_sdwa vcc, v29, v15 src0_sel:WORD_0 src1_sel:DWORD
	s_nop 1
	v_cndmask_b32_e32 v3, v3, v29, vcc
; %bb.188:                              ;   in Loop: Header=BB141_40 Depth=1
	s_or_b64 exec, exec, s[0:1]
	v_lshlrev_b32_e32 v29, 16, v62
	v_mul_f32_e32 v30, v40, v29
	v_and_b32_e32 v29, 0x7f800000, v30
	v_cmp_ne_u32_e32 vcc, s15, v29
                                        ; implicit-def: $vgpr29
	s_and_saveexec_b64 s[0:1], vcc
	s_xor_b64 s[0:1], exec, s[0:1]
; %bb.189:                              ;   in Loop: Header=BB141_40 Depth=1
	v_bfe_u32 v29, v30, 16, 1
	v_add3_u32 v29, v30, v29, s22
                                        ; implicit-def: $vgpr30
; %bb.190:                              ;   in Loop: Header=BB141_40 Depth=1
	s_andn2_saveexec_b64 s[0:1], s[0:1]
; %bb.191:                              ;   in Loop: Header=BB141_40 Depth=1
	v_or_b32_e32 v29, 0x10000, v30
	v_cmp_eq_u32_sdwa vcc, v30, v15 src0_sel:WORD_0 src1_sel:DWORD
	s_nop 1
	v_cndmask_b32_e32 v29, v29, v30, vcc
; %bb.192:                              ;   in Loop: Header=BB141_40 Depth=1
	s_or_b64 exec, exec, s[0:1]
	v_lshlrev_b32_e32 v4, 16, v4
	v_mul_f32_e32 v30, v41, v4
	v_and_b32_e32 v4, 0x7f800000, v30
	v_cmp_ne_u32_e32 vcc, s15, v4
                                        ; implicit-def: $vgpr4
	s_and_saveexec_b64 s[0:1], vcc
	s_xor_b64 s[0:1], exec, s[0:1]
; %bb.193:                              ;   in Loop: Header=BB141_40 Depth=1
	v_bfe_u32 v4, v30, 16, 1
	v_add3_u32 v4, v30, v4, s22
                                        ; implicit-def: $vgpr30
; %bb.194:                              ;   in Loop: Header=BB141_40 Depth=1
	s_andn2_saveexec_b64 s[0:1], s[0:1]
; %bb.195:                              ;   in Loop: Header=BB141_40 Depth=1
	v_or_b32_e32 v4, 0x10000, v30
	v_cmp_eq_u32_sdwa vcc, v30, v15 src0_sel:WORD_0 src1_sel:DWORD
	s_nop 1
	v_cndmask_b32_e32 v4, v4, v30, vcc
; %bb.196:                              ;   in Loop: Header=BB141_40 Depth=1
	s_or_b64 exec, exec, s[0:1]
	v_lshlrev_b32_e32 v30, 16, v61
	v_mul_f32_e32 v31, v42, v30
	v_and_b32_e32 v30, 0x7f800000, v31
	v_cmp_ne_u32_e32 vcc, s15, v30
                                        ; implicit-def: $vgpr30
	s_and_saveexec_b64 s[0:1], vcc
	s_xor_b64 s[0:1], exec, s[0:1]
; %bb.197:                              ;   in Loop: Header=BB141_40 Depth=1
	v_bfe_u32 v30, v31, 16, 1
	v_add3_u32 v30, v31, v30, s22
                                        ; implicit-def: $vgpr31
; %bb.198:                              ;   in Loop: Header=BB141_40 Depth=1
	s_andn2_saveexec_b64 s[0:1], s[0:1]
; %bb.199:                              ;   in Loop: Header=BB141_40 Depth=1
	v_or_b32_e32 v30, 0x10000, v31
	v_cmp_eq_u32_sdwa vcc, v31, v15 src0_sel:WORD_0 src1_sel:DWORD
	s_nop 1
	v_cndmask_b32_e32 v30, v30, v31, vcc
; %bb.200:                              ;   in Loop: Header=BB141_40 Depth=1
	s_or_b64 exec, exec, s[0:1]
	v_lshlrev_b32_e32 v5, 16, v5
	v_mul_f32_e32 v31, v43, v5
	v_and_b32_e32 v5, 0x7f800000, v31
	v_cmp_ne_u32_e32 vcc, s15, v5
                                        ; implicit-def: $vgpr5
	s_and_saveexec_b64 s[0:1], vcc
	s_xor_b64 s[0:1], exec, s[0:1]
; %bb.201:                              ;   in Loop: Header=BB141_40 Depth=1
	v_bfe_u32 v5, v31, 16, 1
	v_add3_u32 v5, v31, v5, s22
                                        ; implicit-def: $vgpr31
; %bb.202:                              ;   in Loop: Header=BB141_40 Depth=1
	s_andn2_saveexec_b64 s[0:1], s[0:1]
; %bb.203:                              ;   in Loop: Header=BB141_40 Depth=1
	v_or_b32_e32 v5, 0x10000, v31
	v_cmp_eq_u32_sdwa vcc, v31, v15 src0_sel:WORD_0 src1_sel:DWORD
	s_nop 1
	v_cndmask_b32_e32 v5, v5, v31, vcc
; %bb.204:                              ;   in Loop: Header=BB141_40 Depth=1
	s_or_b64 exec, exec, s[0:1]
	v_lshlrev_b32_e32 v7, 16, v7
	v_mul_f32_e32 v31, v44, v7
	v_and_b32_e32 v7, 0x7f800000, v31
	v_cmp_ne_u32_e32 vcc, s15, v7
                                        ; implicit-def: $vgpr7
	s_and_saveexec_b64 s[0:1], vcc
	s_xor_b64 s[0:1], exec, s[0:1]
; %bb.205:                              ;   in Loop: Header=BB141_40 Depth=1
	v_bfe_u32 v7, v31, 16, 1
	v_add3_u32 v7, v31, v7, s22
                                        ; implicit-def: $vgpr31
; %bb.206:                              ;   in Loop: Header=BB141_40 Depth=1
	s_andn2_saveexec_b64 s[0:1], s[0:1]
	s_cbranch_execz .LBB141_39
; %bb.207:                              ;   in Loop: Header=BB141_40 Depth=1
	v_or_b32_e32 v7, 0x10000, v31
	v_cmp_eq_u32_sdwa vcc, v31, v15 src0_sel:WORD_0 src1_sel:DWORD
	s_nop 1
	v_cndmask_b32_e32 v7, v7, v31, vcc
	s_branch .LBB141_39
.LBB141_208:
	s_or_b64 exec, exec, s[2:3]
.LBB141_209:
	s_or_b64 exec, exec, s[8:9]
	ds_bpermute_b32 v2, v21, v12
	ds_bpermute_b32 v3, v21, v13
	;; [unrolled: 1-line block ×4, first 2 shown]
	v_and_b32_e32 v1, 0x3c1, v0
	v_cmp_eq_u32_e32 vcc, 64, v1
	s_waitcnt lgkmcnt(2)
	v_pk_add_f32 v[4:5], v[12:13], v[2:3]
	s_waitcnt lgkmcnt(0)
	v_pk_add_f32 v[2:3], v[10:11], v[6:7]
	s_barrier
	s_and_saveexec_b64 s[0:1], vcc
	s_cbranch_execz .LBB141_211
; %bb.210:
	v_mov_b32_e32 v1, 0x110
	v_lshl_add_u32 v1, v20, 1, v1
	ds_write2_b32 v1, v4, v5 offset1:32
	ds_write2_b32 v1, v2, v3 offset0:64 offset1:96
.LBB141_211:
	s_or_b64 exec, exec, s[0:1]
	s_waitcnt lgkmcnt(0)
	s_barrier
	s_and_saveexec_b64 s[0:1], s[6:7]
	s_cbranch_execz .LBB141_218
; %bb.212:
	v_cmp_eq_u32_e32 vcc, 0, v22
	v_lshrrev_b32_e32 v1, 1, v0
	s_and_saveexec_b64 s[2:3], vcc
	s_cbranch_execnz .LBB141_238
; %bb.213:
	s_or_b64 exec, exec, s[2:3]
	s_and_saveexec_b64 s[2:3], vcc
	s_cbranch_execnz .LBB141_239
.LBB141_214:
	s_or_b64 exec, exec, s[2:3]
	s_and_saveexec_b64 s[2:3], vcc
	s_cbranch_execnz .LBB141_240
.LBB141_215:
	s_or_b64 exec, exec, s[2:3]
	s_and_saveexec_b64 s[2:3], vcc
	s_cbranch_execz .LBB141_217
.LBB141_216:
	v_mov_b32_e32 v6, 0x110
	v_lshl_add_u32 v1, v1, 2, v6
	ds_read_b32 v1, v1 offset:384
	s_waitcnt lgkmcnt(0)
	v_add_f32_e32 v3, v3, v1
.LBB141_217:
	s_or_b64 exec, exec, s[2:3]
.LBB141_218:
	s_or_b64 exec, exec, s[0:1]
	s_barrier
	s_and_saveexec_b64 s[0:1], s[6:7]
	s_cbranch_execz .LBB141_237
; %bb.219:
	v_cmp_eq_u32_e32 vcc, 0, v22
	s_and_b64 exec, exec, vcc
	s_cbranch_execz .LBB141_237
; %bb.220:
	s_mov_b32 s0, 0x7f800000
	v_and_b32_e32 v1, 0x7f800000, v4
	v_cmp_ne_u32_e32 vcc, s0, v1
                                        ; implicit-def: $vgpr6
	s_and_saveexec_b64 s[0:1], vcc
	s_xor_b64 s[0:1], exec, s[0:1]
; %bb.221:
	v_bfe_u32 v1, v4, 16, 1
	s_movk_i32 s2, 0x7fff
	v_add3_u32 v6, v4, v1, s2
; %bb.222:
	s_andn2_saveexec_b64 s[0:1], s[0:1]
; %bb.223:
	v_mov_b32_e32 v1, 0
	v_or_b32_e32 v6, 0x10000, v4
	v_cmp_eq_u32_sdwa vcc, v4, v1 src0_sel:WORD_0 src1_sel:DWORD
	s_nop 1
	v_cndmask_b32_e32 v6, v6, v4, vcc
; %bb.224:
	s_or_b64 exec, exec, s[0:1]
	s_mul_i32 s0, s16, s12
	s_mul_i32 s0, s0, s5
	s_lshl_b32 s0, s0, 7
	s_ashr_i32 s1, s0, 31
	s_lshl_b64 s[0:1], s[0:1], 1
	s_add_u32 s2, s20, s0
	s_mul_i32 s0, s12, s18
	s_addc_u32 s3, s21, s1
	s_ashr_i32 s1, s0, 31
	s_lshl_b64 s[0:1], s[0:1], 1
	s_add_u32 s2, s2, s0
	s_addc_u32 s3, s3, s1
	s_lshl_b32 s0, s4, 7
	s_ashr_i32 s1, s0, 31
	s_lshl_b64 s[0:1], s[0:1], 1
	s_add_u32 s0, s2, s0
	s_mov_b32 s2, 0x7f800000
	v_and_b32_e32 v4, 0x7f800000, v5
	s_addc_u32 s1, s3, s1
	v_and_b32_e32 v0, 0x3fe, v0
	v_mov_b32_e32 v1, 0
	v_cmp_ne_u32_e32 vcc, s2, v4
	global_store_short_d16_hi v0, v6, s[0:1]
                                        ; implicit-def: $vgpr4
	s_and_saveexec_b64 s[2:3], vcc
	s_xor_b64 s[2:3], exec, s[2:3]
; %bb.225:
	v_bfe_u32 v4, v5, 16, 1
	s_movk_i32 s4, 0x7fff
	v_add3_u32 v4, v5, v4, s4
; %bb.226:
	s_or_saveexec_b64 s[2:3], s[2:3]
	v_lshl_add_u64 v[6:7], s[0:1], 0, v[0:1]
	s_xor_b64 exec, exec, s[2:3]
; %bb.227:
	v_mov_b32_e32 v0, 0
	v_or_b32_e32 v1, 0x10000, v5
	v_cmp_eq_u32_sdwa vcc, v5, v0 src0_sel:WORD_0 src1_sel:DWORD
	s_nop 1
	v_cndmask_b32_e32 v4, v1, v5, vcc
; %bb.228:
	s_or_b64 exec, exec, s[2:3]
	s_mov_b32 s0, 0x7f800000
	v_and_b32_e32 v0, 0x7f800000, v2
	v_cmp_ne_u32_e32 vcc, s0, v0
	global_store_short_d16_hi v[6:7], v4, off offset:64
                                        ; implicit-def: $vgpr0
	s_and_saveexec_b64 s[0:1], vcc
	s_xor_b64 s[0:1], exec, s[0:1]
; %bb.229:
	v_bfe_u32 v0, v2, 16, 1
	s_movk_i32 s2, 0x7fff
	v_add3_u32 v0, v2, v0, s2
; %bb.230:
	s_andn2_saveexec_b64 s[0:1], s[0:1]
; %bb.231:
	v_mov_b32_e32 v0, 0
	v_or_b32_e32 v1, 0x10000, v2
	v_cmp_eq_u32_sdwa vcc, v2, v0 src0_sel:WORD_0 src1_sel:DWORD
	s_nop 1
	v_cndmask_b32_e32 v0, v1, v2, vcc
; %bb.232:
	s_or_b64 exec, exec, s[0:1]
	global_store_short_d16_hi v[6:7], v0, off offset:128
	s_mov_b32 s0, 0x7f800000
	v_and_b32_e32 v0, 0x7f800000, v3
	v_cmp_ne_u32_e32 vcc, s0, v0
                                        ; implicit-def: $vgpr4
	s_and_saveexec_b64 s[0:1], vcc
	s_xor_b64 s[0:1], exec, s[0:1]
; %bb.233:
	v_bfe_u32 v0, v3, 16, 1
	s_movk_i32 s2, 0x7fff
	v_add3_u32 v4, v3, v0, s2
                                        ; implicit-def: $vgpr0_vgpr1_vgpr2_vgpr3
; %bb.234:
	s_andn2_saveexec_b64 s[0:1], s[0:1]
; %bb.235:
	v_mov_b32_e32 v0, 0
	v_or_b32_e32 v1, 0x10000, v3
	v_cmp_eq_u32_sdwa vcc, v3, v0 src0_sel:WORD_0 src1_sel:DWORD
	s_nop 1
	v_cndmask_b32_e32 v4, v1, v3, vcc
; %bb.236:
	s_or_b64 exec, exec, s[0:1]
	global_store_short_d16_hi v[6:7], v4, off offset:192
.LBB141_237:
	s_endpgm
.LBB141_238:
	v_mov_b32_e32 v6, 0x110
	v_lshl_add_u32 v6, v1, 2, v6
	ds_read_b32 v6, v6
	s_waitcnt lgkmcnt(0)
	v_add_f32_e32 v4, v4, v6
	s_or_b64 exec, exec, s[2:3]
	s_and_saveexec_b64 s[2:3], vcc
	s_cbranch_execz .LBB141_214
.LBB141_239:
	v_mov_b32_e32 v6, 0x110
	v_lshl_add_u32 v6, v1, 2, v6
	ds_read_b32 v6, v6 offset:128
	s_waitcnt lgkmcnt(0)
	v_add_f32_e32 v5, v5, v6
	s_or_b64 exec, exec, s[2:3]
	s_and_saveexec_b64 s[2:3], vcc
	s_cbranch_execz .LBB141_215
.LBB141_240:
	v_mov_b32_e32 v6, 0x110
	v_lshl_add_u32 v6, v1, 2, v6
	ds_read_b32 v6, v6 offset:256
	s_waitcnt lgkmcnt(0)
	v_add_f32_e32 v2, v2, v6
	s_or_b64 exec, exec, s[2:3]
	s_and_saveexec_b64 s[2:3], vcc
	s_cbranch_execnz .LBB141_216
	s_branch .LBB141_217
	.section	.rodata,"a",@progbits
	.p2align	6, 0x0
	.amdhsa_kernel _ZN4vllm25paged_attention_v1_kernelI14__hip_bfloat16S1_Li128ELi16ELi128ELNS_18Fp8KVCacheDataTypeE0ELb0EEEvPT_PKS3_PKT0_S9_ifPKiSB_iPKfiiiSD_SD_iiiii
		.amdhsa_group_segment_fixed_size 272
		.amdhsa_private_segment_fixed_size 0
		.amdhsa_kernarg_size 384
		.amdhsa_user_sgpr_count 2
		.amdhsa_user_sgpr_dispatch_ptr 0
		.amdhsa_user_sgpr_queue_ptr 0
		.amdhsa_user_sgpr_kernarg_segment_ptr 1
		.amdhsa_user_sgpr_dispatch_id 0
		.amdhsa_user_sgpr_kernarg_preload_length 0
		.amdhsa_user_sgpr_kernarg_preload_offset 0
		.amdhsa_user_sgpr_private_segment_size 0
		.amdhsa_uses_dynamic_stack 0
		.amdhsa_enable_private_segment 0
		.amdhsa_system_sgpr_workgroup_id_x 1
		.amdhsa_system_sgpr_workgroup_id_y 1
		.amdhsa_system_sgpr_workgroup_id_z 1
		.amdhsa_system_sgpr_workgroup_info 0
		.amdhsa_system_vgpr_workitem_id 0
		.amdhsa_next_free_vgpr 77
		.amdhsa_next_free_sgpr 36
		.amdhsa_accum_offset 80
		.amdhsa_reserve_vcc 1
		.amdhsa_float_round_mode_32 0
		.amdhsa_float_round_mode_16_64 0
		.amdhsa_float_denorm_mode_32 3
		.amdhsa_float_denorm_mode_16_64 3
		.amdhsa_dx10_clamp 1
		.amdhsa_ieee_mode 1
		.amdhsa_fp16_overflow 0
		.amdhsa_tg_split 0
		.amdhsa_exception_fp_ieee_invalid_op 0
		.amdhsa_exception_fp_denorm_src 0
		.amdhsa_exception_fp_ieee_div_zero 0
		.amdhsa_exception_fp_ieee_overflow 0
		.amdhsa_exception_fp_ieee_underflow 0
		.amdhsa_exception_fp_ieee_inexact 0
		.amdhsa_exception_int_div_zero 0
	.end_amdhsa_kernel
	.section	.text._ZN4vllm25paged_attention_v1_kernelI14__hip_bfloat16S1_Li128ELi16ELi128ELNS_18Fp8KVCacheDataTypeE0ELb0EEEvPT_PKS3_PKT0_S9_ifPKiSB_iPKfiiiSD_SD_iiiii,"axG",@progbits,_ZN4vllm25paged_attention_v1_kernelI14__hip_bfloat16S1_Li128ELi16ELi128ELNS_18Fp8KVCacheDataTypeE0ELb0EEEvPT_PKS3_PKT0_S9_ifPKiSB_iPKfiiiSD_SD_iiiii,comdat
.Lfunc_end141:
	.size	_ZN4vllm25paged_attention_v1_kernelI14__hip_bfloat16S1_Li128ELi16ELi128ELNS_18Fp8KVCacheDataTypeE0ELb0EEEvPT_PKS3_PKT0_S9_ifPKiSB_iPKfiiiSD_SD_iiiii, .Lfunc_end141-_ZN4vllm25paged_attention_v1_kernelI14__hip_bfloat16S1_Li128ELi16ELi128ELNS_18Fp8KVCacheDataTypeE0ELb0EEEvPT_PKS3_PKT0_S9_ifPKiSB_iPKfiiiSD_SD_iiiii
                                        ; -- End function
	.section	.AMDGPU.csdata,"",@progbits
; Kernel info:
; codeLenInByte = 8612
; NumSgprs: 42
; NumVgprs: 77
; NumAgprs: 0
; TotalNumVgprs: 77
; ScratchSize: 0
; MemoryBound: 0
; FloatMode: 240
; IeeeMode: 1
; LDSByteSize: 272 bytes/workgroup (compile time only)
; SGPRBlocks: 5
; VGPRBlocks: 9
; NumSGPRsForWavesPerEU: 42
; NumVGPRsForWavesPerEU: 77
; AccumOffset: 80
; Occupancy: 6
; WaveLimiterHint : 1
; COMPUTE_PGM_RSRC2:SCRATCH_EN: 0
; COMPUTE_PGM_RSRC2:USER_SGPR: 2
; COMPUTE_PGM_RSRC2:TRAP_HANDLER: 0
; COMPUTE_PGM_RSRC2:TGID_X_EN: 1
; COMPUTE_PGM_RSRC2:TGID_Y_EN: 1
; COMPUTE_PGM_RSRC2:TGID_Z_EN: 1
; COMPUTE_PGM_RSRC2:TIDIG_COMP_CNT: 0
; COMPUTE_PGM_RSRC3_GFX90A:ACCUM_OFFSET: 19
; COMPUTE_PGM_RSRC3_GFX90A:TG_SPLIT: 0
	.section	.text._ZN4vllm25paged_attention_v1_kernelI14__hip_bfloat16S1_Li192ELi16ELi128ELNS_18Fp8KVCacheDataTypeE0ELb0EEEvPT_PKS3_PKT0_S9_ifPKiSB_iPKfiiiSD_SD_iiiii,"axG",@progbits,_ZN4vllm25paged_attention_v1_kernelI14__hip_bfloat16S1_Li192ELi16ELi128ELNS_18Fp8KVCacheDataTypeE0ELb0EEEvPT_PKS3_PKT0_S9_ifPKiSB_iPKfiiiSD_SD_iiiii,comdat
	.protected	_ZN4vllm25paged_attention_v1_kernelI14__hip_bfloat16S1_Li192ELi16ELi128ELNS_18Fp8KVCacheDataTypeE0ELb0EEEvPT_PKS3_PKT0_S9_ifPKiSB_iPKfiiiSD_SD_iiiii ; -- Begin function _ZN4vllm25paged_attention_v1_kernelI14__hip_bfloat16S1_Li192ELi16ELi128ELNS_18Fp8KVCacheDataTypeE0ELb0EEEvPT_PKS3_PKT0_S9_ifPKiSB_iPKfiiiSD_SD_iiiii
	.globl	_ZN4vllm25paged_attention_v1_kernelI14__hip_bfloat16S1_Li192ELi16ELi128ELNS_18Fp8KVCacheDataTypeE0ELb0EEEvPT_PKS3_PKT0_S9_ifPKiSB_iPKfiiiSD_SD_iiiii
	.p2align	8
	.type	_ZN4vllm25paged_attention_v1_kernelI14__hip_bfloat16S1_Li192ELi16ELi128ELNS_18Fp8KVCacheDataTypeE0ELb0EEEvPT_PKS3_PKT0_S9_ifPKiSB_iPKfiiiSD_SD_iiiii,@function
_ZN4vllm25paged_attention_v1_kernelI14__hip_bfloat16S1_Li192ELi16ELi128ELNS_18Fp8KVCacheDataTypeE0ELb0EEEvPT_PKS3_PKT0_S9_ifPKiSB_iPKfiiiSD_SD_iiiii: ; @_ZN4vllm25paged_attention_v1_kernelI14__hip_bfloat16S1_Li192ELi16ELi128ELNS_18Fp8KVCacheDataTypeE0ELb0EEEvPT_PKS3_PKT0_S9_ifPKiSB_iPKfiiiSD_SD_iiiii
; %bb.0:
	s_load_dword s5, s[0:1], 0x80
	s_load_dwordx2 s[6:7], s[0:1], 0x30
	s_load_dwordx2 s[8:9], s[0:1], 0x20
	s_mov_b32 s10, s3
	s_ashr_i32 s11, s3, 31
	s_lshl_b64 s[12:13], s[10:11], 2
	s_waitcnt lgkmcnt(0)
	s_add_u32 s6, s6, s12
	s_addc_u32 s7, s7, s13
	s_abs_i32 s3, s8
	v_cvt_f32_u32_e32 v1, s3
	s_sub_i32 s12, 0, s3
	s_abs_i32 s11, s5
	s_xor_b32 s8, s5, s8
	v_rcp_iflag_f32_e32 v1, v1
	s_ashr_i32 s8, s8, 31
	v_mul_f32_e32 v1, 0x4f7ffffe, v1
	v_cvt_u32_f32_e32 v1, v1
	s_nop 0
	v_readfirstlane_b32 s13, v1
	s_mul_i32 s12, s12, s13
	s_mul_hi_u32 s12, s13, s12
	s_add_i32 s13, s13, s12
	s_mul_hi_u32 s12, s11, s13
	s_mul_i32 s13, s12, s3
	s_sub_i32 s11, s11, s13
	s_add_i32 s13, s12, 1
	s_sub_i32 s14, s11, s3
	s_cmp_ge_u32 s11, s3
	s_cselect_b32 s12, s13, s12
	s_cselect_b32 s11, s14, s11
	s_add_i32 s13, s12, 1
	s_cmp_ge_u32 s11, s3
	s_cselect_b32 s3, s13, s12
	s_xor_b32 s3, s3, s8
	s_sub_i32 s14, s3, s8
	s_abs_i32 s11, s14
	v_cvt_f32_u32_e32 v1, s11
	s_load_dwordx2 s[12:13], s[0:1], 0x40
	s_sub_i32 s3, 0, s11
	s_abs_i32 s18, s2
	v_rcp_iflag_f32_e32 v1, v1
	s_mov_b32 s8, 0
	v_mul_f32_e32 v1, 0x4f7ffffe, v1
	v_cvt_u32_f32_e32 v1, v1
	s_nop 0
	v_readfirstlane_b32 s15, v1
	s_mul_i32 s3, s3, s15
	s_mul_hi_u32 s3, s15, s3
	s_add_i32 s15, s15, s3
	s_waitcnt lgkmcnt(0)
	s_cmp_eq_u64 s[12:13], 0
	s_mul_hi_u32 s19, s18, s15
	s_cbranch_scc1 .LBB142_2
; %bb.1:
	s_ashr_i32 s3, s2, 31
	s_lshl_b64 s[16:17], s[2:3], 2
	s_add_u32 s12, s12, s16
	s_addc_u32 s13, s13, s17
	s_load_dword s8, s[12:13], 0x0
.LBB142_2:
	s_load_dword s33, s[6:7], 0x0
	s_ashr_i32 s7, s14, 31
	s_load_dwordx4 s[12:15], s[0:1], 0x48
	s_waitcnt lgkmcnt(0)
	s_movk_i32 s15, 0x60
	s_ashr_i32 s6, s2, 31
	v_and_b32_e32 v4, 3, v0
	s_mul_i32 s16, s2, 0xc0
	v_cmp_gt_u32_e32 vcc, s15, v0
	s_and_saveexec_b64 s[2:3], vcc
	s_cbranch_execz .LBB142_4
; %bb.3:
	s_load_dwordx2 s[20:21], s[0:1], 0x8
	s_mul_i32 s22, s10, s12
	s_ashr_i32 s23, s22, 31
	s_lshl_b64 s[22:23], s[22:23], 1
	v_lshlrev_b32_e32 v1, 2, v0
	s_waitcnt lgkmcnt(0)
	s_add_u32 s12, s20, s22
	s_addc_u32 s22, s21, s23
	s_ashr_i32 s17, s16, 31
	s_lshl_b64 s[20:21], s[16:17], 1
	s_add_u32 s20, s12, s20
	s_addc_u32 s21, s22, s21
	global_load_dword v1, v1, s[20:21]
	v_and_b32_e32 v2, 0x3fc, v0
	v_mad_u32_u24 v2, v4, s15, v2
	s_waitcnt vmcnt(0)
	ds_write_b32 v2, v1
.LBB142_4:
	s_or_b64 exec, exec, s[2:3]
	s_add_i32 s3, s33, 15
	s_ashr_i32 s12, s3, 31
	s_lshr_b32 s12, s12, 28
	s_add_i32 s3, s3, s12
	s_ashr_i32 s17, s3, 4
	s_xor_b32 s3, s6, s7
	s_mul_i32 s6, s19, s11
	s_sub_i32 s6, s18, s6
	s_add_i32 s7, s19, 1
	s_sub_i32 s12, s6, s11
	s_load_dwordx2 s[20:21], s[0:1], 0x28
	s_load_dword s2, s[0:1], 0x38
	s_cmp_ge_u32 s6, s11
	s_cselect_b32 s7, s7, s19
	s_cselect_b32 s6, s12, s6
	s_add_i32 s12, s7, 1
	s_cmp_ge_u32 s6, s11
	s_cselect_b32 s6, s12, s7
	v_lshrrev_b32_e32 v1, 6, v0
	s_xor_b32 s6, s6, s3
	s_waitcnt lgkmcnt(0)
	s_mul_i32 s22, s10, s2
	s_sub_i32 s12, s6, s3
	s_ashr_i32 s23, s22, 31
	v_cmp_gt_i32_e64 s[6:7], s17, v1
	v_cmp_le_i32_e32 vcc, s17, v1
	v_mbcnt_lo_u32_b32 v5, -1, 0
	s_barrier
	s_waitcnt lgkmcnt(0)
                                        ; implicit-def: $sgpr15
                                        ; implicit-def: $vgpr7
                                        ; implicit-def: $vgpr8
	s_and_saveexec_b64 s[2:3], vcc
	s_xor_b64 s[2:3], exec, s[2:3]
; %bb.5:
	v_mbcnt_hi_u32_b32 v7, -1, v5
	v_and_b32_e32 v2, 64, v7
	v_add_u32_e32 v8, 64, v2
	s_mov_b32 s15, 0xff7fffff
                                        ; implicit-def: $vgpr4
                                        ; implicit-def: $vgpr5
; %bb.6:
	s_or_saveexec_b64 s[26:27], s[2:3]
	s_load_dwordx2 s[18:19], s[0:1], 0x0
	s_load_dwordx2 s[24:25], s[0:1], 0x18
	s_load_dword s11, s[0:1], 0x88
	v_mov_b32_e32 v57, s15
	s_mul_i32 s14, s12, s14
	v_lshrrev_b32_e32 v6, 4, v0
	s_xor_b64 exec, exec, s[26:27]
	s_cbranch_execz .LBB142_12
; %bb.7:
	s_load_dwordx2 s[0:1], s[0:1], 0x10
	s_ashr_i32 s15, s14, 31
	s_lshl_b64 s[2:3], s[14:15], 1
	v_bfe_u32 v61, v0, 2, 4
	v_lshlrev_b32_e32 v62, 4, v61
	s_waitcnt lgkmcnt(0)
	s_add_u32 s0, s0, s2
	s_addc_u32 s1, s1, s3
	v_mul_u32_u24_e32 v2, 0x60, v4
	v_mov_b32_e32 v63, 0
	v_lshlrev_b32_e32 v7, 2, v0
	ds_read_b128 v[14:17], v2
	ds_read_b128 v[22:25], v2 offset:16
	ds_read_b128 v[30:33], v2 offset:32
	;; [unrolled: 1-line block ×5, first 2 shown]
	v_lshl_add_u64 v[2:3], s[0:1], 0, v[62:63]
	v_and_b32_e32 v62, 12, v7
	v_mbcnt_hi_u32_b32 v7, -1, v5
	v_and_b32_e32 v5, 64, v7
	v_add_u32_e32 v8, 64, v5
	v_xor_b32_e32 v5, 2, v7
	v_cmp_lt_i32_e32 vcc, v5, v8
	s_sub_i32 s15, 1, s33
	v_lshl_add_u64 v[2:3], v[2:3], 0, v[62:63]
	v_cndmask_b32_e32 v5, v7, v5, vcc
	v_cmp_eq_u32_e32 vcc, 0, v4
	v_xor_b32_e32 v4, 1, v7
	v_cmp_lt_i32_e64 s[0:1], v4, v8
	v_and_b32_e32 v62, 60, v6
	s_mov_b32 s12, s13
	v_cndmask_b32_e64 v4, v7, v4, s[0:1]
	s_lshl_b64 s[0:1], s[22:23], 2
	v_lshlrev_b32_e32 v59, 2, v4
	v_lshlrev_b32_e32 v4, 2, v61
	s_add_u32 s0, s20, s0
	v_lshl_or_b32 v4, v1, 6, v4
	s_addc_u32 s1, s21, s1
	s_waitcnt lgkmcnt(5)
	v_lshlrev_b32_e32 v9, 16, v14
	v_and_b32_e32 v10, 0xffff0000, v14
	v_lshlrev_b32_e32 v11, 16, v15
	v_and_b32_e32 v12, 0xffff0000, v15
	v_lshlrev_b32_e32 v13, 16, v16
	v_and_b32_e32 v14, 0xffff0000, v16
	v_lshlrev_b32_e32 v15, 16, v17
	v_and_b32_e32 v16, 0xffff0000, v17
	s_waitcnt lgkmcnt(4)
	v_lshlrev_b32_e32 v17, 16, v22
	v_and_b32_e32 v18, 0xffff0000, v22
	v_lshlrev_b32_e32 v19, 16, v23
	v_and_b32_e32 v20, 0xffff0000, v23
	v_lshlrev_b32_e32 v21, 16, v24
	v_and_b32_e32 v22, 0xffff0000, v24
	v_lshlrev_b32_e32 v23, 16, v25
	v_and_b32_e32 v24, 0xffff0000, v25
	;; [unrolled: 9-line block ×6, first 2 shown]
	v_lshlrev_b32_e32 v58, 2, v5
	v_cmp_neq_f32_e64 s[2:3], s8, 0
	v_lshl_or_b32 v60, v1, 4, v61
	v_add_u32_e32 v61, 0x190, v4
	v_lshl_add_u64 v[4:5], s[0:1], 0, v[62:63]
	s_mov_b64 s[28:29], 0
	s_movk_i32 s34, 0x1000
	v_mov_b32_e32 v57, 0xff7fffff
	v_mov_b32_e32 v62, v1
	s_branch .LBB142_9
.LBB142_8:                              ;   in Loop: Header=BB142_9 Depth=1
	s_or_b64 exec, exec, s[30:31]
	v_add_u32_e32 v62, 2, v62
	v_cmp_le_i32_e64 s[0:1], s17, v62
	v_add_u32_e32 v60, 32, v60
	v_add_u32_e32 v61, 0x80, v61
	s_or_b64 s[28:29], s[0:1], s[28:29]
	v_lshl_add_u64 v[4:5], v[4:5], 0, 8
	s_andn2_b64 exec, exec, s[28:29]
	s_cbranch_execz .LBB142_11
.LBB142_9:                              ; =>This Inner Loop Header: Depth=1
	global_load_dword v63, v[4:5], off
	s_waitcnt vmcnt(0) lgkmcnt(0)
	v_mad_i64_i32 v[64:65], s[0:1], v63, s12, 0
	v_lshl_add_u64 v[64:65], v[64:65], 1, v[2:3]
	global_load_dword v63, v[64:65], off offset:512
	global_load_dword v66, v[64:65], off offset:768
	;; [unrolled: 1-line block ×7, first 2 shown]
	global_load_dword v72, v[64:65], off
	global_load_dword v73, v[64:65], off offset:2048
	global_load_dword v74, v[64:65], off offset:2304
	;; [unrolled: 1-line block ×8, first 2 shown]
	v_add_co_u32_e64 v64, s[0:1], s34, v64
	s_waitcnt vmcnt(15)
	v_lshlrev_b32_e32 v89, 16, v63
	v_addc_co_u32_e64 v65, s[0:1], 0, v65, s[0:1]
	global_load_dword v81, v[64:65], off
	global_load_dword v82, v[64:65], off offset:256
	global_load_dword v83, v[64:65], off offset:512
	;; [unrolled: 1-line block ×6, first 2 shown]
	s_nop 0
	global_load_dword v64, v[64:65], off offset:1792
	v_and_b32_e32 v63, 0xffff0000, v63
	s_waitcnt vmcnt(22)
	v_lshlrev_b32_e32 v90, 16, v66
	s_waitcnt vmcnt(17)
	v_lshlrev_b32_e32 v65, 16, v71
	v_and_b32_e32 v71, 0xffff0000, v71
	s_waitcnt vmcnt(16)
	v_lshlrev_b32_e32 v88, 16, v72
	v_and_b32_e32 v72, 0xffff0000, v72
	v_mul_f32_e32 v65, v11, v65
	v_mul_f32_e32 v71, v12, v71
	v_fmac_f32_e32 v65, v9, v88
	v_fmac_f32_e32 v71, v10, v72
	v_and_b32_e32 v66, 0xffff0000, v66
	v_fmac_f32_e32 v65, v13, v89
	v_fmac_f32_e32 v71, v14, v63
	v_lshlrev_b32_e32 v91, 16, v67
	v_and_b32_e32 v67, 0xffff0000, v67
	v_fmac_f32_e32 v65, v15, v90
	v_fmac_f32_e32 v71, v16, v66
	v_lshlrev_b32_e32 v92, 16, v68
	;; [unrolled: 4-line block ×4, first 2 shown]
	v_and_b32_e32 v70, 0xffff0000, v70
	v_fmac_f32_e32 v65, v21, v93
	v_fmac_f32_e32 v71, v22, v69
	s_waitcnt vmcnt(15)
	v_lshlrev_b32_e32 v95, 16, v73
	v_and_b32_e32 v73, 0xffff0000, v73
	v_fmac_f32_e32 v65, v23, v94
	v_fmac_f32_e32 v71, v24, v70
	s_waitcnt vmcnt(14)
	v_lshlrev_b32_e32 v96, 16, v74
	;; [unrolled: 5-line block ×8, first 2 shown]
	v_and_b32_e32 v80, 0xffff0000, v80
	v_fmac_f32_e32 v65, v37, v88
	v_fmac_f32_e32 v71, v38, v79
	v_fmac_f32_e32 v65, v39, v72
	v_fmac_f32_e32 v71, v40, v80
	s_waitcnt vmcnt(7)
	v_lshlrev_b32_e32 v89, 16, v81
	v_and_b32_e32 v81, 0xffff0000, v81
	s_waitcnt vmcnt(6)
	v_lshlrev_b32_e32 v63, 16, v82
	v_and_b32_e32 v82, 0xffff0000, v82
	v_fmac_f32_e32 v65, v41, v89
	v_fmac_f32_e32 v71, v42, v81
	s_waitcnt vmcnt(5)
	v_lshlrev_b32_e32 v90, 16, v83
	v_and_b32_e32 v83, 0xffff0000, v83
	v_fmac_f32_e32 v65, v43, v63
	v_fmac_f32_e32 v71, v44, v82
	s_waitcnt vmcnt(4)
	v_lshlrev_b32_e32 v66, 16, v84
	v_and_b32_e32 v84, 0xffff0000, v84
	v_fmac_f32_e32 v65, v45, v90
	v_fmac_f32_e32 v71, v46, v83
	s_waitcnt vmcnt(3)
	v_lshlrev_b32_e32 v91, 16, v85
	v_and_b32_e32 v85, 0xffff0000, v85
	v_fmac_f32_e32 v65, v47, v66
	v_fmac_f32_e32 v71, v48, v84
	s_waitcnt vmcnt(2)
	v_lshlrev_b32_e32 v67, 16, v86
	v_and_b32_e32 v86, 0xffff0000, v86
	v_fmac_f32_e32 v65, v49, v91
	v_fmac_f32_e32 v71, v50, v85
	s_waitcnt vmcnt(1)
	v_lshlrev_b32_e32 v92, 16, v87
	v_and_b32_e32 v87, 0xffff0000, v87
	v_fmac_f32_e32 v65, v51, v67
	v_fmac_f32_e32 v71, v52, v86
	s_waitcnt vmcnt(0)
	v_lshlrev_b32_e32 v68, 16, v64
	v_and_b32_e32 v64, 0xffff0000, v64
	v_fmac_f32_e32 v65, v53, v92
	v_fmac_f32_e32 v71, v54, v87
	v_fmac_f32_e32 v65, v55, v68
	v_fmac_f32_e32 v71, v56, v64
	v_add_f32_e32 v63, v65, v71
	ds_bpermute_b32 v64, v58, v63
	s_waitcnt lgkmcnt(0)
	v_add_f32_e32 v63, v63, v64
	ds_bpermute_b32 v64, v59, v63
	s_and_saveexec_b64 s[30:31], vcc
	s_cbranch_execz .LBB142_8
; %bb.10:                               ;   in Loop: Header=BB142_9 Depth=1
	v_add_u32_e32 v65, s15, v60
	v_cvt_f32_i32_e32 v65, v65
	s_waitcnt lgkmcnt(0)
	v_add_f32_e32 v63, v63, v64
	v_cmp_gt_i32_e64 s[0:1], s33, v60
	v_max_f32_e32 v64, v57, v57
	v_mul_f32_e32 v65, s8, v65
	v_cndmask_b32_e64 v65, 0, v65, s[2:3]
	v_fmac_f32_e32 v65, s9, v63
	v_cndmask_b32_e64 v63, 0, v65, s[0:1]
	ds_write_b32 v61, v63
	v_max_f32_e32 v63, v64, v65
	v_cndmask_b32_e64 v57, v57, v63, s[0:1]
	s_branch .LBB142_8
.LBB142_11:
	s_or_b64 exec, exec, s[28:29]
.LBB142_12:
	s_or_b64 exec, exec, s[26:27]
	v_xor_b32_e32 v2, 32, v7
	v_cmp_lt_i32_e32 vcc, v2, v8
	v_xor_b32_e32 v5, 16, v7
	v_max_f32_e32 v4, v57, v57
	v_cndmask_b32_e32 v2, v7, v2, vcc
	v_lshlrev_b32_e32 v2, 2, v2
	ds_bpermute_b32 v3, v2, v57
	v_cmp_lt_i32_e32 vcc, v5, v8
	v_xor_b32_e32 v9, 8, v7
	v_xor_b32_e32 v10, 4, v7
	v_and_b32_e32 v24, 63, v0
	s_waitcnt lgkmcnt(0)
	v_max_f32_e32 v3, v3, v3
	v_max_f32_e32 v4, v4, v3
	v_cndmask_b32_e32 v3, v7, v5, vcc
	v_lshlrev_b32_e32 v3, 2, v3
	ds_bpermute_b32 v5, v3, v4
	v_cmp_lt_i32_e32 vcc, v9, v8
	s_waitcnt lgkmcnt(0)
	v_max_f32_e32 v5, v5, v5
	v_max_f32_e32 v4, v4, v5
	v_cndmask_b32_e32 v5, v7, v9, vcc
	v_lshlrev_b32_e32 v9, 2, v5
	ds_bpermute_b32 v5, v9, v4
	v_cmp_lt_i32_e32 vcc, v10, v8
	s_waitcnt lgkmcnt(0)
	v_max_f32_e32 v5, v5, v5
	v_max_f32_e32 v5, v4, v5
	v_cndmask_b32_e32 v4, v7, v10, vcc
	v_lshlrev_b32_e32 v10, 2, v4
	ds_bpermute_b32 v11, v10, v5
	v_cmp_eq_u32_e32 vcc, 0, v24
	v_lshlrev_b32_e32 v4, 2, v1
	s_and_saveexec_b64 s[0:1], vcc
	s_cbranch_execz .LBB142_14
; %bb.13:
	s_waitcnt lgkmcnt(0)
	v_max_f32_e32 v11, v11, v11
	v_max_f32_e32 v5, v5, v5
	;; [unrolled: 1-line block ×3, first 2 shown]
	ds_write_b32 v4, v5 offset:384
.LBB142_14:
	s_or_b64 exec, exec, s[0:1]
	v_cmp_gt_u32_e64 s[0:1], 2, v24
	s_waitcnt lgkmcnt(0)
	v_mov_b32_e32 v11, 0xff7fffff
	v_lshlrev_b32_e32 v5, 2, v24
	s_barrier
	s_and_saveexec_b64 s[2:3], s[0:1]
	s_cbranch_execz .LBB142_16
; %bb.15:
	ds_read_b32 v11, v5 offset:384
.LBB142_16:
	s_or_b64 exec, exec, s[2:3]
	v_xor_b32_e32 v12, 1, v7
	v_cmp_lt_i32_e64 s[2:3], v12, v8
	v_lshlrev_b32_e32 v13, 2, v7
	s_nop 0
	v_cndmask_b32_e64 v12, v7, v12, s[2:3]
	v_lshlrev_b32_e32 v25, 2, v12
	s_waitcnt lgkmcnt(0)
	ds_bpermute_b32 v12, v25, v11
	v_max_f32_e32 v11, v11, v11
	s_lshl_b32 s2, s17, 4
	s_min_i32 s12, s2, s33
	v_cmp_gt_i32_e64 s[2:3], s12, v0
	s_waitcnt lgkmcnt(0)
	v_max_f32_e32 v12, v12, v12
	v_max_f32_e32 v12, v11, v12
	v_and_b32_e32 v11, 0xffffff00, v13
	ds_bpermute_b32 v13, v11, v12
	v_mov_b32_e32 v12, 0
	s_and_saveexec_b64 s[26:27], s[2:3]
	s_cbranch_execz .LBB142_20
; %bb.17:
	v_mov_b32_e32 v12, 0x190
	v_lshl_add_u32 v14, v0, 2, v12
	s_mov_b64 s[28:29], 0
	v_mov_b32_e32 v12, 0
	v_mov_b32_e32 v15, v0
.LBB142_18:                             ; =>This Inner Loop Header: Depth=1
	ds_read_b32 v16, v14
	v_add_u32_e32 v15, 0x80, v15
	v_cmp_le_i32_e64 s[8:9], s12, v15
	s_or_b64 s[28:29], s[8:9], s[28:29]
	s_waitcnt lgkmcnt(0)
	v_sub_f32_e32 v16, v16, v13
	v_mul_f32_e32 v16, 0x3fb8aa3b, v16
	v_exp_f32_e32 v16, v16
	ds_write_b32 v14, v16
	v_add_f32_e32 v12, v12, v16
	v_add_u32_e32 v14, 0x200, v14
	s_andn2_b64 exec, exec, s[28:29]
	s_cbranch_execnz .LBB142_18
; %bb.19:
	s_or_b64 exec, exec, s[28:29]
.LBB142_20:
	s_or_b64 exec, exec, s[26:27]
	ds_bpermute_b32 v2, v2, v12
	s_waitcnt lgkmcnt(0)
	v_add_f32_e32 v2, v12, v2
	ds_bpermute_b32 v3, v3, v2
	s_waitcnt lgkmcnt(0)
	v_add_f32_e32 v2, v2, v3
	ds_bpermute_b32 v3, v9, v2
	v_xor_b32_e32 v9, 2, v7
	v_cmp_lt_i32_e64 s[8:9], v9, v8
	s_waitcnt lgkmcnt(0)
	v_add_f32_e32 v2, v2, v3
	ds_bpermute_b32 v3, v10, v2
	v_cndmask_b32_e64 v7, v7, v9, s[8:9]
	s_waitcnt lgkmcnt(0)
	v_add_f32_e32 v2, v2, v3
	v_lshlrev_b32_e32 v3, 2, v7
	ds_bpermute_b32 v3, v3, v2
	s_waitcnt lgkmcnt(0)
	v_add_f32_e32 v2, v2, v3
	ds_bpermute_b32 v3, v25, v2
	s_waitcnt lgkmcnt(0)
	v_add_f32_e32 v2, v2, v3
	s_and_saveexec_b64 s[8:9], vcc
	s_cbranch_execz .LBB142_22
; %bb.21:
	ds_write_b32 v4, v2 offset:392
.LBB142_22:
	s_or_b64 exec, exec, s[8:9]
	s_waitcnt lgkmcnt(0)
	s_barrier
	s_and_saveexec_b64 s[8:9], s[0:1]
	s_cbranch_execz .LBB142_24
; %bb.23:
	ds_read_b32 v2, v5 offset:392
.LBB142_24:
	s_or_b64 exec, exec, s[8:9]
	s_waitcnt lgkmcnt(0)
	ds_bpermute_b32 v3, v25, v2
	s_waitcnt lgkmcnt(0)
	v_add_f32_e32 v2, v2, v3
	ds_bpermute_b32 v2, v11, v2
	s_and_saveexec_b64 s[0:1], s[2:3]
	s_cbranch_execz .LBB142_37
; %bb.25:
	s_waitcnt lgkmcnt(0)
	v_add_f32_e32 v2, 0x358637bd, v2
	v_div_scale_f32 v3, s[2:3], v2, v2, 1.0
	v_rcp_f32_e32 v4, v3
	v_div_scale_f32 v5, vcc, 1.0, v2, 1.0
	s_movk_i32 s2, 0x7f
	v_fma_f32 v7, -v3, v4, 1.0
	v_fmac_f32_e32 v4, v7, v4
	v_mul_f32_e32 v7, v5, v4
	v_fma_f32 v8, -v3, v7, v5
	v_fmac_f32_e32 v7, v8, v4
	v_fma_f32 v3, -v3, v7, v5
	v_div_fmas_f32 v3, v3, v4, v7
	v_xad_u32 v4, v0, -1, s12
	v_div_fixup_f32 v2, v3, v2, 1.0
	v_cmp_lt_u32_e32 vcc, s2, v4
	s_mov_b64 s[8:9], -1
	v_mov_b32_e32 v3, v0
	s_and_saveexec_b64 s[2:3], vcc
	s_cbranch_execz .LBB142_34
; %bb.26:
	v_lshrrev_b32_e32 v4, 7, v4
	v_add_u32_e32 v7, -1, v4
	v_lshrrev_b32_e32 v5, 1, v7
	v_mov_b32_e32 v3, v2
	v_add_u32_e32 v5, 1, v5
	v_cmp_lt_u32_e32 vcc, 13, v7
	v_mov_b32_e32 v9, 0
	s_and_saveexec_b64 s[8:9], vcc
	s_cbranch_execz .LBB142_30
; %bb.27:
	v_mov_b32_e32 v8, 0x190
	v_and_b32_e32 v7, -8, v5
	v_lshl_add_u32 v8, v0, 2, v8
	s_mov_b32 s15, 0
	s_mov_b64 s[26:27], 0
.LBB142_28:                             ; =>This Inner Loop Header: Depth=1
	ds_read2st64_b32 v[10:11], v8 offset1:2
	ds_read2st64_b32 v[12:13], v8 offset0:4 offset1:6
	ds_read2st64_b32 v[14:15], v8 offset0:8 offset1:10
	;; [unrolled: 1-line block ×3, first 2 shown]
	v_add_u32_e32 v7, -8, v7
	s_waitcnt lgkmcnt(3)
	v_pk_mul_f32 v[10:11], v[2:3], v[10:11]
	s_waitcnt lgkmcnt(2)
	v_pk_mul_f32 v[12:13], v[2:3], v[12:13]
	ds_write2st64_b32 v8, v10, v11 offset1:2
	ds_write2st64_b32 v8, v12, v13 offset0:4 offset1:6
	ds_read2st64_b32 v[12:13], v8 offset0:16 offset1:18
	s_waitcnt lgkmcnt(4)
	v_pk_mul_f32 v[10:11], v[2:3], v[14:15]
	ds_write2st64_b32 v8, v10, v11 offset0:8 offset1:10
	s_waitcnt lgkmcnt(4)
	v_pk_mul_f32 v[10:11], v[2:3], v[16:17]
	ds_write2st64_b32 v8, v10, v11 offset0:12 offset1:14
	ds_read2st64_b32 v[10:11], v8 offset0:20 offset1:22
	s_waitcnt lgkmcnt(3)
	v_pk_mul_f32 v[12:13], v[2:3], v[12:13]
	ds_read2st64_b32 v[14:15], v8 offset0:24 offset1:26
	ds_write2st64_b32 v8, v12, v13 offset0:16 offset1:18
	ds_read2st64_b32 v[12:13], v8 offset0:28 offset1:30
	s_waitcnt lgkmcnt(3)
	v_pk_mul_f32 v[10:11], v[2:3], v[10:11]
	ds_write2st64_b32 v8, v10, v11 offset0:20 offset1:22
	s_waitcnt lgkmcnt(3)
	v_pk_mul_f32 v[10:11], v[2:3], v[14:15]
	ds_write2st64_b32 v8, v10, v11 offset0:24 offset1:26
	s_waitcnt lgkmcnt(2)
	v_pk_mul_f32 v[10:11], v[2:3], v[12:13]
	s_add_i32 s15, s15, 16
	v_cmp_eq_u32_e32 vcc, 0, v7
	ds_write2st64_b32 v8, v10, v11 offset0:28 offset1:30
	v_add_u32_e32 v8, 0x2000, v8
	s_or_b64 s[26:27], vcc, s[26:27]
	v_mov_b32_e32 v9, s15
	s_andn2_b64 exec, exec, s[26:27]
	s_cbranch_execnz .LBB142_28
; %bb.29:
	s_or_b64 exec, exec, s[26:27]
.LBB142_30:
	s_or_b64 exec, exec, s[8:9]
	v_and_b32_e32 v5, 7, v5
	v_cmp_ne_u32_e32 vcc, 0, v5
	s_and_saveexec_b64 s[8:9], vcc
	s_cbranch_execz .LBB142_33
; %bb.31:
	v_lshlrev_b32_e32 v7, 9, v9
	v_lshlrev_b32_e32 v8, 2, v0
	s_movk_i32 s15, 0x190
	v_add3_u32 v7, v7, v8, s15
	s_mov_b64 s[26:27], 0
.LBB142_32:                             ; =>This Inner Loop Header: Depth=1
	ds_read2st64_b32 v[8:9], v7 offset1:2
	v_add_u32_e32 v5, -1, v5
	v_cmp_eq_u32_e32 vcc, 0, v5
	s_or_b64 s[26:27], vcc, s[26:27]
	s_waitcnt lgkmcnt(0)
	v_pk_mul_f32 v[8:9], v[2:3], v[8:9]
	ds_write2st64_b32 v7, v8, v9 offset1:2
	v_add_u32_e32 v7, 0x400, v7
	s_andn2_b64 exec, exec, s[26:27]
	s_cbranch_execnz .LBB142_32
.LBB142_33:
	s_or_b64 exec, exec, s[8:9]
	v_add_u32_e32 v4, 1, v4
	v_and_b32_e32 v5, 0x3fffffe, v4
	v_cmp_ne_u32_e32 vcc, v4, v5
	v_lshl_add_u32 v3, v5, 7, v0
	s_orn2_b64 s[8:9], vcc, exec
.LBB142_34:
	s_or_b64 exec, exec, s[2:3]
	s_and_b64 exec, exec, s[8:9]
	s_cbranch_execz .LBB142_37
; %bb.35:
	v_mov_b32_e32 v4, 0x190
	v_lshl_add_u32 v4, v3, 2, v4
	s_mov_b64 s[2:3], 0
.LBB142_36:                             ; =>This Inner Loop Header: Depth=1
	ds_read_b32 v5, v4
	v_add_u32_e32 v3, 0x80, v3
	v_cmp_le_i32_e32 vcc, s12, v3
	s_or_b64 s[2:3], vcc, s[2:3]
	s_waitcnt lgkmcnt(0)
	v_mul_f32_e32 v5, v2, v5
	ds_write_b32 v4, v5
	v_add_u32_e32 v4, 0x200, v4
	s_andn2_b64 exec, exec, s[2:3]
	s_cbranch_execnz .LBB142_36
.LBB142_37:
	s_or_b64 exec, exec, s[0:1]
	v_mov_b32_e32 v11, 0
	v_and_b32_e32 v26, 1, v0
	v_mov_b32_e32 v10, 0
	v_mov_b32_e32 v13, 0
	;; [unrolled: 1-line block ×5, first 2 shown]
	s_waitcnt lgkmcnt(0)
	s_barrier
	s_and_saveexec_b64 s[2:3], s[6:7]
	s_cbranch_execz .LBB142_277
; %bb.38:
	s_ashr_i32 s15, s14, 31
	s_lshl_b64 s[0:1], s[14:15], 1
	v_lshlrev_b32_e32 v2, 3, v0
	s_add_u32 s6, s24, s0
	v_and_b32_e32 v3, 8, v2
	s_addc_u32 s7, s25, s1
	s_add_i32 s14, s17, -1
	v_lshlrev_b32_e32 v5, 4, v1
	s_lshl_b64 s[0:1], s[22:23], 2
	v_and_b32_e32 v2, 0x1f8, v2
	v_or3_b32 v27, v5, v3, 7
	v_lshlrev_b32_e32 v3, 5, v26
	s_add_u32 s0, s20, s0
	v_mov_b32_e32 v17, 0
	v_or_b32_e32 v4, 0x800, v2
	v_or_b32_e32 v8, 0xa00, v2
	v_lshl_or_b32 v3, v1, 6, v3
	v_and_b32_e32 v16, 60, v6
	s_addc_u32 s1, s21, s1
	s_mov_b32 s26, s13
	v_add_u32_e32 v28, 0x190, v3
	v_lshl_add_u64 v[18:19], s[0:1], 0, v[16:17]
	s_mov_b64 s[8:9], 0
	s_mov_b32 s15, 0x7f800000
	s_movk_i32 s20, 0x7fff
	v_lshlrev_b32_e32 v16, 1, v2
	v_lshlrev_b32_e32 v20, 1, v4
	v_lshlrev_b32_e32 v22, 1, v8
	v_mov_b32_e32 v14, v17
	v_mov_b32_e32 v15, v17
	;; [unrolled: 1-line block ×6, first 2 shown]
	s_branch .LBB142_40
.LBB142_39:                             ;   in Loop: Header=BB142_40 Depth=1
	s_or_b64 exec, exec, s[0:1]
	v_and_b32_e32 v38, 0xffff0000, v34
	v_and_b32_e32 v34, 0xffff0000, v33
	;; [unrolled: 1-line block ×8, first 2 shown]
	v_pk_add_f32 v[30:31], v[30:31], v[32:33]
	v_pk_add_f32 v[32:33], v[34:35], v[38:39]
	v_add_f32_e32 v29, v30, v31
	v_add_f32_e32 v29, v29, v32
	v_and_b32_e32 v35, 0xffff0000, v55
	v_and_b32_e32 v34, 0xffff0000, v53
	;; [unrolled: 1-line block ×4, first 2 shown]
	v_add_f32_e32 v29, v29, v33
	v_and_b32_e32 v31, 0xffff0000, v59
	v_and_b32_e32 v30, 0xffff0000, v57
	;; [unrolled: 1-line block ×4, first 2 shown]
	v_pk_add_f32 v[34:35], v[38:39], v[34:35]
	v_add_f32_e32 v14, v14, v29
	v_pk_add_f32 v[30:31], v[32:33], v[30:31]
	v_add_f32_e32 v29, v34, v35
	v_add_f32_e32 v29, v29, v30
	v_and_b32_e32 v35, 0xffff0000, v63
	v_and_b32_e32 v34, 0xffff0000, v61
	;; [unrolled: 1-line block ×4, first 2 shown]
	v_add_f32_e32 v29, v29, v31
	v_and_b32_e32 v31, 0xffff0000, v67
	v_and_b32_e32 v30, 0xffff0000, v65
	;; [unrolled: 1-line block ×4, first 2 shown]
	v_pk_add_f32 v[34:35], v[38:39], v[34:35]
	v_add_f32_e32 v15, v15, v29
	v_pk_add_f32 v[30:31], v[32:33], v[30:31]
	v_add_f32_e32 v29, v34, v35
	v_add_f32_e32 v29, v29, v30
	v_and_b32_e32 v35, 0xffff0000, v69
	v_and_b32_e32 v34, 0xffff0000, v9
	;; [unrolled: 1-line block ×4, first 2 shown]
	v_add_f32_e32 v29, v29, v31
	v_and_b32_e32 v31, 0xffff0000, v73
	v_and_b32_e32 v30, 0xffff0000, v71
	;; [unrolled: 1-line block ×4, first 2 shown]
	v_pk_add_f32 v[8:9], v[8:9], v[34:35]
	v_pk_add_f32 v[30:31], v[32:33], v[30:31]
	v_add_f32_e32 v8, v8, v9
	v_add_f32_e32 v8, v8, v30
	v_add_f32_e32 v8, v8, v31
	v_and_b32_e32 v33, 0xffff0000, v76
	v_and_b32_e32 v32, 0xffff0000, v74
	;; [unrolled: 1-line block ×4, first 2 shown]
	v_add_f32_e32 v13, v13, v8
	v_and_b32_e32 v9, 0xffff0000, v80
	v_and_b32_e32 v8, 0xffff0000, v78
	;; [unrolled: 1-line block ×4, first 2 shown]
	v_pk_add_f32 v[32:33], v[34:35], v[32:33]
	v_pk_add_f32 v[8:9], v[30:31], v[8:9]
	v_add_f32_e32 v21, v32, v33
	v_add_f32_e32 v8, v21, v8
	;; [unrolled: 1-line block ×3, first 2 shown]
	v_and_b32_e32 v9, 0xffff0000, v7
	v_and_b32_e32 v7, 0xffff0000, v23
	;; [unrolled: 1-line block ×5, first 2 shown]
	v_add_f32_e32 v10, v10, v8
	v_and_b32_e32 v8, 0xffff0000, v36
	v_and_b32_e32 v5, 0xffff0000, v5
	;; [unrolled: 1-line block ×3, first 2 shown]
	v_pk_add_f32 v[2:3], v[2:3], v[6:7]
	v_pk_add_f32 v[4:5], v[4:5], v[8:9]
	v_add_f32_e32 v2, v2, v3
	v_add_f32_e32 v2, v2, v4
	v_add_u32_e32 v1, 2, v1
	v_add_f32_e32 v2, v2, v5
	v_cmp_le_i32_e32 vcc, s17, v1
	v_add_f32_e32 v12, v12, v29
	v_add_f32_e32 v11, v11, v2
	v_add_u32_e32 v27, 32, v27
	v_add_u32_e32 v28, 0x80, v28
	s_or_b64 s[8:9], vcc, s[8:9]
	v_lshl_add_u64 v[18:19], v[18:19], 0, 8
	s_andn2_b64 exec, exec, s[8:9]
	s_cbranch_execz .LBB142_276
.LBB142_40:                             ; =>This Inner Loop Header: Depth=1
	global_load_dword v35, v[18:19], off
	ds_read2_b64 v[6:9], v28 offset1:1
	ds_read2_b64 v[2:5], v28 offset0:2 offset1:3
                                        ; implicit-def: $vgpr29
	s_waitcnt lgkmcnt(1)
	v_and_b32_e32 v21, 0x7f800000, v6
	v_cmp_ne_u32_e32 vcc, s15, v21
	s_and_saveexec_b64 s[0:1], vcc
	s_xor_b64 s[0:1], exec, s[0:1]
; %bb.41:                               ;   in Loop: Header=BB142_40 Depth=1
	v_bfe_u32 v21, v6, 16, 1
	v_add3_u32 v29, v6, v21, s20
; %bb.42:                               ;   in Loop: Header=BB142_40 Depth=1
	s_andn2_saveexec_b64 s[0:1], s[0:1]
; %bb.43:                               ;   in Loop: Header=BB142_40 Depth=1
	v_or_b32_e32 v21, 0x10000, v6
	v_cmp_eq_u32_sdwa vcc, v6, v17 src0_sel:WORD_0 src1_sel:DWORD
	s_nop 1
	v_cndmask_b32_e32 v29, v21, v6, vcc
; %bb.44:                               ;   in Loop: Header=BB142_40 Depth=1
	s_or_b64 exec, exec, s[0:1]
	v_and_b32_e32 v6, 0x7f800000, v7
	v_cmp_ne_u32_e32 vcc, s15, v6
                                        ; implicit-def: $vgpr30
	s_and_saveexec_b64 s[0:1], vcc
	s_xor_b64 s[0:1], exec, s[0:1]
; %bb.45:                               ;   in Loop: Header=BB142_40 Depth=1
	v_bfe_u32 v6, v7, 16, 1
	v_add3_u32 v30, v7, v6, s20
; %bb.46:                               ;   in Loop: Header=BB142_40 Depth=1
	s_andn2_saveexec_b64 s[0:1], s[0:1]
; %bb.47:                               ;   in Loop: Header=BB142_40 Depth=1
	v_or_b32_e32 v6, 0x10000, v7
	v_cmp_eq_u32_sdwa vcc, v7, v17 src0_sel:WORD_0 src1_sel:DWORD
	s_nop 1
	v_cndmask_b32_e32 v30, v6, v7, vcc
; %bb.48:                               ;   in Loop: Header=BB142_40 Depth=1
	s_or_b64 exec, exec, s[0:1]
	v_and_b32_e32 v6, 0x7f800000, v8
	v_cmp_ne_u32_e32 vcc, s15, v6
                                        ; implicit-def: $vgpr31
	s_and_saveexec_b64 s[0:1], vcc
	s_xor_b64 s[0:1], exec, s[0:1]
; %bb.49:                               ;   in Loop: Header=BB142_40 Depth=1
	v_bfe_u32 v6, v8, 16, 1
	v_add3_u32 v31, v8, v6, s20
; %bb.50:                               ;   in Loop: Header=BB142_40 Depth=1
	s_andn2_saveexec_b64 s[0:1], s[0:1]
; %bb.51:                               ;   in Loop: Header=BB142_40 Depth=1
	v_or_b32_e32 v6, 0x10000, v8
	v_cmp_eq_u32_sdwa vcc, v8, v17 src0_sel:WORD_0 src1_sel:DWORD
	s_nop 1
	v_cndmask_b32_e32 v31, v6, v8, vcc
; %bb.52:                               ;   in Loop: Header=BB142_40 Depth=1
	s_or_b64 exec, exec, s[0:1]
	v_and_b32_e32 v6, 0x7f800000, v9
	v_cmp_ne_u32_e32 vcc, s15, v6
                                        ; implicit-def: $vgpr32
	s_and_saveexec_b64 s[0:1], vcc
	s_xor_b64 s[0:1], exec, s[0:1]
; %bb.53:                               ;   in Loop: Header=BB142_40 Depth=1
	v_bfe_u32 v6, v9, 16, 1
	v_add3_u32 v32, v9, v6, s20
                                        ; implicit-def: $vgpr6_vgpr7_vgpr8_vgpr9
; %bb.54:                               ;   in Loop: Header=BB142_40 Depth=1
	s_andn2_saveexec_b64 s[0:1], s[0:1]
; %bb.55:                               ;   in Loop: Header=BB142_40 Depth=1
	v_or_b32_e32 v6, 0x10000, v9
	v_cmp_eq_u32_sdwa vcc, v9, v17 src0_sel:WORD_0 src1_sel:DWORD
	s_nop 1
	v_cndmask_b32_e32 v32, v6, v9, vcc
; %bb.56:                               ;   in Loop: Header=BB142_40 Depth=1
	s_or_b64 exec, exec, s[0:1]
	s_waitcnt lgkmcnt(0)
	v_and_b32_e32 v6, 0x7f800000, v2
	v_cmp_ne_u32_e32 vcc, s15, v6
                                        ; implicit-def: $vgpr33
	s_and_saveexec_b64 s[0:1], vcc
	s_xor_b64 s[0:1], exec, s[0:1]
; %bb.57:                               ;   in Loop: Header=BB142_40 Depth=1
	v_bfe_u32 v6, v2, 16, 1
	v_add3_u32 v33, v2, v6, s20
; %bb.58:                               ;   in Loop: Header=BB142_40 Depth=1
	s_andn2_saveexec_b64 s[0:1], s[0:1]
; %bb.59:                               ;   in Loop: Header=BB142_40 Depth=1
	v_or_b32_e32 v6, 0x10000, v2
	v_cmp_eq_u32_sdwa vcc, v2, v17 src0_sel:WORD_0 src1_sel:DWORD
	s_nop 1
	v_cndmask_b32_e32 v33, v6, v2, vcc
; %bb.60:                               ;   in Loop: Header=BB142_40 Depth=1
	s_or_b64 exec, exec, s[0:1]
	v_and_b32_e32 v2, 0x7f800000, v3
	v_cmp_ne_u32_e32 vcc, s15, v2
                                        ; implicit-def: $vgpr34
	s_and_saveexec_b64 s[0:1], vcc
	s_xor_b64 s[0:1], exec, s[0:1]
; %bb.61:                               ;   in Loop: Header=BB142_40 Depth=1
	v_bfe_u32 v2, v3, 16, 1
	v_add3_u32 v34, v3, v2, s20
; %bb.62:                               ;   in Loop: Header=BB142_40 Depth=1
	s_andn2_saveexec_b64 s[0:1], s[0:1]
; %bb.63:                               ;   in Loop: Header=BB142_40 Depth=1
	v_or_b32_e32 v2, 0x10000, v3
	v_cmp_eq_u32_sdwa vcc, v3, v17 src0_sel:WORD_0 src1_sel:DWORD
	s_nop 1
	v_cndmask_b32_e32 v34, v2, v3, vcc
; %bb.64:                               ;   in Loop: Header=BB142_40 Depth=1
	s_or_b64 exec, exec, s[0:1]
	v_and_b32_e32 v2, 0x7f800000, v4
	v_cmp_ne_u32_e32 vcc, s15, v2
                                        ; implicit-def: $vgpr23
	s_and_saveexec_b64 s[0:1], vcc
	s_xor_b64 s[0:1], exec, s[0:1]
; %bb.65:                               ;   in Loop: Header=BB142_40 Depth=1
	v_bfe_u32 v2, v4, 16, 1
	v_add3_u32 v23, v4, v2, s20
; %bb.66:                               ;   in Loop: Header=BB142_40 Depth=1
	s_andn2_saveexec_b64 s[0:1], s[0:1]
; %bb.67:                               ;   in Loop: Header=BB142_40 Depth=1
	v_or_b32_e32 v2, 0x10000, v4
	v_cmp_eq_u32_sdwa vcc, v4, v17 src0_sel:WORD_0 src1_sel:DWORD
	s_nop 1
	v_cndmask_b32_e32 v23, v2, v4, vcc
; %bb.68:                               ;   in Loop: Header=BB142_40 Depth=1
	s_or_b64 exec, exec, s[0:1]
	v_and_b32_e32 v2, 0x7f800000, v5
	v_cmp_ne_u32_e32 vcc, s15, v2
                                        ; implicit-def: $vgpr21
	s_and_saveexec_b64 s[0:1], vcc
	s_xor_b64 s[0:1], exec, s[0:1]
; %bb.69:                               ;   in Loop: Header=BB142_40 Depth=1
	v_bfe_u32 v2, v5, 16, 1
	v_add3_u32 v21, v5, v2, s20
                                        ; implicit-def: $vgpr2_vgpr3_vgpr4_vgpr5
; %bb.70:                               ;   in Loop: Header=BB142_40 Depth=1
	s_andn2_saveexec_b64 s[0:1], s[0:1]
; %bb.71:                               ;   in Loop: Header=BB142_40 Depth=1
	v_or_b32_e32 v2, 0x10000, v5
	v_cmp_eq_u32_sdwa vcc, v5, v17 src0_sel:WORD_0 src1_sel:DWORD
	s_nop 1
	v_cndmask_b32_e32 v21, v2, v5, vcc
; %bb.72:                               ;   in Loop: Header=BB142_40 Depth=1
	s_or_b64 exec, exec, s[0:1]
	s_waitcnt vmcnt(0)
	v_mad_i64_i32 v[2:3], s[0:1], v35, s26, 0
	v_lshl_add_u64 v[6:7], v[2:3], 1, s[6:7]
	v_lshl_add_u64 v[8:9], v[6:7], 0, v[16:17]
	global_load_dwordx4 v[2:5], v[8:9], off
	v_add_u32_e32 v36, -7, v27
	v_cmp_eq_u32_e32 vcc, s14, v1
	v_add_u32_e32 v42, -6, v27
	v_add_u32_e32 v40, -5, v27
	;; [unrolled: 1-line block ×6, first 2 shown]
	s_waitcnt vmcnt(0)
	v_lshrrev_b32_e32 v46, 16, v2
	v_lshrrev_b32_e32 v48, 16, v3
	;; [unrolled: 1-line block ×4, first 2 shown]
	s_and_saveexec_b64 s[12:13], vcc
	s_cbranch_execz .LBB142_74
; %bb.73:                               ;   in Loop: Header=BB142_40 Depth=1
	v_cmp_gt_i32_e64 s[0:1], s33, v36
	s_nop 1
	v_cndmask_b32_e64 v2, 0, v2, s[0:1]
	v_cmp_gt_i32_e64 s[0:1], s33, v42
	s_nop 1
	v_cndmask_b32_e64 v46, 0, v46, s[0:1]
	;; [unrolled: 3-line block ×8, first 2 shown]
.LBB142_74:                             ;   in Loop: Header=BB142_40 Depth=1
	s_or_b64 exec, exec, s[12:13]
	v_and_b32_e32 v44, 0xffff0000, v29
	v_lshlrev_b32_e32 v2, 16, v2
	v_mul_f32_e32 v2, v44, v2
	v_and_b32_e32 v29, 0x7f800000, v2
	v_cmp_ne_u32_e64 s[0:1], s15, v29
                                        ; implicit-def: $vgpr29
	s_and_saveexec_b64 s[12:13], s[0:1]
	s_xor_b64 s[0:1], exec, s[12:13]
; %bb.75:                               ;   in Loop: Header=BB142_40 Depth=1
	v_bfe_u32 v29, v2, 16, 1
	v_add3_u32 v29, v2, v29, s20
                                        ; implicit-def: $vgpr2
; %bb.76:                               ;   in Loop: Header=BB142_40 Depth=1
	s_andn2_saveexec_b64 s[12:13], s[0:1]
; %bb.77:                               ;   in Loop: Header=BB142_40 Depth=1
	v_or_b32_e32 v29, 0x10000, v2
	v_cmp_eq_u32_sdwa s[0:1], v2, v17 src0_sel:WORD_0 src1_sel:DWORD
	s_nop 1
	v_cndmask_b32_e64 v29, v29, v2, s[0:1]
; %bb.78:                               ;   in Loop: Header=BB142_40 Depth=1
	s_or_b64 exec, exec, s[12:13]
	v_and_b32_e32 v45, 0xffff0000, v30
	v_lshlrev_b32_e32 v2, 16, v46
	v_mul_f32_e32 v2, v45, v2
	v_and_b32_e32 v30, 0x7f800000, v2
	v_cmp_ne_u32_e64 s[0:1], s15, v30
                                        ; implicit-def: $vgpr30
	s_and_saveexec_b64 s[12:13], s[0:1]
	s_xor_b64 s[0:1], exec, s[12:13]
; %bb.79:                               ;   in Loop: Header=BB142_40 Depth=1
	v_bfe_u32 v30, v2, 16, 1
	v_add3_u32 v30, v2, v30, s20
                                        ; implicit-def: $vgpr2
; %bb.80:                               ;   in Loop: Header=BB142_40 Depth=1
	s_andn2_saveexec_b64 s[12:13], s[0:1]
; %bb.81:                               ;   in Loop: Header=BB142_40 Depth=1
	v_or_b32_e32 v30, 0x10000, v2
	v_cmp_eq_u32_sdwa s[0:1], v2, v17 src0_sel:WORD_0 src1_sel:DWORD
	s_nop 1
	v_cndmask_b32_e64 v30, v30, v2, s[0:1]
; %bb.82:                               ;   in Loop: Header=BB142_40 Depth=1
	s_or_b64 exec, exec, s[12:13]
	v_and_b32_e32 v46, 0xffff0000, v31
	v_lshlrev_b32_e32 v2, 16, v3
	v_mul_f32_e32 v2, v46, v2
	v_and_b32_e32 v3, 0x7f800000, v2
	v_cmp_ne_u32_e64 s[0:1], s15, v3
                                        ; implicit-def: $vgpr31
	s_and_saveexec_b64 s[12:13], s[0:1]
	s_xor_b64 s[0:1], exec, s[12:13]
; %bb.83:                               ;   in Loop: Header=BB142_40 Depth=1
	v_bfe_u32 v3, v2, 16, 1
	v_add3_u32 v31, v2, v3, s20
                                        ; implicit-def: $vgpr2
; %bb.84:                               ;   in Loop: Header=BB142_40 Depth=1
	s_andn2_saveexec_b64 s[12:13], s[0:1]
; %bb.85:                               ;   in Loop: Header=BB142_40 Depth=1
	v_or_b32_e32 v3, 0x10000, v2
	v_cmp_eq_u32_sdwa s[0:1], v2, v17 src0_sel:WORD_0 src1_sel:DWORD
	s_nop 1
	v_cndmask_b32_e64 v31, v3, v2, s[0:1]
; %bb.86:                               ;   in Loop: Header=BB142_40 Depth=1
	s_or_b64 exec, exec, s[12:13]
	v_and_b32_e32 v47, 0xffff0000, v32
	v_lshlrev_b32_e32 v2, 16, v48
	v_mul_f32_e32 v2, v47, v2
	v_and_b32_e32 v3, 0x7f800000, v2
	v_cmp_ne_u32_e64 s[0:1], s15, v3
                                        ; implicit-def: $vgpr32
	s_and_saveexec_b64 s[12:13], s[0:1]
	s_xor_b64 s[0:1], exec, s[12:13]
; %bb.87:                               ;   in Loop: Header=BB142_40 Depth=1
	v_bfe_u32 v3, v2, 16, 1
	v_add3_u32 v32, v2, v3, s20
                                        ; implicit-def: $vgpr2
; %bb.88:                               ;   in Loop: Header=BB142_40 Depth=1
	s_andn2_saveexec_b64 s[12:13], s[0:1]
; %bb.89:                               ;   in Loop: Header=BB142_40 Depth=1
	v_or_b32_e32 v3, 0x10000, v2
	v_cmp_eq_u32_sdwa s[0:1], v2, v17 src0_sel:WORD_0 src1_sel:DWORD
	s_nop 1
	v_cndmask_b32_e64 v32, v3, v2, s[0:1]
; %bb.90:                               ;   in Loop: Header=BB142_40 Depth=1
	s_or_b64 exec, exec, s[12:13]
	v_and_b32_e32 v48, 0xffff0000, v33
	v_lshlrev_b32_e32 v2, 16, v4
	v_mul_f32_e32 v2, v48, v2
	v_and_b32_e32 v3, 0x7f800000, v2
	v_cmp_ne_u32_e64 s[0:1], s15, v3
                                        ; implicit-def: $vgpr33
	s_and_saveexec_b64 s[12:13], s[0:1]
	s_xor_b64 s[0:1], exec, s[12:13]
; %bb.91:                               ;   in Loop: Header=BB142_40 Depth=1
	v_bfe_u32 v3, v2, 16, 1
	v_add3_u32 v33, v2, v3, s20
                                        ; implicit-def: $vgpr2
; %bb.92:                               ;   in Loop: Header=BB142_40 Depth=1
	s_andn2_saveexec_b64 s[12:13], s[0:1]
; %bb.93:                               ;   in Loop: Header=BB142_40 Depth=1
	v_or_b32_e32 v3, 0x10000, v2
	v_cmp_eq_u32_sdwa s[0:1], v2, v17 src0_sel:WORD_0 src1_sel:DWORD
	s_nop 1
	v_cndmask_b32_e64 v33, v3, v2, s[0:1]
; %bb.94:                               ;   in Loop: Header=BB142_40 Depth=1
	s_or_b64 exec, exec, s[12:13]
	v_and_b32_e32 v49, 0xffff0000, v34
	v_lshlrev_b32_e32 v2, 16, v35
	v_mul_f32_e32 v2, v49, v2
	v_and_b32_e32 v3, 0x7f800000, v2
	v_cmp_ne_u32_e64 s[0:1], s15, v3
                                        ; implicit-def: $vgpr34
	s_and_saveexec_b64 s[12:13], s[0:1]
	s_xor_b64 s[0:1], exec, s[12:13]
; %bb.95:                               ;   in Loop: Header=BB142_40 Depth=1
	v_bfe_u32 v3, v2, 16, 1
	v_add3_u32 v34, v2, v3, s20
                                        ; implicit-def: $vgpr2
; %bb.96:                               ;   in Loop: Header=BB142_40 Depth=1
	s_andn2_saveexec_b64 s[12:13], s[0:1]
; %bb.97:                               ;   in Loop: Header=BB142_40 Depth=1
	v_or_b32_e32 v3, 0x10000, v2
	v_cmp_eq_u32_sdwa s[0:1], v2, v17 src0_sel:WORD_0 src1_sel:DWORD
	s_nop 1
	v_cndmask_b32_e64 v34, v3, v2, s[0:1]
; %bb.98:                               ;   in Loop: Header=BB142_40 Depth=1
	s_or_b64 exec, exec, s[12:13]
	v_and_b32_e32 v50, 0xffff0000, v23
	v_lshlrev_b32_e32 v2, 16, v5
	v_mul_f32_e32 v2, v50, v2
	v_and_b32_e32 v3, 0x7f800000, v2
	v_cmp_ne_u32_e64 s[0:1], s15, v3
                                        ; implicit-def: $vgpr35
	s_and_saveexec_b64 s[12:13], s[0:1]
	s_xor_b64 s[0:1], exec, s[12:13]
; %bb.99:                               ;   in Loop: Header=BB142_40 Depth=1
	v_bfe_u32 v3, v2, 16, 1
	v_add3_u32 v35, v2, v3, s20
                                        ; implicit-def: $vgpr2
; %bb.100:                              ;   in Loop: Header=BB142_40 Depth=1
	s_andn2_saveexec_b64 s[12:13], s[0:1]
; %bb.101:                              ;   in Loop: Header=BB142_40 Depth=1
	v_or_b32_e32 v3, 0x10000, v2
	v_cmp_eq_u32_sdwa s[0:1], v2, v17 src0_sel:WORD_0 src1_sel:DWORD
	s_nop 1
	v_cndmask_b32_e64 v35, v3, v2, s[0:1]
; %bb.102:                              ;   in Loop: Header=BB142_40 Depth=1
	s_or_b64 exec, exec, s[12:13]
	v_and_b32_e32 v51, 0xffff0000, v21
	v_lshlrev_b32_e32 v2, 16, v43
	v_mul_f32_e32 v2, v51, v2
	v_and_b32_e32 v3, 0x7f800000, v2
	v_cmp_ne_u32_e64 s[0:1], s15, v3
                                        ; implicit-def: $vgpr43
	s_and_saveexec_b64 s[12:13], s[0:1]
	s_xor_b64 s[0:1], exec, s[12:13]
; %bb.103:                              ;   in Loop: Header=BB142_40 Depth=1
	v_bfe_u32 v3, v2, 16, 1
	v_add3_u32 v43, v2, v3, s20
                                        ; implicit-def: $vgpr2
; %bb.104:                              ;   in Loop: Header=BB142_40 Depth=1
	s_andn2_saveexec_b64 s[12:13], s[0:1]
; %bb.105:                              ;   in Loop: Header=BB142_40 Depth=1
	v_or_b32_e32 v3, 0x10000, v2
	v_cmp_eq_u32_sdwa s[0:1], v2, v17 src0_sel:WORD_0 src1_sel:DWORD
	s_nop 1
	v_cndmask_b32_e64 v43, v3, v2, s[0:1]
; %bb.106:                              ;   in Loop: Header=BB142_40 Depth=1
	s_or_b64 exec, exec, s[12:13]
	global_load_dwordx4 v[2:5], v[8:9], off offset:1024
	s_waitcnt vmcnt(0)
	v_lshrrev_b32_e32 v53, 16, v2
	v_lshrrev_b32_e32 v55, 16, v3
	;; [unrolled: 1-line block ×4, first 2 shown]
	s_and_saveexec_b64 s[12:13], vcc
	s_cbranch_execz .LBB142_108
; %bb.107:                              ;   in Loop: Header=BB142_40 Depth=1
	v_cmp_gt_i32_e64 s[0:1], s33, v36
	s_nop 1
	v_cndmask_b32_e64 v2, 0, v2, s[0:1]
	v_cmp_gt_i32_e64 s[0:1], s33, v42
	s_nop 1
	v_cndmask_b32_e64 v53, 0, v53, s[0:1]
	v_cmp_gt_i32_e64 s[0:1], s33, v40
	s_nop 1
	v_cndmask_b32_e64 v3, 0, v3, s[0:1]
	v_cmp_gt_i32_e64 s[0:1], s33, v39
	s_nop 1
	v_cndmask_b32_e64 v55, 0, v55, s[0:1]
	v_cmp_gt_i32_e64 s[0:1], s33, v38
	s_nop 1
	v_cndmask_b32_e64 v4, 0, v4, s[0:1]
	v_cmp_gt_i32_e64 s[0:1], s33, v37
	s_nop 1
	v_cndmask_b32_e64 v23, 0, v23, s[0:1]
	v_cmp_gt_i32_e64 s[0:1], s33, v41
	s_nop 1
	v_cndmask_b32_e64 v5, 0, v5, s[0:1]
	v_cmp_gt_i32_e64 s[0:1], s33, v27
	s_nop 1
	v_cndmask_b32_e64 v21, 0, v21, s[0:1]
.LBB142_108:                            ;   in Loop: Header=BB142_40 Depth=1
	s_or_b64 exec, exec, s[12:13]
	v_lshlrev_b32_e32 v2, 16, v2
	v_mul_f32_e32 v2, v44, v2
	v_and_b32_e32 v52, 0x7f800000, v2
	v_cmp_ne_u32_e64 s[0:1], s15, v52
                                        ; implicit-def: $vgpr52
	s_and_saveexec_b64 s[12:13], s[0:1]
	s_xor_b64 s[0:1], exec, s[12:13]
; %bb.109:                              ;   in Loop: Header=BB142_40 Depth=1
	v_bfe_u32 v52, v2, 16, 1
	v_add3_u32 v52, v2, v52, s20
                                        ; implicit-def: $vgpr2
; %bb.110:                              ;   in Loop: Header=BB142_40 Depth=1
	s_andn2_saveexec_b64 s[12:13], s[0:1]
; %bb.111:                              ;   in Loop: Header=BB142_40 Depth=1
	v_or_b32_e32 v52, 0x10000, v2
	v_cmp_eq_u32_sdwa s[0:1], v2, v17 src0_sel:WORD_0 src1_sel:DWORD
	s_nop 1
	v_cndmask_b32_e64 v52, v52, v2, s[0:1]
; %bb.112:                              ;   in Loop: Header=BB142_40 Depth=1
	s_or_b64 exec, exec, s[12:13]
	v_lshlrev_b32_e32 v2, 16, v53
	v_mul_f32_e32 v2, v45, v2
	v_and_b32_e32 v53, 0x7f800000, v2
	v_cmp_ne_u32_e64 s[0:1], s15, v53
                                        ; implicit-def: $vgpr53
	s_and_saveexec_b64 s[12:13], s[0:1]
	s_xor_b64 s[0:1], exec, s[12:13]
; %bb.113:                              ;   in Loop: Header=BB142_40 Depth=1
	v_bfe_u32 v53, v2, 16, 1
	v_add3_u32 v53, v2, v53, s20
                                        ; implicit-def: $vgpr2
; %bb.114:                              ;   in Loop: Header=BB142_40 Depth=1
	s_andn2_saveexec_b64 s[12:13], s[0:1]
; %bb.115:                              ;   in Loop: Header=BB142_40 Depth=1
	v_or_b32_e32 v53, 0x10000, v2
	v_cmp_eq_u32_sdwa s[0:1], v2, v17 src0_sel:WORD_0 src1_sel:DWORD
	s_nop 1
	v_cndmask_b32_e64 v53, v53, v2, s[0:1]
; %bb.116:                              ;   in Loop: Header=BB142_40 Depth=1
	s_or_b64 exec, exec, s[12:13]
	v_lshlrev_b32_e32 v2, 16, v3
	v_mul_f32_e32 v2, v46, v2
	v_and_b32_e32 v3, 0x7f800000, v2
	v_cmp_ne_u32_e64 s[0:1], s15, v3
                                        ; implicit-def: $vgpr54
	s_and_saveexec_b64 s[12:13], s[0:1]
	s_xor_b64 s[0:1], exec, s[12:13]
; %bb.117:                              ;   in Loop: Header=BB142_40 Depth=1
	v_bfe_u32 v3, v2, 16, 1
	v_add3_u32 v54, v2, v3, s20
                                        ; implicit-def: $vgpr2
; %bb.118:                              ;   in Loop: Header=BB142_40 Depth=1
	s_andn2_saveexec_b64 s[12:13], s[0:1]
; %bb.119:                              ;   in Loop: Header=BB142_40 Depth=1
	v_or_b32_e32 v3, 0x10000, v2
	v_cmp_eq_u32_sdwa s[0:1], v2, v17 src0_sel:WORD_0 src1_sel:DWORD
	s_nop 1
	v_cndmask_b32_e64 v54, v3, v2, s[0:1]
; %bb.120:                              ;   in Loop: Header=BB142_40 Depth=1
	s_or_b64 exec, exec, s[12:13]
	v_lshlrev_b32_e32 v2, 16, v55
	v_mul_f32_e32 v2, v47, v2
	v_and_b32_e32 v3, 0x7f800000, v2
	v_cmp_ne_u32_e64 s[0:1], s15, v3
                                        ; implicit-def: $vgpr55
	s_and_saveexec_b64 s[12:13], s[0:1]
	s_xor_b64 s[0:1], exec, s[12:13]
; %bb.121:                              ;   in Loop: Header=BB142_40 Depth=1
	v_bfe_u32 v3, v2, 16, 1
	v_add3_u32 v55, v2, v3, s20
                                        ; implicit-def: $vgpr2
; %bb.122:                              ;   in Loop: Header=BB142_40 Depth=1
	s_andn2_saveexec_b64 s[12:13], s[0:1]
; %bb.123:                              ;   in Loop: Header=BB142_40 Depth=1
	v_or_b32_e32 v3, 0x10000, v2
	v_cmp_eq_u32_sdwa s[0:1], v2, v17 src0_sel:WORD_0 src1_sel:DWORD
	s_nop 1
	v_cndmask_b32_e64 v55, v3, v2, s[0:1]
; %bb.124:                              ;   in Loop: Header=BB142_40 Depth=1
	s_or_b64 exec, exec, s[12:13]
	v_lshlrev_b32_e32 v2, 16, v4
	v_mul_f32_e32 v2, v48, v2
	v_and_b32_e32 v3, 0x7f800000, v2
	v_cmp_ne_u32_e64 s[0:1], s15, v3
                                        ; implicit-def: $vgpr56
	s_and_saveexec_b64 s[12:13], s[0:1]
	s_xor_b64 s[0:1], exec, s[12:13]
; %bb.125:                              ;   in Loop: Header=BB142_40 Depth=1
	v_bfe_u32 v3, v2, 16, 1
	v_add3_u32 v56, v2, v3, s20
                                        ; implicit-def: $vgpr2
; %bb.126:                              ;   in Loop: Header=BB142_40 Depth=1
	s_andn2_saveexec_b64 s[12:13], s[0:1]
; %bb.127:                              ;   in Loop: Header=BB142_40 Depth=1
	v_or_b32_e32 v3, 0x10000, v2
	v_cmp_eq_u32_sdwa s[0:1], v2, v17 src0_sel:WORD_0 src1_sel:DWORD
	s_nop 1
	v_cndmask_b32_e64 v56, v3, v2, s[0:1]
; %bb.128:                              ;   in Loop: Header=BB142_40 Depth=1
	s_or_b64 exec, exec, s[12:13]
	v_lshlrev_b32_e32 v2, 16, v23
	v_mul_f32_e32 v2, v49, v2
	v_and_b32_e32 v3, 0x7f800000, v2
	v_cmp_ne_u32_e64 s[0:1], s15, v3
                                        ; implicit-def: $vgpr57
	s_and_saveexec_b64 s[12:13], s[0:1]
	s_xor_b64 s[0:1], exec, s[12:13]
; %bb.129:                              ;   in Loop: Header=BB142_40 Depth=1
	v_bfe_u32 v3, v2, 16, 1
	v_add3_u32 v57, v2, v3, s20
                                        ; implicit-def: $vgpr2
; %bb.130:                              ;   in Loop: Header=BB142_40 Depth=1
	s_andn2_saveexec_b64 s[12:13], s[0:1]
; %bb.131:                              ;   in Loop: Header=BB142_40 Depth=1
	v_or_b32_e32 v3, 0x10000, v2
	v_cmp_eq_u32_sdwa s[0:1], v2, v17 src0_sel:WORD_0 src1_sel:DWORD
	s_nop 1
	v_cndmask_b32_e64 v57, v3, v2, s[0:1]
; %bb.132:                              ;   in Loop: Header=BB142_40 Depth=1
	s_or_b64 exec, exec, s[12:13]
	v_lshlrev_b32_e32 v2, 16, v5
	v_mul_f32_e32 v2, v50, v2
	v_and_b32_e32 v3, 0x7f800000, v2
	v_cmp_ne_u32_e64 s[0:1], s15, v3
                                        ; implicit-def: $vgpr58
	s_and_saveexec_b64 s[12:13], s[0:1]
	s_xor_b64 s[0:1], exec, s[12:13]
; %bb.133:                              ;   in Loop: Header=BB142_40 Depth=1
	v_bfe_u32 v3, v2, 16, 1
	v_add3_u32 v58, v2, v3, s20
                                        ; implicit-def: $vgpr2
; %bb.134:                              ;   in Loop: Header=BB142_40 Depth=1
	s_andn2_saveexec_b64 s[12:13], s[0:1]
; %bb.135:                              ;   in Loop: Header=BB142_40 Depth=1
	v_or_b32_e32 v3, 0x10000, v2
	v_cmp_eq_u32_sdwa s[0:1], v2, v17 src0_sel:WORD_0 src1_sel:DWORD
	s_nop 1
	v_cndmask_b32_e64 v58, v3, v2, s[0:1]
; %bb.136:                              ;   in Loop: Header=BB142_40 Depth=1
	s_or_b64 exec, exec, s[12:13]
	v_lshlrev_b32_e32 v2, 16, v21
	v_mul_f32_e32 v2, v51, v2
	v_and_b32_e32 v3, 0x7f800000, v2
	v_cmp_ne_u32_e64 s[0:1], s15, v3
                                        ; implicit-def: $vgpr59
	s_and_saveexec_b64 s[12:13], s[0:1]
	s_xor_b64 s[0:1], exec, s[12:13]
; %bb.137:                              ;   in Loop: Header=BB142_40 Depth=1
	v_bfe_u32 v3, v2, 16, 1
	v_add3_u32 v59, v2, v3, s20
                                        ; implicit-def: $vgpr2
; %bb.138:                              ;   in Loop: Header=BB142_40 Depth=1
	s_andn2_saveexec_b64 s[12:13], s[0:1]
; %bb.139:                              ;   in Loop: Header=BB142_40 Depth=1
	v_or_b32_e32 v3, 0x10000, v2
	v_cmp_eq_u32_sdwa s[0:1], v2, v17 src0_sel:WORD_0 src1_sel:DWORD
	s_nop 1
	v_cndmask_b32_e64 v59, v3, v2, s[0:1]
; %bb.140:                              ;   in Loop: Header=BB142_40 Depth=1
	s_or_b64 exec, exec, s[12:13]
	global_load_dwordx4 v[2:5], v[8:9], off offset:2048
	s_waitcnt vmcnt(0)
	v_lshrrev_b32_e32 v61, 16, v2
	v_lshrrev_b32_e32 v63, 16, v3
	;; [unrolled: 1-line block ×4, first 2 shown]
	s_and_saveexec_b64 s[12:13], vcc
	s_cbranch_execz .LBB142_142
; %bb.141:                              ;   in Loop: Header=BB142_40 Depth=1
	v_cmp_gt_i32_e64 s[0:1], s33, v36
	s_nop 1
	v_cndmask_b32_e64 v2, 0, v2, s[0:1]
	v_cmp_gt_i32_e64 s[0:1], s33, v42
	s_nop 1
	v_cndmask_b32_e64 v61, 0, v61, s[0:1]
	;; [unrolled: 3-line block ×8, first 2 shown]
.LBB142_142:                            ;   in Loop: Header=BB142_40 Depth=1
	s_or_b64 exec, exec, s[12:13]
	v_lshlrev_b32_e32 v2, 16, v2
	v_mul_f32_e32 v2, v44, v2
	v_and_b32_e32 v60, 0x7f800000, v2
	v_cmp_ne_u32_e64 s[0:1], s15, v60
                                        ; implicit-def: $vgpr60
	s_and_saveexec_b64 s[12:13], s[0:1]
	s_xor_b64 s[0:1], exec, s[12:13]
; %bb.143:                              ;   in Loop: Header=BB142_40 Depth=1
	v_bfe_u32 v60, v2, 16, 1
	v_add3_u32 v60, v2, v60, s20
                                        ; implicit-def: $vgpr2
; %bb.144:                              ;   in Loop: Header=BB142_40 Depth=1
	s_andn2_saveexec_b64 s[12:13], s[0:1]
; %bb.145:                              ;   in Loop: Header=BB142_40 Depth=1
	v_or_b32_e32 v60, 0x10000, v2
	v_cmp_eq_u32_sdwa s[0:1], v2, v17 src0_sel:WORD_0 src1_sel:DWORD
	s_nop 1
	v_cndmask_b32_e64 v60, v60, v2, s[0:1]
; %bb.146:                              ;   in Loop: Header=BB142_40 Depth=1
	s_or_b64 exec, exec, s[12:13]
	v_lshlrev_b32_e32 v2, 16, v61
	v_mul_f32_e32 v2, v45, v2
	v_and_b32_e32 v61, 0x7f800000, v2
	v_cmp_ne_u32_e64 s[0:1], s15, v61
                                        ; implicit-def: $vgpr61
	s_and_saveexec_b64 s[12:13], s[0:1]
	s_xor_b64 s[0:1], exec, s[12:13]
; %bb.147:                              ;   in Loop: Header=BB142_40 Depth=1
	v_bfe_u32 v61, v2, 16, 1
	v_add3_u32 v61, v2, v61, s20
                                        ; implicit-def: $vgpr2
; %bb.148:                              ;   in Loop: Header=BB142_40 Depth=1
	s_andn2_saveexec_b64 s[12:13], s[0:1]
; %bb.149:                              ;   in Loop: Header=BB142_40 Depth=1
	v_or_b32_e32 v61, 0x10000, v2
	v_cmp_eq_u32_sdwa s[0:1], v2, v17 src0_sel:WORD_0 src1_sel:DWORD
	s_nop 1
	v_cndmask_b32_e64 v61, v61, v2, s[0:1]
; %bb.150:                              ;   in Loop: Header=BB142_40 Depth=1
	s_or_b64 exec, exec, s[12:13]
	v_lshlrev_b32_e32 v2, 16, v3
	v_mul_f32_e32 v2, v46, v2
	v_and_b32_e32 v3, 0x7f800000, v2
	v_cmp_ne_u32_e64 s[0:1], s15, v3
                                        ; implicit-def: $vgpr62
	s_and_saveexec_b64 s[12:13], s[0:1]
	s_xor_b64 s[0:1], exec, s[12:13]
; %bb.151:                              ;   in Loop: Header=BB142_40 Depth=1
	v_bfe_u32 v3, v2, 16, 1
	v_add3_u32 v62, v2, v3, s20
                                        ; implicit-def: $vgpr2
; %bb.152:                              ;   in Loop: Header=BB142_40 Depth=1
	s_andn2_saveexec_b64 s[12:13], s[0:1]
; %bb.153:                              ;   in Loop: Header=BB142_40 Depth=1
	v_or_b32_e32 v3, 0x10000, v2
	v_cmp_eq_u32_sdwa s[0:1], v2, v17 src0_sel:WORD_0 src1_sel:DWORD
	s_nop 1
	v_cndmask_b32_e64 v62, v3, v2, s[0:1]
; %bb.154:                              ;   in Loop: Header=BB142_40 Depth=1
	s_or_b64 exec, exec, s[12:13]
	v_lshlrev_b32_e32 v2, 16, v63
	v_mul_f32_e32 v2, v47, v2
	v_and_b32_e32 v3, 0x7f800000, v2
	v_cmp_ne_u32_e64 s[0:1], s15, v3
                                        ; implicit-def: $vgpr63
	s_and_saveexec_b64 s[12:13], s[0:1]
	s_xor_b64 s[0:1], exec, s[12:13]
; %bb.155:                              ;   in Loop: Header=BB142_40 Depth=1
	v_bfe_u32 v3, v2, 16, 1
	v_add3_u32 v63, v2, v3, s20
                                        ; implicit-def: $vgpr2
; %bb.156:                              ;   in Loop: Header=BB142_40 Depth=1
	s_andn2_saveexec_b64 s[12:13], s[0:1]
; %bb.157:                              ;   in Loop: Header=BB142_40 Depth=1
	v_or_b32_e32 v3, 0x10000, v2
	v_cmp_eq_u32_sdwa s[0:1], v2, v17 src0_sel:WORD_0 src1_sel:DWORD
	s_nop 1
	v_cndmask_b32_e64 v63, v3, v2, s[0:1]
; %bb.158:                              ;   in Loop: Header=BB142_40 Depth=1
	s_or_b64 exec, exec, s[12:13]
	v_lshlrev_b32_e32 v2, 16, v4
	v_mul_f32_e32 v2, v48, v2
	v_and_b32_e32 v3, 0x7f800000, v2
	v_cmp_ne_u32_e64 s[0:1], s15, v3
                                        ; implicit-def: $vgpr64
	s_and_saveexec_b64 s[12:13], s[0:1]
	s_xor_b64 s[0:1], exec, s[12:13]
; %bb.159:                              ;   in Loop: Header=BB142_40 Depth=1
	v_bfe_u32 v3, v2, 16, 1
	v_add3_u32 v64, v2, v3, s20
                                        ; implicit-def: $vgpr2
; %bb.160:                              ;   in Loop: Header=BB142_40 Depth=1
	s_andn2_saveexec_b64 s[12:13], s[0:1]
; %bb.161:                              ;   in Loop: Header=BB142_40 Depth=1
	v_or_b32_e32 v3, 0x10000, v2
	v_cmp_eq_u32_sdwa s[0:1], v2, v17 src0_sel:WORD_0 src1_sel:DWORD
	s_nop 1
	v_cndmask_b32_e64 v64, v3, v2, s[0:1]
; %bb.162:                              ;   in Loop: Header=BB142_40 Depth=1
	s_or_b64 exec, exec, s[12:13]
	v_lshlrev_b32_e32 v2, 16, v23
	v_mul_f32_e32 v2, v49, v2
	v_and_b32_e32 v3, 0x7f800000, v2
	v_cmp_ne_u32_e64 s[0:1], s15, v3
                                        ; implicit-def: $vgpr65
	s_and_saveexec_b64 s[12:13], s[0:1]
	s_xor_b64 s[0:1], exec, s[12:13]
; %bb.163:                              ;   in Loop: Header=BB142_40 Depth=1
	v_bfe_u32 v3, v2, 16, 1
	v_add3_u32 v65, v2, v3, s20
                                        ; implicit-def: $vgpr2
; %bb.164:                              ;   in Loop: Header=BB142_40 Depth=1
	s_andn2_saveexec_b64 s[12:13], s[0:1]
; %bb.165:                              ;   in Loop: Header=BB142_40 Depth=1
	v_or_b32_e32 v3, 0x10000, v2
	v_cmp_eq_u32_sdwa s[0:1], v2, v17 src0_sel:WORD_0 src1_sel:DWORD
	s_nop 1
	v_cndmask_b32_e64 v65, v3, v2, s[0:1]
; %bb.166:                              ;   in Loop: Header=BB142_40 Depth=1
	s_or_b64 exec, exec, s[12:13]
	v_lshlrev_b32_e32 v2, 16, v5
	v_mul_f32_e32 v2, v50, v2
	v_and_b32_e32 v3, 0x7f800000, v2
	v_cmp_ne_u32_e64 s[0:1], s15, v3
                                        ; implicit-def: $vgpr66
	s_and_saveexec_b64 s[12:13], s[0:1]
	s_xor_b64 s[0:1], exec, s[12:13]
; %bb.167:                              ;   in Loop: Header=BB142_40 Depth=1
	v_bfe_u32 v3, v2, 16, 1
	v_add3_u32 v66, v2, v3, s20
                                        ; implicit-def: $vgpr2
; %bb.168:                              ;   in Loop: Header=BB142_40 Depth=1
	s_andn2_saveexec_b64 s[12:13], s[0:1]
; %bb.169:                              ;   in Loop: Header=BB142_40 Depth=1
	v_or_b32_e32 v3, 0x10000, v2
	v_cmp_eq_u32_sdwa s[0:1], v2, v17 src0_sel:WORD_0 src1_sel:DWORD
	s_nop 1
	v_cndmask_b32_e64 v66, v3, v2, s[0:1]
; %bb.170:                              ;   in Loop: Header=BB142_40 Depth=1
	s_or_b64 exec, exec, s[12:13]
	v_lshlrev_b32_e32 v2, 16, v21
	v_mul_f32_e32 v2, v51, v2
	v_and_b32_e32 v3, 0x7f800000, v2
	v_cmp_ne_u32_e64 s[0:1], s15, v3
                                        ; implicit-def: $vgpr67
	s_and_saveexec_b64 s[12:13], s[0:1]
	s_xor_b64 s[0:1], exec, s[12:13]
; %bb.171:                              ;   in Loop: Header=BB142_40 Depth=1
	v_bfe_u32 v3, v2, 16, 1
	v_add3_u32 v67, v2, v3, s20
                                        ; implicit-def: $vgpr2
; %bb.172:                              ;   in Loop: Header=BB142_40 Depth=1
	s_andn2_saveexec_b64 s[12:13], s[0:1]
; %bb.173:                              ;   in Loop: Header=BB142_40 Depth=1
	v_or_b32_e32 v3, 0x10000, v2
	v_cmp_eq_u32_sdwa s[0:1], v2, v17 src0_sel:WORD_0 src1_sel:DWORD
	s_nop 1
	v_cndmask_b32_e64 v67, v3, v2, s[0:1]
; %bb.174:                              ;   in Loop: Header=BB142_40 Depth=1
	s_or_b64 exec, exec, s[12:13]
	global_load_dwordx4 v[2:5], v[8:9], off offset:3072
	s_waitcnt vmcnt(0)
	v_lshrrev_b32_e32 v9, 16, v2
	v_lshrrev_b32_e32 v69, 16, v3
	v_lshrrev_b32_e32 v23, 16, v4
	v_lshrrev_b32_e32 v21, 16, v5
	s_and_saveexec_b64 s[12:13], vcc
	s_cbranch_execz .LBB142_176
; %bb.175:                              ;   in Loop: Header=BB142_40 Depth=1
	v_cmp_gt_i32_e64 s[0:1], s33, v36
	s_nop 1
	v_cndmask_b32_e64 v2, 0, v2, s[0:1]
	v_cmp_gt_i32_e64 s[0:1], s33, v42
	s_nop 1
	v_cndmask_b32_e64 v9, 0, v9, s[0:1]
	;; [unrolled: 3-line block ×8, first 2 shown]
.LBB142_176:                            ;   in Loop: Header=BB142_40 Depth=1
	s_or_b64 exec, exec, s[12:13]
	v_lshlrev_b32_e32 v2, 16, v2
	v_mul_f32_e32 v2, v44, v2
	v_and_b32_e32 v8, 0x7f800000, v2
	v_cmp_ne_u32_e64 s[0:1], s15, v8
                                        ; implicit-def: $vgpr8
	s_and_saveexec_b64 s[12:13], s[0:1]
	s_xor_b64 s[0:1], exec, s[12:13]
; %bb.177:                              ;   in Loop: Header=BB142_40 Depth=1
	v_bfe_u32 v8, v2, 16, 1
	v_add3_u32 v8, v2, v8, s20
                                        ; implicit-def: $vgpr2
; %bb.178:                              ;   in Loop: Header=BB142_40 Depth=1
	s_andn2_saveexec_b64 s[12:13], s[0:1]
; %bb.179:                              ;   in Loop: Header=BB142_40 Depth=1
	v_or_b32_e32 v8, 0x10000, v2
	v_cmp_eq_u32_sdwa s[0:1], v2, v17 src0_sel:WORD_0 src1_sel:DWORD
	s_nop 1
	v_cndmask_b32_e64 v8, v8, v2, s[0:1]
; %bb.180:                              ;   in Loop: Header=BB142_40 Depth=1
	s_or_b64 exec, exec, s[12:13]
	v_lshlrev_b32_e32 v2, 16, v9
	v_mul_f32_e32 v2, v45, v2
	v_and_b32_e32 v9, 0x7f800000, v2
	v_cmp_ne_u32_e64 s[0:1], s15, v9
                                        ; implicit-def: $vgpr9
	s_and_saveexec_b64 s[12:13], s[0:1]
	s_xor_b64 s[0:1], exec, s[12:13]
; %bb.181:                              ;   in Loop: Header=BB142_40 Depth=1
	v_bfe_u32 v9, v2, 16, 1
	v_add3_u32 v9, v2, v9, s20
                                        ; implicit-def: $vgpr2
; %bb.182:                              ;   in Loop: Header=BB142_40 Depth=1
	s_andn2_saveexec_b64 s[12:13], s[0:1]
; %bb.183:                              ;   in Loop: Header=BB142_40 Depth=1
	v_or_b32_e32 v9, 0x10000, v2
	v_cmp_eq_u32_sdwa s[0:1], v2, v17 src0_sel:WORD_0 src1_sel:DWORD
	s_nop 1
	v_cndmask_b32_e64 v9, v9, v2, s[0:1]
; %bb.184:                              ;   in Loop: Header=BB142_40 Depth=1
	s_or_b64 exec, exec, s[12:13]
	v_lshlrev_b32_e32 v2, 16, v3
	v_mul_f32_e32 v2, v46, v2
	v_and_b32_e32 v3, 0x7f800000, v2
	v_cmp_ne_u32_e64 s[0:1], s15, v3
                                        ; implicit-def: $vgpr68
	s_and_saveexec_b64 s[12:13], s[0:1]
	s_xor_b64 s[0:1], exec, s[12:13]
; %bb.185:                              ;   in Loop: Header=BB142_40 Depth=1
	v_bfe_u32 v3, v2, 16, 1
	v_add3_u32 v68, v2, v3, s20
                                        ; implicit-def: $vgpr2
; %bb.186:                              ;   in Loop: Header=BB142_40 Depth=1
	s_andn2_saveexec_b64 s[12:13], s[0:1]
; %bb.187:                              ;   in Loop: Header=BB142_40 Depth=1
	v_or_b32_e32 v3, 0x10000, v2
	v_cmp_eq_u32_sdwa s[0:1], v2, v17 src0_sel:WORD_0 src1_sel:DWORD
	s_nop 1
	v_cndmask_b32_e64 v68, v3, v2, s[0:1]
; %bb.188:                              ;   in Loop: Header=BB142_40 Depth=1
	s_or_b64 exec, exec, s[12:13]
	v_lshlrev_b32_e32 v2, 16, v69
	v_mul_f32_e32 v2, v47, v2
	v_and_b32_e32 v3, 0x7f800000, v2
	v_cmp_ne_u32_e64 s[0:1], s15, v3
                                        ; implicit-def: $vgpr69
	s_and_saveexec_b64 s[12:13], s[0:1]
	s_xor_b64 s[0:1], exec, s[12:13]
; %bb.189:                              ;   in Loop: Header=BB142_40 Depth=1
	v_bfe_u32 v3, v2, 16, 1
	v_add3_u32 v69, v2, v3, s20
                                        ; implicit-def: $vgpr2
; %bb.190:                              ;   in Loop: Header=BB142_40 Depth=1
	s_andn2_saveexec_b64 s[12:13], s[0:1]
; %bb.191:                              ;   in Loop: Header=BB142_40 Depth=1
	v_or_b32_e32 v3, 0x10000, v2
	v_cmp_eq_u32_sdwa s[0:1], v2, v17 src0_sel:WORD_0 src1_sel:DWORD
	s_nop 1
	v_cndmask_b32_e64 v69, v3, v2, s[0:1]
; %bb.192:                              ;   in Loop: Header=BB142_40 Depth=1
	s_or_b64 exec, exec, s[12:13]
	v_lshlrev_b32_e32 v2, 16, v4
	v_mul_f32_e32 v2, v48, v2
	v_and_b32_e32 v3, 0x7f800000, v2
	v_cmp_ne_u32_e64 s[0:1], s15, v3
                                        ; implicit-def: $vgpr70
	s_and_saveexec_b64 s[12:13], s[0:1]
	s_xor_b64 s[0:1], exec, s[12:13]
; %bb.193:                              ;   in Loop: Header=BB142_40 Depth=1
	v_bfe_u32 v3, v2, 16, 1
	v_add3_u32 v70, v2, v3, s20
                                        ; implicit-def: $vgpr2
; %bb.194:                              ;   in Loop: Header=BB142_40 Depth=1
	s_andn2_saveexec_b64 s[12:13], s[0:1]
; %bb.195:                              ;   in Loop: Header=BB142_40 Depth=1
	v_or_b32_e32 v3, 0x10000, v2
	v_cmp_eq_u32_sdwa s[0:1], v2, v17 src0_sel:WORD_0 src1_sel:DWORD
	s_nop 1
	v_cndmask_b32_e64 v70, v3, v2, s[0:1]
; %bb.196:                              ;   in Loop: Header=BB142_40 Depth=1
	s_or_b64 exec, exec, s[12:13]
	v_lshlrev_b32_e32 v2, 16, v23
	v_mul_f32_e32 v2, v49, v2
	v_and_b32_e32 v3, 0x7f800000, v2
	v_cmp_ne_u32_e64 s[0:1], s15, v3
                                        ; implicit-def: $vgpr71
	s_and_saveexec_b64 s[12:13], s[0:1]
	s_xor_b64 s[0:1], exec, s[12:13]
; %bb.197:                              ;   in Loop: Header=BB142_40 Depth=1
	v_bfe_u32 v3, v2, 16, 1
	v_add3_u32 v71, v2, v3, s20
                                        ; implicit-def: $vgpr2
; %bb.198:                              ;   in Loop: Header=BB142_40 Depth=1
	s_andn2_saveexec_b64 s[12:13], s[0:1]
; %bb.199:                              ;   in Loop: Header=BB142_40 Depth=1
	v_or_b32_e32 v3, 0x10000, v2
	v_cmp_eq_u32_sdwa s[0:1], v2, v17 src0_sel:WORD_0 src1_sel:DWORD
	s_nop 1
	v_cndmask_b32_e64 v71, v3, v2, s[0:1]
; %bb.200:                              ;   in Loop: Header=BB142_40 Depth=1
	s_or_b64 exec, exec, s[12:13]
	v_lshlrev_b32_e32 v2, 16, v5
	v_mul_f32_e32 v2, v50, v2
	v_and_b32_e32 v3, 0x7f800000, v2
	v_cmp_ne_u32_e64 s[0:1], s15, v3
                                        ; implicit-def: $vgpr72
	s_and_saveexec_b64 s[12:13], s[0:1]
	s_xor_b64 s[0:1], exec, s[12:13]
; %bb.201:                              ;   in Loop: Header=BB142_40 Depth=1
	v_bfe_u32 v3, v2, 16, 1
	v_add3_u32 v72, v2, v3, s20
                                        ; implicit-def: $vgpr2
; %bb.202:                              ;   in Loop: Header=BB142_40 Depth=1
	s_andn2_saveexec_b64 s[12:13], s[0:1]
; %bb.203:                              ;   in Loop: Header=BB142_40 Depth=1
	v_or_b32_e32 v3, 0x10000, v2
	v_cmp_eq_u32_sdwa s[0:1], v2, v17 src0_sel:WORD_0 src1_sel:DWORD
	s_nop 1
	v_cndmask_b32_e64 v72, v3, v2, s[0:1]
; %bb.204:                              ;   in Loop: Header=BB142_40 Depth=1
	s_or_b64 exec, exec, s[12:13]
	v_lshlrev_b32_e32 v2, 16, v21
	v_mul_f32_e32 v2, v51, v2
	v_and_b32_e32 v3, 0x7f800000, v2
	v_cmp_ne_u32_e64 s[0:1], s15, v3
                                        ; implicit-def: $vgpr73
	s_and_saveexec_b64 s[12:13], s[0:1]
	s_xor_b64 s[0:1], exec, s[12:13]
; %bb.205:                              ;   in Loop: Header=BB142_40 Depth=1
	v_bfe_u32 v3, v2, 16, 1
	v_add3_u32 v73, v2, v3, s20
                                        ; implicit-def: $vgpr2
; %bb.206:                              ;   in Loop: Header=BB142_40 Depth=1
	s_andn2_saveexec_b64 s[12:13], s[0:1]
; %bb.207:                              ;   in Loop: Header=BB142_40 Depth=1
	v_or_b32_e32 v3, 0x10000, v2
	v_cmp_eq_u32_sdwa s[0:1], v2, v17 src0_sel:WORD_0 src1_sel:DWORD
	s_nop 1
	v_cndmask_b32_e64 v73, v3, v2, s[0:1]
; %bb.208:                              ;   in Loop: Header=BB142_40 Depth=1
	s_or_b64 exec, exec, s[12:13]
	v_mov_b32_e32 v21, v17
	v_lshl_add_u64 v[2:3], v[6:7], 0, v[20:21]
	global_load_dwordx4 v[2:5], v[2:3], off
	s_waitcnt vmcnt(0)
	v_lshrrev_b32_e32 v74, 16, v2
	v_lshrrev_b32_e32 v76, 16, v3
	;; [unrolled: 1-line block ×4, first 2 shown]
	s_and_saveexec_b64 s[12:13], vcc
	s_cbranch_execz .LBB142_210
; %bb.209:                              ;   in Loop: Header=BB142_40 Depth=1
	v_cmp_gt_i32_e64 s[0:1], s33, v36
	s_nop 1
	v_cndmask_b32_e64 v2, 0, v2, s[0:1]
	v_cmp_gt_i32_e64 s[0:1], s33, v42
	s_nop 1
	v_cndmask_b32_e64 v74, 0, v74, s[0:1]
	;; [unrolled: 3-line block ×8, first 2 shown]
.LBB142_210:                            ;   in Loop: Header=BB142_40 Depth=1
	s_or_b64 exec, exec, s[12:13]
	v_lshlrev_b32_e32 v2, 16, v2
	v_mul_f32_e32 v2, v44, v2
	v_and_b32_e32 v21, 0x7f800000, v2
	v_cmp_ne_u32_e64 s[0:1], s15, v21
                                        ; implicit-def: $vgpr21
	s_and_saveexec_b64 s[12:13], s[0:1]
	s_xor_b64 s[0:1], exec, s[12:13]
; %bb.211:                              ;   in Loop: Header=BB142_40 Depth=1
	v_bfe_u32 v21, v2, 16, 1
	v_add3_u32 v21, v2, v21, s20
                                        ; implicit-def: $vgpr2
; %bb.212:                              ;   in Loop: Header=BB142_40 Depth=1
	s_andn2_saveexec_b64 s[12:13], s[0:1]
; %bb.213:                              ;   in Loop: Header=BB142_40 Depth=1
	v_or_b32_e32 v21, 0x10000, v2
	v_cmp_eq_u32_sdwa s[0:1], v2, v17 src0_sel:WORD_0 src1_sel:DWORD
	s_nop 1
	v_cndmask_b32_e64 v21, v21, v2, s[0:1]
; %bb.214:                              ;   in Loop: Header=BB142_40 Depth=1
	s_or_b64 exec, exec, s[12:13]
	v_lshlrev_b32_e32 v2, 16, v74
	v_mul_f32_e32 v2, v45, v2
	v_and_b32_e32 v74, 0x7f800000, v2
	v_cmp_ne_u32_e64 s[0:1], s15, v74
                                        ; implicit-def: $vgpr74
	s_and_saveexec_b64 s[12:13], s[0:1]
	s_xor_b64 s[0:1], exec, s[12:13]
; %bb.215:                              ;   in Loop: Header=BB142_40 Depth=1
	v_bfe_u32 v74, v2, 16, 1
	v_add3_u32 v74, v2, v74, s20
                                        ; implicit-def: $vgpr2
; %bb.216:                              ;   in Loop: Header=BB142_40 Depth=1
	s_andn2_saveexec_b64 s[12:13], s[0:1]
; %bb.217:                              ;   in Loop: Header=BB142_40 Depth=1
	v_or_b32_e32 v74, 0x10000, v2
	v_cmp_eq_u32_sdwa s[0:1], v2, v17 src0_sel:WORD_0 src1_sel:DWORD
	s_nop 1
	v_cndmask_b32_e64 v74, v74, v2, s[0:1]
; %bb.218:                              ;   in Loop: Header=BB142_40 Depth=1
	s_or_b64 exec, exec, s[12:13]
	v_lshlrev_b32_e32 v2, 16, v3
	v_mul_f32_e32 v2, v46, v2
	v_and_b32_e32 v3, 0x7f800000, v2
	v_cmp_ne_u32_e64 s[0:1], s15, v3
                                        ; implicit-def: $vgpr75
	s_and_saveexec_b64 s[12:13], s[0:1]
	s_xor_b64 s[0:1], exec, s[12:13]
; %bb.219:                              ;   in Loop: Header=BB142_40 Depth=1
	v_bfe_u32 v3, v2, 16, 1
	v_add3_u32 v75, v2, v3, s20
                                        ; implicit-def: $vgpr2
; %bb.220:                              ;   in Loop: Header=BB142_40 Depth=1
	s_andn2_saveexec_b64 s[12:13], s[0:1]
; %bb.221:                              ;   in Loop: Header=BB142_40 Depth=1
	v_or_b32_e32 v3, 0x10000, v2
	v_cmp_eq_u32_sdwa s[0:1], v2, v17 src0_sel:WORD_0 src1_sel:DWORD
	s_nop 1
	v_cndmask_b32_e64 v75, v3, v2, s[0:1]
; %bb.222:                              ;   in Loop: Header=BB142_40 Depth=1
	s_or_b64 exec, exec, s[12:13]
	v_lshlrev_b32_e32 v2, 16, v76
	v_mul_f32_e32 v2, v47, v2
	v_and_b32_e32 v3, 0x7f800000, v2
	v_cmp_ne_u32_e64 s[0:1], s15, v3
                                        ; implicit-def: $vgpr76
	s_and_saveexec_b64 s[12:13], s[0:1]
	s_xor_b64 s[0:1], exec, s[12:13]
; %bb.223:                              ;   in Loop: Header=BB142_40 Depth=1
	v_bfe_u32 v3, v2, 16, 1
	v_add3_u32 v76, v2, v3, s20
                                        ; implicit-def: $vgpr2
; %bb.224:                              ;   in Loop: Header=BB142_40 Depth=1
	s_andn2_saveexec_b64 s[12:13], s[0:1]
; %bb.225:                              ;   in Loop: Header=BB142_40 Depth=1
	v_or_b32_e32 v3, 0x10000, v2
	v_cmp_eq_u32_sdwa s[0:1], v2, v17 src0_sel:WORD_0 src1_sel:DWORD
	s_nop 1
	v_cndmask_b32_e64 v76, v3, v2, s[0:1]
; %bb.226:                              ;   in Loop: Header=BB142_40 Depth=1
	s_or_b64 exec, exec, s[12:13]
	v_lshlrev_b32_e32 v2, 16, v4
	v_mul_f32_e32 v2, v48, v2
	v_and_b32_e32 v3, 0x7f800000, v2
	v_cmp_ne_u32_e64 s[0:1], s15, v3
                                        ; implicit-def: $vgpr77
	s_and_saveexec_b64 s[12:13], s[0:1]
	s_xor_b64 s[0:1], exec, s[12:13]
; %bb.227:                              ;   in Loop: Header=BB142_40 Depth=1
	v_bfe_u32 v3, v2, 16, 1
	v_add3_u32 v77, v2, v3, s20
                                        ; implicit-def: $vgpr2
; %bb.228:                              ;   in Loop: Header=BB142_40 Depth=1
	s_andn2_saveexec_b64 s[12:13], s[0:1]
; %bb.229:                              ;   in Loop: Header=BB142_40 Depth=1
	v_or_b32_e32 v3, 0x10000, v2
	v_cmp_eq_u32_sdwa s[0:1], v2, v17 src0_sel:WORD_0 src1_sel:DWORD
	s_nop 1
	v_cndmask_b32_e64 v77, v3, v2, s[0:1]
; %bb.230:                              ;   in Loop: Header=BB142_40 Depth=1
	s_or_b64 exec, exec, s[12:13]
	v_lshlrev_b32_e32 v2, 16, v78
	v_mul_f32_e32 v2, v49, v2
	v_and_b32_e32 v3, 0x7f800000, v2
	v_cmp_ne_u32_e64 s[0:1], s15, v3
                                        ; implicit-def: $vgpr78
	s_and_saveexec_b64 s[12:13], s[0:1]
	s_xor_b64 s[0:1], exec, s[12:13]
; %bb.231:                              ;   in Loop: Header=BB142_40 Depth=1
	v_bfe_u32 v3, v2, 16, 1
	v_add3_u32 v78, v2, v3, s20
                                        ; implicit-def: $vgpr2
; %bb.232:                              ;   in Loop: Header=BB142_40 Depth=1
	s_andn2_saveexec_b64 s[12:13], s[0:1]
; %bb.233:                              ;   in Loop: Header=BB142_40 Depth=1
	v_or_b32_e32 v3, 0x10000, v2
	v_cmp_eq_u32_sdwa s[0:1], v2, v17 src0_sel:WORD_0 src1_sel:DWORD
	s_nop 1
	v_cndmask_b32_e64 v78, v3, v2, s[0:1]
; %bb.234:                              ;   in Loop: Header=BB142_40 Depth=1
	s_or_b64 exec, exec, s[12:13]
	v_lshlrev_b32_e32 v2, 16, v5
	v_mul_f32_e32 v2, v50, v2
	v_and_b32_e32 v3, 0x7f800000, v2
	v_cmp_ne_u32_e64 s[0:1], s15, v3
                                        ; implicit-def: $vgpr79
	s_and_saveexec_b64 s[12:13], s[0:1]
	s_xor_b64 s[0:1], exec, s[12:13]
; %bb.235:                              ;   in Loop: Header=BB142_40 Depth=1
	v_bfe_u32 v3, v2, 16, 1
	v_add3_u32 v79, v2, v3, s20
                                        ; implicit-def: $vgpr2
; %bb.236:                              ;   in Loop: Header=BB142_40 Depth=1
	s_andn2_saveexec_b64 s[12:13], s[0:1]
; %bb.237:                              ;   in Loop: Header=BB142_40 Depth=1
	v_or_b32_e32 v3, 0x10000, v2
	v_cmp_eq_u32_sdwa s[0:1], v2, v17 src0_sel:WORD_0 src1_sel:DWORD
	s_nop 1
	v_cndmask_b32_e64 v79, v3, v2, s[0:1]
; %bb.238:                              ;   in Loop: Header=BB142_40 Depth=1
	s_or_b64 exec, exec, s[12:13]
	v_lshlrev_b32_e32 v2, 16, v23
	v_mul_f32_e32 v2, v51, v2
	v_and_b32_e32 v3, 0x7f800000, v2
	v_cmp_ne_u32_e64 s[0:1], s15, v3
                                        ; implicit-def: $vgpr80
	s_and_saveexec_b64 s[12:13], s[0:1]
	s_xor_b64 s[0:1], exec, s[12:13]
; %bb.239:                              ;   in Loop: Header=BB142_40 Depth=1
	v_bfe_u32 v3, v2, 16, 1
	v_add3_u32 v80, v2, v3, s20
                                        ; implicit-def: $vgpr2
; %bb.240:                              ;   in Loop: Header=BB142_40 Depth=1
	s_andn2_saveexec_b64 s[12:13], s[0:1]
; %bb.241:                              ;   in Loop: Header=BB142_40 Depth=1
	v_or_b32_e32 v3, 0x10000, v2
	v_cmp_eq_u32_sdwa s[0:1], v2, v17 src0_sel:WORD_0 src1_sel:DWORD
	s_nop 1
	v_cndmask_b32_e64 v80, v3, v2, s[0:1]
; %bb.242:                              ;   in Loop: Header=BB142_40 Depth=1
	s_or_b64 exec, exec, s[12:13]
	v_mov_b32_e32 v23, v17
	v_lshl_add_u64 v[2:3], v[6:7], 0, v[22:23]
	global_load_dwordx4 v[2:5], v[2:3], off
	s_waitcnt vmcnt(0)
	v_lshrrev_b32_e32 v6, 16, v2
	v_lshrrev_b32_e32 v23, 16, v3
	;; [unrolled: 1-line block ×4, first 2 shown]
	s_and_saveexec_b64 s[0:1], vcc
	s_cbranch_execz .LBB142_244
; %bb.243:                              ;   in Loop: Header=BB142_40 Depth=1
	v_cmp_gt_i32_e32 vcc, s33, v36
	s_nop 1
	v_cndmask_b32_e32 v2, 0, v2, vcc
	v_cmp_gt_i32_e32 vcc, s33, v42
	s_nop 1
	v_cndmask_b32_e32 v6, 0, v6, vcc
	;; [unrolled: 3-line block ×8, first 2 shown]
.LBB142_244:                            ;   in Loop: Header=BB142_40 Depth=1
	s_or_b64 exec, exec, s[0:1]
	v_lshlrev_b32_e32 v2, 16, v2
	v_mul_f32_e32 v36, v44, v2
	v_and_b32_e32 v2, 0x7f800000, v36
	v_cmp_ne_u32_e32 vcc, s15, v2
                                        ; implicit-def: $vgpr2
	s_and_saveexec_b64 s[0:1], vcc
	s_xor_b64 s[0:1], exec, s[0:1]
; %bb.245:                              ;   in Loop: Header=BB142_40 Depth=1
	v_bfe_u32 v2, v36, 16, 1
	v_add3_u32 v2, v36, v2, s20
                                        ; implicit-def: $vgpr36
; %bb.246:                              ;   in Loop: Header=BB142_40 Depth=1
	s_andn2_saveexec_b64 s[0:1], s[0:1]
; %bb.247:                              ;   in Loop: Header=BB142_40 Depth=1
	v_or_b32_e32 v2, 0x10000, v36
	v_cmp_eq_u32_sdwa vcc, v36, v17 src0_sel:WORD_0 src1_sel:DWORD
	s_nop 1
	v_cndmask_b32_e32 v2, v2, v36, vcc
; %bb.248:                              ;   in Loop: Header=BB142_40 Depth=1
	s_or_b64 exec, exec, s[0:1]
	v_lshlrev_b32_e32 v6, 16, v6
	v_mul_f32_e32 v36, v45, v6
	v_and_b32_e32 v6, 0x7f800000, v36
	v_cmp_ne_u32_e32 vcc, s15, v6
                                        ; implicit-def: $vgpr6
	s_and_saveexec_b64 s[0:1], vcc
	s_xor_b64 s[0:1], exec, s[0:1]
; %bb.249:                              ;   in Loop: Header=BB142_40 Depth=1
	v_bfe_u32 v6, v36, 16, 1
	v_add3_u32 v6, v36, v6, s20
                                        ; implicit-def: $vgpr36
; %bb.250:                              ;   in Loop: Header=BB142_40 Depth=1
	s_andn2_saveexec_b64 s[0:1], s[0:1]
; %bb.251:                              ;   in Loop: Header=BB142_40 Depth=1
	v_or_b32_e32 v6, 0x10000, v36
	v_cmp_eq_u32_sdwa vcc, v36, v17 src0_sel:WORD_0 src1_sel:DWORD
	s_nop 1
	v_cndmask_b32_e32 v6, v6, v36, vcc
; %bb.252:                              ;   in Loop: Header=BB142_40 Depth=1
	s_or_b64 exec, exec, s[0:1]
	v_lshlrev_b32_e32 v3, 16, v3
	v_mul_f32_e32 v36, v46, v3
	v_and_b32_e32 v3, 0x7f800000, v36
	v_cmp_ne_u32_e32 vcc, s15, v3
                                        ; implicit-def: $vgpr3
	s_and_saveexec_b64 s[0:1], vcc
	s_xor_b64 s[0:1], exec, s[0:1]
; %bb.253:                              ;   in Loop: Header=BB142_40 Depth=1
	v_bfe_u32 v3, v36, 16, 1
	v_add3_u32 v3, v36, v3, s20
                                        ; implicit-def: $vgpr36
; %bb.254:                              ;   in Loop: Header=BB142_40 Depth=1
	s_andn2_saveexec_b64 s[0:1], s[0:1]
; %bb.255:                              ;   in Loop: Header=BB142_40 Depth=1
	v_or_b32_e32 v3, 0x10000, v36
	v_cmp_eq_u32_sdwa vcc, v36, v17 src0_sel:WORD_0 src1_sel:DWORD
	s_nop 1
	v_cndmask_b32_e32 v3, v3, v36, vcc
; %bb.256:                              ;   in Loop: Header=BB142_40 Depth=1
	s_or_b64 exec, exec, s[0:1]
	v_lshlrev_b32_e32 v23, 16, v23
	v_mul_f32_e32 v36, v47, v23
	v_and_b32_e32 v23, 0x7f800000, v36
	v_cmp_ne_u32_e32 vcc, s15, v23
                                        ; implicit-def: $vgpr23
	s_and_saveexec_b64 s[0:1], vcc
	s_xor_b64 s[0:1], exec, s[0:1]
; %bb.257:                              ;   in Loop: Header=BB142_40 Depth=1
	v_bfe_u32 v23, v36, 16, 1
	v_add3_u32 v23, v36, v23, s20
                                        ; implicit-def: $vgpr36
; %bb.258:                              ;   in Loop: Header=BB142_40 Depth=1
	s_andn2_saveexec_b64 s[0:1], s[0:1]
; %bb.259:                              ;   in Loop: Header=BB142_40 Depth=1
	v_or_b32_e32 v23, 0x10000, v36
	v_cmp_eq_u32_sdwa vcc, v36, v17 src0_sel:WORD_0 src1_sel:DWORD
	s_nop 1
	v_cndmask_b32_e32 v23, v23, v36, vcc
; %bb.260:                              ;   in Loop: Header=BB142_40 Depth=1
	s_or_b64 exec, exec, s[0:1]
	v_lshlrev_b32_e32 v4, 16, v4
	v_mul_f32_e32 v36, v48, v4
	v_and_b32_e32 v4, 0x7f800000, v36
	v_cmp_ne_u32_e32 vcc, s15, v4
                                        ; implicit-def: $vgpr4
	s_and_saveexec_b64 s[0:1], vcc
	s_xor_b64 s[0:1], exec, s[0:1]
; %bb.261:                              ;   in Loop: Header=BB142_40 Depth=1
	v_bfe_u32 v4, v36, 16, 1
	v_add3_u32 v4, v36, v4, s20
                                        ; implicit-def: $vgpr36
; %bb.262:                              ;   in Loop: Header=BB142_40 Depth=1
	s_andn2_saveexec_b64 s[0:1], s[0:1]
; %bb.263:                              ;   in Loop: Header=BB142_40 Depth=1
	v_or_b32_e32 v4, 0x10000, v36
	v_cmp_eq_u32_sdwa vcc, v36, v17 src0_sel:WORD_0 src1_sel:DWORD
	s_nop 1
	v_cndmask_b32_e32 v4, v4, v36, vcc
; %bb.264:                              ;   in Loop: Header=BB142_40 Depth=1
	s_or_b64 exec, exec, s[0:1]
	v_lshlrev_b32_e32 v36, 16, v81
	v_mul_f32_e32 v37, v49, v36
	v_and_b32_e32 v36, 0x7f800000, v37
	v_cmp_ne_u32_e32 vcc, s15, v36
                                        ; implicit-def: $vgpr36
	s_and_saveexec_b64 s[0:1], vcc
	s_xor_b64 s[0:1], exec, s[0:1]
; %bb.265:                              ;   in Loop: Header=BB142_40 Depth=1
	v_bfe_u32 v36, v37, 16, 1
	v_add3_u32 v36, v37, v36, s20
                                        ; implicit-def: $vgpr37
; %bb.266:                              ;   in Loop: Header=BB142_40 Depth=1
	s_andn2_saveexec_b64 s[0:1], s[0:1]
; %bb.267:                              ;   in Loop: Header=BB142_40 Depth=1
	v_or_b32_e32 v36, 0x10000, v37
	v_cmp_eq_u32_sdwa vcc, v37, v17 src0_sel:WORD_0 src1_sel:DWORD
	s_nop 1
	v_cndmask_b32_e32 v36, v36, v37, vcc
; %bb.268:                              ;   in Loop: Header=BB142_40 Depth=1
	s_or_b64 exec, exec, s[0:1]
	v_lshlrev_b32_e32 v5, 16, v5
	v_mul_f32_e32 v37, v50, v5
	v_and_b32_e32 v5, 0x7f800000, v37
	v_cmp_ne_u32_e32 vcc, s15, v5
                                        ; implicit-def: $vgpr5
	s_and_saveexec_b64 s[0:1], vcc
	s_xor_b64 s[0:1], exec, s[0:1]
; %bb.269:                              ;   in Loop: Header=BB142_40 Depth=1
	v_bfe_u32 v5, v37, 16, 1
	v_add3_u32 v5, v37, v5, s20
                                        ; implicit-def: $vgpr37
; %bb.270:                              ;   in Loop: Header=BB142_40 Depth=1
	s_andn2_saveexec_b64 s[0:1], s[0:1]
; %bb.271:                              ;   in Loop: Header=BB142_40 Depth=1
	v_or_b32_e32 v5, 0x10000, v37
	v_cmp_eq_u32_sdwa vcc, v37, v17 src0_sel:WORD_0 src1_sel:DWORD
	s_nop 1
	v_cndmask_b32_e32 v5, v5, v37, vcc
; %bb.272:                              ;   in Loop: Header=BB142_40 Depth=1
	s_or_b64 exec, exec, s[0:1]
	v_lshlrev_b32_e32 v7, 16, v7
	v_mul_f32_e32 v37, v51, v7
	v_and_b32_e32 v7, 0x7f800000, v37
	v_cmp_ne_u32_e32 vcc, s15, v7
                                        ; implicit-def: $vgpr7
	s_and_saveexec_b64 s[0:1], vcc
	s_xor_b64 s[0:1], exec, s[0:1]
; %bb.273:                              ;   in Loop: Header=BB142_40 Depth=1
	v_bfe_u32 v7, v37, 16, 1
	v_add3_u32 v7, v37, v7, s20
                                        ; implicit-def: $vgpr37
; %bb.274:                              ;   in Loop: Header=BB142_40 Depth=1
	s_andn2_saveexec_b64 s[0:1], s[0:1]
	s_cbranch_execz .LBB142_39
; %bb.275:                              ;   in Loop: Header=BB142_40 Depth=1
	v_or_b32_e32 v7, 0x10000, v37
	v_cmp_eq_u32_sdwa vcc, v37, v17 src0_sel:WORD_0 src1_sel:DWORD
	s_nop 1
	v_cndmask_b32_e32 v7, v7, v37, vcc
	s_branch .LBB142_39
.LBB142_276:
	s_or_b64 exec, exec, s[8:9]
.LBB142_277:
	s_or_b64 exec, exec, s[2:3]
	ds_bpermute_b32 v2, v25, v14
	ds_bpermute_b32 v3, v25, v15
	;; [unrolled: 1-line block ×6, first 2 shown]
	v_and_b32_e32 v1, 0x3c1, v0
	s_waitcnt lgkmcnt(4)
	v_pk_add_f32 v[6:7], v[14:15], v[2:3]
	s_waitcnt lgkmcnt(2)
	v_pk_add_f32 v[2:3], v[12:13], v[4:5]
	v_cmp_eq_u32_e32 vcc, 64, v1
	s_waitcnt lgkmcnt(0)
	v_pk_add_f32 v[4:5], v[10:11], v[8:9]
	s_barrier
	s_and_saveexec_b64 s[0:1], vcc
	s_cbranch_execz .LBB142_279
; %bb.278:
	v_mov_b32_e32 v1, 0x190
	v_lshl_add_u32 v1, v24, 1, v1
	ds_write2_b32 v1, v6, v7 offset1:32
	ds_write2_b32 v1, v2, v3 offset0:64 offset1:96
	ds_write2_b32 v1, v4, v5 offset0:128 offset1:160
.LBB142_279:
	s_or_b64 exec, exec, s[0:1]
	v_cmp_gt_u32_e32 vcc, 64, v0
	s_waitcnt lgkmcnt(0)
	s_barrier
	s_and_saveexec_b64 s[2:3], vcc
	s_cbranch_execz .LBB142_288
; %bb.280:
	v_cmp_eq_u32_e64 s[0:1], 0, v26
	v_lshrrev_b32_e32 v1, 1, v0
	s_and_saveexec_b64 s[6:7], s[0:1]
	s_cbranch_execnz .LBB142_316
; %bb.281:
	s_or_b64 exec, exec, s[6:7]
	s_and_saveexec_b64 s[6:7], s[0:1]
	s_cbranch_execnz .LBB142_317
.LBB142_282:
	s_or_b64 exec, exec, s[6:7]
	s_and_saveexec_b64 s[6:7], s[0:1]
	s_cbranch_execnz .LBB142_318
.LBB142_283:
	s_or_b64 exec, exec, s[6:7]
	s_and_saveexec_b64 s[6:7], s[0:1]
	s_cbranch_execnz .LBB142_319
.LBB142_284:
	s_or_b64 exec, exec, s[6:7]
	s_and_saveexec_b64 s[6:7], s[0:1]
	s_cbranch_execnz .LBB142_320
.LBB142_285:
	s_or_b64 exec, exec, s[6:7]
	s_and_saveexec_b64 s[6:7], s[0:1]
	s_cbranch_execz .LBB142_287
.LBB142_286:
	v_mov_b32_e32 v8, 0x190
	v_lshl_add_u32 v1, v1, 2, v8
	ds_read_b32 v1, v1 offset:640
	s_waitcnt lgkmcnt(0)
	v_add_f32_e32 v5, v5, v1
.LBB142_287:
	s_or_b64 exec, exec, s[6:7]
.LBB142_288:
	s_or_b64 exec, exec, s[2:3]
	s_barrier
	s_and_saveexec_b64 s[0:1], vcc
	s_cbranch_execz .LBB142_315
; %bb.289:
	v_cmp_eq_u32_e32 vcc, 0, v26
	s_and_b64 exec, exec, vcc
	s_cbranch_execz .LBB142_315
; %bb.290:
	s_mov_b32 s0, 0x7f800000
	v_and_b32_e32 v1, 0x7f800000, v6
	v_cmp_ne_u32_e32 vcc, s0, v1
                                        ; implicit-def: $vgpr8
	s_and_saveexec_b64 s[0:1], vcc
	s_xor_b64 s[0:1], exec, s[0:1]
; %bb.291:
	v_bfe_u32 v1, v6, 16, 1
	s_movk_i32 s2, 0x7fff
	v_add3_u32 v8, v6, v1, s2
; %bb.292:
	s_andn2_saveexec_b64 s[0:1], s[0:1]
; %bb.293:
	v_mov_b32_e32 v1, 0
	v_or_b32_e32 v8, 0x10000, v6
	v_cmp_eq_u32_sdwa vcc, v6, v1 src0_sel:WORD_0 src1_sel:DWORD
	s_nop 1
	v_cndmask_b32_e32 v8, v8, v6, vcc
; %bb.294:
	s_or_b64 exec, exec, s[0:1]
	s_mul_i32 s0, s10, s11
	s_mul_i32 s0, s0, s5
	s_mulk_i32 s0, 0xc0
	s_ashr_i32 s1, s0, 31
	s_lshl_b64 s[0:1], s[0:1], 1
	s_add_u32 s2, s18, s0
	s_mul_i32 s0, s11, s16
	s_addc_u32 s3, s19, s1
	s_ashr_i32 s1, s0, 31
	s_lshl_b64 s[0:1], s[0:1], 1
	s_add_u32 s2, s2, s0
	s_mul_i32 s0, s4, 0xc0
	s_addc_u32 s3, s3, s1
	s_ashr_i32 s1, s0, 31
	s_lshl_b64 s[0:1], s[0:1], 1
	s_add_u32 s0, s2, s0
	s_mov_b32 s2, 0x7f800000
	v_and_b32_e32 v6, 0x7f800000, v7
	s_addc_u32 s1, s3, s1
	v_and_b32_e32 v0, 0x3fe, v0
	v_mov_b32_e32 v1, 0
	v_cmp_ne_u32_e32 vcc, s2, v6
	global_store_short_d16_hi v0, v8, s[0:1]
                                        ; implicit-def: $vgpr6
	s_and_saveexec_b64 s[2:3], vcc
	s_xor_b64 s[2:3], exec, s[2:3]
; %bb.295:
	v_bfe_u32 v6, v7, 16, 1
	s_movk_i32 s4, 0x7fff
	v_add3_u32 v6, v7, v6, s4
; %bb.296:
	s_or_saveexec_b64 s[2:3], s[2:3]
	v_lshl_add_u64 v[8:9], s[0:1], 0, v[0:1]
	s_xor_b64 exec, exec, s[2:3]
; %bb.297:
	v_mov_b32_e32 v0, 0
	v_or_b32_e32 v1, 0x10000, v7
	v_cmp_eq_u32_sdwa vcc, v7, v0 src0_sel:WORD_0 src1_sel:DWORD
	s_nop 1
	v_cndmask_b32_e32 v6, v1, v7, vcc
; %bb.298:
	s_or_b64 exec, exec, s[2:3]
	s_mov_b32 s0, 0x7f800000
	v_and_b32_e32 v0, 0x7f800000, v2
	v_cmp_ne_u32_e32 vcc, s0, v0
	global_store_short_d16_hi v[8:9], v6, off offset:64
                                        ; implicit-def: $vgpr0
	s_and_saveexec_b64 s[0:1], vcc
	s_xor_b64 s[0:1], exec, s[0:1]
; %bb.299:
	v_bfe_u32 v0, v2, 16, 1
	s_movk_i32 s2, 0x7fff
	v_add3_u32 v0, v2, v0, s2
; %bb.300:
	s_andn2_saveexec_b64 s[0:1], s[0:1]
; %bb.301:
	v_mov_b32_e32 v0, 0
	v_or_b32_e32 v1, 0x10000, v2
	v_cmp_eq_u32_sdwa vcc, v2, v0 src0_sel:WORD_0 src1_sel:DWORD
	s_nop 1
	v_cndmask_b32_e32 v0, v1, v2, vcc
; %bb.302:
	s_or_b64 exec, exec, s[0:1]
	global_store_short_d16_hi v[8:9], v0, off offset:128
	s_mov_b32 s0, 0x7f800000
	v_and_b32_e32 v0, 0x7f800000, v3
	v_cmp_ne_u32_e32 vcc, s0, v0
                                        ; implicit-def: $vgpr0
	s_and_saveexec_b64 s[0:1], vcc
	s_xor_b64 s[0:1], exec, s[0:1]
; %bb.303:
	v_bfe_u32 v0, v3, 16, 1
	s_movk_i32 s2, 0x7fff
	v_add3_u32 v0, v3, v0, s2
; %bb.304:
	s_andn2_saveexec_b64 s[0:1], s[0:1]
; %bb.305:
	v_mov_b32_e32 v0, 0
	v_or_b32_e32 v1, 0x10000, v3
	v_cmp_eq_u32_sdwa vcc, v3, v0 src0_sel:WORD_0 src1_sel:DWORD
	s_nop 1
	v_cndmask_b32_e32 v0, v1, v3, vcc
; %bb.306:
	s_or_b64 exec, exec, s[0:1]
	global_store_short_d16_hi v[8:9], v0, off offset:192
	s_mov_b32 s0, 0x7f800000
	v_and_b32_e32 v0, 0x7f800000, v4
	v_cmp_ne_u32_e32 vcc, s0, v0
	;; [unrolled: 21-line block ×3, first 2 shown]
                                        ; implicit-def: $vgpr6
	s_and_saveexec_b64 s[0:1], vcc
	s_xor_b64 s[0:1], exec, s[0:1]
; %bb.311:
	v_bfe_u32 v0, v5, 16, 1
	s_movk_i32 s2, 0x7fff
	v_add3_u32 v6, v5, v0, s2
                                        ; implicit-def: $vgpr0_vgpr1_vgpr2_vgpr3_vgpr4_vgpr5
; %bb.312:
	s_andn2_saveexec_b64 s[0:1], s[0:1]
; %bb.313:
	v_mov_b32_e32 v0, 0
	v_or_b32_e32 v1, 0x10000, v5
	v_cmp_eq_u32_sdwa vcc, v5, v0 src0_sel:WORD_0 src1_sel:DWORD
	s_nop 1
	v_cndmask_b32_e32 v6, v1, v5, vcc
; %bb.314:
	s_or_b64 exec, exec, s[0:1]
	global_store_short_d16_hi v[8:9], v6, off offset:320
.LBB142_315:
	s_endpgm
.LBB142_316:
	v_mov_b32_e32 v8, 0x190
	v_lshl_add_u32 v8, v1, 2, v8
	ds_read_b32 v8, v8
	s_waitcnt lgkmcnt(0)
	v_add_f32_e32 v6, v6, v8
	s_or_b64 exec, exec, s[6:7]
	s_and_saveexec_b64 s[6:7], s[0:1]
	s_cbranch_execz .LBB142_282
.LBB142_317:
	v_mov_b32_e32 v8, 0x190
	v_lshl_add_u32 v8, v1, 2, v8
	ds_read_b32 v8, v8 offset:128
	s_waitcnt lgkmcnt(0)
	v_add_f32_e32 v7, v7, v8
	s_or_b64 exec, exec, s[6:7]
	s_and_saveexec_b64 s[6:7], s[0:1]
	s_cbranch_execz .LBB142_283
.LBB142_318:
	v_mov_b32_e32 v8, 0x190
	v_lshl_add_u32 v8, v1, 2, v8
	ds_read_b32 v8, v8 offset:256
	s_waitcnt lgkmcnt(0)
	v_add_f32_e32 v2, v2, v8
	s_or_b64 exec, exec, s[6:7]
	s_and_saveexec_b64 s[6:7], s[0:1]
	s_cbranch_execz .LBB142_284
.LBB142_319:
	v_mov_b32_e32 v8, 0x190
	v_lshl_add_u32 v8, v1, 2, v8
	ds_read_b32 v8, v8 offset:384
	s_waitcnt lgkmcnt(0)
	v_add_f32_e32 v3, v3, v8
	s_or_b64 exec, exec, s[6:7]
	s_and_saveexec_b64 s[6:7], s[0:1]
	s_cbranch_execz .LBB142_285
.LBB142_320:
	v_mov_b32_e32 v8, 0x190
	v_lshl_add_u32 v8, v1, 2, v8
	ds_read_b32 v8, v8 offset:512
	s_waitcnt lgkmcnt(0)
	v_add_f32_e32 v4, v4, v8
	s_or_b64 exec, exec, s[6:7]
	s_and_saveexec_b64 s[6:7], s[0:1]
	s_cbranch_execnz .LBB142_286
	s_branch .LBB142_287
	.section	.rodata,"a",@progbits
	.p2align	6, 0x0
	.amdhsa_kernel _ZN4vllm25paged_attention_v1_kernelI14__hip_bfloat16S1_Li192ELi16ELi128ELNS_18Fp8KVCacheDataTypeE0ELb0EEEvPT_PKS3_PKT0_S9_ifPKiSB_iPKfiiiSD_SD_iiiii
		.amdhsa_group_segment_fixed_size 400
		.amdhsa_private_segment_fixed_size 0
		.amdhsa_kernarg_size 384
		.amdhsa_user_sgpr_count 2
		.amdhsa_user_sgpr_dispatch_ptr 0
		.amdhsa_user_sgpr_queue_ptr 0
		.amdhsa_user_sgpr_kernarg_segment_ptr 1
		.amdhsa_user_sgpr_dispatch_id 0
		.amdhsa_user_sgpr_kernarg_preload_length 0
		.amdhsa_user_sgpr_kernarg_preload_offset 0
		.amdhsa_user_sgpr_private_segment_size 0
		.amdhsa_uses_dynamic_stack 0
		.amdhsa_enable_private_segment 0
		.amdhsa_system_sgpr_workgroup_id_x 1
		.amdhsa_system_sgpr_workgroup_id_y 1
		.amdhsa_system_sgpr_workgroup_id_z 1
		.amdhsa_system_sgpr_workgroup_info 0
		.amdhsa_system_vgpr_workitem_id 0
		.amdhsa_next_free_vgpr 101
		.amdhsa_next_free_sgpr 35
		.amdhsa_accum_offset 104
		.amdhsa_reserve_vcc 1
		.amdhsa_float_round_mode_32 0
		.amdhsa_float_round_mode_16_64 0
		.amdhsa_float_denorm_mode_32 3
		.amdhsa_float_denorm_mode_16_64 3
		.amdhsa_dx10_clamp 1
		.amdhsa_ieee_mode 1
		.amdhsa_fp16_overflow 0
		.amdhsa_tg_split 0
		.amdhsa_exception_fp_ieee_invalid_op 0
		.amdhsa_exception_fp_denorm_src 0
		.amdhsa_exception_fp_ieee_div_zero 0
		.amdhsa_exception_fp_ieee_overflow 0
		.amdhsa_exception_fp_ieee_underflow 0
		.amdhsa_exception_fp_ieee_inexact 0
		.amdhsa_exception_int_div_zero 0
	.end_amdhsa_kernel
	.section	.text._ZN4vllm25paged_attention_v1_kernelI14__hip_bfloat16S1_Li192ELi16ELi128ELNS_18Fp8KVCacheDataTypeE0ELb0EEEvPT_PKS3_PKT0_S9_ifPKiSB_iPKfiiiSD_SD_iiiii,"axG",@progbits,_ZN4vllm25paged_attention_v1_kernelI14__hip_bfloat16S1_Li192ELi16ELi128ELNS_18Fp8KVCacheDataTypeE0ELb0EEEvPT_PKS3_PKT0_S9_ifPKiSB_iPKfiiiSD_SD_iiiii,comdat
.Lfunc_end142:
	.size	_ZN4vllm25paged_attention_v1_kernelI14__hip_bfloat16S1_Li192ELi16ELi128ELNS_18Fp8KVCacheDataTypeE0ELb0EEEvPT_PKS3_PKT0_S9_ifPKiSB_iPKfiiiSD_SD_iiiii, .Lfunc_end142-_ZN4vllm25paged_attention_v1_kernelI14__hip_bfloat16S1_Li192ELi16ELi128ELNS_18Fp8KVCacheDataTypeE0ELb0EEEvPT_PKS3_PKT0_S9_ifPKiSB_iPKfiiiSD_SD_iiiii
                                        ; -- End function
	.section	.AMDGPU.csdata,"",@progbits
; Kernel info:
; codeLenInByte = 11368
; NumSgprs: 41
; NumVgprs: 101
; NumAgprs: 0
; TotalNumVgprs: 101
; ScratchSize: 0
; MemoryBound: 0
; FloatMode: 240
; IeeeMode: 1
; LDSByteSize: 400 bytes/workgroup (compile time only)
; SGPRBlocks: 5
; VGPRBlocks: 12
; NumSGPRsForWavesPerEU: 41
; NumVGPRsForWavesPerEU: 101
; AccumOffset: 104
; Occupancy: 4
; WaveLimiterHint : 1
; COMPUTE_PGM_RSRC2:SCRATCH_EN: 0
; COMPUTE_PGM_RSRC2:USER_SGPR: 2
; COMPUTE_PGM_RSRC2:TRAP_HANDLER: 0
; COMPUTE_PGM_RSRC2:TGID_X_EN: 1
; COMPUTE_PGM_RSRC2:TGID_Y_EN: 1
; COMPUTE_PGM_RSRC2:TGID_Z_EN: 1
; COMPUTE_PGM_RSRC2:TIDIG_COMP_CNT: 0
; COMPUTE_PGM_RSRC3_GFX90A:ACCUM_OFFSET: 25
; COMPUTE_PGM_RSRC3_GFX90A:TG_SPLIT: 0
	.section	.text._ZN4vllm25paged_attention_v1_kernelI14__hip_bfloat16S1_Li256ELi16ELi128ELNS_18Fp8KVCacheDataTypeE0ELb0EEEvPT_PKS3_PKT0_S9_ifPKiSB_iPKfiiiSD_SD_iiiii,"axG",@progbits,_ZN4vllm25paged_attention_v1_kernelI14__hip_bfloat16S1_Li256ELi16ELi128ELNS_18Fp8KVCacheDataTypeE0ELb0EEEvPT_PKS3_PKT0_S9_ifPKiSB_iPKfiiiSD_SD_iiiii,comdat
	.protected	_ZN4vllm25paged_attention_v1_kernelI14__hip_bfloat16S1_Li256ELi16ELi128ELNS_18Fp8KVCacheDataTypeE0ELb0EEEvPT_PKS3_PKT0_S9_ifPKiSB_iPKfiiiSD_SD_iiiii ; -- Begin function _ZN4vllm25paged_attention_v1_kernelI14__hip_bfloat16S1_Li256ELi16ELi128ELNS_18Fp8KVCacheDataTypeE0ELb0EEEvPT_PKS3_PKT0_S9_ifPKiSB_iPKfiiiSD_SD_iiiii
	.globl	_ZN4vllm25paged_attention_v1_kernelI14__hip_bfloat16S1_Li256ELi16ELi128ELNS_18Fp8KVCacheDataTypeE0ELb0EEEvPT_PKS3_PKT0_S9_ifPKiSB_iPKfiiiSD_SD_iiiii
	.p2align	8
	.type	_ZN4vllm25paged_attention_v1_kernelI14__hip_bfloat16S1_Li256ELi16ELi128ELNS_18Fp8KVCacheDataTypeE0ELb0EEEvPT_PKS3_PKT0_S9_ifPKiSB_iPKfiiiSD_SD_iiiii,@function
_ZN4vllm25paged_attention_v1_kernelI14__hip_bfloat16S1_Li256ELi16ELi128ELNS_18Fp8KVCacheDataTypeE0ELb0EEEvPT_PKS3_PKT0_S9_ifPKiSB_iPKfiiiSD_SD_iiiii: ; @_ZN4vllm25paged_attention_v1_kernelI14__hip_bfloat16S1_Li256ELi16ELi128ELNS_18Fp8KVCacheDataTypeE0ELb0EEEvPT_PKS3_PKT0_S9_ifPKiSB_iPKfiiiSD_SD_iiiii
; %bb.0:
	s_load_dword s5, s[0:1], 0x80
	s_load_dwordx2 s[6:7], s[0:1], 0x30
	s_load_dwordx2 s[8:9], s[0:1], 0x20
	s_mov_b32 s10, s3
	s_ashr_i32 s11, s3, 31
	s_lshl_b64 s[12:13], s[10:11], 2
	s_waitcnt lgkmcnt(0)
	s_add_u32 s6, s6, s12
	s_addc_u32 s7, s7, s13
	s_abs_i32 s3, s8
	v_cvt_f32_u32_e32 v1, s3
	s_sub_i32 s12, 0, s3
	s_abs_i32 s11, s5
	s_xor_b32 s8, s5, s8
	v_rcp_iflag_f32_e32 v1, v1
	s_ashr_i32 s8, s8, 31
	v_mul_f32_e32 v1, 0x4f7ffffe, v1
	v_cvt_u32_f32_e32 v1, v1
	s_nop 0
	v_readfirstlane_b32 s13, v1
	s_mul_i32 s12, s12, s13
	s_mul_hi_u32 s12, s13, s12
	s_add_i32 s13, s13, s12
	s_mul_hi_u32 s12, s11, s13
	s_mul_i32 s13, s12, s3
	s_sub_i32 s11, s11, s13
	s_add_i32 s13, s12, 1
	s_sub_i32 s14, s11, s3
	s_cmp_ge_u32 s11, s3
	s_cselect_b32 s12, s13, s12
	s_cselect_b32 s11, s14, s11
	s_add_i32 s13, s12, 1
	s_cmp_ge_u32 s11, s3
	s_cselect_b32 s3, s13, s12
	s_xor_b32 s3, s3, s8
	s_sub_i32 s14, s3, s8
	s_abs_i32 s11, s14
	v_cvt_f32_u32_e32 v1, s11
	s_load_dwordx2 s[12:13], s[0:1], 0x40
	s_sub_i32 s3, 0, s11
	s_abs_i32 s18, s2
	v_rcp_iflag_f32_e32 v1, v1
	s_mov_b32 s8, 0
	v_mul_f32_e32 v1, 0x4f7ffffe, v1
	v_cvt_u32_f32_e32 v1, v1
	s_nop 0
	v_readfirstlane_b32 s15, v1
	s_mul_i32 s3, s3, s15
	s_mul_hi_u32 s3, s15, s3
	s_add_i32 s15, s15, s3
	s_waitcnt lgkmcnt(0)
	s_cmp_eq_u64 s[12:13], 0
	s_mul_hi_u32 s19, s18, s15
	s_cbranch_scc1 .LBB143_2
; %bb.1:
	s_ashr_i32 s3, s2, 31
	s_lshl_b64 s[16:17], s[2:3], 2
	s_add_u32 s12, s12, s16
	s_addc_u32 s13, s13, s17
	s_load_dword s8, s[12:13], 0x0
.LBB143_2:
	s_load_dword s33, s[6:7], 0x0
	s_ashr_i32 s7, s14, 31
	s_load_dwordx4 s[12:15], s[0:1], 0x48
	s_ashr_i32 s6, s2, 31
	s_lshl_b32 s16, s2, 8
	s_movk_i32 s2, 0x80
	v_and_b32_e32 v2, 3, v0
	v_cmp_gt_u32_e32 vcc, s2, v0
	s_and_saveexec_b64 s[2:3], vcc
	s_cbranch_execz .LBB143_4
; %bb.3:
	s_load_dwordx2 s[20:21], s[0:1], 0x8
	s_waitcnt lgkmcnt(0)
	s_mul_i32 s22, s10, s12
	s_ashr_i32 s23, s22, 31
	s_lshl_b64 s[22:23], s[22:23], 1
	v_lshlrev_b32_e32 v1, 2, v0
	s_add_u32 s12, s20, s22
	s_addc_u32 s15, s21, s23
	s_ashr_i32 s17, s16, 31
	s_lshl_b64 s[20:21], s[16:17], 1
	s_add_u32 s20, s12, s20
	s_addc_u32 s21, s15, s21
	global_load_dword v1, v1, s[20:21]
	v_and_b32_e32 v3, 0x3fc, v0
	v_lshl_add_u32 v3, v2, 7, v3
	s_waitcnt vmcnt(0)
	ds_write_b32 v3, v1
.LBB143_4:
	s_or_b64 exec, exec, s[2:3]
	s_waitcnt lgkmcnt(0)
	s_add_i32 s3, s33, 15
	s_ashr_i32 s12, s3, 31
	s_lshr_b32 s12, s12, 28
	s_add_i32 s3, s3, s12
	s_ashr_i32 s17, s3, 4
	s_xor_b32 s3, s6, s7
	s_mul_i32 s6, s19, s11
	s_sub_i32 s6, s18, s6
	s_add_i32 s7, s19, 1
	s_sub_i32 s12, s6, s11
	s_load_dwordx2 s[20:21], s[0:1], 0x28
	s_load_dword s2, s[0:1], 0x38
	s_cmp_ge_u32 s6, s11
	s_cselect_b32 s7, s7, s19
	s_cselect_b32 s6, s12, s6
	s_add_i32 s12, s7, 1
	s_cmp_ge_u32 s6, s11
	s_cselect_b32 s6, s12, s7
	v_lshrrev_b32_e32 v1, 6, v0
	s_xor_b32 s6, s6, s3
	s_waitcnt lgkmcnt(0)
	s_mul_i32 s22, s10, s2
	s_sub_i32 s12, s6, s3
	s_ashr_i32 s23, s22, 31
	v_cmp_gt_i32_e64 s[6:7], s17, v1
	v_cmp_le_i32_e32 vcc, s17, v1
	v_mbcnt_lo_u32_b32 v4, -1, 0
	s_barrier
	s_waitcnt lgkmcnt(0)
                                        ; implicit-def: $sgpr15
                                        ; implicit-def: $vgpr7
                                        ; implicit-def: $vgpr8
	s_and_saveexec_b64 s[2:3], vcc
	s_xor_b64 s[2:3], exec, s[2:3]
; %bb.5:
	v_mbcnt_hi_u32_b32 v7, -1, v4
	v_and_b32_e32 v2, 64, v7
	v_add_u32_e32 v8, 64, v2
	s_mov_b32 s15, 0xff7fffff
                                        ; implicit-def: $vgpr2
                                        ; implicit-def: $vgpr4
; %bb.6:
	s_or_saveexec_b64 s[26:27], s[2:3]
	s_load_dwordx2 s[18:19], s[0:1], 0x0
	s_load_dwordx2 s[24:25], s[0:1], 0x18
	s_load_dword s11, s[0:1], 0x88
	v_mov_b32_e32 v73, s15
	s_mul_i32 s14, s12, s14
	v_lshrrev_b32_e32 v6, 4, v0
	s_xor_b64 exec, exec, s[26:27]
	s_cbranch_execz .LBB143_12
; %bb.7:
	s_load_dwordx2 s[0:1], s[0:1], 0x10
	s_ashr_i32 s15, s14, 31
	s_lshl_b64 s[2:3], s[14:15], 1
	v_mbcnt_hi_u32_b32 v7, -1, v4
	v_bfe_u32 v5, v0, 2, 4
	s_waitcnt lgkmcnt(0)
	s_add_u32 s0, s0, s2
	v_and_b32_e32 v4, 64, v7
	v_lshlrev_b32_e32 v3, 7, v2
	s_addc_u32 s1, s1, s3
	v_lshlrev_b32_e32 v78, 4, v5
	v_mov_b32_e32 v79, 0
	v_add_u32_e32 v8, 64, v4
	v_xor_b32_e32 v4, 2, v7
	ds_read_b128 v[14:17], v3
	ds_read_b128 v[22:25], v3 offset:16
	ds_read_b128 v[30:33], v3 offset:32
	;; [unrolled: 1-line block ×7, first 2 shown]
	v_lshlrev_b32_e32 v3, 2, v0
	v_lshl_add_u64 v[74:75], s[0:1], 0, v[78:79]
	v_cmp_lt_i32_e64 s[0:1], v4, v8
	v_and_b32_e32 v78, 12, v3
	v_cmp_eq_u32_e32 vcc, 0, v2
	v_cndmask_b32_e64 v4, v7, v4, s[0:1]
	v_lshl_add_u64 v[2:3], v[74:75], 0, v[78:79]
	v_lshlrev_b32_e32 v74, 2, v4
	v_xor_b32_e32 v4, 1, v7
	v_cmp_lt_i32_e64 s[0:1], v4, v8
	s_sub_i32 s15, 1, s33
	v_and_b32_e32 v78, 60, v6
	v_cndmask_b32_e64 v4, v7, v4, s[0:1]
	s_lshl_b64 s[0:1], s[22:23], 2
	v_lshlrev_b32_e32 v75, 2, v4
	v_lshlrev_b32_e32 v4, 2, v5
	s_add_u32 s0, s20, s0
	v_lshl_or_b32 v4, v1, 6, v4
	s_addc_u32 s1, s21, s1
	s_waitcnt lgkmcnt(7)
	v_lshlrev_b32_e32 v9, 16, v14
	v_and_b32_e32 v10, 0xffff0000, v14
	v_lshlrev_b32_e32 v11, 16, v15
	v_and_b32_e32 v12, 0xffff0000, v15
	v_lshlrev_b32_e32 v13, 16, v16
	v_and_b32_e32 v14, 0xffff0000, v16
	v_lshlrev_b32_e32 v15, 16, v17
	v_and_b32_e32 v16, 0xffff0000, v17
	s_waitcnt lgkmcnt(6)
	v_lshlrev_b32_e32 v17, 16, v22
	v_and_b32_e32 v18, 0xffff0000, v22
	v_lshlrev_b32_e32 v19, 16, v23
	v_and_b32_e32 v20, 0xffff0000, v23
	v_lshlrev_b32_e32 v21, 16, v24
	v_and_b32_e32 v22, 0xffff0000, v24
	v_lshlrev_b32_e32 v23, 16, v25
	v_and_b32_e32 v24, 0xffff0000, v25
	;; [unrolled: 9-line block ×8, first 2 shown]
	s_mov_b32 s12, s13
	v_cmp_neq_f32_e64 s[2:3], s8, 0
	v_lshl_or_b32 v76, v1, 4, v5
	v_add_u32_e32 v77, 0x210, v4
	v_lshl_add_u64 v[4:5], s[0:1], 0, v[78:79]
	s_mov_b64 s[28:29], 0
	s_movk_i32 s34, 0x1000
	v_mov_b32_e32 v73, 0xff7fffff
	v_mov_b32_e32 v78, v1
	s_branch .LBB143_9
.LBB143_8:                              ;   in Loop: Header=BB143_9 Depth=1
	s_or_b64 exec, exec, s[30:31]
	v_add_u32_e32 v78, 2, v78
	v_cmp_le_i32_e64 s[0:1], s17, v78
	v_add_u32_e32 v76, 32, v76
	v_add_u32_e32 v77, 0x80, v77
	s_or_b64 s[28:29], s[0:1], s[28:29]
	v_lshl_add_u64 v[4:5], v[4:5], 0, 8
	s_andn2_b64 exec, exec, s[28:29]
	s_cbranch_execz .LBB143_11
.LBB143_9:                              ; =>This Inner Loop Header: Depth=1
	global_load_dword v79, v[4:5], off
	s_waitcnt vmcnt(0) lgkmcnt(0)
	v_mad_i64_i32 v[80:81], s[0:1], v79, s12, 0
	v_lshl_add_u64 v[80:81], v[80:81], 1, v[2:3]
	global_load_dword v88, v[80:81], off offset:256
	global_load_dword v89, v[80:81], off
	global_load_dword v90, v[80:81], off offset:512
	global_load_dword v91, v[80:81], off offset:768
	;; [unrolled: 1-line block ×9, first 2 shown]
	v_add_co_u32_e64 v86, s[0:1], s34, v80
	s_waitcnt vmcnt(10)
	v_lshlrev_b32_e32 v79, 16, v88
	v_addc_co_u32_e64 v87, s[0:1], 0, v81, s[0:1]
	global_load_dword v99, v[80:81], off offset:2816
	global_load_dword v100, v[80:81], off offset:3072
	;; [unrolled: 1-line block ×5, first 2 shown]
	global_load_dword v104, v[86:87], off
	global_load_dword v105, v[86:87], off offset:256
	global_load_dword v106, v[86:87], off offset:512
	;; [unrolled: 1-line block ×15, first 2 shown]
	v_mul_f32_e32 v79, v11, v79
	s_waitcnt vmcnt(30)
	v_lshlrev_b32_e32 v80, 16, v89
	v_fmac_f32_e32 v79, v9, v80
	v_and_b32_e32 v80, 0xffff0000, v88
	v_and_b32_e32 v86, 0xffff0000, v89
	v_mul_f32_e32 v80, v12, v80
	v_fmac_f32_e32 v80, v10, v86
	s_waitcnt vmcnt(29)
	v_lshlrev_b32_e32 v86, 16, v90
	v_fmac_f32_e32 v79, v13, v86
	v_and_b32_e32 v86, 0xffff0000, v90
	v_fmac_f32_e32 v80, v14, v86
	s_waitcnt vmcnt(28)
	v_lshlrev_b32_e32 v86, 16, v91
	v_fmac_f32_e32 v79, v15, v86
	v_and_b32_e32 v86, 0xffff0000, v91
	;; [unrolled: 5-line block ×18, first 2 shown]
	v_fmac_f32_e32 v80, v48, v86
	s_waitcnt vmcnt(11)
	v_lshlrev_b32_e32 v86, 16, v108
	v_and_b32_e32 v87, 0xffff0000, v108
	v_fmac_f32_e32 v79, v49, v86
	s_waitcnt vmcnt(10)
	v_lshlrev_b32_e32 v86, 16, v109
	v_and_b32_e32 v88, 0xffff0000, v109
	;; [unrolled: 4-line block ×3, first 2 shown]
	v_fmac_f32_e32 v79, v51, v86
	v_fmac_f32_e32 v80, v52, v88
	s_waitcnt vmcnt(8)
	v_lshlrev_b32_e32 v86, 16, v111
	v_and_b32_e32 v90, 0xffff0000, v111
	v_fmac_f32_e32 v79, v53, v87
	v_fmac_f32_e32 v80, v54, v89
	s_waitcnt vmcnt(7)
	v_lshlrev_b32_e32 v88, 16, v112
	v_and_b32_e32 v91, 0xffff0000, v112
	;; [unrolled: 5-line block ×9, first 2 shown]
	v_fmac_f32_e32 v79, v69, v91
	v_fmac_f32_e32 v80, v70, v82
	;; [unrolled: 1-line block ×4, first 2 shown]
	v_add_f32_e32 v79, v79, v80
	ds_bpermute_b32 v80, v74, v79
	s_waitcnt lgkmcnt(0)
	v_add_f32_e32 v79, v79, v80
	ds_bpermute_b32 v80, v75, v79
	s_and_saveexec_b64 s[30:31], vcc
	s_cbranch_execz .LBB143_8
; %bb.10:                               ;   in Loop: Header=BB143_9 Depth=1
	v_add_u32_e32 v81, s15, v76
	v_cvt_f32_i32_e32 v81, v81
	s_waitcnt lgkmcnt(0)
	v_add_f32_e32 v79, v79, v80
	v_cmp_gt_i32_e64 s[0:1], s33, v76
	v_max_f32_e32 v80, v73, v73
	v_mul_f32_e32 v81, s8, v81
	v_cndmask_b32_e64 v81, 0, v81, s[2:3]
	v_fmac_f32_e32 v81, s9, v79
	v_cndmask_b32_e64 v79, 0, v81, s[0:1]
	ds_write_b32 v77, v79
	v_max_f32_e32 v79, v80, v81
	v_cndmask_b32_e64 v73, v73, v79, s[0:1]
	s_branch .LBB143_8
.LBB143_11:
	s_or_b64 exec, exec, s[28:29]
.LBB143_12:
	s_or_b64 exec, exec, s[26:27]
	v_xor_b32_e32 v2, 32, v7
	v_cmp_lt_i32_e32 vcc, v2, v8
	v_xor_b32_e32 v5, 16, v7
	v_max_f32_e32 v4, v73, v73
	v_cndmask_b32_e32 v2, v7, v2, vcc
	v_lshlrev_b32_e32 v2, 2, v2
	ds_bpermute_b32 v3, v2, v73
	v_cmp_lt_i32_e32 vcc, v5, v8
	v_xor_b32_e32 v9, 8, v7
	v_xor_b32_e32 v10, 4, v7
	v_and_b32_e32 v30, 63, v0
	s_waitcnt lgkmcnt(0)
	v_max_f32_e32 v3, v3, v3
	v_max_f32_e32 v4, v4, v3
	v_cndmask_b32_e32 v3, v7, v5, vcc
	v_lshlrev_b32_e32 v3, 2, v3
	ds_bpermute_b32 v5, v3, v4
	v_cmp_lt_i32_e32 vcc, v9, v8
	s_waitcnt lgkmcnt(0)
	v_max_f32_e32 v5, v5, v5
	v_max_f32_e32 v4, v4, v5
	v_cndmask_b32_e32 v5, v7, v9, vcc
	v_lshlrev_b32_e32 v9, 2, v5
	ds_bpermute_b32 v5, v9, v4
	v_cmp_lt_i32_e32 vcc, v10, v8
	s_waitcnt lgkmcnt(0)
	v_max_f32_e32 v5, v5, v5
	v_max_f32_e32 v5, v4, v5
	v_cndmask_b32_e32 v4, v7, v10, vcc
	v_lshlrev_b32_e32 v10, 2, v4
	ds_bpermute_b32 v11, v10, v5
	v_cmp_eq_u32_e32 vcc, 0, v30
	v_lshlrev_b32_e32 v4, 2, v1
	s_and_saveexec_b64 s[0:1], vcc
	s_cbranch_execz .LBB143_14
; %bb.13:
	s_waitcnt lgkmcnt(0)
	v_max_f32_e32 v11, v11, v11
	v_max_f32_e32 v5, v5, v5
	v_max_f32_e32 v5, v5, v11
	ds_write_b32 v4, v5 offset:512
.LBB143_14:
	s_or_b64 exec, exec, s[0:1]
	v_cmp_gt_u32_e64 s[0:1], 2, v30
	s_waitcnt lgkmcnt(0)
	v_mov_b32_e32 v11, 0xff7fffff
	v_lshlrev_b32_e32 v5, 2, v30
	s_barrier
	s_and_saveexec_b64 s[2:3], s[0:1]
	s_cbranch_execz .LBB143_16
; %bb.15:
	ds_read_b32 v11, v5 offset:512
.LBB143_16:
	s_or_b64 exec, exec, s[2:3]
	v_xor_b32_e32 v12, 1, v7
	v_cmp_lt_i32_e64 s[2:3], v12, v8
	v_lshlrev_b32_e32 v13, 2, v7
	s_nop 0
	v_cndmask_b32_e64 v12, v7, v12, s[2:3]
	v_lshlrev_b32_e32 v31, 2, v12
	s_waitcnt lgkmcnt(0)
	ds_bpermute_b32 v12, v31, v11
	v_max_f32_e32 v11, v11, v11
	s_lshl_b32 s2, s17, 4
	s_min_i32 s12, s2, s33
	v_cmp_gt_i32_e64 s[2:3], s12, v0
	s_waitcnt lgkmcnt(0)
	v_max_f32_e32 v12, v12, v12
	v_max_f32_e32 v12, v11, v12
	v_and_b32_e32 v11, 0xffffff00, v13
	ds_bpermute_b32 v13, v11, v12
	v_mov_b32_e32 v12, 0
	s_and_saveexec_b64 s[26:27], s[2:3]
	s_cbranch_execz .LBB143_20
; %bb.17:
	v_mov_b32_e32 v12, 0x210
	v_lshl_add_u32 v14, v0, 2, v12
	s_mov_b64 s[28:29], 0
	v_mov_b32_e32 v12, 0
	v_mov_b32_e32 v15, v0
.LBB143_18:                             ; =>This Inner Loop Header: Depth=1
	ds_read_b32 v16, v14
	v_add_u32_e32 v15, 0x80, v15
	v_cmp_le_i32_e64 s[8:9], s12, v15
	s_or_b64 s[28:29], s[8:9], s[28:29]
	s_waitcnt lgkmcnt(0)
	v_sub_f32_e32 v16, v16, v13
	v_mul_f32_e32 v16, 0x3fb8aa3b, v16
	v_exp_f32_e32 v16, v16
	ds_write_b32 v14, v16
	v_add_f32_e32 v12, v12, v16
	v_add_u32_e32 v14, 0x200, v14
	s_andn2_b64 exec, exec, s[28:29]
	s_cbranch_execnz .LBB143_18
; %bb.19:
	s_or_b64 exec, exec, s[28:29]
.LBB143_20:
	s_or_b64 exec, exec, s[26:27]
	ds_bpermute_b32 v2, v2, v12
	s_waitcnt lgkmcnt(0)
	v_add_f32_e32 v2, v12, v2
	ds_bpermute_b32 v3, v3, v2
	s_waitcnt lgkmcnt(0)
	v_add_f32_e32 v2, v2, v3
	ds_bpermute_b32 v3, v9, v2
	v_xor_b32_e32 v9, 2, v7
	v_cmp_lt_i32_e64 s[8:9], v9, v8
	s_waitcnt lgkmcnt(0)
	v_add_f32_e32 v2, v2, v3
	ds_bpermute_b32 v3, v10, v2
	v_cndmask_b32_e64 v7, v7, v9, s[8:9]
	s_waitcnt lgkmcnt(0)
	v_add_f32_e32 v2, v2, v3
	v_lshlrev_b32_e32 v3, 2, v7
	ds_bpermute_b32 v3, v3, v2
	s_waitcnt lgkmcnt(0)
	v_add_f32_e32 v2, v2, v3
	ds_bpermute_b32 v3, v31, v2
	s_waitcnt lgkmcnt(0)
	v_add_f32_e32 v2, v2, v3
	s_and_saveexec_b64 s[8:9], vcc
	s_cbranch_execz .LBB143_22
; %bb.21:
	ds_write_b32 v4, v2 offset:520
.LBB143_22:
	s_or_b64 exec, exec, s[8:9]
	s_waitcnt lgkmcnt(0)
	s_barrier
	s_and_saveexec_b64 s[8:9], s[0:1]
	s_cbranch_execz .LBB143_24
; %bb.23:
	ds_read_b32 v2, v5 offset:520
.LBB143_24:
	s_or_b64 exec, exec, s[8:9]
	s_waitcnt lgkmcnt(0)
	ds_bpermute_b32 v3, v31, v2
	s_waitcnt lgkmcnt(0)
	v_add_f32_e32 v2, v2, v3
	ds_bpermute_b32 v2, v11, v2
	s_and_saveexec_b64 s[0:1], s[2:3]
	s_cbranch_execz .LBB143_37
; %bb.25:
	s_waitcnt lgkmcnt(0)
	v_add_f32_e32 v2, 0x358637bd, v2
	v_div_scale_f32 v3, s[2:3], v2, v2, 1.0
	v_rcp_f32_e32 v4, v3
	v_div_scale_f32 v5, vcc, 1.0, v2, 1.0
	s_movk_i32 s2, 0x7f
	v_fma_f32 v7, -v3, v4, 1.0
	v_fmac_f32_e32 v4, v7, v4
	v_mul_f32_e32 v7, v5, v4
	v_fma_f32 v8, -v3, v7, v5
	v_fmac_f32_e32 v7, v8, v4
	v_fma_f32 v3, -v3, v7, v5
	v_div_fmas_f32 v3, v3, v4, v7
	v_xad_u32 v4, v0, -1, s12
	v_div_fixup_f32 v2, v3, v2, 1.0
	v_cmp_lt_u32_e32 vcc, s2, v4
	s_mov_b64 s[8:9], -1
	v_mov_b32_e32 v3, v0
	s_and_saveexec_b64 s[2:3], vcc
	s_cbranch_execz .LBB143_34
; %bb.26:
	v_lshrrev_b32_e32 v4, 7, v4
	v_add_u32_e32 v7, -1, v4
	v_lshrrev_b32_e32 v5, 1, v7
	v_mov_b32_e32 v3, v2
	v_add_u32_e32 v5, 1, v5
	v_cmp_lt_u32_e32 vcc, 13, v7
	v_mov_b32_e32 v9, 0
	s_and_saveexec_b64 s[8:9], vcc
	s_cbranch_execz .LBB143_30
; %bb.27:
	v_mov_b32_e32 v8, 0x210
	v_and_b32_e32 v7, -8, v5
	v_lshl_add_u32 v8, v0, 2, v8
	s_mov_b32 s15, 0
	s_mov_b64 s[26:27], 0
.LBB143_28:                             ; =>This Inner Loop Header: Depth=1
	ds_read2st64_b32 v[10:11], v8 offset1:2
	ds_read2st64_b32 v[12:13], v8 offset0:4 offset1:6
	ds_read2st64_b32 v[14:15], v8 offset0:8 offset1:10
	;; [unrolled: 1-line block ×3, first 2 shown]
	v_add_u32_e32 v7, -8, v7
	s_waitcnt lgkmcnt(3)
	v_pk_mul_f32 v[10:11], v[2:3], v[10:11]
	s_waitcnt lgkmcnt(2)
	v_pk_mul_f32 v[12:13], v[2:3], v[12:13]
	ds_write2st64_b32 v8, v10, v11 offset1:2
	ds_write2st64_b32 v8, v12, v13 offset0:4 offset1:6
	ds_read2st64_b32 v[12:13], v8 offset0:16 offset1:18
	s_waitcnt lgkmcnt(4)
	v_pk_mul_f32 v[10:11], v[2:3], v[14:15]
	ds_write2st64_b32 v8, v10, v11 offset0:8 offset1:10
	s_waitcnt lgkmcnt(4)
	v_pk_mul_f32 v[10:11], v[2:3], v[16:17]
	ds_write2st64_b32 v8, v10, v11 offset0:12 offset1:14
	ds_read2st64_b32 v[10:11], v8 offset0:20 offset1:22
	s_waitcnt lgkmcnt(3)
	v_pk_mul_f32 v[12:13], v[2:3], v[12:13]
	ds_read2st64_b32 v[14:15], v8 offset0:24 offset1:26
	ds_write2st64_b32 v8, v12, v13 offset0:16 offset1:18
	ds_read2st64_b32 v[12:13], v8 offset0:28 offset1:30
	s_waitcnt lgkmcnt(3)
	v_pk_mul_f32 v[10:11], v[2:3], v[10:11]
	ds_write2st64_b32 v8, v10, v11 offset0:20 offset1:22
	s_waitcnt lgkmcnt(3)
	v_pk_mul_f32 v[10:11], v[2:3], v[14:15]
	ds_write2st64_b32 v8, v10, v11 offset0:24 offset1:26
	s_waitcnt lgkmcnt(2)
	v_pk_mul_f32 v[10:11], v[2:3], v[12:13]
	s_add_i32 s15, s15, 16
	v_cmp_eq_u32_e32 vcc, 0, v7
	ds_write2st64_b32 v8, v10, v11 offset0:28 offset1:30
	v_add_u32_e32 v8, 0x2000, v8
	s_or_b64 s[26:27], vcc, s[26:27]
	v_mov_b32_e32 v9, s15
	s_andn2_b64 exec, exec, s[26:27]
	s_cbranch_execnz .LBB143_28
; %bb.29:
	s_or_b64 exec, exec, s[26:27]
.LBB143_30:
	s_or_b64 exec, exec, s[8:9]
	v_and_b32_e32 v5, 7, v5
	v_cmp_ne_u32_e32 vcc, 0, v5
	s_and_saveexec_b64 s[8:9], vcc
	s_cbranch_execz .LBB143_33
; %bb.31:
	v_lshlrev_b32_e32 v7, 9, v9
	v_lshlrev_b32_e32 v8, 2, v0
	s_movk_i32 s15, 0x210
	v_add3_u32 v7, v7, v8, s15
	s_mov_b64 s[26:27], 0
.LBB143_32:                             ; =>This Inner Loop Header: Depth=1
	ds_read2st64_b32 v[8:9], v7 offset1:2
	v_add_u32_e32 v5, -1, v5
	v_cmp_eq_u32_e32 vcc, 0, v5
	s_or_b64 s[26:27], vcc, s[26:27]
	s_waitcnt lgkmcnt(0)
	v_pk_mul_f32 v[8:9], v[2:3], v[8:9]
	ds_write2st64_b32 v7, v8, v9 offset1:2
	v_add_u32_e32 v7, 0x400, v7
	s_andn2_b64 exec, exec, s[26:27]
	s_cbranch_execnz .LBB143_32
.LBB143_33:
	s_or_b64 exec, exec, s[8:9]
	v_add_u32_e32 v4, 1, v4
	v_and_b32_e32 v5, 0x3fffffe, v4
	v_cmp_ne_u32_e32 vcc, v4, v5
	v_lshl_add_u32 v3, v5, 7, v0
	s_orn2_b64 s[8:9], vcc, exec
.LBB143_34:
	s_or_b64 exec, exec, s[2:3]
	s_and_b64 exec, exec, s[8:9]
	s_cbranch_execz .LBB143_37
; %bb.35:
	v_mov_b32_e32 v4, 0x210
	v_lshl_add_u32 v4, v3, 2, v4
	s_mov_b64 s[2:3], 0
.LBB143_36:                             ; =>This Inner Loop Header: Depth=1
	ds_read_b32 v5, v4
	v_add_u32_e32 v3, 0x80, v3
	v_cmp_le_i32_e32 vcc, s12, v3
	s_or_b64 s[2:3], vcc, s[2:3]
	s_waitcnt lgkmcnt(0)
	v_mul_f32_e32 v5, v2, v5
	ds_write_b32 v4, v5
	v_add_u32_e32 v4, 0x200, v4
	s_andn2_b64 exec, exec, s[2:3]
	s_cbranch_execnz .LBB143_36
.LBB143_37:
	s_or_b64 exec, exec, s[0:1]
	v_mov_b32_e32 v11, 0
	v_and_b32_e32 v32, 1, v0
	v_mov_b32_e32 v10, 0
	v_mov_b32_e32 v13, 0
	;; [unrolled: 1-line block ×7, first 2 shown]
	s_waitcnt lgkmcnt(0)
	s_barrier
	s_and_saveexec_b64 s[2:3], s[6:7]
	s_cbranch_execz .LBB143_345
; %bb.38:
	s_ashr_i32 s15, s14, 31
	s_lshl_b64 s[0:1], s[14:15], 1
	v_lshlrev_b32_e32 v2, 3, v0
	s_add_u32 s6, s24, s0
	v_and_b32_e32 v3, 8, v2
	s_addc_u32 s7, s25, s1
	s_add_i32 s14, s17, -1
	v_lshlrev_b32_e32 v5, 4, v1
	s_lshl_b64 s[0:1], s[22:23], 2
	v_and_b32_e32 v2, 0x1f8, v2
	v_or3_b32 v33, v5, v3, 7
	v_lshlrev_b32_e32 v3, 5, v32
	s_add_u32 s0, s20, s0
	v_mov_b32_e32 v19, 0
	v_or_b32_e32 v4, 0x800, v2
	v_or_b32_e32 v8, 0xa00, v2
	;; [unrolled: 1-line block ×4, first 2 shown]
	v_lshl_or_b32 v3, v1, 6, v3
	v_and_b32_e32 v18, 60, v6
	s_addc_u32 s1, s21, s1
	s_mov_b32 s26, s13
	v_add_u32_e32 v34, 0x210, v3
	v_lshl_add_u64 v[20:21], s[0:1], 0, v[18:19]
	s_mov_b64 s[8:9], 0
	s_mov_b32 s15, 0x7f800000
	s_movk_i32 s20, 0x7fff
	v_lshlrev_b32_e32 v18, 1, v2
	v_lshlrev_b32_e32 v22, 1, v4
	;; [unrolled: 1-line block ×5, first 2 shown]
	v_mov_b32_e32 v16, v19
	v_mov_b32_e32 v17, v19
	;; [unrolled: 1-line block ×8, first 2 shown]
	s_branch .LBB143_40
.LBB143_39:                             ;   in Loop: Header=BB143_40 Depth=1
	s_or_b64 exec, exec, s[0:1]
	v_and_b32_e32 v44, 0xffff0000, v40
	v_and_b32_e32 v40, 0xffff0000, v39
	;; [unrolled: 1-line block ×8, first 2 shown]
	v_pk_add_f32 v[36:37], v[36:37], v[38:39]
	v_pk_add_f32 v[38:39], v[40:41], v[44:45]
	v_add_f32_e32 v35, v36, v37
	v_add_f32_e32 v35, v35, v38
	v_and_b32_e32 v41, 0xffff0000, v61
	v_and_b32_e32 v40, 0xffff0000, v59
	;; [unrolled: 1-line block ×4, first 2 shown]
	v_add_f32_e32 v35, v35, v39
	v_and_b32_e32 v37, 0xffff0000, v65
	v_and_b32_e32 v36, 0xffff0000, v63
	v_and_b32_e32 v39, 0xffff0000, v64
	v_and_b32_e32 v38, 0xffff0000, v62
	v_pk_add_f32 v[40:41], v[44:45], v[40:41]
	v_add_f32_e32 v16, v16, v35
	v_pk_add_f32 v[36:37], v[38:39], v[36:37]
	v_add_f32_e32 v35, v40, v41
	v_add_f32_e32 v35, v35, v36
	v_and_b32_e32 v41, 0xffff0000, v69
	v_and_b32_e32 v40, 0xffff0000, v67
	;; [unrolled: 1-line block ×4, first 2 shown]
	v_add_f32_e32 v35, v35, v37
	v_and_b32_e32 v37, 0xffff0000, v73
	v_and_b32_e32 v36, 0xffff0000, v71
	;; [unrolled: 1-line block ×4, first 2 shown]
	v_pk_add_f32 v[40:41], v[44:45], v[40:41]
	v_add_f32_e32 v17, v17, v35
	v_pk_add_f32 v[36:37], v[38:39], v[36:37]
	v_add_f32_e32 v35, v40, v41
	v_add_f32_e32 v35, v35, v36
	v_and_b32_e32 v41, 0xffff0000, v75
	v_and_b32_e32 v40, 0xffff0000, v9
	v_and_b32_e32 v9, 0xffff0000, v74
	v_and_b32_e32 v8, 0xffff0000, v8
	v_add_f32_e32 v35, v35, v37
	v_and_b32_e32 v37, 0xffff0000, v79
	v_and_b32_e32 v36, 0xffff0000, v77
	v_and_b32_e32 v39, 0xffff0000, v78
	v_and_b32_e32 v38, 0xffff0000, v76
	v_pk_add_f32 v[8:9], v[8:9], v[40:41]
	v_pk_add_f32 v[36:37], v[38:39], v[36:37]
	v_add_f32_e32 v8, v8, v9
	v_add_f32_e32 v8, v8, v36
	v_add_f32_e32 v8, v8, v37
	v_and_b32_e32 v39, 0xffff0000, v82
	v_and_b32_e32 v38, 0xffff0000, v80
	v_and_b32_e32 v41, 0xffff0000, v81
	v_and_b32_e32 v40, 0xffff0000, v23
	v_add_f32_e32 v15, v15, v8
	v_and_b32_e32 v9, 0xffff0000, v86
	v_and_b32_e32 v8, 0xffff0000, v84
	v_and_b32_e32 v37, 0xffff0000, v85
	v_and_b32_e32 v36, 0xffff0000, v83
	v_pk_add_f32 v[38:39], v[40:41], v[38:39]
	v_pk_add_f32 v[8:9], v[36:37], v[8:9]
	v_add_f32_e32 v23, v38, v39
	;; [unrolled: 14-line block ×5, first 2 shown]
	v_add_f32_e32 v2, v2, v4
	v_add_u32_e32 v1, 2, v1
	v_add_f32_e32 v2, v2, v5
	v_cmp_le_i32_e32 vcc, s17, v1
	v_add_f32_e32 v14, v14, v35
	v_add_f32_e32 v11, v11, v2
	v_add_u32_e32 v33, 32, v33
	v_add_u32_e32 v34, 0x80, v34
	s_or_b64 s[8:9], vcc, s[8:9]
	v_lshl_add_u64 v[20:21], v[20:21], 0, 8
	s_andn2_b64 exec, exec, s[8:9]
	s_cbranch_execz .LBB143_344
.LBB143_40:                             ; =>This Inner Loop Header: Depth=1
	global_load_dword v39, v[20:21], off
	ds_read2_b64 v[6:9], v34 offset1:1
	ds_read2_b64 v[2:5], v34 offset0:2 offset1:3
                                        ; implicit-def: $vgpr35
	s_waitcnt lgkmcnt(1)
	v_and_b32_e32 v23, 0x7f800000, v6
	v_cmp_ne_u32_e32 vcc, s15, v23
	s_and_saveexec_b64 s[0:1], vcc
	s_xor_b64 s[0:1], exec, s[0:1]
; %bb.41:                               ;   in Loop: Header=BB143_40 Depth=1
	v_bfe_u32 v23, v6, 16, 1
	v_add3_u32 v35, v6, v23, s20
; %bb.42:                               ;   in Loop: Header=BB143_40 Depth=1
	s_andn2_saveexec_b64 s[0:1], s[0:1]
; %bb.43:                               ;   in Loop: Header=BB143_40 Depth=1
	v_or_b32_e32 v23, 0x10000, v6
	v_cmp_eq_u32_sdwa vcc, v6, v19 src0_sel:WORD_0 src1_sel:DWORD
	s_nop 1
	v_cndmask_b32_e32 v35, v23, v6, vcc
; %bb.44:                               ;   in Loop: Header=BB143_40 Depth=1
	s_or_b64 exec, exec, s[0:1]
	v_and_b32_e32 v6, 0x7f800000, v7
	v_cmp_ne_u32_e32 vcc, s15, v6
                                        ; implicit-def: $vgpr36
	s_and_saveexec_b64 s[0:1], vcc
	s_xor_b64 s[0:1], exec, s[0:1]
; %bb.45:                               ;   in Loop: Header=BB143_40 Depth=1
	v_bfe_u32 v6, v7, 16, 1
	v_add3_u32 v36, v7, v6, s20
; %bb.46:                               ;   in Loop: Header=BB143_40 Depth=1
	s_andn2_saveexec_b64 s[0:1], s[0:1]
; %bb.47:                               ;   in Loop: Header=BB143_40 Depth=1
	v_or_b32_e32 v6, 0x10000, v7
	v_cmp_eq_u32_sdwa vcc, v7, v19 src0_sel:WORD_0 src1_sel:DWORD
	s_nop 1
	v_cndmask_b32_e32 v36, v6, v7, vcc
; %bb.48:                               ;   in Loop: Header=BB143_40 Depth=1
	s_or_b64 exec, exec, s[0:1]
	v_and_b32_e32 v6, 0x7f800000, v8
	v_cmp_ne_u32_e32 vcc, s15, v6
                                        ; implicit-def: $vgpr37
	s_and_saveexec_b64 s[0:1], vcc
	s_xor_b64 s[0:1], exec, s[0:1]
; %bb.49:                               ;   in Loop: Header=BB143_40 Depth=1
	v_bfe_u32 v6, v8, 16, 1
	v_add3_u32 v37, v8, v6, s20
; %bb.50:                               ;   in Loop: Header=BB143_40 Depth=1
	s_andn2_saveexec_b64 s[0:1], s[0:1]
; %bb.51:                               ;   in Loop: Header=BB143_40 Depth=1
	v_or_b32_e32 v6, 0x10000, v8
	v_cmp_eq_u32_sdwa vcc, v8, v19 src0_sel:WORD_0 src1_sel:DWORD
	s_nop 1
	v_cndmask_b32_e32 v37, v6, v8, vcc
; %bb.52:                               ;   in Loop: Header=BB143_40 Depth=1
	s_or_b64 exec, exec, s[0:1]
	v_and_b32_e32 v6, 0x7f800000, v9
	v_cmp_ne_u32_e32 vcc, s15, v6
                                        ; implicit-def: $vgpr38
	s_and_saveexec_b64 s[0:1], vcc
	s_xor_b64 s[0:1], exec, s[0:1]
; %bb.53:                               ;   in Loop: Header=BB143_40 Depth=1
	v_bfe_u32 v6, v9, 16, 1
	v_add3_u32 v38, v9, v6, s20
                                        ; implicit-def: $vgpr6_vgpr7_vgpr8_vgpr9
; %bb.54:                               ;   in Loop: Header=BB143_40 Depth=1
	s_andn2_saveexec_b64 s[0:1], s[0:1]
; %bb.55:                               ;   in Loop: Header=BB143_40 Depth=1
	v_or_b32_e32 v6, 0x10000, v9
	v_cmp_eq_u32_sdwa vcc, v9, v19 src0_sel:WORD_0 src1_sel:DWORD
	s_nop 1
	v_cndmask_b32_e32 v38, v6, v9, vcc
; %bb.56:                               ;   in Loop: Header=BB143_40 Depth=1
	s_or_b64 exec, exec, s[0:1]
	s_waitcnt lgkmcnt(0)
	v_and_b32_e32 v6, 0x7f800000, v2
	v_cmp_ne_u32_e32 vcc, s15, v6
                                        ; implicit-def: $vgpr29
	s_and_saveexec_b64 s[0:1], vcc
	s_xor_b64 s[0:1], exec, s[0:1]
; %bb.57:                               ;   in Loop: Header=BB143_40 Depth=1
	v_bfe_u32 v6, v2, 16, 1
	v_add3_u32 v29, v2, v6, s20
; %bb.58:                               ;   in Loop: Header=BB143_40 Depth=1
	s_andn2_saveexec_b64 s[0:1], s[0:1]
; %bb.59:                               ;   in Loop: Header=BB143_40 Depth=1
	v_or_b32_e32 v6, 0x10000, v2
	v_cmp_eq_u32_sdwa vcc, v2, v19 src0_sel:WORD_0 src1_sel:DWORD
	s_nop 1
	v_cndmask_b32_e32 v29, v6, v2, vcc
; %bb.60:                               ;   in Loop: Header=BB143_40 Depth=1
	s_or_b64 exec, exec, s[0:1]
	v_and_b32_e32 v2, 0x7f800000, v3
	v_cmp_ne_u32_e32 vcc, s15, v2
                                        ; implicit-def: $vgpr27
	s_and_saveexec_b64 s[0:1], vcc
	s_xor_b64 s[0:1], exec, s[0:1]
; %bb.61:                               ;   in Loop: Header=BB143_40 Depth=1
	v_bfe_u32 v2, v3, 16, 1
	v_add3_u32 v27, v3, v2, s20
; %bb.62:                               ;   in Loop: Header=BB143_40 Depth=1
	s_andn2_saveexec_b64 s[0:1], s[0:1]
; %bb.63:                               ;   in Loop: Header=BB143_40 Depth=1
	v_or_b32_e32 v2, 0x10000, v3
	v_cmp_eq_u32_sdwa vcc, v3, v19 src0_sel:WORD_0 src1_sel:DWORD
	s_nop 1
	v_cndmask_b32_e32 v27, v2, v3, vcc
; %bb.64:                               ;   in Loop: Header=BB143_40 Depth=1
	s_or_b64 exec, exec, s[0:1]
	v_and_b32_e32 v2, 0x7f800000, v4
	v_cmp_ne_u32_e32 vcc, s15, v2
                                        ; implicit-def: $vgpr25
	s_and_saveexec_b64 s[0:1], vcc
	s_xor_b64 s[0:1], exec, s[0:1]
; %bb.65:                               ;   in Loop: Header=BB143_40 Depth=1
	v_bfe_u32 v2, v4, 16, 1
	v_add3_u32 v25, v4, v2, s20
; %bb.66:                               ;   in Loop: Header=BB143_40 Depth=1
	s_andn2_saveexec_b64 s[0:1], s[0:1]
; %bb.67:                               ;   in Loop: Header=BB143_40 Depth=1
	v_or_b32_e32 v2, 0x10000, v4
	v_cmp_eq_u32_sdwa vcc, v4, v19 src0_sel:WORD_0 src1_sel:DWORD
	s_nop 1
	v_cndmask_b32_e32 v25, v2, v4, vcc
; %bb.68:                               ;   in Loop: Header=BB143_40 Depth=1
	s_or_b64 exec, exec, s[0:1]
	v_and_b32_e32 v2, 0x7f800000, v5
	v_cmp_ne_u32_e32 vcc, s15, v2
                                        ; implicit-def: $vgpr23
	s_and_saveexec_b64 s[0:1], vcc
	s_xor_b64 s[0:1], exec, s[0:1]
; %bb.69:                               ;   in Loop: Header=BB143_40 Depth=1
	v_bfe_u32 v2, v5, 16, 1
	v_add3_u32 v23, v5, v2, s20
                                        ; implicit-def: $vgpr2_vgpr3_vgpr4_vgpr5
; %bb.70:                               ;   in Loop: Header=BB143_40 Depth=1
	s_andn2_saveexec_b64 s[0:1], s[0:1]
; %bb.71:                               ;   in Loop: Header=BB143_40 Depth=1
	v_or_b32_e32 v2, 0x10000, v5
	v_cmp_eq_u32_sdwa vcc, v5, v19 src0_sel:WORD_0 src1_sel:DWORD
	s_nop 1
	v_cndmask_b32_e32 v23, v2, v5, vcc
; %bb.72:                               ;   in Loop: Header=BB143_40 Depth=1
	s_or_b64 exec, exec, s[0:1]
	s_waitcnt vmcnt(0)
	v_mad_i64_i32 v[2:3], s[0:1], v39, s26, 0
	v_lshl_add_u64 v[6:7], v[2:3], 1, s[6:7]
	v_lshl_add_u64 v[8:9], v[6:7], 0, v[18:19]
	global_load_dwordx4 v[2:5], v[8:9], off
	v_add_u32_e32 v42, -7, v33
	v_cmp_eq_u32_e32 vcc, s14, v1
	v_add_u32_e32 v48, -6, v33
	v_add_u32_e32 v46, -5, v33
	;; [unrolled: 1-line block ×6, first 2 shown]
	s_waitcnt vmcnt(0)
	v_lshrrev_b32_e32 v41, 16, v2
	v_lshrrev_b32_e32 v39, 16, v3
	;; [unrolled: 1-line block ×4, first 2 shown]
	s_and_saveexec_b64 s[12:13], vcc
	s_cbranch_execz .LBB143_74
; %bb.73:                               ;   in Loop: Header=BB143_40 Depth=1
	v_cmp_gt_i32_e64 s[0:1], s33, v42
	s_nop 1
	v_cndmask_b32_e64 v2, 0, v2, s[0:1]
	v_cmp_gt_i32_e64 s[0:1], s33, v48
	s_nop 1
	v_cndmask_b32_e64 v41, 0, v41, s[0:1]
	;; [unrolled: 3-line block ×8, first 2 shown]
.LBB143_74:                             ;   in Loop: Header=BB143_40 Depth=1
	s_or_b64 exec, exec, s[12:13]
	v_and_b32_e32 v50, 0xffff0000, v35
	v_lshlrev_b32_e32 v2, 16, v2
	v_mul_f32_e32 v2, v50, v2
	v_and_b32_e32 v35, 0x7f800000, v2
	v_cmp_ne_u32_e64 s[0:1], s15, v35
                                        ; implicit-def: $vgpr35
	s_and_saveexec_b64 s[12:13], s[0:1]
	s_xor_b64 s[0:1], exec, s[12:13]
; %bb.75:                               ;   in Loop: Header=BB143_40 Depth=1
	v_bfe_u32 v35, v2, 16, 1
	v_add3_u32 v35, v2, v35, s20
                                        ; implicit-def: $vgpr2
; %bb.76:                               ;   in Loop: Header=BB143_40 Depth=1
	s_andn2_saveexec_b64 s[12:13], s[0:1]
; %bb.77:                               ;   in Loop: Header=BB143_40 Depth=1
	v_or_b32_e32 v35, 0x10000, v2
	v_cmp_eq_u32_sdwa s[0:1], v2, v19 src0_sel:WORD_0 src1_sel:DWORD
	s_nop 1
	v_cndmask_b32_e64 v35, v35, v2, s[0:1]
; %bb.78:                               ;   in Loop: Header=BB143_40 Depth=1
	s_or_b64 exec, exec, s[12:13]
	v_and_b32_e32 v51, 0xffff0000, v36
	v_lshlrev_b32_e32 v2, 16, v41
	v_mul_f32_e32 v2, v51, v2
	v_and_b32_e32 v36, 0x7f800000, v2
	v_cmp_ne_u32_e64 s[0:1], s15, v36
                                        ; implicit-def: $vgpr36
	s_and_saveexec_b64 s[12:13], s[0:1]
	s_xor_b64 s[0:1], exec, s[12:13]
; %bb.79:                               ;   in Loop: Header=BB143_40 Depth=1
	v_bfe_u32 v36, v2, 16, 1
	v_add3_u32 v36, v2, v36, s20
                                        ; implicit-def: $vgpr2
; %bb.80:                               ;   in Loop: Header=BB143_40 Depth=1
	s_andn2_saveexec_b64 s[12:13], s[0:1]
; %bb.81:                               ;   in Loop: Header=BB143_40 Depth=1
	v_or_b32_e32 v36, 0x10000, v2
	v_cmp_eq_u32_sdwa s[0:1], v2, v19 src0_sel:WORD_0 src1_sel:DWORD
	s_nop 1
	v_cndmask_b32_e64 v36, v36, v2, s[0:1]
; %bb.82:                               ;   in Loop: Header=BB143_40 Depth=1
	s_or_b64 exec, exec, s[12:13]
	v_and_b32_e32 v52, 0xffff0000, v37
	v_lshlrev_b32_e32 v2, 16, v3
	v_mul_f32_e32 v2, v52, v2
	v_and_b32_e32 v3, 0x7f800000, v2
	v_cmp_ne_u32_e64 s[0:1], s15, v3
                                        ; implicit-def: $vgpr37
	s_and_saveexec_b64 s[12:13], s[0:1]
	s_xor_b64 s[0:1], exec, s[12:13]
; %bb.83:                               ;   in Loop: Header=BB143_40 Depth=1
	v_bfe_u32 v3, v2, 16, 1
	v_add3_u32 v37, v2, v3, s20
                                        ; implicit-def: $vgpr2
; %bb.84:                               ;   in Loop: Header=BB143_40 Depth=1
	s_andn2_saveexec_b64 s[12:13], s[0:1]
; %bb.85:                               ;   in Loop: Header=BB143_40 Depth=1
	v_or_b32_e32 v3, 0x10000, v2
	v_cmp_eq_u32_sdwa s[0:1], v2, v19 src0_sel:WORD_0 src1_sel:DWORD
	s_nop 1
	v_cndmask_b32_e64 v37, v3, v2, s[0:1]
; %bb.86:                               ;   in Loop: Header=BB143_40 Depth=1
	s_or_b64 exec, exec, s[12:13]
	v_and_b32_e32 v53, 0xffff0000, v38
	v_lshlrev_b32_e32 v2, 16, v39
	v_mul_f32_e32 v2, v53, v2
	v_and_b32_e32 v3, 0x7f800000, v2
	v_cmp_ne_u32_e64 s[0:1], s15, v3
                                        ; implicit-def: $vgpr38
	s_and_saveexec_b64 s[12:13], s[0:1]
	s_xor_b64 s[0:1], exec, s[12:13]
; %bb.87:                               ;   in Loop: Header=BB143_40 Depth=1
	v_bfe_u32 v3, v2, 16, 1
	v_add3_u32 v38, v2, v3, s20
                                        ; implicit-def: $vgpr2
; %bb.88:                               ;   in Loop: Header=BB143_40 Depth=1
	s_andn2_saveexec_b64 s[12:13], s[0:1]
; %bb.89:                               ;   in Loop: Header=BB143_40 Depth=1
	v_or_b32_e32 v3, 0x10000, v2
	v_cmp_eq_u32_sdwa s[0:1], v2, v19 src0_sel:WORD_0 src1_sel:DWORD
	s_nop 1
	v_cndmask_b32_e64 v38, v3, v2, s[0:1]
; %bb.90:                               ;   in Loop: Header=BB143_40 Depth=1
	s_or_b64 exec, exec, s[12:13]
	v_and_b32_e32 v54, 0xffff0000, v29
	v_lshlrev_b32_e32 v2, 16, v4
	v_mul_f32_e32 v2, v54, v2
	v_and_b32_e32 v3, 0x7f800000, v2
	v_cmp_ne_u32_e64 s[0:1], s15, v3
                                        ; implicit-def: $vgpr39
	s_and_saveexec_b64 s[12:13], s[0:1]
	s_xor_b64 s[0:1], exec, s[12:13]
; %bb.91:                               ;   in Loop: Header=BB143_40 Depth=1
	v_bfe_u32 v3, v2, 16, 1
	v_add3_u32 v39, v2, v3, s20
                                        ; implicit-def: $vgpr2
; %bb.92:                               ;   in Loop: Header=BB143_40 Depth=1
	s_andn2_saveexec_b64 s[12:13], s[0:1]
; %bb.93:                               ;   in Loop: Header=BB143_40 Depth=1
	v_or_b32_e32 v3, 0x10000, v2
	v_cmp_eq_u32_sdwa s[0:1], v2, v19 src0_sel:WORD_0 src1_sel:DWORD
	s_nop 1
	v_cndmask_b32_e64 v39, v3, v2, s[0:1]
; %bb.94:                               ;   in Loop: Header=BB143_40 Depth=1
	s_or_b64 exec, exec, s[12:13]
	v_and_b32_e32 v55, 0xffff0000, v27
	v_lshlrev_b32_e32 v2, 16, v40
	v_mul_f32_e32 v2, v55, v2
	v_and_b32_e32 v3, 0x7f800000, v2
	v_cmp_ne_u32_e64 s[0:1], s15, v3
                                        ; implicit-def: $vgpr40
	s_and_saveexec_b64 s[12:13], s[0:1]
	s_xor_b64 s[0:1], exec, s[12:13]
; %bb.95:                               ;   in Loop: Header=BB143_40 Depth=1
	v_bfe_u32 v3, v2, 16, 1
	v_add3_u32 v40, v2, v3, s20
                                        ; implicit-def: $vgpr2
; %bb.96:                               ;   in Loop: Header=BB143_40 Depth=1
	s_andn2_saveexec_b64 s[12:13], s[0:1]
; %bb.97:                               ;   in Loop: Header=BB143_40 Depth=1
	v_or_b32_e32 v3, 0x10000, v2
	v_cmp_eq_u32_sdwa s[0:1], v2, v19 src0_sel:WORD_0 src1_sel:DWORD
	s_nop 1
	v_cndmask_b32_e64 v40, v3, v2, s[0:1]
; %bb.98:                               ;   in Loop: Header=BB143_40 Depth=1
	s_or_b64 exec, exec, s[12:13]
	v_and_b32_e32 v56, 0xffff0000, v25
	v_lshlrev_b32_e32 v2, 16, v5
	v_mul_f32_e32 v2, v56, v2
	v_and_b32_e32 v3, 0x7f800000, v2
	v_cmp_ne_u32_e64 s[0:1], s15, v3
                                        ; implicit-def: $vgpr41
	s_and_saveexec_b64 s[12:13], s[0:1]
	s_xor_b64 s[0:1], exec, s[12:13]
; %bb.99:                               ;   in Loop: Header=BB143_40 Depth=1
	v_bfe_u32 v3, v2, 16, 1
	v_add3_u32 v41, v2, v3, s20
                                        ; implicit-def: $vgpr2
; %bb.100:                              ;   in Loop: Header=BB143_40 Depth=1
	s_andn2_saveexec_b64 s[12:13], s[0:1]
; %bb.101:                              ;   in Loop: Header=BB143_40 Depth=1
	v_or_b32_e32 v3, 0x10000, v2
	v_cmp_eq_u32_sdwa s[0:1], v2, v19 src0_sel:WORD_0 src1_sel:DWORD
	s_nop 1
	v_cndmask_b32_e64 v41, v3, v2, s[0:1]
; %bb.102:                              ;   in Loop: Header=BB143_40 Depth=1
	s_or_b64 exec, exec, s[12:13]
	v_and_b32_e32 v57, 0xffff0000, v23
	v_lshlrev_b32_e32 v2, 16, v49
	v_mul_f32_e32 v2, v57, v2
	v_and_b32_e32 v3, 0x7f800000, v2
	v_cmp_ne_u32_e64 s[0:1], s15, v3
                                        ; implicit-def: $vgpr49
	s_and_saveexec_b64 s[12:13], s[0:1]
	s_xor_b64 s[0:1], exec, s[12:13]
; %bb.103:                              ;   in Loop: Header=BB143_40 Depth=1
	v_bfe_u32 v3, v2, 16, 1
	v_add3_u32 v49, v2, v3, s20
                                        ; implicit-def: $vgpr2
; %bb.104:                              ;   in Loop: Header=BB143_40 Depth=1
	s_andn2_saveexec_b64 s[12:13], s[0:1]
; %bb.105:                              ;   in Loop: Header=BB143_40 Depth=1
	v_or_b32_e32 v3, 0x10000, v2
	v_cmp_eq_u32_sdwa s[0:1], v2, v19 src0_sel:WORD_0 src1_sel:DWORD
	s_nop 1
	v_cndmask_b32_e64 v49, v3, v2, s[0:1]
; %bb.106:                              ;   in Loop: Header=BB143_40 Depth=1
	s_or_b64 exec, exec, s[12:13]
	global_load_dwordx4 v[2:5], v[8:9], off offset:1024
	s_waitcnt vmcnt(0)
	v_lshrrev_b32_e32 v29, 16, v2
	v_lshrrev_b32_e32 v27, 16, v3
	;; [unrolled: 1-line block ×4, first 2 shown]
	s_and_saveexec_b64 s[12:13], vcc
	s_cbranch_execz .LBB143_108
; %bb.107:                              ;   in Loop: Header=BB143_40 Depth=1
	v_cmp_gt_i32_e64 s[0:1], s33, v42
	s_nop 1
	v_cndmask_b32_e64 v2, 0, v2, s[0:1]
	v_cmp_gt_i32_e64 s[0:1], s33, v48
	s_nop 1
	v_cndmask_b32_e64 v29, 0, v29, s[0:1]
	;; [unrolled: 3-line block ×8, first 2 shown]
.LBB143_108:                            ;   in Loop: Header=BB143_40 Depth=1
	s_or_b64 exec, exec, s[12:13]
	v_lshlrev_b32_e32 v2, 16, v2
	v_mul_f32_e32 v2, v50, v2
	v_and_b32_e32 v58, 0x7f800000, v2
	v_cmp_ne_u32_e64 s[0:1], s15, v58
                                        ; implicit-def: $vgpr58
	s_and_saveexec_b64 s[12:13], s[0:1]
	s_xor_b64 s[0:1], exec, s[12:13]
; %bb.109:                              ;   in Loop: Header=BB143_40 Depth=1
	v_bfe_u32 v58, v2, 16, 1
	v_add3_u32 v58, v2, v58, s20
                                        ; implicit-def: $vgpr2
; %bb.110:                              ;   in Loop: Header=BB143_40 Depth=1
	s_andn2_saveexec_b64 s[12:13], s[0:1]
; %bb.111:                              ;   in Loop: Header=BB143_40 Depth=1
	v_or_b32_e32 v58, 0x10000, v2
	v_cmp_eq_u32_sdwa s[0:1], v2, v19 src0_sel:WORD_0 src1_sel:DWORD
	s_nop 1
	v_cndmask_b32_e64 v58, v58, v2, s[0:1]
; %bb.112:                              ;   in Loop: Header=BB143_40 Depth=1
	s_or_b64 exec, exec, s[12:13]
	v_lshlrev_b32_e32 v2, 16, v29
	v_mul_f32_e32 v2, v51, v2
	v_and_b32_e32 v29, 0x7f800000, v2
	v_cmp_ne_u32_e64 s[0:1], s15, v29
                                        ; implicit-def: $vgpr59
	s_and_saveexec_b64 s[12:13], s[0:1]
	s_xor_b64 s[0:1], exec, s[12:13]
; %bb.113:                              ;   in Loop: Header=BB143_40 Depth=1
	v_bfe_u32 v29, v2, 16, 1
	v_add3_u32 v59, v2, v29, s20
                                        ; implicit-def: $vgpr2
; %bb.114:                              ;   in Loop: Header=BB143_40 Depth=1
	s_andn2_saveexec_b64 s[12:13], s[0:1]
; %bb.115:                              ;   in Loop: Header=BB143_40 Depth=1
	v_or_b32_e32 v29, 0x10000, v2
	v_cmp_eq_u32_sdwa s[0:1], v2, v19 src0_sel:WORD_0 src1_sel:DWORD
	s_nop 1
	v_cndmask_b32_e64 v59, v29, v2, s[0:1]
; %bb.116:                              ;   in Loop: Header=BB143_40 Depth=1
	s_or_b64 exec, exec, s[12:13]
	v_lshlrev_b32_e32 v2, 16, v3
	v_mul_f32_e32 v2, v52, v2
	v_and_b32_e32 v3, 0x7f800000, v2
	v_cmp_ne_u32_e64 s[0:1], s15, v3
                                        ; implicit-def: $vgpr60
	s_and_saveexec_b64 s[12:13], s[0:1]
	s_xor_b64 s[0:1], exec, s[12:13]
; %bb.117:                              ;   in Loop: Header=BB143_40 Depth=1
	v_bfe_u32 v3, v2, 16, 1
	v_add3_u32 v60, v2, v3, s20
                                        ; implicit-def: $vgpr2
; %bb.118:                              ;   in Loop: Header=BB143_40 Depth=1
	s_andn2_saveexec_b64 s[12:13], s[0:1]
; %bb.119:                              ;   in Loop: Header=BB143_40 Depth=1
	v_or_b32_e32 v3, 0x10000, v2
	v_cmp_eq_u32_sdwa s[0:1], v2, v19 src0_sel:WORD_0 src1_sel:DWORD
	s_nop 1
	v_cndmask_b32_e64 v60, v3, v2, s[0:1]
; %bb.120:                              ;   in Loop: Header=BB143_40 Depth=1
	s_or_b64 exec, exec, s[12:13]
	v_lshlrev_b32_e32 v2, 16, v27
	v_mul_f32_e32 v2, v53, v2
	v_and_b32_e32 v3, 0x7f800000, v2
	v_cmp_ne_u32_e64 s[0:1], s15, v3
                                        ; implicit-def: $vgpr61
	s_and_saveexec_b64 s[12:13], s[0:1]
	s_xor_b64 s[0:1], exec, s[12:13]
; %bb.121:                              ;   in Loop: Header=BB143_40 Depth=1
	v_bfe_u32 v3, v2, 16, 1
	v_add3_u32 v61, v2, v3, s20
                                        ; implicit-def: $vgpr2
; %bb.122:                              ;   in Loop: Header=BB143_40 Depth=1
	s_andn2_saveexec_b64 s[12:13], s[0:1]
; %bb.123:                              ;   in Loop: Header=BB143_40 Depth=1
	v_or_b32_e32 v3, 0x10000, v2
	v_cmp_eq_u32_sdwa s[0:1], v2, v19 src0_sel:WORD_0 src1_sel:DWORD
	s_nop 1
	v_cndmask_b32_e64 v61, v3, v2, s[0:1]
; %bb.124:                              ;   in Loop: Header=BB143_40 Depth=1
	s_or_b64 exec, exec, s[12:13]
	v_lshlrev_b32_e32 v2, 16, v4
	v_mul_f32_e32 v2, v54, v2
	v_and_b32_e32 v3, 0x7f800000, v2
	v_cmp_ne_u32_e64 s[0:1], s15, v3
                                        ; implicit-def: $vgpr62
	s_and_saveexec_b64 s[12:13], s[0:1]
	s_xor_b64 s[0:1], exec, s[12:13]
; %bb.125:                              ;   in Loop: Header=BB143_40 Depth=1
	v_bfe_u32 v3, v2, 16, 1
	v_add3_u32 v62, v2, v3, s20
                                        ; implicit-def: $vgpr2
; %bb.126:                              ;   in Loop: Header=BB143_40 Depth=1
	s_andn2_saveexec_b64 s[12:13], s[0:1]
; %bb.127:                              ;   in Loop: Header=BB143_40 Depth=1
	v_or_b32_e32 v3, 0x10000, v2
	v_cmp_eq_u32_sdwa s[0:1], v2, v19 src0_sel:WORD_0 src1_sel:DWORD
	s_nop 1
	v_cndmask_b32_e64 v62, v3, v2, s[0:1]
; %bb.128:                              ;   in Loop: Header=BB143_40 Depth=1
	s_or_b64 exec, exec, s[12:13]
	v_lshlrev_b32_e32 v2, 16, v25
	v_mul_f32_e32 v2, v55, v2
	v_and_b32_e32 v3, 0x7f800000, v2
	v_cmp_ne_u32_e64 s[0:1], s15, v3
                                        ; implicit-def: $vgpr63
	s_and_saveexec_b64 s[12:13], s[0:1]
	s_xor_b64 s[0:1], exec, s[12:13]
; %bb.129:                              ;   in Loop: Header=BB143_40 Depth=1
	v_bfe_u32 v3, v2, 16, 1
	v_add3_u32 v63, v2, v3, s20
                                        ; implicit-def: $vgpr2
; %bb.130:                              ;   in Loop: Header=BB143_40 Depth=1
	s_andn2_saveexec_b64 s[12:13], s[0:1]
; %bb.131:                              ;   in Loop: Header=BB143_40 Depth=1
	v_or_b32_e32 v3, 0x10000, v2
	v_cmp_eq_u32_sdwa s[0:1], v2, v19 src0_sel:WORD_0 src1_sel:DWORD
	s_nop 1
	v_cndmask_b32_e64 v63, v3, v2, s[0:1]
; %bb.132:                              ;   in Loop: Header=BB143_40 Depth=1
	s_or_b64 exec, exec, s[12:13]
	v_lshlrev_b32_e32 v2, 16, v5
	v_mul_f32_e32 v2, v56, v2
	v_and_b32_e32 v3, 0x7f800000, v2
	v_cmp_ne_u32_e64 s[0:1], s15, v3
                                        ; implicit-def: $vgpr64
	s_and_saveexec_b64 s[12:13], s[0:1]
	s_xor_b64 s[0:1], exec, s[12:13]
; %bb.133:                              ;   in Loop: Header=BB143_40 Depth=1
	v_bfe_u32 v3, v2, 16, 1
	v_add3_u32 v64, v2, v3, s20
                                        ; implicit-def: $vgpr2
; %bb.134:                              ;   in Loop: Header=BB143_40 Depth=1
	s_andn2_saveexec_b64 s[12:13], s[0:1]
; %bb.135:                              ;   in Loop: Header=BB143_40 Depth=1
	v_or_b32_e32 v3, 0x10000, v2
	v_cmp_eq_u32_sdwa s[0:1], v2, v19 src0_sel:WORD_0 src1_sel:DWORD
	s_nop 1
	v_cndmask_b32_e64 v64, v3, v2, s[0:1]
; %bb.136:                              ;   in Loop: Header=BB143_40 Depth=1
	s_or_b64 exec, exec, s[12:13]
	v_lshlrev_b32_e32 v2, 16, v23
	v_mul_f32_e32 v2, v57, v2
	v_and_b32_e32 v3, 0x7f800000, v2
	v_cmp_ne_u32_e64 s[0:1], s15, v3
                                        ; implicit-def: $vgpr65
	s_and_saveexec_b64 s[12:13], s[0:1]
	s_xor_b64 s[0:1], exec, s[12:13]
; %bb.137:                              ;   in Loop: Header=BB143_40 Depth=1
	v_bfe_u32 v3, v2, 16, 1
	v_add3_u32 v65, v2, v3, s20
                                        ; implicit-def: $vgpr2
; %bb.138:                              ;   in Loop: Header=BB143_40 Depth=1
	s_andn2_saveexec_b64 s[12:13], s[0:1]
; %bb.139:                              ;   in Loop: Header=BB143_40 Depth=1
	v_or_b32_e32 v3, 0x10000, v2
	v_cmp_eq_u32_sdwa s[0:1], v2, v19 src0_sel:WORD_0 src1_sel:DWORD
	s_nop 1
	v_cndmask_b32_e64 v65, v3, v2, s[0:1]
; %bb.140:                              ;   in Loop: Header=BB143_40 Depth=1
	s_or_b64 exec, exec, s[12:13]
	global_load_dwordx4 v[2:5], v[8:9], off offset:2048
	s_waitcnt vmcnt(0)
	v_lshrrev_b32_e32 v29, 16, v2
	v_lshrrev_b32_e32 v27, 16, v3
	;; [unrolled: 1-line block ×4, first 2 shown]
	s_and_saveexec_b64 s[12:13], vcc
	s_cbranch_execz .LBB143_142
; %bb.141:                              ;   in Loop: Header=BB143_40 Depth=1
	v_cmp_gt_i32_e64 s[0:1], s33, v42
	s_nop 1
	v_cndmask_b32_e64 v2, 0, v2, s[0:1]
	v_cmp_gt_i32_e64 s[0:1], s33, v48
	s_nop 1
	v_cndmask_b32_e64 v29, 0, v29, s[0:1]
	;; [unrolled: 3-line block ×8, first 2 shown]
.LBB143_142:                            ;   in Loop: Header=BB143_40 Depth=1
	s_or_b64 exec, exec, s[12:13]
	v_lshlrev_b32_e32 v2, 16, v2
	v_mul_f32_e32 v2, v50, v2
	v_and_b32_e32 v66, 0x7f800000, v2
	v_cmp_ne_u32_e64 s[0:1], s15, v66
                                        ; implicit-def: $vgpr66
	s_and_saveexec_b64 s[12:13], s[0:1]
	s_xor_b64 s[0:1], exec, s[12:13]
; %bb.143:                              ;   in Loop: Header=BB143_40 Depth=1
	v_bfe_u32 v66, v2, 16, 1
	v_add3_u32 v66, v2, v66, s20
                                        ; implicit-def: $vgpr2
; %bb.144:                              ;   in Loop: Header=BB143_40 Depth=1
	s_andn2_saveexec_b64 s[12:13], s[0:1]
; %bb.145:                              ;   in Loop: Header=BB143_40 Depth=1
	v_or_b32_e32 v66, 0x10000, v2
	v_cmp_eq_u32_sdwa s[0:1], v2, v19 src0_sel:WORD_0 src1_sel:DWORD
	s_nop 1
	v_cndmask_b32_e64 v66, v66, v2, s[0:1]
; %bb.146:                              ;   in Loop: Header=BB143_40 Depth=1
	s_or_b64 exec, exec, s[12:13]
	v_lshlrev_b32_e32 v2, 16, v29
	v_mul_f32_e32 v2, v51, v2
	v_and_b32_e32 v29, 0x7f800000, v2
	v_cmp_ne_u32_e64 s[0:1], s15, v29
                                        ; implicit-def: $vgpr67
	s_and_saveexec_b64 s[12:13], s[0:1]
	s_xor_b64 s[0:1], exec, s[12:13]
; %bb.147:                              ;   in Loop: Header=BB143_40 Depth=1
	v_bfe_u32 v29, v2, 16, 1
	v_add3_u32 v67, v2, v29, s20
                                        ; implicit-def: $vgpr2
; %bb.148:                              ;   in Loop: Header=BB143_40 Depth=1
	s_andn2_saveexec_b64 s[12:13], s[0:1]
; %bb.149:                              ;   in Loop: Header=BB143_40 Depth=1
	v_or_b32_e32 v29, 0x10000, v2
	v_cmp_eq_u32_sdwa s[0:1], v2, v19 src0_sel:WORD_0 src1_sel:DWORD
	s_nop 1
	v_cndmask_b32_e64 v67, v29, v2, s[0:1]
; %bb.150:                              ;   in Loop: Header=BB143_40 Depth=1
	s_or_b64 exec, exec, s[12:13]
	v_lshlrev_b32_e32 v2, 16, v3
	v_mul_f32_e32 v2, v52, v2
	v_and_b32_e32 v3, 0x7f800000, v2
	v_cmp_ne_u32_e64 s[0:1], s15, v3
                                        ; implicit-def: $vgpr68
	s_and_saveexec_b64 s[12:13], s[0:1]
	s_xor_b64 s[0:1], exec, s[12:13]
; %bb.151:                              ;   in Loop: Header=BB143_40 Depth=1
	v_bfe_u32 v3, v2, 16, 1
	v_add3_u32 v68, v2, v3, s20
                                        ; implicit-def: $vgpr2
; %bb.152:                              ;   in Loop: Header=BB143_40 Depth=1
	s_andn2_saveexec_b64 s[12:13], s[0:1]
; %bb.153:                              ;   in Loop: Header=BB143_40 Depth=1
	v_or_b32_e32 v3, 0x10000, v2
	v_cmp_eq_u32_sdwa s[0:1], v2, v19 src0_sel:WORD_0 src1_sel:DWORD
	s_nop 1
	v_cndmask_b32_e64 v68, v3, v2, s[0:1]
; %bb.154:                              ;   in Loop: Header=BB143_40 Depth=1
	s_or_b64 exec, exec, s[12:13]
	v_lshlrev_b32_e32 v2, 16, v27
	v_mul_f32_e32 v2, v53, v2
	v_and_b32_e32 v3, 0x7f800000, v2
	v_cmp_ne_u32_e64 s[0:1], s15, v3
                                        ; implicit-def: $vgpr69
	s_and_saveexec_b64 s[12:13], s[0:1]
	s_xor_b64 s[0:1], exec, s[12:13]
; %bb.155:                              ;   in Loop: Header=BB143_40 Depth=1
	v_bfe_u32 v3, v2, 16, 1
	v_add3_u32 v69, v2, v3, s20
                                        ; implicit-def: $vgpr2
; %bb.156:                              ;   in Loop: Header=BB143_40 Depth=1
	s_andn2_saveexec_b64 s[12:13], s[0:1]
; %bb.157:                              ;   in Loop: Header=BB143_40 Depth=1
	v_or_b32_e32 v3, 0x10000, v2
	v_cmp_eq_u32_sdwa s[0:1], v2, v19 src0_sel:WORD_0 src1_sel:DWORD
	s_nop 1
	v_cndmask_b32_e64 v69, v3, v2, s[0:1]
; %bb.158:                              ;   in Loop: Header=BB143_40 Depth=1
	s_or_b64 exec, exec, s[12:13]
	v_lshlrev_b32_e32 v2, 16, v4
	v_mul_f32_e32 v2, v54, v2
	v_and_b32_e32 v3, 0x7f800000, v2
	v_cmp_ne_u32_e64 s[0:1], s15, v3
                                        ; implicit-def: $vgpr70
	s_and_saveexec_b64 s[12:13], s[0:1]
	s_xor_b64 s[0:1], exec, s[12:13]
; %bb.159:                              ;   in Loop: Header=BB143_40 Depth=1
	v_bfe_u32 v3, v2, 16, 1
	v_add3_u32 v70, v2, v3, s20
                                        ; implicit-def: $vgpr2
; %bb.160:                              ;   in Loop: Header=BB143_40 Depth=1
	s_andn2_saveexec_b64 s[12:13], s[0:1]
; %bb.161:                              ;   in Loop: Header=BB143_40 Depth=1
	v_or_b32_e32 v3, 0x10000, v2
	v_cmp_eq_u32_sdwa s[0:1], v2, v19 src0_sel:WORD_0 src1_sel:DWORD
	s_nop 1
	v_cndmask_b32_e64 v70, v3, v2, s[0:1]
; %bb.162:                              ;   in Loop: Header=BB143_40 Depth=1
	s_or_b64 exec, exec, s[12:13]
	v_lshlrev_b32_e32 v2, 16, v25
	v_mul_f32_e32 v2, v55, v2
	v_and_b32_e32 v3, 0x7f800000, v2
	v_cmp_ne_u32_e64 s[0:1], s15, v3
                                        ; implicit-def: $vgpr71
	s_and_saveexec_b64 s[12:13], s[0:1]
	s_xor_b64 s[0:1], exec, s[12:13]
; %bb.163:                              ;   in Loop: Header=BB143_40 Depth=1
	v_bfe_u32 v3, v2, 16, 1
	v_add3_u32 v71, v2, v3, s20
                                        ; implicit-def: $vgpr2
; %bb.164:                              ;   in Loop: Header=BB143_40 Depth=1
	s_andn2_saveexec_b64 s[12:13], s[0:1]
; %bb.165:                              ;   in Loop: Header=BB143_40 Depth=1
	v_or_b32_e32 v3, 0x10000, v2
	v_cmp_eq_u32_sdwa s[0:1], v2, v19 src0_sel:WORD_0 src1_sel:DWORD
	s_nop 1
	v_cndmask_b32_e64 v71, v3, v2, s[0:1]
; %bb.166:                              ;   in Loop: Header=BB143_40 Depth=1
	s_or_b64 exec, exec, s[12:13]
	v_lshlrev_b32_e32 v2, 16, v5
	v_mul_f32_e32 v2, v56, v2
	v_and_b32_e32 v3, 0x7f800000, v2
	v_cmp_ne_u32_e64 s[0:1], s15, v3
                                        ; implicit-def: $vgpr72
	s_and_saveexec_b64 s[12:13], s[0:1]
	s_xor_b64 s[0:1], exec, s[12:13]
; %bb.167:                              ;   in Loop: Header=BB143_40 Depth=1
	v_bfe_u32 v3, v2, 16, 1
	v_add3_u32 v72, v2, v3, s20
                                        ; implicit-def: $vgpr2
; %bb.168:                              ;   in Loop: Header=BB143_40 Depth=1
	s_andn2_saveexec_b64 s[12:13], s[0:1]
; %bb.169:                              ;   in Loop: Header=BB143_40 Depth=1
	v_or_b32_e32 v3, 0x10000, v2
	v_cmp_eq_u32_sdwa s[0:1], v2, v19 src0_sel:WORD_0 src1_sel:DWORD
	s_nop 1
	v_cndmask_b32_e64 v72, v3, v2, s[0:1]
; %bb.170:                              ;   in Loop: Header=BB143_40 Depth=1
	s_or_b64 exec, exec, s[12:13]
	v_lshlrev_b32_e32 v2, 16, v23
	v_mul_f32_e32 v2, v57, v2
	v_and_b32_e32 v3, 0x7f800000, v2
	v_cmp_ne_u32_e64 s[0:1], s15, v3
                                        ; implicit-def: $vgpr73
	s_and_saveexec_b64 s[12:13], s[0:1]
	s_xor_b64 s[0:1], exec, s[12:13]
; %bb.171:                              ;   in Loop: Header=BB143_40 Depth=1
	v_bfe_u32 v3, v2, 16, 1
	v_add3_u32 v73, v2, v3, s20
                                        ; implicit-def: $vgpr2
; %bb.172:                              ;   in Loop: Header=BB143_40 Depth=1
	s_andn2_saveexec_b64 s[12:13], s[0:1]
; %bb.173:                              ;   in Loop: Header=BB143_40 Depth=1
	v_or_b32_e32 v3, 0x10000, v2
	v_cmp_eq_u32_sdwa s[0:1], v2, v19 src0_sel:WORD_0 src1_sel:DWORD
	s_nop 1
	v_cndmask_b32_e64 v73, v3, v2, s[0:1]
; %bb.174:                              ;   in Loop: Header=BB143_40 Depth=1
	s_or_b64 exec, exec, s[12:13]
	global_load_dwordx4 v[2:5], v[8:9], off offset:3072
	s_waitcnt vmcnt(0)
	v_lshrrev_b32_e32 v9, 16, v2
	v_lshrrev_b32_e32 v27, 16, v3
	;; [unrolled: 1-line block ×4, first 2 shown]
	s_and_saveexec_b64 s[12:13], vcc
	s_cbranch_execz .LBB143_176
; %bb.175:                              ;   in Loop: Header=BB143_40 Depth=1
	v_cmp_gt_i32_e64 s[0:1], s33, v42
	s_nop 1
	v_cndmask_b32_e64 v2, 0, v2, s[0:1]
	v_cmp_gt_i32_e64 s[0:1], s33, v48
	s_nop 1
	v_cndmask_b32_e64 v9, 0, v9, s[0:1]
	;; [unrolled: 3-line block ×8, first 2 shown]
.LBB143_176:                            ;   in Loop: Header=BB143_40 Depth=1
	s_or_b64 exec, exec, s[12:13]
	v_lshlrev_b32_e32 v2, 16, v2
	v_mul_f32_e32 v2, v50, v2
	v_and_b32_e32 v8, 0x7f800000, v2
	v_cmp_ne_u32_e64 s[0:1], s15, v8
                                        ; implicit-def: $vgpr8
	s_and_saveexec_b64 s[12:13], s[0:1]
	s_xor_b64 s[0:1], exec, s[12:13]
; %bb.177:                              ;   in Loop: Header=BB143_40 Depth=1
	v_bfe_u32 v8, v2, 16, 1
	v_add3_u32 v8, v2, v8, s20
                                        ; implicit-def: $vgpr2
; %bb.178:                              ;   in Loop: Header=BB143_40 Depth=1
	s_andn2_saveexec_b64 s[12:13], s[0:1]
; %bb.179:                              ;   in Loop: Header=BB143_40 Depth=1
	v_or_b32_e32 v8, 0x10000, v2
	v_cmp_eq_u32_sdwa s[0:1], v2, v19 src0_sel:WORD_0 src1_sel:DWORD
	s_nop 1
	v_cndmask_b32_e64 v8, v8, v2, s[0:1]
; %bb.180:                              ;   in Loop: Header=BB143_40 Depth=1
	s_or_b64 exec, exec, s[12:13]
	v_lshlrev_b32_e32 v2, 16, v9
	v_mul_f32_e32 v2, v51, v2
	v_and_b32_e32 v9, 0x7f800000, v2
	v_cmp_ne_u32_e64 s[0:1], s15, v9
                                        ; implicit-def: $vgpr9
	s_and_saveexec_b64 s[12:13], s[0:1]
	s_xor_b64 s[0:1], exec, s[12:13]
; %bb.181:                              ;   in Loop: Header=BB143_40 Depth=1
	v_bfe_u32 v9, v2, 16, 1
	v_add3_u32 v9, v2, v9, s20
                                        ; implicit-def: $vgpr2
; %bb.182:                              ;   in Loop: Header=BB143_40 Depth=1
	s_andn2_saveexec_b64 s[12:13], s[0:1]
; %bb.183:                              ;   in Loop: Header=BB143_40 Depth=1
	v_or_b32_e32 v9, 0x10000, v2
	v_cmp_eq_u32_sdwa s[0:1], v2, v19 src0_sel:WORD_0 src1_sel:DWORD
	s_nop 1
	v_cndmask_b32_e64 v9, v9, v2, s[0:1]
; %bb.184:                              ;   in Loop: Header=BB143_40 Depth=1
	s_or_b64 exec, exec, s[12:13]
	v_lshlrev_b32_e32 v2, 16, v3
	v_mul_f32_e32 v2, v52, v2
	v_and_b32_e32 v3, 0x7f800000, v2
	v_cmp_ne_u32_e64 s[0:1], s15, v3
                                        ; implicit-def: $vgpr74
	s_and_saveexec_b64 s[12:13], s[0:1]
	s_xor_b64 s[0:1], exec, s[12:13]
; %bb.185:                              ;   in Loop: Header=BB143_40 Depth=1
	v_bfe_u32 v3, v2, 16, 1
	v_add3_u32 v74, v2, v3, s20
                                        ; implicit-def: $vgpr2
; %bb.186:                              ;   in Loop: Header=BB143_40 Depth=1
	s_andn2_saveexec_b64 s[12:13], s[0:1]
; %bb.187:                              ;   in Loop: Header=BB143_40 Depth=1
	v_or_b32_e32 v3, 0x10000, v2
	v_cmp_eq_u32_sdwa s[0:1], v2, v19 src0_sel:WORD_0 src1_sel:DWORD
	s_nop 1
	v_cndmask_b32_e64 v74, v3, v2, s[0:1]
; %bb.188:                              ;   in Loop: Header=BB143_40 Depth=1
	s_or_b64 exec, exec, s[12:13]
	v_lshlrev_b32_e32 v2, 16, v27
	v_mul_f32_e32 v2, v53, v2
	v_and_b32_e32 v3, 0x7f800000, v2
	v_cmp_ne_u32_e64 s[0:1], s15, v3
                                        ; implicit-def: $vgpr75
	s_and_saveexec_b64 s[12:13], s[0:1]
	s_xor_b64 s[0:1], exec, s[12:13]
; %bb.189:                              ;   in Loop: Header=BB143_40 Depth=1
	v_bfe_u32 v3, v2, 16, 1
	v_add3_u32 v75, v2, v3, s20
                                        ; implicit-def: $vgpr2
; %bb.190:                              ;   in Loop: Header=BB143_40 Depth=1
	s_andn2_saveexec_b64 s[12:13], s[0:1]
; %bb.191:                              ;   in Loop: Header=BB143_40 Depth=1
	v_or_b32_e32 v3, 0x10000, v2
	v_cmp_eq_u32_sdwa s[0:1], v2, v19 src0_sel:WORD_0 src1_sel:DWORD
	s_nop 1
	v_cndmask_b32_e64 v75, v3, v2, s[0:1]
; %bb.192:                              ;   in Loop: Header=BB143_40 Depth=1
	s_or_b64 exec, exec, s[12:13]
	v_lshlrev_b32_e32 v2, 16, v4
	v_mul_f32_e32 v2, v54, v2
	v_and_b32_e32 v3, 0x7f800000, v2
	v_cmp_ne_u32_e64 s[0:1], s15, v3
                                        ; implicit-def: $vgpr76
	s_and_saveexec_b64 s[12:13], s[0:1]
	s_xor_b64 s[0:1], exec, s[12:13]
; %bb.193:                              ;   in Loop: Header=BB143_40 Depth=1
	v_bfe_u32 v3, v2, 16, 1
	v_add3_u32 v76, v2, v3, s20
                                        ; implicit-def: $vgpr2
; %bb.194:                              ;   in Loop: Header=BB143_40 Depth=1
	s_andn2_saveexec_b64 s[12:13], s[0:1]
; %bb.195:                              ;   in Loop: Header=BB143_40 Depth=1
	v_or_b32_e32 v3, 0x10000, v2
	v_cmp_eq_u32_sdwa s[0:1], v2, v19 src0_sel:WORD_0 src1_sel:DWORD
	s_nop 1
	v_cndmask_b32_e64 v76, v3, v2, s[0:1]
; %bb.196:                              ;   in Loop: Header=BB143_40 Depth=1
	s_or_b64 exec, exec, s[12:13]
	v_lshlrev_b32_e32 v2, 16, v25
	v_mul_f32_e32 v2, v55, v2
	v_and_b32_e32 v3, 0x7f800000, v2
	v_cmp_ne_u32_e64 s[0:1], s15, v3
                                        ; implicit-def: $vgpr77
	s_and_saveexec_b64 s[12:13], s[0:1]
	s_xor_b64 s[0:1], exec, s[12:13]
; %bb.197:                              ;   in Loop: Header=BB143_40 Depth=1
	v_bfe_u32 v3, v2, 16, 1
	v_add3_u32 v77, v2, v3, s20
                                        ; implicit-def: $vgpr2
; %bb.198:                              ;   in Loop: Header=BB143_40 Depth=1
	s_andn2_saveexec_b64 s[12:13], s[0:1]
; %bb.199:                              ;   in Loop: Header=BB143_40 Depth=1
	v_or_b32_e32 v3, 0x10000, v2
	v_cmp_eq_u32_sdwa s[0:1], v2, v19 src0_sel:WORD_0 src1_sel:DWORD
	s_nop 1
	v_cndmask_b32_e64 v77, v3, v2, s[0:1]
; %bb.200:                              ;   in Loop: Header=BB143_40 Depth=1
	s_or_b64 exec, exec, s[12:13]
	v_lshlrev_b32_e32 v2, 16, v5
	v_mul_f32_e32 v2, v56, v2
	v_and_b32_e32 v3, 0x7f800000, v2
	v_cmp_ne_u32_e64 s[0:1], s15, v3
                                        ; implicit-def: $vgpr78
	s_and_saveexec_b64 s[12:13], s[0:1]
	s_xor_b64 s[0:1], exec, s[12:13]
; %bb.201:                              ;   in Loop: Header=BB143_40 Depth=1
	v_bfe_u32 v3, v2, 16, 1
	v_add3_u32 v78, v2, v3, s20
                                        ; implicit-def: $vgpr2
; %bb.202:                              ;   in Loop: Header=BB143_40 Depth=1
	s_andn2_saveexec_b64 s[12:13], s[0:1]
; %bb.203:                              ;   in Loop: Header=BB143_40 Depth=1
	v_or_b32_e32 v3, 0x10000, v2
	v_cmp_eq_u32_sdwa s[0:1], v2, v19 src0_sel:WORD_0 src1_sel:DWORD
	s_nop 1
	v_cndmask_b32_e64 v78, v3, v2, s[0:1]
; %bb.204:                              ;   in Loop: Header=BB143_40 Depth=1
	s_or_b64 exec, exec, s[12:13]
	v_lshlrev_b32_e32 v2, 16, v23
	v_mul_f32_e32 v2, v57, v2
	v_and_b32_e32 v3, 0x7f800000, v2
	v_cmp_ne_u32_e64 s[0:1], s15, v3
                                        ; implicit-def: $vgpr79
	s_and_saveexec_b64 s[12:13], s[0:1]
	s_xor_b64 s[0:1], exec, s[12:13]
; %bb.205:                              ;   in Loop: Header=BB143_40 Depth=1
	v_bfe_u32 v3, v2, 16, 1
	v_add3_u32 v79, v2, v3, s20
                                        ; implicit-def: $vgpr2
; %bb.206:                              ;   in Loop: Header=BB143_40 Depth=1
	s_andn2_saveexec_b64 s[12:13], s[0:1]
; %bb.207:                              ;   in Loop: Header=BB143_40 Depth=1
	v_or_b32_e32 v3, 0x10000, v2
	v_cmp_eq_u32_sdwa s[0:1], v2, v19 src0_sel:WORD_0 src1_sel:DWORD
	s_nop 1
	v_cndmask_b32_e64 v79, v3, v2, s[0:1]
; %bb.208:                              ;   in Loop: Header=BB143_40 Depth=1
	s_or_b64 exec, exec, s[12:13]
	v_mov_b32_e32 v23, v19
	v_lshl_add_u64 v[2:3], v[6:7], 0, v[22:23]
	global_load_dwordx4 v[2:5], v[2:3], off
	s_waitcnt vmcnt(0)
	v_lshrrev_b32_e32 v80, 16, v2
	v_lshrrev_b32_e32 v29, 16, v3
	;; [unrolled: 1-line block ×4, first 2 shown]
	s_and_saveexec_b64 s[12:13], vcc
	s_cbranch_execz .LBB143_210
; %bb.209:                              ;   in Loop: Header=BB143_40 Depth=1
	v_cmp_gt_i32_e64 s[0:1], s33, v42
	s_nop 1
	v_cndmask_b32_e64 v2, 0, v2, s[0:1]
	v_cmp_gt_i32_e64 s[0:1], s33, v48
	s_nop 1
	v_cndmask_b32_e64 v80, 0, v80, s[0:1]
	;; [unrolled: 3-line block ×8, first 2 shown]
.LBB143_210:                            ;   in Loop: Header=BB143_40 Depth=1
	s_or_b64 exec, exec, s[12:13]
	v_lshlrev_b32_e32 v2, 16, v2
	v_mul_f32_e32 v2, v50, v2
	v_and_b32_e32 v23, 0x7f800000, v2
	v_cmp_ne_u32_e64 s[0:1], s15, v23
                                        ; implicit-def: $vgpr23
	s_and_saveexec_b64 s[12:13], s[0:1]
	s_xor_b64 s[0:1], exec, s[12:13]
; %bb.211:                              ;   in Loop: Header=BB143_40 Depth=1
	v_bfe_u32 v23, v2, 16, 1
	v_add3_u32 v23, v2, v23, s20
                                        ; implicit-def: $vgpr2
; %bb.212:                              ;   in Loop: Header=BB143_40 Depth=1
	s_andn2_saveexec_b64 s[12:13], s[0:1]
; %bb.213:                              ;   in Loop: Header=BB143_40 Depth=1
	v_or_b32_e32 v23, 0x10000, v2
	v_cmp_eq_u32_sdwa s[0:1], v2, v19 src0_sel:WORD_0 src1_sel:DWORD
	s_nop 1
	v_cndmask_b32_e64 v23, v23, v2, s[0:1]
; %bb.214:                              ;   in Loop: Header=BB143_40 Depth=1
	s_or_b64 exec, exec, s[12:13]
	v_lshlrev_b32_e32 v2, 16, v80
	v_mul_f32_e32 v2, v51, v2
	v_and_b32_e32 v80, 0x7f800000, v2
	v_cmp_ne_u32_e64 s[0:1], s15, v80
                                        ; implicit-def: $vgpr80
	s_and_saveexec_b64 s[12:13], s[0:1]
	s_xor_b64 s[0:1], exec, s[12:13]
; %bb.215:                              ;   in Loop: Header=BB143_40 Depth=1
	v_bfe_u32 v80, v2, 16, 1
	v_add3_u32 v80, v2, v80, s20
                                        ; implicit-def: $vgpr2
; %bb.216:                              ;   in Loop: Header=BB143_40 Depth=1
	s_andn2_saveexec_b64 s[12:13], s[0:1]
; %bb.217:                              ;   in Loop: Header=BB143_40 Depth=1
	v_or_b32_e32 v80, 0x10000, v2
	v_cmp_eq_u32_sdwa s[0:1], v2, v19 src0_sel:WORD_0 src1_sel:DWORD
	s_nop 1
	v_cndmask_b32_e64 v80, v80, v2, s[0:1]
; %bb.218:                              ;   in Loop: Header=BB143_40 Depth=1
	s_or_b64 exec, exec, s[12:13]
	v_lshlrev_b32_e32 v2, 16, v3
	v_mul_f32_e32 v2, v52, v2
	v_and_b32_e32 v3, 0x7f800000, v2
	v_cmp_ne_u32_e64 s[0:1], s15, v3
                                        ; implicit-def: $vgpr81
	s_and_saveexec_b64 s[12:13], s[0:1]
	s_xor_b64 s[0:1], exec, s[12:13]
; %bb.219:                              ;   in Loop: Header=BB143_40 Depth=1
	v_bfe_u32 v3, v2, 16, 1
	v_add3_u32 v81, v2, v3, s20
                                        ; implicit-def: $vgpr2
; %bb.220:                              ;   in Loop: Header=BB143_40 Depth=1
	s_andn2_saveexec_b64 s[12:13], s[0:1]
; %bb.221:                              ;   in Loop: Header=BB143_40 Depth=1
	v_or_b32_e32 v3, 0x10000, v2
	v_cmp_eq_u32_sdwa s[0:1], v2, v19 src0_sel:WORD_0 src1_sel:DWORD
	s_nop 1
	v_cndmask_b32_e64 v81, v3, v2, s[0:1]
; %bb.222:                              ;   in Loop: Header=BB143_40 Depth=1
	s_or_b64 exec, exec, s[12:13]
	v_lshlrev_b32_e32 v2, 16, v29
	v_mul_f32_e32 v2, v53, v2
	v_and_b32_e32 v3, 0x7f800000, v2
	v_cmp_ne_u32_e64 s[0:1], s15, v3
                                        ; implicit-def: $vgpr82
	s_and_saveexec_b64 s[12:13], s[0:1]
	s_xor_b64 s[0:1], exec, s[12:13]
; %bb.223:                              ;   in Loop: Header=BB143_40 Depth=1
	v_bfe_u32 v3, v2, 16, 1
	v_add3_u32 v82, v2, v3, s20
                                        ; implicit-def: $vgpr2
; %bb.224:                              ;   in Loop: Header=BB143_40 Depth=1
	s_andn2_saveexec_b64 s[12:13], s[0:1]
; %bb.225:                              ;   in Loop: Header=BB143_40 Depth=1
	v_or_b32_e32 v3, 0x10000, v2
	v_cmp_eq_u32_sdwa s[0:1], v2, v19 src0_sel:WORD_0 src1_sel:DWORD
	s_nop 1
	v_cndmask_b32_e64 v82, v3, v2, s[0:1]
; %bb.226:                              ;   in Loop: Header=BB143_40 Depth=1
	s_or_b64 exec, exec, s[12:13]
	v_lshlrev_b32_e32 v2, 16, v4
	v_mul_f32_e32 v2, v54, v2
	v_and_b32_e32 v3, 0x7f800000, v2
	v_cmp_ne_u32_e64 s[0:1], s15, v3
                                        ; implicit-def: $vgpr83
	s_and_saveexec_b64 s[12:13], s[0:1]
	s_xor_b64 s[0:1], exec, s[12:13]
; %bb.227:                              ;   in Loop: Header=BB143_40 Depth=1
	v_bfe_u32 v3, v2, 16, 1
	v_add3_u32 v83, v2, v3, s20
                                        ; implicit-def: $vgpr2
; %bb.228:                              ;   in Loop: Header=BB143_40 Depth=1
	s_andn2_saveexec_b64 s[12:13], s[0:1]
; %bb.229:                              ;   in Loop: Header=BB143_40 Depth=1
	v_or_b32_e32 v3, 0x10000, v2
	v_cmp_eq_u32_sdwa s[0:1], v2, v19 src0_sel:WORD_0 src1_sel:DWORD
	s_nop 1
	v_cndmask_b32_e64 v83, v3, v2, s[0:1]
; %bb.230:                              ;   in Loop: Header=BB143_40 Depth=1
	s_or_b64 exec, exec, s[12:13]
	v_lshlrev_b32_e32 v2, 16, v27
	v_mul_f32_e32 v2, v55, v2
	v_and_b32_e32 v3, 0x7f800000, v2
	v_cmp_ne_u32_e64 s[0:1], s15, v3
                                        ; implicit-def: $vgpr84
	s_and_saveexec_b64 s[12:13], s[0:1]
	s_xor_b64 s[0:1], exec, s[12:13]
; %bb.231:                              ;   in Loop: Header=BB143_40 Depth=1
	v_bfe_u32 v3, v2, 16, 1
	v_add3_u32 v84, v2, v3, s20
                                        ; implicit-def: $vgpr2
; %bb.232:                              ;   in Loop: Header=BB143_40 Depth=1
	s_andn2_saveexec_b64 s[12:13], s[0:1]
; %bb.233:                              ;   in Loop: Header=BB143_40 Depth=1
	v_or_b32_e32 v3, 0x10000, v2
	v_cmp_eq_u32_sdwa s[0:1], v2, v19 src0_sel:WORD_0 src1_sel:DWORD
	s_nop 1
	v_cndmask_b32_e64 v84, v3, v2, s[0:1]
; %bb.234:                              ;   in Loop: Header=BB143_40 Depth=1
	s_or_b64 exec, exec, s[12:13]
	v_lshlrev_b32_e32 v2, 16, v5
	v_mul_f32_e32 v2, v56, v2
	v_and_b32_e32 v3, 0x7f800000, v2
	v_cmp_ne_u32_e64 s[0:1], s15, v3
                                        ; implicit-def: $vgpr85
	s_and_saveexec_b64 s[12:13], s[0:1]
	s_xor_b64 s[0:1], exec, s[12:13]
; %bb.235:                              ;   in Loop: Header=BB143_40 Depth=1
	v_bfe_u32 v3, v2, 16, 1
	v_add3_u32 v85, v2, v3, s20
                                        ; implicit-def: $vgpr2
; %bb.236:                              ;   in Loop: Header=BB143_40 Depth=1
	s_andn2_saveexec_b64 s[12:13], s[0:1]
; %bb.237:                              ;   in Loop: Header=BB143_40 Depth=1
	v_or_b32_e32 v3, 0x10000, v2
	v_cmp_eq_u32_sdwa s[0:1], v2, v19 src0_sel:WORD_0 src1_sel:DWORD
	s_nop 1
	v_cndmask_b32_e64 v85, v3, v2, s[0:1]
; %bb.238:                              ;   in Loop: Header=BB143_40 Depth=1
	s_or_b64 exec, exec, s[12:13]
	v_lshlrev_b32_e32 v2, 16, v25
	v_mul_f32_e32 v2, v57, v2
	v_and_b32_e32 v3, 0x7f800000, v2
	v_cmp_ne_u32_e64 s[0:1], s15, v3
                                        ; implicit-def: $vgpr86
	s_and_saveexec_b64 s[12:13], s[0:1]
	s_xor_b64 s[0:1], exec, s[12:13]
; %bb.239:                              ;   in Loop: Header=BB143_40 Depth=1
	v_bfe_u32 v3, v2, 16, 1
	v_add3_u32 v86, v2, v3, s20
                                        ; implicit-def: $vgpr2
; %bb.240:                              ;   in Loop: Header=BB143_40 Depth=1
	s_andn2_saveexec_b64 s[12:13], s[0:1]
; %bb.241:                              ;   in Loop: Header=BB143_40 Depth=1
	v_or_b32_e32 v3, 0x10000, v2
	v_cmp_eq_u32_sdwa s[0:1], v2, v19 src0_sel:WORD_0 src1_sel:DWORD
	s_nop 1
	v_cndmask_b32_e64 v86, v3, v2, s[0:1]
; %bb.242:                              ;   in Loop: Header=BB143_40 Depth=1
	s_or_b64 exec, exec, s[12:13]
	v_mov_b32_e32 v25, v19
	v_lshl_add_u64 v[2:3], v[6:7], 0, v[24:25]
	global_load_dwordx4 v[2:5], v[2:3], off
	s_waitcnt vmcnt(0)
	v_lshrrev_b32_e32 v87, 16, v2
	v_lshrrev_b32_e32 v89, 16, v3
	;; [unrolled: 1-line block ×4, first 2 shown]
	s_and_saveexec_b64 s[12:13], vcc
	s_cbranch_execz .LBB143_244
; %bb.243:                              ;   in Loop: Header=BB143_40 Depth=1
	v_cmp_gt_i32_e64 s[0:1], s33, v42
	s_nop 1
	v_cndmask_b32_e64 v2, 0, v2, s[0:1]
	v_cmp_gt_i32_e64 s[0:1], s33, v48
	s_nop 1
	v_cndmask_b32_e64 v87, 0, v87, s[0:1]
	;; [unrolled: 3-line block ×8, first 2 shown]
.LBB143_244:                            ;   in Loop: Header=BB143_40 Depth=1
	s_or_b64 exec, exec, s[12:13]
	v_lshlrev_b32_e32 v2, 16, v2
	v_mul_f32_e32 v2, v50, v2
	v_and_b32_e32 v25, 0x7f800000, v2
	v_cmp_ne_u32_e64 s[0:1], s15, v25
                                        ; implicit-def: $vgpr25
	s_and_saveexec_b64 s[12:13], s[0:1]
	s_xor_b64 s[0:1], exec, s[12:13]
; %bb.245:                              ;   in Loop: Header=BB143_40 Depth=1
	v_bfe_u32 v25, v2, 16, 1
	v_add3_u32 v25, v2, v25, s20
                                        ; implicit-def: $vgpr2
; %bb.246:                              ;   in Loop: Header=BB143_40 Depth=1
	s_andn2_saveexec_b64 s[12:13], s[0:1]
; %bb.247:                              ;   in Loop: Header=BB143_40 Depth=1
	v_or_b32_e32 v25, 0x10000, v2
	v_cmp_eq_u32_sdwa s[0:1], v2, v19 src0_sel:WORD_0 src1_sel:DWORD
	s_nop 1
	v_cndmask_b32_e64 v25, v25, v2, s[0:1]
; %bb.248:                              ;   in Loop: Header=BB143_40 Depth=1
	s_or_b64 exec, exec, s[12:13]
	v_lshlrev_b32_e32 v2, 16, v87
	v_mul_f32_e32 v2, v51, v2
	v_and_b32_e32 v87, 0x7f800000, v2
	v_cmp_ne_u32_e64 s[0:1], s15, v87
                                        ; implicit-def: $vgpr87
	s_and_saveexec_b64 s[12:13], s[0:1]
	s_xor_b64 s[0:1], exec, s[12:13]
; %bb.249:                              ;   in Loop: Header=BB143_40 Depth=1
	v_bfe_u32 v87, v2, 16, 1
	v_add3_u32 v87, v2, v87, s20
                                        ; implicit-def: $vgpr2
; %bb.250:                              ;   in Loop: Header=BB143_40 Depth=1
	s_andn2_saveexec_b64 s[12:13], s[0:1]
; %bb.251:                              ;   in Loop: Header=BB143_40 Depth=1
	v_or_b32_e32 v87, 0x10000, v2
	v_cmp_eq_u32_sdwa s[0:1], v2, v19 src0_sel:WORD_0 src1_sel:DWORD
	s_nop 1
	v_cndmask_b32_e64 v87, v87, v2, s[0:1]
; %bb.252:                              ;   in Loop: Header=BB143_40 Depth=1
	s_or_b64 exec, exec, s[12:13]
	v_lshlrev_b32_e32 v2, 16, v3
	v_mul_f32_e32 v2, v52, v2
	v_and_b32_e32 v3, 0x7f800000, v2
	v_cmp_ne_u32_e64 s[0:1], s15, v3
                                        ; implicit-def: $vgpr88
	s_and_saveexec_b64 s[12:13], s[0:1]
	s_xor_b64 s[0:1], exec, s[12:13]
; %bb.253:                              ;   in Loop: Header=BB143_40 Depth=1
	v_bfe_u32 v3, v2, 16, 1
	v_add3_u32 v88, v2, v3, s20
                                        ; implicit-def: $vgpr2
; %bb.254:                              ;   in Loop: Header=BB143_40 Depth=1
	s_andn2_saveexec_b64 s[12:13], s[0:1]
; %bb.255:                              ;   in Loop: Header=BB143_40 Depth=1
	v_or_b32_e32 v3, 0x10000, v2
	v_cmp_eq_u32_sdwa s[0:1], v2, v19 src0_sel:WORD_0 src1_sel:DWORD
	s_nop 1
	v_cndmask_b32_e64 v88, v3, v2, s[0:1]
; %bb.256:                              ;   in Loop: Header=BB143_40 Depth=1
	s_or_b64 exec, exec, s[12:13]
	v_lshlrev_b32_e32 v2, 16, v89
	v_mul_f32_e32 v2, v53, v2
	v_and_b32_e32 v3, 0x7f800000, v2
	v_cmp_ne_u32_e64 s[0:1], s15, v3
                                        ; implicit-def: $vgpr89
	s_and_saveexec_b64 s[12:13], s[0:1]
	s_xor_b64 s[0:1], exec, s[12:13]
; %bb.257:                              ;   in Loop: Header=BB143_40 Depth=1
	v_bfe_u32 v3, v2, 16, 1
	v_add3_u32 v89, v2, v3, s20
                                        ; implicit-def: $vgpr2
; %bb.258:                              ;   in Loop: Header=BB143_40 Depth=1
	s_andn2_saveexec_b64 s[12:13], s[0:1]
; %bb.259:                              ;   in Loop: Header=BB143_40 Depth=1
	v_or_b32_e32 v3, 0x10000, v2
	v_cmp_eq_u32_sdwa s[0:1], v2, v19 src0_sel:WORD_0 src1_sel:DWORD
	s_nop 1
	v_cndmask_b32_e64 v89, v3, v2, s[0:1]
; %bb.260:                              ;   in Loop: Header=BB143_40 Depth=1
	s_or_b64 exec, exec, s[12:13]
	v_lshlrev_b32_e32 v2, 16, v4
	v_mul_f32_e32 v2, v54, v2
	v_and_b32_e32 v3, 0x7f800000, v2
	v_cmp_ne_u32_e64 s[0:1], s15, v3
                                        ; implicit-def: $vgpr90
	s_and_saveexec_b64 s[12:13], s[0:1]
	s_xor_b64 s[0:1], exec, s[12:13]
; %bb.261:                              ;   in Loop: Header=BB143_40 Depth=1
	v_bfe_u32 v3, v2, 16, 1
	v_add3_u32 v90, v2, v3, s20
                                        ; implicit-def: $vgpr2
; %bb.262:                              ;   in Loop: Header=BB143_40 Depth=1
	s_andn2_saveexec_b64 s[12:13], s[0:1]
; %bb.263:                              ;   in Loop: Header=BB143_40 Depth=1
	v_or_b32_e32 v3, 0x10000, v2
	v_cmp_eq_u32_sdwa s[0:1], v2, v19 src0_sel:WORD_0 src1_sel:DWORD
	s_nop 1
	v_cndmask_b32_e64 v90, v3, v2, s[0:1]
; %bb.264:                              ;   in Loop: Header=BB143_40 Depth=1
	s_or_b64 exec, exec, s[12:13]
	v_lshlrev_b32_e32 v2, 16, v29
	v_mul_f32_e32 v2, v55, v2
	v_and_b32_e32 v3, 0x7f800000, v2
	v_cmp_ne_u32_e64 s[0:1], s15, v3
                                        ; implicit-def: $vgpr91
	s_and_saveexec_b64 s[12:13], s[0:1]
	s_xor_b64 s[0:1], exec, s[12:13]
; %bb.265:                              ;   in Loop: Header=BB143_40 Depth=1
	v_bfe_u32 v3, v2, 16, 1
	v_add3_u32 v91, v2, v3, s20
                                        ; implicit-def: $vgpr2
; %bb.266:                              ;   in Loop: Header=BB143_40 Depth=1
	s_andn2_saveexec_b64 s[12:13], s[0:1]
; %bb.267:                              ;   in Loop: Header=BB143_40 Depth=1
	v_or_b32_e32 v3, 0x10000, v2
	v_cmp_eq_u32_sdwa s[0:1], v2, v19 src0_sel:WORD_0 src1_sel:DWORD
	s_nop 1
	v_cndmask_b32_e64 v91, v3, v2, s[0:1]
; %bb.268:                              ;   in Loop: Header=BB143_40 Depth=1
	s_or_b64 exec, exec, s[12:13]
	v_lshlrev_b32_e32 v2, 16, v5
	v_mul_f32_e32 v2, v56, v2
	v_and_b32_e32 v3, 0x7f800000, v2
	v_cmp_ne_u32_e64 s[0:1], s15, v3
                                        ; implicit-def: $vgpr92
	s_and_saveexec_b64 s[12:13], s[0:1]
	s_xor_b64 s[0:1], exec, s[12:13]
; %bb.269:                              ;   in Loop: Header=BB143_40 Depth=1
	v_bfe_u32 v3, v2, 16, 1
	v_add3_u32 v92, v2, v3, s20
                                        ; implicit-def: $vgpr2
; %bb.270:                              ;   in Loop: Header=BB143_40 Depth=1
	s_andn2_saveexec_b64 s[12:13], s[0:1]
; %bb.271:                              ;   in Loop: Header=BB143_40 Depth=1
	v_or_b32_e32 v3, 0x10000, v2
	v_cmp_eq_u32_sdwa s[0:1], v2, v19 src0_sel:WORD_0 src1_sel:DWORD
	s_nop 1
	v_cndmask_b32_e64 v92, v3, v2, s[0:1]
; %bb.272:                              ;   in Loop: Header=BB143_40 Depth=1
	s_or_b64 exec, exec, s[12:13]
	v_lshlrev_b32_e32 v2, 16, v27
	v_mul_f32_e32 v2, v57, v2
	v_and_b32_e32 v3, 0x7f800000, v2
	v_cmp_ne_u32_e64 s[0:1], s15, v3
                                        ; implicit-def: $vgpr93
	s_and_saveexec_b64 s[12:13], s[0:1]
	s_xor_b64 s[0:1], exec, s[12:13]
; %bb.273:                              ;   in Loop: Header=BB143_40 Depth=1
	v_bfe_u32 v3, v2, 16, 1
	v_add3_u32 v93, v2, v3, s20
                                        ; implicit-def: $vgpr2
; %bb.274:                              ;   in Loop: Header=BB143_40 Depth=1
	s_andn2_saveexec_b64 s[12:13], s[0:1]
; %bb.275:                              ;   in Loop: Header=BB143_40 Depth=1
	v_or_b32_e32 v3, 0x10000, v2
	v_cmp_eq_u32_sdwa s[0:1], v2, v19 src0_sel:WORD_0 src1_sel:DWORD
	s_nop 1
	v_cndmask_b32_e64 v93, v3, v2, s[0:1]
; %bb.276:                              ;   in Loop: Header=BB143_40 Depth=1
	s_or_b64 exec, exec, s[12:13]
	v_mov_b32_e32 v27, v19
	v_lshl_add_u64 v[2:3], v[6:7], 0, v[26:27]
	global_load_dwordx4 v[2:5], v[2:3], off
	s_waitcnt vmcnt(0)
	v_lshrrev_b32_e32 v94, 16, v2
	v_lshrrev_b32_e32 v96, 16, v3
	;; [unrolled: 1-line block ×4, first 2 shown]
	s_and_saveexec_b64 s[12:13], vcc
	s_cbranch_execz .LBB143_278
; %bb.277:                              ;   in Loop: Header=BB143_40 Depth=1
	v_cmp_gt_i32_e64 s[0:1], s33, v42
	s_nop 1
	v_cndmask_b32_e64 v2, 0, v2, s[0:1]
	v_cmp_gt_i32_e64 s[0:1], s33, v48
	s_nop 1
	v_cndmask_b32_e64 v94, 0, v94, s[0:1]
	;; [unrolled: 3-line block ×8, first 2 shown]
.LBB143_278:                            ;   in Loop: Header=BB143_40 Depth=1
	s_or_b64 exec, exec, s[12:13]
	v_lshlrev_b32_e32 v2, 16, v2
	v_mul_f32_e32 v2, v50, v2
	v_and_b32_e32 v27, 0x7f800000, v2
	v_cmp_ne_u32_e64 s[0:1], s15, v27
                                        ; implicit-def: $vgpr27
	s_and_saveexec_b64 s[12:13], s[0:1]
	s_xor_b64 s[0:1], exec, s[12:13]
; %bb.279:                              ;   in Loop: Header=BB143_40 Depth=1
	v_bfe_u32 v27, v2, 16, 1
	v_add3_u32 v27, v2, v27, s20
                                        ; implicit-def: $vgpr2
; %bb.280:                              ;   in Loop: Header=BB143_40 Depth=1
	s_andn2_saveexec_b64 s[12:13], s[0:1]
; %bb.281:                              ;   in Loop: Header=BB143_40 Depth=1
	v_or_b32_e32 v27, 0x10000, v2
	v_cmp_eq_u32_sdwa s[0:1], v2, v19 src0_sel:WORD_0 src1_sel:DWORD
	s_nop 1
	v_cndmask_b32_e64 v27, v27, v2, s[0:1]
; %bb.282:                              ;   in Loop: Header=BB143_40 Depth=1
	s_or_b64 exec, exec, s[12:13]
	v_lshlrev_b32_e32 v2, 16, v94
	v_mul_f32_e32 v2, v51, v2
	v_and_b32_e32 v94, 0x7f800000, v2
	v_cmp_ne_u32_e64 s[0:1], s15, v94
                                        ; implicit-def: $vgpr94
	s_and_saveexec_b64 s[12:13], s[0:1]
	s_xor_b64 s[0:1], exec, s[12:13]
; %bb.283:                              ;   in Loop: Header=BB143_40 Depth=1
	v_bfe_u32 v94, v2, 16, 1
	v_add3_u32 v94, v2, v94, s20
                                        ; implicit-def: $vgpr2
; %bb.284:                              ;   in Loop: Header=BB143_40 Depth=1
	s_andn2_saveexec_b64 s[12:13], s[0:1]
; %bb.285:                              ;   in Loop: Header=BB143_40 Depth=1
	v_or_b32_e32 v94, 0x10000, v2
	v_cmp_eq_u32_sdwa s[0:1], v2, v19 src0_sel:WORD_0 src1_sel:DWORD
	s_nop 1
	v_cndmask_b32_e64 v94, v94, v2, s[0:1]
; %bb.286:                              ;   in Loop: Header=BB143_40 Depth=1
	s_or_b64 exec, exec, s[12:13]
	v_lshlrev_b32_e32 v2, 16, v3
	v_mul_f32_e32 v2, v52, v2
	v_and_b32_e32 v3, 0x7f800000, v2
	v_cmp_ne_u32_e64 s[0:1], s15, v3
                                        ; implicit-def: $vgpr95
	s_and_saveexec_b64 s[12:13], s[0:1]
	s_xor_b64 s[0:1], exec, s[12:13]
; %bb.287:                              ;   in Loop: Header=BB143_40 Depth=1
	v_bfe_u32 v3, v2, 16, 1
	v_add3_u32 v95, v2, v3, s20
                                        ; implicit-def: $vgpr2
; %bb.288:                              ;   in Loop: Header=BB143_40 Depth=1
	s_andn2_saveexec_b64 s[12:13], s[0:1]
; %bb.289:                              ;   in Loop: Header=BB143_40 Depth=1
	v_or_b32_e32 v3, 0x10000, v2
	v_cmp_eq_u32_sdwa s[0:1], v2, v19 src0_sel:WORD_0 src1_sel:DWORD
	s_nop 1
	v_cndmask_b32_e64 v95, v3, v2, s[0:1]
; %bb.290:                              ;   in Loop: Header=BB143_40 Depth=1
	s_or_b64 exec, exec, s[12:13]
	v_lshlrev_b32_e32 v2, 16, v96
	v_mul_f32_e32 v2, v53, v2
	v_and_b32_e32 v3, 0x7f800000, v2
	v_cmp_ne_u32_e64 s[0:1], s15, v3
                                        ; implicit-def: $vgpr96
	s_and_saveexec_b64 s[12:13], s[0:1]
	s_xor_b64 s[0:1], exec, s[12:13]
; %bb.291:                              ;   in Loop: Header=BB143_40 Depth=1
	v_bfe_u32 v3, v2, 16, 1
	v_add3_u32 v96, v2, v3, s20
                                        ; implicit-def: $vgpr2
; %bb.292:                              ;   in Loop: Header=BB143_40 Depth=1
	s_andn2_saveexec_b64 s[12:13], s[0:1]
; %bb.293:                              ;   in Loop: Header=BB143_40 Depth=1
	v_or_b32_e32 v3, 0x10000, v2
	v_cmp_eq_u32_sdwa s[0:1], v2, v19 src0_sel:WORD_0 src1_sel:DWORD
	s_nop 1
	v_cndmask_b32_e64 v96, v3, v2, s[0:1]
; %bb.294:                              ;   in Loop: Header=BB143_40 Depth=1
	s_or_b64 exec, exec, s[12:13]
	v_lshlrev_b32_e32 v2, 16, v4
	v_mul_f32_e32 v2, v54, v2
	v_and_b32_e32 v3, 0x7f800000, v2
	v_cmp_ne_u32_e64 s[0:1], s15, v3
                                        ; implicit-def: $vgpr97
	s_and_saveexec_b64 s[12:13], s[0:1]
	s_xor_b64 s[0:1], exec, s[12:13]
; %bb.295:                              ;   in Loop: Header=BB143_40 Depth=1
	v_bfe_u32 v3, v2, 16, 1
	v_add3_u32 v97, v2, v3, s20
                                        ; implicit-def: $vgpr2
; %bb.296:                              ;   in Loop: Header=BB143_40 Depth=1
	s_andn2_saveexec_b64 s[12:13], s[0:1]
; %bb.297:                              ;   in Loop: Header=BB143_40 Depth=1
	v_or_b32_e32 v3, 0x10000, v2
	v_cmp_eq_u32_sdwa s[0:1], v2, v19 src0_sel:WORD_0 src1_sel:DWORD
	s_nop 1
	v_cndmask_b32_e64 v97, v3, v2, s[0:1]
; %bb.298:                              ;   in Loop: Header=BB143_40 Depth=1
	s_or_b64 exec, exec, s[12:13]
	v_lshlrev_b32_e32 v2, 16, v98
	v_mul_f32_e32 v2, v55, v2
	v_and_b32_e32 v3, 0x7f800000, v2
	v_cmp_ne_u32_e64 s[0:1], s15, v3
                                        ; implicit-def: $vgpr98
	s_and_saveexec_b64 s[12:13], s[0:1]
	s_xor_b64 s[0:1], exec, s[12:13]
; %bb.299:                              ;   in Loop: Header=BB143_40 Depth=1
	v_bfe_u32 v3, v2, 16, 1
	v_add3_u32 v98, v2, v3, s20
                                        ; implicit-def: $vgpr2
; %bb.300:                              ;   in Loop: Header=BB143_40 Depth=1
	s_andn2_saveexec_b64 s[12:13], s[0:1]
; %bb.301:                              ;   in Loop: Header=BB143_40 Depth=1
	v_or_b32_e32 v3, 0x10000, v2
	v_cmp_eq_u32_sdwa s[0:1], v2, v19 src0_sel:WORD_0 src1_sel:DWORD
	s_nop 1
	v_cndmask_b32_e64 v98, v3, v2, s[0:1]
; %bb.302:                              ;   in Loop: Header=BB143_40 Depth=1
	s_or_b64 exec, exec, s[12:13]
	v_lshlrev_b32_e32 v2, 16, v5
	v_mul_f32_e32 v2, v56, v2
	v_and_b32_e32 v3, 0x7f800000, v2
	v_cmp_ne_u32_e64 s[0:1], s15, v3
                                        ; implicit-def: $vgpr99
	s_and_saveexec_b64 s[12:13], s[0:1]
	s_xor_b64 s[0:1], exec, s[12:13]
; %bb.303:                              ;   in Loop: Header=BB143_40 Depth=1
	v_bfe_u32 v3, v2, 16, 1
	v_add3_u32 v99, v2, v3, s20
                                        ; implicit-def: $vgpr2
; %bb.304:                              ;   in Loop: Header=BB143_40 Depth=1
	s_andn2_saveexec_b64 s[12:13], s[0:1]
; %bb.305:                              ;   in Loop: Header=BB143_40 Depth=1
	v_or_b32_e32 v3, 0x10000, v2
	v_cmp_eq_u32_sdwa s[0:1], v2, v19 src0_sel:WORD_0 src1_sel:DWORD
	s_nop 1
	v_cndmask_b32_e64 v99, v3, v2, s[0:1]
; %bb.306:                              ;   in Loop: Header=BB143_40 Depth=1
	s_or_b64 exec, exec, s[12:13]
	v_lshlrev_b32_e32 v2, 16, v29
	v_mul_f32_e32 v2, v57, v2
	v_and_b32_e32 v3, 0x7f800000, v2
	v_cmp_ne_u32_e64 s[0:1], s15, v3
                                        ; implicit-def: $vgpr100
	s_and_saveexec_b64 s[12:13], s[0:1]
	s_xor_b64 s[0:1], exec, s[12:13]
; %bb.307:                              ;   in Loop: Header=BB143_40 Depth=1
	v_bfe_u32 v3, v2, 16, 1
	v_add3_u32 v100, v2, v3, s20
                                        ; implicit-def: $vgpr2
; %bb.308:                              ;   in Loop: Header=BB143_40 Depth=1
	s_andn2_saveexec_b64 s[12:13], s[0:1]
; %bb.309:                              ;   in Loop: Header=BB143_40 Depth=1
	v_or_b32_e32 v3, 0x10000, v2
	v_cmp_eq_u32_sdwa s[0:1], v2, v19 src0_sel:WORD_0 src1_sel:DWORD
	s_nop 1
	v_cndmask_b32_e64 v100, v3, v2, s[0:1]
; %bb.310:                              ;   in Loop: Header=BB143_40 Depth=1
	s_or_b64 exec, exec, s[12:13]
	v_mov_b32_e32 v29, v19
	v_lshl_add_u64 v[2:3], v[6:7], 0, v[28:29]
	global_load_dwordx4 v[2:5], v[2:3], off
	s_waitcnt vmcnt(0)
	v_lshrrev_b32_e32 v6, 16, v2
	v_lshrrev_b32_e32 v7, 16, v3
	;; [unrolled: 1-line block ×4, first 2 shown]
	s_and_saveexec_b64 s[0:1], vcc
	s_cbranch_execz .LBB143_312
; %bb.311:                              ;   in Loop: Header=BB143_40 Depth=1
	v_cmp_gt_i32_e32 vcc, s33, v42
	s_nop 1
	v_cndmask_b32_e32 v2, 0, v2, vcc
	v_cmp_gt_i32_e32 vcc, s33, v48
	s_nop 1
	v_cndmask_b32_e32 v6, 0, v6, vcc
	;; [unrolled: 3-line block ×8, first 2 shown]
.LBB143_312:                            ;   in Loop: Header=BB143_40 Depth=1
	s_or_b64 exec, exec, s[0:1]
	v_lshlrev_b32_e32 v2, 16, v2
	v_mul_f32_e32 v42, v50, v2
	v_and_b32_e32 v2, 0x7f800000, v42
	v_cmp_ne_u32_e32 vcc, s15, v2
                                        ; implicit-def: $vgpr2
	s_and_saveexec_b64 s[0:1], vcc
	s_xor_b64 s[0:1], exec, s[0:1]
; %bb.313:                              ;   in Loop: Header=BB143_40 Depth=1
	v_bfe_u32 v2, v42, 16, 1
	v_add3_u32 v2, v42, v2, s20
                                        ; implicit-def: $vgpr42
; %bb.314:                              ;   in Loop: Header=BB143_40 Depth=1
	s_andn2_saveexec_b64 s[0:1], s[0:1]
; %bb.315:                              ;   in Loop: Header=BB143_40 Depth=1
	v_or_b32_e32 v2, 0x10000, v42
	v_cmp_eq_u32_sdwa vcc, v42, v19 src0_sel:WORD_0 src1_sel:DWORD
	s_nop 1
	v_cndmask_b32_e32 v2, v2, v42, vcc
; %bb.316:                              ;   in Loop: Header=BB143_40 Depth=1
	s_or_b64 exec, exec, s[0:1]
	v_lshlrev_b32_e32 v6, 16, v6
	v_mul_f32_e32 v42, v51, v6
	v_and_b32_e32 v6, 0x7f800000, v42
	v_cmp_ne_u32_e32 vcc, s15, v6
                                        ; implicit-def: $vgpr6
	s_and_saveexec_b64 s[0:1], vcc
	s_xor_b64 s[0:1], exec, s[0:1]
; %bb.317:                              ;   in Loop: Header=BB143_40 Depth=1
	v_bfe_u32 v6, v42, 16, 1
	v_add3_u32 v6, v42, v6, s20
                                        ; implicit-def: $vgpr42
; %bb.318:                              ;   in Loop: Header=BB143_40 Depth=1
	s_andn2_saveexec_b64 s[0:1], s[0:1]
; %bb.319:                              ;   in Loop: Header=BB143_40 Depth=1
	v_or_b32_e32 v6, 0x10000, v42
	v_cmp_eq_u32_sdwa vcc, v42, v19 src0_sel:WORD_0 src1_sel:DWORD
	s_nop 1
	v_cndmask_b32_e32 v6, v6, v42, vcc
; %bb.320:                              ;   in Loop: Header=BB143_40 Depth=1
	s_or_b64 exec, exec, s[0:1]
	v_lshlrev_b32_e32 v3, 16, v3
	v_mul_f32_e32 v42, v52, v3
	v_and_b32_e32 v3, 0x7f800000, v42
	v_cmp_ne_u32_e32 vcc, s15, v3
                                        ; implicit-def: $vgpr3
	s_and_saveexec_b64 s[0:1], vcc
	s_xor_b64 s[0:1], exec, s[0:1]
; %bb.321:                              ;   in Loop: Header=BB143_40 Depth=1
	v_bfe_u32 v3, v42, 16, 1
	v_add3_u32 v3, v42, v3, s20
                                        ; implicit-def: $vgpr42
; %bb.322:                              ;   in Loop: Header=BB143_40 Depth=1
	s_andn2_saveexec_b64 s[0:1], s[0:1]
; %bb.323:                              ;   in Loop: Header=BB143_40 Depth=1
	v_or_b32_e32 v3, 0x10000, v42
	v_cmp_eq_u32_sdwa vcc, v42, v19 src0_sel:WORD_0 src1_sel:DWORD
	s_nop 1
	v_cndmask_b32_e32 v3, v3, v42, vcc
; %bb.324:                              ;   in Loop: Header=BB143_40 Depth=1
	s_or_b64 exec, exec, s[0:1]
	v_lshlrev_b32_e32 v7, 16, v7
	v_mul_f32_e32 v42, v53, v7
	v_and_b32_e32 v7, 0x7f800000, v42
	v_cmp_ne_u32_e32 vcc, s15, v7
                                        ; implicit-def: $vgpr7
	s_and_saveexec_b64 s[0:1], vcc
	s_xor_b64 s[0:1], exec, s[0:1]
; %bb.325:                              ;   in Loop: Header=BB143_40 Depth=1
	v_bfe_u32 v7, v42, 16, 1
	v_add3_u32 v7, v42, v7, s20
                                        ; implicit-def: $vgpr42
; %bb.326:                              ;   in Loop: Header=BB143_40 Depth=1
	s_andn2_saveexec_b64 s[0:1], s[0:1]
; %bb.327:                              ;   in Loop: Header=BB143_40 Depth=1
	v_or_b32_e32 v7, 0x10000, v42
	v_cmp_eq_u32_sdwa vcc, v42, v19 src0_sel:WORD_0 src1_sel:DWORD
	s_nop 1
	v_cndmask_b32_e32 v7, v7, v42, vcc
; %bb.328:                              ;   in Loop: Header=BB143_40 Depth=1
	s_or_b64 exec, exec, s[0:1]
	v_lshlrev_b32_e32 v4, 16, v4
	v_mul_f32_e32 v42, v54, v4
	v_and_b32_e32 v4, 0x7f800000, v42
	v_cmp_ne_u32_e32 vcc, s15, v4
                                        ; implicit-def: $vgpr4
	s_and_saveexec_b64 s[0:1], vcc
	s_xor_b64 s[0:1], exec, s[0:1]
; %bb.329:                              ;   in Loop: Header=BB143_40 Depth=1
	v_bfe_u32 v4, v42, 16, 1
	v_add3_u32 v4, v42, v4, s20
                                        ; implicit-def: $vgpr42
; %bb.330:                              ;   in Loop: Header=BB143_40 Depth=1
	s_andn2_saveexec_b64 s[0:1], s[0:1]
; %bb.331:                              ;   in Loop: Header=BB143_40 Depth=1
	v_or_b32_e32 v4, 0x10000, v42
	v_cmp_eq_u32_sdwa vcc, v42, v19 src0_sel:WORD_0 src1_sel:DWORD
	s_nop 1
	v_cndmask_b32_e32 v4, v4, v42, vcc
; %bb.332:                              ;   in Loop: Header=BB143_40 Depth=1
	s_or_b64 exec, exec, s[0:1]
	v_lshlrev_b32_e32 v42, 16, v101
	v_mul_f32_e32 v43, v55, v42
	v_and_b32_e32 v42, 0x7f800000, v43
	v_cmp_ne_u32_e32 vcc, s15, v42
                                        ; implicit-def: $vgpr42
	s_and_saveexec_b64 s[0:1], vcc
	s_xor_b64 s[0:1], exec, s[0:1]
; %bb.333:                              ;   in Loop: Header=BB143_40 Depth=1
	v_bfe_u32 v42, v43, 16, 1
	v_add3_u32 v42, v43, v42, s20
                                        ; implicit-def: $vgpr43
; %bb.334:                              ;   in Loop: Header=BB143_40 Depth=1
	s_andn2_saveexec_b64 s[0:1], s[0:1]
; %bb.335:                              ;   in Loop: Header=BB143_40 Depth=1
	v_or_b32_e32 v42, 0x10000, v43
	v_cmp_eq_u32_sdwa vcc, v43, v19 src0_sel:WORD_0 src1_sel:DWORD
	s_nop 1
	v_cndmask_b32_e32 v42, v42, v43, vcc
; %bb.336:                              ;   in Loop: Header=BB143_40 Depth=1
	s_or_b64 exec, exec, s[0:1]
	v_lshlrev_b32_e32 v5, 16, v5
	v_mul_f32_e32 v43, v56, v5
	v_and_b32_e32 v5, 0x7f800000, v43
	v_cmp_ne_u32_e32 vcc, s15, v5
                                        ; implicit-def: $vgpr5
	s_and_saveexec_b64 s[0:1], vcc
	s_xor_b64 s[0:1], exec, s[0:1]
; %bb.337:                              ;   in Loop: Header=BB143_40 Depth=1
	v_bfe_u32 v5, v43, 16, 1
	v_add3_u32 v5, v43, v5, s20
                                        ; implicit-def: $vgpr43
; %bb.338:                              ;   in Loop: Header=BB143_40 Depth=1
	s_andn2_saveexec_b64 s[0:1], s[0:1]
; %bb.339:                              ;   in Loop: Header=BB143_40 Depth=1
	v_or_b32_e32 v5, 0x10000, v43
	v_cmp_eq_u32_sdwa vcc, v43, v19 src0_sel:WORD_0 src1_sel:DWORD
	s_nop 1
	v_cndmask_b32_e32 v5, v5, v43, vcc
; %bb.340:                              ;   in Loop: Header=BB143_40 Depth=1
	s_or_b64 exec, exec, s[0:1]
	v_lshlrev_b32_e32 v29, 16, v29
	v_mul_f32_e32 v43, v57, v29
	v_and_b32_e32 v29, 0x7f800000, v43
	v_cmp_ne_u32_e32 vcc, s15, v29
                                        ; implicit-def: $vgpr29
	s_and_saveexec_b64 s[0:1], vcc
	s_xor_b64 s[0:1], exec, s[0:1]
; %bb.341:                              ;   in Loop: Header=BB143_40 Depth=1
	v_bfe_u32 v29, v43, 16, 1
	v_add3_u32 v29, v43, v29, s20
                                        ; implicit-def: $vgpr43
; %bb.342:                              ;   in Loop: Header=BB143_40 Depth=1
	s_andn2_saveexec_b64 s[0:1], s[0:1]
	s_cbranch_execz .LBB143_39
; %bb.343:                              ;   in Loop: Header=BB143_40 Depth=1
	v_or_b32_e32 v29, 0x10000, v43
	v_cmp_eq_u32_sdwa vcc, v43, v19 src0_sel:WORD_0 src1_sel:DWORD
	s_nop 1
	v_cndmask_b32_e32 v29, v29, v43, vcc
	s_branch .LBB143_39
.LBB143_344:
	s_or_b64 exec, exec, s[8:9]
.LBB143_345:
	s_or_b64 exec, exec, s[2:3]
	ds_bpermute_b32 v2, v31, v16
	ds_bpermute_b32 v3, v31, v17
	;; [unrolled: 1-line block ×8, first 2 shown]
	v_and_b32_e32 v1, 0x3c1, v0
	s_waitcnt lgkmcnt(6)
	v_pk_add_f32 v[8:9], v[16:17], v[2:3]
	s_waitcnt lgkmcnt(4)
	v_pk_add_f32 v[4:5], v[14:15], v[4:5]
	;; [unrolled: 2-line block ×4, first 2 shown]
	v_cmp_eq_u32_e32 vcc, 64, v1
	s_barrier
	s_and_saveexec_b64 s[0:1], vcc
	s_cbranch_execz .LBB143_347
; %bb.346:
	v_mov_b32_e32 v1, 0x210
	v_lshl_add_u32 v1, v30, 1, v1
	ds_write2_b32 v1, v8, v9 offset1:32
	ds_write2_b32 v1, v4, v5 offset0:64 offset1:96
	ds_write2_b32 v1, v2, v3 offset0:128 offset1:160
	;; [unrolled: 1-line block ×3, first 2 shown]
.LBB143_347:
	s_or_b64 exec, exec, s[0:1]
	v_cmp_gt_u32_e32 vcc, 64, v0
	s_waitcnt lgkmcnt(0)
	s_barrier
	s_and_saveexec_b64 s[2:3], vcc
	s_cbranch_execz .LBB143_358
; %bb.348:
	v_cmp_eq_u32_e64 s[0:1], 0, v32
	v_lshrrev_b32_e32 v1, 1, v0
	s_and_saveexec_b64 s[6:7], s[0:1]
	s_cbranch_execnz .LBB143_394
; %bb.349:
	s_or_b64 exec, exec, s[6:7]
	s_and_saveexec_b64 s[6:7], s[0:1]
	s_cbranch_execnz .LBB143_395
.LBB143_350:
	s_or_b64 exec, exec, s[6:7]
	s_and_saveexec_b64 s[6:7], s[0:1]
	s_cbranch_execnz .LBB143_396
.LBB143_351:
	s_or_b64 exec, exec, s[6:7]
	s_and_saveexec_b64 s[6:7], s[0:1]
	s_cbranch_execnz .LBB143_397
.LBB143_352:
	s_or_b64 exec, exec, s[6:7]
	s_and_saveexec_b64 s[6:7], s[0:1]
	s_cbranch_execnz .LBB143_398
.LBB143_353:
	s_or_b64 exec, exec, s[6:7]
	s_and_saveexec_b64 s[6:7], s[0:1]
	s_cbranch_execnz .LBB143_399
.LBB143_354:
	s_or_b64 exec, exec, s[6:7]
	s_and_saveexec_b64 s[6:7], s[0:1]
	s_cbranch_execnz .LBB143_400
.LBB143_355:
	s_or_b64 exec, exec, s[6:7]
	s_and_saveexec_b64 s[6:7], s[0:1]
	s_cbranch_execz .LBB143_357
.LBB143_356:
	v_mov_b32_e32 v10, 0x210
	v_lshl_add_u32 v1, v1, 2, v10
	ds_read_b32 v1, v1 offset:896
	s_waitcnt lgkmcnt(0)
	v_add_f32_e32 v7, v7, v1
.LBB143_357:
	s_or_b64 exec, exec, s[6:7]
.LBB143_358:
	s_or_b64 exec, exec, s[2:3]
	s_barrier
	s_and_saveexec_b64 s[0:1], vcc
	s_cbranch_execz .LBB143_393
; %bb.359:
	v_cmp_eq_u32_e32 vcc, 0, v32
	s_and_b64 exec, exec, vcc
	s_cbranch_execz .LBB143_393
; %bb.360:
	s_mov_b32 s0, 0x7f800000
	v_and_b32_e32 v1, 0x7f800000, v8
	v_cmp_ne_u32_e32 vcc, s0, v1
                                        ; implicit-def: $vgpr10
	s_and_saveexec_b64 s[0:1], vcc
	s_xor_b64 s[0:1], exec, s[0:1]
; %bb.361:
	v_bfe_u32 v1, v8, 16, 1
	s_movk_i32 s2, 0x7fff
	v_add3_u32 v10, v8, v1, s2
; %bb.362:
	s_andn2_saveexec_b64 s[0:1], s[0:1]
; %bb.363:
	v_mov_b32_e32 v1, 0
	v_or_b32_e32 v10, 0x10000, v8
	v_cmp_eq_u32_sdwa vcc, v8, v1 src0_sel:WORD_0 src1_sel:DWORD
	s_nop 1
	v_cndmask_b32_e32 v10, v10, v8, vcc
; %bb.364:
	s_or_b64 exec, exec, s[0:1]
	s_mul_i32 s0, s10, s11
	s_mul_i32 s0, s0, s5
	s_lshl_b32 s0, s0, 8
	s_ashr_i32 s1, s0, 31
	s_lshl_b64 s[0:1], s[0:1], 1
	s_add_u32 s2, s18, s0
	s_mul_i32 s0, s11, s16
	s_addc_u32 s3, s19, s1
	s_ashr_i32 s1, s0, 31
	s_lshl_b64 s[0:1], s[0:1], 1
	s_add_u32 s2, s2, s0
	s_addc_u32 s3, s3, s1
	s_lshl_b32 s0, s4, 8
	s_ashr_i32 s1, s0, 31
	s_lshl_b64 s[0:1], s[0:1], 1
	s_add_u32 s0, s2, s0
	s_mov_b32 s2, 0x7f800000
	v_and_b32_e32 v8, 0x7f800000, v9
	s_addc_u32 s1, s3, s1
	v_and_b32_e32 v0, 0x3fe, v0
	v_mov_b32_e32 v1, 0
	v_cmp_ne_u32_e32 vcc, s2, v8
	global_store_short_d16_hi v0, v10, s[0:1]
                                        ; implicit-def: $vgpr8
	s_and_saveexec_b64 s[2:3], vcc
	s_xor_b64 s[2:3], exec, s[2:3]
; %bb.365:
	v_bfe_u32 v8, v9, 16, 1
	s_movk_i32 s4, 0x7fff
	v_add3_u32 v8, v9, v8, s4
; %bb.366:
	s_or_saveexec_b64 s[2:3], s[2:3]
	v_lshl_add_u64 v[10:11], s[0:1], 0, v[0:1]
	s_xor_b64 exec, exec, s[2:3]
; %bb.367:
	v_mov_b32_e32 v0, 0
	v_or_b32_e32 v1, 0x10000, v9
	v_cmp_eq_u32_sdwa vcc, v9, v0 src0_sel:WORD_0 src1_sel:DWORD
	s_nop 1
	v_cndmask_b32_e32 v8, v1, v9, vcc
; %bb.368:
	s_or_b64 exec, exec, s[2:3]
	s_mov_b32 s0, 0x7f800000
	v_and_b32_e32 v0, 0x7f800000, v4
	v_cmp_ne_u32_e32 vcc, s0, v0
	global_store_short_d16_hi v[10:11], v8, off offset:64
                                        ; implicit-def: $vgpr0
	s_and_saveexec_b64 s[0:1], vcc
	s_xor_b64 s[0:1], exec, s[0:1]
; %bb.369:
	v_bfe_u32 v0, v4, 16, 1
	s_movk_i32 s2, 0x7fff
	v_add3_u32 v0, v4, v0, s2
; %bb.370:
	s_andn2_saveexec_b64 s[0:1], s[0:1]
; %bb.371:
	v_mov_b32_e32 v0, 0
	v_or_b32_e32 v1, 0x10000, v4
	v_cmp_eq_u32_sdwa vcc, v4, v0 src0_sel:WORD_0 src1_sel:DWORD
	s_nop 1
	v_cndmask_b32_e32 v0, v1, v4, vcc
; %bb.372:
	s_or_b64 exec, exec, s[0:1]
	global_store_short_d16_hi v[10:11], v0, off offset:128
	s_mov_b32 s0, 0x7f800000
	v_and_b32_e32 v0, 0x7f800000, v5
	v_cmp_ne_u32_e32 vcc, s0, v0
                                        ; implicit-def: $vgpr0
	s_and_saveexec_b64 s[0:1], vcc
	s_xor_b64 s[0:1], exec, s[0:1]
; %bb.373:
	v_bfe_u32 v0, v5, 16, 1
	s_movk_i32 s2, 0x7fff
	v_add3_u32 v0, v5, v0, s2
; %bb.374:
	s_andn2_saveexec_b64 s[0:1], s[0:1]
; %bb.375:
	v_mov_b32_e32 v0, 0
	v_or_b32_e32 v1, 0x10000, v5
	v_cmp_eq_u32_sdwa vcc, v5, v0 src0_sel:WORD_0 src1_sel:DWORD
	s_nop 1
	v_cndmask_b32_e32 v0, v1, v5, vcc
; %bb.376:
	s_or_b64 exec, exec, s[0:1]
	global_store_short_d16_hi v[10:11], v0, off offset:192
	s_mov_b32 s0, 0x7f800000
	v_and_b32_e32 v0, 0x7f800000, v2
	v_cmp_ne_u32_e32 vcc, s0, v0
	;; [unrolled: 21-line block ×5, first 2 shown]
                                        ; implicit-def: $vgpr8
	s_and_saveexec_b64 s[0:1], vcc
	s_xor_b64 s[0:1], exec, s[0:1]
; %bb.389:
	v_bfe_u32 v0, v7, 16, 1
	s_movk_i32 s2, 0x7fff
	v_add3_u32 v8, v7, v0, s2
                                        ; implicit-def: $vgpr0_vgpr1_vgpr2_vgpr3_vgpr4_vgpr5_vgpr6_vgpr7
; %bb.390:
	s_andn2_saveexec_b64 s[0:1], s[0:1]
; %bb.391:
	v_mov_b32_e32 v0, 0
	v_or_b32_e32 v1, 0x10000, v7
	v_cmp_eq_u32_sdwa vcc, v7, v0 src0_sel:WORD_0 src1_sel:DWORD
	s_nop 1
	v_cndmask_b32_e32 v8, v1, v7, vcc
; %bb.392:
	s_or_b64 exec, exec, s[0:1]
	global_store_short_d16_hi v[10:11], v8, off offset:448
.LBB143_393:
	s_endpgm
.LBB143_394:
	v_mov_b32_e32 v10, 0x210
	v_lshl_add_u32 v10, v1, 2, v10
	ds_read_b32 v10, v10
	s_waitcnt lgkmcnt(0)
	v_add_f32_e32 v8, v8, v10
	s_or_b64 exec, exec, s[6:7]
	s_and_saveexec_b64 s[6:7], s[0:1]
	s_cbranch_execz .LBB143_350
.LBB143_395:
	v_mov_b32_e32 v10, 0x210
	v_lshl_add_u32 v10, v1, 2, v10
	ds_read_b32 v10, v10 offset:128
	s_waitcnt lgkmcnt(0)
	v_add_f32_e32 v9, v9, v10
	s_or_b64 exec, exec, s[6:7]
	s_and_saveexec_b64 s[6:7], s[0:1]
	s_cbranch_execz .LBB143_351
.LBB143_396:
	v_mov_b32_e32 v10, 0x210
	v_lshl_add_u32 v10, v1, 2, v10
	ds_read_b32 v10, v10 offset:256
	s_waitcnt lgkmcnt(0)
	v_add_f32_e32 v4, v4, v10
	s_or_b64 exec, exec, s[6:7]
	s_and_saveexec_b64 s[6:7], s[0:1]
	s_cbranch_execz .LBB143_352
.LBB143_397:
	v_mov_b32_e32 v10, 0x210
	v_lshl_add_u32 v10, v1, 2, v10
	ds_read_b32 v10, v10 offset:384
	s_waitcnt lgkmcnt(0)
	v_add_f32_e32 v5, v5, v10
	s_or_b64 exec, exec, s[6:7]
	s_and_saveexec_b64 s[6:7], s[0:1]
	s_cbranch_execz .LBB143_353
.LBB143_398:
	v_mov_b32_e32 v10, 0x210
	v_lshl_add_u32 v10, v1, 2, v10
	ds_read_b32 v10, v10 offset:512
	s_waitcnt lgkmcnt(0)
	v_add_f32_e32 v2, v2, v10
	s_or_b64 exec, exec, s[6:7]
	s_and_saveexec_b64 s[6:7], s[0:1]
	s_cbranch_execz .LBB143_354
.LBB143_399:
	v_mov_b32_e32 v10, 0x210
	v_lshl_add_u32 v10, v1, 2, v10
	ds_read_b32 v10, v10 offset:640
	s_waitcnt lgkmcnt(0)
	v_add_f32_e32 v3, v3, v10
	s_or_b64 exec, exec, s[6:7]
	s_and_saveexec_b64 s[6:7], s[0:1]
	s_cbranch_execz .LBB143_355
.LBB143_400:
	v_mov_b32_e32 v10, 0x210
	v_lshl_add_u32 v10, v1, 2, v10
	ds_read_b32 v10, v10 offset:768
	s_waitcnt lgkmcnt(0)
	v_add_f32_e32 v6, v6, v10
	s_or_b64 exec, exec, s[6:7]
	s_and_saveexec_b64 s[6:7], s[0:1]
	s_cbranch_execnz .LBB143_356
	s_branch .LBB143_357
	.section	.rodata,"a",@progbits
	.p2align	6, 0x0
	.amdhsa_kernel _ZN4vllm25paged_attention_v1_kernelI14__hip_bfloat16S1_Li256ELi16ELi128ELNS_18Fp8KVCacheDataTypeE0ELb0EEEvPT_PKS3_PKT0_S9_ifPKiSB_iPKfiiiSD_SD_iiiii
		.amdhsa_group_segment_fixed_size 528
		.amdhsa_private_segment_fixed_size 0
		.amdhsa_kernarg_size 384
		.amdhsa_user_sgpr_count 2
		.amdhsa_user_sgpr_dispatch_ptr 0
		.amdhsa_user_sgpr_queue_ptr 0
		.amdhsa_user_sgpr_kernarg_segment_ptr 1
		.amdhsa_user_sgpr_dispatch_id 0
		.amdhsa_user_sgpr_kernarg_preload_length 0
		.amdhsa_user_sgpr_kernarg_preload_offset 0
		.amdhsa_user_sgpr_private_segment_size 0
		.amdhsa_uses_dynamic_stack 0
		.amdhsa_enable_private_segment 0
		.amdhsa_system_sgpr_workgroup_id_x 1
		.amdhsa_system_sgpr_workgroup_id_y 1
		.amdhsa_system_sgpr_workgroup_id_z 1
		.amdhsa_system_sgpr_workgroup_info 0
		.amdhsa_system_vgpr_workitem_id 0
		.amdhsa_next_free_vgpr 115
		.amdhsa_next_free_sgpr 35
		.amdhsa_accum_offset 116
		.amdhsa_reserve_vcc 1
		.amdhsa_float_round_mode_32 0
		.amdhsa_float_round_mode_16_64 0
		.amdhsa_float_denorm_mode_32 3
		.amdhsa_float_denorm_mode_16_64 3
		.amdhsa_dx10_clamp 1
		.amdhsa_ieee_mode 1
		.amdhsa_fp16_overflow 0
		.amdhsa_tg_split 0
		.amdhsa_exception_fp_ieee_invalid_op 0
		.amdhsa_exception_fp_denorm_src 0
		.amdhsa_exception_fp_ieee_div_zero 0
		.amdhsa_exception_fp_ieee_overflow 0
		.amdhsa_exception_fp_ieee_underflow 0
		.amdhsa_exception_fp_ieee_inexact 0
		.amdhsa_exception_int_div_zero 0
	.end_amdhsa_kernel
	.section	.text._ZN4vllm25paged_attention_v1_kernelI14__hip_bfloat16S1_Li256ELi16ELi128ELNS_18Fp8KVCacheDataTypeE0ELb0EEEvPT_PKS3_PKT0_S9_ifPKiSB_iPKfiiiSD_SD_iiiii,"axG",@progbits,_ZN4vllm25paged_attention_v1_kernelI14__hip_bfloat16S1_Li256ELi16ELi128ELNS_18Fp8KVCacheDataTypeE0ELb0EEEvPT_PKS3_PKT0_S9_ifPKiSB_iPKfiiiSD_SD_iiiii,comdat
.Lfunc_end143:
	.size	_ZN4vllm25paged_attention_v1_kernelI14__hip_bfloat16S1_Li256ELi16ELi128ELNS_18Fp8KVCacheDataTypeE0ELb0EEEvPT_PKS3_PKT0_S9_ifPKiSB_iPKfiiiSD_SD_iiiii, .Lfunc_end143-_ZN4vllm25paged_attention_v1_kernelI14__hip_bfloat16S1_Li256ELi16ELi128ELNS_18Fp8KVCacheDataTypeE0ELb0EEEvPT_PKS3_PKT0_S9_ifPKiSB_iPKfiiiSD_SD_iiiii
                                        ; -- End function
	.section	.AMDGPU.csdata,"",@progbits
; Kernel info:
; codeLenInByte = 14084
; NumSgprs: 41
; NumVgprs: 115
; NumAgprs: 0
; TotalNumVgprs: 115
; ScratchSize: 0
; MemoryBound: 0
; FloatMode: 240
; IeeeMode: 1
; LDSByteSize: 528 bytes/workgroup (compile time only)
; SGPRBlocks: 5
; VGPRBlocks: 14
; NumSGPRsForWavesPerEU: 41
; NumVGPRsForWavesPerEU: 115
; AccumOffset: 116
; Occupancy: 4
; WaveLimiterHint : 1
; COMPUTE_PGM_RSRC2:SCRATCH_EN: 0
; COMPUTE_PGM_RSRC2:USER_SGPR: 2
; COMPUTE_PGM_RSRC2:TRAP_HANDLER: 0
; COMPUTE_PGM_RSRC2:TGID_X_EN: 1
; COMPUTE_PGM_RSRC2:TGID_Y_EN: 1
; COMPUTE_PGM_RSRC2:TGID_Z_EN: 1
; COMPUTE_PGM_RSRC2:TIDIG_COMP_CNT: 0
; COMPUTE_PGM_RSRC3_GFX90A:ACCUM_OFFSET: 28
; COMPUTE_PGM_RSRC3_GFX90A:TG_SPLIT: 0
	.section	.text._ZN4vllm25paged_attention_v1_kernelI14__hip_bfloat16S1_Li32ELi32ELi128ELNS_18Fp8KVCacheDataTypeE0ELb1EEEvPT_PKS3_PKT0_S9_ifPKiSB_iPKfiiiSD_SD_iiiii,"axG",@progbits,_ZN4vllm25paged_attention_v1_kernelI14__hip_bfloat16S1_Li32ELi32ELi128ELNS_18Fp8KVCacheDataTypeE0ELb1EEEvPT_PKS3_PKT0_S9_ifPKiSB_iPKfiiiSD_SD_iiiii,comdat
	.protected	_ZN4vllm25paged_attention_v1_kernelI14__hip_bfloat16S1_Li32ELi32ELi128ELNS_18Fp8KVCacheDataTypeE0ELb1EEEvPT_PKS3_PKT0_S9_ifPKiSB_iPKfiiiSD_SD_iiiii ; -- Begin function _ZN4vllm25paged_attention_v1_kernelI14__hip_bfloat16S1_Li32ELi32ELi128ELNS_18Fp8KVCacheDataTypeE0ELb1EEEvPT_PKS3_PKT0_S9_ifPKiSB_iPKfiiiSD_SD_iiiii
	.globl	_ZN4vllm25paged_attention_v1_kernelI14__hip_bfloat16S1_Li32ELi32ELi128ELNS_18Fp8KVCacheDataTypeE0ELb1EEEvPT_PKS3_PKT0_S9_ifPKiSB_iPKfiiiSD_SD_iiiii
	.p2align	8
	.type	_ZN4vllm25paged_attention_v1_kernelI14__hip_bfloat16S1_Li32ELi32ELi128ELNS_18Fp8KVCacheDataTypeE0ELb1EEEvPT_PKS3_PKT0_S9_ifPKiSB_iPKfiiiSD_SD_iiiii,@function
_ZN4vllm25paged_attention_v1_kernelI14__hip_bfloat16S1_Li32ELi32ELi128ELNS_18Fp8KVCacheDataTypeE0ELb1EEEvPT_PKS3_PKT0_S9_ifPKiSB_iPKfiiiSD_SD_iiiii: ; @_ZN4vllm25paged_attention_v1_kernelI14__hip_bfloat16S1_Li32ELi32ELi128ELNS_18Fp8KVCacheDataTypeE0ELb1EEEvPT_PKS3_PKT0_S9_ifPKiSB_iPKfiiiSD_SD_iiiii
; %bb.0:
	s_load_dword s5, s[0:1], 0x80
	s_load_dwordx2 s[6:7], s[0:1], 0x30
	s_load_dwordx2 s[30:31], s[0:1], 0x20
	s_mov_b32 s10, s3
	s_ashr_i32 s11, s3, 31
	s_lshl_b64 s[8:9], s[10:11], 2
	s_waitcnt lgkmcnt(0)
	s_add_u32 s6, s6, s8
	s_addc_u32 s7, s7, s9
	s_abs_i32 s3, s30
	v_cvt_f32_u32_e32 v1, s3
	s_sub_i32 s11, 0, s3
	s_abs_i32 s9, s5
	s_xor_b32 s8, s5, s30
	v_rcp_iflag_f32_e32 v1, v1
	s_ashr_i32 s8, s8, 31
	s_mov_b32 s42, 0
	v_mul_f32_e32 v1, 0x4f7ffffe, v1
	v_cvt_u32_f32_e32 v1, v1
	s_nop 0
	v_readfirstlane_b32 s12, v1
	s_mul_i32 s11, s11, s12
	s_mul_hi_u32 s11, s12, s11
	s_add_i32 s12, s12, s11
	s_mul_hi_u32 s11, s9, s12
	s_mul_i32 s12, s11, s3
	s_sub_i32 s9, s9, s12
	s_add_i32 s12, s11, 1
	s_sub_i32 s13, s9, s3
	s_cmp_ge_u32 s9, s3
	s_cselect_b32 s11, s12, s11
	s_cselect_b32 s9, s13, s9
	s_add_i32 s12, s11, 1
	s_cmp_ge_u32 s9, s3
	s_cselect_b32 s3, s12, s11
	s_xor_b32 s3, s3, s8
	s_sub_i32 s12, s3, s8
	s_abs_i32 s11, s12
	v_cvt_f32_u32_e32 v1, s11
	s_load_dwordx2 s[8:9], s[0:1], 0x40
	s_sub_i32 s3, 0, s11
	s_abs_i32 s22, s2
	v_rcp_iflag_f32_e32 v1, v1
	s_nop 0
	v_mul_f32_e32 v1, 0x4f7ffffe, v1
	v_cvt_u32_f32_e32 v1, v1
	s_nop 0
	v_readfirstlane_b32 s13, v1
	s_mul_i32 s3, s3, s13
	s_mul_hi_u32 s3, s13, s3
	s_add_i32 s13, s13, s3
	s_waitcnt lgkmcnt(0)
	s_cmp_eq_u64 s[8:9], 0
	s_mul_hi_u32 s23, s22, s13
	s_cbranch_scc1 .LBB144_2
; %bb.1:
	s_ashr_i32 s3, s2, 31
	s_lshl_b64 s[14:15], s[2:3], 2
	s_add_u32 s8, s8, s14
	s_addc_u32 s9, s9, s15
	s_load_dword s42, s[8:9], 0x0
.LBB144_2:
	s_load_dword s33, s[6:7], 0x0
	s_ashr_i32 s9, s12, 31
	s_load_dwordx4 s[12:15], s[0:1], 0x48
	s_ashr_i32 s3, s2, 31
	v_and_b32_e32 v4, 1, v0
	s_lshl_b32 s20, s2, 5
	v_cmp_gt_u32_e32 vcc, 8, v0
	v_lshlrev_b32_e32 v6, 3, v0
	s_and_saveexec_b64 s[6:7], vcc
	s_cbranch_execz .LBB144_4
; %bb.3:
	s_load_dwordx2 s[16:17], s[0:1], 0x8
	s_waitcnt lgkmcnt(0)
	s_mul_i32 s18, s10, s12
	s_ashr_i32 s19, s18, 31
	s_lshl_b64 s[18:19], s[18:19], 1
	v_lshlrev_b32_e32 v1, 2, v0
	s_add_u32 s8, s16, s18
	s_addc_u32 s12, s17, s19
	s_ashr_i32 s21, s20, 31
	s_lshl_b64 s[16:17], s[20:21], 1
	s_add_u32 s16, s8, s16
	s_addc_u32 s17, s12, s17
	global_load_dwordx2 v[2:3], v6, s[16:17]
	v_and_b32_e32 v1, 0xff8, v1
	v_lshl_add_u32 v1, v4, 5, v1
	s_waitcnt vmcnt(0)
	ds_write_b64 v1, v[2:3]
.LBB144_4:
	s_or_b64 exec, exec, s[6:7]
	s_mul_i32 s6, s23, s11
	s_sub_i32 s6, s22, s6
	s_xor_b32 s3, s3, s9
	s_add_i32 s7, s23, 1
	s_sub_i32 s9, s6, s11
	s_load_dwordx4 s[16:19], s[0:1], 0x68
	s_load_dword s8, s[0:1], 0x78
	s_cmp_ge_u32 s6, s11
	s_cselect_b32 s7, s7, s23
	s_cselect_b32 s6, s9, s6
	s_add_i32 s9, s7, 1
	s_cmp_ge_u32 s6, s11
	s_cselect_b32 s6, s9, s7
	s_waitcnt lgkmcnt(0)
	s_abs_i32 s21, s19
	v_cvt_f32_u32_e32 v1, s21
	s_xor_b32 s6, s6, s3
	s_sub_i32 s3, s6, s3
	s_sub_i32 s6, 0, s21
	v_rcp_iflag_f32_e32 v1, v1
	s_add_i32 s11, s33, -1
	s_abs_i32 s9, s11
	v_mul_f32_e32 v1, 0x4f7ffffe, v1
	v_cvt_u32_f32_e32 v1, v1
	s_barrier
	v_readfirstlane_b32 s40, v1
	s_mul_i32 s6, s6, s40
	s_mul_hi_u32 s6, s40, s6
	s_add_i32 s40, s40, s6
	s_cmp_lt_i32 s8, 0
	s_mul_hi_u32 s12, s9, s40
	s_cbranch_scc0 .LBB144_6
; %bb.5:
	s_mul_i32 s6, s16, s30
	s_add_i32 s6, s3, s6
	s_mul_i32 s6, s6, s8
	s_sub_i32 s41, 1, s6
	s_mov_b64 s[6:7], 0
	s_branch .LBB144_7
.LBB144_6:
	s_mov_b64 s[6:7], -1
                                        ; implicit-def: $sgpr41
.LBB144_7:
	s_load_dwordx2 s[24:25], s[0:1], 0x28
	s_ashr_i32 s15, s11, 31
	s_andn2_b64 vcc, exec, s[6:7]
	s_ashr_i32 s19, s19, 31
	s_cbranch_vccnz .LBB144_9
; %bb.8:
	s_mul_i32 s6, s5, s16
	s_add_i32 s2, s6, s2
	s_mul_i32 s2, s2, s8
	s_add_i32 s41, s2, 1
.LBB144_9:
	s_load_dword s2, s[0:1], 0x38
	s_load_dwordx2 s[22:23], s[0:1], 0x0
	s_load_dwordx2 s[28:29], s[0:1], 0x18
	s_load_dword s11, s[0:1], 0x88
	s_xor_b32 s6, s15, s19
	s_waitcnt lgkmcnt(0)
	s_mul_i32 s26, s10, s2
	s_mul_i32 s2, s12, s21
	s_sub_i32 s2, s9, s2
	s_ashr_i32 s27, s26, 31
	s_add_i32 s7, s12, 1
	s_sub_i32 s8, s2, s21
	s_cmp_ge_u32 s2, s21
	s_cselect_b32 s7, s7, s12
	s_cselect_b32 s2, s8, s2
	s_add_i32 s8, s7, 1
	s_cmp_ge_u32 s2, s21
	s_cselect_b32 s2, s8, s7
	s_xor_b32 s2, s2, s6
	s_sub_i32 s12, s2, s6
	s_add_i32 s2, s33, 31
	s_ashr_i32 s6, s2, 31
	s_lshr_b32 s6, s6, 27
	s_add_i32 s2, s2, s6
	s_ashr_i32 s16, s2, 5
	v_lshrrev_b32_e32 v1, 6, v0
	v_cmp_gt_i32_e64 s[6:7], s16, v1
	v_mov_b32_e32 v11, 0xff7fffff
	s_mul_i32 s14, s3, s14
	v_lshrrev_b32_e32 v7, 4, v0
	v_lshlrev_b32_e32 v18, 5, v1
	v_mbcnt_lo_u32_b32 v8, -1, 0
	s_and_saveexec_b64 s[34:35], s[6:7]
	s_cbranch_execz .LBB144_19
; %bb.10:
	s_load_dwordx2 s[0:1], s[0:1], 0x10
	s_ashr_i32 s15, s14, 31
	s_sub_i32 s30, s12, s17
	s_lshl_b64 s[2:3], s[14:15], 1
	v_bfe_u32 v9, v0, 1, 5
	s_waitcnt lgkmcnt(0)
	s_add_u32 s0, s0, s2
	s_addc_u32 s1, s1, s3
	s_abs_i32 s15, s18
	v_cvt_f32_u32_e32 v2, s15
	v_lshlrev_b32_e32 v14, 4, v9
	v_mov_b32_e32 v15, 0
	v_cmp_eq_u32_e32 vcc, 0, v4
	v_rcp_iflag_f32_e32 v5, v2
	v_lshl_add_u64 v[2:3], s[0:1], 0, v[14:15]
	s_sub_i32 s0, 0, s15
	v_lshlrev_b32_e32 v10, 5, v4
	v_mul_f32_e32 v5, 0x4f7ffffe, v5
	v_cvt_u32_f32_e32 v5, v5
	v_and_b32_e32 v14, 8, v6
	v_lshlrev_b32_e32 v11, 2, v9
	v_lshl_add_u64 v[2:3], v[2:3], 0, v[14:15]
	v_mul_lo_u32 v4, s0, v5
	s_lshl_b64 s[0:1], s[26:27], 2
	s_add_u32 s0, s24, s0
	v_mul_hi_u32 v4, v5, v4
	v_and_b32_e32 v14, 60, v7
	s_addc_u32 s1, s25, s1
	v_lshl_or_b32 v11, v1, 7, v11
	v_add_u32_e32 v12, v5, v4
	v_lshl_add_u64 v[4:5], s[0:1], 0, v[14:15]
	v_add_u32_e32 v14, 0x50, v11
	v_subrev_u32_e32 v11, s33, v9
	v_mbcnt_hi_u32_b32 v17, -1, v8
	v_add_u32_e32 v15, 1, v11
	v_and_b32_e32 v11, 64, v17
	s_mov_b32 s43, s13
	v_cmp_neq_f32_e64 s[2:3], s42, 0
	v_lshlrev_b32_e32 v13, 5, v1
	s_mov_b64 s[36:37], 0
	v_mov_b32_e32 v16, 0xff7fffff
	v_xor_b32_e32 v19, 1, v17
	v_add_u32_e32 v20, 64, v11
	v_mov_b32_e32 v11, 0xff7fffff
	v_mov_b32_e32 v21, v1
	s_branch .LBB144_13
.LBB144_11:                             ;   in Loop: Header=BB144_13 Depth=1
	s_or_b64 exec, exec, s[38:39]
.LBB144_12:                             ;   in Loop: Header=BB144_13 Depth=1
	s_or_b64 exec, exec, s[8:9]
	v_add_u32_e32 v21, 2, v21
	v_cmp_le_i32_e64 s[0:1], s16, v21
	v_lshl_add_u64 v[4:5], v[4:5], 0, 8
	v_add_u32_e32 v13, 64, v13
	s_or_b64 s[36:37], s[0:1], s[36:37]
	v_add_u32_e32 v14, 0x100, v14
	s_andn2_b64 exec, exec, s[36:37]
	s_cbranch_execz .LBB144_18
.LBB144_13:                             ; =>This Inner Loop Header: Depth=1
	v_mul_hi_u32 v22, v13, s40
	s_waitcnt lgkmcnt(0)
	v_mul_lo_u32 v23, v22, s21
	v_sub_u32_e32 v23, v13, v23
	v_add_u32_e32 v24, 1, v22
	v_cmp_le_u32_e64 s[0:1], s21, v23
	s_nop 1
	v_cndmask_b32_e64 v22, v22, v24, s[0:1]
	v_subrev_u32_e32 v24, s21, v23
	v_cndmask_b32_e64 v23, v23, v24, s[0:1]
	v_add_u32_e32 v24, 1, v22
	v_cmp_le_u32_e64 s[0:1], s21, v23
	s_nop 1
	v_cndmask_b32_e64 v22, v22, v24, s[0:1]
	v_xor_b32_e32 v22, s19, v22
	v_subrev_u32_e32 v22, s19, v22
	v_add_u32_e32 v23, s41, v22
	v_sub_u32_e32 v25, 0, v23
	v_ashrrev_i32_e32 v24, 31, v23
	v_max_i32_e32 v23, v23, v25
	v_mul_hi_u32 v25, v23, v12
	v_mul_lo_u32 v25, v25, s15
	v_sub_u32_e32 v23, v23, v25
	v_subrev_u32_e32 v25, s15, v23
	v_cmp_le_u32_e64 s[0:1], s15, v23
	v_cmp_ge_i32_e64 s[8:9], s30, v22
	s_nop 0
	v_cndmask_b32_e64 v23, v23, v25, s[0:1]
	v_subrev_u32_e32 v25, s15, v23
	v_cmp_le_u32_e64 s[0:1], s15, v23
	s_nop 1
	v_cndmask_b32_e64 v23, v23, v25, s[0:1]
	v_xor_b32_e32 v23, v23, v24
	v_sub_u32_e32 v23, v23, v24
	v_cmp_ne_u32_e64 s[0:1], 0, v23
	s_and_b64 s[0:1], s[0:1], s[8:9]
	s_and_b64 s[38:39], vcc, s[0:1]
	s_and_saveexec_b64 s[8:9], s[38:39]
	s_cbranch_execz .LBB144_15
; %bb.14:                               ;   in Loop: Header=BB144_13 Depth=1
	ds_write_b32 v14, v16
.LBB144_15:                             ;   in Loop: Header=BB144_13 Depth=1
	s_or_b64 exec, exec, s[8:9]
	s_xor_b64 s[0:1], s[0:1], -1
	s_and_saveexec_b64 s[8:9], s[0:1]
	s_cbranch_execz .LBB144_12
; %bb.16:                               ;   in Loop: Header=BB144_13 Depth=1
	global_load_dword v22, v[4:5], off
	s_waitcnt vmcnt(0)
	v_mad_i64_i32 v[22:23], s[0:1], v22, s43, 0
	v_lshl_add_u64 v[22:23], v[22:23], 1, v[2:3]
	global_load_dwordx2 v[30:31], v[22:23], off
	global_load_dwordx2 v[32:33], v[22:23], off offset:512
	global_load_dwordx2 v[34:35], v[22:23], off offset:1024
	;; [unrolled: 1-line block ×3, first 2 shown]
	ds_read_b128 v[22:25], v10
	ds_read_b128 v[26:29], v10 offset:16
	v_cmp_lt_i32_e64 s[0:1], v19, v20
	s_waitcnt lgkmcnt(1)
	v_lshlrev_b32_e32 v41, 16, v24
	v_and_b32_e32 v24, 0xffff0000, v24
	v_lshlrev_b32_e32 v39, 16, v22
	v_lshlrev_b32_e32 v42, 16, v25
	v_and_b32_e32 v22, 0xffff0000, v22
	v_lshlrev_b32_e32 v40, 16, v23
	s_waitcnt lgkmcnt(0)
	v_lshlrev_b32_e32 v43, 16, v26
	v_and_b32_e32 v25, 0xffff0000, v25
	v_and_b32_e32 v26, 0xffff0000, v26
	v_lshlrev_b32_e32 v44, 16, v27
	v_lshlrev_b32_e32 v45, 16, v28
	v_and_b32_e32 v23, 0xffff0000, v23
	v_and_b32_e32 v28, 0xffff0000, v28
	v_lshlrev_b32_e32 v46, 16, v29
	v_and_b32_e32 v27, 0xffff0000, v27
	v_and_b32_e32 v29, 0xffff0000, v29
	v_cndmask_b32_e64 v38, v17, v19, s[0:1]
	v_lshlrev_b32_e32 v38, 2, v38
	s_waitcnt vmcnt(3)
	v_lshlrev_b32_e32 v47, 16, v30
	s_waitcnt vmcnt(2)
	v_lshlrev_b32_e32 v49, 16, v32
	v_and_b32_e32 v32, 0xffff0000, v32
	v_and_b32_e32 v30, 0xffff0000, v30
	v_lshlrev_b32_e32 v50, 16, v33
	v_mul_f32_e32 v41, v41, v49
	v_mul_f32_e32 v24, v24, v32
	v_lshlrev_b32_e32 v48, 16, v31
	v_and_b32_e32 v33, 0xffff0000, v33
	s_waitcnt vmcnt(1)
	v_lshlrev_b32_e32 v51, 16, v34
	v_and_b32_e32 v34, 0xffff0000, v34
	v_mul_f32_e32 v32, v42, v50
	v_fmac_f32_e32 v41, v39, v47
	v_fmac_f32_e32 v24, v22, v30
	v_and_b32_e32 v31, 0xffff0000, v31
	v_lshlrev_b32_e32 v52, 16, v35
	s_waitcnt vmcnt(0)
	v_lshlrev_b32_e32 v53, 16, v36
	v_and_b32_e32 v36, 0xffff0000, v36
	v_mul_f32_e32 v25, v25, v33
	v_fmac_f32_e32 v32, v40, v48
	v_fmac_f32_e32 v41, v43, v51
	;; [unrolled: 1-line block ×3, first 2 shown]
	v_and_b32_e32 v35, 0xffff0000, v35
	v_lshlrev_b32_e32 v54, 16, v37
	v_fmac_f32_e32 v25, v23, v31
	v_fmac_f32_e32 v32, v44, v52
	;; [unrolled: 1-line block ×4, first 2 shown]
	v_and_b32_e32 v37, 0xffff0000, v37
	v_fmac_f32_e32 v25, v27, v35
	v_fmac_f32_e32 v32, v46, v54
	v_add_f32_e32 v22, v41, v24
	v_fmac_f32_e32 v25, v29, v37
	v_add_f32_e32 v22, v22, v32
	v_add_f32_e32 v22, v25, v22
	ds_bpermute_b32 v23, v38, v22
	s_and_saveexec_b64 s[38:39], vcc
	s_cbranch_execz .LBB144_11
; %bb.17:                               ;   in Loop: Header=BB144_13 Depth=1
	v_add_u32_e32 v24, v15, v13
	v_cvt_f32_i32_e32 v24, v24
	s_waitcnt lgkmcnt(0)
	v_add_f32_e32 v22, v22, v23
	v_add_u32_e32 v25, v9, v13
	v_cmp_gt_i32_e64 s[0:1], s33, v25
	v_mul_f32_e32 v23, s42, v24
	v_cndmask_b32_e64 v23, 0, v23, s[2:3]
	v_fmac_f32_e32 v23, s31, v22
	v_cndmask_b32_e64 v22, 0, v23, s[0:1]
	ds_write_b32 v14, v22
	v_max_f32_e32 v22, v11, v11
	v_max_f32_e32 v22, v22, v23
	v_cndmask_b32_e64 v11, v11, v22, s[0:1]
	s_branch .LBB144_11
.LBB144_18:
	s_or_b64 exec, exec, s[36:37]
.LBB144_19:
	s_or_b64 exec, exec, s[34:35]
	v_mbcnt_hi_u32_b32 v10, -1, v8
	v_and_b32_e32 v2, 64, v10
	v_add_u32_e32 v12, 64, v2
	v_xor_b32_e32 v2, 32, v10
	v_cmp_lt_i32_e32 vcc, v2, v12
	v_xor_b32_e32 v5, 16, v10
	v_max_f32_e32 v4, v11, v11
	v_cndmask_b32_e32 v2, v10, v2, vcc
	v_lshlrev_b32_e32 v2, 2, v2
	ds_bpermute_b32 v3, v2, v11
	v_cmp_lt_i32_e32 vcc, v5, v12
	v_xor_b32_e32 v8, 8, v10
	v_xor_b32_e32 v9, 4, v10
	;; [unrolled: 1-line block ×3, first 2 shown]
	s_waitcnt lgkmcnt(0)
	v_max_f32_e32 v3, v3, v3
	v_max_f32_e32 v4, v4, v3
	v_cndmask_b32_e32 v3, v10, v5, vcc
	v_lshlrev_b32_e32 v3, 2, v3
	ds_bpermute_b32 v5, v3, v4
	v_cmp_lt_i32_e32 vcc, v8, v12
	v_and_b32_e32 v19, 63, v0
	s_waitcnt lgkmcnt(0)
	v_max_f32_e32 v5, v5, v5
	v_max_f32_e32 v5, v4, v5
	v_cndmask_b32_e32 v4, v10, v8, vcc
	v_lshlrev_b32_e32 v4, 2, v4
	ds_bpermute_b32 v8, v4, v5
	v_cmp_lt_i32_e32 vcc, v9, v12
	s_waitcnt lgkmcnt(0)
	v_max_f32_e32 v8, v8, v8
	v_max_f32_e32 v8, v5, v8
	v_cndmask_b32_e32 v5, v10, v9, vcc
	v_lshlrev_b32_e32 v5, 2, v5
	ds_bpermute_b32 v9, v5, v8
	v_cmp_lt_i32_e32 vcc, v11, v12
	s_waitcnt lgkmcnt(0)
	v_max_f32_e32 v9, v9, v9
	v_max_f32_e32 v9, v8, v9
	v_cndmask_b32_e32 v8, v10, v11, vcc
	v_lshlrev_b32_e32 v20, 2, v8
	ds_bpermute_b32 v11, v20, v9
	v_cmp_eq_u32_e32 vcc, 0, v19
	v_lshlrev_b32_e32 v8, 2, v1
	s_and_saveexec_b64 s[0:1], vcc
	s_cbranch_execz .LBB144_21
; %bb.20:
	s_waitcnt lgkmcnt(0)
	v_max_f32_e32 v11, v11, v11
	v_max_f32_e32 v9, v9, v9
	;; [unrolled: 1-line block ×3, first 2 shown]
	ds_write_b32 v8, v9 offset:64
.LBB144_21:
	s_or_b64 exec, exec, s[0:1]
	v_cmp_gt_u32_e64 s[0:1], 2, v19
	s_waitcnt lgkmcnt(0)
	v_mov_b32_e32 v11, 0xff7fffff
	v_lshlrev_b32_e32 v9, 2, v19
	s_barrier
	s_and_saveexec_b64 s[2:3], s[0:1]
	s_cbranch_execz .LBB144_23
; %bb.22:
	ds_read_b32 v11, v9 offset:64
.LBB144_23:
	s_or_b64 exec, exec, s[2:3]
	v_xor_b32_e32 v13, 1, v10
	v_cmp_lt_i32_e64 s[2:3], v13, v12
	s_nop 1
	v_cndmask_b32_e64 v12, v10, v13, s[2:3]
	v_lshlrev_b32_e32 v21, 2, v12
	s_waitcnt lgkmcnt(0)
	ds_bpermute_b32 v12, v21, v11
	v_max_f32_e32 v11, v11, v11
	v_lshlrev_b32_e32 v10, 2, v10
	v_and_b32_e32 v10, 0x100, v10
	s_lshl_b32 s2, s16, 5
	s_waitcnt lgkmcnt(0)
	v_max_f32_e32 v12, v12, v12
	v_max_f32_e32 v11, v11, v12
	ds_bpermute_b32 v12, v10, v11
	s_min_i32 s15, s2, s33
	v_cmp_gt_i32_e64 s[2:3], s15, v0
	v_mov_b32_e32 v11, 0
	s_and_saveexec_b64 s[30:31], s[2:3]
	s_cbranch_execz .LBB144_27
; %bb.24:
	v_mov_b32_e32 v11, 0x50
	v_lshl_add_u32 v13, v0, 2, v11
	s_mov_b64 s[34:35], 0
	v_mov_b32_e32 v11, 0
	v_mov_b32_e32 v14, v0
.LBB144_25:                             ; =>This Inner Loop Header: Depth=1
	ds_read_b32 v15, v13
	v_add_u32_e32 v14, 0x80, v14
	v_cmp_le_i32_e64 s[8:9], s15, v14
	s_or_b64 s[34:35], s[8:9], s[34:35]
	s_waitcnt lgkmcnt(0)
	v_sub_f32_e32 v15, v15, v12
	v_mul_f32_e32 v15, 0x3fb8aa3b, v15
	v_exp_f32_e32 v15, v15
	ds_write_b32 v13, v15
	v_add_f32_e32 v11, v11, v15
	v_add_u32_e32 v13, 0x200, v13
	s_andn2_b64 exec, exec, s[34:35]
	s_cbranch_execnz .LBB144_25
; %bb.26:
	s_or_b64 exec, exec, s[34:35]
.LBB144_27:
	s_or_b64 exec, exec, s[30:31]
	ds_bpermute_b32 v2, v2, v11
	s_waitcnt lgkmcnt(0)
	v_add_f32_e32 v2, v11, v2
	ds_bpermute_b32 v3, v3, v2
	s_waitcnt lgkmcnt(0)
	v_add_f32_e32 v2, v2, v3
	;; [unrolled: 3-line block ×6, first 2 shown]
	s_and_saveexec_b64 s[8:9], vcc
	s_cbranch_execz .LBB144_29
; %bb.28:
	ds_write_b32 v8, v2 offset:72
.LBB144_29:
	s_or_b64 exec, exec, s[8:9]
	s_waitcnt lgkmcnt(0)
	s_barrier
	s_and_saveexec_b64 s[8:9], s[0:1]
	s_cbranch_execz .LBB144_31
; %bb.30:
	ds_read_b32 v2, v9 offset:72
.LBB144_31:
	s_or_b64 exec, exec, s[8:9]
	s_waitcnt lgkmcnt(0)
	ds_bpermute_b32 v3, v21, v2
	s_waitcnt lgkmcnt(0)
	v_add_f32_e32 v2, v2, v3
	ds_bpermute_b32 v2, v10, v2
	s_and_saveexec_b64 s[0:1], s[2:3]
	s_cbranch_execz .LBB144_44
; %bb.32:
	s_waitcnt lgkmcnt(0)
	v_add_f32_e32 v2, 0x358637bd, v2
	v_div_scale_f32 v3, s[2:3], v2, v2, 1.0
	v_rcp_f32_e32 v4, v3
	v_div_scale_f32 v5, vcc, 1.0, v2, 1.0
	s_movk_i32 s2, 0x7f
	v_fma_f32 v8, -v3, v4, 1.0
	v_fmac_f32_e32 v4, v8, v4
	v_mul_f32_e32 v8, v5, v4
	v_fma_f32 v9, -v3, v8, v5
	v_fmac_f32_e32 v8, v9, v4
	v_fma_f32 v3, -v3, v8, v5
	v_div_fmas_f32 v3, v3, v4, v8
	v_xad_u32 v4, v0, -1, s15
	v_div_fixup_f32 v2, v3, v2, 1.0
	v_cmp_lt_u32_e32 vcc, s2, v4
	s_mov_b64 s[8:9], -1
	v_mov_b32_e32 v3, v0
	s_and_saveexec_b64 s[2:3], vcc
	s_cbranch_execz .LBB144_41
; %bb.33:
	v_lshrrev_b32_e32 v4, 7, v4
	v_add_u32_e32 v8, -1, v4
	v_lshrrev_b32_e32 v5, 1, v8
	v_mov_b32_e32 v3, v2
	v_add_u32_e32 v5, 1, v5
	v_cmp_lt_u32_e32 vcc, 13, v8
	v_mov_b32_e32 v10, 0
	s_and_saveexec_b64 s[8:9], vcc
	s_cbranch_execz .LBB144_37
; %bb.34:
	v_mov_b32_e32 v9, 0x50
	v_and_b32_e32 v8, -8, v5
	v_lshl_add_u32 v9, v0, 2, v9
	s_mov_b32 s34, 0
	s_mov_b64 s[30:31], 0
.LBB144_35:                             ; =>This Inner Loop Header: Depth=1
	ds_read2st64_b32 v[10:11], v9 offset1:2
	ds_read2st64_b32 v[12:13], v9 offset0:4 offset1:6
	ds_read2st64_b32 v[14:15], v9 offset0:8 offset1:10
	;; [unrolled: 1-line block ×3, first 2 shown]
	v_add_u32_e32 v8, -8, v8
	s_waitcnt lgkmcnt(3)
	v_pk_mul_f32 v[10:11], v[2:3], v[10:11]
	s_waitcnt lgkmcnt(2)
	v_pk_mul_f32 v[12:13], v[2:3], v[12:13]
	ds_write2st64_b32 v9, v10, v11 offset1:2
	ds_write2st64_b32 v9, v12, v13 offset0:4 offset1:6
	ds_read2st64_b32 v[12:13], v9 offset0:16 offset1:18
	s_waitcnt lgkmcnt(4)
	v_pk_mul_f32 v[10:11], v[2:3], v[14:15]
	ds_write2st64_b32 v9, v10, v11 offset0:8 offset1:10
	s_waitcnt lgkmcnt(4)
	v_pk_mul_f32 v[10:11], v[2:3], v[16:17]
	ds_write2st64_b32 v9, v10, v11 offset0:12 offset1:14
	ds_read2st64_b32 v[10:11], v9 offset0:20 offset1:22
	s_waitcnt lgkmcnt(3)
	v_pk_mul_f32 v[12:13], v[2:3], v[12:13]
	ds_read2st64_b32 v[14:15], v9 offset0:24 offset1:26
	ds_write2st64_b32 v9, v12, v13 offset0:16 offset1:18
	ds_read2st64_b32 v[12:13], v9 offset0:28 offset1:30
	s_waitcnt lgkmcnt(3)
	v_pk_mul_f32 v[10:11], v[2:3], v[10:11]
	ds_write2st64_b32 v9, v10, v11 offset0:20 offset1:22
	s_waitcnt lgkmcnt(3)
	v_pk_mul_f32 v[10:11], v[2:3], v[14:15]
	ds_write2st64_b32 v9, v10, v11 offset0:24 offset1:26
	s_waitcnt lgkmcnt(2)
	v_pk_mul_f32 v[10:11], v[2:3], v[12:13]
	s_add_i32 s34, s34, 16
	v_cmp_eq_u32_e32 vcc, 0, v8
	ds_write2st64_b32 v9, v10, v11 offset0:28 offset1:30
	v_add_u32_e32 v9, 0x2000, v9
	s_or_b64 s[30:31], vcc, s[30:31]
	v_mov_b32_e32 v10, s34
	s_andn2_b64 exec, exec, s[30:31]
	s_cbranch_execnz .LBB144_35
; %bb.36:
	s_or_b64 exec, exec, s[30:31]
.LBB144_37:
	s_or_b64 exec, exec, s[8:9]
	v_and_b32_e32 v5, 7, v5
	v_cmp_ne_u32_e32 vcc, 0, v5
	s_and_saveexec_b64 s[8:9], vcc
	s_cbranch_execz .LBB144_40
; %bb.38:
	v_lshlrev_b32_e32 v8, 9, v10
	v_lshlrev_b32_e32 v9, 2, v0
	s_movk_i32 s30, 0x50
	v_add3_u32 v8, v8, v9, s30
	s_mov_b64 s[30:31], 0
.LBB144_39:                             ; =>This Inner Loop Header: Depth=1
	ds_read2st64_b32 v[10:11], v8 offset1:2
	v_add_u32_e32 v5, -1, v5
	v_cmp_eq_u32_e32 vcc, 0, v5
	s_or_b64 s[30:31], vcc, s[30:31]
	s_waitcnt lgkmcnt(0)
	v_pk_mul_f32 v[10:11], v[2:3], v[10:11]
	ds_write2st64_b32 v8, v10, v11 offset1:2
	v_add_u32_e32 v8, 0x400, v8
	s_andn2_b64 exec, exec, s[30:31]
	s_cbranch_execnz .LBB144_39
.LBB144_40:
	s_or_b64 exec, exec, s[8:9]
	v_add_u32_e32 v4, 1, v4
	v_and_b32_e32 v5, 0x3fffffe, v4
	v_cmp_ne_u32_e32 vcc, v4, v5
	v_lshl_add_u32 v3, v5, 7, v0
	s_orn2_b64 s[8:9], vcc, exec
.LBB144_41:
	s_or_b64 exec, exec, s[2:3]
	s_and_b64 exec, exec, s[8:9]
	s_cbranch_execz .LBB144_44
; %bb.42:
	v_mov_b32_e32 v4, 0x50
	v_lshl_add_u32 v4, v3, 2, v4
	s_mov_b64 s[2:3], 0
.LBB144_43:                             ; =>This Inner Loop Header: Depth=1
	ds_read_b32 v5, v4
	v_add_u32_e32 v3, 0x80, v3
	v_cmp_le_i32_e32 vcc, s15, v3
	s_or_b64 s[2:3], vcc, s[2:3]
	s_waitcnt lgkmcnt(0)
	v_mul_f32_e32 v5, v2, v5
	ds_write_b32 v4, v5
	v_add_u32_e32 v4, 0x200, v4
	s_andn2_b64 exec, exec, s[2:3]
	s_cbranch_execnz .LBB144_43
.LBB144_44:
	s_or_b64 exec, exec, s[0:1]
	v_mov_b32_e32 v13, 0
	v_and_b32_e32 v22, 3, v0
	v_mov_b32_e32 v12, v13
	s_waitcnt lgkmcnt(0)
	s_barrier
	s_and_saveexec_b64 s[2:3], s[6:7]
	s_cbranch_execz .LBB144_150
; %bb.45:
	s_ashr_i32 s15, s14, 31
	s_sub_i32 s17, s12, s17
	s_lshl_b64 s[0:1], s[14:15], 1
	s_add_u32 s0, s28, s0
	s_addc_u32 s1, s29, s1
	s_abs_i32 s14, s18
	v_cvt_f32_u32_e32 v2, s14
	v_lshlrev_b32_e32 v3, 4, v0
	s_sub_i32 s6, 0, s14
	v_mov_b32_e32 v11, 0
	v_rcp_iflag_f32_e32 v2, v2
	v_and_b32_e32 v10, 0x3f0, v3
	s_add_i32 s18, s16, -1
	v_lshl_add_u64 v[14:15], s[0:1], 0, v[10:11]
	v_mul_f32_e32 v2, 0x4f7ffffe, v2
	v_cvt_u32_f32_e32 v2, v2
	s_lshl_b64 s[0:1], s[26:27], 2
	s_add_u32 s0, s24, s0
	v_and_b32_e32 v10, 60, v7
	v_mul_lo_u32 v3, s6, v2
	v_mul_hi_u32 v3, v2, v3
	v_add_u32_e32 v24, v2, v3
	v_lshlrev_b32_e32 v2, 5, v22
	s_addc_u32 s1, s25, s1
	v_lshl_or_b32 v2, v1, 7, v2
	v_and_b32_e32 v23, 24, v6
	s_mov_b32 s15, s13
	v_lshl_add_u64 v[16:17], s[0:1], 0, v[10:11]
	v_add_u32_e32 v10, 0x50, v2
	s_mov_b64 s[6:7], 0
	s_mov_b32 s24, 0x7f800000
	s_movk_i32 s25, 0x7fff
	v_mov_b32_e32 v12, 0
	v_mov_b32_e32 v13, v11
	s_branch .LBB144_48
.LBB144_46:                             ;   in Loop: Header=BB144_48 Depth=1
	s_or_b64 exec, exec, s[0:1]
	v_and_b32_e32 v32, 0xffff0000, v28
	v_and_b32_e32 v28, 0xffff0000, v27
	;; [unrolled: 1-line block ×6, first 2 shown]
	v_pk_add_f32 v[8:9], v[8:9], v[26:27]
	v_and_b32_e32 v33, 0xffff0000, v38
	v_and_b32_e32 v29, 0xffff0000, v29
	v_mov_b32_e32 v26, v9
	v_pk_add_f32 v[8:9], v[8:9], v[26:27]
	v_pk_add_f32 v[26:27], v[28:29], v[32:33]
	v_and_b32_e32 v29, 0xffff0000, v30
	v_and_b32_e32 v28, 0xffff0000, v7
	;; [unrolled: 1-line block ×4, first 2 shown]
	v_pk_add_f32 v[8:9], v[8:9], v[26:27]
	v_mov_b32_e32 v26, v27
	v_pk_add_f32 v[2:3], v[2:3], v[28:29]
	v_pk_add_f32 v[8:9], v[8:9], v[26:27]
	v_and_b32_e32 v27, 0xffff0000, v6
	v_and_b32_e32 v26, 0xffff0000, v31
	;; [unrolled: 1-line block ×4, first 2 shown]
	v_mov_b32_e32 v6, v3
	v_pk_add_f32 v[2:3], v[2:3], v[6:7]
	v_pk_add_f32 v[4:5], v[4:5], v[26:27]
	;; [unrolled: 1-line block ×4, first 2 shown]
	v_mov_b32_e32 v4, v5
	v_pk_add_f32 v[2:3], v[2:3], v[4:5]
	s_nop 0
	v_mov_b32_e32 v3, v2
	v_pk_add_f32 v[2:3], v[12:13], v[2:3]
	s_nop 0
	v_mov_b32_e32 v9, v3
	v_mov_b64_e32 v[12:13], v[8:9]
.LBB144_47:                             ;   in Loop: Header=BB144_48 Depth=1
	s_or_b64 exec, exec, s[8:9]
	v_add_u32_e32 v1, 2, v1
	v_cmp_le_i32_e32 vcc, s16, v1
	v_lshl_add_u64 v[16:17], v[16:17], 0, 8
	v_add_u32_e32 v18, 64, v18
	s_or_b64 s[6:7], vcc, s[6:7]
	v_add_u32_e32 v10, 0x100, v10
	s_andn2_b64 exec, exec, s[6:7]
	s_cbranch_execz .LBB144_149
.LBB144_48:                             ; =>This Inner Loop Header: Depth=1
	v_mul_hi_u32 v2, v18, s40
	v_mul_lo_u32 v3, v2, s21
	v_sub_u32_e32 v3, v18, v3
	v_add_u32_e32 v4, 1, v2
	v_cmp_le_u32_e32 vcc, s21, v3
	s_nop 1
	v_cndmask_b32_e32 v2, v2, v4, vcc
	v_subrev_u32_e32 v4, s21, v3
	v_cndmask_b32_e32 v3, v3, v4, vcc
	v_add_u32_e32 v4, 1, v2
	v_cmp_le_u32_e32 vcc, s21, v3
	s_nop 1
	v_cndmask_b32_e32 v2, v2, v4, vcc
	v_xor_b32_e32 v2, s19, v2
	v_subrev_u32_e32 v2, s19, v2
	v_add_u32_e32 v3, s41, v2
	v_sub_u32_e32 v5, 0, v3
	v_ashrrev_i32_e32 v4, 31, v3
	v_max_i32_e32 v3, v3, v5
	v_mul_hi_u32 v5, v3, v24
	v_mul_lo_u32 v5, v5, s14
	v_sub_u32_e32 v3, v3, v5
	v_subrev_u32_e32 v5, s14, v3
	v_cmp_le_u32_e32 vcc, s14, v3
	v_cmp_lt_i32_e64 s[0:1], s17, v2
	s_nop 0
	v_cndmask_b32_e32 v3, v3, v5, vcc
	v_subrev_u32_e32 v5, s14, v3
	v_cmp_le_u32_e32 vcc, s14, v3
	s_nop 1
	v_cndmask_b32_e32 v3, v3, v5, vcc
	v_xor_b32_e32 v3, v3, v4
	v_sub_u32_e32 v3, v3, v4
	v_cmp_eq_u32_e32 vcc, 0, v3
	s_or_b64 s[0:1], vcc, s[0:1]
	s_and_saveexec_b64 s[8:9], s[0:1]
	s_cbranch_execz .LBB144_47
; %bb.49:                               ;   in Loop: Header=BB144_48 Depth=1
	global_load_dword v30, v[16:17], off
	ds_read2_b64 v[6:9], v10 offset1:1
	ds_read2_b64 v[2:5], v10 offset0:2 offset1:3
                                        ; implicit-def: $vgpr39
	s_waitcnt lgkmcnt(1)
	v_and_b32_e32 v25, 0x7f800000, v6
	v_cmp_ne_u32_e32 vcc, s24, v25
	s_and_saveexec_b64 s[0:1], vcc
	s_xor_b64 s[0:1], exec, s[0:1]
; %bb.50:                               ;   in Loop: Header=BB144_48 Depth=1
	v_bfe_u32 v25, v6, 16, 1
	v_add3_u32 v39, v6, v25, s25
; %bb.51:                               ;   in Loop: Header=BB144_48 Depth=1
	s_andn2_saveexec_b64 s[0:1], s[0:1]
; %bb.52:                               ;   in Loop: Header=BB144_48 Depth=1
	v_or_b32_e32 v25, 0x10000, v6
	v_cmp_eq_u32_sdwa vcc, v6, v11 src0_sel:WORD_0 src1_sel:DWORD
	s_nop 1
	v_cndmask_b32_e32 v39, v25, v6, vcc
; %bb.53:                               ;   in Loop: Header=BB144_48 Depth=1
	s_or_b64 exec, exec, s[0:1]
	v_and_b32_e32 v6, 0x7f800000, v7
	v_cmp_ne_u32_e32 vcc, s24, v6
                                        ; implicit-def: $vgpr40
	s_and_saveexec_b64 s[0:1], vcc
	s_xor_b64 s[0:1], exec, s[0:1]
; %bb.54:                               ;   in Loop: Header=BB144_48 Depth=1
	v_bfe_u32 v6, v7, 16, 1
	v_add3_u32 v40, v7, v6, s25
; %bb.55:                               ;   in Loop: Header=BB144_48 Depth=1
	s_andn2_saveexec_b64 s[0:1], s[0:1]
; %bb.56:                               ;   in Loop: Header=BB144_48 Depth=1
	v_or_b32_e32 v6, 0x10000, v7
	v_cmp_eq_u32_sdwa vcc, v7, v11 src0_sel:WORD_0 src1_sel:DWORD
	s_nop 1
	v_cndmask_b32_e32 v40, v6, v7, vcc
; %bb.57:                               ;   in Loop: Header=BB144_48 Depth=1
	s_or_b64 exec, exec, s[0:1]
	v_and_b32_e32 v6, 0x7f800000, v8
	v_cmp_ne_u32_e32 vcc, s24, v6
                                        ; implicit-def: $vgpr25
	s_and_saveexec_b64 s[0:1], vcc
	s_xor_b64 s[0:1], exec, s[0:1]
; %bb.58:                               ;   in Loop: Header=BB144_48 Depth=1
	v_bfe_u32 v6, v8, 16, 1
	v_add3_u32 v25, v8, v6, s25
; %bb.59:                               ;   in Loop: Header=BB144_48 Depth=1
	s_andn2_saveexec_b64 s[0:1], s[0:1]
; %bb.60:                               ;   in Loop: Header=BB144_48 Depth=1
	v_or_b32_e32 v6, 0x10000, v8
	v_cmp_eq_u32_sdwa vcc, v8, v11 src0_sel:WORD_0 src1_sel:DWORD
	s_nop 1
	v_cndmask_b32_e32 v25, v6, v8, vcc
; %bb.61:                               ;   in Loop: Header=BB144_48 Depth=1
	s_or_b64 exec, exec, s[0:1]
	v_and_b32_e32 v6, 0x7f800000, v9
	v_cmp_ne_u32_e32 vcc, s24, v6
                                        ; implicit-def: $vgpr26
	s_and_saveexec_b64 s[0:1], vcc
	s_xor_b64 s[0:1], exec, s[0:1]
; %bb.62:                               ;   in Loop: Header=BB144_48 Depth=1
	v_bfe_u32 v6, v9, 16, 1
	v_add3_u32 v26, v9, v6, s25
                                        ; implicit-def: $vgpr6_vgpr7_vgpr8_vgpr9
; %bb.63:                               ;   in Loop: Header=BB144_48 Depth=1
	s_andn2_saveexec_b64 s[0:1], s[0:1]
; %bb.64:                               ;   in Loop: Header=BB144_48 Depth=1
	v_or_b32_e32 v6, 0x10000, v9
	v_cmp_eq_u32_sdwa vcc, v9, v11 src0_sel:WORD_0 src1_sel:DWORD
	s_nop 1
	v_cndmask_b32_e32 v26, v6, v9, vcc
; %bb.65:                               ;   in Loop: Header=BB144_48 Depth=1
	s_or_b64 exec, exec, s[0:1]
	s_waitcnt lgkmcnt(0)
	v_and_b32_e32 v6, 0x7f800000, v2
	v_cmp_ne_u32_e32 vcc, s24, v6
                                        ; implicit-def: $vgpr27
	s_and_saveexec_b64 s[0:1], vcc
	s_xor_b64 s[0:1], exec, s[0:1]
; %bb.66:                               ;   in Loop: Header=BB144_48 Depth=1
	v_bfe_u32 v6, v2, 16, 1
	v_add3_u32 v27, v2, v6, s25
; %bb.67:                               ;   in Loop: Header=BB144_48 Depth=1
	s_andn2_saveexec_b64 s[0:1], s[0:1]
; %bb.68:                               ;   in Loop: Header=BB144_48 Depth=1
	v_or_b32_e32 v6, 0x10000, v2
	v_cmp_eq_u32_sdwa vcc, v2, v11 src0_sel:WORD_0 src1_sel:DWORD
	s_nop 1
	v_cndmask_b32_e32 v27, v6, v2, vcc
; %bb.69:                               ;   in Loop: Header=BB144_48 Depth=1
	s_or_b64 exec, exec, s[0:1]
	v_and_b32_e32 v2, 0x7f800000, v3
	v_cmp_ne_u32_e32 vcc, s24, v2
                                        ; implicit-def: $vgpr28
	s_and_saveexec_b64 s[0:1], vcc
	s_xor_b64 s[0:1], exec, s[0:1]
; %bb.70:                               ;   in Loop: Header=BB144_48 Depth=1
	v_bfe_u32 v2, v3, 16, 1
	v_add3_u32 v28, v3, v2, s25
; %bb.71:                               ;   in Loop: Header=BB144_48 Depth=1
	s_andn2_saveexec_b64 s[0:1], s[0:1]
; %bb.72:                               ;   in Loop: Header=BB144_48 Depth=1
	v_or_b32_e32 v2, 0x10000, v3
	v_cmp_eq_u32_sdwa vcc, v3, v11 src0_sel:WORD_0 src1_sel:DWORD
	s_nop 1
	v_cndmask_b32_e32 v28, v2, v3, vcc
; %bb.73:                               ;   in Loop: Header=BB144_48 Depth=1
	s_or_b64 exec, exec, s[0:1]
	v_and_b32_e32 v2, 0x7f800000, v4
	v_cmp_ne_u32_e32 vcc, s24, v2
                                        ; implicit-def: $vgpr29
	s_and_saveexec_b64 s[0:1], vcc
	s_xor_b64 s[0:1], exec, s[0:1]
; %bb.74:                               ;   in Loop: Header=BB144_48 Depth=1
	v_bfe_u32 v2, v4, 16, 1
	v_add3_u32 v29, v4, v2, s25
; %bb.75:                               ;   in Loop: Header=BB144_48 Depth=1
	s_andn2_saveexec_b64 s[0:1], s[0:1]
; %bb.76:                               ;   in Loop: Header=BB144_48 Depth=1
	v_or_b32_e32 v2, 0x10000, v4
	v_cmp_eq_u32_sdwa vcc, v4, v11 src0_sel:WORD_0 src1_sel:DWORD
	s_nop 1
	v_cndmask_b32_e32 v29, v2, v4, vcc
; %bb.77:                               ;   in Loop: Header=BB144_48 Depth=1
	s_or_b64 exec, exec, s[0:1]
	v_and_b32_e32 v2, 0x7f800000, v5
	v_cmp_ne_u32_e32 vcc, s24, v2
                                        ; implicit-def: $vgpr38
	s_and_saveexec_b64 s[0:1], vcc
	s_xor_b64 s[0:1], exec, s[0:1]
; %bb.78:                               ;   in Loop: Header=BB144_48 Depth=1
	v_bfe_u32 v2, v5, 16, 1
	v_add3_u32 v38, v5, v2, s25
                                        ; implicit-def: $vgpr2_vgpr3_vgpr4_vgpr5
; %bb.79:                               ;   in Loop: Header=BB144_48 Depth=1
	s_andn2_saveexec_b64 s[0:1], s[0:1]
; %bb.80:                               ;   in Loop: Header=BB144_48 Depth=1
	v_or_b32_e32 v2, 0x10000, v5
	v_cmp_eq_u32_sdwa vcc, v5, v11 src0_sel:WORD_0 src1_sel:DWORD
	s_nop 1
	v_cndmask_b32_e32 v38, v2, v5, vcc
; %bb.81:                               ;   in Loop: Header=BB144_48 Depth=1
	s_or_b64 exec, exec, s[0:1]
	s_waitcnt vmcnt(0)
	v_mad_i64_i32 v[2:3], s[0:1], v30, s15, 0
	v_lshl_add_u64 v[6:7], v[2:3], 1, v[14:15]
	global_load_dwordx4 v[2:5], v[6:7], off
	v_add_u32_e32 v30, v23, v18
	v_cmp_eq_u32_e32 vcc, s18, v1
	v_add_u32_e32 v37, 1, v30
	v_add_u32_e32 v36, 2, v30
	;; [unrolled: 1-line block ×7, first 2 shown]
	s_waitcnt vmcnt(0)
	v_lshrrev_b32_e32 v9, 16, v2
	v_lshrrev_b32_e32 v43, 16, v3
	;; [unrolled: 1-line block ×4, first 2 shown]
	s_and_saveexec_b64 s[12:13], vcc
	s_cbranch_execz .LBB144_83
; %bb.82:                               ;   in Loop: Header=BB144_48 Depth=1
	v_cmp_gt_i32_e64 s[0:1], s33, v30
	s_nop 1
	v_cndmask_b32_e64 v2, 0, v2, s[0:1]
	v_cmp_gt_i32_e64 s[0:1], s33, v37
	s_nop 1
	v_cndmask_b32_e64 v9, 0, v9, s[0:1]
	;; [unrolled: 3-line block ×8, first 2 shown]
.LBB144_83:                             ;   in Loop: Header=BB144_48 Depth=1
	s_or_b64 exec, exec, s[12:13]
	v_and_b32_e32 v39, 0xffff0000, v39
	v_lshlrev_b32_e32 v2, 16, v2
	v_mul_f32_e32 v2, v39, v2
	v_and_b32_e32 v8, 0x7f800000, v2
	v_cmp_ne_u32_e64 s[0:1], s24, v8
                                        ; implicit-def: $vgpr8
	s_and_saveexec_b64 s[12:13], s[0:1]
	s_xor_b64 s[0:1], exec, s[12:13]
; %bb.84:                               ;   in Loop: Header=BB144_48 Depth=1
	v_bfe_u32 v8, v2, 16, 1
	v_add3_u32 v8, v2, v8, s25
                                        ; implicit-def: $vgpr2
; %bb.85:                               ;   in Loop: Header=BB144_48 Depth=1
	s_andn2_saveexec_b64 s[12:13], s[0:1]
; %bb.86:                               ;   in Loop: Header=BB144_48 Depth=1
	v_or_b32_e32 v8, 0x10000, v2
	v_cmp_eq_u32_sdwa s[0:1], v2, v11 src0_sel:WORD_0 src1_sel:DWORD
	s_nop 1
	v_cndmask_b32_e64 v8, v8, v2, s[0:1]
; %bb.87:                               ;   in Loop: Header=BB144_48 Depth=1
	s_or_b64 exec, exec, s[12:13]
	v_and_b32_e32 v40, 0xffff0000, v40
	v_lshlrev_b32_e32 v2, 16, v9
	v_mul_f32_e32 v2, v40, v2
	v_and_b32_e32 v9, 0x7f800000, v2
	v_cmp_ne_u32_e64 s[0:1], s24, v9
                                        ; implicit-def: $vgpr9
	s_and_saveexec_b64 s[12:13], s[0:1]
	s_xor_b64 s[0:1], exec, s[12:13]
; %bb.88:                               ;   in Loop: Header=BB144_48 Depth=1
	v_bfe_u32 v9, v2, 16, 1
	v_add3_u32 v9, v2, v9, s25
                                        ; implicit-def: $vgpr2
; %bb.89:                               ;   in Loop: Header=BB144_48 Depth=1
	s_andn2_saveexec_b64 s[12:13], s[0:1]
; %bb.90:                               ;   in Loop: Header=BB144_48 Depth=1
	v_or_b32_e32 v9, 0x10000, v2
	v_cmp_eq_u32_sdwa s[0:1], v2, v11 src0_sel:WORD_0 src1_sel:DWORD
	s_nop 1
	v_cndmask_b32_e64 v9, v9, v2, s[0:1]
; %bb.91:                               ;   in Loop: Header=BB144_48 Depth=1
	s_or_b64 exec, exec, s[12:13]
	v_and_b32_e32 v41, 0xffff0000, v25
	v_lshlrev_b32_e32 v2, 16, v3
	v_mul_f32_e32 v2, v41, v2
	v_and_b32_e32 v3, 0x7f800000, v2
	v_cmp_ne_u32_e64 s[0:1], s24, v3
                                        ; implicit-def: $vgpr25
	s_and_saveexec_b64 s[12:13], s[0:1]
	s_xor_b64 s[0:1], exec, s[12:13]
; %bb.92:                               ;   in Loop: Header=BB144_48 Depth=1
	v_bfe_u32 v3, v2, 16, 1
	v_add3_u32 v25, v2, v3, s25
                                        ; implicit-def: $vgpr2
; %bb.93:                               ;   in Loop: Header=BB144_48 Depth=1
	s_andn2_saveexec_b64 s[12:13], s[0:1]
; %bb.94:                               ;   in Loop: Header=BB144_48 Depth=1
	v_or_b32_e32 v3, 0x10000, v2
	v_cmp_eq_u32_sdwa s[0:1], v2, v11 src0_sel:WORD_0 src1_sel:DWORD
	s_nop 1
	v_cndmask_b32_e64 v25, v3, v2, s[0:1]
; %bb.95:                               ;   in Loop: Header=BB144_48 Depth=1
	s_or_b64 exec, exec, s[12:13]
	v_and_b32_e32 v42, 0xffff0000, v26
	v_lshlrev_b32_e32 v2, 16, v43
	v_mul_f32_e32 v2, v42, v2
	v_and_b32_e32 v3, 0x7f800000, v2
	v_cmp_ne_u32_e64 s[0:1], s24, v3
                                        ; implicit-def: $vgpr26
	s_and_saveexec_b64 s[12:13], s[0:1]
	s_xor_b64 s[0:1], exec, s[12:13]
; %bb.96:                               ;   in Loop: Header=BB144_48 Depth=1
	v_bfe_u32 v3, v2, 16, 1
	v_add3_u32 v26, v2, v3, s25
                                        ; implicit-def: $vgpr2
; %bb.97:                               ;   in Loop: Header=BB144_48 Depth=1
	s_andn2_saveexec_b64 s[12:13], s[0:1]
; %bb.98:                               ;   in Loop: Header=BB144_48 Depth=1
	v_or_b32_e32 v3, 0x10000, v2
	v_cmp_eq_u32_sdwa s[0:1], v2, v11 src0_sel:WORD_0 src1_sel:DWORD
	s_nop 1
	v_cndmask_b32_e64 v26, v3, v2, s[0:1]
; %bb.99:                               ;   in Loop: Header=BB144_48 Depth=1
	s_or_b64 exec, exec, s[12:13]
	v_and_b32_e32 v43, 0xffff0000, v27
	v_lshlrev_b32_e32 v2, 16, v4
	v_mul_f32_e32 v2, v43, v2
	v_and_b32_e32 v3, 0x7f800000, v2
	v_cmp_ne_u32_e64 s[0:1], s24, v3
                                        ; implicit-def: $vgpr27
	s_and_saveexec_b64 s[12:13], s[0:1]
	s_xor_b64 s[0:1], exec, s[12:13]
; %bb.100:                              ;   in Loop: Header=BB144_48 Depth=1
	v_bfe_u32 v3, v2, 16, 1
	v_add3_u32 v27, v2, v3, s25
                                        ; implicit-def: $vgpr2
; %bb.101:                              ;   in Loop: Header=BB144_48 Depth=1
	s_andn2_saveexec_b64 s[12:13], s[0:1]
; %bb.102:                              ;   in Loop: Header=BB144_48 Depth=1
	v_or_b32_e32 v3, 0x10000, v2
	v_cmp_eq_u32_sdwa s[0:1], v2, v11 src0_sel:WORD_0 src1_sel:DWORD
	s_nop 1
	v_cndmask_b32_e64 v27, v3, v2, s[0:1]
; %bb.103:                              ;   in Loop: Header=BB144_48 Depth=1
	s_or_b64 exec, exec, s[12:13]
	v_and_b32_e32 v44, 0xffff0000, v28
	v_lshlrev_b32_e32 v2, 16, v45
	v_mul_f32_e32 v2, v44, v2
	v_and_b32_e32 v3, 0x7f800000, v2
	v_cmp_ne_u32_e64 s[0:1], s24, v3
                                        ; implicit-def: $vgpr28
	s_and_saveexec_b64 s[12:13], s[0:1]
	s_xor_b64 s[0:1], exec, s[12:13]
; %bb.104:                              ;   in Loop: Header=BB144_48 Depth=1
	v_bfe_u32 v3, v2, 16, 1
	v_add3_u32 v28, v2, v3, s25
                                        ; implicit-def: $vgpr2
; %bb.105:                              ;   in Loop: Header=BB144_48 Depth=1
	s_andn2_saveexec_b64 s[12:13], s[0:1]
; %bb.106:                              ;   in Loop: Header=BB144_48 Depth=1
	v_or_b32_e32 v3, 0x10000, v2
	v_cmp_eq_u32_sdwa s[0:1], v2, v11 src0_sel:WORD_0 src1_sel:DWORD
	s_nop 1
	v_cndmask_b32_e64 v28, v3, v2, s[0:1]
; %bb.107:                              ;   in Loop: Header=BB144_48 Depth=1
	s_or_b64 exec, exec, s[12:13]
	v_and_b32_e32 v45, 0xffff0000, v29
	v_lshlrev_b32_e32 v2, 16, v5
	v_mul_f32_e32 v2, v45, v2
	v_and_b32_e32 v3, 0x7f800000, v2
	v_cmp_ne_u32_e64 s[0:1], s24, v3
                                        ; implicit-def: $vgpr29
	s_and_saveexec_b64 s[12:13], s[0:1]
	s_xor_b64 s[0:1], exec, s[12:13]
; %bb.108:                              ;   in Loop: Header=BB144_48 Depth=1
	v_bfe_u32 v3, v2, 16, 1
	v_add3_u32 v29, v2, v3, s25
                                        ; implicit-def: $vgpr2
; %bb.109:                              ;   in Loop: Header=BB144_48 Depth=1
	s_andn2_saveexec_b64 s[12:13], s[0:1]
; %bb.110:                              ;   in Loop: Header=BB144_48 Depth=1
	v_or_b32_e32 v3, 0x10000, v2
	v_cmp_eq_u32_sdwa s[0:1], v2, v11 src0_sel:WORD_0 src1_sel:DWORD
	s_nop 1
	v_cndmask_b32_e64 v29, v3, v2, s[0:1]
; %bb.111:                              ;   in Loop: Header=BB144_48 Depth=1
	s_or_b64 exec, exec, s[12:13]
	v_and_b32_e32 v46, 0xffff0000, v38
	v_lshlrev_b32_e32 v2, 16, v47
	v_mul_f32_e32 v2, v46, v2
	v_and_b32_e32 v3, 0x7f800000, v2
	v_cmp_ne_u32_e64 s[0:1], s24, v3
                                        ; implicit-def: $vgpr38
	s_and_saveexec_b64 s[12:13], s[0:1]
	s_xor_b64 s[0:1], exec, s[12:13]
; %bb.112:                              ;   in Loop: Header=BB144_48 Depth=1
	v_bfe_u32 v3, v2, 16, 1
	v_add3_u32 v38, v2, v3, s25
                                        ; implicit-def: $vgpr2
; %bb.113:                              ;   in Loop: Header=BB144_48 Depth=1
	s_andn2_saveexec_b64 s[12:13], s[0:1]
; %bb.114:                              ;   in Loop: Header=BB144_48 Depth=1
	v_or_b32_e32 v3, 0x10000, v2
	v_cmp_eq_u32_sdwa s[0:1], v2, v11 src0_sel:WORD_0 src1_sel:DWORD
	s_nop 1
	v_cndmask_b32_e64 v38, v3, v2, s[0:1]
; %bb.115:                              ;   in Loop: Header=BB144_48 Depth=1
	s_or_b64 exec, exec, s[12:13]
	global_load_dwordx4 v[2:5], v[6:7], off offset:1024
	s_waitcnt vmcnt(0)
	v_lshrrev_b32_e32 v7, 16, v2
	v_lshrrev_b32_e32 v48, 16, v3
	;; [unrolled: 1-line block ×4, first 2 shown]
	s_and_saveexec_b64 s[0:1], vcc
	s_cbranch_execz .LBB144_117
; %bb.116:                              ;   in Loop: Header=BB144_48 Depth=1
	v_cmp_gt_i32_e32 vcc, s33, v30
	s_nop 1
	v_cndmask_b32_e32 v2, 0, v2, vcc
	v_cmp_gt_i32_e32 vcc, s33, v37
	s_nop 1
	v_cndmask_b32_e32 v7, 0, v7, vcc
	;; [unrolled: 3-line block ×8, first 2 shown]
.LBB144_117:                            ;   in Loop: Header=BB144_48 Depth=1
	s_or_b64 exec, exec, s[0:1]
	v_lshlrev_b32_e32 v2, 16, v2
	v_mul_f32_e32 v30, v39, v2
	v_and_b32_e32 v2, 0x7f800000, v30
	v_cmp_ne_u32_e32 vcc, s24, v2
                                        ; implicit-def: $vgpr2
	s_and_saveexec_b64 s[0:1], vcc
	s_xor_b64 s[0:1], exec, s[0:1]
; %bb.118:                              ;   in Loop: Header=BB144_48 Depth=1
	v_bfe_u32 v2, v30, 16, 1
	v_add3_u32 v2, v30, v2, s25
                                        ; implicit-def: $vgpr30
; %bb.119:                              ;   in Loop: Header=BB144_48 Depth=1
	s_andn2_saveexec_b64 s[0:1], s[0:1]
; %bb.120:                              ;   in Loop: Header=BB144_48 Depth=1
	v_or_b32_e32 v2, 0x10000, v30
	v_cmp_eq_u32_sdwa vcc, v30, v11 src0_sel:WORD_0 src1_sel:DWORD
	s_nop 1
	v_cndmask_b32_e32 v2, v2, v30, vcc
; %bb.121:                              ;   in Loop: Header=BB144_48 Depth=1
	s_or_b64 exec, exec, s[0:1]
	v_lshlrev_b32_e32 v7, 16, v7
	v_mul_f32_e32 v30, v40, v7
	v_and_b32_e32 v7, 0x7f800000, v30
	v_cmp_ne_u32_e32 vcc, s24, v7
                                        ; implicit-def: $vgpr7
	s_and_saveexec_b64 s[0:1], vcc
	s_xor_b64 s[0:1], exec, s[0:1]
; %bb.122:                              ;   in Loop: Header=BB144_48 Depth=1
	v_bfe_u32 v7, v30, 16, 1
	v_add3_u32 v7, v30, v7, s25
                                        ; implicit-def: $vgpr30
; %bb.123:                              ;   in Loop: Header=BB144_48 Depth=1
	s_andn2_saveexec_b64 s[0:1], s[0:1]
; %bb.124:                              ;   in Loop: Header=BB144_48 Depth=1
	v_or_b32_e32 v7, 0x10000, v30
	v_cmp_eq_u32_sdwa vcc, v30, v11 src0_sel:WORD_0 src1_sel:DWORD
	s_nop 1
	v_cndmask_b32_e32 v7, v7, v30, vcc
; %bb.125:                              ;   in Loop: Header=BB144_48 Depth=1
	s_or_b64 exec, exec, s[0:1]
	v_lshlrev_b32_e32 v3, 16, v3
	v_mul_f32_e32 v30, v41, v3
	v_and_b32_e32 v3, 0x7f800000, v30
	v_cmp_ne_u32_e32 vcc, s24, v3
                                        ; implicit-def: $vgpr3
	s_and_saveexec_b64 s[0:1], vcc
	s_xor_b64 s[0:1], exec, s[0:1]
; %bb.126:                              ;   in Loop: Header=BB144_48 Depth=1
	v_bfe_u32 v3, v30, 16, 1
	v_add3_u32 v3, v30, v3, s25
                                        ; implicit-def: $vgpr30
; %bb.127:                              ;   in Loop: Header=BB144_48 Depth=1
	s_andn2_saveexec_b64 s[0:1], s[0:1]
; %bb.128:                              ;   in Loop: Header=BB144_48 Depth=1
	v_or_b32_e32 v3, 0x10000, v30
	v_cmp_eq_u32_sdwa vcc, v30, v11 src0_sel:WORD_0 src1_sel:DWORD
	s_nop 1
	v_cndmask_b32_e32 v3, v3, v30, vcc
; %bb.129:                              ;   in Loop: Header=BB144_48 Depth=1
	s_or_b64 exec, exec, s[0:1]
	v_lshlrev_b32_e32 v30, 16, v48
	v_mul_f32_e32 v31, v42, v30
	v_and_b32_e32 v30, 0x7f800000, v31
	v_cmp_ne_u32_e32 vcc, s24, v30
                                        ; implicit-def: $vgpr30
	s_and_saveexec_b64 s[0:1], vcc
	s_xor_b64 s[0:1], exec, s[0:1]
; %bb.130:                              ;   in Loop: Header=BB144_48 Depth=1
	v_bfe_u32 v30, v31, 16, 1
	v_add3_u32 v30, v31, v30, s25
                                        ; implicit-def: $vgpr31
; %bb.131:                              ;   in Loop: Header=BB144_48 Depth=1
	s_andn2_saveexec_b64 s[0:1], s[0:1]
; %bb.132:                              ;   in Loop: Header=BB144_48 Depth=1
	v_or_b32_e32 v30, 0x10000, v31
	v_cmp_eq_u32_sdwa vcc, v31, v11 src0_sel:WORD_0 src1_sel:DWORD
	s_nop 1
	v_cndmask_b32_e32 v30, v30, v31, vcc
; %bb.133:                              ;   in Loop: Header=BB144_48 Depth=1
	s_or_b64 exec, exec, s[0:1]
	v_lshlrev_b32_e32 v4, 16, v4
	v_mul_f32_e32 v31, v43, v4
	v_and_b32_e32 v4, 0x7f800000, v31
	v_cmp_ne_u32_e32 vcc, s24, v4
                                        ; implicit-def: $vgpr4
	s_and_saveexec_b64 s[0:1], vcc
	s_xor_b64 s[0:1], exec, s[0:1]
; %bb.134:                              ;   in Loop: Header=BB144_48 Depth=1
	v_bfe_u32 v4, v31, 16, 1
	v_add3_u32 v4, v31, v4, s25
                                        ; implicit-def: $vgpr31
; %bb.135:                              ;   in Loop: Header=BB144_48 Depth=1
	s_andn2_saveexec_b64 s[0:1], s[0:1]
; %bb.136:                              ;   in Loop: Header=BB144_48 Depth=1
	v_or_b32_e32 v4, 0x10000, v31
	v_cmp_eq_u32_sdwa vcc, v31, v11 src0_sel:WORD_0 src1_sel:DWORD
	s_nop 1
	v_cndmask_b32_e32 v4, v4, v31, vcc
; %bb.137:                              ;   in Loop: Header=BB144_48 Depth=1
	s_or_b64 exec, exec, s[0:1]
	v_lshlrev_b32_e32 v31, 16, v47
	v_mul_f32_e32 v32, v44, v31
	v_and_b32_e32 v31, 0x7f800000, v32
	v_cmp_ne_u32_e32 vcc, s24, v31
                                        ; implicit-def: $vgpr31
	s_and_saveexec_b64 s[0:1], vcc
	s_xor_b64 s[0:1], exec, s[0:1]
; %bb.138:                              ;   in Loop: Header=BB144_48 Depth=1
	v_bfe_u32 v31, v32, 16, 1
	v_add3_u32 v31, v32, v31, s25
                                        ; implicit-def: $vgpr32
; %bb.139:                              ;   in Loop: Header=BB144_48 Depth=1
	s_andn2_saveexec_b64 s[0:1], s[0:1]
; %bb.140:                              ;   in Loop: Header=BB144_48 Depth=1
	v_or_b32_e32 v31, 0x10000, v32
	v_cmp_eq_u32_sdwa vcc, v32, v11 src0_sel:WORD_0 src1_sel:DWORD
	s_nop 1
	v_cndmask_b32_e32 v31, v31, v32, vcc
; %bb.141:                              ;   in Loop: Header=BB144_48 Depth=1
	s_or_b64 exec, exec, s[0:1]
	v_lshlrev_b32_e32 v5, 16, v5
	v_mul_f32_e32 v32, v45, v5
	v_and_b32_e32 v5, 0x7f800000, v32
	v_cmp_ne_u32_e32 vcc, s24, v5
                                        ; implicit-def: $vgpr5
	s_and_saveexec_b64 s[0:1], vcc
	s_xor_b64 s[0:1], exec, s[0:1]
; %bb.142:                              ;   in Loop: Header=BB144_48 Depth=1
	v_bfe_u32 v5, v32, 16, 1
	v_add3_u32 v5, v32, v5, s25
                                        ; implicit-def: $vgpr32
; %bb.143:                              ;   in Loop: Header=BB144_48 Depth=1
	s_andn2_saveexec_b64 s[0:1], s[0:1]
; %bb.144:                              ;   in Loop: Header=BB144_48 Depth=1
	v_or_b32_e32 v5, 0x10000, v32
	v_cmp_eq_u32_sdwa vcc, v32, v11 src0_sel:WORD_0 src1_sel:DWORD
	s_nop 1
	v_cndmask_b32_e32 v5, v5, v32, vcc
; %bb.145:                              ;   in Loop: Header=BB144_48 Depth=1
	s_or_b64 exec, exec, s[0:1]
	v_lshlrev_b32_e32 v6, 16, v6
	v_mul_f32_e32 v32, v46, v6
	v_and_b32_e32 v6, 0x7f800000, v32
	v_cmp_ne_u32_e32 vcc, s24, v6
                                        ; implicit-def: $vgpr6
	s_and_saveexec_b64 s[0:1], vcc
	s_xor_b64 s[0:1], exec, s[0:1]
; %bb.146:                              ;   in Loop: Header=BB144_48 Depth=1
	v_bfe_u32 v6, v32, 16, 1
	v_add3_u32 v6, v32, v6, s25
                                        ; implicit-def: $vgpr32
; %bb.147:                              ;   in Loop: Header=BB144_48 Depth=1
	s_andn2_saveexec_b64 s[0:1], s[0:1]
	s_cbranch_execz .LBB144_46
; %bb.148:                              ;   in Loop: Header=BB144_48 Depth=1
	v_or_b32_e32 v6, 0x10000, v32
	v_cmp_eq_u32_sdwa vcc, v32, v11 src0_sel:WORD_0 src1_sel:DWORD
	s_nop 1
	v_cndmask_b32_e32 v6, v6, v32, vcc
	s_branch .LBB144_46
.LBB144_149:
	s_or_b64 exec, exec, s[6:7]
.LBB144_150:
	s_or_b64 exec, exec, s[2:3]
	ds_bpermute_b32 v2, v20, v12
	ds_bpermute_b32 v3, v20, v13
	v_and_b32_e32 v1, 0x3c3, v0
	v_cmp_eq_u32_e32 vcc, 64, v1
	s_waitcnt lgkmcnt(0)
	s_barrier
	v_pk_add_f32 v[2:3], v[12:13], v[2:3]
	ds_bpermute_b32 v4, v21, v2
	ds_bpermute_b32 v5, v21, v3
	s_waitcnt lgkmcnt(0)
	v_pk_add_f32 v[2:3], v[2:3], v[4:5]
	s_and_saveexec_b64 s[0:1], vcc
	s_cbranch_execz .LBB144_152
; %bb.151:
	v_add_u32_e32 v4, 0x50, v19
	v_add_u32_e32 v1, 0x50, v0
	ds_write_b32 v4, v2
	ds_write_b32 v1, v3
.LBB144_152:
	s_or_b64 exec, exec, s[0:1]
	v_cmp_gt_u32_e32 vcc, 64, v0
	s_waitcnt lgkmcnt(0)
	s_barrier
	s_and_saveexec_b64 s[2:3], vcc
	s_cbranch_execz .LBB144_158
; %bb.153:
	v_cmp_eq_u32_e64 s[0:1], 0, v22
	v_lshrrev_b32_e32 v1, 2, v0
	s_and_saveexec_b64 s[6:7], s[0:1]
	s_cbranch_execz .LBB144_155
; %bb.154:
	v_mov_b32_e32 v4, 0x50
	v_lshl_add_u32 v4, v1, 2, v4
	ds_read_b32 v4, v4
	s_waitcnt lgkmcnt(0)
	v_add_f32_e32 v2, v2, v4
.LBB144_155:
	s_or_b64 exec, exec, s[6:7]
	s_and_saveexec_b64 s[6:7], s[0:1]
	s_cbranch_execz .LBB144_157
; %bb.156:
	v_mov_b32_e32 v4, 0x50
	v_lshl_add_u32 v1, v1, 2, v4
	ds_read_b32 v1, v1 offset:64
	s_waitcnt lgkmcnt(0)
	v_add_f32_e32 v3, v3, v1
.LBB144_157:
	s_or_b64 exec, exec, s[6:7]
.LBB144_158:
	s_or_b64 exec, exec, s[2:3]
	s_barrier
	s_and_saveexec_b64 s[0:1], vcc
	s_cbranch_execz .LBB144_169
; %bb.159:
	v_cmp_eq_u32_e32 vcc, 0, v22
	s_and_b64 exec, exec, vcc
	s_cbranch_execz .LBB144_169
; %bb.160:
	s_mov_b32 s0, 0x7f800000
	v_and_b32_e32 v1, 0x7f800000, v2
	v_cmp_ne_u32_e32 vcc, s0, v1
                                        ; implicit-def: $vgpr4
	s_and_saveexec_b64 s[0:1], vcc
	s_xor_b64 s[0:1], exec, s[0:1]
; %bb.161:
	v_bfe_u32 v1, v2, 16, 1
	s_movk_i32 s2, 0x7fff
	v_add3_u32 v4, v2, v1, s2
; %bb.162:
	s_andn2_saveexec_b64 s[0:1], s[0:1]
; %bb.163:
	v_mov_b32_e32 v1, 0
	v_or_b32_e32 v4, 0x10000, v2
	v_cmp_eq_u32_sdwa vcc, v2, v1 src0_sel:WORD_0 src1_sel:DWORD
	s_nop 1
	v_cndmask_b32_e32 v4, v4, v2, vcc
; %bb.164:
	s_or_b64 exec, exec, s[0:1]
	s_mul_i32 s0, s10, s11
	s_mul_i32 s0, s0, s5
	s_lshl_b32 s0, s0, 5
	s_ashr_i32 s1, s0, 31
	s_lshl_b64 s[0:1], s[0:1], 1
	s_add_u32 s2, s22, s0
	s_mul_i32 s0, s11, s20
	s_addc_u32 s3, s23, s1
	s_ashr_i32 s1, s0, 31
	s_lshl_b64 s[0:1], s[0:1], 1
	s_add_u32 s2, s2, s0
	s_addc_u32 s3, s3, s1
	s_lshl_b32 s0, s4, 5
	s_ashr_i32 s1, s0, 31
	s_lshl_b64 s[0:1], s[0:1], 1
	s_add_u32 s0, s2, s0
	v_lshrrev_b32_e32 v0, 1, v0
	s_mov_b32 s2, 0x7f800000
	v_and_b32_e32 v2, 0x7f800000, v3
	s_addc_u32 s1, s3, s1
	v_and_b32_e32 v0, 0x1fe, v0
	v_mov_b32_e32 v1, 0
	v_cmp_ne_u32_e32 vcc, s2, v2
	global_store_short_d16_hi v0, v4, s[0:1]
                                        ; implicit-def: $vgpr4
	s_and_saveexec_b64 s[2:3], vcc
	s_xor_b64 s[2:3], exec, s[2:3]
; %bb.165:
	v_bfe_u32 v2, v3, 16, 1
	s_movk_i32 s4, 0x7fff
	v_add3_u32 v4, v3, v2, s4
                                        ; implicit-def: $vgpr2_vgpr3
; %bb.166:
	s_or_saveexec_b64 s[2:3], s[2:3]
	v_lshl_add_u64 v[0:1], s[0:1], 0, v[0:1]
	s_xor_b64 exec, exec, s[2:3]
; %bb.167:
	v_mov_b32_e32 v2, 0
	v_or_b32_e32 v4, 0x10000, v3
	v_cmp_eq_u32_sdwa vcc, v3, v2 src0_sel:WORD_0 src1_sel:DWORD
	s_nop 1
	v_cndmask_b32_e32 v4, v4, v3, vcc
; %bb.168:
	s_or_b64 exec, exec, s[2:3]
	global_store_short_d16_hi v[0:1], v4, off offset:32
.LBB144_169:
	s_endpgm
	.section	.rodata,"a",@progbits
	.p2align	6, 0x0
	.amdhsa_kernel _ZN4vllm25paged_attention_v1_kernelI14__hip_bfloat16S1_Li32ELi32ELi128ELNS_18Fp8KVCacheDataTypeE0ELb1EEEvPT_PKS3_PKT0_S9_ifPKiSB_iPKfiiiSD_SD_iiiii
		.amdhsa_group_segment_fixed_size 80
		.amdhsa_private_segment_fixed_size 0
		.amdhsa_kernarg_size 384
		.amdhsa_user_sgpr_count 2
		.amdhsa_user_sgpr_dispatch_ptr 0
		.amdhsa_user_sgpr_queue_ptr 0
		.amdhsa_user_sgpr_kernarg_segment_ptr 1
		.amdhsa_user_sgpr_dispatch_id 0
		.amdhsa_user_sgpr_kernarg_preload_length 0
		.amdhsa_user_sgpr_kernarg_preload_offset 0
		.amdhsa_user_sgpr_private_segment_size 0
		.amdhsa_uses_dynamic_stack 0
		.amdhsa_enable_private_segment 0
		.amdhsa_system_sgpr_workgroup_id_x 1
		.amdhsa_system_sgpr_workgroup_id_y 1
		.amdhsa_system_sgpr_workgroup_id_z 1
		.amdhsa_system_sgpr_workgroup_info 0
		.amdhsa_system_vgpr_workitem_id 0
		.amdhsa_next_free_vgpr 55
		.amdhsa_next_free_sgpr 44
		.amdhsa_accum_offset 56
		.amdhsa_reserve_vcc 1
		.amdhsa_float_round_mode_32 0
		.amdhsa_float_round_mode_16_64 0
		.amdhsa_float_denorm_mode_32 3
		.amdhsa_float_denorm_mode_16_64 3
		.amdhsa_dx10_clamp 1
		.amdhsa_ieee_mode 1
		.amdhsa_fp16_overflow 0
		.amdhsa_tg_split 0
		.amdhsa_exception_fp_ieee_invalid_op 0
		.amdhsa_exception_fp_denorm_src 0
		.amdhsa_exception_fp_ieee_div_zero 0
		.amdhsa_exception_fp_ieee_overflow 0
		.amdhsa_exception_fp_ieee_underflow 0
		.amdhsa_exception_fp_ieee_inexact 0
		.amdhsa_exception_int_div_zero 0
	.end_amdhsa_kernel
	.section	.text._ZN4vllm25paged_attention_v1_kernelI14__hip_bfloat16S1_Li32ELi32ELi128ELNS_18Fp8KVCacheDataTypeE0ELb1EEEvPT_PKS3_PKT0_S9_ifPKiSB_iPKfiiiSD_SD_iiiii,"axG",@progbits,_ZN4vllm25paged_attention_v1_kernelI14__hip_bfloat16S1_Li32ELi32ELi128ELNS_18Fp8KVCacheDataTypeE0ELb1EEEvPT_PKS3_PKT0_S9_ifPKiSB_iPKfiiiSD_SD_iiiii,comdat
.Lfunc_end144:
	.size	_ZN4vllm25paged_attention_v1_kernelI14__hip_bfloat16S1_Li32ELi32ELi128ELNS_18Fp8KVCacheDataTypeE0ELb1EEEvPT_PKS3_PKT0_S9_ifPKiSB_iPKfiiiSD_SD_iiiii, .Lfunc_end144-_ZN4vllm25paged_attention_v1_kernelI14__hip_bfloat16S1_Li32ELi32ELi128ELNS_18Fp8KVCacheDataTypeE0ELb1EEEvPT_PKS3_PKT0_S9_ifPKiSB_iPKfiiiSD_SD_iiiii
                                        ; -- End function
	.section	.AMDGPU.csdata,"",@progbits
; Kernel info:
; codeLenInByte = 6704
; NumSgprs: 50
; NumVgprs: 55
; NumAgprs: 0
; TotalNumVgprs: 55
; ScratchSize: 0
; MemoryBound: 0
; FloatMode: 240
; IeeeMode: 1
; LDSByteSize: 80 bytes/workgroup (compile time only)
; SGPRBlocks: 6
; VGPRBlocks: 6
; NumSGPRsForWavesPerEU: 50
; NumVGPRsForWavesPerEU: 55
; AccumOffset: 56
; Occupancy: 8
; WaveLimiterHint : 1
; COMPUTE_PGM_RSRC2:SCRATCH_EN: 0
; COMPUTE_PGM_RSRC2:USER_SGPR: 2
; COMPUTE_PGM_RSRC2:TRAP_HANDLER: 0
; COMPUTE_PGM_RSRC2:TGID_X_EN: 1
; COMPUTE_PGM_RSRC2:TGID_Y_EN: 1
; COMPUTE_PGM_RSRC2:TGID_Z_EN: 1
; COMPUTE_PGM_RSRC2:TIDIG_COMP_CNT: 0
; COMPUTE_PGM_RSRC3_GFX90A:ACCUM_OFFSET: 13
; COMPUTE_PGM_RSRC3_GFX90A:TG_SPLIT: 0
	.section	.text._ZN4vllm25paged_attention_v1_kernelI14__hip_bfloat16S1_Li64ELi32ELi128ELNS_18Fp8KVCacheDataTypeE0ELb1EEEvPT_PKS3_PKT0_S9_ifPKiSB_iPKfiiiSD_SD_iiiii,"axG",@progbits,_ZN4vllm25paged_attention_v1_kernelI14__hip_bfloat16S1_Li64ELi32ELi128ELNS_18Fp8KVCacheDataTypeE0ELb1EEEvPT_PKS3_PKT0_S9_ifPKiSB_iPKfiiiSD_SD_iiiii,comdat
	.protected	_ZN4vllm25paged_attention_v1_kernelI14__hip_bfloat16S1_Li64ELi32ELi128ELNS_18Fp8KVCacheDataTypeE0ELb1EEEvPT_PKS3_PKT0_S9_ifPKiSB_iPKfiiiSD_SD_iiiii ; -- Begin function _ZN4vllm25paged_attention_v1_kernelI14__hip_bfloat16S1_Li64ELi32ELi128ELNS_18Fp8KVCacheDataTypeE0ELb1EEEvPT_PKS3_PKT0_S9_ifPKiSB_iPKfiiiSD_SD_iiiii
	.globl	_ZN4vllm25paged_attention_v1_kernelI14__hip_bfloat16S1_Li64ELi32ELi128ELNS_18Fp8KVCacheDataTypeE0ELb1EEEvPT_PKS3_PKT0_S9_ifPKiSB_iPKfiiiSD_SD_iiiii
	.p2align	8
	.type	_ZN4vllm25paged_attention_v1_kernelI14__hip_bfloat16S1_Li64ELi32ELi128ELNS_18Fp8KVCacheDataTypeE0ELb1EEEvPT_PKS3_PKT0_S9_ifPKiSB_iPKfiiiSD_SD_iiiii,@function
_ZN4vllm25paged_attention_v1_kernelI14__hip_bfloat16S1_Li64ELi32ELi128ELNS_18Fp8KVCacheDataTypeE0ELb1EEEvPT_PKS3_PKT0_S9_ifPKiSB_iPKfiiiSD_SD_iiiii: ; @_ZN4vllm25paged_attention_v1_kernelI14__hip_bfloat16S1_Li64ELi32ELi128ELNS_18Fp8KVCacheDataTypeE0ELb1EEEvPT_PKS3_PKT0_S9_ifPKiSB_iPKfiiiSD_SD_iiiii
; %bb.0:
	s_load_dword s5, s[0:1], 0x80
	s_load_dwordx2 s[6:7], s[0:1], 0x30
	s_load_dwordx2 s[30:31], s[0:1], 0x20
	s_mov_b32 s10, s3
	s_ashr_i32 s11, s3, 31
	s_lshl_b64 s[8:9], s[10:11], 2
	s_waitcnt lgkmcnt(0)
	s_add_u32 s6, s6, s8
	s_addc_u32 s7, s7, s9
	s_abs_i32 s3, s30
	v_cvt_f32_u32_e32 v1, s3
	s_sub_i32 s11, 0, s3
	s_abs_i32 s9, s5
	s_xor_b32 s8, s5, s30
	v_rcp_iflag_f32_e32 v1, v1
	s_ashr_i32 s8, s8, 31
	s_mov_b32 s42, 0
	v_mul_f32_e32 v1, 0x4f7ffffe, v1
	v_cvt_u32_f32_e32 v1, v1
	s_nop 0
	v_readfirstlane_b32 s12, v1
	s_mul_i32 s11, s11, s12
	s_mul_hi_u32 s11, s12, s11
	s_add_i32 s12, s12, s11
	s_mul_hi_u32 s11, s9, s12
	s_mul_i32 s12, s11, s3
	s_sub_i32 s9, s9, s12
	s_add_i32 s12, s11, 1
	s_sub_i32 s13, s9, s3
	s_cmp_ge_u32 s9, s3
	s_cselect_b32 s11, s12, s11
	s_cselect_b32 s9, s13, s9
	s_add_i32 s12, s11, 1
	s_cmp_ge_u32 s9, s3
	s_cselect_b32 s3, s12, s11
	s_xor_b32 s3, s3, s8
	s_sub_i32 s12, s3, s8
	s_abs_i32 s11, s12
	v_cvt_f32_u32_e32 v1, s11
	s_load_dwordx2 s[8:9], s[0:1], 0x40
	s_sub_i32 s3, 0, s11
	s_abs_i32 s22, s2
	v_rcp_iflag_f32_e32 v1, v1
	s_nop 0
	v_mul_f32_e32 v1, 0x4f7ffffe, v1
	v_cvt_u32_f32_e32 v1, v1
	s_nop 0
	v_readfirstlane_b32 s13, v1
	s_mul_i32 s3, s3, s13
	s_mul_hi_u32 s3, s13, s3
	s_add_i32 s13, s13, s3
	s_waitcnt lgkmcnt(0)
	s_cmp_eq_u64 s[8:9], 0
	s_mul_hi_u32 s23, s22, s13
	s_cbranch_scc1 .LBB145_2
; %bb.1:
	s_ashr_i32 s3, s2, 31
	s_lshl_b64 s[14:15], s[2:3], 2
	s_add_u32 s8, s8, s14
	s_addc_u32 s9, s9, s15
	s_load_dword s42, s[8:9], 0x0
.LBB145_2:
	s_load_dword s33, s[6:7], 0x0
	s_ashr_i32 s9, s12, 31
	s_load_dwordx4 s[12:15], s[0:1], 0x48
	s_ashr_i32 s3, s2, 31
	v_and_b32_e32 v4, 1, v0
	s_lshl_b32 s20, s2, 6
	v_cmp_gt_u32_e32 vcc, 16, v0
	v_lshlrev_b32_e32 v25, 3, v0
	s_and_saveexec_b64 s[6:7], vcc
	s_cbranch_execz .LBB145_4
; %bb.3:
	s_load_dwordx2 s[16:17], s[0:1], 0x8
	s_waitcnt lgkmcnt(0)
	s_mul_i32 s18, s10, s12
	s_ashr_i32 s19, s18, 31
	s_lshl_b64 s[18:19], s[18:19], 1
	v_lshlrev_b32_e32 v1, 2, v0
	s_add_u32 s8, s16, s18
	s_addc_u32 s12, s17, s19
	s_ashr_i32 s21, s20, 31
	s_lshl_b64 s[16:17], s[20:21], 1
	s_add_u32 s16, s8, s16
	s_addc_u32 s17, s12, s17
	global_load_dwordx2 v[2:3], v25, s[16:17]
	v_and_b32_e32 v1, 0xff8, v1
	v_lshl_add_u32 v1, v4, 6, v1
	s_waitcnt vmcnt(0)
	ds_write_b64 v1, v[2:3]
.LBB145_4:
	s_or_b64 exec, exec, s[6:7]
	s_mul_i32 s6, s23, s11
	s_sub_i32 s6, s22, s6
	s_xor_b32 s3, s3, s9
	s_add_i32 s7, s23, 1
	s_sub_i32 s9, s6, s11
	s_load_dwordx4 s[16:19], s[0:1], 0x68
	s_load_dword s8, s[0:1], 0x78
	s_cmp_ge_u32 s6, s11
	s_cselect_b32 s7, s7, s23
	s_cselect_b32 s6, s9, s6
	s_add_i32 s9, s7, 1
	s_cmp_ge_u32 s6, s11
	s_cselect_b32 s6, s9, s7
	s_waitcnt lgkmcnt(0)
	s_abs_i32 s21, s19
	v_cvt_f32_u32_e32 v1, s21
	s_xor_b32 s6, s6, s3
	s_sub_i32 s3, s6, s3
	s_sub_i32 s6, 0, s21
	v_rcp_iflag_f32_e32 v1, v1
	s_add_i32 s11, s33, -1
	s_abs_i32 s9, s11
	v_mul_f32_e32 v1, 0x4f7ffffe, v1
	v_cvt_u32_f32_e32 v1, v1
	s_barrier
	v_readfirstlane_b32 s40, v1
	s_mul_i32 s6, s6, s40
	s_mul_hi_u32 s6, s40, s6
	s_add_i32 s40, s40, s6
	s_cmp_lt_i32 s8, 0
	s_mul_hi_u32 s12, s9, s40
	s_cbranch_scc0 .LBB145_6
; %bb.5:
	s_mul_i32 s6, s16, s30
	s_add_i32 s6, s3, s6
	s_mul_i32 s6, s6, s8
	s_sub_i32 s41, 1, s6
	s_mov_b64 s[6:7], 0
	s_branch .LBB145_7
.LBB145_6:
	s_mov_b64 s[6:7], -1
                                        ; implicit-def: $sgpr41
.LBB145_7:
	s_load_dwordx2 s[24:25], s[0:1], 0x28
	s_ashr_i32 s15, s11, 31
	s_andn2_b64 vcc, exec, s[6:7]
	s_ashr_i32 s19, s19, 31
	s_cbranch_vccnz .LBB145_9
; %bb.8:
	s_mul_i32 s6, s5, s16
	s_add_i32 s2, s6, s2
	s_mul_i32 s2, s2, s8
	s_add_i32 s41, s2, 1
.LBB145_9:
	s_load_dword s2, s[0:1], 0x38
	s_load_dwordx2 s[22:23], s[0:1], 0x0
	s_load_dwordx2 s[28:29], s[0:1], 0x18
	s_load_dword s11, s[0:1], 0x88
	s_xor_b32 s6, s15, s19
	s_waitcnt lgkmcnt(0)
	s_mul_i32 s26, s10, s2
	s_mul_i32 s2, s12, s21
	s_sub_i32 s2, s9, s2
	s_ashr_i32 s27, s26, 31
	s_add_i32 s7, s12, 1
	s_sub_i32 s8, s2, s21
	s_cmp_ge_u32 s2, s21
	s_cselect_b32 s7, s7, s12
	s_cselect_b32 s2, s8, s2
	s_add_i32 s8, s7, 1
	s_cmp_ge_u32 s2, s21
	s_cselect_b32 s2, s8, s7
	s_xor_b32 s2, s2, s6
	s_sub_i32 s12, s2, s6
	s_add_i32 s2, s33, 31
	s_ashr_i32 s6, s2, 31
	s_lshr_b32 s6, s6, 27
	s_add_i32 s2, s2, s6
	s_ashr_i32 s16, s2, 5
	v_lshrrev_b32_e32 v1, 6, v0
	v_cmp_gt_i32_e64 s[6:7], s16, v1
	v_mov_b32_e32 v30, 0xff7fffff
	s_mul_i32 s14, s3, s14
	v_lshrrev_b32_e32 v27, 4, v0
	v_lshlrev_b32_e32 v24, 5, v1
	v_mbcnt_lo_u32_b32 v26, -1, 0
	s_and_saveexec_b64 s[34:35], s[6:7]
	s_cbranch_execz .LBB145_19
; %bb.10:
	s_load_dwordx2 s[0:1], s[0:1], 0x10
	s_ashr_i32 s15, s14, 31
	s_sub_i32 s30, s12, s17
	s_lshl_b64 s[2:3], s[14:15], 1
	v_bfe_u32 v28, v0, 1, 5
	s_waitcnt lgkmcnt(0)
	s_add_u32 s0, s0, s2
	s_addc_u32 s1, s1, s3
	s_abs_i32 s15, s18
	v_cvt_f32_u32_e32 v2, s15
	v_lshlrev_b32_e32 v6, 4, v28
	v_mov_b32_e32 v7, 0
	v_cmp_eq_u32_e32 vcc, 0, v4
	v_rcp_iflag_f32_e32 v5, v2
	v_lshl_add_u64 v[2:3], s[0:1], 0, v[6:7]
	s_sub_i32 s0, 0, s15
	v_lshlrev_b32_e32 v29, 6, v4
	v_mul_f32_e32 v5, 0x4f7ffffe, v5
	v_cvt_u32_f32_e32 v5, v5
	v_and_b32_e32 v6, 8, v25
	v_lshl_add_u64 v[2:3], v[2:3], 0, v[6:7]
	v_and_b32_e32 v6, 60, v27
	v_mul_lo_u32 v4, s0, v5
	s_lshl_b64 s[0:1], s[26:27], 2
	s_add_u32 s0, s24, s0
	v_mul_hi_u32 v4, v5, v4
	s_addc_u32 s1, s25, s1
	v_add_u32_e32 v31, v5, v4
	v_lshl_add_u64 v[4:5], s[0:1], 0, v[6:7]
	v_lshlrev_b32_e32 v6, 2, v28
	v_lshl_or_b32 v6, v1, 7, v6
	v_add_u32_e32 v33, 0x90, v6
	v_subrev_u32_e32 v6, s33, v28
	v_mbcnt_hi_u32_b32 v36, -1, v26
	v_add_u32_e32 v34, 1, v6
	v_and_b32_e32 v6, 64, v36
	s_mov_b32 s43, s13
	v_cmp_neq_f32_e64 s[2:3], s42, 0
	v_lshlrev_b32_e32 v32, 5, v1
	s_mov_b64 s[36:37], 0
	v_mov_b32_e32 v35, 0xff7fffff
	v_xor_b32_e32 v37, 1, v36
	v_add_u32_e32 v38, 64, v6
	v_mov_b32_e32 v30, 0xff7fffff
	v_mov_b32_e32 v39, v1
	s_branch .LBB145_13
.LBB145_11:                             ;   in Loop: Header=BB145_13 Depth=1
	s_or_b64 exec, exec, s[38:39]
.LBB145_12:                             ;   in Loop: Header=BB145_13 Depth=1
	s_or_b64 exec, exec, s[8:9]
	v_add_u32_e32 v39, 2, v39
	v_cmp_le_i32_e64 s[0:1], s16, v39
	v_lshl_add_u64 v[4:5], v[4:5], 0, 8
	v_add_u32_e32 v32, 64, v32
	s_or_b64 s[36:37], s[0:1], s[36:37]
	v_add_u32_e32 v33, 0x100, v33
	s_andn2_b64 exec, exec, s[36:37]
	s_cbranch_execz .LBB145_18
.LBB145_13:                             ; =>This Inner Loop Header: Depth=1
	v_mul_hi_u32 v6, v32, s40
	s_waitcnt lgkmcnt(0)
	v_mul_lo_u32 v7, v6, s21
	v_sub_u32_e32 v7, v32, v7
	v_add_u32_e32 v8, 1, v6
	v_cmp_le_u32_e64 s[0:1], s21, v7
	s_nop 1
	v_cndmask_b32_e64 v6, v6, v8, s[0:1]
	v_subrev_u32_e32 v8, s21, v7
	v_cndmask_b32_e64 v7, v7, v8, s[0:1]
	v_add_u32_e32 v8, 1, v6
	v_cmp_le_u32_e64 s[0:1], s21, v7
	s_nop 1
	v_cndmask_b32_e64 v6, v6, v8, s[0:1]
	v_xor_b32_e32 v6, s19, v6
	v_subrev_u32_e32 v6, s19, v6
	v_add_u32_e32 v7, s41, v6
	v_sub_u32_e32 v9, 0, v7
	v_ashrrev_i32_e32 v8, 31, v7
	v_max_i32_e32 v7, v7, v9
	v_mul_hi_u32 v9, v7, v31
	v_mul_lo_u32 v9, v9, s15
	v_sub_u32_e32 v7, v7, v9
	v_subrev_u32_e32 v9, s15, v7
	v_cmp_le_u32_e64 s[0:1], s15, v7
	v_cmp_ge_i32_e64 s[8:9], s30, v6
	s_nop 0
	v_cndmask_b32_e64 v7, v7, v9, s[0:1]
	v_subrev_u32_e32 v9, s15, v7
	v_cmp_le_u32_e64 s[0:1], s15, v7
	s_nop 1
	v_cndmask_b32_e64 v7, v7, v9, s[0:1]
	v_xor_b32_e32 v7, v7, v8
	v_sub_u32_e32 v7, v7, v8
	v_cmp_ne_u32_e64 s[0:1], 0, v7
	s_and_b64 s[0:1], s[0:1], s[8:9]
	s_and_b64 s[38:39], vcc, s[0:1]
	s_and_saveexec_b64 s[8:9], s[38:39]
	s_cbranch_execz .LBB145_15
; %bb.14:                               ;   in Loop: Header=BB145_13 Depth=1
	ds_write_b32 v33, v35
.LBB145_15:                             ;   in Loop: Header=BB145_13 Depth=1
	s_or_b64 exec, exec, s[8:9]
	s_xor_b64 s[0:1], s[0:1], -1
	s_and_saveexec_b64 s[8:9], s[0:1]
	s_cbranch_execz .LBB145_12
; %bb.16:                               ;   in Loop: Header=BB145_13 Depth=1
	global_load_dword v6, v[4:5], off
	s_waitcnt vmcnt(0)
	v_mad_i64_i32 v[6:7], s[0:1], v6, s43, 0
	v_lshl_add_u64 v[18:19], v[6:7], 1, v[2:3]
	global_load_dwordx2 v[12:13], v[18:19], off
	global_load_dwordx2 v[10:11], v[18:19], off offset:512
	global_load_dwordx2 v[8:9], v[18:19], off offset:1024
	;; [unrolled: 1-line block ×7, first 2 shown]
	ds_read_b128 v[40:43], v29
	ds_read_b128 v[44:47], v29 offset:16
	ds_read_b128 v[48:51], v29 offset:32
	;; [unrolled: 1-line block ×3, first 2 shown]
	v_cmp_lt_i32_e64 s[0:1], v37, v38
	s_waitcnt lgkmcnt(3)
	v_lshlrev_b32_e32 v57, 16, v42
	v_and_b32_e32 v42, 0xffff0000, v42
	v_lshlrev_b32_e32 v19, 16, v40
	v_lshlrev_b32_e32 v58, 16, v43
	v_and_b32_e32 v40, 0xffff0000, v40
	v_lshlrev_b32_e32 v56, 16, v41
	s_waitcnt lgkmcnt(2)
	v_lshlrev_b32_e32 v59, 16, v44
	v_and_b32_e32 v43, 0xffff0000, v43
	v_and_b32_e32 v44, 0xffff0000, v44
	v_lshlrev_b32_e32 v60, 16, v45
	v_lshlrev_b32_e32 v61, 16, v46
	v_and_b32_e32 v41, 0xffff0000, v41
	v_and_b32_e32 v46, 0xffff0000, v46
	v_lshlrev_b32_e32 v62, 16, v47
	s_waitcnt lgkmcnt(1)
	v_lshlrev_b32_e32 v63, 16, v48
	v_and_b32_e32 v45, 0xffff0000, v45
	v_and_b32_e32 v48, 0xffff0000, v48
	v_lshlrev_b32_e32 v64, 16, v49
	v_lshlrev_b32_e32 v65, 16, v50
	v_and_b32_e32 v47, 0xffff0000, v47
	;; [unrolled: 9-line block ×3, first 2 shown]
	v_and_b32_e32 v54, 0xffff0000, v54
	v_lshlrev_b32_e32 v70, 16, v55
	v_and_b32_e32 v53, 0xffff0000, v53
	v_and_b32_e32 v55, 0xffff0000, v55
	v_cndmask_b32_e64 v18, v36, v37, s[0:1]
	v_lshlrev_b32_e32 v18, 2, v18
	s_waitcnt vmcnt(7)
	v_lshlrev_b32_e32 v71, 16, v12
	s_waitcnt vmcnt(6)
	v_lshlrev_b32_e32 v73, 16, v10
	v_and_b32_e32 v10, 0xffff0000, v10
	v_and_b32_e32 v12, 0xffff0000, v12
	v_lshlrev_b32_e32 v74, 16, v11
	v_mul_f32_e32 v57, v57, v73
	v_mul_f32_e32 v10, v42, v10
	v_lshlrev_b32_e32 v72, 16, v13
	v_and_b32_e32 v11, 0xffff0000, v11
	s_waitcnt vmcnt(5)
	v_lshlrev_b32_e32 v75, 16, v8
	v_and_b32_e32 v8, 0xffff0000, v8
	v_mul_f32_e32 v42, v58, v74
	v_fmac_f32_e32 v57, v19, v71
	v_fmac_f32_e32 v10, v40, v12
	v_and_b32_e32 v13, 0xffff0000, v13
	v_lshlrev_b32_e32 v76, 16, v9
	s_waitcnt vmcnt(4)
	v_lshlrev_b32_e32 v77, 16, v6
	v_and_b32_e32 v6, 0xffff0000, v6
	v_mul_f32_e32 v11, v43, v11
	v_fmac_f32_e32 v42, v56, v72
	v_fmac_f32_e32 v57, v59, v75
	v_fmac_f32_e32 v10, v44, v8
	v_and_b32_e32 v9, 0xffff0000, v9
	v_lshlrev_b32_e32 v78, 16, v7
	s_waitcnt vmcnt(3)
	v_lshlrev_b32_e32 v79, 16, v22
	v_and_b32_e32 v22, 0xffff0000, v22
	v_fmac_f32_e32 v11, v41, v13
	v_fmac_f32_e32 v42, v60, v76
	v_fmac_f32_e32 v57, v61, v77
	v_fmac_f32_e32 v10, v46, v6
	v_and_b32_e32 v7, 0xffff0000, v7
	v_lshlrev_b32_e32 v80, 16, v23
	s_waitcnt vmcnt(2)
	v_lshlrev_b32_e32 v81, 16, v20
	v_and_b32_e32 v20, 0xffff0000, v20
	v_fmac_f32_e32 v11, v45, v9
	;; [unrolled: 9-line block ×4, first 2 shown]
	v_fmac_f32_e32 v42, v66, v82
	v_fmac_f32_e32 v57, v67, v83
	;; [unrolled: 1-line block ×3, first 2 shown]
	v_and_b32_e32 v17, 0xffff0000, v17
	v_lshlrev_b32_e32 v86, 16, v15
	v_fmac_f32_e32 v11, v51, v21
	v_fmac_f32_e32 v42, v68, v84
	;; [unrolled: 1-line block ×4, first 2 shown]
	v_and_b32_e32 v15, 0xffff0000, v15
	v_fmac_f32_e32 v11, v53, v17
	v_fmac_f32_e32 v42, v70, v86
	v_add_f32_e32 v6, v57, v10
	v_fmac_f32_e32 v11, v55, v15
	v_add_f32_e32 v6, v6, v42
	v_add_f32_e32 v6, v11, v6
	ds_bpermute_b32 v7, v18, v6
	s_and_saveexec_b64 s[38:39], vcc
	s_cbranch_execz .LBB145_11
; %bb.17:                               ;   in Loop: Header=BB145_13 Depth=1
	v_add_u32_e32 v8, v34, v32
	v_cvt_f32_i32_e32 v8, v8
	s_waitcnt lgkmcnt(0)
	v_add_f32_e32 v6, v6, v7
	v_add_u32_e32 v9, v28, v32
	v_cmp_gt_i32_e64 s[0:1], s33, v9
	v_mul_f32_e32 v7, s42, v8
	v_cndmask_b32_e64 v7, 0, v7, s[2:3]
	v_fmac_f32_e32 v7, s31, v6
	v_cndmask_b32_e64 v6, 0, v7, s[0:1]
	ds_write_b32 v33, v6
	v_max_f32_e32 v6, v30, v30
	v_max_f32_e32 v6, v6, v7
	v_cndmask_b32_e64 v30, v30, v6, s[0:1]
	s_branch .LBB145_11
.LBB145_18:
	s_or_b64 exec, exec, s[36:37]
.LBB145_19:
	s_or_b64 exec, exec, s[34:35]
	v_mbcnt_hi_u32_b32 v8, -1, v26
	v_and_b32_e32 v2, 64, v8
	v_add_u32_e32 v9, 64, v2
	v_xor_b32_e32 v2, 32, v8
	v_cmp_lt_i32_e32 vcc, v2, v9
	v_xor_b32_e32 v5, 16, v8
	v_max_f32_e32 v4, v30, v30
	v_cndmask_b32_e32 v2, v8, v2, vcc
	v_lshlrev_b32_e32 v2, 2, v2
	ds_bpermute_b32 v3, v2, v30
	v_cmp_lt_i32_e32 vcc, v5, v9
	v_xor_b32_e32 v6, 8, v8
	s_waitcnt lgkmcnt(1)
	v_xor_b32_e32 v7, 4, v8
	v_xor_b32_e32 v10, 2, v8
	s_waitcnt lgkmcnt(0)
	v_max_f32_e32 v3, v3, v3
	v_max_f32_e32 v4, v4, v3
	v_cndmask_b32_e32 v3, v8, v5, vcc
	v_lshlrev_b32_e32 v3, 2, v3
	ds_bpermute_b32 v5, v3, v4
	v_cmp_lt_i32_e32 vcc, v6, v9
	v_and_b32_e32 v20, 63, v0
	s_waitcnt lgkmcnt(0)
	v_max_f32_e32 v5, v5, v5
	v_max_f32_e32 v5, v4, v5
	v_cndmask_b32_e32 v4, v8, v6, vcc
	v_lshlrev_b32_e32 v4, 2, v4
	ds_bpermute_b32 v6, v4, v5
	v_cmp_lt_i32_e32 vcc, v7, v9
	s_waitcnt lgkmcnt(0)
	v_max_f32_e32 v6, v6, v6
	v_max_f32_e32 v6, v5, v6
	v_cndmask_b32_e32 v5, v8, v7, vcc
	v_lshlrev_b32_e32 v5, 2, v5
	ds_bpermute_b32 v7, v5, v6
	v_cmp_lt_i32_e32 vcc, v10, v9
	s_waitcnt lgkmcnt(0)
	v_max_f32_e32 v7, v7, v7
	v_max_f32_e32 v7, v6, v7
	v_cndmask_b32_e32 v6, v8, v10, vcc
	v_lshlrev_b32_e32 v21, 2, v6
	ds_bpermute_b32 v10, v21, v7
	v_cmp_eq_u32_e32 vcc, 0, v20
	v_lshlrev_b32_e32 v6, 2, v1
	s_and_saveexec_b64 s[0:1], vcc
	s_cbranch_execz .LBB145_21
; %bb.20:
	s_waitcnt lgkmcnt(0)
	v_max_f32_e32 v10, v10, v10
	v_max_f32_e32 v7, v7, v7
	;; [unrolled: 1-line block ×3, first 2 shown]
	ds_write_b32 v6, v7 offset:128
.LBB145_21:
	s_or_b64 exec, exec, s[0:1]
	v_cmp_gt_u32_e64 s[0:1], 2, v20
	s_waitcnt lgkmcnt(0)
	v_mov_b32_e32 v10, 0xff7fffff
	v_lshlrev_b32_e32 v7, 2, v20
	s_barrier
	s_and_saveexec_b64 s[2:3], s[0:1]
	s_cbranch_execz .LBB145_23
; %bb.22:
	ds_read_b32 v10, v7 offset:128
.LBB145_23:
	s_or_b64 exec, exec, s[2:3]
	v_xor_b32_e32 v11, 1, v8
	v_cmp_lt_i32_e64 s[2:3], v11, v9
	s_nop 1
	v_cndmask_b32_e64 v9, v8, v11, s[2:3]
	v_lshlrev_b32_e32 v22, 2, v9
	s_waitcnt lgkmcnt(0)
	ds_bpermute_b32 v9, v22, v10
	v_max_f32_e32 v10, v10, v10
	v_lshlrev_b32_e32 v8, 2, v8
	v_and_b32_e32 v8, 0x100, v8
	s_lshl_b32 s2, s16, 5
	s_waitcnt lgkmcnt(0)
	v_max_f32_e32 v9, v9, v9
	v_max_f32_e32 v9, v10, v9
	ds_bpermute_b32 v10, v8, v9
	s_min_i32 s15, s2, s33
	v_cmp_gt_i32_e64 s[2:3], s15, v0
	v_mov_b32_e32 v9, 0
	s_and_saveexec_b64 s[30:31], s[2:3]
	s_cbranch_execz .LBB145_27
; %bb.24:
	v_mov_b32_e32 v9, 0x90
	v_lshl_add_u32 v11, v0, 2, v9
	s_mov_b64 s[34:35], 0
	v_mov_b32_e32 v9, 0
	v_mov_b32_e32 v12, v0
.LBB145_25:                             ; =>This Inner Loop Header: Depth=1
	ds_read_b32 v13, v11
	v_add_u32_e32 v12, 0x80, v12
	v_cmp_le_i32_e64 s[8:9], s15, v12
	s_or_b64 s[34:35], s[8:9], s[34:35]
	s_waitcnt lgkmcnt(0)
	v_sub_f32_e32 v13, v13, v10
	v_mul_f32_e32 v13, 0x3fb8aa3b, v13
	v_exp_f32_e32 v13, v13
	ds_write_b32 v11, v13
	v_add_f32_e32 v9, v9, v13
	v_add_u32_e32 v11, 0x200, v11
	s_andn2_b64 exec, exec, s[34:35]
	s_cbranch_execnz .LBB145_25
; %bb.26:
	s_or_b64 exec, exec, s[34:35]
.LBB145_27:
	s_or_b64 exec, exec, s[30:31]
	ds_bpermute_b32 v2, v2, v9
	s_waitcnt lgkmcnt(0)
	v_add_f32_e32 v2, v9, v2
	ds_bpermute_b32 v3, v3, v2
	s_waitcnt lgkmcnt(0)
	v_add_f32_e32 v2, v2, v3
	;; [unrolled: 3-line block ×6, first 2 shown]
	s_and_saveexec_b64 s[8:9], vcc
	s_cbranch_execz .LBB145_29
; %bb.28:
	ds_write_b32 v6, v2 offset:136
.LBB145_29:
	s_or_b64 exec, exec, s[8:9]
	s_waitcnt lgkmcnt(0)
	s_barrier
	s_and_saveexec_b64 s[8:9], s[0:1]
	s_cbranch_execz .LBB145_31
; %bb.30:
	ds_read_b32 v2, v7 offset:136
.LBB145_31:
	s_or_b64 exec, exec, s[8:9]
	s_waitcnt lgkmcnt(0)
	ds_bpermute_b32 v3, v22, v2
	s_waitcnt lgkmcnt(0)
	v_add_f32_e32 v2, v2, v3
	ds_bpermute_b32 v2, v8, v2
	s_and_saveexec_b64 s[0:1], s[2:3]
	s_cbranch_execz .LBB145_44
; %bb.32:
	s_waitcnt lgkmcnt(0)
	v_add_f32_e32 v2, 0x358637bd, v2
	v_div_scale_f32 v3, s[2:3], v2, v2, 1.0
	v_rcp_f32_e32 v4, v3
	v_div_scale_f32 v5, vcc, 1.0, v2, 1.0
	s_movk_i32 s2, 0x7f
	v_fma_f32 v6, -v3, v4, 1.0
	v_fmac_f32_e32 v4, v6, v4
	v_mul_f32_e32 v6, v5, v4
	v_fma_f32 v7, -v3, v6, v5
	v_fmac_f32_e32 v6, v7, v4
	v_fma_f32 v3, -v3, v6, v5
	v_div_fmas_f32 v3, v3, v4, v6
	v_xad_u32 v4, v0, -1, s15
	v_div_fixup_f32 v2, v3, v2, 1.0
	v_cmp_lt_u32_e32 vcc, s2, v4
	s_mov_b64 s[8:9], -1
	v_mov_b32_e32 v3, v0
	s_and_saveexec_b64 s[2:3], vcc
	s_cbranch_execz .LBB145_41
; %bb.33:
	v_lshrrev_b32_e32 v4, 7, v4
	v_add_u32_e32 v6, -1, v4
	v_lshrrev_b32_e32 v5, 1, v6
	v_mov_b32_e32 v3, v2
	v_add_u32_e32 v5, 1, v5
	v_cmp_lt_u32_e32 vcc, 13, v6
	v_mov_b32_e32 v8, 0
	s_and_saveexec_b64 s[8:9], vcc
	s_cbranch_execz .LBB145_37
; %bb.34:
	v_mov_b32_e32 v7, 0x90
	v_and_b32_e32 v6, -8, v5
	v_lshl_add_u32 v7, v0, 2, v7
	s_mov_b32 s34, 0
	s_mov_b64 s[30:31], 0
.LBB145_35:                             ; =>This Inner Loop Header: Depth=1
	ds_read2st64_b32 v[8:9], v7 offset1:2
	ds_read2st64_b32 v[10:11], v7 offset0:4 offset1:6
	ds_read2st64_b32 v[12:13], v7 offset0:8 offset1:10
	ds_read2st64_b32 v[14:15], v7 offset0:12 offset1:14
	v_add_u32_e32 v6, -8, v6
	s_waitcnt lgkmcnt(3)
	v_pk_mul_f32 v[8:9], v[2:3], v[8:9]
	s_waitcnt lgkmcnt(2)
	v_pk_mul_f32 v[10:11], v[2:3], v[10:11]
	ds_write2st64_b32 v7, v8, v9 offset1:2
	ds_write2st64_b32 v7, v10, v11 offset0:4 offset1:6
	ds_read2st64_b32 v[10:11], v7 offset0:16 offset1:18
	s_waitcnt lgkmcnt(4)
	v_pk_mul_f32 v[8:9], v[2:3], v[12:13]
	ds_write2st64_b32 v7, v8, v9 offset0:8 offset1:10
	s_waitcnt lgkmcnt(4)
	v_pk_mul_f32 v[8:9], v[2:3], v[14:15]
	ds_write2st64_b32 v7, v8, v9 offset0:12 offset1:14
	ds_read2st64_b32 v[8:9], v7 offset0:20 offset1:22
	s_waitcnt lgkmcnt(3)
	v_pk_mul_f32 v[10:11], v[2:3], v[10:11]
	ds_read2st64_b32 v[12:13], v7 offset0:24 offset1:26
	ds_write2st64_b32 v7, v10, v11 offset0:16 offset1:18
	ds_read2st64_b32 v[10:11], v7 offset0:28 offset1:30
	s_waitcnt lgkmcnt(3)
	v_pk_mul_f32 v[8:9], v[2:3], v[8:9]
	ds_write2st64_b32 v7, v8, v9 offset0:20 offset1:22
	s_waitcnt lgkmcnt(3)
	v_pk_mul_f32 v[8:9], v[2:3], v[12:13]
	ds_write2st64_b32 v7, v8, v9 offset0:24 offset1:26
	s_waitcnt lgkmcnt(2)
	v_pk_mul_f32 v[8:9], v[2:3], v[10:11]
	s_add_i32 s34, s34, 16
	v_cmp_eq_u32_e32 vcc, 0, v6
	ds_write2st64_b32 v7, v8, v9 offset0:28 offset1:30
	v_add_u32_e32 v7, 0x2000, v7
	s_or_b64 s[30:31], vcc, s[30:31]
	v_mov_b32_e32 v8, s34
	s_andn2_b64 exec, exec, s[30:31]
	s_cbranch_execnz .LBB145_35
; %bb.36:
	s_or_b64 exec, exec, s[30:31]
.LBB145_37:
	s_or_b64 exec, exec, s[8:9]
	v_and_b32_e32 v5, 7, v5
	v_cmp_ne_u32_e32 vcc, 0, v5
	s_and_saveexec_b64 s[8:9], vcc
	s_cbranch_execz .LBB145_40
; %bb.38:
	v_lshlrev_b32_e32 v6, 9, v8
	v_lshlrev_b32_e32 v7, 2, v0
	s_movk_i32 s30, 0x90
	v_add3_u32 v6, v6, v7, s30
	s_mov_b64 s[30:31], 0
.LBB145_39:                             ; =>This Inner Loop Header: Depth=1
	ds_read2st64_b32 v[8:9], v6 offset1:2
	v_add_u32_e32 v5, -1, v5
	v_cmp_eq_u32_e32 vcc, 0, v5
	s_or_b64 s[30:31], vcc, s[30:31]
	s_waitcnt lgkmcnt(0)
	v_pk_mul_f32 v[8:9], v[2:3], v[8:9]
	ds_write2st64_b32 v6, v8, v9 offset1:2
	v_add_u32_e32 v6, 0x400, v6
	s_andn2_b64 exec, exec, s[30:31]
	s_cbranch_execnz .LBB145_39
.LBB145_40:
	s_or_b64 exec, exec, s[8:9]
	v_add_u32_e32 v4, 1, v4
	v_and_b32_e32 v5, 0x3fffffe, v4
	v_cmp_ne_u32_e32 vcc, v4, v5
	v_lshl_add_u32 v3, v5, 7, v0
	s_orn2_b64 s[8:9], vcc, exec
.LBB145_41:
	s_or_b64 exec, exec, s[2:3]
	s_and_b64 exec, exec, s[8:9]
	s_cbranch_execz .LBB145_44
; %bb.42:
	v_mov_b32_e32 v4, 0x90
	v_lshl_add_u32 v4, v3, 2, v4
	s_mov_b64 s[2:3], 0
.LBB145_43:                             ; =>This Inner Loop Header: Depth=1
	ds_read_b32 v5, v4
	v_add_u32_e32 v3, 0x80, v3
	v_cmp_le_i32_e32 vcc, s15, v3
	s_or_b64 s[2:3], vcc, s[2:3]
	s_waitcnt lgkmcnt(0)
	v_mul_f32_e32 v5, v2, v5
	ds_write_b32 v4, v5
	v_add_u32_e32 v4, 0x200, v4
	s_andn2_b64 exec, exec, s[2:3]
	s_cbranch_execnz .LBB145_43
.LBB145_44:
	s_or_b64 exec, exec, s[0:1]
	v_mov_b32_e32 v5, 0
	v_and_b32_e32 v23, 3, v0
	v_mov_b32_e32 v4, 0
	v_mov_b32_e32 v3, 0
	s_waitcnt lgkmcnt(0)
	v_mov_b32_e32 v2, 0
	s_barrier
	s_and_saveexec_b64 s[2:3], s[6:7]
	s_cbranch_execz .LBB145_218
; %bb.45:
	s_ashr_i32 s15, s14, 31
	s_sub_i32 s17, s12, s17
	s_lshl_b64 s[0:1], s[14:15], 1
	s_add_u32 s0, s28, s0
	s_addc_u32 s1, s29, s1
	s_abs_i32 s14, s18
	v_cvt_f32_u32_e32 v2, s14
	v_lshlrev_b32_e32 v3, 4, v0
	s_sub_i32 s6, 0, s14
	v_mov_b32_e32 v15, 0
	v_rcp_iflag_f32_e32 v2, v2
	v_and_b32_e32 v14, 0x3f0, v3
	s_add_i32 s18, s16, -1
	v_lshl_add_u64 v[16:17], s[0:1], 0, v[14:15]
	v_mul_f32_e32 v2, 0x4f7ffffe, v2
	v_cvt_u32_f32_e32 v2, v2
	s_lshl_b64 s[0:1], s[26:27], 2
	s_mov_b32 s28, 0
	s_add_u32 s0, s24, s0
	v_mul_lo_u32 v4, s6, v2
	v_mul_hi_u32 v4, v2, v4
	v_add_u32_e32 v26, v2, v4
	v_lshlrev_b32_e32 v2, 5, v23
	v_and_b32_e32 v14, 60, v27
	s_addc_u32 s1, s25, s1
	v_lshl_or_b32 v2, v1, 7, v2
	s_mov_b32 s29, s28
	v_lshl_add_u64 v[18:19], s[0:1], 0, v[14:15]
	v_add_u32_e32 v14, 0x90, v2
	s_mov_b32 s30, s28
	s_mov_b32 s31, s28
	v_mov_b64_e32 v[2:3], s[28:29]
	v_and_b32_e32 v25, 24, v25
	s_mov_b32 s15, s13
	s_mov_b64 s[6:7], 0
	v_mov_b64_e32 v[4:5], s[30:31]
	s_mov_b32 s24, 0x7f800000
	s_movk_i32 s25, 0x7fff
	s_branch .LBB145_48
.LBB145_46:                             ;   in Loop: Header=BB145_48 Depth=1
	s_or_b64 exec, exec, s[0:1]
	v_and_b32_e32 v34, 0xffff0000, v30
	v_and_b32_e32 v30, 0xffff0000, v29
	;; [unrolled: 1-line block ×8, first 2 shown]
	v_pk_add_f32 v[12:13], v[12:13], v[28:29]
	v_pk_add_f32 v[28:29], v[30:31], v[34:35]
	v_add_f32_e32 v12, v12, v13
	v_add_f32_e32 v12, v12, v28
	;; [unrolled: 1-line block ×3, first 2 shown]
	v_and_b32_e32 v31, 0xffff0000, v52
	v_and_b32_e32 v30, 0xffff0000, v50
	;; [unrolled: 1-line block ×4, first 2 shown]
	v_add_f32_e32 v2, v2, v12
	v_and_b32_e32 v13, 0xffff0000, v56
	v_and_b32_e32 v12, 0xffff0000, v54
	v_and_b32_e32 v29, 0xffff0000, v55
	v_and_b32_e32 v28, 0xffff0000, v53
	v_pk_add_f32 v[30:31], v[34:35], v[30:31]
	v_pk_add_f32 v[12:13], v[28:29], v[12:13]
	v_add_f32_e32 v27, v30, v31
	v_add_f32_e32 v12, v27, v12
	;; [unrolled: 1-line block ×3, first 2 shown]
	v_and_b32_e32 v31, 0xffff0000, v60
	v_and_b32_e32 v30, 0xffff0000, v58
	;; [unrolled: 1-line block ×4, first 2 shown]
	v_add_f32_e32 v3, v3, v12
	v_and_b32_e32 v13, 0xffff0000, v64
	v_and_b32_e32 v12, 0xffff0000, v62
	;; [unrolled: 1-line block ×4, first 2 shown]
	v_pk_add_f32 v[30:31], v[34:35], v[30:31]
	v_pk_add_f32 v[12:13], v[28:29], v[12:13]
	v_add_f32_e32 v27, v30, v31
	v_add_f32_e32 v12, v27, v12
	;; [unrolled: 1-line block ×3, first 2 shown]
	v_and_b32_e32 v13, 0xffff0000, v11
	v_and_b32_e32 v11, 0xffff0000, v32
	;; [unrolled: 1-line block ×5, first 2 shown]
	v_add_f32_e32 v4, v4, v12
	v_and_b32_e32 v12, 0xffff0000, v33
	v_and_b32_e32 v9, 0xffff0000, v9
	;; [unrolled: 1-line block ×3, first 2 shown]
	v_pk_add_f32 v[6:7], v[6:7], v[10:11]
	v_pk_add_f32 v[8:9], v[8:9], v[12:13]
	v_add_f32_e32 v6, v6, v7
	v_add_f32_e32 v6, v6, v8
	;; [unrolled: 1-line block ×4, first 2 shown]
.LBB145_47:                             ;   in Loop: Header=BB145_48 Depth=1
	s_or_b64 exec, exec, s[8:9]
	v_add_u32_e32 v1, 2, v1
	v_cmp_le_i32_e32 vcc, s16, v1
	v_lshl_add_u64 v[18:19], v[18:19], 0, 8
	v_add_u32_e32 v24, 64, v24
	s_or_b64 s[6:7], vcc, s[6:7]
	v_add_u32_e32 v14, 0x100, v14
	s_andn2_b64 exec, exec, s[6:7]
	s_cbranch_execz .LBB145_217
.LBB145_48:                             ; =>This Inner Loop Header: Depth=1
	v_mul_hi_u32 v6, v24, s40
	v_mul_lo_u32 v7, v6, s21
	v_sub_u32_e32 v7, v24, v7
	v_add_u32_e32 v8, 1, v6
	v_cmp_le_u32_e32 vcc, s21, v7
	s_nop 1
	v_cndmask_b32_e32 v6, v6, v8, vcc
	v_subrev_u32_e32 v8, s21, v7
	v_cndmask_b32_e32 v7, v7, v8, vcc
	v_add_u32_e32 v8, 1, v6
	v_cmp_le_u32_e32 vcc, s21, v7
	s_nop 1
	v_cndmask_b32_e32 v6, v6, v8, vcc
	v_xor_b32_e32 v6, s19, v6
	v_subrev_u32_e32 v6, s19, v6
	v_add_u32_e32 v7, s41, v6
	v_sub_u32_e32 v9, 0, v7
	v_ashrrev_i32_e32 v8, 31, v7
	v_max_i32_e32 v7, v7, v9
	v_mul_hi_u32 v9, v7, v26
	v_mul_lo_u32 v9, v9, s14
	v_sub_u32_e32 v7, v7, v9
	v_subrev_u32_e32 v9, s14, v7
	v_cmp_le_u32_e32 vcc, s14, v7
	v_cmp_lt_i32_e64 s[0:1], s17, v6
	s_nop 0
	v_cndmask_b32_e32 v7, v7, v9, vcc
	v_subrev_u32_e32 v9, s14, v7
	v_cmp_le_u32_e32 vcc, s14, v7
	s_nop 1
	v_cndmask_b32_e32 v7, v7, v9, vcc
	v_xor_b32_e32 v7, v7, v8
	v_sub_u32_e32 v7, v7, v8
	v_cmp_eq_u32_e32 vcc, 0, v7
	s_or_b64 s[0:1], vcc, s[0:1]
	s_and_saveexec_b64 s[8:9], s[0:1]
	s_cbranch_execz .LBB145_47
; %bb.49:                               ;   in Loop: Header=BB145_48 Depth=1
	global_load_dword v32, v[18:19], off
	ds_read2_b64 v[10:13], v14 offset1:1
	ds_read2_b64 v[6:9], v14 offset0:2 offset1:3
                                        ; implicit-def: $vgpr41
	s_waitcnt lgkmcnt(1)
	v_and_b32_e32 v27, 0x7f800000, v10
	v_cmp_ne_u32_e32 vcc, s24, v27
	s_and_saveexec_b64 s[0:1], vcc
	s_xor_b64 s[0:1], exec, s[0:1]
; %bb.50:                               ;   in Loop: Header=BB145_48 Depth=1
	v_bfe_u32 v27, v10, 16, 1
	v_add3_u32 v41, v10, v27, s25
; %bb.51:                               ;   in Loop: Header=BB145_48 Depth=1
	s_andn2_saveexec_b64 s[0:1], s[0:1]
; %bb.52:                               ;   in Loop: Header=BB145_48 Depth=1
	v_or_b32_e32 v27, 0x10000, v10
	v_cmp_eq_u32_sdwa vcc, v10, v15 src0_sel:WORD_0 src1_sel:DWORD
	s_nop 1
	v_cndmask_b32_e32 v41, v27, v10, vcc
; %bb.53:                               ;   in Loop: Header=BB145_48 Depth=1
	s_or_b64 exec, exec, s[0:1]
	v_and_b32_e32 v10, 0x7f800000, v11
	v_cmp_ne_u32_e32 vcc, s24, v10
                                        ; implicit-def: $vgpr42
	s_and_saveexec_b64 s[0:1], vcc
	s_xor_b64 s[0:1], exec, s[0:1]
; %bb.54:                               ;   in Loop: Header=BB145_48 Depth=1
	v_bfe_u32 v10, v11, 16, 1
	v_add3_u32 v42, v11, v10, s25
; %bb.55:                               ;   in Loop: Header=BB145_48 Depth=1
	s_andn2_saveexec_b64 s[0:1], s[0:1]
; %bb.56:                               ;   in Loop: Header=BB145_48 Depth=1
	v_or_b32_e32 v10, 0x10000, v11
	v_cmp_eq_u32_sdwa vcc, v11, v15 src0_sel:WORD_0 src1_sel:DWORD
	s_nop 1
	v_cndmask_b32_e32 v42, v10, v11, vcc
; %bb.57:                               ;   in Loop: Header=BB145_48 Depth=1
	s_or_b64 exec, exec, s[0:1]
	v_and_b32_e32 v10, 0x7f800000, v12
	v_cmp_ne_u32_e32 vcc, s24, v10
                                        ; implicit-def: $vgpr27
	s_and_saveexec_b64 s[0:1], vcc
	s_xor_b64 s[0:1], exec, s[0:1]
; %bb.58:                               ;   in Loop: Header=BB145_48 Depth=1
	v_bfe_u32 v10, v12, 16, 1
	v_add3_u32 v27, v12, v10, s25
; %bb.59:                               ;   in Loop: Header=BB145_48 Depth=1
	s_andn2_saveexec_b64 s[0:1], s[0:1]
; %bb.60:                               ;   in Loop: Header=BB145_48 Depth=1
	v_or_b32_e32 v10, 0x10000, v12
	v_cmp_eq_u32_sdwa vcc, v12, v15 src0_sel:WORD_0 src1_sel:DWORD
	s_nop 1
	v_cndmask_b32_e32 v27, v10, v12, vcc
; %bb.61:                               ;   in Loop: Header=BB145_48 Depth=1
	s_or_b64 exec, exec, s[0:1]
	v_and_b32_e32 v10, 0x7f800000, v13
	v_cmp_ne_u32_e32 vcc, s24, v10
                                        ; implicit-def: $vgpr28
	s_and_saveexec_b64 s[0:1], vcc
	s_xor_b64 s[0:1], exec, s[0:1]
; %bb.62:                               ;   in Loop: Header=BB145_48 Depth=1
	v_bfe_u32 v10, v13, 16, 1
	v_add3_u32 v28, v13, v10, s25
                                        ; implicit-def: $vgpr10_vgpr11_vgpr12_vgpr13
; %bb.63:                               ;   in Loop: Header=BB145_48 Depth=1
	s_andn2_saveexec_b64 s[0:1], s[0:1]
; %bb.64:                               ;   in Loop: Header=BB145_48 Depth=1
	v_or_b32_e32 v10, 0x10000, v13
	v_cmp_eq_u32_sdwa vcc, v13, v15 src0_sel:WORD_0 src1_sel:DWORD
	s_nop 1
	v_cndmask_b32_e32 v28, v10, v13, vcc
; %bb.65:                               ;   in Loop: Header=BB145_48 Depth=1
	s_or_b64 exec, exec, s[0:1]
	s_waitcnt lgkmcnt(0)
	v_and_b32_e32 v10, 0x7f800000, v6
	v_cmp_ne_u32_e32 vcc, s24, v10
                                        ; implicit-def: $vgpr29
	s_and_saveexec_b64 s[0:1], vcc
	s_xor_b64 s[0:1], exec, s[0:1]
; %bb.66:                               ;   in Loop: Header=BB145_48 Depth=1
	v_bfe_u32 v10, v6, 16, 1
	v_add3_u32 v29, v6, v10, s25
; %bb.67:                               ;   in Loop: Header=BB145_48 Depth=1
	s_andn2_saveexec_b64 s[0:1], s[0:1]
; %bb.68:                               ;   in Loop: Header=BB145_48 Depth=1
	v_or_b32_e32 v10, 0x10000, v6
	v_cmp_eq_u32_sdwa vcc, v6, v15 src0_sel:WORD_0 src1_sel:DWORD
	s_nop 1
	v_cndmask_b32_e32 v29, v10, v6, vcc
; %bb.69:                               ;   in Loop: Header=BB145_48 Depth=1
	s_or_b64 exec, exec, s[0:1]
	v_and_b32_e32 v6, 0x7f800000, v7
	v_cmp_ne_u32_e32 vcc, s24, v6
                                        ; implicit-def: $vgpr30
	s_and_saveexec_b64 s[0:1], vcc
	s_xor_b64 s[0:1], exec, s[0:1]
; %bb.70:                               ;   in Loop: Header=BB145_48 Depth=1
	v_bfe_u32 v6, v7, 16, 1
	v_add3_u32 v30, v7, v6, s25
; %bb.71:                               ;   in Loop: Header=BB145_48 Depth=1
	s_andn2_saveexec_b64 s[0:1], s[0:1]
; %bb.72:                               ;   in Loop: Header=BB145_48 Depth=1
	v_or_b32_e32 v6, 0x10000, v7
	v_cmp_eq_u32_sdwa vcc, v7, v15 src0_sel:WORD_0 src1_sel:DWORD
	s_nop 1
	v_cndmask_b32_e32 v30, v6, v7, vcc
; %bb.73:                               ;   in Loop: Header=BB145_48 Depth=1
	s_or_b64 exec, exec, s[0:1]
	v_and_b32_e32 v6, 0x7f800000, v8
	v_cmp_ne_u32_e32 vcc, s24, v6
                                        ; implicit-def: $vgpr31
	s_and_saveexec_b64 s[0:1], vcc
	s_xor_b64 s[0:1], exec, s[0:1]
; %bb.74:                               ;   in Loop: Header=BB145_48 Depth=1
	v_bfe_u32 v6, v8, 16, 1
	v_add3_u32 v31, v8, v6, s25
; %bb.75:                               ;   in Loop: Header=BB145_48 Depth=1
	s_andn2_saveexec_b64 s[0:1], s[0:1]
; %bb.76:                               ;   in Loop: Header=BB145_48 Depth=1
	v_or_b32_e32 v6, 0x10000, v8
	v_cmp_eq_u32_sdwa vcc, v8, v15 src0_sel:WORD_0 src1_sel:DWORD
	s_nop 1
	v_cndmask_b32_e32 v31, v6, v8, vcc
; %bb.77:                               ;   in Loop: Header=BB145_48 Depth=1
	s_or_b64 exec, exec, s[0:1]
	v_and_b32_e32 v6, 0x7f800000, v9
	v_cmp_ne_u32_e32 vcc, s24, v6
                                        ; implicit-def: $vgpr40
	s_and_saveexec_b64 s[0:1], vcc
	s_xor_b64 s[0:1], exec, s[0:1]
; %bb.78:                               ;   in Loop: Header=BB145_48 Depth=1
	v_bfe_u32 v6, v9, 16, 1
	v_add3_u32 v40, v9, v6, s25
                                        ; implicit-def: $vgpr6_vgpr7_vgpr8_vgpr9
; %bb.79:                               ;   in Loop: Header=BB145_48 Depth=1
	s_andn2_saveexec_b64 s[0:1], s[0:1]
; %bb.80:                               ;   in Loop: Header=BB145_48 Depth=1
	v_or_b32_e32 v6, 0x10000, v9
	v_cmp_eq_u32_sdwa vcc, v9, v15 src0_sel:WORD_0 src1_sel:DWORD
	s_nop 1
	v_cndmask_b32_e32 v40, v6, v9, vcc
; %bb.81:                               ;   in Loop: Header=BB145_48 Depth=1
	s_or_b64 exec, exec, s[0:1]
	s_waitcnt vmcnt(0)
	v_mad_i64_i32 v[6:7], s[0:1], v32, s15, 0
	v_lshl_add_u64 v[10:11], v[6:7], 1, v[16:17]
	global_load_dwordx4 v[6:9], v[10:11], off
	v_add_u32_e32 v32, v25, v24
	v_cmp_eq_u32_e32 vcc, s18, v1
	v_add_u32_e32 v39, 1, v32
	v_add_u32_e32 v38, 2, v32
	;; [unrolled: 1-line block ×7, first 2 shown]
	s_waitcnt vmcnt(0)
	v_lshrrev_b32_e32 v13, 16, v6
	v_lshrrev_b32_e32 v45, 16, v7
	;; [unrolled: 1-line block ×4, first 2 shown]
	s_and_saveexec_b64 s[12:13], vcc
	s_cbranch_execz .LBB145_83
; %bb.82:                               ;   in Loop: Header=BB145_48 Depth=1
	v_cmp_gt_i32_e64 s[0:1], s33, v32
	s_nop 1
	v_cndmask_b32_e64 v6, 0, v6, s[0:1]
	v_cmp_gt_i32_e64 s[0:1], s33, v39
	s_nop 1
	v_cndmask_b32_e64 v13, 0, v13, s[0:1]
	;; [unrolled: 3-line block ×8, first 2 shown]
.LBB145_83:                             ;   in Loop: Header=BB145_48 Depth=1
	s_or_b64 exec, exec, s[12:13]
	v_and_b32_e32 v41, 0xffff0000, v41
	v_lshlrev_b32_e32 v6, 16, v6
	v_mul_f32_e32 v6, v41, v6
	v_and_b32_e32 v12, 0x7f800000, v6
	v_cmp_ne_u32_e64 s[0:1], s24, v12
                                        ; implicit-def: $vgpr12
	s_and_saveexec_b64 s[12:13], s[0:1]
	s_xor_b64 s[0:1], exec, s[12:13]
; %bb.84:                               ;   in Loop: Header=BB145_48 Depth=1
	v_bfe_u32 v12, v6, 16, 1
	v_add3_u32 v12, v6, v12, s25
                                        ; implicit-def: $vgpr6
; %bb.85:                               ;   in Loop: Header=BB145_48 Depth=1
	s_andn2_saveexec_b64 s[12:13], s[0:1]
; %bb.86:                               ;   in Loop: Header=BB145_48 Depth=1
	v_or_b32_e32 v12, 0x10000, v6
	v_cmp_eq_u32_sdwa s[0:1], v6, v15 src0_sel:WORD_0 src1_sel:DWORD
	s_nop 1
	v_cndmask_b32_e64 v12, v12, v6, s[0:1]
; %bb.87:                               ;   in Loop: Header=BB145_48 Depth=1
	s_or_b64 exec, exec, s[12:13]
	v_and_b32_e32 v42, 0xffff0000, v42
	v_lshlrev_b32_e32 v6, 16, v13
	v_mul_f32_e32 v6, v42, v6
	v_and_b32_e32 v13, 0x7f800000, v6
	v_cmp_ne_u32_e64 s[0:1], s24, v13
                                        ; implicit-def: $vgpr13
	s_and_saveexec_b64 s[12:13], s[0:1]
	s_xor_b64 s[0:1], exec, s[12:13]
; %bb.88:                               ;   in Loop: Header=BB145_48 Depth=1
	v_bfe_u32 v13, v6, 16, 1
	v_add3_u32 v13, v6, v13, s25
                                        ; implicit-def: $vgpr6
; %bb.89:                               ;   in Loop: Header=BB145_48 Depth=1
	s_andn2_saveexec_b64 s[12:13], s[0:1]
; %bb.90:                               ;   in Loop: Header=BB145_48 Depth=1
	v_or_b32_e32 v13, 0x10000, v6
	v_cmp_eq_u32_sdwa s[0:1], v6, v15 src0_sel:WORD_0 src1_sel:DWORD
	s_nop 1
	v_cndmask_b32_e64 v13, v13, v6, s[0:1]
; %bb.91:                               ;   in Loop: Header=BB145_48 Depth=1
	s_or_b64 exec, exec, s[12:13]
	v_and_b32_e32 v43, 0xffff0000, v27
	v_lshlrev_b32_e32 v6, 16, v7
	v_mul_f32_e32 v6, v43, v6
	v_and_b32_e32 v7, 0x7f800000, v6
	v_cmp_ne_u32_e64 s[0:1], s24, v7
                                        ; implicit-def: $vgpr27
	s_and_saveexec_b64 s[12:13], s[0:1]
	s_xor_b64 s[0:1], exec, s[12:13]
; %bb.92:                               ;   in Loop: Header=BB145_48 Depth=1
	v_bfe_u32 v7, v6, 16, 1
	v_add3_u32 v27, v6, v7, s25
                                        ; implicit-def: $vgpr6
; %bb.93:                               ;   in Loop: Header=BB145_48 Depth=1
	s_andn2_saveexec_b64 s[12:13], s[0:1]
; %bb.94:                               ;   in Loop: Header=BB145_48 Depth=1
	v_or_b32_e32 v7, 0x10000, v6
	v_cmp_eq_u32_sdwa s[0:1], v6, v15 src0_sel:WORD_0 src1_sel:DWORD
	s_nop 1
	v_cndmask_b32_e64 v27, v7, v6, s[0:1]
; %bb.95:                               ;   in Loop: Header=BB145_48 Depth=1
	s_or_b64 exec, exec, s[12:13]
	v_and_b32_e32 v44, 0xffff0000, v28
	v_lshlrev_b32_e32 v6, 16, v45
	v_mul_f32_e32 v6, v44, v6
	v_and_b32_e32 v7, 0x7f800000, v6
	v_cmp_ne_u32_e64 s[0:1], s24, v7
                                        ; implicit-def: $vgpr28
	s_and_saveexec_b64 s[12:13], s[0:1]
	s_xor_b64 s[0:1], exec, s[12:13]
; %bb.96:                               ;   in Loop: Header=BB145_48 Depth=1
	v_bfe_u32 v7, v6, 16, 1
	v_add3_u32 v28, v6, v7, s25
                                        ; implicit-def: $vgpr6
; %bb.97:                               ;   in Loop: Header=BB145_48 Depth=1
	s_andn2_saveexec_b64 s[12:13], s[0:1]
; %bb.98:                               ;   in Loop: Header=BB145_48 Depth=1
	v_or_b32_e32 v7, 0x10000, v6
	v_cmp_eq_u32_sdwa s[0:1], v6, v15 src0_sel:WORD_0 src1_sel:DWORD
	s_nop 1
	v_cndmask_b32_e64 v28, v7, v6, s[0:1]
; %bb.99:                               ;   in Loop: Header=BB145_48 Depth=1
	s_or_b64 exec, exec, s[12:13]
	v_and_b32_e32 v45, 0xffff0000, v29
	v_lshlrev_b32_e32 v6, 16, v8
	v_mul_f32_e32 v6, v45, v6
	v_and_b32_e32 v7, 0x7f800000, v6
	v_cmp_ne_u32_e64 s[0:1], s24, v7
                                        ; implicit-def: $vgpr29
	s_and_saveexec_b64 s[12:13], s[0:1]
	s_xor_b64 s[0:1], exec, s[12:13]
; %bb.100:                              ;   in Loop: Header=BB145_48 Depth=1
	v_bfe_u32 v7, v6, 16, 1
	v_add3_u32 v29, v6, v7, s25
                                        ; implicit-def: $vgpr6
; %bb.101:                              ;   in Loop: Header=BB145_48 Depth=1
	s_andn2_saveexec_b64 s[12:13], s[0:1]
; %bb.102:                              ;   in Loop: Header=BB145_48 Depth=1
	v_or_b32_e32 v7, 0x10000, v6
	v_cmp_eq_u32_sdwa s[0:1], v6, v15 src0_sel:WORD_0 src1_sel:DWORD
	s_nop 1
	v_cndmask_b32_e64 v29, v7, v6, s[0:1]
; %bb.103:                              ;   in Loop: Header=BB145_48 Depth=1
	s_or_b64 exec, exec, s[12:13]
	v_and_b32_e32 v46, 0xffff0000, v30
	v_lshlrev_b32_e32 v6, 16, v47
	v_mul_f32_e32 v6, v46, v6
	v_and_b32_e32 v7, 0x7f800000, v6
	v_cmp_ne_u32_e64 s[0:1], s24, v7
                                        ; implicit-def: $vgpr30
	s_and_saveexec_b64 s[12:13], s[0:1]
	s_xor_b64 s[0:1], exec, s[12:13]
; %bb.104:                              ;   in Loop: Header=BB145_48 Depth=1
	v_bfe_u32 v7, v6, 16, 1
	v_add3_u32 v30, v6, v7, s25
                                        ; implicit-def: $vgpr6
; %bb.105:                              ;   in Loop: Header=BB145_48 Depth=1
	s_andn2_saveexec_b64 s[12:13], s[0:1]
; %bb.106:                              ;   in Loop: Header=BB145_48 Depth=1
	v_or_b32_e32 v7, 0x10000, v6
	v_cmp_eq_u32_sdwa s[0:1], v6, v15 src0_sel:WORD_0 src1_sel:DWORD
	s_nop 1
	v_cndmask_b32_e64 v30, v7, v6, s[0:1]
; %bb.107:                              ;   in Loop: Header=BB145_48 Depth=1
	s_or_b64 exec, exec, s[12:13]
	v_and_b32_e32 v47, 0xffff0000, v31
	v_lshlrev_b32_e32 v6, 16, v9
	v_mul_f32_e32 v6, v47, v6
	v_and_b32_e32 v7, 0x7f800000, v6
	v_cmp_ne_u32_e64 s[0:1], s24, v7
                                        ; implicit-def: $vgpr31
	s_and_saveexec_b64 s[12:13], s[0:1]
	s_xor_b64 s[0:1], exec, s[12:13]
; %bb.108:                              ;   in Loop: Header=BB145_48 Depth=1
	v_bfe_u32 v7, v6, 16, 1
	v_add3_u32 v31, v6, v7, s25
                                        ; implicit-def: $vgpr6
; %bb.109:                              ;   in Loop: Header=BB145_48 Depth=1
	s_andn2_saveexec_b64 s[12:13], s[0:1]
; %bb.110:                              ;   in Loop: Header=BB145_48 Depth=1
	v_or_b32_e32 v7, 0x10000, v6
	v_cmp_eq_u32_sdwa s[0:1], v6, v15 src0_sel:WORD_0 src1_sel:DWORD
	s_nop 1
	v_cndmask_b32_e64 v31, v7, v6, s[0:1]
; %bb.111:                              ;   in Loop: Header=BB145_48 Depth=1
	s_or_b64 exec, exec, s[12:13]
	v_and_b32_e32 v48, 0xffff0000, v40
	v_lshlrev_b32_e32 v6, 16, v49
	v_mul_f32_e32 v6, v48, v6
	v_and_b32_e32 v7, 0x7f800000, v6
	v_cmp_ne_u32_e64 s[0:1], s24, v7
                                        ; implicit-def: $vgpr40
	s_and_saveexec_b64 s[12:13], s[0:1]
	s_xor_b64 s[0:1], exec, s[12:13]
; %bb.112:                              ;   in Loop: Header=BB145_48 Depth=1
	v_bfe_u32 v7, v6, 16, 1
	v_add3_u32 v40, v6, v7, s25
                                        ; implicit-def: $vgpr6
; %bb.113:                              ;   in Loop: Header=BB145_48 Depth=1
	s_andn2_saveexec_b64 s[12:13], s[0:1]
; %bb.114:                              ;   in Loop: Header=BB145_48 Depth=1
	v_or_b32_e32 v7, 0x10000, v6
	v_cmp_eq_u32_sdwa s[0:1], v6, v15 src0_sel:WORD_0 src1_sel:DWORD
	s_nop 1
	v_cndmask_b32_e64 v40, v7, v6, s[0:1]
; %bb.115:                              ;   in Loop: Header=BB145_48 Depth=1
	s_or_b64 exec, exec, s[12:13]
	global_load_dwordx4 v[6:9], v[10:11], off offset:1024
	s_waitcnt vmcnt(0)
	v_lshrrev_b32_e32 v50, 16, v6
	v_lshrrev_b32_e32 v52, 16, v7
	;; [unrolled: 1-line block ×4, first 2 shown]
	s_and_saveexec_b64 s[12:13], vcc
	s_cbranch_execz .LBB145_117
; %bb.116:                              ;   in Loop: Header=BB145_48 Depth=1
	v_cmp_gt_i32_e64 s[0:1], s33, v32
	s_nop 1
	v_cndmask_b32_e64 v6, 0, v6, s[0:1]
	v_cmp_gt_i32_e64 s[0:1], s33, v39
	s_nop 1
	v_cndmask_b32_e64 v50, 0, v50, s[0:1]
	;; [unrolled: 3-line block ×8, first 2 shown]
.LBB145_117:                            ;   in Loop: Header=BB145_48 Depth=1
	s_or_b64 exec, exec, s[12:13]
	v_lshlrev_b32_e32 v6, 16, v6
	v_mul_f32_e32 v6, v41, v6
	v_and_b32_e32 v49, 0x7f800000, v6
	v_cmp_ne_u32_e64 s[0:1], s24, v49
                                        ; implicit-def: $vgpr49
	s_and_saveexec_b64 s[12:13], s[0:1]
	s_xor_b64 s[0:1], exec, s[12:13]
; %bb.118:                              ;   in Loop: Header=BB145_48 Depth=1
	v_bfe_u32 v49, v6, 16, 1
	v_add3_u32 v49, v6, v49, s25
                                        ; implicit-def: $vgpr6
; %bb.119:                              ;   in Loop: Header=BB145_48 Depth=1
	s_andn2_saveexec_b64 s[12:13], s[0:1]
; %bb.120:                              ;   in Loop: Header=BB145_48 Depth=1
	v_or_b32_e32 v49, 0x10000, v6
	v_cmp_eq_u32_sdwa s[0:1], v6, v15 src0_sel:WORD_0 src1_sel:DWORD
	s_nop 1
	v_cndmask_b32_e64 v49, v49, v6, s[0:1]
; %bb.121:                              ;   in Loop: Header=BB145_48 Depth=1
	s_or_b64 exec, exec, s[12:13]
	v_lshlrev_b32_e32 v6, 16, v50
	v_mul_f32_e32 v6, v42, v6
	v_and_b32_e32 v50, 0x7f800000, v6
	v_cmp_ne_u32_e64 s[0:1], s24, v50
                                        ; implicit-def: $vgpr50
	s_and_saveexec_b64 s[12:13], s[0:1]
	s_xor_b64 s[0:1], exec, s[12:13]
; %bb.122:                              ;   in Loop: Header=BB145_48 Depth=1
	v_bfe_u32 v50, v6, 16, 1
	v_add3_u32 v50, v6, v50, s25
                                        ; implicit-def: $vgpr6
; %bb.123:                              ;   in Loop: Header=BB145_48 Depth=1
	s_andn2_saveexec_b64 s[12:13], s[0:1]
; %bb.124:                              ;   in Loop: Header=BB145_48 Depth=1
	v_or_b32_e32 v50, 0x10000, v6
	v_cmp_eq_u32_sdwa s[0:1], v6, v15 src0_sel:WORD_0 src1_sel:DWORD
	s_nop 1
	v_cndmask_b32_e64 v50, v50, v6, s[0:1]
; %bb.125:                              ;   in Loop: Header=BB145_48 Depth=1
	s_or_b64 exec, exec, s[12:13]
	v_lshlrev_b32_e32 v6, 16, v7
	v_mul_f32_e32 v6, v43, v6
	v_and_b32_e32 v7, 0x7f800000, v6
	v_cmp_ne_u32_e64 s[0:1], s24, v7
                                        ; implicit-def: $vgpr51
	s_and_saveexec_b64 s[12:13], s[0:1]
	s_xor_b64 s[0:1], exec, s[12:13]
; %bb.126:                              ;   in Loop: Header=BB145_48 Depth=1
	v_bfe_u32 v7, v6, 16, 1
	v_add3_u32 v51, v6, v7, s25
                                        ; implicit-def: $vgpr6
; %bb.127:                              ;   in Loop: Header=BB145_48 Depth=1
	s_andn2_saveexec_b64 s[12:13], s[0:1]
; %bb.128:                              ;   in Loop: Header=BB145_48 Depth=1
	v_or_b32_e32 v7, 0x10000, v6
	v_cmp_eq_u32_sdwa s[0:1], v6, v15 src0_sel:WORD_0 src1_sel:DWORD
	s_nop 1
	v_cndmask_b32_e64 v51, v7, v6, s[0:1]
; %bb.129:                              ;   in Loop: Header=BB145_48 Depth=1
	s_or_b64 exec, exec, s[12:13]
	v_lshlrev_b32_e32 v6, 16, v52
	v_mul_f32_e32 v6, v44, v6
	v_and_b32_e32 v7, 0x7f800000, v6
	v_cmp_ne_u32_e64 s[0:1], s24, v7
                                        ; implicit-def: $vgpr52
	s_and_saveexec_b64 s[12:13], s[0:1]
	s_xor_b64 s[0:1], exec, s[12:13]
; %bb.130:                              ;   in Loop: Header=BB145_48 Depth=1
	v_bfe_u32 v7, v6, 16, 1
	v_add3_u32 v52, v6, v7, s25
                                        ; implicit-def: $vgpr6
; %bb.131:                              ;   in Loop: Header=BB145_48 Depth=1
	s_andn2_saveexec_b64 s[12:13], s[0:1]
; %bb.132:                              ;   in Loop: Header=BB145_48 Depth=1
	v_or_b32_e32 v7, 0x10000, v6
	v_cmp_eq_u32_sdwa s[0:1], v6, v15 src0_sel:WORD_0 src1_sel:DWORD
	s_nop 1
	v_cndmask_b32_e64 v52, v7, v6, s[0:1]
; %bb.133:                              ;   in Loop: Header=BB145_48 Depth=1
	s_or_b64 exec, exec, s[12:13]
	v_lshlrev_b32_e32 v6, 16, v8
	v_mul_f32_e32 v6, v45, v6
	v_and_b32_e32 v7, 0x7f800000, v6
	v_cmp_ne_u32_e64 s[0:1], s24, v7
                                        ; implicit-def: $vgpr53
	s_and_saveexec_b64 s[12:13], s[0:1]
	s_xor_b64 s[0:1], exec, s[12:13]
; %bb.134:                              ;   in Loop: Header=BB145_48 Depth=1
	v_bfe_u32 v7, v6, 16, 1
	v_add3_u32 v53, v6, v7, s25
                                        ; implicit-def: $vgpr6
; %bb.135:                              ;   in Loop: Header=BB145_48 Depth=1
	s_andn2_saveexec_b64 s[12:13], s[0:1]
; %bb.136:                              ;   in Loop: Header=BB145_48 Depth=1
	v_or_b32_e32 v7, 0x10000, v6
	v_cmp_eq_u32_sdwa s[0:1], v6, v15 src0_sel:WORD_0 src1_sel:DWORD
	s_nop 1
	v_cndmask_b32_e64 v53, v7, v6, s[0:1]
; %bb.137:                              ;   in Loop: Header=BB145_48 Depth=1
	s_or_b64 exec, exec, s[12:13]
	v_lshlrev_b32_e32 v6, 16, v54
	v_mul_f32_e32 v6, v46, v6
	v_and_b32_e32 v7, 0x7f800000, v6
	v_cmp_ne_u32_e64 s[0:1], s24, v7
                                        ; implicit-def: $vgpr54
	s_and_saveexec_b64 s[12:13], s[0:1]
	s_xor_b64 s[0:1], exec, s[12:13]
; %bb.138:                              ;   in Loop: Header=BB145_48 Depth=1
	v_bfe_u32 v7, v6, 16, 1
	v_add3_u32 v54, v6, v7, s25
                                        ; implicit-def: $vgpr6
; %bb.139:                              ;   in Loop: Header=BB145_48 Depth=1
	s_andn2_saveexec_b64 s[12:13], s[0:1]
; %bb.140:                              ;   in Loop: Header=BB145_48 Depth=1
	v_or_b32_e32 v7, 0x10000, v6
	v_cmp_eq_u32_sdwa s[0:1], v6, v15 src0_sel:WORD_0 src1_sel:DWORD
	s_nop 1
	v_cndmask_b32_e64 v54, v7, v6, s[0:1]
; %bb.141:                              ;   in Loop: Header=BB145_48 Depth=1
	s_or_b64 exec, exec, s[12:13]
	v_lshlrev_b32_e32 v6, 16, v9
	v_mul_f32_e32 v6, v47, v6
	v_and_b32_e32 v7, 0x7f800000, v6
	v_cmp_ne_u32_e64 s[0:1], s24, v7
                                        ; implicit-def: $vgpr55
	s_and_saveexec_b64 s[12:13], s[0:1]
	s_xor_b64 s[0:1], exec, s[12:13]
; %bb.142:                              ;   in Loop: Header=BB145_48 Depth=1
	v_bfe_u32 v7, v6, 16, 1
	v_add3_u32 v55, v6, v7, s25
                                        ; implicit-def: $vgpr6
; %bb.143:                              ;   in Loop: Header=BB145_48 Depth=1
	s_andn2_saveexec_b64 s[12:13], s[0:1]
; %bb.144:                              ;   in Loop: Header=BB145_48 Depth=1
	v_or_b32_e32 v7, 0x10000, v6
	v_cmp_eq_u32_sdwa s[0:1], v6, v15 src0_sel:WORD_0 src1_sel:DWORD
	s_nop 1
	v_cndmask_b32_e64 v55, v7, v6, s[0:1]
; %bb.145:                              ;   in Loop: Header=BB145_48 Depth=1
	s_or_b64 exec, exec, s[12:13]
	v_lshlrev_b32_e32 v6, 16, v56
	v_mul_f32_e32 v6, v48, v6
	v_and_b32_e32 v7, 0x7f800000, v6
	v_cmp_ne_u32_e64 s[0:1], s24, v7
                                        ; implicit-def: $vgpr56
	s_and_saveexec_b64 s[12:13], s[0:1]
	s_xor_b64 s[0:1], exec, s[12:13]
; %bb.146:                              ;   in Loop: Header=BB145_48 Depth=1
	v_bfe_u32 v7, v6, 16, 1
	v_add3_u32 v56, v6, v7, s25
                                        ; implicit-def: $vgpr6
; %bb.147:                              ;   in Loop: Header=BB145_48 Depth=1
	s_andn2_saveexec_b64 s[12:13], s[0:1]
; %bb.148:                              ;   in Loop: Header=BB145_48 Depth=1
	v_or_b32_e32 v7, 0x10000, v6
	v_cmp_eq_u32_sdwa s[0:1], v6, v15 src0_sel:WORD_0 src1_sel:DWORD
	s_nop 1
	v_cndmask_b32_e64 v56, v7, v6, s[0:1]
; %bb.149:                              ;   in Loop: Header=BB145_48 Depth=1
	s_or_b64 exec, exec, s[12:13]
	global_load_dwordx4 v[6:9], v[10:11], off offset:2048
	s_waitcnt vmcnt(0)
	v_lshrrev_b32_e32 v58, 16, v6
	v_lshrrev_b32_e32 v60, 16, v7
	;; [unrolled: 1-line block ×4, first 2 shown]
	s_and_saveexec_b64 s[12:13], vcc
	s_cbranch_execz .LBB145_151
; %bb.150:                              ;   in Loop: Header=BB145_48 Depth=1
	v_cmp_gt_i32_e64 s[0:1], s33, v32
	s_nop 1
	v_cndmask_b32_e64 v6, 0, v6, s[0:1]
	v_cmp_gt_i32_e64 s[0:1], s33, v39
	s_nop 1
	v_cndmask_b32_e64 v58, 0, v58, s[0:1]
	;; [unrolled: 3-line block ×8, first 2 shown]
.LBB145_151:                            ;   in Loop: Header=BB145_48 Depth=1
	s_or_b64 exec, exec, s[12:13]
	v_lshlrev_b32_e32 v6, 16, v6
	v_mul_f32_e32 v6, v41, v6
	v_and_b32_e32 v57, 0x7f800000, v6
	v_cmp_ne_u32_e64 s[0:1], s24, v57
                                        ; implicit-def: $vgpr57
	s_and_saveexec_b64 s[12:13], s[0:1]
	s_xor_b64 s[0:1], exec, s[12:13]
; %bb.152:                              ;   in Loop: Header=BB145_48 Depth=1
	v_bfe_u32 v57, v6, 16, 1
	v_add3_u32 v57, v6, v57, s25
                                        ; implicit-def: $vgpr6
; %bb.153:                              ;   in Loop: Header=BB145_48 Depth=1
	s_andn2_saveexec_b64 s[12:13], s[0:1]
; %bb.154:                              ;   in Loop: Header=BB145_48 Depth=1
	v_or_b32_e32 v57, 0x10000, v6
	v_cmp_eq_u32_sdwa s[0:1], v6, v15 src0_sel:WORD_0 src1_sel:DWORD
	s_nop 1
	v_cndmask_b32_e64 v57, v57, v6, s[0:1]
; %bb.155:                              ;   in Loop: Header=BB145_48 Depth=1
	s_or_b64 exec, exec, s[12:13]
	v_lshlrev_b32_e32 v6, 16, v58
	v_mul_f32_e32 v6, v42, v6
	v_and_b32_e32 v58, 0x7f800000, v6
	v_cmp_ne_u32_e64 s[0:1], s24, v58
                                        ; implicit-def: $vgpr58
	s_and_saveexec_b64 s[12:13], s[0:1]
	s_xor_b64 s[0:1], exec, s[12:13]
; %bb.156:                              ;   in Loop: Header=BB145_48 Depth=1
	v_bfe_u32 v58, v6, 16, 1
	v_add3_u32 v58, v6, v58, s25
                                        ; implicit-def: $vgpr6
; %bb.157:                              ;   in Loop: Header=BB145_48 Depth=1
	s_andn2_saveexec_b64 s[12:13], s[0:1]
; %bb.158:                              ;   in Loop: Header=BB145_48 Depth=1
	v_or_b32_e32 v58, 0x10000, v6
	v_cmp_eq_u32_sdwa s[0:1], v6, v15 src0_sel:WORD_0 src1_sel:DWORD
	s_nop 1
	v_cndmask_b32_e64 v58, v58, v6, s[0:1]
; %bb.159:                              ;   in Loop: Header=BB145_48 Depth=1
	s_or_b64 exec, exec, s[12:13]
	v_lshlrev_b32_e32 v6, 16, v7
	v_mul_f32_e32 v6, v43, v6
	v_and_b32_e32 v7, 0x7f800000, v6
	v_cmp_ne_u32_e64 s[0:1], s24, v7
                                        ; implicit-def: $vgpr59
	s_and_saveexec_b64 s[12:13], s[0:1]
	s_xor_b64 s[0:1], exec, s[12:13]
; %bb.160:                              ;   in Loop: Header=BB145_48 Depth=1
	v_bfe_u32 v7, v6, 16, 1
	v_add3_u32 v59, v6, v7, s25
                                        ; implicit-def: $vgpr6
; %bb.161:                              ;   in Loop: Header=BB145_48 Depth=1
	s_andn2_saveexec_b64 s[12:13], s[0:1]
; %bb.162:                              ;   in Loop: Header=BB145_48 Depth=1
	v_or_b32_e32 v7, 0x10000, v6
	v_cmp_eq_u32_sdwa s[0:1], v6, v15 src0_sel:WORD_0 src1_sel:DWORD
	s_nop 1
	v_cndmask_b32_e64 v59, v7, v6, s[0:1]
; %bb.163:                              ;   in Loop: Header=BB145_48 Depth=1
	s_or_b64 exec, exec, s[12:13]
	v_lshlrev_b32_e32 v6, 16, v60
	v_mul_f32_e32 v6, v44, v6
	v_and_b32_e32 v7, 0x7f800000, v6
	v_cmp_ne_u32_e64 s[0:1], s24, v7
                                        ; implicit-def: $vgpr60
	s_and_saveexec_b64 s[12:13], s[0:1]
	s_xor_b64 s[0:1], exec, s[12:13]
; %bb.164:                              ;   in Loop: Header=BB145_48 Depth=1
	v_bfe_u32 v7, v6, 16, 1
	v_add3_u32 v60, v6, v7, s25
                                        ; implicit-def: $vgpr6
; %bb.165:                              ;   in Loop: Header=BB145_48 Depth=1
	s_andn2_saveexec_b64 s[12:13], s[0:1]
; %bb.166:                              ;   in Loop: Header=BB145_48 Depth=1
	v_or_b32_e32 v7, 0x10000, v6
	v_cmp_eq_u32_sdwa s[0:1], v6, v15 src0_sel:WORD_0 src1_sel:DWORD
	s_nop 1
	v_cndmask_b32_e64 v60, v7, v6, s[0:1]
; %bb.167:                              ;   in Loop: Header=BB145_48 Depth=1
	s_or_b64 exec, exec, s[12:13]
	v_lshlrev_b32_e32 v6, 16, v8
	v_mul_f32_e32 v6, v45, v6
	v_and_b32_e32 v7, 0x7f800000, v6
	v_cmp_ne_u32_e64 s[0:1], s24, v7
                                        ; implicit-def: $vgpr61
	s_and_saveexec_b64 s[12:13], s[0:1]
	s_xor_b64 s[0:1], exec, s[12:13]
; %bb.168:                              ;   in Loop: Header=BB145_48 Depth=1
	v_bfe_u32 v7, v6, 16, 1
	v_add3_u32 v61, v6, v7, s25
                                        ; implicit-def: $vgpr6
; %bb.169:                              ;   in Loop: Header=BB145_48 Depth=1
	s_andn2_saveexec_b64 s[12:13], s[0:1]
; %bb.170:                              ;   in Loop: Header=BB145_48 Depth=1
	v_or_b32_e32 v7, 0x10000, v6
	v_cmp_eq_u32_sdwa s[0:1], v6, v15 src0_sel:WORD_0 src1_sel:DWORD
	s_nop 1
	v_cndmask_b32_e64 v61, v7, v6, s[0:1]
; %bb.171:                              ;   in Loop: Header=BB145_48 Depth=1
	s_or_b64 exec, exec, s[12:13]
	v_lshlrev_b32_e32 v6, 16, v62
	v_mul_f32_e32 v6, v46, v6
	v_and_b32_e32 v7, 0x7f800000, v6
	v_cmp_ne_u32_e64 s[0:1], s24, v7
                                        ; implicit-def: $vgpr62
	s_and_saveexec_b64 s[12:13], s[0:1]
	s_xor_b64 s[0:1], exec, s[12:13]
; %bb.172:                              ;   in Loop: Header=BB145_48 Depth=1
	v_bfe_u32 v7, v6, 16, 1
	v_add3_u32 v62, v6, v7, s25
                                        ; implicit-def: $vgpr6
; %bb.173:                              ;   in Loop: Header=BB145_48 Depth=1
	s_andn2_saveexec_b64 s[12:13], s[0:1]
; %bb.174:                              ;   in Loop: Header=BB145_48 Depth=1
	v_or_b32_e32 v7, 0x10000, v6
	v_cmp_eq_u32_sdwa s[0:1], v6, v15 src0_sel:WORD_0 src1_sel:DWORD
	s_nop 1
	v_cndmask_b32_e64 v62, v7, v6, s[0:1]
; %bb.175:                              ;   in Loop: Header=BB145_48 Depth=1
	s_or_b64 exec, exec, s[12:13]
	v_lshlrev_b32_e32 v6, 16, v9
	v_mul_f32_e32 v6, v47, v6
	v_and_b32_e32 v7, 0x7f800000, v6
	v_cmp_ne_u32_e64 s[0:1], s24, v7
                                        ; implicit-def: $vgpr63
	s_and_saveexec_b64 s[12:13], s[0:1]
	s_xor_b64 s[0:1], exec, s[12:13]
; %bb.176:                              ;   in Loop: Header=BB145_48 Depth=1
	v_bfe_u32 v7, v6, 16, 1
	v_add3_u32 v63, v6, v7, s25
                                        ; implicit-def: $vgpr6
; %bb.177:                              ;   in Loop: Header=BB145_48 Depth=1
	s_andn2_saveexec_b64 s[12:13], s[0:1]
; %bb.178:                              ;   in Loop: Header=BB145_48 Depth=1
	v_or_b32_e32 v7, 0x10000, v6
	v_cmp_eq_u32_sdwa s[0:1], v6, v15 src0_sel:WORD_0 src1_sel:DWORD
	s_nop 1
	v_cndmask_b32_e64 v63, v7, v6, s[0:1]
; %bb.179:                              ;   in Loop: Header=BB145_48 Depth=1
	s_or_b64 exec, exec, s[12:13]
	v_lshlrev_b32_e32 v6, 16, v64
	v_mul_f32_e32 v6, v48, v6
	v_and_b32_e32 v7, 0x7f800000, v6
	v_cmp_ne_u32_e64 s[0:1], s24, v7
                                        ; implicit-def: $vgpr64
	s_and_saveexec_b64 s[12:13], s[0:1]
	s_xor_b64 s[0:1], exec, s[12:13]
; %bb.180:                              ;   in Loop: Header=BB145_48 Depth=1
	v_bfe_u32 v7, v6, 16, 1
	v_add3_u32 v64, v6, v7, s25
                                        ; implicit-def: $vgpr6
; %bb.181:                              ;   in Loop: Header=BB145_48 Depth=1
	s_andn2_saveexec_b64 s[12:13], s[0:1]
; %bb.182:                              ;   in Loop: Header=BB145_48 Depth=1
	v_or_b32_e32 v7, 0x10000, v6
	v_cmp_eq_u32_sdwa s[0:1], v6, v15 src0_sel:WORD_0 src1_sel:DWORD
	s_nop 1
	v_cndmask_b32_e64 v64, v7, v6, s[0:1]
; %bb.183:                              ;   in Loop: Header=BB145_48 Depth=1
	s_or_b64 exec, exec, s[12:13]
	global_load_dwordx4 v[6:9], v[10:11], off offset:3072
	s_waitcnt vmcnt(0)
	v_lshrrev_b32_e32 v10, 16, v6
	v_lshrrev_b32_e32 v66, 16, v7
	;; [unrolled: 1-line block ×4, first 2 shown]
	s_and_saveexec_b64 s[0:1], vcc
	s_cbranch_execz .LBB145_185
; %bb.184:                              ;   in Loop: Header=BB145_48 Depth=1
	v_cmp_gt_i32_e32 vcc, s33, v32
	s_nop 1
	v_cndmask_b32_e32 v6, 0, v6, vcc
	v_cmp_gt_i32_e32 vcc, s33, v39
	s_nop 1
	v_cndmask_b32_e32 v10, 0, v10, vcc
	;; [unrolled: 3-line block ×8, first 2 shown]
.LBB145_185:                            ;   in Loop: Header=BB145_48 Depth=1
	s_or_b64 exec, exec, s[0:1]
	v_lshlrev_b32_e32 v6, 16, v6
	v_mul_f32_e32 v32, v41, v6
	v_and_b32_e32 v6, 0x7f800000, v32
	v_cmp_ne_u32_e32 vcc, s24, v6
                                        ; implicit-def: $vgpr6
	s_and_saveexec_b64 s[0:1], vcc
	s_xor_b64 s[0:1], exec, s[0:1]
; %bb.186:                              ;   in Loop: Header=BB145_48 Depth=1
	v_bfe_u32 v6, v32, 16, 1
	v_add3_u32 v6, v32, v6, s25
                                        ; implicit-def: $vgpr32
; %bb.187:                              ;   in Loop: Header=BB145_48 Depth=1
	s_andn2_saveexec_b64 s[0:1], s[0:1]
; %bb.188:                              ;   in Loop: Header=BB145_48 Depth=1
	v_or_b32_e32 v6, 0x10000, v32
	v_cmp_eq_u32_sdwa vcc, v32, v15 src0_sel:WORD_0 src1_sel:DWORD
	s_nop 1
	v_cndmask_b32_e32 v6, v6, v32, vcc
; %bb.189:                              ;   in Loop: Header=BB145_48 Depth=1
	s_or_b64 exec, exec, s[0:1]
	v_lshlrev_b32_e32 v10, 16, v10
	v_mul_f32_e32 v32, v42, v10
	v_and_b32_e32 v10, 0x7f800000, v32
	v_cmp_ne_u32_e32 vcc, s24, v10
                                        ; implicit-def: $vgpr10
	s_and_saveexec_b64 s[0:1], vcc
	s_xor_b64 s[0:1], exec, s[0:1]
; %bb.190:                              ;   in Loop: Header=BB145_48 Depth=1
	v_bfe_u32 v10, v32, 16, 1
	v_add3_u32 v10, v32, v10, s25
                                        ; implicit-def: $vgpr32
; %bb.191:                              ;   in Loop: Header=BB145_48 Depth=1
	s_andn2_saveexec_b64 s[0:1], s[0:1]
; %bb.192:                              ;   in Loop: Header=BB145_48 Depth=1
	v_or_b32_e32 v10, 0x10000, v32
	v_cmp_eq_u32_sdwa vcc, v32, v15 src0_sel:WORD_0 src1_sel:DWORD
	s_nop 1
	v_cndmask_b32_e32 v10, v10, v32, vcc
; %bb.193:                              ;   in Loop: Header=BB145_48 Depth=1
	s_or_b64 exec, exec, s[0:1]
	v_lshlrev_b32_e32 v7, 16, v7
	v_mul_f32_e32 v32, v43, v7
	v_and_b32_e32 v7, 0x7f800000, v32
	v_cmp_ne_u32_e32 vcc, s24, v7
                                        ; implicit-def: $vgpr7
	s_and_saveexec_b64 s[0:1], vcc
	s_xor_b64 s[0:1], exec, s[0:1]
; %bb.194:                              ;   in Loop: Header=BB145_48 Depth=1
	v_bfe_u32 v7, v32, 16, 1
	v_add3_u32 v7, v32, v7, s25
                                        ; implicit-def: $vgpr32
; %bb.195:                              ;   in Loop: Header=BB145_48 Depth=1
	s_andn2_saveexec_b64 s[0:1], s[0:1]
; %bb.196:                              ;   in Loop: Header=BB145_48 Depth=1
	v_or_b32_e32 v7, 0x10000, v32
	v_cmp_eq_u32_sdwa vcc, v32, v15 src0_sel:WORD_0 src1_sel:DWORD
	s_nop 1
	v_cndmask_b32_e32 v7, v7, v32, vcc
; %bb.197:                              ;   in Loop: Header=BB145_48 Depth=1
	s_or_b64 exec, exec, s[0:1]
	v_lshlrev_b32_e32 v32, 16, v66
	v_mul_f32_e32 v33, v44, v32
	v_and_b32_e32 v32, 0x7f800000, v33
	v_cmp_ne_u32_e32 vcc, s24, v32
                                        ; implicit-def: $vgpr32
	s_and_saveexec_b64 s[0:1], vcc
	s_xor_b64 s[0:1], exec, s[0:1]
; %bb.198:                              ;   in Loop: Header=BB145_48 Depth=1
	v_bfe_u32 v32, v33, 16, 1
	v_add3_u32 v32, v33, v32, s25
                                        ; implicit-def: $vgpr33
; %bb.199:                              ;   in Loop: Header=BB145_48 Depth=1
	s_andn2_saveexec_b64 s[0:1], s[0:1]
; %bb.200:                              ;   in Loop: Header=BB145_48 Depth=1
	v_or_b32_e32 v32, 0x10000, v33
	v_cmp_eq_u32_sdwa vcc, v33, v15 src0_sel:WORD_0 src1_sel:DWORD
	s_nop 1
	v_cndmask_b32_e32 v32, v32, v33, vcc
; %bb.201:                              ;   in Loop: Header=BB145_48 Depth=1
	s_or_b64 exec, exec, s[0:1]
	v_lshlrev_b32_e32 v8, 16, v8
	v_mul_f32_e32 v33, v45, v8
	v_and_b32_e32 v8, 0x7f800000, v33
	v_cmp_ne_u32_e32 vcc, s24, v8
                                        ; implicit-def: $vgpr8
	s_and_saveexec_b64 s[0:1], vcc
	s_xor_b64 s[0:1], exec, s[0:1]
; %bb.202:                              ;   in Loop: Header=BB145_48 Depth=1
	v_bfe_u32 v8, v33, 16, 1
	v_add3_u32 v8, v33, v8, s25
                                        ; implicit-def: $vgpr33
; %bb.203:                              ;   in Loop: Header=BB145_48 Depth=1
	s_andn2_saveexec_b64 s[0:1], s[0:1]
; %bb.204:                              ;   in Loop: Header=BB145_48 Depth=1
	v_or_b32_e32 v8, 0x10000, v33
	v_cmp_eq_u32_sdwa vcc, v33, v15 src0_sel:WORD_0 src1_sel:DWORD
	s_nop 1
	v_cndmask_b32_e32 v8, v8, v33, vcc
; %bb.205:                              ;   in Loop: Header=BB145_48 Depth=1
	s_or_b64 exec, exec, s[0:1]
	v_lshlrev_b32_e32 v33, 16, v65
	v_mul_f32_e32 v34, v46, v33
	v_and_b32_e32 v33, 0x7f800000, v34
	v_cmp_ne_u32_e32 vcc, s24, v33
                                        ; implicit-def: $vgpr33
	s_and_saveexec_b64 s[0:1], vcc
	s_xor_b64 s[0:1], exec, s[0:1]
; %bb.206:                              ;   in Loop: Header=BB145_48 Depth=1
	v_bfe_u32 v33, v34, 16, 1
	v_add3_u32 v33, v34, v33, s25
                                        ; implicit-def: $vgpr34
; %bb.207:                              ;   in Loop: Header=BB145_48 Depth=1
	s_andn2_saveexec_b64 s[0:1], s[0:1]
; %bb.208:                              ;   in Loop: Header=BB145_48 Depth=1
	v_or_b32_e32 v33, 0x10000, v34
	v_cmp_eq_u32_sdwa vcc, v34, v15 src0_sel:WORD_0 src1_sel:DWORD
	s_nop 1
	v_cndmask_b32_e32 v33, v33, v34, vcc
; %bb.209:                              ;   in Loop: Header=BB145_48 Depth=1
	s_or_b64 exec, exec, s[0:1]
	v_lshlrev_b32_e32 v9, 16, v9
	v_mul_f32_e32 v34, v47, v9
	v_and_b32_e32 v9, 0x7f800000, v34
	v_cmp_ne_u32_e32 vcc, s24, v9
                                        ; implicit-def: $vgpr9
	s_and_saveexec_b64 s[0:1], vcc
	s_xor_b64 s[0:1], exec, s[0:1]
; %bb.210:                              ;   in Loop: Header=BB145_48 Depth=1
	v_bfe_u32 v9, v34, 16, 1
	v_add3_u32 v9, v34, v9, s25
                                        ; implicit-def: $vgpr34
; %bb.211:                              ;   in Loop: Header=BB145_48 Depth=1
	s_andn2_saveexec_b64 s[0:1], s[0:1]
; %bb.212:                              ;   in Loop: Header=BB145_48 Depth=1
	v_or_b32_e32 v9, 0x10000, v34
	v_cmp_eq_u32_sdwa vcc, v34, v15 src0_sel:WORD_0 src1_sel:DWORD
	s_nop 1
	v_cndmask_b32_e32 v9, v9, v34, vcc
; %bb.213:                              ;   in Loop: Header=BB145_48 Depth=1
	s_or_b64 exec, exec, s[0:1]
	v_lshlrev_b32_e32 v11, 16, v11
	v_mul_f32_e32 v34, v48, v11
	v_and_b32_e32 v11, 0x7f800000, v34
	v_cmp_ne_u32_e32 vcc, s24, v11
                                        ; implicit-def: $vgpr11
	s_and_saveexec_b64 s[0:1], vcc
	s_xor_b64 s[0:1], exec, s[0:1]
; %bb.214:                              ;   in Loop: Header=BB145_48 Depth=1
	v_bfe_u32 v11, v34, 16, 1
	v_add3_u32 v11, v34, v11, s25
                                        ; implicit-def: $vgpr34
; %bb.215:                              ;   in Loop: Header=BB145_48 Depth=1
	s_andn2_saveexec_b64 s[0:1], s[0:1]
	s_cbranch_execz .LBB145_46
; %bb.216:                              ;   in Loop: Header=BB145_48 Depth=1
	v_or_b32_e32 v11, 0x10000, v34
	v_cmp_eq_u32_sdwa vcc, v34, v15 src0_sel:WORD_0 src1_sel:DWORD
	s_nop 1
	v_cndmask_b32_e32 v11, v11, v34, vcc
	s_branch .LBB145_46
.LBB145_217:
	s_or_b64 exec, exec, s[6:7]
.LBB145_218:
	s_or_b64 exec, exec, s[2:3]
	ds_bpermute_b32 v6, v21, v2
	ds_bpermute_b32 v7, v21, v3
	;; [unrolled: 1-line block ×4, first 2 shown]
	v_and_b32_e32 v1, 0x3c3, v0
	v_cmp_eq_u32_e32 vcc, 64, v1
	s_waitcnt lgkmcnt(2)
	v_pk_add_f32 v[2:3], v[2:3], v[6:7]
	ds_bpermute_b32 v6, v22, v2
	s_waitcnt lgkmcnt(1)
	v_pk_add_f32 v[8:9], v[4:5], v[8:9]
	ds_bpermute_b32 v7, v22, v3
	ds_bpermute_b32 v10, v22, v8
	ds_bpermute_b32 v11, v22, v9
	s_waitcnt lgkmcnt(0)
	s_barrier
	v_pk_add_f32 v[4:5], v[2:3], v[6:7]
	v_pk_add_f32 v[2:3], v[8:9], v[10:11]
	s_and_saveexec_b64 s[0:1], vcc
	s_cbranch_execz .LBB145_220
; %bb.219:
	v_add_u32_e32 v1, 0x90, v20
	ds_write2_b32 v1, v4, v5 offset1:16
	ds_write2_b32 v1, v2, v3 offset0:32 offset1:48
.LBB145_220:
	s_or_b64 exec, exec, s[0:1]
	v_cmp_gt_u32_e32 vcc, 64, v0
	s_waitcnt lgkmcnt(0)
	s_barrier
	s_and_saveexec_b64 s[2:3], vcc
	s_cbranch_execz .LBB145_227
; %bb.221:
	v_cmp_eq_u32_e64 s[0:1], 0, v23
	v_lshrrev_b32_e32 v1, 2, v0
	s_and_saveexec_b64 s[6:7], s[0:1]
	s_cbranch_execnz .LBB145_247
; %bb.222:
	s_or_b64 exec, exec, s[6:7]
	s_and_saveexec_b64 s[6:7], s[0:1]
	s_cbranch_execnz .LBB145_248
.LBB145_223:
	s_or_b64 exec, exec, s[6:7]
	s_and_saveexec_b64 s[6:7], s[0:1]
	s_cbranch_execnz .LBB145_249
.LBB145_224:
	s_or_b64 exec, exec, s[6:7]
	s_and_saveexec_b64 s[6:7], s[0:1]
	s_cbranch_execz .LBB145_226
.LBB145_225:
	v_mov_b32_e32 v6, 0x90
	v_lshl_add_u32 v1, v1, 2, v6
	ds_read_b32 v1, v1 offset:192
	s_waitcnt lgkmcnt(0)
	v_add_f32_e32 v3, v3, v1
.LBB145_226:
	s_or_b64 exec, exec, s[6:7]
.LBB145_227:
	s_or_b64 exec, exec, s[2:3]
	s_barrier
	s_and_saveexec_b64 s[0:1], vcc
	s_cbranch_execz .LBB145_246
; %bb.228:
	v_cmp_eq_u32_e32 vcc, 0, v23
	s_and_b64 exec, exec, vcc
	s_cbranch_execz .LBB145_246
; %bb.229:
	s_mov_b32 s0, 0x7f800000
	v_and_b32_e32 v1, 0x7f800000, v4
	v_cmp_ne_u32_e32 vcc, s0, v1
                                        ; implicit-def: $vgpr6
	s_and_saveexec_b64 s[0:1], vcc
	s_xor_b64 s[0:1], exec, s[0:1]
; %bb.230:
	v_bfe_u32 v1, v4, 16, 1
	s_movk_i32 s2, 0x7fff
	v_add3_u32 v6, v4, v1, s2
; %bb.231:
	s_andn2_saveexec_b64 s[0:1], s[0:1]
; %bb.232:
	v_mov_b32_e32 v1, 0
	v_or_b32_e32 v6, 0x10000, v4
	v_cmp_eq_u32_sdwa vcc, v4, v1 src0_sel:WORD_0 src1_sel:DWORD
	s_nop 1
	v_cndmask_b32_e32 v6, v6, v4, vcc
; %bb.233:
	s_or_b64 exec, exec, s[0:1]
	s_mul_i32 s0, s10, s11
	s_mul_i32 s0, s0, s5
	s_lshl_b32 s0, s0, 6
	s_ashr_i32 s1, s0, 31
	s_lshl_b64 s[0:1], s[0:1], 1
	s_add_u32 s2, s22, s0
	s_mul_i32 s0, s11, s20
	s_addc_u32 s3, s23, s1
	s_ashr_i32 s1, s0, 31
	s_lshl_b64 s[0:1], s[0:1], 1
	s_add_u32 s2, s2, s0
	s_addc_u32 s3, s3, s1
	s_lshl_b32 s0, s4, 6
	s_ashr_i32 s1, s0, 31
	s_lshl_b64 s[0:1], s[0:1], 1
	s_add_u32 s0, s2, s0
	v_lshrrev_b32_e32 v0, 1, v0
	s_mov_b32 s2, 0x7f800000
	v_and_b32_e32 v4, 0x7f800000, v5
	s_addc_u32 s1, s3, s1
	v_and_b32_e32 v0, 0x1fe, v0
	v_mov_b32_e32 v1, 0
	v_cmp_ne_u32_e32 vcc, s2, v4
	global_store_short_d16_hi v0, v6, s[0:1]
                                        ; implicit-def: $vgpr4
	s_and_saveexec_b64 s[2:3], vcc
	s_xor_b64 s[2:3], exec, s[2:3]
; %bb.234:
	v_bfe_u32 v4, v5, 16, 1
	s_movk_i32 s4, 0x7fff
	v_add3_u32 v4, v5, v4, s4
; %bb.235:
	s_or_saveexec_b64 s[2:3], s[2:3]
	v_lshl_add_u64 v[6:7], s[0:1], 0, v[0:1]
	s_xor_b64 exec, exec, s[2:3]
; %bb.236:
	v_mov_b32_e32 v0, 0
	v_or_b32_e32 v1, 0x10000, v5
	v_cmp_eq_u32_sdwa vcc, v5, v0 src0_sel:WORD_0 src1_sel:DWORD
	s_nop 1
	v_cndmask_b32_e32 v4, v1, v5, vcc
; %bb.237:
	s_or_b64 exec, exec, s[2:3]
	s_mov_b32 s0, 0x7f800000
	v_and_b32_e32 v0, 0x7f800000, v2
	v_cmp_ne_u32_e32 vcc, s0, v0
	global_store_short_d16_hi v[6:7], v4, off offset:32
                                        ; implicit-def: $vgpr0
	s_and_saveexec_b64 s[0:1], vcc
	s_xor_b64 s[0:1], exec, s[0:1]
; %bb.238:
	v_bfe_u32 v0, v2, 16, 1
	s_movk_i32 s2, 0x7fff
	v_add3_u32 v0, v2, v0, s2
; %bb.239:
	s_andn2_saveexec_b64 s[0:1], s[0:1]
; %bb.240:
	v_mov_b32_e32 v0, 0
	v_or_b32_e32 v1, 0x10000, v2
	v_cmp_eq_u32_sdwa vcc, v2, v0 src0_sel:WORD_0 src1_sel:DWORD
	s_nop 1
	v_cndmask_b32_e32 v0, v1, v2, vcc
; %bb.241:
	s_or_b64 exec, exec, s[0:1]
	global_store_short_d16_hi v[6:7], v0, off offset:64
	s_mov_b32 s0, 0x7f800000
	v_and_b32_e32 v0, 0x7f800000, v3
	v_cmp_ne_u32_e32 vcc, s0, v0
                                        ; implicit-def: $vgpr4
	s_and_saveexec_b64 s[0:1], vcc
	s_xor_b64 s[0:1], exec, s[0:1]
; %bb.242:
	v_bfe_u32 v0, v3, 16, 1
	s_movk_i32 s2, 0x7fff
	v_add3_u32 v4, v3, v0, s2
                                        ; implicit-def: $vgpr0_vgpr1_vgpr2_vgpr3
; %bb.243:
	s_andn2_saveexec_b64 s[0:1], s[0:1]
; %bb.244:
	v_mov_b32_e32 v0, 0
	v_or_b32_e32 v1, 0x10000, v3
	v_cmp_eq_u32_sdwa vcc, v3, v0 src0_sel:WORD_0 src1_sel:DWORD
	s_nop 1
	v_cndmask_b32_e32 v4, v1, v3, vcc
; %bb.245:
	s_or_b64 exec, exec, s[0:1]
	global_store_short_d16_hi v[6:7], v4, off offset:96
.LBB145_246:
	s_endpgm
.LBB145_247:
	v_mov_b32_e32 v6, 0x90
	v_lshl_add_u32 v6, v1, 2, v6
	ds_read_b32 v6, v6
	s_waitcnt lgkmcnt(0)
	v_add_f32_e32 v4, v4, v6
	s_or_b64 exec, exec, s[6:7]
	s_and_saveexec_b64 s[6:7], s[0:1]
	s_cbranch_execz .LBB145_223
.LBB145_248:
	v_mov_b32_e32 v6, 0x90
	v_lshl_add_u32 v6, v1, 2, v6
	ds_read_b32 v6, v6 offset:64
	s_waitcnt lgkmcnt(0)
	v_add_f32_e32 v5, v5, v6
	s_or_b64 exec, exec, s[6:7]
	s_and_saveexec_b64 s[6:7], s[0:1]
	s_cbranch_execz .LBB145_224
.LBB145_249:
	v_mov_b32_e32 v6, 0x90
	v_lshl_add_u32 v6, v1, 2, v6
	ds_read_b32 v6, v6 offset:128
	s_waitcnt lgkmcnt(0)
	v_add_f32_e32 v2, v2, v6
	s_or_b64 exec, exec, s[6:7]
	s_and_saveexec_b64 s[6:7], s[0:1]
	s_cbranch_execnz .LBB145_225
	s_branch .LBB145_226
	.section	.rodata,"a",@progbits
	.p2align	6, 0x0
	.amdhsa_kernel _ZN4vllm25paged_attention_v1_kernelI14__hip_bfloat16S1_Li64ELi32ELi128ELNS_18Fp8KVCacheDataTypeE0ELb1EEEvPT_PKS3_PKT0_S9_ifPKiSB_iPKfiiiSD_SD_iiiii
		.amdhsa_group_segment_fixed_size 144
		.amdhsa_private_segment_fixed_size 0
		.amdhsa_kernarg_size 384
		.amdhsa_user_sgpr_count 2
		.amdhsa_user_sgpr_dispatch_ptr 0
		.amdhsa_user_sgpr_queue_ptr 0
		.amdhsa_user_sgpr_kernarg_segment_ptr 1
		.amdhsa_user_sgpr_dispatch_id 0
		.amdhsa_user_sgpr_kernarg_preload_length 0
		.amdhsa_user_sgpr_kernarg_preload_offset 0
		.amdhsa_user_sgpr_private_segment_size 0
		.amdhsa_uses_dynamic_stack 0
		.amdhsa_enable_private_segment 0
		.amdhsa_system_sgpr_workgroup_id_x 1
		.amdhsa_system_sgpr_workgroup_id_y 1
		.amdhsa_system_sgpr_workgroup_id_z 1
		.amdhsa_system_sgpr_workgroup_info 0
		.amdhsa_system_vgpr_workitem_id 0
		.amdhsa_next_free_vgpr 87
		.amdhsa_next_free_sgpr 44
		.amdhsa_accum_offset 88
		.amdhsa_reserve_vcc 1
		.amdhsa_float_round_mode_32 0
		.amdhsa_float_round_mode_16_64 0
		.amdhsa_float_denorm_mode_32 3
		.amdhsa_float_denorm_mode_16_64 3
		.amdhsa_dx10_clamp 1
		.amdhsa_ieee_mode 1
		.amdhsa_fp16_overflow 0
		.amdhsa_tg_split 0
		.amdhsa_exception_fp_ieee_invalid_op 0
		.amdhsa_exception_fp_denorm_src 0
		.amdhsa_exception_fp_ieee_div_zero 0
		.amdhsa_exception_fp_ieee_overflow 0
		.amdhsa_exception_fp_ieee_underflow 0
		.amdhsa_exception_fp_ieee_inexact 0
		.amdhsa_exception_int_div_zero 0
	.end_amdhsa_kernel
	.section	.text._ZN4vllm25paged_attention_v1_kernelI14__hip_bfloat16S1_Li64ELi32ELi128ELNS_18Fp8KVCacheDataTypeE0ELb1EEEvPT_PKS3_PKT0_S9_ifPKiSB_iPKfiiiSD_SD_iiiii,"axG",@progbits,_ZN4vllm25paged_attention_v1_kernelI14__hip_bfloat16S1_Li64ELi32ELi128ELNS_18Fp8KVCacheDataTypeE0ELb1EEEvPT_PKS3_PKT0_S9_ifPKiSB_iPKfiiiSD_SD_iiiii,comdat
.Lfunc_end145:
	.size	_ZN4vllm25paged_attention_v1_kernelI14__hip_bfloat16S1_Li64ELi32ELi128ELNS_18Fp8KVCacheDataTypeE0ELb1EEEvPT_PKS3_PKT0_S9_ifPKiSB_iPKfiiiSD_SD_iiiii, .Lfunc_end145-_ZN4vllm25paged_attention_v1_kernelI14__hip_bfloat16S1_Li64ELi32ELi128ELNS_18Fp8KVCacheDataTypeE0ELb1EEEvPT_PKS3_PKT0_S9_ifPKiSB_iPKfiiiSD_SD_iiiii
                                        ; -- End function
	.section	.AMDGPU.csdata,"",@progbits
; Kernel info:
; codeLenInByte = 9284
; NumSgprs: 50
; NumVgprs: 87
; NumAgprs: 0
; TotalNumVgprs: 87
; ScratchSize: 0
; MemoryBound: 0
; FloatMode: 240
; IeeeMode: 1
; LDSByteSize: 144 bytes/workgroup (compile time only)
; SGPRBlocks: 6
; VGPRBlocks: 10
; NumSGPRsForWavesPerEU: 50
; NumVGPRsForWavesPerEU: 87
; AccumOffset: 88
; Occupancy: 5
; WaveLimiterHint : 1
; COMPUTE_PGM_RSRC2:SCRATCH_EN: 0
; COMPUTE_PGM_RSRC2:USER_SGPR: 2
; COMPUTE_PGM_RSRC2:TRAP_HANDLER: 0
; COMPUTE_PGM_RSRC2:TGID_X_EN: 1
; COMPUTE_PGM_RSRC2:TGID_Y_EN: 1
; COMPUTE_PGM_RSRC2:TGID_Z_EN: 1
; COMPUTE_PGM_RSRC2:TIDIG_COMP_CNT: 0
; COMPUTE_PGM_RSRC3_GFX90A:ACCUM_OFFSET: 21
; COMPUTE_PGM_RSRC3_GFX90A:TG_SPLIT: 0
	.section	.text._ZN4vllm25paged_attention_v1_kernelI14__hip_bfloat16S1_Li80ELi32ELi128ELNS_18Fp8KVCacheDataTypeE0ELb1EEEvPT_PKS3_PKT0_S9_ifPKiSB_iPKfiiiSD_SD_iiiii,"axG",@progbits,_ZN4vllm25paged_attention_v1_kernelI14__hip_bfloat16S1_Li80ELi32ELi128ELNS_18Fp8KVCacheDataTypeE0ELb1EEEvPT_PKS3_PKT0_S9_ifPKiSB_iPKfiiiSD_SD_iiiii,comdat
	.protected	_ZN4vllm25paged_attention_v1_kernelI14__hip_bfloat16S1_Li80ELi32ELi128ELNS_18Fp8KVCacheDataTypeE0ELb1EEEvPT_PKS3_PKT0_S9_ifPKiSB_iPKfiiiSD_SD_iiiii ; -- Begin function _ZN4vllm25paged_attention_v1_kernelI14__hip_bfloat16S1_Li80ELi32ELi128ELNS_18Fp8KVCacheDataTypeE0ELb1EEEvPT_PKS3_PKT0_S9_ifPKiSB_iPKfiiiSD_SD_iiiii
	.globl	_ZN4vllm25paged_attention_v1_kernelI14__hip_bfloat16S1_Li80ELi32ELi128ELNS_18Fp8KVCacheDataTypeE0ELb1EEEvPT_PKS3_PKT0_S9_ifPKiSB_iPKfiiiSD_SD_iiiii
	.p2align	8
	.type	_ZN4vllm25paged_attention_v1_kernelI14__hip_bfloat16S1_Li80ELi32ELi128ELNS_18Fp8KVCacheDataTypeE0ELb1EEEvPT_PKS3_PKT0_S9_ifPKiSB_iPKfiiiSD_SD_iiiii,@function
_ZN4vllm25paged_attention_v1_kernelI14__hip_bfloat16S1_Li80ELi32ELi128ELNS_18Fp8KVCacheDataTypeE0ELb1EEEvPT_PKS3_PKT0_S9_ifPKiSB_iPKfiiiSD_SD_iiiii: ; @_ZN4vllm25paged_attention_v1_kernelI14__hip_bfloat16S1_Li80ELi32ELi128ELNS_18Fp8KVCacheDataTypeE0ELb1EEEvPT_PKS3_PKT0_S9_ifPKiSB_iPKfiiiSD_SD_iiiii
; %bb.0:
	s_load_dword s5, s[0:1], 0x80
	s_load_dwordx2 s[6:7], s[0:1], 0x30
	s_load_dwordx2 s[30:31], s[0:1], 0x20
	s_mov_b32 s10, s3
	s_ashr_i32 s11, s3, 31
	s_lshl_b64 s[8:9], s[10:11], 2
	s_waitcnt lgkmcnt(0)
	s_add_u32 s6, s6, s8
	s_addc_u32 s7, s7, s9
	s_abs_i32 s3, s30
	v_cvt_f32_u32_e32 v1, s3
	s_sub_i32 s11, 0, s3
	s_abs_i32 s9, s5
	s_xor_b32 s8, s5, s30
	v_rcp_iflag_f32_e32 v1, v1
	s_ashr_i32 s8, s8, 31
	s_mov_b32 s42, 0
	v_mul_f32_e32 v1, 0x4f7ffffe, v1
	v_cvt_u32_f32_e32 v1, v1
	s_nop 0
	v_readfirstlane_b32 s12, v1
	s_mul_i32 s11, s11, s12
	s_mul_hi_u32 s11, s12, s11
	s_add_i32 s12, s12, s11
	s_mul_hi_u32 s11, s9, s12
	s_mul_i32 s12, s11, s3
	s_sub_i32 s9, s9, s12
	s_add_i32 s12, s11, 1
	s_sub_i32 s13, s9, s3
	s_cmp_ge_u32 s9, s3
	s_cselect_b32 s11, s12, s11
	s_cselect_b32 s9, s13, s9
	s_add_i32 s12, s11, 1
	s_cmp_ge_u32 s9, s3
	s_cselect_b32 s3, s12, s11
	s_xor_b32 s3, s3, s8
	s_sub_i32 s12, s3, s8
	s_abs_i32 s11, s12
	v_cvt_f32_u32_e32 v1, s11
	s_load_dwordx2 s[8:9], s[0:1], 0x40
	s_sub_i32 s3, 0, s11
	s_abs_i32 s22, s2
	v_rcp_iflag_f32_e32 v1, v1
	s_nop 0
	v_mul_f32_e32 v1, 0x4f7ffffe, v1
	v_cvt_u32_f32_e32 v1, v1
	s_nop 0
	v_readfirstlane_b32 s13, v1
	s_mul_i32 s3, s3, s13
	s_mul_hi_u32 s3, s13, s3
	s_add_i32 s13, s13, s3
	s_waitcnt lgkmcnt(0)
	s_cmp_eq_u64 s[8:9], 0
	s_mul_hi_u32 s23, s22, s13
	s_cbranch_scc1 .LBB146_2
; %bb.1:
	s_ashr_i32 s3, s2, 31
	s_lshl_b64 s[14:15], s[2:3], 2
	s_add_u32 s8, s8, s14
	s_addc_u32 s9, s9, s15
	s_load_dword s42, s[8:9], 0x0
.LBB146_2:
	s_load_dword s33, s[6:7], 0x0
	s_ashr_i32 s9, s12, 31
	s_load_dwordx4 s[12:15], s[0:1], 0x48
	s_ashr_i32 s3, s2, 31
	v_and_b32_e32 v4, 1, v0
	s_movk_i32 s8, 0x50
	s_mul_i32 s20, s2, 0x50
	v_cmp_gt_u32_e32 vcc, 20, v0
	v_lshlrev_b32_e32 v14, 3, v0
	s_and_saveexec_b64 s[6:7], vcc
	s_cbranch_execz .LBB146_4
; %bb.3:
	s_load_dwordx2 s[16:17], s[0:1], 0x8
	s_waitcnt lgkmcnt(0)
	s_mul_i32 s18, s10, s12
	s_ashr_i32 s19, s18, 31
	s_lshl_b64 s[18:19], s[18:19], 1
	v_lshlrev_b32_e32 v1, 2, v0
	s_add_u32 s12, s16, s18
	s_addc_u32 s15, s17, s19
	s_ashr_i32 s21, s20, 31
	s_lshl_b64 s[16:17], s[20:21], 1
	s_add_u32 s16, s12, s16
	s_addc_u32 s17, s15, s17
	global_load_dwordx2 v[2:3], v14, s[16:17]
	v_and_b32_e32 v1, 0xff8, v1
	v_mad_u32_u24 v1, v4, s8, v1
	s_waitcnt vmcnt(0)
	ds_write_b64 v1, v[2:3]
.LBB146_4:
	s_or_b64 exec, exec, s[6:7]
	s_mul_i32 s6, s23, s11
	s_sub_i32 s6, s22, s6
	s_xor_b32 s3, s3, s9
	s_add_i32 s7, s23, 1
	s_sub_i32 s9, s6, s11
	s_load_dwordx4 s[16:19], s[0:1], 0x68
	s_load_dword s8, s[0:1], 0x78
	s_cmp_ge_u32 s6, s11
	s_cselect_b32 s7, s7, s23
	s_cselect_b32 s6, s9, s6
	s_add_i32 s9, s7, 1
	s_cmp_ge_u32 s6, s11
	s_cselect_b32 s6, s9, s7
	s_waitcnt lgkmcnt(0)
	s_abs_i32 s21, s19
	v_cvt_f32_u32_e32 v1, s21
	s_xor_b32 s6, s6, s3
	s_sub_i32 s3, s6, s3
	s_sub_i32 s6, 0, s21
	v_rcp_iflag_f32_e32 v1, v1
	s_add_i32 s11, s33, -1
	s_abs_i32 s9, s11
	v_mul_f32_e32 v1, 0x4f7ffffe, v1
	v_cvt_u32_f32_e32 v1, v1
	s_barrier
	v_readfirstlane_b32 s40, v1
	s_mul_i32 s6, s6, s40
	s_mul_hi_u32 s6, s40, s6
	s_add_i32 s40, s40, s6
	s_cmp_lt_i32 s8, 0
	s_mul_hi_u32 s12, s9, s40
	s_cbranch_scc0 .LBB146_6
; %bb.5:
	s_mul_i32 s6, s16, s30
	s_add_i32 s6, s3, s6
	s_mul_i32 s6, s6, s8
	s_sub_i32 s41, 1, s6
	s_mov_b64 s[6:7], 0
	s_branch .LBB146_7
.LBB146_6:
	s_mov_b64 s[6:7], -1
                                        ; implicit-def: $sgpr41
.LBB146_7:
	s_load_dwordx2 s[24:25], s[0:1], 0x28
	s_ashr_i32 s15, s11, 31
	s_andn2_b64 vcc, exec, s[6:7]
	s_ashr_i32 s19, s19, 31
	s_cbranch_vccnz .LBB146_9
; %bb.8:
	s_mul_i32 s6, s5, s16
	s_add_i32 s2, s6, s2
	s_mul_i32 s2, s2, s8
	s_add_i32 s41, s2, 1
.LBB146_9:
	s_load_dword s2, s[0:1], 0x38
	s_load_dwordx2 s[22:23], s[0:1], 0x0
	s_load_dwordx2 s[28:29], s[0:1], 0x18
	s_load_dword s11, s[0:1], 0x88
	s_xor_b32 s6, s15, s19
	s_waitcnt lgkmcnt(0)
	s_mul_i32 s26, s10, s2
	s_mul_i32 s2, s12, s21
	s_sub_i32 s2, s9, s2
	s_ashr_i32 s27, s26, 31
	s_add_i32 s7, s12, 1
	s_sub_i32 s8, s2, s21
	s_cmp_ge_u32 s2, s21
	s_cselect_b32 s7, s7, s12
	s_cselect_b32 s2, s8, s2
	s_add_i32 s8, s7, 1
	s_cmp_ge_u32 s2, s21
	s_cselect_b32 s2, s8, s7
	s_xor_b32 s2, s2, s6
	s_sub_i32 s12, s2, s6
	s_add_i32 s2, s33, 31
	s_ashr_i32 s6, s2, 31
	s_lshr_b32 s6, s6, 27
	s_add_i32 s2, s2, s6
	s_ashr_i32 s16, s2, 5
	v_lshrrev_b32_e32 v1, 6, v0
	v_cmp_gt_i32_e64 s[6:7], s16, v1
	v_mov_b32_e32 v19, 0xff7fffff
	s_mul_i32 s14, s3, s14
	v_lshrrev_b32_e32 v16, 4, v0
	v_lshlrev_b32_e32 v20, 5, v1
	v_mbcnt_lo_u32_b32 v15, -1, 0
	s_and_saveexec_b64 s[34:35], s[6:7]
	s_cbranch_execz .LBB146_19
; %bb.10:
	s_load_dwordx2 s[0:1], s[0:1], 0x10
	s_ashr_i32 s15, s14, 31
	s_sub_i32 s30, s12, s17
	s_lshl_b64 s[2:3], s[14:15], 1
	v_bfe_u32 v17, v0, 1, 5
	s_waitcnt lgkmcnt(0)
	s_add_u32 s0, s0, s2
	s_addc_u32 s1, s1, s3
	s_abs_i32 s15, s18
	v_cvt_f32_u32_e32 v2, s15
	v_lshlrev_b32_e32 v6, 4, v17
	v_mov_b32_e32 v7, 0
	v_cmp_eq_u32_e32 vcc, 0, v4
	v_rcp_iflag_f32_e32 v5, v2
	v_lshl_add_u64 v[2:3], s[0:1], 0, v[6:7]
	s_sub_i32 s0, 0, s15
	v_mul_u32_u24_e32 v18, 0x50, v4
	v_mul_f32_e32 v5, 0x4f7ffffe, v5
	v_cvt_u32_f32_e32 v5, v5
	v_and_b32_e32 v6, 8, v14
	v_lshl_add_u64 v[2:3], v[2:3], 0, v[6:7]
	v_and_b32_e32 v6, 60, v16
	v_mul_lo_u32 v4, s0, v5
	s_lshl_b64 s[0:1], s[26:27], 2
	s_add_u32 s0, s24, s0
	v_mul_hi_u32 v4, v5, v4
	s_addc_u32 s1, s25, s1
	v_add_u32_e32 v21, v5, v4
	v_lshl_add_u64 v[4:5], s[0:1], 0, v[6:7]
	v_lshlrev_b32_e32 v6, 2, v17
	v_lshl_or_b32 v6, v1, 7, v6
	v_add_u32_e32 v23, 0xb0, v6
	v_subrev_u32_e32 v6, s33, v17
	v_mbcnt_hi_u32_b32 v26, -1, v15
	v_add_u32_e32 v24, 1, v6
	v_and_b32_e32 v6, 64, v26
	s_mov_b32 s43, s13
	v_cmp_neq_f32_e64 s[2:3], s42, 0
	v_lshlrev_b32_e32 v22, 5, v1
	s_mov_b64 s[36:37], 0
	v_mov_b32_e32 v25, 0xff7fffff
	s_movk_i32 s44, 0x1000
	v_xor_b32_e32 v27, 1, v26
	v_add_u32_e32 v28, 64, v6
	v_mov_b32_e32 v19, 0xff7fffff
	v_mov_b32_e32 v29, v1
	s_branch .LBB146_13
.LBB146_11:                             ;   in Loop: Header=BB146_13 Depth=1
	s_or_b64 exec, exec, s[38:39]
.LBB146_12:                             ;   in Loop: Header=BB146_13 Depth=1
	s_or_b64 exec, exec, s[8:9]
	v_add_u32_e32 v29, 2, v29
	v_cmp_le_i32_e64 s[0:1], s16, v29
	v_lshl_add_u64 v[4:5], v[4:5], 0, 8
	v_add_u32_e32 v22, 64, v22
	s_or_b64 s[36:37], s[0:1], s[36:37]
	v_add_u32_e32 v23, 0x100, v23
	s_andn2_b64 exec, exec, s[36:37]
	s_cbranch_execz .LBB146_18
.LBB146_13:                             ; =>This Inner Loop Header: Depth=1
	v_mul_hi_u32 v6, v22, s40
	s_waitcnt lgkmcnt(0)
	v_mul_lo_u32 v7, v6, s21
	v_sub_u32_e32 v7, v22, v7
	v_add_u32_e32 v8, 1, v6
	v_cmp_le_u32_e64 s[0:1], s21, v7
	s_nop 1
	v_cndmask_b32_e64 v6, v6, v8, s[0:1]
	v_subrev_u32_e32 v8, s21, v7
	v_cndmask_b32_e64 v7, v7, v8, s[0:1]
	v_add_u32_e32 v8, 1, v6
	v_cmp_le_u32_e64 s[0:1], s21, v7
	s_nop 1
	v_cndmask_b32_e64 v6, v6, v8, s[0:1]
	v_xor_b32_e32 v6, s19, v6
	v_subrev_u32_e32 v6, s19, v6
	v_add_u32_e32 v7, s41, v6
	v_sub_u32_e32 v9, 0, v7
	v_ashrrev_i32_e32 v8, 31, v7
	v_max_i32_e32 v7, v7, v9
	v_mul_hi_u32 v9, v7, v21
	v_mul_lo_u32 v9, v9, s15
	v_sub_u32_e32 v7, v7, v9
	v_subrev_u32_e32 v9, s15, v7
	v_cmp_le_u32_e64 s[0:1], s15, v7
	v_cmp_ge_i32_e64 s[8:9], s30, v6
	s_nop 0
	v_cndmask_b32_e64 v7, v7, v9, s[0:1]
	v_subrev_u32_e32 v9, s15, v7
	v_cmp_le_u32_e64 s[0:1], s15, v7
	s_nop 1
	v_cndmask_b32_e64 v7, v7, v9, s[0:1]
	v_xor_b32_e32 v7, v7, v8
	v_sub_u32_e32 v7, v7, v8
	v_cmp_ne_u32_e64 s[0:1], 0, v7
	s_and_b64 s[0:1], s[0:1], s[8:9]
	s_and_b64 s[38:39], vcc, s[0:1]
	s_and_saveexec_b64 s[8:9], s[38:39]
	s_cbranch_execz .LBB146_15
; %bb.14:                               ;   in Loop: Header=BB146_13 Depth=1
	ds_write_b32 v23, v25
.LBB146_15:                             ;   in Loop: Header=BB146_13 Depth=1
	s_or_b64 exec, exec, s[8:9]
	s_xor_b64 s[0:1], s[0:1], -1
	s_and_saveexec_b64 s[8:9], s[0:1]
	s_cbranch_execz .LBB146_12
; %bb.16:                               ;   in Loop: Header=BB146_13 Depth=1
	global_load_dword v6, v[4:5], off
	s_waitcnt vmcnt(0)
	v_mad_i64_i32 v[6:7], s[0:1], v6, s43, 0
	v_lshl_add_u64 v[6:7], v[6:7], 1, v[2:3]
	global_load_dwordx2 v[10:11], v[6:7], off
	global_load_dwordx2 v[8:9], v[6:7], off offset:512
	global_load_dwordx2 v[50:51], v[6:7], off offset:1024
	;; [unrolled: 1-line block ×6, first 2 shown]
	ds_read_b128 v[30:33], v18
	ds_read_b128 v[34:37], v18 offset:16
	ds_read_b128 v[38:41], v18 offset:32
	;; [unrolled: 1-line block ×4, first 2 shown]
	s_waitcnt lgkmcnt(4)
	v_lshlrev_b32_e32 v58, 16, v30
	v_and_b32_e32 v78, 0xffff0000, v30
	v_add_co_u32_e64 v30, s[0:1], s44, v6
	v_lshlrev_b32_e32 v59, 16, v31
	v_lshlrev_b32_e32 v60, 16, v32
	v_and_b32_e32 v79, 0xffff0000, v31
	v_and_b32_e32 v32, 0xffff0000, v32
	v_addc_co_u32_e64 v31, s[0:1], 0, v7, s[0:1]
	global_load_dwordx2 v[6:7], v[6:7], off offset:3584
	v_lshlrev_b32_e32 v61, 16, v33
	s_waitcnt lgkmcnt(3)
	v_lshlrev_b32_e32 v62, 16, v34
	v_and_b32_e32 v33, 0xffff0000, v33
	v_and_b32_e32 v34, 0xffff0000, v34
	v_lshlrev_b32_e32 v63, 16, v35
	v_lshlrev_b32_e32 v64, 16, v36
	v_and_b32_e32 v36, 0xffff0000, v36
	v_lshlrev_b32_e32 v65, 16, v37
	s_waitcnt lgkmcnt(2)
	v_lshlrev_b32_e32 v66, 16, v38
	v_and_b32_e32 v35, 0xffff0000, v35
	v_and_b32_e32 v38, 0xffff0000, v38
	v_lshlrev_b32_e32 v67, 16, v39
	v_lshlrev_b32_e32 v68, 16, v40
	v_and_b32_e32 v37, 0xffff0000, v37
	v_and_b32_e32 v40, 0xffff0000, v40
	v_lshlrev_b32_e32 v69, 16, v41
	s_waitcnt lgkmcnt(1)
	v_lshlrev_b32_e32 v70, 16, v42
	v_and_b32_e32 v39, 0xffff0000, v39
	v_and_b32_e32 v42, 0xffff0000, v42
	v_lshlrev_b32_e32 v71, 16, v43
	v_lshlrev_b32_e32 v72, 16, v44
	v_and_b32_e32 v41, 0xffff0000, v41
	;; [unrolled: 9-line block ×3, first 2 shown]
	v_and_b32_e32 v48, 0xffff0000, v48
	v_lshlrev_b32_e32 v77, 16, v49
	v_and_b32_e32 v47, 0xffff0000, v47
	v_and_b32_e32 v49, 0xffff0000, v49
	v_cmp_lt_i32_e64 s[0:1], v27, v28
	s_waitcnt vmcnt(7)
	v_lshlrev_b32_e32 v81, 16, v11
	v_and_b32_e32 v82, 0xffff0000, v11
	s_waitcnt vmcnt(6)
	v_lshlrev_b32_e32 v11, 16, v8
	v_and_b32_e32 v8, 0xffff0000, v8
	v_lshlrev_b32_e32 v80, 16, v10
	v_and_b32_e32 v10, 0xffff0000, v10
	v_mul_f32_e32 v32, v32, v8
	v_lshlrev_b32_e32 v83, 16, v9
	v_and_b32_e32 v84, 0xffff0000, v9
	v_mul_f32_e32 v60, v60, v11
	v_fmac_f32_e32 v32, v78, v10
	global_load_dwordx2 v[8:9], v[30:31], off
	global_load_dwordx2 v[10:11], v[30:31], off offset:512
	s_waitcnt vmcnt(7)
	v_lshlrev_b32_e32 v85, 16, v50
	v_and_b32_e32 v50, 0xffff0000, v50
	v_fmac_f32_e32 v60, v58, v80
	v_mul_f32_e32 v30, v61, v83
	v_lshlrev_b32_e32 v86, 16, v51
	s_waitcnt vmcnt(6)
	v_lshlrev_b32_e32 v87, 16, v52
	v_and_b32_e32 v52, 0xffff0000, v52
	v_fmac_f32_e32 v30, v59, v81
	v_mul_f32_e32 v33, v33, v84
	v_fmac_f32_e32 v60, v62, v85
	v_fmac_f32_e32 v32, v34, v50
	v_and_b32_e32 v51, 0xffff0000, v51
	v_lshlrev_b32_e32 v88, 16, v53
	s_waitcnt vmcnt(5)
	v_lshlrev_b32_e32 v89, 16, v54
	v_and_b32_e32 v54, 0xffff0000, v54
	v_fmac_f32_e32 v33, v79, v82
	v_fmac_f32_e32 v30, v63, v86
	v_fmac_f32_e32 v60, v64, v87
	v_fmac_f32_e32 v32, v36, v52
	v_and_b32_e32 v53, 0xffff0000, v53
	v_lshlrev_b32_e32 v90, 16, v55
	s_waitcnt vmcnt(4)
	v_lshlrev_b32_e32 v91, 16, v56
	v_and_b32_e32 v56, 0xffff0000, v56
	v_fmac_f32_e32 v33, v35, v51
	v_fmac_f32_e32 v30, v65, v88
	;; [unrolled: 9-line block ×4, first 2 shown]
	v_fmac_f32_e32 v60, v70, v80
	v_fmac_f32_e32 v32, v42, v12
	v_and_b32_e32 v13, 0xffff0000, v13
	v_lshlrev_b32_e32 v59, 16, v7
	v_fmac_f32_e32 v33, v41, v57
	v_fmac_f32_e32 v30, v71, v92
	v_fmac_f32_e32 v60, v72, v31
	v_fmac_f32_e32 v32, v44, v6
	v_and_b32_e32 v7, 0xffff0000, v7
	v_fmac_f32_e32 v33, v43, v13
	v_fmac_f32_e32 v30, v73, v59
	;; [unrolled: 1-line block ×3, first 2 shown]
	v_cndmask_b32_e64 v61, v26, v27, s[0:1]
	v_lshlrev_b32_e32 v61, 2, v61
	s_waitcnt vmcnt(1)
	v_lshlrev_b32_e32 v78, 16, v8
	v_and_b32_e32 v8, 0xffff0000, v8
	v_lshlrev_b32_e32 v79, 16, v9
	s_waitcnt vmcnt(0)
	v_lshlrev_b32_e32 v81, 16, v10
	v_and_b32_e32 v10, 0xffff0000, v10
	v_fmac_f32_e32 v60, v74, v78
	v_fmac_f32_e32 v32, v46, v8
	v_and_b32_e32 v9, 0xffff0000, v9
	v_lshlrev_b32_e32 v62, 16, v11
	v_fmac_f32_e32 v30, v75, v79
	v_fmac_f32_e32 v60, v76, v81
	;; [unrolled: 1-line block ×3, first 2 shown]
	v_and_b32_e32 v11, 0xffff0000, v11
	v_fmac_f32_e32 v33, v47, v9
	v_fmac_f32_e32 v30, v77, v62
	v_add_f32_e32 v6, v60, v32
	v_fmac_f32_e32 v33, v49, v11
	v_add_f32_e32 v6, v6, v30
	v_add_f32_e32 v6, v33, v6
	ds_bpermute_b32 v7, v61, v6
	s_and_saveexec_b64 s[38:39], vcc
	s_cbranch_execz .LBB146_11
; %bb.17:                               ;   in Loop: Header=BB146_13 Depth=1
	v_add_u32_e32 v8, v24, v22
	v_cvt_f32_i32_e32 v8, v8
	s_waitcnt lgkmcnt(0)
	v_add_f32_e32 v6, v6, v7
	v_add_u32_e32 v9, v17, v22
	v_cmp_gt_i32_e64 s[0:1], s33, v9
	v_mul_f32_e32 v7, s42, v8
	v_cndmask_b32_e64 v7, 0, v7, s[2:3]
	v_fmac_f32_e32 v7, s31, v6
	v_cndmask_b32_e64 v6, 0, v7, s[0:1]
	ds_write_b32 v23, v6
	v_max_f32_e32 v6, v19, v19
	v_max_f32_e32 v6, v6, v7
	v_cndmask_b32_e64 v19, v19, v6, s[0:1]
	s_branch .LBB146_11
.LBB146_18:
	s_or_b64 exec, exec, s[36:37]
.LBB146_19:
	s_or_b64 exec, exec, s[34:35]
	v_mbcnt_hi_u32_b32 v8, -1, v15
	v_and_b32_e32 v2, 64, v8
	v_add_u32_e32 v9, 64, v2
	v_xor_b32_e32 v2, 32, v8
	v_cmp_lt_i32_e32 vcc, v2, v9
	v_xor_b32_e32 v5, 16, v8
	v_max_f32_e32 v4, v19, v19
	v_cndmask_b32_e32 v2, v8, v2, vcc
	v_lshlrev_b32_e32 v2, 2, v2
	ds_bpermute_b32 v3, v2, v19
	v_cmp_lt_i32_e32 vcc, v5, v9
	v_xor_b32_e32 v6, 8, v8
	s_waitcnt lgkmcnt(1)
	v_xor_b32_e32 v7, 4, v8
	v_xor_b32_e32 v10, 2, v8
	s_waitcnt lgkmcnt(0)
	v_max_f32_e32 v3, v3, v3
	v_max_f32_e32 v4, v4, v3
	v_cndmask_b32_e32 v3, v8, v5, vcc
	v_lshlrev_b32_e32 v3, 2, v3
	ds_bpermute_b32 v5, v3, v4
	v_cmp_lt_i32_e32 vcc, v6, v9
	v_and_b32_e32 v21, 63, v0
	s_waitcnt lgkmcnt(0)
	v_max_f32_e32 v5, v5, v5
	v_max_f32_e32 v5, v4, v5
	v_cndmask_b32_e32 v4, v8, v6, vcc
	v_lshlrev_b32_e32 v4, 2, v4
	ds_bpermute_b32 v6, v4, v5
	v_cmp_lt_i32_e32 vcc, v7, v9
	s_waitcnt lgkmcnt(0)
	v_max_f32_e32 v6, v6, v6
	v_max_f32_e32 v6, v5, v6
	v_cndmask_b32_e32 v5, v8, v7, vcc
	v_lshlrev_b32_e32 v5, 2, v5
	ds_bpermute_b32 v7, v5, v6
	v_cmp_lt_i32_e32 vcc, v10, v9
	s_waitcnt lgkmcnt(0)
	v_max_f32_e32 v7, v7, v7
	v_max_f32_e32 v7, v6, v7
	v_cndmask_b32_e32 v6, v8, v10, vcc
	v_lshlrev_b32_e32 v22, 2, v6
	ds_bpermute_b32 v10, v22, v7
	v_cmp_eq_u32_e32 vcc, 0, v21
	v_lshlrev_b32_e32 v6, 2, v1
	s_and_saveexec_b64 s[0:1], vcc
	s_cbranch_execz .LBB146_21
; %bb.20:
	s_waitcnt lgkmcnt(0)
	v_max_f32_e32 v10, v10, v10
	v_max_f32_e32 v7, v7, v7
	;; [unrolled: 1-line block ×3, first 2 shown]
	ds_write_b32 v6, v7 offset:160
.LBB146_21:
	s_or_b64 exec, exec, s[0:1]
	v_cmp_gt_u32_e64 s[0:1], 2, v21
	s_waitcnt lgkmcnt(0)
	v_mov_b32_e32 v10, 0xff7fffff
	v_lshlrev_b32_e32 v7, 2, v21
	s_barrier
	s_and_saveexec_b64 s[2:3], s[0:1]
	s_cbranch_execz .LBB146_23
; %bb.22:
	ds_read_b32 v10, v7 offset:160
.LBB146_23:
	s_or_b64 exec, exec, s[2:3]
	v_xor_b32_e32 v11, 1, v8
	v_cmp_lt_i32_e64 s[2:3], v11, v9
	s_nop 1
	v_cndmask_b32_e64 v9, v8, v11, s[2:3]
	v_lshlrev_b32_e32 v23, 2, v9
	s_waitcnt lgkmcnt(0)
	ds_bpermute_b32 v9, v23, v10
	v_max_f32_e32 v10, v10, v10
	v_lshlrev_b32_e32 v8, 2, v8
	v_and_b32_e32 v8, 0x100, v8
	s_lshl_b32 s2, s16, 5
	s_waitcnt lgkmcnt(0)
	v_max_f32_e32 v9, v9, v9
	v_max_f32_e32 v9, v10, v9
	ds_bpermute_b32 v10, v8, v9
	s_min_i32 s15, s2, s33
	v_cmp_gt_i32_e64 s[2:3], s15, v0
	v_mov_b32_e32 v9, 0
	s_and_saveexec_b64 s[30:31], s[2:3]
	s_cbranch_execz .LBB146_27
; %bb.24:
	v_mov_b32_e32 v9, 0xb0
	v_lshl_add_u32 v11, v0, 2, v9
	s_mov_b64 s[34:35], 0
	v_mov_b32_e32 v9, 0
	v_mov_b32_e32 v12, v0
.LBB146_25:                             ; =>This Inner Loop Header: Depth=1
	ds_read_b32 v13, v11
	v_add_u32_e32 v12, 0x80, v12
	v_cmp_le_i32_e64 s[8:9], s15, v12
	s_or_b64 s[34:35], s[8:9], s[34:35]
	s_waitcnt lgkmcnt(0)
	v_sub_f32_e32 v13, v13, v10
	v_mul_f32_e32 v13, 0x3fb8aa3b, v13
	v_exp_f32_e32 v13, v13
	ds_write_b32 v11, v13
	v_add_f32_e32 v9, v9, v13
	v_add_u32_e32 v11, 0x200, v11
	s_andn2_b64 exec, exec, s[34:35]
	s_cbranch_execnz .LBB146_25
; %bb.26:
	s_or_b64 exec, exec, s[34:35]
.LBB146_27:
	s_or_b64 exec, exec, s[30:31]
	ds_bpermute_b32 v2, v2, v9
	s_waitcnt lgkmcnt(0)
	v_add_f32_e32 v2, v9, v2
	ds_bpermute_b32 v3, v3, v2
	s_waitcnt lgkmcnt(0)
	v_add_f32_e32 v2, v2, v3
	ds_bpermute_b32 v3, v4, v2
	s_waitcnt lgkmcnt(0)
	v_add_f32_e32 v2, v2, v3
	ds_bpermute_b32 v3, v5, v2
	s_waitcnt lgkmcnt(0)
	v_add_f32_e32 v2, v2, v3
	ds_bpermute_b32 v3, v22, v2
	s_waitcnt lgkmcnt(0)
	v_add_f32_e32 v2, v2, v3
	ds_bpermute_b32 v3, v23, v2
	s_waitcnt lgkmcnt(0)
	v_add_f32_e32 v2, v2, v3
	s_and_saveexec_b64 s[8:9], vcc
	s_cbranch_execz .LBB146_29
; %bb.28:
	ds_write_b32 v6, v2 offset:168
.LBB146_29:
	s_or_b64 exec, exec, s[8:9]
	s_waitcnt lgkmcnt(0)
	s_barrier
	s_and_saveexec_b64 s[8:9], s[0:1]
	s_cbranch_execz .LBB146_31
; %bb.30:
	ds_read_b32 v2, v7 offset:168
.LBB146_31:
	s_or_b64 exec, exec, s[8:9]
	s_waitcnt lgkmcnt(0)
	ds_bpermute_b32 v3, v23, v2
	s_waitcnt lgkmcnt(0)
	v_add_f32_e32 v2, v2, v3
	ds_bpermute_b32 v2, v8, v2
	s_and_saveexec_b64 s[0:1], s[2:3]
	s_cbranch_execz .LBB146_44
; %bb.32:
	s_waitcnt lgkmcnt(0)
	v_add_f32_e32 v2, 0x358637bd, v2
	v_div_scale_f32 v3, s[2:3], v2, v2, 1.0
	v_rcp_f32_e32 v4, v3
	v_div_scale_f32 v5, vcc, 1.0, v2, 1.0
	s_movk_i32 s2, 0x7f
	v_fma_f32 v6, -v3, v4, 1.0
	v_fmac_f32_e32 v4, v6, v4
	v_mul_f32_e32 v6, v5, v4
	v_fma_f32 v7, -v3, v6, v5
	v_fmac_f32_e32 v6, v7, v4
	v_fma_f32 v3, -v3, v6, v5
	v_div_fmas_f32 v3, v3, v4, v6
	v_xad_u32 v4, v0, -1, s15
	v_div_fixup_f32 v2, v3, v2, 1.0
	v_cmp_lt_u32_e32 vcc, s2, v4
	s_mov_b64 s[8:9], -1
	v_mov_b32_e32 v3, v0
	s_and_saveexec_b64 s[2:3], vcc
	s_cbranch_execz .LBB146_41
; %bb.33:
	v_lshrrev_b32_e32 v4, 7, v4
	v_add_u32_e32 v6, -1, v4
	v_lshrrev_b32_e32 v5, 1, v6
	v_mov_b32_e32 v3, v2
	v_add_u32_e32 v5, 1, v5
	v_cmp_lt_u32_e32 vcc, 13, v6
	v_mov_b32_e32 v8, 0
	s_and_saveexec_b64 s[8:9], vcc
	s_cbranch_execz .LBB146_37
; %bb.34:
	v_mov_b32_e32 v7, 0xb0
	v_and_b32_e32 v6, -8, v5
	v_lshl_add_u32 v7, v0, 2, v7
	s_mov_b32 s34, 0
	s_mov_b64 s[30:31], 0
.LBB146_35:                             ; =>This Inner Loop Header: Depth=1
	ds_read2st64_b32 v[8:9], v7 offset1:2
	ds_read2st64_b32 v[10:11], v7 offset0:4 offset1:6
	ds_read2st64_b32 v[12:13], v7 offset0:8 offset1:10
	;; [unrolled: 1-line block ×3, first 2 shown]
	v_add_u32_e32 v6, -8, v6
	s_waitcnt lgkmcnt(3)
	v_pk_mul_f32 v[8:9], v[2:3], v[8:9]
	s_waitcnt lgkmcnt(2)
	v_pk_mul_f32 v[10:11], v[2:3], v[10:11]
	ds_write2st64_b32 v7, v8, v9 offset1:2
	ds_write2st64_b32 v7, v10, v11 offset0:4 offset1:6
	ds_read2st64_b32 v[10:11], v7 offset0:16 offset1:18
	s_waitcnt lgkmcnt(4)
	v_pk_mul_f32 v[8:9], v[2:3], v[12:13]
	ds_write2st64_b32 v7, v8, v9 offset0:8 offset1:10
	s_waitcnt lgkmcnt(4)
	v_pk_mul_f32 v[8:9], v[2:3], v[18:19]
	ds_write2st64_b32 v7, v8, v9 offset0:12 offset1:14
	ds_read2st64_b32 v[8:9], v7 offset0:20 offset1:22
	s_waitcnt lgkmcnt(3)
	v_pk_mul_f32 v[10:11], v[2:3], v[10:11]
	ds_read2st64_b32 v[12:13], v7 offset0:24 offset1:26
	ds_write2st64_b32 v7, v10, v11 offset0:16 offset1:18
	ds_read2st64_b32 v[10:11], v7 offset0:28 offset1:30
	s_waitcnt lgkmcnt(3)
	v_pk_mul_f32 v[8:9], v[2:3], v[8:9]
	ds_write2st64_b32 v7, v8, v9 offset0:20 offset1:22
	s_waitcnt lgkmcnt(3)
	v_pk_mul_f32 v[8:9], v[2:3], v[12:13]
	ds_write2st64_b32 v7, v8, v9 offset0:24 offset1:26
	s_waitcnt lgkmcnt(2)
	v_pk_mul_f32 v[8:9], v[2:3], v[10:11]
	s_add_i32 s34, s34, 16
	v_cmp_eq_u32_e32 vcc, 0, v6
	ds_write2st64_b32 v7, v8, v9 offset0:28 offset1:30
	v_add_u32_e32 v7, 0x2000, v7
	s_or_b64 s[30:31], vcc, s[30:31]
	v_mov_b32_e32 v8, s34
	s_andn2_b64 exec, exec, s[30:31]
	s_cbranch_execnz .LBB146_35
; %bb.36:
	s_or_b64 exec, exec, s[30:31]
.LBB146_37:
	s_or_b64 exec, exec, s[8:9]
	v_and_b32_e32 v5, 7, v5
	v_cmp_ne_u32_e32 vcc, 0, v5
	s_and_saveexec_b64 s[8:9], vcc
	s_cbranch_execz .LBB146_40
; %bb.38:
	v_lshlrev_b32_e32 v6, 9, v8
	v_lshlrev_b32_e32 v7, 2, v0
	s_movk_i32 s30, 0xb0
	v_add3_u32 v6, v6, v7, s30
	s_mov_b64 s[30:31], 0
.LBB146_39:                             ; =>This Inner Loop Header: Depth=1
	ds_read2st64_b32 v[8:9], v6 offset1:2
	v_add_u32_e32 v5, -1, v5
	v_cmp_eq_u32_e32 vcc, 0, v5
	s_or_b64 s[30:31], vcc, s[30:31]
	s_waitcnt lgkmcnt(0)
	v_pk_mul_f32 v[8:9], v[2:3], v[8:9]
	ds_write2st64_b32 v6, v8, v9 offset1:2
	v_add_u32_e32 v6, 0x400, v6
	s_andn2_b64 exec, exec, s[30:31]
	s_cbranch_execnz .LBB146_39
.LBB146_40:
	s_or_b64 exec, exec, s[8:9]
	v_add_u32_e32 v4, 1, v4
	v_and_b32_e32 v5, 0x3fffffe, v4
	v_cmp_ne_u32_e32 vcc, v4, v5
	v_lshl_add_u32 v3, v5, 7, v0
	s_orn2_b64 s[8:9], vcc, exec
.LBB146_41:
	s_or_b64 exec, exec, s[2:3]
	s_and_b64 exec, exec, s[8:9]
	s_cbranch_execz .LBB146_44
; %bb.42:
	v_mov_b32_e32 v4, 0xb0
	v_lshl_add_u32 v4, v3, 2, v4
	s_mov_b64 s[2:3], 0
.LBB146_43:                             ; =>This Inner Loop Header: Depth=1
	ds_read_b32 v5, v4
	v_add_u32_e32 v3, 0x80, v3
	v_cmp_le_i32_e32 vcc, s15, v3
	s_or_b64 s[2:3], vcc, s[2:3]
	s_waitcnt lgkmcnt(0)
	v_mul_f32_e32 v5, v2, v5
	ds_write_b32 v4, v5
	v_add_u32_e32 v4, 0x200, v4
	s_andn2_b64 exec, exec, s[2:3]
	s_cbranch_execnz .LBB146_43
.LBB146_44:
	s_or_b64 exec, exec, s[0:1]
	v_mov_b32_e32 v25, 0
	v_and_b32_e32 v24, 3, v0
	v_mov_b32_e32 v11, 0
	v_mov_b32_e32 v10, 0
	;; [unrolled: 1-line block ×4, first 2 shown]
	s_waitcnt lgkmcnt(0)
	s_barrier
	s_and_saveexec_b64 s[2:3], s[6:7]
	s_cbranch_execz .LBB146_252
; %bb.45:
	s_ashr_i32 s15, s14, 31
	s_sub_i32 s17, s12, s17
	s_lshl_b64 s[0:1], s[14:15], 1
	s_add_u32 s6, s28, s0
	s_addc_u32 s7, s29, s1
	s_abs_i32 s18, s18
	v_cvt_f32_u32_e32 v2, s18
	s_sub_i32 s0, 0, s18
	s_add_i32 s29, s16, -1
	v_and_b32_e32 v26, 24, v14
	v_rcp_iflag_f32_e32 v3, v2
	v_and_b32_e32 v2, 0x1f8, v14
	v_mov_b32_e32 v15, 0
	v_or_b32_e32 v4, 0x800, v2
	v_mul_f32_e32 v3, 0x4f7ffffe, v3
	v_cvt_u32_f32_e32 v3, v3
	v_and_b32_e32 v14, 60, v16
	s_mov_b32 s28, s13
	s_mov_b64 s[8:9], 0
	v_mul_lo_u32 v5, s0, v3
	v_mul_hi_u32 v5, v3, v5
	s_lshl_b64 s[0:1], s[26:27], 2
	v_add_u32_e32 v27, v3, v5
	s_add_u32 s0, s24, s0
	v_lshlrev_b32_e32 v3, 5, v24
	s_addc_u32 s1, s25, s1
	v_lshl_or_b32 v3, v1, 7, v3
	v_lshl_add_u64 v[16:17], s[0:1], 0, v[14:15]
	v_add_u32_e32 v28, 0xb0, v3
	s_mov_b32 s24, 0x7f800000
	s_movk_i32 s25, 0x7fff
	v_lshlrev_b32_e32 v14, 1, v2
	v_lshlrev_b32_e32 v18, 1, v4
	v_mov_b32_e32 v12, v15
	v_mov_b32_e32 v13, v15
	;; [unrolled: 1-line block ×5, first 2 shown]
	s_branch .LBB146_48
.LBB146_46:                             ;   in Loop: Header=BB146_48 Depth=1
	s_or_b64 exec, exec, s[0:1]
	v_and_b32_e32 v43, 0xffff0000, v70
	v_and_b32_e32 v42, 0xffff0000, v9
	;; [unrolled: 1-line block ×8, first 2 shown]
	v_pk_add_f32 v[8:9], v[8:9], v[42:43]
	v_pk_add_f32 v[38:39], v[40:41], v[38:39]
	v_add_f32_e32 v8, v8, v9
	v_add_f32_e32 v8, v8, v38
	;; [unrolled: 1-line block ×3, first 2 shown]
	v_and_b32_e32 v41, 0xffff0000, v64
	v_and_b32_e32 v40, 0xffff0000, v62
	;; [unrolled: 1-line block ×4, first 2 shown]
	v_add_f32_e32 v11, v11, v8
	v_and_b32_e32 v9, 0xffff0000, v68
	v_and_b32_e32 v8, 0xffff0000, v66
	;; [unrolled: 1-line block ×4, first 2 shown]
	v_pk_add_f32 v[40:41], v[42:43], v[40:41]
	v_pk_add_f32 v[8:9], v[38:39], v[8:9]
	v_add_f32_e32 v38, v40, v41
	v_add_f32_e32 v8, v38, v8
	;; [unrolled: 1-line block ×3, first 2 shown]
	v_and_b32_e32 v41, 0xffff0000, v56
	v_and_b32_e32 v40, 0xffff0000, v54
	;; [unrolled: 1-line block ×4, first 2 shown]
	v_add_f32_e32 v10, v10, v8
	v_and_b32_e32 v9, 0xffff0000, v60
	v_and_b32_e32 v8, 0xffff0000, v58
	;; [unrolled: 1-line block ×4, first 2 shown]
	v_pk_add_f32 v[40:41], v[42:43], v[40:41]
	v_pk_add_f32 v[8:9], v[38:39], v[8:9]
	v_add_f32_e32 v38, v40, v41
	v_add_f32_e32 v8, v38, v8
	;; [unrolled: 1-line block ×4, first 2 shown]
	v_and_b32_e32 v8, 0xffff0000, v34
	v_and_b32_e32 v34, 0xffff0000, v33
	;; [unrolled: 1-line block ×8, first 2 shown]
	v_pk_add_f32 v[30:31], v[30:31], v[32:33]
	v_pk_add_f32 v[8:9], v[34:35], v[8:9]
	v_add_f32_e32 v29, v30, v31
	v_add_f32_e32 v8, v29, v8
	;; [unrolled: 1-line block ×3, first 2 shown]
	v_and_b32_e32 v9, 0xffff0000, v7
	v_and_b32_e32 v7, 0xffff0000, v19
	;; [unrolled: 1-line block ×5, first 2 shown]
	v_add_f32_e32 v12, v12, v8
	v_and_b32_e32 v8, 0xffff0000, v37
	v_and_b32_e32 v5, 0xffff0000, v5
	;; [unrolled: 1-line block ×3, first 2 shown]
	v_pk_add_f32 v[2:3], v[2:3], v[6:7]
	v_pk_add_f32 v[4:5], v[4:5], v[8:9]
	v_add_f32_e32 v2, v2, v3
	v_add_f32_e32 v2, v2, v4
	;; [unrolled: 1-line block ×4, first 2 shown]
.LBB146_47:                             ;   in Loop: Header=BB146_48 Depth=1
	s_or_b64 exec, exec, s[12:13]
	v_add_u32_e32 v1, 2, v1
	v_cmp_le_i32_e32 vcc, s16, v1
	v_lshl_add_u64 v[16:17], v[16:17], 0, 8
	v_add_u32_e32 v20, 64, v20
	s_or_b64 s[8:9], vcc, s[8:9]
	v_add_u32_e32 v28, 0x100, v28
	s_andn2_b64 exec, exec, s[8:9]
	s_cbranch_execz .LBB146_251
.LBB146_48:                             ; =>This Inner Loop Header: Depth=1
	v_mul_hi_u32 v2, v20, s40
	v_mul_lo_u32 v3, v2, s21
	v_sub_u32_e32 v3, v20, v3
	v_add_u32_e32 v4, 1, v2
	v_cmp_le_u32_e32 vcc, s21, v3
	s_nop 1
	v_cndmask_b32_e32 v2, v2, v4, vcc
	v_subrev_u32_e32 v4, s21, v3
	v_cndmask_b32_e32 v3, v3, v4, vcc
	v_add_u32_e32 v4, 1, v2
	v_cmp_le_u32_e32 vcc, s21, v3
	s_nop 1
	v_cndmask_b32_e32 v2, v2, v4, vcc
	v_xor_b32_e32 v2, s19, v2
	v_subrev_u32_e32 v2, s19, v2
	v_add_u32_e32 v3, s41, v2
	v_sub_u32_e32 v5, 0, v3
	v_ashrrev_i32_e32 v4, 31, v3
	v_max_i32_e32 v3, v3, v5
	v_mul_hi_u32 v5, v3, v27
	v_mul_lo_u32 v5, v5, s18
	v_sub_u32_e32 v3, v3, v5
	v_subrev_u32_e32 v5, s18, v3
	v_cmp_le_u32_e32 vcc, s18, v3
	v_cmp_lt_i32_e64 s[0:1], s17, v2
	s_nop 0
	v_cndmask_b32_e32 v3, v3, v5, vcc
	v_subrev_u32_e32 v5, s18, v3
	v_cmp_le_u32_e32 vcc, s18, v3
	s_nop 1
	v_cndmask_b32_e32 v3, v3, v5, vcc
	v_xor_b32_e32 v3, v3, v4
	v_sub_u32_e32 v3, v3, v4
	v_cmp_eq_u32_e32 vcc, 0, v3
	s_or_b64 s[0:1], vcc, s[0:1]
	s_and_saveexec_b64 s[12:13], s[0:1]
	s_cbranch_execz .LBB146_47
; %bb.49:                               ;   in Loop: Header=BB146_48 Depth=1
	global_load_dword v36, v[16:17], off
	ds_read2_b64 v[6:9], v28 offset1:1
	ds_read2_b64 v[2:5], v28 offset0:2 offset1:3
                                        ; implicit-def: $vgpr29
	s_waitcnt lgkmcnt(1)
	v_and_b32_e32 v19, 0x7f800000, v6
	v_cmp_ne_u32_e32 vcc, s24, v19
	s_and_saveexec_b64 s[0:1], vcc
	s_xor_b64 s[0:1], exec, s[0:1]
; %bb.50:                               ;   in Loop: Header=BB146_48 Depth=1
	v_bfe_u32 v19, v6, 16, 1
	v_add3_u32 v29, v6, v19, s25
; %bb.51:                               ;   in Loop: Header=BB146_48 Depth=1
	s_andn2_saveexec_b64 s[0:1], s[0:1]
; %bb.52:                               ;   in Loop: Header=BB146_48 Depth=1
	v_or_b32_e32 v19, 0x10000, v6
	v_cmp_eq_u32_sdwa vcc, v6, v15 src0_sel:WORD_0 src1_sel:DWORD
	s_nop 1
	v_cndmask_b32_e32 v29, v19, v6, vcc
; %bb.53:                               ;   in Loop: Header=BB146_48 Depth=1
	s_or_b64 exec, exec, s[0:1]
	v_and_b32_e32 v6, 0x7f800000, v7
	v_cmp_ne_u32_e32 vcc, s24, v6
                                        ; implicit-def: $vgpr30
	s_and_saveexec_b64 s[0:1], vcc
	s_xor_b64 s[0:1], exec, s[0:1]
; %bb.54:                               ;   in Loop: Header=BB146_48 Depth=1
	v_bfe_u32 v6, v7, 16, 1
	v_add3_u32 v30, v7, v6, s25
; %bb.55:                               ;   in Loop: Header=BB146_48 Depth=1
	s_andn2_saveexec_b64 s[0:1], s[0:1]
; %bb.56:                               ;   in Loop: Header=BB146_48 Depth=1
	v_or_b32_e32 v6, 0x10000, v7
	v_cmp_eq_u32_sdwa vcc, v7, v15 src0_sel:WORD_0 src1_sel:DWORD
	s_nop 1
	v_cndmask_b32_e32 v30, v6, v7, vcc
; %bb.57:                               ;   in Loop: Header=BB146_48 Depth=1
	s_or_b64 exec, exec, s[0:1]
	v_and_b32_e32 v6, 0x7f800000, v8
	v_cmp_ne_u32_e32 vcc, s24, v6
                                        ; implicit-def: $vgpr31
	s_and_saveexec_b64 s[0:1], vcc
	s_xor_b64 s[0:1], exec, s[0:1]
; %bb.58:                               ;   in Loop: Header=BB146_48 Depth=1
	v_bfe_u32 v6, v8, 16, 1
	v_add3_u32 v31, v8, v6, s25
; %bb.59:                               ;   in Loop: Header=BB146_48 Depth=1
	s_andn2_saveexec_b64 s[0:1], s[0:1]
; %bb.60:                               ;   in Loop: Header=BB146_48 Depth=1
	v_or_b32_e32 v6, 0x10000, v8
	v_cmp_eq_u32_sdwa vcc, v8, v15 src0_sel:WORD_0 src1_sel:DWORD
	s_nop 1
	v_cndmask_b32_e32 v31, v6, v8, vcc
; %bb.61:                               ;   in Loop: Header=BB146_48 Depth=1
	s_or_b64 exec, exec, s[0:1]
	v_and_b32_e32 v6, 0x7f800000, v9
	v_cmp_ne_u32_e32 vcc, s24, v6
                                        ; implicit-def: $vgpr32
	s_and_saveexec_b64 s[0:1], vcc
	s_xor_b64 s[0:1], exec, s[0:1]
; %bb.62:                               ;   in Loop: Header=BB146_48 Depth=1
	v_bfe_u32 v6, v9, 16, 1
	v_add3_u32 v32, v9, v6, s25
                                        ; implicit-def: $vgpr6_vgpr7_vgpr8_vgpr9
; %bb.63:                               ;   in Loop: Header=BB146_48 Depth=1
	s_andn2_saveexec_b64 s[0:1], s[0:1]
; %bb.64:                               ;   in Loop: Header=BB146_48 Depth=1
	v_or_b32_e32 v6, 0x10000, v9
	v_cmp_eq_u32_sdwa vcc, v9, v15 src0_sel:WORD_0 src1_sel:DWORD
	s_nop 1
	v_cndmask_b32_e32 v32, v6, v9, vcc
; %bb.65:                               ;   in Loop: Header=BB146_48 Depth=1
	s_or_b64 exec, exec, s[0:1]
	s_waitcnt lgkmcnt(0)
	v_and_b32_e32 v6, 0x7f800000, v2
	v_cmp_ne_u32_e32 vcc, s24, v6
                                        ; implicit-def: $vgpr33
	s_and_saveexec_b64 s[0:1], vcc
	s_xor_b64 s[0:1], exec, s[0:1]
; %bb.66:                               ;   in Loop: Header=BB146_48 Depth=1
	v_bfe_u32 v6, v2, 16, 1
	v_add3_u32 v33, v2, v6, s25
; %bb.67:                               ;   in Loop: Header=BB146_48 Depth=1
	s_andn2_saveexec_b64 s[0:1], s[0:1]
; %bb.68:                               ;   in Loop: Header=BB146_48 Depth=1
	v_or_b32_e32 v6, 0x10000, v2
	v_cmp_eq_u32_sdwa vcc, v2, v15 src0_sel:WORD_0 src1_sel:DWORD
	s_nop 1
	v_cndmask_b32_e32 v33, v6, v2, vcc
; %bb.69:                               ;   in Loop: Header=BB146_48 Depth=1
	s_or_b64 exec, exec, s[0:1]
	v_and_b32_e32 v2, 0x7f800000, v3
	v_cmp_ne_u32_e32 vcc, s24, v2
                                        ; implicit-def: $vgpr34
	s_and_saveexec_b64 s[0:1], vcc
	s_xor_b64 s[0:1], exec, s[0:1]
; %bb.70:                               ;   in Loop: Header=BB146_48 Depth=1
	v_bfe_u32 v2, v3, 16, 1
	v_add3_u32 v34, v3, v2, s25
; %bb.71:                               ;   in Loop: Header=BB146_48 Depth=1
	s_andn2_saveexec_b64 s[0:1], s[0:1]
; %bb.72:                               ;   in Loop: Header=BB146_48 Depth=1
	v_or_b32_e32 v2, 0x10000, v3
	v_cmp_eq_u32_sdwa vcc, v3, v15 src0_sel:WORD_0 src1_sel:DWORD
	s_nop 1
	v_cndmask_b32_e32 v34, v2, v3, vcc
; %bb.73:                               ;   in Loop: Header=BB146_48 Depth=1
	s_or_b64 exec, exec, s[0:1]
	v_and_b32_e32 v2, 0x7f800000, v4
	v_cmp_ne_u32_e32 vcc, s24, v2
                                        ; implicit-def: $vgpr35
	s_and_saveexec_b64 s[0:1], vcc
	s_xor_b64 s[0:1], exec, s[0:1]
; %bb.74:                               ;   in Loop: Header=BB146_48 Depth=1
	v_bfe_u32 v2, v4, 16, 1
	v_add3_u32 v35, v4, v2, s25
; %bb.75:                               ;   in Loop: Header=BB146_48 Depth=1
	s_andn2_saveexec_b64 s[0:1], s[0:1]
; %bb.76:                               ;   in Loop: Header=BB146_48 Depth=1
	v_or_b32_e32 v2, 0x10000, v4
	v_cmp_eq_u32_sdwa vcc, v4, v15 src0_sel:WORD_0 src1_sel:DWORD
	s_nop 1
	v_cndmask_b32_e32 v35, v2, v4, vcc
; %bb.77:                               ;   in Loop: Header=BB146_48 Depth=1
	s_or_b64 exec, exec, s[0:1]
	v_and_b32_e32 v2, 0x7f800000, v5
	v_cmp_ne_u32_e32 vcc, s24, v2
                                        ; implicit-def: $vgpr19
	s_and_saveexec_b64 s[0:1], vcc
	s_xor_b64 s[0:1], exec, s[0:1]
; %bb.78:                               ;   in Loop: Header=BB146_48 Depth=1
	v_bfe_u32 v2, v5, 16, 1
	v_add3_u32 v19, v5, v2, s25
                                        ; implicit-def: $vgpr2_vgpr3_vgpr4_vgpr5
; %bb.79:                               ;   in Loop: Header=BB146_48 Depth=1
	s_andn2_saveexec_b64 s[0:1], s[0:1]
; %bb.80:                               ;   in Loop: Header=BB146_48 Depth=1
	v_or_b32_e32 v2, 0x10000, v5
	v_cmp_eq_u32_sdwa vcc, v5, v15 src0_sel:WORD_0 src1_sel:DWORD
	s_nop 1
	v_cndmask_b32_e32 v19, v2, v5, vcc
; %bb.81:                               ;   in Loop: Header=BB146_48 Depth=1
	s_or_b64 exec, exec, s[0:1]
	s_waitcnt vmcnt(0)
	v_mad_i64_i32 v[2:3], s[0:1], v36, s28, 0
	v_lshl_add_u64 v[6:7], v[2:3], 1, s[6:7]
	v_lshl_add_u64 v[8:9], v[6:7], 0, v[14:15]
	global_load_dwordx4 v[2:5], v[8:9], off
	v_add_u32_e32 v37, v26, v20
	v_cmp_eq_u32_e32 vcc, s29, v1
	v_add_u32_e32 v44, 1, v37
	v_add_u32_e32 v43, 2, v37
	;; [unrolled: 1-line block ×7, first 2 shown]
	s_waitcnt vmcnt(0)
	v_lshrrev_b32_e32 v47, 16, v2
	v_lshrrev_b32_e32 v49, 16, v3
	;; [unrolled: 1-line block ×4, first 2 shown]
	s_and_saveexec_b64 s[14:15], vcc
	s_cbranch_execz .LBB146_83
; %bb.82:                               ;   in Loop: Header=BB146_48 Depth=1
	v_cmp_gt_i32_e64 s[0:1], s33, v37
	s_nop 1
	v_cndmask_b32_e64 v2, 0, v2, s[0:1]
	v_cmp_gt_i32_e64 s[0:1], s33, v44
	s_nop 1
	v_cndmask_b32_e64 v47, 0, v47, s[0:1]
	;; [unrolled: 3-line block ×8, first 2 shown]
.LBB146_83:                             ;   in Loop: Header=BB146_48 Depth=1
	s_or_b64 exec, exec, s[14:15]
	v_and_b32_e32 v45, 0xffff0000, v29
	v_lshlrev_b32_e32 v2, 16, v2
	v_mul_f32_e32 v2, v45, v2
	v_and_b32_e32 v29, 0x7f800000, v2
	v_cmp_ne_u32_e64 s[0:1], s24, v29
                                        ; implicit-def: $vgpr29
	s_and_saveexec_b64 s[14:15], s[0:1]
	s_xor_b64 s[0:1], exec, s[14:15]
; %bb.84:                               ;   in Loop: Header=BB146_48 Depth=1
	v_bfe_u32 v29, v2, 16, 1
	v_add3_u32 v29, v2, v29, s25
                                        ; implicit-def: $vgpr2
; %bb.85:                               ;   in Loop: Header=BB146_48 Depth=1
	s_andn2_saveexec_b64 s[14:15], s[0:1]
; %bb.86:                               ;   in Loop: Header=BB146_48 Depth=1
	v_or_b32_e32 v29, 0x10000, v2
	v_cmp_eq_u32_sdwa s[0:1], v2, v15 src0_sel:WORD_0 src1_sel:DWORD
	s_nop 1
	v_cndmask_b32_e64 v29, v29, v2, s[0:1]
; %bb.87:                               ;   in Loop: Header=BB146_48 Depth=1
	s_or_b64 exec, exec, s[14:15]
	v_and_b32_e32 v46, 0xffff0000, v30
	v_lshlrev_b32_e32 v2, 16, v47
	v_mul_f32_e32 v2, v46, v2
	v_and_b32_e32 v30, 0x7f800000, v2
	v_cmp_ne_u32_e64 s[0:1], s24, v30
                                        ; implicit-def: $vgpr30
	s_and_saveexec_b64 s[14:15], s[0:1]
	s_xor_b64 s[0:1], exec, s[14:15]
; %bb.88:                               ;   in Loop: Header=BB146_48 Depth=1
	v_bfe_u32 v30, v2, 16, 1
	v_add3_u32 v30, v2, v30, s25
                                        ; implicit-def: $vgpr2
; %bb.89:                               ;   in Loop: Header=BB146_48 Depth=1
	s_andn2_saveexec_b64 s[14:15], s[0:1]
; %bb.90:                               ;   in Loop: Header=BB146_48 Depth=1
	v_or_b32_e32 v30, 0x10000, v2
	v_cmp_eq_u32_sdwa s[0:1], v2, v15 src0_sel:WORD_0 src1_sel:DWORD
	s_nop 1
	v_cndmask_b32_e64 v30, v30, v2, s[0:1]
; %bb.91:                               ;   in Loop: Header=BB146_48 Depth=1
	s_or_b64 exec, exec, s[14:15]
	v_and_b32_e32 v47, 0xffff0000, v31
	v_lshlrev_b32_e32 v2, 16, v3
	v_mul_f32_e32 v2, v47, v2
	v_and_b32_e32 v3, 0x7f800000, v2
	v_cmp_ne_u32_e64 s[0:1], s24, v3
                                        ; implicit-def: $vgpr31
	s_and_saveexec_b64 s[14:15], s[0:1]
	s_xor_b64 s[0:1], exec, s[14:15]
; %bb.92:                               ;   in Loop: Header=BB146_48 Depth=1
	v_bfe_u32 v3, v2, 16, 1
	v_add3_u32 v31, v2, v3, s25
                                        ; implicit-def: $vgpr2
; %bb.93:                               ;   in Loop: Header=BB146_48 Depth=1
	s_andn2_saveexec_b64 s[14:15], s[0:1]
; %bb.94:                               ;   in Loop: Header=BB146_48 Depth=1
	v_or_b32_e32 v3, 0x10000, v2
	v_cmp_eq_u32_sdwa s[0:1], v2, v15 src0_sel:WORD_0 src1_sel:DWORD
	s_nop 1
	v_cndmask_b32_e64 v31, v3, v2, s[0:1]
; %bb.95:                               ;   in Loop: Header=BB146_48 Depth=1
	s_or_b64 exec, exec, s[14:15]
	v_and_b32_e32 v48, 0xffff0000, v32
	v_lshlrev_b32_e32 v2, 16, v49
	v_mul_f32_e32 v2, v48, v2
	v_and_b32_e32 v3, 0x7f800000, v2
	v_cmp_ne_u32_e64 s[0:1], s24, v3
                                        ; implicit-def: $vgpr32
	s_and_saveexec_b64 s[14:15], s[0:1]
	s_xor_b64 s[0:1], exec, s[14:15]
; %bb.96:                               ;   in Loop: Header=BB146_48 Depth=1
	v_bfe_u32 v3, v2, 16, 1
	v_add3_u32 v32, v2, v3, s25
                                        ; implicit-def: $vgpr2
; %bb.97:                               ;   in Loop: Header=BB146_48 Depth=1
	s_andn2_saveexec_b64 s[14:15], s[0:1]
; %bb.98:                               ;   in Loop: Header=BB146_48 Depth=1
	v_or_b32_e32 v3, 0x10000, v2
	v_cmp_eq_u32_sdwa s[0:1], v2, v15 src0_sel:WORD_0 src1_sel:DWORD
	s_nop 1
	v_cndmask_b32_e64 v32, v3, v2, s[0:1]
; %bb.99:                               ;   in Loop: Header=BB146_48 Depth=1
	s_or_b64 exec, exec, s[14:15]
	v_and_b32_e32 v49, 0xffff0000, v33
	v_lshlrev_b32_e32 v2, 16, v4
	v_mul_f32_e32 v2, v49, v2
	v_and_b32_e32 v3, 0x7f800000, v2
	v_cmp_ne_u32_e64 s[0:1], s24, v3
                                        ; implicit-def: $vgpr33
	s_and_saveexec_b64 s[14:15], s[0:1]
	s_xor_b64 s[0:1], exec, s[14:15]
; %bb.100:                              ;   in Loop: Header=BB146_48 Depth=1
	v_bfe_u32 v3, v2, 16, 1
	v_add3_u32 v33, v2, v3, s25
                                        ; implicit-def: $vgpr2
; %bb.101:                              ;   in Loop: Header=BB146_48 Depth=1
	s_andn2_saveexec_b64 s[14:15], s[0:1]
; %bb.102:                              ;   in Loop: Header=BB146_48 Depth=1
	v_or_b32_e32 v3, 0x10000, v2
	v_cmp_eq_u32_sdwa s[0:1], v2, v15 src0_sel:WORD_0 src1_sel:DWORD
	s_nop 1
	v_cndmask_b32_e64 v33, v3, v2, s[0:1]
; %bb.103:                              ;   in Loop: Header=BB146_48 Depth=1
	s_or_b64 exec, exec, s[14:15]
	v_and_b32_e32 v50, 0xffff0000, v34
	v_lshlrev_b32_e32 v2, 16, v51
	v_mul_f32_e32 v2, v50, v2
	v_and_b32_e32 v3, 0x7f800000, v2
	v_cmp_ne_u32_e64 s[0:1], s24, v3
                                        ; implicit-def: $vgpr34
	s_and_saveexec_b64 s[14:15], s[0:1]
	s_xor_b64 s[0:1], exec, s[14:15]
; %bb.104:                              ;   in Loop: Header=BB146_48 Depth=1
	v_bfe_u32 v3, v2, 16, 1
	v_add3_u32 v34, v2, v3, s25
                                        ; implicit-def: $vgpr2
; %bb.105:                              ;   in Loop: Header=BB146_48 Depth=1
	s_andn2_saveexec_b64 s[14:15], s[0:1]
; %bb.106:                              ;   in Loop: Header=BB146_48 Depth=1
	v_or_b32_e32 v3, 0x10000, v2
	v_cmp_eq_u32_sdwa s[0:1], v2, v15 src0_sel:WORD_0 src1_sel:DWORD
	s_nop 1
	v_cndmask_b32_e64 v34, v3, v2, s[0:1]
; %bb.107:                              ;   in Loop: Header=BB146_48 Depth=1
	s_or_b64 exec, exec, s[14:15]
	v_and_b32_e32 v51, 0xffff0000, v35
	v_lshlrev_b32_e32 v2, 16, v5
	v_mul_f32_e32 v2, v51, v2
	v_and_b32_e32 v3, 0x7f800000, v2
	v_cmp_ne_u32_e64 s[0:1], s24, v3
                                        ; implicit-def: $vgpr35
	s_and_saveexec_b64 s[14:15], s[0:1]
	s_xor_b64 s[0:1], exec, s[14:15]
; %bb.108:                              ;   in Loop: Header=BB146_48 Depth=1
	v_bfe_u32 v3, v2, 16, 1
	v_add3_u32 v35, v2, v3, s25
                                        ; implicit-def: $vgpr2
; %bb.109:                              ;   in Loop: Header=BB146_48 Depth=1
	s_andn2_saveexec_b64 s[14:15], s[0:1]
; %bb.110:                              ;   in Loop: Header=BB146_48 Depth=1
	v_or_b32_e32 v3, 0x10000, v2
	v_cmp_eq_u32_sdwa s[0:1], v2, v15 src0_sel:WORD_0 src1_sel:DWORD
	s_nop 1
	v_cndmask_b32_e64 v35, v3, v2, s[0:1]
; %bb.111:                              ;   in Loop: Header=BB146_48 Depth=1
	s_or_b64 exec, exec, s[14:15]
	v_and_b32_e32 v52, 0xffff0000, v19
	v_lshlrev_b32_e32 v2, 16, v36
	v_mul_f32_e32 v2, v52, v2
	v_and_b32_e32 v3, 0x7f800000, v2
	v_cmp_ne_u32_e64 s[0:1], s24, v3
                                        ; implicit-def: $vgpr36
	s_and_saveexec_b64 s[14:15], s[0:1]
	s_xor_b64 s[0:1], exec, s[14:15]
; %bb.112:                              ;   in Loop: Header=BB146_48 Depth=1
	v_bfe_u32 v3, v2, 16, 1
	v_add3_u32 v36, v2, v3, s25
                                        ; implicit-def: $vgpr2
; %bb.113:                              ;   in Loop: Header=BB146_48 Depth=1
	s_andn2_saveexec_b64 s[14:15], s[0:1]
; %bb.114:                              ;   in Loop: Header=BB146_48 Depth=1
	v_or_b32_e32 v3, 0x10000, v2
	v_cmp_eq_u32_sdwa s[0:1], v2, v15 src0_sel:WORD_0 src1_sel:DWORD
	s_nop 1
	v_cndmask_b32_e64 v36, v3, v2, s[0:1]
; %bb.115:                              ;   in Loop: Header=BB146_48 Depth=1
	s_or_b64 exec, exec, s[14:15]
	global_load_dwordx4 v[2:5], v[8:9], off offset:1024
	s_waitcnt vmcnt(0)
	v_lshrrev_b32_e32 v54, 16, v2
	v_lshrrev_b32_e32 v56, 16, v3
	;; [unrolled: 1-line block ×4, first 2 shown]
	s_and_saveexec_b64 s[14:15], vcc
	s_cbranch_execz .LBB146_117
; %bb.116:                              ;   in Loop: Header=BB146_48 Depth=1
	v_cmp_gt_i32_e64 s[0:1], s33, v37
	s_nop 1
	v_cndmask_b32_e64 v2, 0, v2, s[0:1]
	v_cmp_gt_i32_e64 s[0:1], s33, v44
	s_nop 1
	v_cndmask_b32_e64 v54, 0, v54, s[0:1]
	;; [unrolled: 3-line block ×8, first 2 shown]
.LBB146_117:                            ;   in Loop: Header=BB146_48 Depth=1
	s_or_b64 exec, exec, s[14:15]
	v_lshlrev_b32_e32 v2, 16, v2
	v_mul_f32_e32 v2, v45, v2
	v_and_b32_e32 v53, 0x7f800000, v2
	v_cmp_ne_u32_e64 s[0:1], s24, v53
                                        ; implicit-def: $vgpr53
	s_and_saveexec_b64 s[14:15], s[0:1]
	s_xor_b64 s[0:1], exec, s[14:15]
; %bb.118:                              ;   in Loop: Header=BB146_48 Depth=1
	v_bfe_u32 v53, v2, 16, 1
	v_add3_u32 v53, v2, v53, s25
                                        ; implicit-def: $vgpr2
; %bb.119:                              ;   in Loop: Header=BB146_48 Depth=1
	s_andn2_saveexec_b64 s[14:15], s[0:1]
; %bb.120:                              ;   in Loop: Header=BB146_48 Depth=1
	v_or_b32_e32 v53, 0x10000, v2
	v_cmp_eq_u32_sdwa s[0:1], v2, v15 src0_sel:WORD_0 src1_sel:DWORD
	s_nop 1
	v_cndmask_b32_e64 v53, v53, v2, s[0:1]
; %bb.121:                              ;   in Loop: Header=BB146_48 Depth=1
	s_or_b64 exec, exec, s[14:15]
	v_lshlrev_b32_e32 v2, 16, v54
	v_mul_f32_e32 v2, v46, v2
	v_and_b32_e32 v54, 0x7f800000, v2
	v_cmp_ne_u32_e64 s[0:1], s24, v54
                                        ; implicit-def: $vgpr54
	s_and_saveexec_b64 s[14:15], s[0:1]
	s_xor_b64 s[0:1], exec, s[14:15]
; %bb.122:                              ;   in Loop: Header=BB146_48 Depth=1
	v_bfe_u32 v54, v2, 16, 1
	v_add3_u32 v54, v2, v54, s25
                                        ; implicit-def: $vgpr2
; %bb.123:                              ;   in Loop: Header=BB146_48 Depth=1
	s_andn2_saveexec_b64 s[14:15], s[0:1]
; %bb.124:                              ;   in Loop: Header=BB146_48 Depth=1
	v_or_b32_e32 v54, 0x10000, v2
	v_cmp_eq_u32_sdwa s[0:1], v2, v15 src0_sel:WORD_0 src1_sel:DWORD
	s_nop 1
	v_cndmask_b32_e64 v54, v54, v2, s[0:1]
; %bb.125:                              ;   in Loop: Header=BB146_48 Depth=1
	s_or_b64 exec, exec, s[14:15]
	v_lshlrev_b32_e32 v2, 16, v3
	v_mul_f32_e32 v2, v47, v2
	v_and_b32_e32 v3, 0x7f800000, v2
	v_cmp_ne_u32_e64 s[0:1], s24, v3
                                        ; implicit-def: $vgpr55
	s_and_saveexec_b64 s[14:15], s[0:1]
	s_xor_b64 s[0:1], exec, s[14:15]
; %bb.126:                              ;   in Loop: Header=BB146_48 Depth=1
	v_bfe_u32 v3, v2, 16, 1
	v_add3_u32 v55, v2, v3, s25
                                        ; implicit-def: $vgpr2
; %bb.127:                              ;   in Loop: Header=BB146_48 Depth=1
	s_andn2_saveexec_b64 s[14:15], s[0:1]
; %bb.128:                              ;   in Loop: Header=BB146_48 Depth=1
	v_or_b32_e32 v3, 0x10000, v2
	v_cmp_eq_u32_sdwa s[0:1], v2, v15 src0_sel:WORD_0 src1_sel:DWORD
	s_nop 1
	v_cndmask_b32_e64 v55, v3, v2, s[0:1]
; %bb.129:                              ;   in Loop: Header=BB146_48 Depth=1
	s_or_b64 exec, exec, s[14:15]
	v_lshlrev_b32_e32 v2, 16, v56
	v_mul_f32_e32 v2, v48, v2
	v_and_b32_e32 v3, 0x7f800000, v2
	v_cmp_ne_u32_e64 s[0:1], s24, v3
                                        ; implicit-def: $vgpr56
	s_and_saveexec_b64 s[14:15], s[0:1]
	s_xor_b64 s[0:1], exec, s[14:15]
; %bb.130:                              ;   in Loop: Header=BB146_48 Depth=1
	v_bfe_u32 v3, v2, 16, 1
	v_add3_u32 v56, v2, v3, s25
                                        ; implicit-def: $vgpr2
; %bb.131:                              ;   in Loop: Header=BB146_48 Depth=1
	s_andn2_saveexec_b64 s[14:15], s[0:1]
; %bb.132:                              ;   in Loop: Header=BB146_48 Depth=1
	v_or_b32_e32 v3, 0x10000, v2
	v_cmp_eq_u32_sdwa s[0:1], v2, v15 src0_sel:WORD_0 src1_sel:DWORD
	s_nop 1
	v_cndmask_b32_e64 v56, v3, v2, s[0:1]
; %bb.133:                              ;   in Loop: Header=BB146_48 Depth=1
	s_or_b64 exec, exec, s[14:15]
	v_lshlrev_b32_e32 v2, 16, v4
	v_mul_f32_e32 v2, v49, v2
	v_and_b32_e32 v3, 0x7f800000, v2
	v_cmp_ne_u32_e64 s[0:1], s24, v3
                                        ; implicit-def: $vgpr57
	s_and_saveexec_b64 s[14:15], s[0:1]
	s_xor_b64 s[0:1], exec, s[14:15]
; %bb.134:                              ;   in Loop: Header=BB146_48 Depth=1
	v_bfe_u32 v3, v2, 16, 1
	v_add3_u32 v57, v2, v3, s25
                                        ; implicit-def: $vgpr2
; %bb.135:                              ;   in Loop: Header=BB146_48 Depth=1
	s_andn2_saveexec_b64 s[14:15], s[0:1]
; %bb.136:                              ;   in Loop: Header=BB146_48 Depth=1
	v_or_b32_e32 v3, 0x10000, v2
	v_cmp_eq_u32_sdwa s[0:1], v2, v15 src0_sel:WORD_0 src1_sel:DWORD
	s_nop 1
	v_cndmask_b32_e64 v57, v3, v2, s[0:1]
; %bb.137:                              ;   in Loop: Header=BB146_48 Depth=1
	s_or_b64 exec, exec, s[14:15]
	v_lshlrev_b32_e32 v2, 16, v58
	v_mul_f32_e32 v2, v50, v2
	v_and_b32_e32 v3, 0x7f800000, v2
	v_cmp_ne_u32_e64 s[0:1], s24, v3
                                        ; implicit-def: $vgpr58
	s_and_saveexec_b64 s[14:15], s[0:1]
	s_xor_b64 s[0:1], exec, s[14:15]
; %bb.138:                              ;   in Loop: Header=BB146_48 Depth=1
	v_bfe_u32 v3, v2, 16, 1
	v_add3_u32 v58, v2, v3, s25
                                        ; implicit-def: $vgpr2
; %bb.139:                              ;   in Loop: Header=BB146_48 Depth=1
	s_andn2_saveexec_b64 s[14:15], s[0:1]
; %bb.140:                              ;   in Loop: Header=BB146_48 Depth=1
	v_or_b32_e32 v3, 0x10000, v2
	v_cmp_eq_u32_sdwa s[0:1], v2, v15 src0_sel:WORD_0 src1_sel:DWORD
	s_nop 1
	v_cndmask_b32_e64 v58, v3, v2, s[0:1]
; %bb.141:                              ;   in Loop: Header=BB146_48 Depth=1
	s_or_b64 exec, exec, s[14:15]
	v_lshlrev_b32_e32 v2, 16, v5
	v_mul_f32_e32 v2, v51, v2
	v_and_b32_e32 v3, 0x7f800000, v2
	v_cmp_ne_u32_e64 s[0:1], s24, v3
                                        ; implicit-def: $vgpr59
	s_and_saveexec_b64 s[14:15], s[0:1]
	s_xor_b64 s[0:1], exec, s[14:15]
; %bb.142:                              ;   in Loop: Header=BB146_48 Depth=1
	v_bfe_u32 v3, v2, 16, 1
	v_add3_u32 v59, v2, v3, s25
                                        ; implicit-def: $vgpr2
; %bb.143:                              ;   in Loop: Header=BB146_48 Depth=1
	s_andn2_saveexec_b64 s[14:15], s[0:1]
; %bb.144:                              ;   in Loop: Header=BB146_48 Depth=1
	v_or_b32_e32 v3, 0x10000, v2
	v_cmp_eq_u32_sdwa s[0:1], v2, v15 src0_sel:WORD_0 src1_sel:DWORD
	s_nop 1
	v_cndmask_b32_e64 v59, v3, v2, s[0:1]
; %bb.145:                              ;   in Loop: Header=BB146_48 Depth=1
	s_or_b64 exec, exec, s[14:15]
	v_lshlrev_b32_e32 v2, 16, v19
	v_mul_f32_e32 v2, v52, v2
	v_and_b32_e32 v3, 0x7f800000, v2
	v_cmp_ne_u32_e64 s[0:1], s24, v3
                                        ; implicit-def: $vgpr60
	s_and_saveexec_b64 s[14:15], s[0:1]
	s_xor_b64 s[0:1], exec, s[14:15]
; %bb.146:                              ;   in Loop: Header=BB146_48 Depth=1
	v_bfe_u32 v3, v2, 16, 1
	v_add3_u32 v60, v2, v3, s25
                                        ; implicit-def: $vgpr2
; %bb.147:                              ;   in Loop: Header=BB146_48 Depth=1
	s_andn2_saveexec_b64 s[14:15], s[0:1]
; %bb.148:                              ;   in Loop: Header=BB146_48 Depth=1
	v_or_b32_e32 v3, 0x10000, v2
	v_cmp_eq_u32_sdwa s[0:1], v2, v15 src0_sel:WORD_0 src1_sel:DWORD
	s_nop 1
	v_cndmask_b32_e64 v60, v3, v2, s[0:1]
; %bb.149:                              ;   in Loop: Header=BB146_48 Depth=1
	s_or_b64 exec, exec, s[14:15]
	global_load_dwordx4 v[2:5], v[8:9], off offset:2048
	s_waitcnt vmcnt(0)
	v_lshrrev_b32_e32 v62, 16, v2
	v_lshrrev_b32_e32 v64, 16, v3
	;; [unrolled: 1-line block ×4, first 2 shown]
	s_and_saveexec_b64 s[14:15], vcc
	s_cbranch_execz .LBB146_151
; %bb.150:                              ;   in Loop: Header=BB146_48 Depth=1
	v_cmp_gt_i32_e64 s[0:1], s33, v37
	s_nop 1
	v_cndmask_b32_e64 v2, 0, v2, s[0:1]
	v_cmp_gt_i32_e64 s[0:1], s33, v44
	s_nop 1
	v_cndmask_b32_e64 v62, 0, v62, s[0:1]
	;; [unrolled: 3-line block ×8, first 2 shown]
.LBB146_151:                            ;   in Loop: Header=BB146_48 Depth=1
	s_or_b64 exec, exec, s[14:15]
	v_lshlrev_b32_e32 v2, 16, v2
	v_mul_f32_e32 v2, v45, v2
	v_and_b32_e32 v61, 0x7f800000, v2
	v_cmp_ne_u32_e64 s[0:1], s24, v61
                                        ; implicit-def: $vgpr61
	s_and_saveexec_b64 s[14:15], s[0:1]
	s_xor_b64 s[0:1], exec, s[14:15]
; %bb.152:                              ;   in Loop: Header=BB146_48 Depth=1
	v_bfe_u32 v61, v2, 16, 1
	v_add3_u32 v61, v2, v61, s25
                                        ; implicit-def: $vgpr2
; %bb.153:                              ;   in Loop: Header=BB146_48 Depth=1
	s_andn2_saveexec_b64 s[14:15], s[0:1]
; %bb.154:                              ;   in Loop: Header=BB146_48 Depth=1
	v_or_b32_e32 v61, 0x10000, v2
	v_cmp_eq_u32_sdwa s[0:1], v2, v15 src0_sel:WORD_0 src1_sel:DWORD
	s_nop 1
	v_cndmask_b32_e64 v61, v61, v2, s[0:1]
; %bb.155:                              ;   in Loop: Header=BB146_48 Depth=1
	s_or_b64 exec, exec, s[14:15]
	v_lshlrev_b32_e32 v2, 16, v62
	v_mul_f32_e32 v2, v46, v2
	v_and_b32_e32 v62, 0x7f800000, v2
	v_cmp_ne_u32_e64 s[0:1], s24, v62
                                        ; implicit-def: $vgpr62
	s_and_saveexec_b64 s[14:15], s[0:1]
	s_xor_b64 s[0:1], exec, s[14:15]
; %bb.156:                              ;   in Loop: Header=BB146_48 Depth=1
	v_bfe_u32 v62, v2, 16, 1
	v_add3_u32 v62, v2, v62, s25
                                        ; implicit-def: $vgpr2
; %bb.157:                              ;   in Loop: Header=BB146_48 Depth=1
	s_andn2_saveexec_b64 s[14:15], s[0:1]
; %bb.158:                              ;   in Loop: Header=BB146_48 Depth=1
	v_or_b32_e32 v62, 0x10000, v2
	v_cmp_eq_u32_sdwa s[0:1], v2, v15 src0_sel:WORD_0 src1_sel:DWORD
	s_nop 1
	v_cndmask_b32_e64 v62, v62, v2, s[0:1]
; %bb.159:                              ;   in Loop: Header=BB146_48 Depth=1
	s_or_b64 exec, exec, s[14:15]
	v_lshlrev_b32_e32 v2, 16, v3
	v_mul_f32_e32 v2, v47, v2
	v_and_b32_e32 v3, 0x7f800000, v2
	v_cmp_ne_u32_e64 s[0:1], s24, v3
                                        ; implicit-def: $vgpr63
	s_and_saveexec_b64 s[14:15], s[0:1]
	s_xor_b64 s[0:1], exec, s[14:15]
; %bb.160:                              ;   in Loop: Header=BB146_48 Depth=1
	v_bfe_u32 v3, v2, 16, 1
	v_add3_u32 v63, v2, v3, s25
                                        ; implicit-def: $vgpr2
; %bb.161:                              ;   in Loop: Header=BB146_48 Depth=1
	s_andn2_saveexec_b64 s[14:15], s[0:1]
; %bb.162:                              ;   in Loop: Header=BB146_48 Depth=1
	v_or_b32_e32 v3, 0x10000, v2
	v_cmp_eq_u32_sdwa s[0:1], v2, v15 src0_sel:WORD_0 src1_sel:DWORD
	s_nop 1
	v_cndmask_b32_e64 v63, v3, v2, s[0:1]
; %bb.163:                              ;   in Loop: Header=BB146_48 Depth=1
	s_or_b64 exec, exec, s[14:15]
	v_lshlrev_b32_e32 v2, 16, v64
	v_mul_f32_e32 v2, v48, v2
	v_and_b32_e32 v3, 0x7f800000, v2
	v_cmp_ne_u32_e64 s[0:1], s24, v3
                                        ; implicit-def: $vgpr64
	s_and_saveexec_b64 s[14:15], s[0:1]
	s_xor_b64 s[0:1], exec, s[14:15]
; %bb.164:                              ;   in Loop: Header=BB146_48 Depth=1
	v_bfe_u32 v3, v2, 16, 1
	v_add3_u32 v64, v2, v3, s25
                                        ; implicit-def: $vgpr2
; %bb.165:                              ;   in Loop: Header=BB146_48 Depth=1
	s_andn2_saveexec_b64 s[14:15], s[0:1]
; %bb.166:                              ;   in Loop: Header=BB146_48 Depth=1
	v_or_b32_e32 v3, 0x10000, v2
	v_cmp_eq_u32_sdwa s[0:1], v2, v15 src0_sel:WORD_0 src1_sel:DWORD
	s_nop 1
	v_cndmask_b32_e64 v64, v3, v2, s[0:1]
; %bb.167:                              ;   in Loop: Header=BB146_48 Depth=1
	s_or_b64 exec, exec, s[14:15]
	v_lshlrev_b32_e32 v2, 16, v4
	v_mul_f32_e32 v2, v49, v2
	v_and_b32_e32 v3, 0x7f800000, v2
	v_cmp_ne_u32_e64 s[0:1], s24, v3
                                        ; implicit-def: $vgpr65
	s_and_saveexec_b64 s[14:15], s[0:1]
	s_xor_b64 s[0:1], exec, s[14:15]
; %bb.168:                              ;   in Loop: Header=BB146_48 Depth=1
	v_bfe_u32 v3, v2, 16, 1
	v_add3_u32 v65, v2, v3, s25
                                        ; implicit-def: $vgpr2
; %bb.169:                              ;   in Loop: Header=BB146_48 Depth=1
	s_andn2_saveexec_b64 s[14:15], s[0:1]
; %bb.170:                              ;   in Loop: Header=BB146_48 Depth=1
	v_or_b32_e32 v3, 0x10000, v2
	v_cmp_eq_u32_sdwa s[0:1], v2, v15 src0_sel:WORD_0 src1_sel:DWORD
	s_nop 1
	v_cndmask_b32_e64 v65, v3, v2, s[0:1]
; %bb.171:                              ;   in Loop: Header=BB146_48 Depth=1
	s_or_b64 exec, exec, s[14:15]
	v_lshlrev_b32_e32 v2, 16, v66
	v_mul_f32_e32 v2, v50, v2
	v_and_b32_e32 v3, 0x7f800000, v2
	v_cmp_ne_u32_e64 s[0:1], s24, v3
                                        ; implicit-def: $vgpr66
	s_and_saveexec_b64 s[14:15], s[0:1]
	s_xor_b64 s[0:1], exec, s[14:15]
; %bb.172:                              ;   in Loop: Header=BB146_48 Depth=1
	v_bfe_u32 v3, v2, 16, 1
	v_add3_u32 v66, v2, v3, s25
                                        ; implicit-def: $vgpr2
; %bb.173:                              ;   in Loop: Header=BB146_48 Depth=1
	s_andn2_saveexec_b64 s[14:15], s[0:1]
; %bb.174:                              ;   in Loop: Header=BB146_48 Depth=1
	v_or_b32_e32 v3, 0x10000, v2
	v_cmp_eq_u32_sdwa s[0:1], v2, v15 src0_sel:WORD_0 src1_sel:DWORD
	s_nop 1
	v_cndmask_b32_e64 v66, v3, v2, s[0:1]
; %bb.175:                              ;   in Loop: Header=BB146_48 Depth=1
	s_or_b64 exec, exec, s[14:15]
	v_lshlrev_b32_e32 v2, 16, v5
	v_mul_f32_e32 v2, v51, v2
	v_and_b32_e32 v3, 0x7f800000, v2
	v_cmp_ne_u32_e64 s[0:1], s24, v3
                                        ; implicit-def: $vgpr67
	s_and_saveexec_b64 s[14:15], s[0:1]
	s_xor_b64 s[0:1], exec, s[14:15]
; %bb.176:                              ;   in Loop: Header=BB146_48 Depth=1
	v_bfe_u32 v3, v2, 16, 1
	v_add3_u32 v67, v2, v3, s25
                                        ; implicit-def: $vgpr2
; %bb.177:                              ;   in Loop: Header=BB146_48 Depth=1
	s_andn2_saveexec_b64 s[14:15], s[0:1]
; %bb.178:                              ;   in Loop: Header=BB146_48 Depth=1
	v_or_b32_e32 v3, 0x10000, v2
	v_cmp_eq_u32_sdwa s[0:1], v2, v15 src0_sel:WORD_0 src1_sel:DWORD
	s_nop 1
	v_cndmask_b32_e64 v67, v3, v2, s[0:1]
; %bb.179:                              ;   in Loop: Header=BB146_48 Depth=1
	s_or_b64 exec, exec, s[14:15]
	v_lshlrev_b32_e32 v2, 16, v19
	v_mul_f32_e32 v2, v52, v2
	v_and_b32_e32 v3, 0x7f800000, v2
	v_cmp_ne_u32_e64 s[0:1], s24, v3
                                        ; implicit-def: $vgpr68
	s_and_saveexec_b64 s[14:15], s[0:1]
	s_xor_b64 s[0:1], exec, s[14:15]
; %bb.180:                              ;   in Loop: Header=BB146_48 Depth=1
	v_bfe_u32 v3, v2, 16, 1
	v_add3_u32 v68, v2, v3, s25
                                        ; implicit-def: $vgpr2
; %bb.181:                              ;   in Loop: Header=BB146_48 Depth=1
	s_andn2_saveexec_b64 s[14:15], s[0:1]
; %bb.182:                              ;   in Loop: Header=BB146_48 Depth=1
	v_or_b32_e32 v3, 0x10000, v2
	v_cmp_eq_u32_sdwa s[0:1], v2, v15 src0_sel:WORD_0 src1_sel:DWORD
	s_nop 1
	v_cndmask_b32_e64 v68, v3, v2, s[0:1]
; %bb.183:                              ;   in Loop: Header=BB146_48 Depth=1
	s_or_b64 exec, exec, s[14:15]
	global_load_dwordx4 v[2:5], v[8:9], off offset:3072
	s_waitcnt vmcnt(0)
	v_lshrrev_b32_e32 v9, 16, v2
	v_lshrrev_b32_e32 v70, 16, v3
	;; [unrolled: 1-line block ×4, first 2 shown]
	s_and_saveexec_b64 s[14:15], vcc
	s_cbranch_execz .LBB146_185
; %bb.184:                              ;   in Loop: Header=BB146_48 Depth=1
	v_cmp_gt_i32_e64 s[0:1], s33, v37
	s_nop 1
	v_cndmask_b32_e64 v2, 0, v2, s[0:1]
	v_cmp_gt_i32_e64 s[0:1], s33, v44
	s_nop 1
	v_cndmask_b32_e64 v9, 0, v9, s[0:1]
	;; [unrolled: 3-line block ×8, first 2 shown]
.LBB146_185:                            ;   in Loop: Header=BB146_48 Depth=1
	s_or_b64 exec, exec, s[14:15]
	v_lshlrev_b32_e32 v2, 16, v2
	v_mul_f32_e32 v2, v45, v2
	v_and_b32_e32 v8, 0x7f800000, v2
	v_cmp_ne_u32_e64 s[0:1], s24, v8
                                        ; implicit-def: $vgpr8
	s_and_saveexec_b64 s[14:15], s[0:1]
	s_xor_b64 s[0:1], exec, s[14:15]
; %bb.186:                              ;   in Loop: Header=BB146_48 Depth=1
	v_bfe_u32 v8, v2, 16, 1
	v_add3_u32 v8, v2, v8, s25
                                        ; implicit-def: $vgpr2
; %bb.187:                              ;   in Loop: Header=BB146_48 Depth=1
	s_andn2_saveexec_b64 s[14:15], s[0:1]
; %bb.188:                              ;   in Loop: Header=BB146_48 Depth=1
	v_or_b32_e32 v8, 0x10000, v2
	v_cmp_eq_u32_sdwa s[0:1], v2, v15 src0_sel:WORD_0 src1_sel:DWORD
	s_nop 1
	v_cndmask_b32_e64 v8, v8, v2, s[0:1]
; %bb.189:                              ;   in Loop: Header=BB146_48 Depth=1
	s_or_b64 exec, exec, s[14:15]
	v_lshlrev_b32_e32 v2, 16, v9
	v_mul_f32_e32 v2, v46, v2
	v_and_b32_e32 v9, 0x7f800000, v2
	v_cmp_ne_u32_e64 s[0:1], s24, v9
                                        ; implicit-def: $vgpr9
	s_and_saveexec_b64 s[14:15], s[0:1]
	s_xor_b64 s[0:1], exec, s[14:15]
; %bb.190:                              ;   in Loop: Header=BB146_48 Depth=1
	v_bfe_u32 v9, v2, 16, 1
	v_add3_u32 v9, v2, v9, s25
                                        ; implicit-def: $vgpr2
; %bb.191:                              ;   in Loop: Header=BB146_48 Depth=1
	s_andn2_saveexec_b64 s[14:15], s[0:1]
; %bb.192:                              ;   in Loop: Header=BB146_48 Depth=1
	v_or_b32_e32 v9, 0x10000, v2
	v_cmp_eq_u32_sdwa s[0:1], v2, v15 src0_sel:WORD_0 src1_sel:DWORD
	s_nop 1
	v_cndmask_b32_e64 v9, v9, v2, s[0:1]
; %bb.193:                              ;   in Loop: Header=BB146_48 Depth=1
	s_or_b64 exec, exec, s[14:15]
	v_lshlrev_b32_e32 v2, 16, v3
	v_mul_f32_e32 v2, v47, v2
	v_and_b32_e32 v3, 0x7f800000, v2
	v_cmp_ne_u32_e64 s[0:1], s24, v3
                                        ; implicit-def: $vgpr69
	s_and_saveexec_b64 s[14:15], s[0:1]
	s_xor_b64 s[0:1], exec, s[14:15]
; %bb.194:                              ;   in Loop: Header=BB146_48 Depth=1
	v_bfe_u32 v3, v2, 16, 1
	v_add3_u32 v69, v2, v3, s25
                                        ; implicit-def: $vgpr2
; %bb.195:                              ;   in Loop: Header=BB146_48 Depth=1
	s_andn2_saveexec_b64 s[14:15], s[0:1]
; %bb.196:                              ;   in Loop: Header=BB146_48 Depth=1
	v_or_b32_e32 v3, 0x10000, v2
	v_cmp_eq_u32_sdwa s[0:1], v2, v15 src0_sel:WORD_0 src1_sel:DWORD
	s_nop 1
	v_cndmask_b32_e64 v69, v3, v2, s[0:1]
; %bb.197:                              ;   in Loop: Header=BB146_48 Depth=1
	s_or_b64 exec, exec, s[14:15]
	v_lshlrev_b32_e32 v2, 16, v70
	v_mul_f32_e32 v2, v48, v2
	v_and_b32_e32 v3, 0x7f800000, v2
	v_cmp_ne_u32_e64 s[0:1], s24, v3
                                        ; implicit-def: $vgpr70
	s_and_saveexec_b64 s[14:15], s[0:1]
	s_xor_b64 s[0:1], exec, s[14:15]
; %bb.198:                              ;   in Loop: Header=BB146_48 Depth=1
	v_bfe_u32 v3, v2, 16, 1
	v_add3_u32 v70, v2, v3, s25
                                        ; implicit-def: $vgpr2
; %bb.199:                              ;   in Loop: Header=BB146_48 Depth=1
	s_andn2_saveexec_b64 s[14:15], s[0:1]
; %bb.200:                              ;   in Loop: Header=BB146_48 Depth=1
	v_or_b32_e32 v3, 0x10000, v2
	v_cmp_eq_u32_sdwa s[0:1], v2, v15 src0_sel:WORD_0 src1_sel:DWORD
	s_nop 1
	v_cndmask_b32_e64 v70, v3, v2, s[0:1]
; %bb.201:                              ;   in Loop: Header=BB146_48 Depth=1
	s_or_b64 exec, exec, s[14:15]
	v_lshlrev_b32_e32 v2, 16, v4
	v_mul_f32_e32 v2, v49, v2
	v_and_b32_e32 v3, 0x7f800000, v2
	v_cmp_ne_u32_e64 s[0:1], s24, v3
                                        ; implicit-def: $vgpr71
	s_and_saveexec_b64 s[14:15], s[0:1]
	s_xor_b64 s[0:1], exec, s[14:15]
; %bb.202:                              ;   in Loop: Header=BB146_48 Depth=1
	v_bfe_u32 v3, v2, 16, 1
	v_add3_u32 v71, v2, v3, s25
                                        ; implicit-def: $vgpr2
; %bb.203:                              ;   in Loop: Header=BB146_48 Depth=1
	s_andn2_saveexec_b64 s[14:15], s[0:1]
; %bb.204:                              ;   in Loop: Header=BB146_48 Depth=1
	v_or_b32_e32 v3, 0x10000, v2
	v_cmp_eq_u32_sdwa s[0:1], v2, v15 src0_sel:WORD_0 src1_sel:DWORD
	s_nop 1
	v_cndmask_b32_e64 v71, v3, v2, s[0:1]
; %bb.205:                              ;   in Loop: Header=BB146_48 Depth=1
	s_or_b64 exec, exec, s[14:15]
	v_lshlrev_b32_e32 v2, 16, v72
	v_mul_f32_e32 v2, v50, v2
	v_and_b32_e32 v3, 0x7f800000, v2
	v_cmp_ne_u32_e64 s[0:1], s24, v3
                                        ; implicit-def: $vgpr72
	s_and_saveexec_b64 s[14:15], s[0:1]
	s_xor_b64 s[0:1], exec, s[14:15]
; %bb.206:                              ;   in Loop: Header=BB146_48 Depth=1
	v_bfe_u32 v3, v2, 16, 1
	v_add3_u32 v72, v2, v3, s25
                                        ; implicit-def: $vgpr2
; %bb.207:                              ;   in Loop: Header=BB146_48 Depth=1
	s_andn2_saveexec_b64 s[14:15], s[0:1]
; %bb.208:                              ;   in Loop: Header=BB146_48 Depth=1
	v_or_b32_e32 v3, 0x10000, v2
	v_cmp_eq_u32_sdwa s[0:1], v2, v15 src0_sel:WORD_0 src1_sel:DWORD
	s_nop 1
	v_cndmask_b32_e64 v72, v3, v2, s[0:1]
; %bb.209:                              ;   in Loop: Header=BB146_48 Depth=1
	s_or_b64 exec, exec, s[14:15]
	v_lshlrev_b32_e32 v2, 16, v5
	v_mul_f32_e32 v2, v51, v2
	v_and_b32_e32 v3, 0x7f800000, v2
	v_cmp_ne_u32_e64 s[0:1], s24, v3
                                        ; implicit-def: $vgpr73
	s_and_saveexec_b64 s[14:15], s[0:1]
	s_xor_b64 s[0:1], exec, s[14:15]
; %bb.210:                              ;   in Loop: Header=BB146_48 Depth=1
	v_bfe_u32 v3, v2, 16, 1
	v_add3_u32 v73, v2, v3, s25
                                        ; implicit-def: $vgpr2
; %bb.211:                              ;   in Loop: Header=BB146_48 Depth=1
	s_andn2_saveexec_b64 s[14:15], s[0:1]
; %bb.212:                              ;   in Loop: Header=BB146_48 Depth=1
	v_or_b32_e32 v3, 0x10000, v2
	v_cmp_eq_u32_sdwa s[0:1], v2, v15 src0_sel:WORD_0 src1_sel:DWORD
	s_nop 1
	v_cndmask_b32_e64 v73, v3, v2, s[0:1]
; %bb.213:                              ;   in Loop: Header=BB146_48 Depth=1
	s_or_b64 exec, exec, s[14:15]
	v_lshlrev_b32_e32 v2, 16, v19
	v_mul_f32_e32 v2, v52, v2
	v_and_b32_e32 v3, 0x7f800000, v2
	v_cmp_ne_u32_e64 s[0:1], s24, v3
                                        ; implicit-def: $vgpr74
	s_and_saveexec_b64 s[14:15], s[0:1]
	s_xor_b64 s[0:1], exec, s[14:15]
; %bb.214:                              ;   in Loop: Header=BB146_48 Depth=1
	v_bfe_u32 v3, v2, 16, 1
	v_add3_u32 v74, v2, v3, s25
                                        ; implicit-def: $vgpr2
; %bb.215:                              ;   in Loop: Header=BB146_48 Depth=1
	s_andn2_saveexec_b64 s[14:15], s[0:1]
; %bb.216:                              ;   in Loop: Header=BB146_48 Depth=1
	v_or_b32_e32 v3, 0x10000, v2
	v_cmp_eq_u32_sdwa s[0:1], v2, v15 src0_sel:WORD_0 src1_sel:DWORD
	s_nop 1
	v_cndmask_b32_e64 v74, v3, v2, s[0:1]
; %bb.217:                              ;   in Loop: Header=BB146_48 Depth=1
	s_or_b64 exec, exec, s[14:15]
	v_mov_b32_e32 v19, v15
	v_lshl_add_u64 v[2:3], v[6:7], 0, v[18:19]
	global_load_dwordx4 v[2:5], v[2:3], off
	s_waitcnt vmcnt(0)
	v_lshrrev_b32_e32 v6, 16, v2
	v_lshrrev_b32_e32 v19, 16, v3
	v_lshrrev_b32_e32 v75, 16, v4
	v_lshrrev_b32_e32 v7, 16, v5
	s_and_saveexec_b64 s[0:1], vcc
	s_cbranch_execz .LBB146_219
; %bb.218:                              ;   in Loop: Header=BB146_48 Depth=1
	v_cmp_gt_i32_e32 vcc, s33, v37
	s_nop 1
	v_cndmask_b32_e32 v2, 0, v2, vcc
	v_cmp_gt_i32_e32 vcc, s33, v44
	s_nop 1
	v_cndmask_b32_e32 v6, 0, v6, vcc
	;; [unrolled: 3-line block ×8, first 2 shown]
.LBB146_219:                            ;   in Loop: Header=BB146_48 Depth=1
	s_or_b64 exec, exec, s[0:1]
	v_lshlrev_b32_e32 v2, 16, v2
	v_mul_f32_e32 v37, v45, v2
	v_and_b32_e32 v2, 0x7f800000, v37
	v_cmp_ne_u32_e32 vcc, s24, v2
                                        ; implicit-def: $vgpr2
	s_and_saveexec_b64 s[0:1], vcc
	s_xor_b64 s[0:1], exec, s[0:1]
; %bb.220:                              ;   in Loop: Header=BB146_48 Depth=1
	v_bfe_u32 v2, v37, 16, 1
	v_add3_u32 v2, v37, v2, s25
                                        ; implicit-def: $vgpr37
; %bb.221:                              ;   in Loop: Header=BB146_48 Depth=1
	s_andn2_saveexec_b64 s[0:1], s[0:1]
; %bb.222:                              ;   in Loop: Header=BB146_48 Depth=1
	v_or_b32_e32 v2, 0x10000, v37
	v_cmp_eq_u32_sdwa vcc, v37, v15 src0_sel:WORD_0 src1_sel:DWORD
	s_nop 1
	v_cndmask_b32_e32 v2, v2, v37, vcc
; %bb.223:                              ;   in Loop: Header=BB146_48 Depth=1
	s_or_b64 exec, exec, s[0:1]
	v_lshlrev_b32_e32 v6, 16, v6
	v_mul_f32_e32 v37, v46, v6
	v_and_b32_e32 v6, 0x7f800000, v37
	v_cmp_ne_u32_e32 vcc, s24, v6
                                        ; implicit-def: $vgpr6
	s_and_saveexec_b64 s[0:1], vcc
	s_xor_b64 s[0:1], exec, s[0:1]
; %bb.224:                              ;   in Loop: Header=BB146_48 Depth=1
	v_bfe_u32 v6, v37, 16, 1
	v_add3_u32 v6, v37, v6, s25
                                        ; implicit-def: $vgpr37
; %bb.225:                              ;   in Loop: Header=BB146_48 Depth=1
	s_andn2_saveexec_b64 s[0:1], s[0:1]
; %bb.226:                              ;   in Loop: Header=BB146_48 Depth=1
	v_or_b32_e32 v6, 0x10000, v37
	v_cmp_eq_u32_sdwa vcc, v37, v15 src0_sel:WORD_0 src1_sel:DWORD
	s_nop 1
	v_cndmask_b32_e32 v6, v6, v37, vcc
; %bb.227:                              ;   in Loop: Header=BB146_48 Depth=1
	s_or_b64 exec, exec, s[0:1]
	v_lshlrev_b32_e32 v3, 16, v3
	v_mul_f32_e32 v37, v47, v3
	v_and_b32_e32 v3, 0x7f800000, v37
	v_cmp_ne_u32_e32 vcc, s24, v3
                                        ; implicit-def: $vgpr3
	s_and_saveexec_b64 s[0:1], vcc
	s_xor_b64 s[0:1], exec, s[0:1]
; %bb.228:                              ;   in Loop: Header=BB146_48 Depth=1
	v_bfe_u32 v3, v37, 16, 1
	v_add3_u32 v3, v37, v3, s25
                                        ; implicit-def: $vgpr37
; %bb.229:                              ;   in Loop: Header=BB146_48 Depth=1
	s_andn2_saveexec_b64 s[0:1], s[0:1]
; %bb.230:                              ;   in Loop: Header=BB146_48 Depth=1
	v_or_b32_e32 v3, 0x10000, v37
	v_cmp_eq_u32_sdwa vcc, v37, v15 src0_sel:WORD_0 src1_sel:DWORD
	s_nop 1
	v_cndmask_b32_e32 v3, v3, v37, vcc
; %bb.231:                              ;   in Loop: Header=BB146_48 Depth=1
	s_or_b64 exec, exec, s[0:1]
	v_lshlrev_b32_e32 v19, 16, v19
	v_mul_f32_e32 v37, v48, v19
	v_and_b32_e32 v19, 0x7f800000, v37
	v_cmp_ne_u32_e32 vcc, s24, v19
                                        ; implicit-def: $vgpr19
	s_and_saveexec_b64 s[0:1], vcc
	s_xor_b64 s[0:1], exec, s[0:1]
; %bb.232:                              ;   in Loop: Header=BB146_48 Depth=1
	v_bfe_u32 v19, v37, 16, 1
	v_add3_u32 v19, v37, v19, s25
                                        ; implicit-def: $vgpr37
; %bb.233:                              ;   in Loop: Header=BB146_48 Depth=1
	s_andn2_saveexec_b64 s[0:1], s[0:1]
; %bb.234:                              ;   in Loop: Header=BB146_48 Depth=1
	v_or_b32_e32 v19, 0x10000, v37
	v_cmp_eq_u32_sdwa vcc, v37, v15 src0_sel:WORD_0 src1_sel:DWORD
	s_nop 1
	v_cndmask_b32_e32 v19, v19, v37, vcc
; %bb.235:                              ;   in Loop: Header=BB146_48 Depth=1
	s_or_b64 exec, exec, s[0:1]
	v_lshlrev_b32_e32 v4, 16, v4
	v_mul_f32_e32 v37, v49, v4
	v_and_b32_e32 v4, 0x7f800000, v37
	v_cmp_ne_u32_e32 vcc, s24, v4
                                        ; implicit-def: $vgpr4
	s_and_saveexec_b64 s[0:1], vcc
	s_xor_b64 s[0:1], exec, s[0:1]
; %bb.236:                              ;   in Loop: Header=BB146_48 Depth=1
	v_bfe_u32 v4, v37, 16, 1
	v_add3_u32 v4, v37, v4, s25
                                        ; implicit-def: $vgpr37
; %bb.237:                              ;   in Loop: Header=BB146_48 Depth=1
	s_andn2_saveexec_b64 s[0:1], s[0:1]
; %bb.238:                              ;   in Loop: Header=BB146_48 Depth=1
	v_or_b32_e32 v4, 0x10000, v37
	v_cmp_eq_u32_sdwa vcc, v37, v15 src0_sel:WORD_0 src1_sel:DWORD
	s_nop 1
	v_cndmask_b32_e32 v4, v4, v37, vcc
; %bb.239:                              ;   in Loop: Header=BB146_48 Depth=1
	s_or_b64 exec, exec, s[0:1]
	v_lshlrev_b32_e32 v37, 16, v75
	v_mul_f32_e32 v38, v50, v37
	v_and_b32_e32 v37, 0x7f800000, v38
	v_cmp_ne_u32_e32 vcc, s24, v37
                                        ; implicit-def: $vgpr37
	s_and_saveexec_b64 s[0:1], vcc
	s_xor_b64 s[0:1], exec, s[0:1]
; %bb.240:                              ;   in Loop: Header=BB146_48 Depth=1
	v_bfe_u32 v37, v38, 16, 1
	v_add3_u32 v37, v38, v37, s25
                                        ; implicit-def: $vgpr38
; %bb.241:                              ;   in Loop: Header=BB146_48 Depth=1
	s_andn2_saveexec_b64 s[0:1], s[0:1]
; %bb.242:                              ;   in Loop: Header=BB146_48 Depth=1
	v_or_b32_e32 v37, 0x10000, v38
	v_cmp_eq_u32_sdwa vcc, v38, v15 src0_sel:WORD_0 src1_sel:DWORD
	s_nop 1
	v_cndmask_b32_e32 v37, v37, v38, vcc
; %bb.243:                              ;   in Loop: Header=BB146_48 Depth=1
	s_or_b64 exec, exec, s[0:1]
	v_lshlrev_b32_e32 v5, 16, v5
	v_mul_f32_e32 v38, v51, v5
	v_and_b32_e32 v5, 0x7f800000, v38
	v_cmp_ne_u32_e32 vcc, s24, v5
                                        ; implicit-def: $vgpr5
	s_and_saveexec_b64 s[0:1], vcc
	s_xor_b64 s[0:1], exec, s[0:1]
; %bb.244:                              ;   in Loop: Header=BB146_48 Depth=1
	v_bfe_u32 v5, v38, 16, 1
	v_add3_u32 v5, v38, v5, s25
                                        ; implicit-def: $vgpr38
; %bb.245:                              ;   in Loop: Header=BB146_48 Depth=1
	s_andn2_saveexec_b64 s[0:1], s[0:1]
; %bb.246:                              ;   in Loop: Header=BB146_48 Depth=1
	v_or_b32_e32 v5, 0x10000, v38
	v_cmp_eq_u32_sdwa vcc, v38, v15 src0_sel:WORD_0 src1_sel:DWORD
	s_nop 1
	v_cndmask_b32_e32 v5, v5, v38, vcc
; %bb.247:                              ;   in Loop: Header=BB146_48 Depth=1
	s_or_b64 exec, exec, s[0:1]
	v_lshlrev_b32_e32 v7, 16, v7
	v_mul_f32_e32 v38, v52, v7
	v_and_b32_e32 v7, 0x7f800000, v38
	v_cmp_ne_u32_e32 vcc, s24, v7
                                        ; implicit-def: $vgpr7
	s_and_saveexec_b64 s[0:1], vcc
	s_xor_b64 s[0:1], exec, s[0:1]
; %bb.248:                              ;   in Loop: Header=BB146_48 Depth=1
	v_bfe_u32 v7, v38, 16, 1
	v_add3_u32 v7, v38, v7, s25
                                        ; implicit-def: $vgpr38
; %bb.249:                              ;   in Loop: Header=BB146_48 Depth=1
	s_andn2_saveexec_b64 s[0:1], s[0:1]
	s_cbranch_execz .LBB146_46
; %bb.250:                              ;   in Loop: Header=BB146_48 Depth=1
	v_or_b32_e32 v7, 0x10000, v38
	v_cmp_eq_u32_sdwa vcc, v38, v15 src0_sel:WORD_0 src1_sel:DWORD
	s_nop 1
	v_cndmask_b32_e32 v7, v7, v38, vcc
	s_branch .LBB146_46
.LBB146_251:
	s_or_b64 exec, exec, s[8:9]
.LBB146_252:
	s_or_b64 exec, exec, s[2:3]
	ds_bpermute_b32 v2, v22, v12
	ds_bpermute_b32 v3, v22, v13
	;; [unrolled: 1-line block ×5, first 2 shown]
	s_waitcnt lgkmcnt(0)
	v_pk_add_f32 v[2:3], v[12:13], v[2:3]
	ds_bpermute_b32 v6, v23, v2
	v_pk_add_f32 v[4:5], v[10:11], v[4:5]
	v_add_f32_e32 v1, v25, v1
	ds_bpermute_b32 v7, v23, v3
	ds_bpermute_b32 v8, v23, v4
	;; [unrolled: 1-line block ×4, first 2 shown]
	s_barrier
	s_waitcnt lgkmcnt(3)
	v_pk_add_f32 v[6:7], v[2:3], v[6:7]
	s_waitcnt lgkmcnt(0)
	v_pk_add_f32 v[2:3], v[4:5], v[8:9]
	v_add_f32_e32 v4, v1, v10
	v_and_b32_e32 v1, 0x3c3, v0
	v_cmp_eq_u32_e32 vcc, 64, v1
	s_and_saveexec_b64 s[0:1], vcc
	s_cbranch_execz .LBB146_254
; %bb.253:
	v_add_u32_e32 v1, 0xb0, v21
	ds_write2_b32 v1, v6, v7 offset1:16
	ds_write2_b32 v1, v2, v3 offset0:32 offset1:48
	ds_write_b32 v1, v4 offset:256
.LBB146_254:
	s_or_b64 exec, exec, s[0:1]
	v_cmp_gt_u32_e32 vcc, 64, v0
	s_waitcnt lgkmcnt(0)
	s_barrier
	s_and_saveexec_b64 s[2:3], vcc
	s_cbranch_execz .LBB146_262
; %bb.255:
	v_cmp_eq_u32_e64 s[0:1], 0, v24
	v_lshrrev_b32_e32 v1, 2, v0
	s_and_saveexec_b64 s[6:7], s[0:1]
	s_cbranch_execnz .LBB146_286
; %bb.256:
	s_or_b64 exec, exec, s[6:7]
	s_and_saveexec_b64 s[6:7], s[0:1]
	s_cbranch_execnz .LBB146_287
.LBB146_257:
	s_or_b64 exec, exec, s[6:7]
	s_and_saveexec_b64 s[6:7], s[0:1]
	s_cbranch_execnz .LBB146_288
.LBB146_258:
	s_or_b64 exec, exec, s[6:7]
	s_and_saveexec_b64 s[6:7], s[0:1]
	s_cbranch_execnz .LBB146_289
.LBB146_259:
	s_or_b64 exec, exec, s[6:7]
	s_and_saveexec_b64 s[6:7], s[0:1]
	s_cbranch_execz .LBB146_261
.LBB146_260:
	v_mov_b32_e32 v5, 0xb0
	v_lshl_add_u32 v1, v1, 2, v5
	ds_read_b32 v1, v1 offset:256
	s_waitcnt lgkmcnt(0)
	v_add_f32_e32 v4, v4, v1
.LBB146_261:
	s_or_b64 exec, exec, s[6:7]
.LBB146_262:
	s_or_b64 exec, exec, s[2:3]
	s_barrier
	s_and_saveexec_b64 s[0:1], vcc
	s_cbranch_execz .LBB146_285
; %bb.263:
	v_cmp_eq_u32_e32 vcc, 0, v24
	s_and_b64 exec, exec, vcc
	s_cbranch_execz .LBB146_285
; %bb.264:
	s_mov_b32 s0, 0x7f800000
	v_and_b32_e32 v1, 0x7f800000, v6
	v_cmp_ne_u32_e32 vcc, s0, v1
                                        ; implicit-def: $vgpr5
	s_and_saveexec_b64 s[0:1], vcc
	s_xor_b64 s[0:1], exec, s[0:1]
; %bb.265:
	v_bfe_u32 v1, v6, 16, 1
	s_movk_i32 s2, 0x7fff
	v_add3_u32 v5, v6, v1, s2
; %bb.266:
	s_andn2_saveexec_b64 s[0:1], s[0:1]
; %bb.267:
	v_mov_b32_e32 v1, 0
	v_or_b32_e32 v5, 0x10000, v6
	v_cmp_eq_u32_sdwa vcc, v6, v1 src0_sel:WORD_0 src1_sel:DWORD
	s_nop 1
	v_cndmask_b32_e32 v5, v5, v6, vcc
; %bb.268:
	s_or_b64 exec, exec, s[0:1]
	s_mul_i32 s0, s10, s11
	s_mul_i32 s0, s0, s5
	s_mulk_i32 s0, 0x50
	s_ashr_i32 s1, s0, 31
	s_lshl_b64 s[0:1], s[0:1], 1
	s_add_u32 s2, s22, s0
	s_mul_i32 s0, s11, s20
	s_addc_u32 s3, s23, s1
	s_ashr_i32 s1, s0, 31
	s_lshl_b64 s[0:1], s[0:1], 1
	s_add_u32 s2, s2, s0
	s_mul_i32 s0, s4, 0x50
	s_addc_u32 s3, s3, s1
	s_ashr_i32 s1, s0, 31
	s_lshl_b64 s[0:1], s[0:1], 1
	s_add_u32 s0, s2, s0
	v_lshrrev_b32_e32 v0, 1, v0
	s_addc_u32 s1, s3, s1
	v_and_b32_e32 v0, 0x1fe, v0
	global_store_short_d16_hi v0, v5, s[0:1]
	s_mov_b32 s2, 0x7f800000
	v_and_b32_e32 v5, 0x7f800000, v7
	v_mov_b32_e32 v1, 0
	v_cmp_ne_u32_e32 vcc, s2, v5
                                        ; implicit-def: $vgpr5
	s_and_saveexec_b64 s[2:3], vcc
	s_xor_b64 s[2:3], exec, s[2:3]
; %bb.269:
	v_bfe_u32 v5, v7, 16, 1
	s_movk_i32 s4, 0x7fff
	v_add3_u32 v5, v7, v5, s4
; %bb.270:
	s_or_saveexec_b64 s[2:3], s[2:3]
	v_lshl_add_u64 v[8:9], s[0:1], 0, v[0:1]
	s_xor_b64 exec, exec, s[2:3]
; %bb.271:
	v_mov_b32_e32 v0, 0
	v_or_b32_e32 v1, 0x10000, v7
	v_cmp_eq_u32_sdwa vcc, v7, v0 src0_sel:WORD_0 src1_sel:DWORD
	s_nop 1
	v_cndmask_b32_e32 v5, v1, v7, vcc
; %bb.272:
	s_or_b64 exec, exec, s[2:3]
	s_mov_b32 s0, 0x7f800000
	v_and_b32_e32 v0, 0x7f800000, v2
	v_cmp_ne_u32_e32 vcc, s0, v0
	global_store_short_d16_hi v[8:9], v5, off offset:32
                                        ; implicit-def: $vgpr0
	s_and_saveexec_b64 s[0:1], vcc
	s_xor_b64 s[0:1], exec, s[0:1]
; %bb.273:
	v_bfe_u32 v0, v2, 16, 1
	s_movk_i32 s2, 0x7fff
	v_add3_u32 v0, v2, v0, s2
; %bb.274:
	s_andn2_saveexec_b64 s[0:1], s[0:1]
; %bb.275:
	v_mov_b32_e32 v0, 0
	v_or_b32_e32 v1, 0x10000, v2
	v_cmp_eq_u32_sdwa vcc, v2, v0 src0_sel:WORD_0 src1_sel:DWORD
	s_nop 1
	v_cndmask_b32_e32 v0, v1, v2, vcc
; %bb.276:
	s_or_b64 exec, exec, s[0:1]
	global_store_short_d16_hi v[8:9], v0, off offset:64
	s_mov_b32 s0, 0x7f800000
	v_and_b32_e32 v0, 0x7f800000, v3
	v_cmp_ne_u32_e32 vcc, s0, v0
                                        ; implicit-def: $vgpr0
	s_and_saveexec_b64 s[0:1], vcc
	s_xor_b64 s[0:1], exec, s[0:1]
; %bb.277:
	v_bfe_u32 v0, v3, 16, 1
	s_movk_i32 s2, 0x7fff
	v_add3_u32 v0, v3, v0, s2
; %bb.278:
	s_andn2_saveexec_b64 s[0:1], s[0:1]
; %bb.279:
	v_mov_b32_e32 v0, 0
	v_or_b32_e32 v1, 0x10000, v3
	v_cmp_eq_u32_sdwa vcc, v3, v0 src0_sel:WORD_0 src1_sel:DWORD
	s_nop 1
	v_cndmask_b32_e32 v0, v1, v3, vcc
; %bb.280:
	s_or_b64 exec, exec, s[0:1]
	global_store_short_d16_hi v[8:9], v0, off offset:96
	s_mov_b32 s0, 0x7f800000
	v_and_b32_e32 v0, 0x7f800000, v4
	v_cmp_ne_u32_e32 vcc, s0, v0
                                        ; implicit-def: $vgpr5
	s_and_saveexec_b64 s[0:1], vcc
	s_xor_b64 s[0:1], exec, s[0:1]
; %bb.281:
	v_bfe_u32 v0, v4, 16, 1
	s_movk_i32 s2, 0x7fff
	v_add3_u32 v5, v4, v0, s2
                                        ; implicit-def: $vgpr0_vgpr1_vgpr2_vgpr3_vgpr4
; %bb.282:
	s_andn2_saveexec_b64 s[0:1], s[0:1]
; %bb.283:
	v_mov_b32_e32 v0, 0
	v_or_b32_e32 v1, 0x10000, v4
	v_cmp_eq_u32_sdwa vcc, v4, v0 src0_sel:WORD_0 src1_sel:DWORD
	s_nop 1
	v_cndmask_b32_e32 v5, v1, v4, vcc
; %bb.284:
	s_or_b64 exec, exec, s[0:1]
	global_store_short_d16_hi v[8:9], v5, off offset:128
.LBB146_285:
	s_endpgm
.LBB146_286:
	v_mov_b32_e32 v5, 0xb0
	v_lshl_add_u32 v5, v1, 2, v5
	ds_read_b32 v5, v5
	s_waitcnt lgkmcnt(0)
	v_add_f32_e32 v6, v6, v5
	s_or_b64 exec, exec, s[6:7]
	s_and_saveexec_b64 s[6:7], s[0:1]
	s_cbranch_execz .LBB146_257
.LBB146_287:
	v_mov_b32_e32 v5, 0xb0
	v_lshl_add_u32 v5, v1, 2, v5
	ds_read_b32 v5, v5 offset:64
	s_waitcnt lgkmcnt(0)
	v_add_f32_e32 v7, v7, v5
	s_or_b64 exec, exec, s[6:7]
	s_and_saveexec_b64 s[6:7], s[0:1]
	s_cbranch_execz .LBB146_258
.LBB146_288:
	v_mov_b32_e32 v5, 0xb0
	v_lshl_add_u32 v5, v1, 2, v5
	ds_read_b32 v5, v5 offset:128
	s_waitcnt lgkmcnt(0)
	v_add_f32_e32 v2, v2, v5
	s_or_b64 exec, exec, s[6:7]
	s_and_saveexec_b64 s[6:7], s[0:1]
	s_cbranch_execz .LBB146_259
.LBB146_289:
	v_mov_b32_e32 v5, 0xb0
	v_lshl_add_u32 v5, v1, 2, v5
	ds_read_b32 v5, v5 offset:192
	s_waitcnt lgkmcnt(0)
	v_add_f32_e32 v3, v3, v5
	s_or_b64 exec, exec, s[6:7]
	s_and_saveexec_b64 s[6:7], s[0:1]
	s_cbranch_execnz .LBB146_260
	s_branch .LBB146_261
	.section	.rodata,"a",@progbits
	.p2align	6, 0x0
	.amdhsa_kernel _ZN4vllm25paged_attention_v1_kernelI14__hip_bfloat16S1_Li80ELi32ELi128ELNS_18Fp8KVCacheDataTypeE0ELb1EEEvPT_PKS3_PKT0_S9_ifPKiSB_iPKfiiiSD_SD_iiiii
		.amdhsa_group_segment_fixed_size 176
		.amdhsa_private_segment_fixed_size 0
		.amdhsa_kernarg_size 384
		.amdhsa_user_sgpr_count 2
		.amdhsa_user_sgpr_dispatch_ptr 0
		.amdhsa_user_sgpr_queue_ptr 0
		.amdhsa_user_sgpr_kernarg_segment_ptr 1
		.amdhsa_user_sgpr_dispatch_id 0
		.amdhsa_user_sgpr_kernarg_preload_length 0
		.amdhsa_user_sgpr_kernarg_preload_offset 0
		.amdhsa_user_sgpr_private_segment_size 0
		.amdhsa_uses_dynamic_stack 0
		.amdhsa_enable_private_segment 0
		.amdhsa_system_sgpr_workgroup_id_x 1
		.amdhsa_system_sgpr_workgroup_id_y 1
		.amdhsa_system_sgpr_workgroup_id_z 1
		.amdhsa_system_sgpr_workgroup_info 0
		.amdhsa_system_vgpr_workitem_id 0
		.amdhsa_next_free_vgpr 93
		.amdhsa_next_free_sgpr 45
		.amdhsa_accum_offset 96
		.amdhsa_reserve_vcc 1
		.amdhsa_float_round_mode_32 0
		.amdhsa_float_round_mode_16_64 0
		.amdhsa_float_denorm_mode_32 3
		.amdhsa_float_denorm_mode_16_64 3
		.amdhsa_dx10_clamp 1
		.amdhsa_ieee_mode 1
		.amdhsa_fp16_overflow 0
		.amdhsa_tg_split 0
		.amdhsa_exception_fp_ieee_invalid_op 0
		.amdhsa_exception_fp_denorm_src 0
		.amdhsa_exception_fp_ieee_div_zero 0
		.amdhsa_exception_fp_ieee_overflow 0
		.amdhsa_exception_fp_ieee_underflow 0
		.amdhsa_exception_fp_ieee_inexact 0
		.amdhsa_exception_int_div_zero 0
	.end_amdhsa_kernel
	.section	.text._ZN4vllm25paged_attention_v1_kernelI14__hip_bfloat16S1_Li80ELi32ELi128ELNS_18Fp8KVCacheDataTypeE0ELb1EEEvPT_PKS3_PKT0_S9_ifPKiSB_iPKfiiiSD_SD_iiiii,"axG",@progbits,_ZN4vllm25paged_attention_v1_kernelI14__hip_bfloat16S1_Li80ELi32ELi128ELNS_18Fp8KVCacheDataTypeE0ELb1EEEvPT_PKS3_PKT0_S9_ifPKiSB_iPKfiiiSD_SD_iiiii,comdat
.Lfunc_end146:
	.size	_ZN4vllm25paged_attention_v1_kernelI14__hip_bfloat16S1_Li80ELi32ELi128ELNS_18Fp8KVCacheDataTypeE0ELb1EEEvPT_PKS3_PKT0_S9_ifPKiSB_iPKfiiiSD_SD_iiiii, .Lfunc_end146-_ZN4vllm25paged_attention_v1_kernelI14__hip_bfloat16S1_Li80ELi32ELi128ELNS_18Fp8KVCacheDataTypeE0ELb1EEEvPT_PKS3_PKT0_S9_ifPKiSB_iPKfiiiSD_SD_iiiii
                                        ; -- End function
	.section	.AMDGPU.csdata,"",@progbits
; Kernel info:
; codeLenInByte = 10656
; NumSgprs: 51
; NumVgprs: 93
; NumAgprs: 0
; TotalNumVgprs: 93
; ScratchSize: 0
; MemoryBound: 0
; FloatMode: 240
; IeeeMode: 1
; LDSByteSize: 176 bytes/workgroup (compile time only)
; SGPRBlocks: 6
; VGPRBlocks: 11
; NumSGPRsForWavesPerEU: 51
; NumVGPRsForWavesPerEU: 93
; AccumOffset: 96
; Occupancy: 5
; WaveLimiterHint : 1
; COMPUTE_PGM_RSRC2:SCRATCH_EN: 0
; COMPUTE_PGM_RSRC2:USER_SGPR: 2
; COMPUTE_PGM_RSRC2:TRAP_HANDLER: 0
; COMPUTE_PGM_RSRC2:TGID_X_EN: 1
; COMPUTE_PGM_RSRC2:TGID_Y_EN: 1
; COMPUTE_PGM_RSRC2:TGID_Z_EN: 1
; COMPUTE_PGM_RSRC2:TIDIG_COMP_CNT: 0
; COMPUTE_PGM_RSRC3_GFX90A:ACCUM_OFFSET: 23
; COMPUTE_PGM_RSRC3_GFX90A:TG_SPLIT: 0
	.section	.text._ZN4vllm25paged_attention_v1_kernelI14__hip_bfloat16S1_Li96ELi32ELi128ELNS_18Fp8KVCacheDataTypeE0ELb1EEEvPT_PKS3_PKT0_S9_ifPKiSB_iPKfiiiSD_SD_iiiii,"axG",@progbits,_ZN4vllm25paged_attention_v1_kernelI14__hip_bfloat16S1_Li96ELi32ELi128ELNS_18Fp8KVCacheDataTypeE0ELb1EEEvPT_PKS3_PKT0_S9_ifPKiSB_iPKfiiiSD_SD_iiiii,comdat
	.protected	_ZN4vllm25paged_attention_v1_kernelI14__hip_bfloat16S1_Li96ELi32ELi128ELNS_18Fp8KVCacheDataTypeE0ELb1EEEvPT_PKS3_PKT0_S9_ifPKiSB_iPKfiiiSD_SD_iiiii ; -- Begin function _ZN4vllm25paged_attention_v1_kernelI14__hip_bfloat16S1_Li96ELi32ELi128ELNS_18Fp8KVCacheDataTypeE0ELb1EEEvPT_PKS3_PKT0_S9_ifPKiSB_iPKfiiiSD_SD_iiiii
	.globl	_ZN4vllm25paged_attention_v1_kernelI14__hip_bfloat16S1_Li96ELi32ELi128ELNS_18Fp8KVCacheDataTypeE0ELb1EEEvPT_PKS3_PKT0_S9_ifPKiSB_iPKfiiiSD_SD_iiiii
	.p2align	8
	.type	_ZN4vllm25paged_attention_v1_kernelI14__hip_bfloat16S1_Li96ELi32ELi128ELNS_18Fp8KVCacheDataTypeE0ELb1EEEvPT_PKS3_PKT0_S9_ifPKiSB_iPKfiiiSD_SD_iiiii,@function
_ZN4vllm25paged_attention_v1_kernelI14__hip_bfloat16S1_Li96ELi32ELi128ELNS_18Fp8KVCacheDataTypeE0ELb1EEEvPT_PKS3_PKT0_S9_ifPKiSB_iPKfiiiSD_SD_iiiii: ; @_ZN4vllm25paged_attention_v1_kernelI14__hip_bfloat16S1_Li96ELi32ELi128ELNS_18Fp8KVCacheDataTypeE0ELb1EEEvPT_PKS3_PKT0_S9_ifPKiSB_iPKfiiiSD_SD_iiiii
; %bb.0:
	s_load_dword s5, s[0:1], 0x80
	s_load_dwordx2 s[6:7], s[0:1], 0x30
	s_load_dwordx2 s[30:31], s[0:1], 0x20
	s_mov_b32 s10, s3
	s_ashr_i32 s11, s3, 31
	s_lshl_b64 s[8:9], s[10:11], 2
	s_waitcnt lgkmcnt(0)
	s_add_u32 s6, s6, s8
	s_addc_u32 s7, s7, s9
	s_abs_i32 s3, s30
	v_cvt_f32_u32_e32 v1, s3
	s_sub_i32 s11, 0, s3
	s_abs_i32 s9, s5
	s_xor_b32 s8, s5, s30
	v_rcp_iflag_f32_e32 v1, v1
	s_ashr_i32 s8, s8, 31
	s_mov_b32 s42, 0
	v_mul_f32_e32 v1, 0x4f7ffffe, v1
	v_cvt_u32_f32_e32 v1, v1
	s_nop 0
	v_readfirstlane_b32 s12, v1
	s_mul_i32 s11, s11, s12
	s_mul_hi_u32 s11, s12, s11
	s_add_i32 s12, s12, s11
	s_mul_hi_u32 s11, s9, s12
	s_mul_i32 s12, s11, s3
	s_sub_i32 s9, s9, s12
	s_add_i32 s12, s11, 1
	s_sub_i32 s13, s9, s3
	s_cmp_ge_u32 s9, s3
	s_cselect_b32 s11, s12, s11
	s_cselect_b32 s9, s13, s9
	s_add_i32 s12, s11, 1
	s_cmp_ge_u32 s9, s3
	s_cselect_b32 s3, s12, s11
	s_xor_b32 s3, s3, s8
	s_sub_i32 s12, s3, s8
	s_abs_i32 s11, s12
	v_cvt_f32_u32_e32 v1, s11
	s_load_dwordx2 s[8:9], s[0:1], 0x40
	s_sub_i32 s3, 0, s11
	s_abs_i32 s22, s2
	v_rcp_iflag_f32_e32 v1, v1
	s_nop 0
	v_mul_f32_e32 v1, 0x4f7ffffe, v1
	v_cvt_u32_f32_e32 v1, v1
	s_nop 0
	v_readfirstlane_b32 s13, v1
	s_mul_i32 s3, s3, s13
	s_mul_hi_u32 s3, s13, s3
	s_add_i32 s13, s13, s3
	s_waitcnt lgkmcnt(0)
	s_cmp_eq_u64 s[8:9], 0
	s_mul_hi_u32 s23, s22, s13
	s_cbranch_scc1 .LBB147_2
; %bb.1:
	s_ashr_i32 s3, s2, 31
	s_lshl_b64 s[14:15], s[2:3], 2
	s_add_u32 s8, s8, s14
	s_addc_u32 s9, s9, s15
	s_load_dword s42, s[8:9], 0x0
.LBB147_2:
	s_load_dword s33, s[6:7], 0x0
	s_ashr_i32 s9, s12, 31
	s_load_dwordx4 s[12:15], s[0:1], 0x48
	s_ashr_i32 s3, s2, 31
	v_and_b32_e32 v4, 1, v0
	s_movk_i32 s8, 0x60
	s_mul_i32 s20, s2, 0x60
	v_cmp_gt_u32_e32 vcc, 24, v0
	v_lshlrev_b32_e32 v16, 3, v0
	s_and_saveexec_b64 s[6:7], vcc
	s_cbranch_execz .LBB147_4
; %bb.3:
	s_load_dwordx2 s[16:17], s[0:1], 0x8
	s_waitcnt lgkmcnt(0)
	s_mul_i32 s18, s10, s12
	s_ashr_i32 s19, s18, 31
	s_lshl_b64 s[18:19], s[18:19], 1
	v_lshlrev_b32_e32 v1, 2, v0
	s_add_u32 s12, s16, s18
	s_addc_u32 s15, s17, s19
	s_ashr_i32 s21, s20, 31
	s_lshl_b64 s[16:17], s[20:21], 1
	s_add_u32 s16, s12, s16
	s_addc_u32 s17, s15, s17
	global_load_dwordx2 v[2:3], v16, s[16:17]
	v_and_b32_e32 v1, 0xff8, v1
	v_mad_u32_u24 v1, v4, s8, v1
	s_waitcnt vmcnt(0)
	ds_write_b64 v1, v[2:3]
.LBB147_4:
	s_or_b64 exec, exec, s[6:7]
	s_mul_i32 s6, s23, s11
	s_sub_i32 s6, s22, s6
	s_xor_b32 s3, s3, s9
	s_add_i32 s7, s23, 1
	s_sub_i32 s9, s6, s11
	s_load_dwordx4 s[16:19], s[0:1], 0x68
	s_load_dword s8, s[0:1], 0x78
	s_cmp_ge_u32 s6, s11
	s_cselect_b32 s7, s7, s23
	s_cselect_b32 s6, s9, s6
	s_add_i32 s9, s7, 1
	s_cmp_ge_u32 s6, s11
	s_cselect_b32 s6, s9, s7
	s_waitcnt lgkmcnt(0)
	s_abs_i32 s21, s19
	v_cvt_f32_u32_e32 v1, s21
	s_xor_b32 s6, s6, s3
	s_sub_i32 s3, s6, s3
	s_sub_i32 s6, 0, s21
	v_rcp_iflag_f32_e32 v1, v1
	s_add_i32 s11, s33, -1
	s_abs_i32 s9, s11
	v_mul_f32_e32 v1, 0x4f7ffffe, v1
	v_cvt_u32_f32_e32 v1, v1
	s_barrier
	v_readfirstlane_b32 s40, v1
	s_mul_i32 s6, s6, s40
	s_mul_hi_u32 s6, s40, s6
	s_add_i32 s40, s40, s6
	s_cmp_lt_i32 s8, 0
	s_mul_hi_u32 s12, s9, s40
	s_cbranch_scc0 .LBB147_6
; %bb.5:
	s_mul_i32 s6, s16, s30
	s_add_i32 s6, s3, s6
	s_mul_i32 s6, s6, s8
	s_sub_i32 s41, 1, s6
	s_mov_b64 s[6:7], 0
	s_branch .LBB147_7
.LBB147_6:
	s_mov_b64 s[6:7], -1
                                        ; implicit-def: $sgpr41
.LBB147_7:
	s_load_dwordx2 s[24:25], s[0:1], 0x28
	s_ashr_i32 s15, s11, 31
	s_andn2_b64 vcc, exec, s[6:7]
	s_ashr_i32 s19, s19, 31
	s_cbranch_vccnz .LBB147_9
; %bb.8:
	s_mul_i32 s6, s5, s16
	s_add_i32 s2, s6, s2
	s_mul_i32 s2, s2, s8
	s_add_i32 s41, s2, 1
.LBB147_9:
	s_load_dword s2, s[0:1], 0x38
	s_load_dwordx2 s[22:23], s[0:1], 0x0
	s_load_dwordx2 s[28:29], s[0:1], 0x18
	s_load_dword s11, s[0:1], 0x88
	s_xor_b32 s6, s15, s19
	s_waitcnt lgkmcnt(0)
	s_mul_i32 s26, s10, s2
	s_mul_i32 s2, s12, s21
	s_sub_i32 s2, s9, s2
	s_ashr_i32 s27, s26, 31
	s_add_i32 s7, s12, 1
	s_sub_i32 s8, s2, s21
	s_cmp_ge_u32 s2, s21
	s_cselect_b32 s7, s7, s12
	s_cselect_b32 s2, s8, s2
	s_add_i32 s8, s7, 1
	s_cmp_ge_u32 s2, s21
	s_cselect_b32 s2, s8, s7
	s_xor_b32 s2, s2, s6
	s_sub_i32 s12, s2, s6
	s_add_i32 s2, s33, 31
	s_ashr_i32 s6, s2, 31
	s_lshr_b32 s6, s6, 27
	s_add_i32 s2, s2, s6
	s_ashr_i32 s16, s2, 5
	v_lshrrev_b32_e32 v1, 6, v0
	v_cmp_gt_i32_e64 s[6:7], s16, v1
	v_mov_b32_e32 v21, 0xff7fffff
	s_mul_i32 s14, s3, s14
	v_lshrrev_b32_e32 v18, 4, v0
	v_lshlrev_b32_e32 v24, 5, v1
	v_mbcnt_lo_u32_b32 v17, -1, 0
	s_and_saveexec_b64 s[34:35], s[6:7]
	s_cbranch_execz .LBB147_19
; %bb.10:
	s_load_dwordx2 s[0:1], s[0:1], 0x10
	s_ashr_i32 s15, s14, 31
	s_sub_i32 s30, s12, s17
	s_lshl_b64 s[2:3], s[14:15], 1
	v_bfe_u32 v19, v0, 1, 5
	s_waitcnt lgkmcnt(0)
	s_add_u32 s0, s0, s2
	s_addc_u32 s1, s1, s3
	s_abs_i32 s15, s18
	v_cvt_f32_u32_e32 v2, s15
	v_lshlrev_b32_e32 v6, 4, v19
	v_mov_b32_e32 v7, 0
	v_cmp_eq_u32_e32 vcc, 0, v4
	v_rcp_iflag_f32_e32 v5, v2
	v_lshl_add_u64 v[2:3], s[0:1], 0, v[6:7]
	s_sub_i32 s0, 0, s15
	v_mul_u32_u24_e32 v20, 0x60, v4
	v_mul_f32_e32 v5, 0x4f7ffffe, v5
	v_cvt_u32_f32_e32 v5, v5
	v_and_b32_e32 v6, 8, v16
	v_lshl_add_u64 v[2:3], v[2:3], 0, v[6:7]
	v_and_b32_e32 v6, 60, v18
	v_mul_lo_u32 v4, s0, v5
	s_lshl_b64 s[0:1], s[26:27], 2
	s_add_u32 s0, s24, s0
	v_mul_hi_u32 v4, v5, v4
	s_addc_u32 s1, s25, s1
	v_add_u32_e32 v22, v5, v4
	v_lshl_add_u64 v[4:5], s[0:1], 0, v[6:7]
	v_lshlrev_b32_e32 v6, 2, v19
	v_lshl_or_b32 v6, v1, 7, v6
	v_add_u32_e32 v25, 0xd0, v6
	v_subrev_u32_e32 v6, s33, v19
	v_mbcnt_hi_u32_b32 v28, -1, v17
	v_add_u32_e32 v26, 1, v6
	v_and_b32_e32 v6, 64, v28
	s_mov_b32 s43, s13
	v_cmp_neq_f32_e64 s[2:3], s42, 0
	v_lshlrev_b32_e32 v23, 5, v1
	s_mov_b64 s[36:37], 0
	v_mov_b32_e32 v27, 0xff7fffff
	s_movk_i32 s44, 0x1000
	v_xor_b32_e32 v29, 1, v28
	v_add_u32_e32 v30, 64, v6
	v_mov_b32_e32 v21, 0xff7fffff
	v_mov_b32_e32 v31, v1
	s_branch .LBB147_13
.LBB147_11:                             ;   in Loop: Header=BB147_13 Depth=1
	s_or_b64 exec, exec, s[38:39]
.LBB147_12:                             ;   in Loop: Header=BB147_13 Depth=1
	s_or_b64 exec, exec, s[8:9]
	v_add_u32_e32 v31, 2, v31
	v_cmp_le_i32_e64 s[0:1], s16, v31
	v_lshl_add_u64 v[4:5], v[4:5], 0, 8
	v_add_u32_e32 v23, 64, v23
	s_or_b64 s[36:37], s[0:1], s[36:37]
	v_add_u32_e32 v25, 0x100, v25
	s_andn2_b64 exec, exec, s[36:37]
	s_cbranch_execz .LBB147_18
.LBB147_13:                             ; =>This Inner Loop Header: Depth=1
	v_mul_hi_u32 v6, v23, s40
	s_waitcnt lgkmcnt(0)
	v_mul_lo_u32 v7, v6, s21
	v_sub_u32_e32 v7, v23, v7
	v_add_u32_e32 v8, 1, v6
	v_cmp_le_u32_e64 s[0:1], s21, v7
	s_nop 1
	v_cndmask_b32_e64 v6, v6, v8, s[0:1]
	v_subrev_u32_e32 v8, s21, v7
	v_cndmask_b32_e64 v7, v7, v8, s[0:1]
	v_add_u32_e32 v8, 1, v6
	v_cmp_le_u32_e64 s[0:1], s21, v7
	s_nop 1
	v_cndmask_b32_e64 v6, v6, v8, s[0:1]
	v_xor_b32_e32 v6, s19, v6
	v_subrev_u32_e32 v6, s19, v6
	v_add_u32_e32 v7, s41, v6
	v_sub_u32_e32 v9, 0, v7
	v_ashrrev_i32_e32 v8, 31, v7
	v_max_i32_e32 v7, v7, v9
	v_mul_hi_u32 v9, v7, v22
	v_mul_lo_u32 v9, v9, s15
	v_sub_u32_e32 v7, v7, v9
	v_subrev_u32_e32 v9, s15, v7
	v_cmp_le_u32_e64 s[0:1], s15, v7
	v_cmp_ge_i32_e64 s[8:9], s30, v6
	s_nop 0
	v_cndmask_b32_e64 v7, v7, v9, s[0:1]
	v_subrev_u32_e32 v9, s15, v7
	v_cmp_le_u32_e64 s[0:1], s15, v7
	s_nop 1
	v_cndmask_b32_e64 v7, v7, v9, s[0:1]
	v_xor_b32_e32 v7, v7, v8
	v_sub_u32_e32 v7, v7, v8
	v_cmp_ne_u32_e64 s[0:1], 0, v7
	s_and_b64 s[0:1], s[0:1], s[8:9]
	s_and_b64 s[38:39], vcc, s[0:1]
	s_and_saveexec_b64 s[8:9], s[38:39]
	s_cbranch_execz .LBB147_15
; %bb.14:                               ;   in Loop: Header=BB147_13 Depth=1
	ds_write_b32 v25, v27
.LBB147_15:                             ;   in Loop: Header=BB147_13 Depth=1
	s_or_b64 exec, exec, s[8:9]
	s_xor_b64 s[0:1], s[0:1], -1
	s_and_saveexec_b64 s[8:9], s[0:1]
	s_cbranch_execz .LBB147_12
; %bb.16:                               ;   in Loop: Header=BB147_13 Depth=1
	global_load_dword v6, v[4:5], off
	s_waitcnt vmcnt(0)
	v_mad_i64_i32 v[6:7], s[0:1], v6, s43, 0
	v_lshl_add_u64 v[8:9], v[6:7], 1, v[2:3]
	global_load_dwordx2 v[6:7], v[8:9], off offset:1024
	global_load_dwordx2 v[12:13], v[8:9], off offset:1536
	;; [unrolled: 1-line block ×3, first 2 shown]
	global_load_dwordx2 v[58:59], v[8:9], off
	global_load_dwordx2 v[60:61], v[8:9], off offset:2048
	global_load_dwordx2 v[62:63], v[8:9], off offset:2560
	ds_read_b128 v[32:35], v20
	ds_read_b128 v[36:39], v20 offset:16
	ds_read_b128 v[40:43], v20 offset:32
	;; [unrolled: 1-line block ×3, first 2 shown]
	global_load_dwordx2 v[14:15], v[8:9], off offset:3072
	ds_read_b128 v[48:51], v20 offset:64
	ds_read_b128 v[52:55], v20 offset:80
	global_load_dwordx2 v[10:11], v[8:9], off offset:3584
	v_add_co_u32_e64 v8, s[0:1], s44, v8
	s_waitcnt lgkmcnt(5)
	v_lshlrev_b32_e32 v66, 16, v34
	v_addc_co_u32_e64 v9, s[0:1], 0, v9, s[0:1]
	v_and_b32_e32 v34, 0xffff0000, v34
	v_lshlrev_b32_e32 v64, 16, v32
	v_lshlrev_b32_e32 v67, 16, v35
	v_and_b32_e32 v32, 0xffff0000, v32
	v_lshlrev_b32_e32 v65, 16, v33
	s_waitcnt lgkmcnt(4)
	v_lshlrev_b32_e32 v68, 16, v36
	v_and_b32_e32 v35, 0xffff0000, v35
	v_and_b32_e32 v36, 0xffff0000, v36
	v_lshlrev_b32_e32 v69, 16, v37
	v_lshlrev_b32_e32 v70, 16, v38
	v_and_b32_e32 v33, 0xffff0000, v33
	v_and_b32_e32 v38, 0xffff0000, v38
	v_lshlrev_b32_e32 v71, 16, v39
	s_waitcnt lgkmcnt(3)
	v_lshlrev_b32_e32 v72, 16, v40
	v_and_b32_e32 v37, 0xffff0000, v37
	v_and_b32_e32 v40, 0xffff0000, v40
	v_lshlrev_b32_e32 v73, 16, v41
	v_lshlrev_b32_e32 v74, 16, v42
	v_and_b32_e32 v39, 0xffff0000, v39
	;; [unrolled: 9-line block ×5, first 2 shown]
	v_and_b32_e32 v54, 0xffff0000, v54
	v_lshlrev_b32_e32 v87, 16, v55
	v_and_b32_e32 v53, 0xffff0000, v53
	v_and_b32_e32 v55, 0xffff0000, v55
	v_cmp_lt_i32_e64 s[0:1], v29, v30
	s_waitcnt vmcnt(7)
	v_lshlrev_b32_e32 v92, 16, v6
	v_and_b32_e32 v93, 0xffff0000, v6
	v_lshlrev_b32_e32 v94, 16, v7
	v_and_b32_e32 v95, 0xffff0000, v7
	global_load_dwordx2 v[6:7], v[8:9], off
	s_waitcnt vmcnt(7)
	v_lshlrev_b32_e32 v96, 16, v12
	v_and_b32_e32 v97, 0xffff0000, v12
	v_lshlrev_b32_e32 v98, 16, v13
	v_and_b32_e32 v99, 0xffff0000, v13
	s_waitcnt vmcnt(1)
	v_lshlrev_b32_e32 v106, 16, v10
	v_and_b32_e32 v107, 0xffff0000, v10
	v_lshlrev_b32_e32 v108, 16, v11
	v_and_b32_e32 v109, 0xffff0000, v11
	global_load_dwordx2 v[10:11], v[8:9], off offset:512
	global_load_dwordx2 v[12:13], v[8:9], off offset:1024
	s_nop 0
	global_load_dwordx2 v[8:9], v[8:9], off offset:1536
	v_lshlrev_b32_e32 v88, 16, v56
	v_and_b32_e32 v56, 0xffff0000, v56
	v_lshlrev_b32_e32 v89, 16, v58
	v_and_b32_e32 v58, 0xffff0000, v58
	v_lshlrev_b32_e32 v91, 16, v57
	v_mul_f32_e32 v66, v66, v88
	v_mul_f32_e32 v34, v34, v56
	v_lshlrev_b32_e32 v90, 16, v59
	v_and_b32_e32 v57, 0xffff0000, v57
	v_fmac_f32_e32 v66, v64, v89
	v_mul_f32_e32 v56, v67, v91
	v_fmac_f32_e32 v34, v32, v58
	v_and_b32_e32 v59, 0xffff0000, v59
	v_mul_f32_e32 v35, v35, v57
	v_fmac_f32_e32 v56, v65, v90
	v_fmac_f32_e32 v66, v68, v92
	;; [unrolled: 1-line block ×3, first 2 shown]
	v_lshlrev_b32_e32 v100, 16, v60
	v_and_b32_e32 v60, 0xffff0000, v60
	v_fmac_f32_e32 v35, v33, v59
	v_fmac_f32_e32 v56, v69, v94
	;; [unrolled: 1-line block ×4, first 2 shown]
	v_lshlrev_b32_e32 v101, 16, v61
	v_lshlrev_b32_e32 v102, 16, v62
	v_and_b32_e32 v62, 0xffff0000, v62
	v_fmac_f32_e32 v35, v37, v95
	v_fmac_f32_e32 v56, v71, v98
	;; [unrolled: 1-line block ×4, first 2 shown]
	v_and_b32_e32 v61, 0xffff0000, v61
	v_lshlrev_b32_e32 v103, 16, v63
	v_lshlrev_b32_e32 v104, 16, v14
	v_and_b32_e32 v14, 0xffff0000, v14
	v_fmac_f32_e32 v35, v39, v99
	v_fmac_f32_e32 v56, v73, v101
	;; [unrolled: 1-line block ×4, first 2 shown]
	v_and_b32_e32 v63, 0xffff0000, v63
	v_lshlrev_b32_e32 v105, 16, v15
	v_fmac_f32_e32 v35, v41, v61
	v_fmac_f32_e32 v56, v75, v103
	;; [unrolled: 1-line block ×4, first 2 shown]
	v_and_b32_e32 v15, 0xffff0000, v15
	v_fmac_f32_e32 v35, v43, v63
	v_fmac_f32_e32 v56, v77, v105
	;; [unrolled: 1-line block ×7, first 2 shown]
	v_cndmask_b32_e64 v64, v28, v29, s[0:1]
	v_lshlrev_b32_e32 v64, 2, v64
	s_waitcnt vmcnt(3)
	v_lshlrev_b32_e32 v57, 16, v6
	v_and_b32_e32 v6, 0xffff0000, v6
	v_lshlrev_b32_e32 v32, 16, v7
	v_fmac_f32_e32 v66, v80, v57
	v_fmac_f32_e32 v34, v48, v6
	v_and_b32_e32 v7, 0xffff0000, v7
	v_fmac_f32_e32 v56, v81, v32
	v_fmac_f32_e32 v35, v49, v7
	s_waitcnt vmcnt(2)
	v_lshlrev_b32_e32 v58, 16, v10
	v_and_b32_e32 v10, 0xffff0000, v10
	v_lshlrev_b32_e32 v65, 16, v11
	s_waitcnt vmcnt(1)
	v_lshlrev_b32_e32 v67, 16, v12
	v_and_b32_e32 v12, 0xffff0000, v12
	v_fmac_f32_e32 v66, v82, v58
	v_fmac_f32_e32 v34, v50, v10
	v_and_b32_e32 v11, 0xffff0000, v11
	v_lshlrev_b32_e32 v33, 16, v13
	s_waitcnt vmcnt(0)
	v_lshlrev_b32_e32 v59, 16, v8
	v_and_b32_e32 v8, 0xffff0000, v8
	v_fmac_f32_e32 v56, v83, v65
	v_fmac_f32_e32 v66, v84, v67
	;; [unrolled: 1-line block ×3, first 2 shown]
	v_and_b32_e32 v13, 0xffff0000, v13
	v_lshlrev_b32_e32 v68, 16, v9
	v_fmac_f32_e32 v35, v51, v11
	v_fmac_f32_e32 v56, v85, v33
	;; [unrolled: 1-line block ×4, first 2 shown]
	v_and_b32_e32 v9, 0xffff0000, v9
	v_fmac_f32_e32 v35, v53, v13
	v_fmac_f32_e32 v56, v87, v68
	v_add_f32_e32 v6, v66, v34
	v_fmac_f32_e32 v35, v55, v9
	v_add_f32_e32 v6, v6, v56
	v_add_f32_e32 v6, v35, v6
	ds_bpermute_b32 v7, v64, v6
	s_and_saveexec_b64 s[38:39], vcc
	s_cbranch_execz .LBB147_11
; %bb.17:                               ;   in Loop: Header=BB147_13 Depth=1
	v_add_u32_e32 v8, v26, v23
	v_cvt_f32_i32_e32 v8, v8
	s_waitcnt lgkmcnt(0)
	v_add_f32_e32 v6, v6, v7
	v_add_u32_e32 v9, v19, v23
	v_cmp_gt_i32_e64 s[0:1], s33, v9
	v_mul_f32_e32 v7, s42, v8
	v_cndmask_b32_e64 v7, 0, v7, s[2:3]
	v_fmac_f32_e32 v7, s31, v6
	v_cndmask_b32_e64 v6, 0, v7, s[0:1]
	ds_write_b32 v25, v6
	v_max_f32_e32 v6, v21, v21
	v_max_f32_e32 v6, v6, v7
	v_cndmask_b32_e64 v21, v21, v6, s[0:1]
	s_branch .LBB147_11
.LBB147_18:
	s_or_b64 exec, exec, s[36:37]
.LBB147_19:
	s_or_b64 exec, exec, s[34:35]
	v_mbcnt_hi_u32_b32 v8, -1, v17
	v_and_b32_e32 v2, 64, v8
	v_add_u32_e32 v9, 64, v2
	v_xor_b32_e32 v2, 32, v8
	v_cmp_lt_i32_e32 vcc, v2, v9
	v_xor_b32_e32 v5, 16, v8
	v_max_f32_e32 v4, v21, v21
	v_cndmask_b32_e32 v2, v8, v2, vcc
	v_lshlrev_b32_e32 v2, 2, v2
	ds_bpermute_b32 v3, v2, v21
	v_cmp_lt_i32_e32 vcc, v5, v9
	v_xor_b32_e32 v6, 8, v8
	s_waitcnt lgkmcnt(1)
	v_xor_b32_e32 v7, 4, v8
	v_xor_b32_e32 v10, 2, v8
	s_waitcnt lgkmcnt(0)
	v_max_f32_e32 v3, v3, v3
	v_max_f32_e32 v4, v4, v3
	v_cndmask_b32_e32 v3, v8, v5, vcc
	v_lshlrev_b32_e32 v3, 2, v3
	ds_bpermute_b32 v5, v3, v4
	v_cmp_lt_i32_e32 vcc, v6, v9
	v_and_b32_e32 v25, 63, v0
	s_waitcnt lgkmcnt(0)
	v_max_f32_e32 v5, v5, v5
	v_max_f32_e32 v5, v4, v5
	v_cndmask_b32_e32 v4, v8, v6, vcc
	v_lshlrev_b32_e32 v4, 2, v4
	ds_bpermute_b32 v6, v4, v5
	v_cmp_lt_i32_e32 vcc, v7, v9
	s_waitcnt lgkmcnt(0)
	v_max_f32_e32 v6, v6, v6
	v_max_f32_e32 v6, v5, v6
	v_cndmask_b32_e32 v5, v8, v7, vcc
	v_lshlrev_b32_e32 v5, 2, v5
	ds_bpermute_b32 v7, v5, v6
	v_cmp_lt_i32_e32 vcc, v10, v9
	s_waitcnt lgkmcnt(0)
	v_max_f32_e32 v7, v7, v7
	v_max_f32_e32 v7, v6, v7
	v_cndmask_b32_e32 v6, v8, v10, vcc
	v_lshlrev_b32_e32 v26, 2, v6
	ds_bpermute_b32 v10, v26, v7
	v_cmp_eq_u32_e32 vcc, 0, v25
	v_lshlrev_b32_e32 v6, 2, v1
	s_and_saveexec_b64 s[0:1], vcc
	s_cbranch_execz .LBB147_21
; %bb.20:
	s_waitcnt lgkmcnt(0)
	v_max_f32_e32 v10, v10, v10
	v_max_f32_e32 v7, v7, v7
	;; [unrolled: 1-line block ×3, first 2 shown]
	ds_write_b32 v6, v7 offset:192
.LBB147_21:
	s_or_b64 exec, exec, s[0:1]
	v_cmp_gt_u32_e64 s[0:1], 2, v25
	s_waitcnt lgkmcnt(0)
	v_mov_b32_e32 v10, 0xff7fffff
	v_lshlrev_b32_e32 v7, 2, v25
	s_barrier
	s_and_saveexec_b64 s[2:3], s[0:1]
	s_cbranch_execz .LBB147_23
; %bb.22:
	ds_read_b32 v10, v7 offset:192
.LBB147_23:
	s_or_b64 exec, exec, s[2:3]
	v_xor_b32_e32 v11, 1, v8
	v_cmp_lt_i32_e64 s[2:3], v11, v9
	s_nop 1
	v_cndmask_b32_e64 v9, v8, v11, s[2:3]
	v_lshlrev_b32_e32 v27, 2, v9
	s_waitcnt lgkmcnt(0)
	ds_bpermute_b32 v9, v27, v10
	v_max_f32_e32 v10, v10, v10
	v_lshlrev_b32_e32 v8, 2, v8
	v_and_b32_e32 v8, 0x100, v8
	s_lshl_b32 s2, s16, 5
	s_waitcnt lgkmcnt(0)
	v_max_f32_e32 v9, v9, v9
	v_max_f32_e32 v9, v10, v9
	ds_bpermute_b32 v10, v8, v9
	s_min_i32 s15, s2, s33
	v_cmp_gt_i32_e64 s[2:3], s15, v0
	v_mov_b32_e32 v9, 0
	s_and_saveexec_b64 s[30:31], s[2:3]
	s_cbranch_execz .LBB147_27
; %bb.24:
	v_mov_b32_e32 v9, 0xd0
	v_lshl_add_u32 v11, v0, 2, v9
	s_mov_b64 s[34:35], 0
	v_mov_b32_e32 v9, 0
	v_mov_b32_e32 v12, v0
.LBB147_25:                             ; =>This Inner Loop Header: Depth=1
	ds_read_b32 v13, v11
	v_add_u32_e32 v12, 0x80, v12
	v_cmp_le_i32_e64 s[8:9], s15, v12
	s_or_b64 s[34:35], s[8:9], s[34:35]
	s_waitcnt lgkmcnt(0)
	v_sub_f32_e32 v13, v13, v10
	v_mul_f32_e32 v13, 0x3fb8aa3b, v13
	v_exp_f32_e32 v13, v13
	ds_write_b32 v11, v13
	v_add_f32_e32 v9, v9, v13
	v_add_u32_e32 v11, 0x200, v11
	s_andn2_b64 exec, exec, s[34:35]
	s_cbranch_execnz .LBB147_25
; %bb.26:
	s_or_b64 exec, exec, s[34:35]
.LBB147_27:
	s_or_b64 exec, exec, s[30:31]
	ds_bpermute_b32 v2, v2, v9
	s_waitcnt lgkmcnt(0)
	v_add_f32_e32 v2, v9, v2
	ds_bpermute_b32 v3, v3, v2
	s_waitcnt lgkmcnt(0)
	v_add_f32_e32 v2, v2, v3
	;; [unrolled: 3-line block ×6, first 2 shown]
	s_and_saveexec_b64 s[8:9], vcc
	s_cbranch_execz .LBB147_29
; %bb.28:
	ds_write_b32 v6, v2 offset:200
.LBB147_29:
	s_or_b64 exec, exec, s[8:9]
	s_waitcnt lgkmcnt(0)
	s_barrier
	s_and_saveexec_b64 s[8:9], s[0:1]
	s_cbranch_execz .LBB147_31
; %bb.30:
	ds_read_b32 v2, v7 offset:200
.LBB147_31:
	s_or_b64 exec, exec, s[8:9]
	s_waitcnt lgkmcnt(0)
	ds_bpermute_b32 v3, v27, v2
	s_waitcnt lgkmcnt(0)
	v_add_f32_e32 v2, v2, v3
	ds_bpermute_b32 v2, v8, v2
	s_and_saveexec_b64 s[0:1], s[2:3]
	s_cbranch_execz .LBB147_44
; %bb.32:
	s_waitcnt lgkmcnt(0)
	v_add_f32_e32 v2, 0x358637bd, v2
	v_div_scale_f32 v3, s[2:3], v2, v2, 1.0
	v_rcp_f32_e32 v4, v3
	v_div_scale_f32 v5, vcc, 1.0, v2, 1.0
	s_movk_i32 s2, 0x7f
	v_fma_f32 v6, -v3, v4, 1.0
	v_fmac_f32_e32 v4, v6, v4
	v_mul_f32_e32 v6, v5, v4
	v_fma_f32 v7, -v3, v6, v5
	v_fmac_f32_e32 v6, v7, v4
	v_fma_f32 v3, -v3, v6, v5
	v_div_fmas_f32 v3, v3, v4, v6
	v_xad_u32 v4, v0, -1, s15
	v_div_fixup_f32 v2, v3, v2, 1.0
	v_cmp_lt_u32_e32 vcc, s2, v4
	s_mov_b64 s[8:9], -1
	v_mov_b32_e32 v3, v0
	s_and_saveexec_b64 s[2:3], vcc
	s_cbranch_execz .LBB147_41
; %bb.33:
	v_lshrrev_b32_e32 v4, 7, v4
	v_add_u32_e32 v6, -1, v4
	v_lshrrev_b32_e32 v5, 1, v6
	v_mov_b32_e32 v3, v2
	v_add_u32_e32 v5, 1, v5
	v_cmp_lt_u32_e32 vcc, 13, v6
	v_mov_b32_e32 v8, 0
	s_and_saveexec_b64 s[8:9], vcc
	s_cbranch_execz .LBB147_37
; %bb.34:
	v_mov_b32_e32 v7, 0xd0
	v_and_b32_e32 v6, -8, v5
	v_lshl_add_u32 v7, v0, 2, v7
	s_mov_b32 s34, 0
	s_mov_b64 s[30:31], 0
.LBB147_35:                             ; =>This Inner Loop Header: Depth=1
	ds_read2st64_b32 v[8:9], v7 offset1:2
	ds_read2st64_b32 v[10:11], v7 offset0:4 offset1:6
	ds_read2st64_b32 v[12:13], v7 offset0:8 offset1:10
	;; [unrolled: 1-line block ×3, first 2 shown]
	v_add_u32_e32 v6, -8, v6
	s_waitcnt lgkmcnt(3)
	v_pk_mul_f32 v[8:9], v[2:3], v[8:9]
	s_waitcnt lgkmcnt(2)
	v_pk_mul_f32 v[10:11], v[2:3], v[10:11]
	ds_write2st64_b32 v7, v8, v9 offset1:2
	ds_write2st64_b32 v7, v10, v11 offset0:4 offset1:6
	ds_read2st64_b32 v[10:11], v7 offset0:16 offset1:18
	s_waitcnt lgkmcnt(4)
	v_pk_mul_f32 v[8:9], v[2:3], v[12:13]
	ds_write2st64_b32 v7, v8, v9 offset0:8 offset1:10
	s_waitcnt lgkmcnt(4)
	v_pk_mul_f32 v[8:9], v[2:3], v[14:15]
	ds_write2st64_b32 v7, v8, v9 offset0:12 offset1:14
	ds_read2st64_b32 v[8:9], v7 offset0:20 offset1:22
	s_waitcnt lgkmcnt(3)
	v_pk_mul_f32 v[10:11], v[2:3], v[10:11]
	ds_read2st64_b32 v[12:13], v7 offset0:24 offset1:26
	ds_write2st64_b32 v7, v10, v11 offset0:16 offset1:18
	ds_read2st64_b32 v[10:11], v7 offset0:28 offset1:30
	s_waitcnt lgkmcnt(3)
	v_pk_mul_f32 v[8:9], v[2:3], v[8:9]
	ds_write2st64_b32 v7, v8, v9 offset0:20 offset1:22
	s_waitcnt lgkmcnt(3)
	v_pk_mul_f32 v[8:9], v[2:3], v[12:13]
	ds_write2st64_b32 v7, v8, v9 offset0:24 offset1:26
	s_waitcnt lgkmcnt(2)
	v_pk_mul_f32 v[8:9], v[2:3], v[10:11]
	s_add_i32 s34, s34, 16
	v_cmp_eq_u32_e32 vcc, 0, v6
	ds_write2st64_b32 v7, v8, v9 offset0:28 offset1:30
	v_add_u32_e32 v7, 0x2000, v7
	s_or_b64 s[30:31], vcc, s[30:31]
	v_mov_b32_e32 v8, s34
	s_andn2_b64 exec, exec, s[30:31]
	s_cbranch_execnz .LBB147_35
; %bb.36:
	s_or_b64 exec, exec, s[30:31]
.LBB147_37:
	s_or_b64 exec, exec, s[8:9]
	v_and_b32_e32 v5, 7, v5
	v_cmp_ne_u32_e32 vcc, 0, v5
	s_and_saveexec_b64 s[8:9], vcc
	s_cbranch_execz .LBB147_40
; %bb.38:
	v_lshlrev_b32_e32 v6, 9, v8
	v_lshlrev_b32_e32 v7, 2, v0
	s_movk_i32 s30, 0xd0
	v_add3_u32 v6, v6, v7, s30
	s_mov_b64 s[30:31], 0
.LBB147_39:                             ; =>This Inner Loop Header: Depth=1
	ds_read2st64_b32 v[8:9], v6 offset1:2
	v_add_u32_e32 v5, -1, v5
	v_cmp_eq_u32_e32 vcc, 0, v5
	s_or_b64 s[30:31], vcc, s[30:31]
	s_waitcnt lgkmcnt(0)
	v_pk_mul_f32 v[8:9], v[2:3], v[8:9]
	ds_write2st64_b32 v6, v8, v9 offset1:2
	v_add_u32_e32 v6, 0x400, v6
	s_andn2_b64 exec, exec, s[30:31]
	s_cbranch_execnz .LBB147_39
.LBB147_40:
	s_or_b64 exec, exec, s[8:9]
	v_add_u32_e32 v4, 1, v4
	v_and_b32_e32 v5, 0x3fffffe, v4
	v_cmp_ne_u32_e32 vcc, v4, v5
	v_lshl_add_u32 v3, v5, 7, v0
	s_orn2_b64 s[8:9], vcc, exec
.LBB147_41:
	s_or_b64 exec, exec, s[2:3]
	s_and_b64 exec, exec, s[8:9]
	s_cbranch_execz .LBB147_44
; %bb.42:
	v_mov_b32_e32 v4, 0xd0
	v_lshl_add_u32 v4, v3, 2, v4
	s_mov_b64 s[2:3], 0
.LBB147_43:                             ; =>This Inner Loop Header: Depth=1
	ds_read_b32 v5, v4
	v_add_u32_e32 v3, 0x80, v3
	v_cmp_le_i32_e32 vcc, s15, v3
	s_or_b64 s[2:3], vcc, s[2:3]
	s_waitcnt lgkmcnt(0)
	v_mul_f32_e32 v5, v2, v5
	ds_write_b32 v4, v5
	v_add_u32_e32 v4, 0x200, v4
	s_andn2_b64 exec, exec, s[2:3]
	s_cbranch_execnz .LBB147_43
.LBB147_44:
	s_or_b64 exec, exec, s[0:1]
	v_mov_b32_e32 v11, 0
	v_and_b32_e32 v28, 3, v0
	v_mov_b32_e32 v10, 0
	v_mov_b32_e32 v13, 0
	;; [unrolled: 1-line block ×5, first 2 shown]
	s_waitcnt lgkmcnt(0)
	s_barrier
	s_and_saveexec_b64 s[2:3], s[6:7]
	s_cbranch_execz .LBB147_286
; %bb.45:
	s_ashr_i32 s15, s14, 31
	s_sub_i32 s17, s12, s17
	s_lshl_b64 s[0:1], s[14:15], 1
	s_add_u32 s6, s28, s0
	s_addc_u32 s7, s29, s1
	s_abs_i32 s18, s18
	v_cvt_f32_u32_e32 v2, s18
	s_sub_i32 s0, 0, s18
	s_add_i32 s29, s16, -1
	v_and_b32_e32 v29, 24, v16
	v_rcp_iflag_f32_e32 v3, v2
	v_and_b32_e32 v2, 0x1f8, v16
	v_mov_b32_e32 v17, 0
	v_or_b32_e32 v4, 0x800, v2
	v_mul_f32_e32 v3, 0x4f7ffffe, v3
	v_cvt_u32_f32_e32 v3, v3
	v_or_b32_e32 v6, 0xa00, v2
	v_and_b32_e32 v16, 60, v18
	s_mov_b32 s28, s13
	v_mul_lo_u32 v5, s0, v3
	v_mul_hi_u32 v5, v3, v5
	s_lshl_b64 s[0:1], s[26:27], 2
	v_add_u32_e32 v30, v3, v5
	s_add_u32 s0, s24, s0
	v_lshlrev_b32_e32 v3, 5, v28
	s_addc_u32 s1, s25, s1
	v_lshl_or_b32 v3, v1, 7, v3
	v_lshl_add_u64 v[18:19], s[0:1], 0, v[16:17]
	v_add_u32_e32 v31, 0xd0, v3
	s_mov_b64 s[8:9], 0
	s_mov_b32 s24, 0x7f800000
	s_movk_i32 s25, 0x7fff
	v_lshlrev_b32_e32 v16, 1, v2
	v_lshlrev_b32_e32 v20, 1, v4
	;; [unrolled: 1-line block ×3, first 2 shown]
	v_mov_b32_e32 v14, v17
	v_mov_b32_e32 v15, v17
	;; [unrolled: 1-line block ×6, first 2 shown]
	s_branch .LBB147_48
.LBB147_46:                             ;   in Loop: Header=BB147_48 Depth=1
	s_or_b64 exec, exec, s[0:1]
	v_and_b32_e32 v47, 0xffff0000, v80
	v_and_b32_e32 v46, 0xffff0000, v78
	;; [unrolled: 1-line block ×8, first 2 shown]
	v_pk_add_f32 v[46:47], v[48:49], v[46:47]
	v_pk_add_f32 v[42:43], v[44:45], v[42:43]
	v_add_f32_e32 v21, v46, v47
	v_add_f32_e32 v21, v21, v42
	v_and_b32_e32 v47, 0xffff0000, v73
	v_and_b32_e32 v46, 0xffff0000, v9
	;; [unrolled: 1-line block ×4, first 2 shown]
	v_add_f32_e32 v21, v21, v43
	v_and_b32_e32 v43, 0xffff0000, v77
	v_and_b32_e32 v42, 0xffff0000, v75
	;; [unrolled: 1-line block ×4, first 2 shown]
	v_pk_add_f32 v[8:9], v[8:9], v[46:47]
	v_pk_add_f32 v[42:43], v[44:45], v[42:43]
	v_add_f32_e32 v8, v8, v9
	v_add_f32_e32 v8, v8, v42
	;; [unrolled: 1-line block ×3, first 2 shown]
	v_and_b32_e32 v45, 0xffff0000, v67
	v_and_b32_e32 v44, 0xffff0000, v65
	v_and_b32_e32 v47, 0xffff0000, v66
	v_and_b32_e32 v46, 0xffff0000, v64
	v_add_f32_e32 v13, v13, v8
	v_and_b32_e32 v9, 0xffff0000, v71
	v_and_b32_e32 v8, 0xffff0000, v69
	;; [unrolled: 1-line block ×4, first 2 shown]
	v_pk_add_f32 v[44:45], v[46:47], v[44:45]
	v_add_f32_e32 v10, v10, v21
	v_pk_add_f32 v[8:9], v[42:43], v[8:9]
	v_add_f32_e32 v21, v44, v45
	v_add_f32_e32 v8, v21, v8
	;; [unrolled: 1-line block ×3, first 2 shown]
	v_and_b32_e32 v45, 0xffff0000, v59
	v_and_b32_e32 v44, 0xffff0000, v57
	;; [unrolled: 1-line block ×4, first 2 shown]
	v_add_f32_e32 v12, v12, v8
	v_and_b32_e32 v9, 0xffff0000, v63
	v_and_b32_e32 v8, 0xffff0000, v61
	v_and_b32_e32 v43, 0xffff0000, v62
	v_and_b32_e32 v42, 0xffff0000, v60
	v_pk_add_f32 v[44:45], v[46:47], v[44:45]
	v_pk_add_f32 v[8:9], v[42:43], v[8:9]
	v_add_f32_e32 v21, v44, v45
	v_add_f32_e32 v8, v21, v8
	;; [unrolled: 1-line block ×4, first 2 shown]
	v_and_b32_e32 v9, 0xffff0000, v39
	v_and_b32_e32 v8, 0xffff0000, v37
	;; [unrolled: 1-line block ×8, first 2 shown]
	v_pk_add_f32 v[32:33], v[32:33], v[38:39]
	v_pk_add_f32 v[8:9], v[36:37], v[8:9]
	v_add_f32_e32 v21, v32, v33
	v_add_f32_e32 v8, v21, v8
	;; [unrolled: 1-line block ×3, first 2 shown]
	v_and_b32_e32 v9, 0xffff0000, v7
	v_and_b32_e32 v7, 0xffff0000, v23
	;; [unrolled: 1-line block ×5, first 2 shown]
	v_add_f32_e32 v14, v14, v8
	v_and_b32_e32 v8, 0xffff0000, v40
	v_and_b32_e32 v5, 0xffff0000, v5
	v_and_b32_e32 v4, 0xffff0000, v4
	v_pk_add_f32 v[2:3], v[2:3], v[6:7]
	v_pk_add_f32 v[4:5], v[4:5], v[8:9]
	v_add_f32_e32 v2, v2, v3
	v_add_f32_e32 v2, v2, v4
	v_add_f32_e32 v2, v2, v5
	v_add_f32_e32 v11, v11, v2
.LBB147_47:                             ;   in Loop: Header=BB147_48 Depth=1
	s_or_b64 exec, exec, s[12:13]
	v_add_u32_e32 v1, 2, v1
	v_cmp_le_i32_e32 vcc, s16, v1
	v_lshl_add_u64 v[18:19], v[18:19], 0, 8
	v_add_u32_e32 v24, 64, v24
	s_or_b64 s[8:9], vcc, s[8:9]
	v_add_u32_e32 v31, 0x100, v31
	s_andn2_b64 exec, exec, s[8:9]
	s_cbranch_execz .LBB147_285
.LBB147_48:                             ; =>This Inner Loop Header: Depth=1
	v_mul_hi_u32 v2, v24, s40
	v_mul_lo_u32 v3, v2, s21
	v_sub_u32_e32 v3, v24, v3
	v_add_u32_e32 v4, 1, v2
	v_cmp_le_u32_e32 vcc, s21, v3
	s_nop 1
	v_cndmask_b32_e32 v2, v2, v4, vcc
	v_subrev_u32_e32 v4, s21, v3
	v_cndmask_b32_e32 v3, v3, v4, vcc
	v_add_u32_e32 v4, 1, v2
	v_cmp_le_u32_e32 vcc, s21, v3
	s_nop 1
	v_cndmask_b32_e32 v2, v2, v4, vcc
	v_xor_b32_e32 v2, s19, v2
	v_subrev_u32_e32 v2, s19, v2
	v_add_u32_e32 v3, s41, v2
	v_sub_u32_e32 v5, 0, v3
	v_ashrrev_i32_e32 v4, 31, v3
	v_max_i32_e32 v3, v3, v5
	v_mul_hi_u32 v5, v3, v30
	v_mul_lo_u32 v5, v5, s18
	v_sub_u32_e32 v3, v3, v5
	v_subrev_u32_e32 v5, s18, v3
	v_cmp_le_u32_e32 vcc, s18, v3
	v_cmp_lt_i32_e64 s[0:1], s17, v2
	s_nop 0
	v_cndmask_b32_e32 v3, v3, v5, vcc
	v_subrev_u32_e32 v5, s18, v3
	v_cmp_le_u32_e32 vcc, s18, v3
	s_nop 1
	v_cndmask_b32_e32 v3, v3, v5, vcc
	v_xor_b32_e32 v3, v3, v4
	v_sub_u32_e32 v3, v3, v4
	v_cmp_eq_u32_e32 vcc, 0, v3
	s_or_b64 s[0:1], vcc, s[0:1]
	s_and_saveexec_b64 s[12:13], s[0:1]
	s_cbranch_execz .LBB147_47
; %bb.49:                               ;   in Loop: Header=BB147_48 Depth=1
	global_load_dword v38, v[18:19], off
	ds_read2_b64 v[6:9], v31 offset1:1
	ds_read2_b64 v[2:5], v31 offset0:2 offset1:3
                                        ; implicit-def: $vgpr32
	s_waitcnt lgkmcnt(1)
	v_and_b32_e32 v21, 0x7f800000, v6
	v_cmp_ne_u32_e32 vcc, s24, v21
	s_and_saveexec_b64 s[0:1], vcc
	s_xor_b64 s[0:1], exec, s[0:1]
; %bb.50:                               ;   in Loop: Header=BB147_48 Depth=1
	v_bfe_u32 v21, v6, 16, 1
	v_add3_u32 v32, v6, v21, s25
; %bb.51:                               ;   in Loop: Header=BB147_48 Depth=1
	s_andn2_saveexec_b64 s[0:1], s[0:1]
; %bb.52:                               ;   in Loop: Header=BB147_48 Depth=1
	v_or_b32_e32 v21, 0x10000, v6
	v_cmp_eq_u32_sdwa vcc, v6, v17 src0_sel:WORD_0 src1_sel:DWORD
	s_nop 1
	v_cndmask_b32_e32 v32, v21, v6, vcc
; %bb.53:                               ;   in Loop: Header=BB147_48 Depth=1
	s_or_b64 exec, exec, s[0:1]
	v_and_b32_e32 v6, 0x7f800000, v7
	v_cmp_ne_u32_e32 vcc, s24, v6
                                        ; implicit-def: $vgpr33
	s_and_saveexec_b64 s[0:1], vcc
	s_xor_b64 s[0:1], exec, s[0:1]
; %bb.54:                               ;   in Loop: Header=BB147_48 Depth=1
	v_bfe_u32 v6, v7, 16, 1
	v_add3_u32 v33, v7, v6, s25
; %bb.55:                               ;   in Loop: Header=BB147_48 Depth=1
	s_andn2_saveexec_b64 s[0:1], s[0:1]
; %bb.56:                               ;   in Loop: Header=BB147_48 Depth=1
	v_or_b32_e32 v6, 0x10000, v7
	v_cmp_eq_u32_sdwa vcc, v7, v17 src0_sel:WORD_0 src1_sel:DWORD
	s_nop 1
	v_cndmask_b32_e32 v33, v6, v7, vcc
; %bb.57:                               ;   in Loop: Header=BB147_48 Depth=1
	s_or_b64 exec, exec, s[0:1]
	v_and_b32_e32 v6, 0x7f800000, v8
	v_cmp_ne_u32_e32 vcc, s24, v6
                                        ; implicit-def: $vgpr34
	s_and_saveexec_b64 s[0:1], vcc
	s_xor_b64 s[0:1], exec, s[0:1]
; %bb.58:                               ;   in Loop: Header=BB147_48 Depth=1
	v_bfe_u32 v6, v8, 16, 1
	v_add3_u32 v34, v8, v6, s25
; %bb.59:                               ;   in Loop: Header=BB147_48 Depth=1
	s_andn2_saveexec_b64 s[0:1], s[0:1]
; %bb.60:                               ;   in Loop: Header=BB147_48 Depth=1
	v_or_b32_e32 v6, 0x10000, v8
	v_cmp_eq_u32_sdwa vcc, v8, v17 src0_sel:WORD_0 src1_sel:DWORD
	s_nop 1
	v_cndmask_b32_e32 v34, v6, v8, vcc
; %bb.61:                               ;   in Loop: Header=BB147_48 Depth=1
	s_or_b64 exec, exec, s[0:1]
	v_and_b32_e32 v6, 0x7f800000, v9
	v_cmp_ne_u32_e32 vcc, s24, v6
                                        ; implicit-def: $vgpr35
	s_and_saveexec_b64 s[0:1], vcc
	s_xor_b64 s[0:1], exec, s[0:1]
; %bb.62:                               ;   in Loop: Header=BB147_48 Depth=1
	v_bfe_u32 v6, v9, 16, 1
	v_add3_u32 v35, v9, v6, s25
                                        ; implicit-def: $vgpr6_vgpr7_vgpr8_vgpr9
; %bb.63:                               ;   in Loop: Header=BB147_48 Depth=1
	s_andn2_saveexec_b64 s[0:1], s[0:1]
; %bb.64:                               ;   in Loop: Header=BB147_48 Depth=1
	v_or_b32_e32 v6, 0x10000, v9
	v_cmp_eq_u32_sdwa vcc, v9, v17 src0_sel:WORD_0 src1_sel:DWORD
	s_nop 1
	v_cndmask_b32_e32 v35, v6, v9, vcc
; %bb.65:                               ;   in Loop: Header=BB147_48 Depth=1
	s_or_b64 exec, exec, s[0:1]
	s_waitcnt lgkmcnt(0)
	v_and_b32_e32 v6, 0x7f800000, v2
	v_cmp_ne_u32_e32 vcc, s24, v6
                                        ; implicit-def: $vgpr36
	s_and_saveexec_b64 s[0:1], vcc
	s_xor_b64 s[0:1], exec, s[0:1]
; %bb.66:                               ;   in Loop: Header=BB147_48 Depth=1
	v_bfe_u32 v6, v2, 16, 1
	v_add3_u32 v36, v2, v6, s25
; %bb.67:                               ;   in Loop: Header=BB147_48 Depth=1
	s_andn2_saveexec_b64 s[0:1], s[0:1]
; %bb.68:                               ;   in Loop: Header=BB147_48 Depth=1
	v_or_b32_e32 v6, 0x10000, v2
	v_cmp_eq_u32_sdwa vcc, v2, v17 src0_sel:WORD_0 src1_sel:DWORD
	s_nop 1
	v_cndmask_b32_e32 v36, v6, v2, vcc
; %bb.69:                               ;   in Loop: Header=BB147_48 Depth=1
	s_or_b64 exec, exec, s[0:1]
	v_and_b32_e32 v2, 0x7f800000, v3
	v_cmp_ne_u32_e32 vcc, s24, v2
                                        ; implicit-def: $vgpr37
	s_and_saveexec_b64 s[0:1], vcc
	s_xor_b64 s[0:1], exec, s[0:1]
; %bb.70:                               ;   in Loop: Header=BB147_48 Depth=1
	v_bfe_u32 v2, v3, 16, 1
	v_add3_u32 v37, v3, v2, s25
; %bb.71:                               ;   in Loop: Header=BB147_48 Depth=1
	s_andn2_saveexec_b64 s[0:1], s[0:1]
; %bb.72:                               ;   in Loop: Header=BB147_48 Depth=1
	v_or_b32_e32 v2, 0x10000, v3
	v_cmp_eq_u32_sdwa vcc, v3, v17 src0_sel:WORD_0 src1_sel:DWORD
	s_nop 1
	v_cndmask_b32_e32 v37, v2, v3, vcc
; %bb.73:                               ;   in Loop: Header=BB147_48 Depth=1
	s_or_b64 exec, exec, s[0:1]
	v_and_b32_e32 v2, 0x7f800000, v4
	v_cmp_ne_u32_e32 vcc, s24, v2
                                        ; implicit-def: $vgpr23
	s_and_saveexec_b64 s[0:1], vcc
	s_xor_b64 s[0:1], exec, s[0:1]
; %bb.74:                               ;   in Loop: Header=BB147_48 Depth=1
	v_bfe_u32 v2, v4, 16, 1
	v_add3_u32 v23, v4, v2, s25
; %bb.75:                               ;   in Loop: Header=BB147_48 Depth=1
	s_andn2_saveexec_b64 s[0:1], s[0:1]
; %bb.76:                               ;   in Loop: Header=BB147_48 Depth=1
	v_or_b32_e32 v2, 0x10000, v4
	v_cmp_eq_u32_sdwa vcc, v4, v17 src0_sel:WORD_0 src1_sel:DWORD
	s_nop 1
	v_cndmask_b32_e32 v23, v2, v4, vcc
; %bb.77:                               ;   in Loop: Header=BB147_48 Depth=1
	s_or_b64 exec, exec, s[0:1]
	v_and_b32_e32 v2, 0x7f800000, v5
	v_cmp_ne_u32_e32 vcc, s24, v2
                                        ; implicit-def: $vgpr21
	s_and_saveexec_b64 s[0:1], vcc
	s_xor_b64 s[0:1], exec, s[0:1]
; %bb.78:                               ;   in Loop: Header=BB147_48 Depth=1
	v_bfe_u32 v2, v5, 16, 1
	v_add3_u32 v21, v5, v2, s25
                                        ; implicit-def: $vgpr2_vgpr3_vgpr4_vgpr5
; %bb.79:                               ;   in Loop: Header=BB147_48 Depth=1
	s_andn2_saveexec_b64 s[0:1], s[0:1]
; %bb.80:                               ;   in Loop: Header=BB147_48 Depth=1
	v_or_b32_e32 v2, 0x10000, v5
	v_cmp_eq_u32_sdwa vcc, v5, v17 src0_sel:WORD_0 src1_sel:DWORD
	s_nop 1
	v_cndmask_b32_e32 v21, v2, v5, vcc
; %bb.81:                               ;   in Loop: Header=BB147_48 Depth=1
	s_or_b64 exec, exec, s[0:1]
	s_waitcnt vmcnt(0)
	v_mad_i64_i32 v[2:3], s[0:1], v38, s28, 0
	v_lshl_add_u64 v[6:7], v[2:3], 1, s[6:7]
	v_lshl_add_u64 v[8:9], v[6:7], 0, v[16:17]
	global_load_dwordx4 v[2:5], v[8:9], off
	v_add_u32_e32 v40, v29, v24
	v_cmp_eq_u32_e32 vcc, s29, v1
	v_add_u32_e32 v47, 1, v40
	v_add_u32_e32 v46, 2, v40
	;; [unrolled: 1-line block ×7, first 2 shown]
	s_waitcnt vmcnt(0)
	v_lshrrev_b32_e32 v50, 16, v2
	v_lshrrev_b32_e32 v52, 16, v3
	;; [unrolled: 1-line block ×4, first 2 shown]
	s_and_saveexec_b64 s[14:15], vcc
	s_cbranch_execz .LBB147_83
; %bb.82:                               ;   in Loop: Header=BB147_48 Depth=1
	v_cmp_gt_i32_e64 s[0:1], s33, v40
	s_nop 1
	v_cndmask_b32_e64 v2, 0, v2, s[0:1]
	v_cmp_gt_i32_e64 s[0:1], s33, v47
	s_nop 1
	v_cndmask_b32_e64 v50, 0, v50, s[0:1]
	;; [unrolled: 3-line block ×8, first 2 shown]
.LBB147_83:                             ;   in Loop: Header=BB147_48 Depth=1
	s_or_b64 exec, exec, s[14:15]
	v_and_b32_e32 v48, 0xffff0000, v32
	v_lshlrev_b32_e32 v2, 16, v2
	v_mul_f32_e32 v2, v48, v2
	v_and_b32_e32 v32, 0x7f800000, v2
	v_cmp_ne_u32_e64 s[0:1], s24, v32
                                        ; implicit-def: $vgpr32
	s_and_saveexec_b64 s[14:15], s[0:1]
	s_xor_b64 s[0:1], exec, s[14:15]
; %bb.84:                               ;   in Loop: Header=BB147_48 Depth=1
	v_bfe_u32 v32, v2, 16, 1
	v_add3_u32 v32, v2, v32, s25
                                        ; implicit-def: $vgpr2
; %bb.85:                               ;   in Loop: Header=BB147_48 Depth=1
	s_andn2_saveexec_b64 s[14:15], s[0:1]
; %bb.86:                               ;   in Loop: Header=BB147_48 Depth=1
	v_or_b32_e32 v32, 0x10000, v2
	v_cmp_eq_u32_sdwa s[0:1], v2, v17 src0_sel:WORD_0 src1_sel:DWORD
	s_nop 1
	v_cndmask_b32_e64 v32, v32, v2, s[0:1]
; %bb.87:                               ;   in Loop: Header=BB147_48 Depth=1
	s_or_b64 exec, exec, s[14:15]
	v_and_b32_e32 v49, 0xffff0000, v33
	v_lshlrev_b32_e32 v2, 16, v50
	v_mul_f32_e32 v2, v49, v2
	v_and_b32_e32 v33, 0x7f800000, v2
	v_cmp_ne_u32_e64 s[0:1], s24, v33
                                        ; implicit-def: $vgpr33
	s_and_saveexec_b64 s[14:15], s[0:1]
	s_xor_b64 s[0:1], exec, s[14:15]
; %bb.88:                               ;   in Loop: Header=BB147_48 Depth=1
	v_bfe_u32 v33, v2, 16, 1
	v_add3_u32 v33, v2, v33, s25
                                        ; implicit-def: $vgpr2
; %bb.89:                               ;   in Loop: Header=BB147_48 Depth=1
	s_andn2_saveexec_b64 s[14:15], s[0:1]
; %bb.90:                               ;   in Loop: Header=BB147_48 Depth=1
	v_or_b32_e32 v33, 0x10000, v2
	v_cmp_eq_u32_sdwa s[0:1], v2, v17 src0_sel:WORD_0 src1_sel:DWORD
	s_nop 1
	v_cndmask_b32_e64 v33, v33, v2, s[0:1]
; %bb.91:                               ;   in Loop: Header=BB147_48 Depth=1
	s_or_b64 exec, exec, s[14:15]
	v_and_b32_e32 v50, 0xffff0000, v34
	v_lshlrev_b32_e32 v2, 16, v3
	v_mul_f32_e32 v2, v50, v2
	v_and_b32_e32 v3, 0x7f800000, v2
	v_cmp_ne_u32_e64 s[0:1], s24, v3
                                        ; implicit-def: $vgpr34
	s_and_saveexec_b64 s[14:15], s[0:1]
	s_xor_b64 s[0:1], exec, s[14:15]
; %bb.92:                               ;   in Loop: Header=BB147_48 Depth=1
	v_bfe_u32 v3, v2, 16, 1
	v_add3_u32 v34, v2, v3, s25
                                        ; implicit-def: $vgpr2
; %bb.93:                               ;   in Loop: Header=BB147_48 Depth=1
	s_andn2_saveexec_b64 s[14:15], s[0:1]
; %bb.94:                               ;   in Loop: Header=BB147_48 Depth=1
	v_or_b32_e32 v3, 0x10000, v2
	v_cmp_eq_u32_sdwa s[0:1], v2, v17 src0_sel:WORD_0 src1_sel:DWORD
	s_nop 1
	v_cndmask_b32_e64 v34, v3, v2, s[0:1]
; %bb.95:                               ;   in Loop: Header=BB147_48 Depth=1
	s_or_b64 exec, exec, s[14:15]
	v_and_b32_e32 v51, 0xffff0000, v35
	v_lshlrev_b32_e32 v2, 16, v52
	v_mul_f32_e32 v2, v51, v2
	v_and_b32_e32 v3, 0x7f800000, v2
	v_cmp_ne_u32_e64 s[0:1], s24, v3
                                        ; implicit-def: $vgpr35
	s_and_saveexec_b64 s[14:15], s[0:1]
	s_xor_b64 s[0:1], exec, s[14:15]
; %bb.96:                               ;   in Loop: Header=BB147_48 Depth=1
	v_bfe_u32 v3, v2, 16, 1
	v_add3_u32 v35, v2, v3, s25
                                        ; implicit-def: $vgpr2
; %bb.97:                               ;   in Loop: Header=BB147_48 Depth=1
	s_andn2_saveexec_b64 s[14:15], s[0:1]
; %bb.98:                               ;   in Loop: Header=BB147_48 Depth=1
	v_or_b32_e32 v3, 0x10000, v2
	v_cmp_eq_u32_sdwa s[0:1], v2, v17 src0_sel:WORD_0 src1_sel:DWORD
	s_nop 1
	v_cndmask_b32_e64 v35, v3, v2, s[0:1]
; %bb.99:                               ;   in Loop: Header=BB147_48 Depth=1
	s_or_b64 exec, exec, s[14:15]
	v_and_b32_e32 v52, 0xffff0000, v36
	v_lshlrev_b32_e32 v2, 16, v4
	v_mul_f32_e32 v2, v52, v2
	v_and_b32_e32 v3, 0x7f800000, v2
	v_cmp_ne_u32_e64 s[0:1], s24, v3
                                        ; implicit-def: $vgpr36
	s_and_saveexec_b64 s[14:15], s[0:1]
	s_xor_b64 s[0:1], exec, s[14:15]
; %bb.100:                              ;   in Loop: Header=BB147_48 Depth=1
	v_bfe_u32 v3, v2, 16, 1
	v_add3_u32 v36, v2, v3, s25
                                        ; implicit-def: $vgpr2
; %bb.101:                              ;   in Loop: Header=BB147_48 Depth=1
	s_andn2_saveexec_b64 s[14:15], s[0:1]
; %bb.102:                              ;   in Loop: Header=BB147_48 Depth=1
	v_or_b32_e32 v3, 0x10000, v2
	v_cmp_eq_u32_sdwa s[0:1], v2, v17 src0_sel:WORD_0 src1_sel:DWORD
	s_nop 1
	v_cndmask_b32_e64 v36, v3, v2, s[0:1]
; %bb.103:                              ;   in Loop: Header=BB147_48 Depth=1
	s_or_b64 exec, exec, s[14:15]
	v_and_b32_e32 v53, 0xffff0000, v37
	v_lshlrev_b32_e32 v2, 16, v38
	v_mul_f32_e32 v2, v53, v2
	v_and_b32_e32 v3, 0x7f800000, v2
	v_cmp_ne_u32_e64 s[0:1], s24, v3
                                        ; implicit-def: $vgpr37
	s_and_saveexec_b64 s[14:15], s[0:1]
	s_xor_b64 s[0:1], exec, s[14:15]
; %bb.104:                              ;   in Loop: Header=BB147_48 Depth=1
	v_bfe_u32 v3, v2, 16, 1
	v_add3_u32 v37, v2, v3, s25
                                        ; implicit-def: $vgpr2
; %bb.105:                              ;   in Loop: Header=BB147_48 Depth=1
	s_andn2_saveexec_b64 s[14:15], s[0:1]
; %bb.106:                              ;   in Loop: Header=BB147_48 Depth=1
	v_or_b32_e32 v3, 0x10000, v2
	v_cmp_eq_u32_sdwa s[0:1], v2, v17 src0_sel:WORD_0 src1_sel:DWORD
	s_nop 1
	v_cndmask_b32_e64 v37, v3, v2, s[0:1]
; %bb.107:                              ;   in Loop: Header=BB147_48 Depth=1
	s_or_b64 exec, exec, s[14:15]
	v_and_b32_e32 v54, 0xffff0000, v23
	v_lshlrev_b32_e32 v2, 16, v5
	v_mul_f32_e32 v2, v54, v2
	v_and_b32_e32 v3, 0x7f800000, v2
	v_cmp_ne_u32_e64 s[0:1], s24, v3
                                        ; implicit-def: $vgpr38
	s_and_saveexec_b64 s[14:15], s[0:1]
	s_xor_b64 s[0:1], exec, s[14:15]
; %bb.108:                              ;   in Loop: Header=BB147_48 Depth=1
	v_bfe_u32 v3, v2, 16, 1
	v_add3_u32 v38, v2, v3, s25
                                        ; implicit-def: $vgpr2
; %bb.109:                              ;   in Loop: Header=BB147_48 Depth=1
	s_andn2_saveexec_b64 s[14:15], s[0:1]
; %bb.110:                              ;   in Loop: Header=BB147_48 Depth=1
	v_or_b32_e32 v3, 0x10000, v2
	v_cmp_eq_u32_sdwa s[0:1], v2, v17 src0_sel:WORD_0 src1_sel:DWORD
	s_nop 1
	v_cndmask_b32_e64 v38, v3, v2, s[0:1]
; %bb.111:                              ;   in Loop: Header=BB147_48 Depth=1
	s_or_b64 exec, exec, s[14:15]
	v_and_b32_e32 v55, 0xffff0000, v21
	v_lshlrev_b32_e32 v2, 16, v39
	v_mul_f32_e32 v2, v55, v2
	v_and_b32_e32 v3, 0x7f800000, v2
	v_cmp_ne_u32_e64 s[0:1], s24, v3
                                        ; implicit-def: $vgpr39
	s_and_saveexec_b64 s[14:15], s[0:1]
	s_xor_b64 s[0:1], exec, s[14:15]
; %bb.112:                              ;   in Loop: Header=BB147_48 Depth=1
	v_bfe_u32 v3, v2, 16, 1
	v_add3_u32 v39, v2, v3, s25
                                        ; implicit-def: $vgpr2
; %bb.113:                              ;   in Loop: Header=BB147_48 Depth=1
	s_andn2_saveexec_b64 s[14:15], s[0:1]
; %bb.114:                              ;   in Loop: Header=BB147_48 Depth=1
	v_or_b32_e32 v3, 0x10000, v2
	v_cmp_eq_u32_sdwa s[0:1], v2, v17 src0_sel:WORD_0 src1_sel:DWORD
	s_nop 1
	v_cndmask_b32_e64 v39, v3, v2, s[0:1]
; %bb.115:                              ;   in Loop: Header=BB147_48 Depth=1
	s_or_b64 exec, exec, s[14:15]
	global_load_dwordx4 v[2:5], v[8:9], off offset:1024
	s_waitcnt vmcnt(0)
	v_lshrrev_b32_e32 v57, 16, v2
	v_lshrrev_b32_e32 v59, 16, v3
	;; [unrolled: 1-line block ×4, first 2 shown]
	s_and_saveexec_b64 s[14:15], vcc
	s_cbranch_execz .LBB147_117
; %bb.116:                              ;   in Loop: Header=BB147_48 Depth=1
	v_cmp_gt_i32_e64 s[0:1], s33, v40
	s_nop 1
	v_cndmask_b32_e64 v2, 0, v2, s[0:1]
	v_cmp_gt_i32_e64 s[0:1], s33, v47
	s_nop 1
	v_cndmask_b32_e64 v57, 0, v57, s[0:1]
	;; [unrolled: 3-line block ×8, first 2 shown]
.LBB147_117:                            ;   in Loop: Header=BB147_48 Depth=1
	s_or_b64 exec, exec, s[14:15]
	v_lshlrev_b32_e32 v2, 16, v2
	v_mul_f32_e32 v2, v48, v2
	v_and_b32_e32 v56, 0x7f800000, v2
	v_cmp_ne_u32_e64 s[0:1], s24, v56
                                        ; implicit-def: $vgpr56
	s_and_saveexec_b64 s[14:15], s[0:1]
	s_xor_b64 s[0:1], exec, s[14:15]
; %bb.118:                              ;   in Loop: Header=BB147_48 Depth=1
	v_bfe_u32 v56, v2, 16, 1
	v_add3_u32 v56, v2, v56, s25
                                        ; implicit-def: $vgpr2
; %bb.119:                              ;   in Loop: Header=BB147_48 Depth=1
	s_andn2_saveexec_b64 s[14:15], s[0:1]
; %bb.120:                              ;   in Loop: Header=BB147_48 Depth=1
	v_or_b32_e32 v56, 0x10000, v2
	v_cmp_eq_u32_sdwa s[0:1], v2, v17 src0_sel:WORD_0 src1_sel:DWORD
	s_nop 1
	v_cndmask_b32_e64 v56, v56, v2, s[0:1]
; %bb.121:                              ;   in Loop: Header=BB147_48 Depth=1
	s_or_b64 exec, exec, s[14:15]
	v_lshlrev_b32_e32 v2, 16, v57
	v_mul_f32_e32 v2, v49, v2
	v_and_b32_e32 v57, 0x7f800000, v2
	v_cmp_ne_u32_e64 s[0:1], s24, v57
                                        ; implicit-def: $vgpr57
	s_and_saveexec_b64 s[14:15], s[0:1]
	s_xor_b64 s[0:1], exec, s[14:15]
; %bb.122:                              ;   in Loop: Header=BB147_48 Depth=1
	v_bfe_u32 v57, v2, 16, 1
	v_add3_u32 v57, v2, v57, s25
                                        ; implicit-def: $vgpr2
; %bb.123:                              ;   in Loop: Header=BB147_48 Depth=1
	s_andn2_saveexec_b64 s[14:15], s[0:1]
; %bb.124:                              ;   in Loop: Header=BB147_48 Depth=1
	v_or_b32_e32 v57, 0x10000, v2
	v_cmp_eq_u32_sdwa s[0:1], v2, v17 src0_sel:WORD_0 src1_sel:DWORD
	s_nop 1
	v_cndmask_b32_e64 v57, v57, v2, s[0:1]
; %bb.125:                              ;   in Loop: Header=BB147_48 Depth=1
	s_or_b64 exec, exec, s[14:15]
	v_lshlrev_b32_e32 v2, 16, v3
	v_mul_f32_e32 v2, v50, v2
	v_and_b32_e32 v3, 0x7f800000, v2
	v_cmp_ne_u32_e64 s[0:1], s24, v3
                                        ; implicit-def: $vgpr58
	s_and_saveexec_b64 s[14:15], s[0:1]
	s_xor_b64 s[0:1], exec, s[14:15]
; %bb.126:                              ;   in Loop: Header=BB147_48 Depth=1
	v_bfe_u32 v3, v2, 16, 1
	v_add3_u32 v58, v2, v3, s25
                                        ; implicit-def: $vgpr2
; %bb.127:                              ;   in Loop: Header=BB147_48 Depth=1
	s_andn2_saveexec_b64 s[14:15], s[0:1]
; %bb.128:                              ;   in Loop: Header=BB147_48 Depth=1
	v_or_b32_e32 v3, 0x10000, v2
	v_cmp_eq_u32_sdwa s[0:1], v2, v17 src0_sel:WORD_0 src1_sel:DWORD
	s_nop 1
	v_cndmask_b32_e64 v58, v3, v2, s[0:1]
; %bb.129:                              ;   in Loop: Header=BB147_48 Depth=1
	s_or_b64 exec, exec, s[14:15]
	v_lshlrev_b32_e32 v2, 16, v59
	v_mul_f32_e32 v2, v51, v2
	v_and_b32_e32 v3, 0x7f800000, v2
	v_cmp_ne_u32_e64 s[0:1], s24, v3
                                        ; implicit-def: $vgpr59
	s_and_saveexec_b64 s[14:15], s[0:1]
	s_xor_b64 s[0:1], exec, s[14:15]
; %bb.130:                              ;   in Loop: Header=BB147_48 Depth=1
	v_bfe_u32 v3, v2, 16, 1
	v_add3_u32 v59, v2, v3, s25
                                        ; implicit-def: $vgpr2
; %bb.131:                              ;   in Loop: Header=BB147_48 Depth=1
	s_andn2_saveexec_b64 s[14:15], s[0:1]
; %bb.132:                              ;   in Loop: Header=BB147_48 Depth=1
	v_or_b32_e32 v3, 0x10000, v2
	v_cmp_eq_u32_sdwa s[0:1], v2, v17 src0_sel:WORD_0 src1_sel:DWORD
	s_nop 1
	v_cndmask_b32_e64 v59, v3, v2, s[0:1]
; %bb.133:                              ;   in Loop: Header=BB147_48 Depth=1
	s_or_b64 exec, exec, s[14:15]
	v_lshlrev_b32_e32 v2, 16, v4
	v_mul_f32_e32 v2, v52, v2
	v_and_b32_e32 v3, 0x7f800000, v2
	v_cmp_ne_u32_e64 s[0:1], s24, v3
                                        ; implicit-def: $vgpr60
	s_and_saveexec_b64 s[14:15], s[0:1]
	s_xor_b64 s[0:1], exec, s[14:15]
; %bb.134:                              ;   in Loop: Header=BB147_48 Depth=1
	v_bfe_u32 v3, v2, 16, 1
	v_add3_u32 v60, v2, v3, s25
                                        ; implicit-def: $vgpr2
; %bb.135:                              ;   in Loop: Header=BB147_48 Depth=1
	s_andn2_saveexec_b64 s[14:15], s[0:1]
; %bb.136:                              ;   in Loop: Header=BB147_48 Depth=1
	v_or_b32_e32 v3, 0x10000, v2
	v_cmp_eq_u32_sdwa s[0:1], v2, v17 src0_sel:WORD_0 src1_sel:DWORD
	s_nop 1
	v_cndmask_b32_e64 v60, v3, v2, s[0:1]
; %bb.137:                              ;   in Loop: Header=BB147_48 Depth=1
	s_or_b64 exec, exec, s[14:15]
	v_lshlrev_b32_e32 v2, 16, v23
	v_mul_f32_e32 v2, v53, v2
	v_and_b32_e32 v3, 0x7f800000, v2
	v_cmp_ne_u32_e64 s[0:1], s24, v3
                                        ; implicit-def: $vgpr61
	s_and_saveexec_b64 s[14:15], s[0:1]
	s_xor_b64 s[0:1], exec, s[14:15]
; %bb.138:                              ;   in Loop: Header=BB147_48 Depth=1
	v_bfe_u32 v3, v2, 16, 1
	v_add3_u32 v61, v2, v3, s25
                                        ; implicit-def: $vgpr2
; %bb.139:                              ;   in Loop: Header=BB147_48 Depth=1
	s_andn2_saveexec_b64 s[14:15], s[0:1]
; %bb.140:                              ;   in Loop: Header=BB147_48 Depth=1
	v_or_b32_e32 v3, 0x10000, v2
	v_cmp_eq_u32_sdwa s[0:1], v2, v17 src0_sel:WORD_0 src1_sel:DWORD
	s_nop 1
	v_cndmask_b32_e64 v61, v3, v2, s[0:1]
; %bb.141:                              ;   in Loop: Header=BB147_48 Depth=1
	s_or_b64 exec, exec, s[14:15]
	v_lshlrev_b32_e32 v2, 16, v5
	v_mul_f32_e32 v2, v54, v2
	v_and_b32_e32 v3, 0x7f800000, v2
	v_cmp_ne_u32_e64 s[0:1], s24, v3
                                        ; implicit-def: $vgpr62
	s_and_saveexec_b64 s[14:15], s[0:1]
	s_xor_b64 s[0:1], exec, s[14:15]
; %bb.142:                              ;   in Loop: Header=BB147_48 Depth=1
	v_bfe_u32 v3, v2, 16, 1
	v_add3_u32 v62, v2, v3, s25
                                        ; implicit-def: $vgpr2
; %bb.143:                              ;   in Loop: Header=BB147_48 Depth=1
	s_andn2_saveexec_b64 s[14:15], s[0:1]
; %bb.144:                              ;   in Loop: Header=BB147_48 Depth=1
	v_or_b32_e32 v3, 0x10000, v2
	v_cmp_eq_u32_sdwa s[0:1], v2, v17 src0_sel:WORD_0 src1_sel:DWORD
	s_nop 1
	v_cndmask_b32_e64 v62, v3, v2, s[0:1]
; %bb.145:                              ;   in Loop: Header=BB147_48 Depth=1
	s_or_b64 exec, exec, s[14:15]
	v_lshlrev_b32_e32 v2, 16, v21
	v_mul_f32_e32 v2, v55, v2
	v_and_b32_e32 v3, 0x7f800000, v2
	v_cmp_ne_u32_e64 s[0:1], s24, v3
                                        ; implicit-def: $vgpr63
	s_and_saveexec_b64 s[14:15], s[0:1]
	s_xor_b64 s[0:1], exec, s[14:15]
; %bb.146:                              ;   in Loop: Header=BB147_48 Depth=1
	v_bfe_u32 v3, v2, 16, 1
	v_add3_u32 v63, v2, v3, s25
                                        ; implicit-def: $vgpr2
; %bb.147:                              ;   in Loop: Header=BB147_48 Depth=1
	s_andn2_saveexec_b64 s[14:15], s[0:1]
; %bb.148:                              ;   in Loop: Header=BB147_48 Depth=1
	v_or_b32_e32 v3, 0x10000, v2
	v_cmp_eq_u32_sdwa s[0:1], v2, v17 src0_sel:WORD_0 src1_sel:DWORD
	s_nop 1
	v_cndmask_b32_e64 v63, v3, v2, s[0:1]
; %bb.149:                              ;   in Loop: Header=BB147_48 Depth=1
	s_or_b64 exec, exec, s[14:15]
	global_load_dwordx4 v[2:5], v[8:9], off offset:2048
	s_waitcnt vmcnt(0)
	v_lshrrev_b32_e32 v65, 16, v2
	v_lshrrev_b32_e32 v67, 16, v3
	;; [unrolled: 1-line block ×4, first 2 shown]
	s_and_saveexec_b64 s[14:15], vcc
	s_cbranch_execz .LBB147_151
; %bb.150:                              ;   in Loop: Header=BB147_48 Depth=1
	v_cmp_gt_i32_e64 s[0:1], s33, v40
	s_nop 1
	v_cndmask_b32_e64 v2, 0, v2, s[0:1]
	v_cmp_gt_i32_e64 s[0:1], s33, v47
	s_nop 1
	v_cndmask_b32_e64 v65, 0, v65, s[0:1]
	;; [unrolled: 3-line block ×8, first 2 shown]
.LBB147_151:                            ;   in Loop: Header=BB147_48 Depth=1
	s_or_b64 exec, exec, s[14:15]
	v_lshlrev_b32_e32 v2, 16, v2
	v_mul_f32_e32 v2, v48, v2
	v_and_b32_e32 v64, 0x7f800000, v2
	v_cmp_ne_u32_e64 s[0:1], s24, v64
                                        ; implicit-def: $vgpr64
	s_and_saveexec_b64 s[14:15], s[0:1]
	s_xor_b64 s[0:1], exec, s[14:15]
; %bb.152:                              ;   in Loop: Header=BB147_48 Depth=1
	v_bfe_u32 v64, v2, 16, 1
	v_add3_u32 v64, v2, v64, s25
                                        ; implicit-def: $vgpr2
; %bb.153:                              ;   in Loop: Header=BB147_48 Depth=1
	s_andn2_saveexec_b64 s[14:15], s[0:1]
; %bb.154:                              ;   in Loop: Header=BB147_48 Depth=1
	v_or_b32_e32 v64, 0x10000, v2
	v_cmp_eq_u32_sdwa s[0:1], v2, v17 src0_sel:WORD_0 src1_sel:DWORD
	s_nop 1
	v_cndmask_b32_e64 v64, v64, v2, s[0:1]
; %bb.155:                              ;   in Loop: Header=BB147_48 Depth=1
	s_or_b64 exec, exec, s[14:15]
	v_lshlrev_b32_e32 v2, 16, v65
	v_mul_f32_e32 v2, v49, v2
	v_and_b32_e32 v65, 0x7f800000, v2
	v_cmp_ne_u32_e64 s[0:1], s24, v65
                                        ; implicit-def: $vgpr65
	s_and_saveexec_b64 s[14:15], s[0:1]
	s_xor_b64 s[0:1], exec, s[14:15]
; %bb.156:                              ;   in Loop: Header=BB147_48 Depth=1
	v_bfe_u32 v65, v2, 16, 1
	v_add3_u32 v65, v2, v65, s25
                                        ; implicit-def: $vgpr2
; %bb.157:                              ;   in Loop: Header=BB147_48 Depth=1
	s_andn2_saveexec_b64 s[14:15], s[0:1]
; %bb.158:                              ;   in Loop: Header=BB147_48 Depth=1
	v_or_b32_e32 v65, 0x10000, v2
	v_cmp_eq_u32_sdwa s[0:1], v2, v17 src0_sel:WORD_0 src1_sel:DWORD
	s_nop 1
	v_cndmask_b32_e64 v65, v65, v2, s[0:1]
; %bb.159:                              ;   in Loop: Header=BB147_48 Depth=1
	s_or_b64 exec, exec, s[14:15]
	v_lshlrev_b32_e32 v2, 16, v3
	v_mul_f32_e32 v2, v50, v2
	v_and_b32_e32 v3, 0x7f800000, v2
	v_cmp_ne_u32_e64 s[0:1], s24, v3
                                        ; implicit-def: $vgpr66
	s_and_saveexec_b64 s[14:15], s[0:1]
	s_xor_b64 s[0:1], exec, s[14:15]
; %bb.160:                              ;   in Loop: Header=BB147_48 Depth=1
	v_bfe_u32 v3, v2, 16, 1
	v_add3_u32 v66, v2, v3, s25
                                        ; implicit-def: $vgpr2
; %bb.161:                              ;   in Loop: Header=BB147_48 Depth=1
	s_andn2_saveexec_b64 s[14:15], s[0:1]
; %bb.162:                              ;   in Loop: Header=BB147_48 Depth=1
	v_or_b32_e32 v3, 0x10000, v2
	v_cmp_eq_u32_sdwa s[0:1], v2, v17 src0_sel:WORD_0 src1_sel:DWORD
	s_nop 1
	v_cndmask_b32_e64 v66, v3, v2, s[0:1]
; %bb.163:                              ;   in Loop: Header=BB147_48 Depth=1
	s_or_b64 exec, exec, s[14:15]
	v_lshlrev_b32_e32 v2, 16, v67
	v_mul_f32_e32 v2, v51, v2
	v_and_b32_e32 v3, 0x7f800000, v2
	v_cmp_ne_u32_e64 s[0:1], s24, v3
                                        ; implicit-def: $vgpr67
	s_and_saveexec_b64 s[14:15], s[0:1]
	s_xor_b64 s[0:1], exec, s[14:15]
; %bb.164:                              ;   in Loop: Header=BB147_48 Depth=1
	v_bfe_u32 v3, v2, 16, 1
	v_add3_u32 v67, v2, v3, s25
                                        ; implicit-def: $vgpr2
; %bb.165:                              ;   in Loop: Header=BB147_48 Depth=1
	s_andn2_saveexec_b64 s[14:15], s[0:1]
; %bb.166:                              ;   in Loop: Header=BB147_48 Depth=1
	v_or_b32_e32 v3, 0x10000, v2
	v_cmp_eq_u32_sdwa s[0:1], v2, v17 src0_sel:WORD_0 src1_sel:DWORD
	s_nop 1
	v_cndmask_b32_e64 v67, v3, v2, s[0:1]
; %bb.167:                              ;   in Loop: Header=BB147_48 Depth=1
	s_or_b64 exec, exec, s[14:15]
	v_lshlrev_b32_e32 v2, 16, v4
	v_mul_f32_e32 v2, v52, v2
	v_and_b32_e32 v3, 0x7f800000, v2
	v_cmp_ne_u32_e64 s[0:1], s24, v3
                                        ; implicit-def: $vgpr68
	s_and_saveexec_b64 s[14:15], s[0:1]
	s_xor_b64 s[0:1], exec, s[14:15]
; %bb.168:                              ;   in Loop: Header=BB147_48 Depth=1
	v_bfe_u32 v3, v2, 16, 1
	v_add3_u32 v68, v2, v3, s25
                                        ; implicit-def: $vgpr2
; %bb.169:                              ;   in Loop: Header=BB147_48 Depth=1
	s_andn2_saveexec_b64 s[14:15], s[0:1]
; %bb.170:                              ;   in Loop: Header=BB147_48 Depth=1
	v_or_b32_e32 v3, 0x10000, v2
	v_cmp_eq_u32_sdwa s[0:1], v2, v17 src0_sel:WORD_0 src1_sel:DWORD
	s_nop 1
	v_cndmask_b32_e64 v68, v3, v2, s[0:1]
; %bb.171:                              ;   in Loop: Header=BB147_48 Depth=1
	s_or_b64 exec, exec, s[14:15]
	v_lshlrev_b32_e32 v2, 16, v23
	v_mul_f32_e32 v2, v53, v2
	v_and_b32_e32 v3, 0x7f800000, v2
	v_cmp_ne_u32_e64 s[0:1], s24, v3
                                        ; implicit-def: $vgpr69
	s_and_saveexec_b64 s[14:15], s[0:1]
	s_xor_b64 s[0:1], exec, s[14:15]
; %bb.172:                              ;   in Loop: Header=BB147_48 Depth=1
	v_bfe_u32 v3, v2, 16, 1
	v_add3_u32 v69, v2, v3, s25
                                        ; implicit-def: $vgpr2
; %bb.173:                              ;   in Loop: Header=BB147_48 Depth=1
	s_andn2_saveexec_b64 s[14:15], s[0:1]
; %bb.174:                              ;   in Loop: Header=BB147_48 Depth=1
	v_or_b32_e32 v3, 0x10000, v2
	v_cmp_eq_u32_sdwa s[0:1], v2, v17 src0_sel:WORD_0 src1_sel:DWORD
	s_nop 1
	v_cndmask_b32_e64 v69, v3, v2, s[0:1]
; %bb.175:                              ;   in Loop: Header=BB147_48 Depth=1
	s_or_b64 exec, exec, s[14:15]
	v_lshlrev_b32_e32 v2, 16, v5
	v_mul_f32_e32 v2, v54, v2
	v_and_b32_e32 v3, 0x7f800000, v2
	v_cmp_ne_u32_e64 s[0:1], s24, v3
                                        ; implicit-def: $vgpr70
	s_and_saveexec_b64 s[14:15], s[0:1]
	s_xor_b64 s[0:1], exec, s[14:15]
; %bb.176:                              ;   in Loop: Header=BB147_48 Depth=1
	v_bfe_u32 v3, v2, 16, 1
	v_add3_u32 v70, v2, v3, s25
                                        ; implicit-def: $vgpr2
; %bb.177:                              ;   in Loop: Header=BB147_48 Depth=1
	s_andn2_saveexec_b64 s[14:15], s[0:1]
; %bb.178:                              ;   in Loop: Header=BB147_48 Depth=1
	v_or_b32_e32 v3, 0x10000, v2
	v_cmp_eq_u32_sdwa s[0:1], v2, v17 src0_sel:WORD_0 src1_sel:DWORD
	s_nop 1
	v_cndmask_b32_e64 v70, v3, v2, s[0:1]
; %bb.179:                              ;   in Loop: Header=BB147_48 Depth=1
	s_or_b64 exec, exec, s[14:15]
	v_lshlrev_b32_e32 v2, 16, v21
	v_mul_f32_e32 v2, v55, v2
	v_and_b32_e32 v3, 0x7f800000, v2
	v_cmp_ne_u32_e64 s[0:1], s24, v3
                                        ; implicit-def: $vgpr71
	s_and_saveexec_b64 s[14:15], s[0:1]
	s_xor_b64 s[0:1], exec, s[14:15]
; %bb.180:                              ;   in Loop: Header=BB147_48 Depth=1
	v_bfe_u32 v3, v2, 16, 1
	v_add3_u32 v71, v2, v3, s25
                                        ; implicit-def: $vgpr2
; %bb.181:                              ;   in Loop: Header=BB147_48 Depth=1
	s_andn2_saveexec_b64 s[14:15], s[0:1]
; %bb.182:                              ;   in Loop: Header=BB147_48 Depth=1
	v_or_b32_e32 v3, 0x10000, v2
	v_cmp_eq_u32_sdwa s[0:1], v2, v17 src0_sel:WORD_0 src1_sel:DWORD
	s_nop 1
	v_cndmask_b32_e64 v71, v3, v2, s[0:1]
; %bb.183:                              ;   in Loop: Header=BB147_48 Depth=1
	s_or_b64 exec, exec, s[14:15]
	global_load_dwordx4 v[2:5], v[8:9], off offset:3072
	s_waitcnt vmcnt(0)
	v_lshrrev_b32_e32 v9, 16, v2
	v_lshrrev_b32_e32 v73, 16, v3
	;; [unrolled: 1-line block ×4, first 2 shown]
	s_and_saveexec_b64 s[14:15], vcc
	s_cbranch_execz .LBB147_185
; %bb.184:                              ;   in Loop: Header=BB147_48 Depth=1
	v_cmp_gt_i32_e64 s[0:1], s33, v40
	s_nop 1
	v_cndmask_b32_e64 v2, 0, v2, s[0:1]
	v_cmp_gt_i32_e64 s[0:1], s33, v47
	s_nop 1
	v_cndmask_b32_e64 v9, 0, v9, s[0:1]
	;; [unrolled: 3-line block ×8, first 2 shown]
.LBB147_185:                            ;   in Loop: Header=BB147_48 Depth=1
	s_or_b64 exec, exec, s[14:15]
	v_lshlrev_b32_e32 v2, 16, v2
	v_mul_f32_e32 v2, v48, v2
	v_and_b32_e32 v8, 0x7f800000, v2
	v_cmp_ne_u32_e64 s[0:1], s24, v8
                                        ; implicit-def: $vgpr8
	s_and_saveexec_b64 s[14:15], s[0:1]
	s_xor_b64 s[0:1], exec, s[14:15]
; %bb.186:                              ;   in Loop: Header=BB147_48 Depth=1
	v_bfe_u32 v8, v2, 16, 1
	v_add3_u32 v8, v2, v8, s25
                                        ; implicit-def: $vgpr2
; %bb.187:                              ;   in Loop: Header=BB147_48 Depth=1
	s_andn2_saveexec_b64 s[14:15], s[0:1]
; %bb.188:                              ;   in Loop: Header=BB147_48 Depth=1
	v_or_b32_e32 v8, 0x10000, v2
	v_cmp_eq_u32_sdwa s[0:1], v2, v17 src0_sel:WORD_0 src1_sel:DWORD
	s_nop 1
	v_cndmask_b32_e64 v8, v8, v2, s[0:1]
; %bb.189:                              ;   in Loop: Header=BB147_48 Depth=1
	s_or_b64 exec, exec, s[14:15]
	v_lshlrev_b32_e32 v2, 16, v9
	v_mul_f32_e32 v2, v49, v2
	v_and_b32_e32 v9, 0x7f800000, v2
	v_cmp_ne_u32_e64 s[0:1], s24, v9
                                        ; implicit-def: $vgpr9
	s_and_saveexec_b64 s[14:15], s[0:1]
	s_xor_b64 s[0:1], exec, s[14:15]
; %bb.190:                              ;   in Loop: Header=BB147_48 Depth=1
	v_bfe_u32 v9, v2, 16, 1
	v_add3_u32 v9, v2, v9, s25
                                        ; implicit-def: $vgpr2
; %bb.191:                              ;   in Loop: Header=BB147_48 Depth=1
	s_andn2_saveexec_b64 s[14:15], s[0:1]
; %bb.192:                              ;   in Loop: Header=BB147_48 Depth=1
	v_or_b32_e32 v9, 0x10000, v2
	v_cmp_eq_u32_sdwa s[0:1], v2, v17 src0_sel:WORD_0 src1_sel:DWORD
	s_nop 1
	v_cndmask_b32_e64 v9, v9, v2, s[0:1]
; %bb.193:                              ;   in Loop: Header=BB147_48 Depth=1
	s_or_b64 exec, exec, s[14:15]
	v_lshlrev_b32_e32 v2, 16, v3
	v_mul_f32_e32 v2, v50, v2
	v_and_b32_e32 v3, 0x7f800000, v2
	v_cmp_ne_u32_e64 s[0:1], s24, v3
                                        ; implicit-def: $vgpr72
	s_and_saveexec_b64 s[14:15], s[0:1]
	s_xor_b64 s[0:1], exec, s[14:15]
; %bb.194:                              ;   in Loop: Header=BB147_48 Depth=1
	v_bfe_u32 v3, v2, 16, 1
	v_add3_u32 v72, v2, v3, s25
                                        ; implicit-def: $vgpr2
; %bb.195:                              ;   in Loop: Header=BB147_48 Depth=1
	s_andn2_saveexec_b64 s[14:15], s[0:1]
; %bb.196:                              ;   in Loop: Header=BB147_48 Depth=1
	v_or_b32_e32 v3, 0x10000, v2
	v_cmp_eq_u32_sdwa s[0:1], v2, v17 src0_sel:WORD_0 src1_sel:DWORD
	s_nop 1
	v_cndmask_b32_e64 v72, v3, v2, s[0:1]
; %bb.197:                              ;   in Loop: Header=BB147_48 Depth=1
	s_or_b64 exec, exec, s[14:15]
	v_lshlrev_b32_e32 v2, 16, v73
	v_mul_f32_e32 v2, v51, v2
	v_and_b32_e32 v3, 0x7f800000, v2
	v_cmp_ne_u32_e64 s[0:1], s24, v3
                                        ; implicit-def: $vgpr73
	s_and_saveexec_b64 s[14:15], s[0:1]
	s_xor_b64 s[0:1], exec, s[14:15]
; %bb.198:                              ;   in Loop: Header=BB147_48 Depth=1
	v_bfe_u32 v3, v2, 16, 1
	v_add3_u32 v73, v2, v3, s25
                                        ; implicit-def: $vgpr2
; %bb.199:                              ;   in Loop: Header=BB147_48 Depth=1
	s_andn2_saveexec_b64 s[14:15], s[0:1]
; %bb.200:                              ;   in Loop: Header=BB147_48 Depth=1
	v_or_b32_e32 v3, 0x10000, v2
	v_cmp_eq_u32_sdwa s[0:1], v2, v17 src0_sel:WORD_0 src1_sel:DWORD
	s_nop 1
	v_cndmask_b32_e64 v73, v3, v2, s[0:1]
; %bb.201:                              ;   in Loop: Header=BB147_48 Depth=1
	s_or_b64 exec, exec, s[14:15]
	v_lshlrev_b32_e32 v2, 16, v4
	v_mul_f32_e32 v2, v52, v2
	v_and_b32_e32 v3, 0x7f800000, v2
	v_cmp_ne_u32_e64 s[0:1], s24, v3
                                        ; implicit-def: $vgpr74
	s_and_saveexec_b64 s[14:15], s[0:1]
	s_xor_b64 s[0:1], exec, s[14:15]
; %bb.202:                              ;   in Loop: Header=BB147_48 Depth=1
	v_bfe_u32 v3, v2, 16, 1
	v_add3_u32 v74, v2, v3, s25
                                        ; implicit-def: $vgpr2
; %bb.203:                              ;   in Loop: Header=BB147_48 Depth=1
	s_andn2_saveexec_b64 s[14:15], s[0:1]
; %bb.204:                              ;   in Loop: Header=BB147_48 Depth=1
	v_or_b32_e32 v3, 0x10000, v2
	v_cmp_eq_u32_sdwa s[0:1], v2, v17 src0_sel:WORD_0 src1_sel:DWORD
	s_nop 1
	v_cndmask_b32_e64 v74, v3, v2, s[0:1]
; %bb.205:                              ;   in Loop: Header=BB147_48 Depth=1
	s_or_b64 exec, exec, s[14:15]
	v_lshlrev_b32_e32 v2, 16, v23
	v_mul_f32_e32 v2, v53, v2
	v_and_b32_e32 v3, 0x7f800000, v2
	v_cmp_ne_u32_e64 s[0:1], s24, v3
                                        ; implicit-def: $vgpr75
	s_and_saveexec_b64 s[14:15], s[0:1]
	s_xor_b64 s[0:1], exec, s[14:15]
; %bb.206:                              ;   in Loop: Header=BB147_48 Depth=1
	v_bfe_u32 v3, v2, 16, 1
	v_add3_u32 v75, v2, v3, s25
                                        ; implicit-def: $vgpr2
; %bb.207:                              ;   in Loop: Header=BB147_48 Depth=1
	s_andn2_saveexec_b64 s[14:15], s[0:1]
; %bb.208:                              ;   in Loop: Header=BB147_48 Depth=1
	v_or_b32_e32 v3, 0x10000, v2
	v_cmp_eq_u32_sdwa s[0:1], v2, v17 src0_sel:WORD_0 src1_sel:DWORD
	s_nop 1
	v_cndmask_b32_e64 v75, v3, v2, s[0:1]
; %bb.209:                              ;   in Loop: Header=BB147_48 Depth=1
	s_or_b64 exec, exec, s[14:15]
	v_lshlrev_b32_e32 v2, 16, v5
	v_mul_f32_e32 v2, v54, v2
	v_and_b32_e32 v3, 0x7f800000, v2
	v_cmp_ne_u32_e64 s[0:1], s24, v3
                                        ; implicit-def: $vgpr76
	s_and_saveexec_b64 s[14:15], s[0:1]
	s_xor_b64 s[0:1], exec, s[14:15]
; %bb.210:                              ;   in Loop: Header=BB147_48 Depth=1
	v_bfe_u32 v3, v2, 16, 1
	v_add3_u32 v76, v2, v3, s25
                                        ; implicit-def: $vgpr2
; %bb.211:                              ;   in Loop: Header=BB147_48 Depth=1
	s_andn2_saveexec_b64 s[14:15], s[0:1]
; %bb.212:                              ;   in Loop: Header=BB147_48 Depth=1
	v_or_b32_e32 v3, 0x10000, v2
	v_cmp_eq_u32_sdwa s[0:1], v2, v17 src0_sel:WORD_0 src1_sel:DWORD
	s_nop 1
	v_cndmask_b32_e64 v76, v3, v2, s[0:1]
; %bb.213:                              ;   in Loop: Header=BB147_48 Depth=1
	s_or_b64 exec, exec, s[14:15]
	v_lshlrev_b32_e32 v2, 16, v21
	v_mul_f32_e32 v2, v55, v2
	v_and_b32_e32 v3, 0x7f800000, v2
	v_cmp_ne_u32_e64 s[0:1], s24, v3
                                        ; implicit-def: $vgpr77
	s_and_saveexec_b64 s[14:15], s[0:1]
	s_xor_b64 s[0:1], exec, s[14:15]
; %bb.214:                              ;   in Loop: Header=BB147_48 Depth=1
	v_bfe_u32 v3, v2, 16, 1
	v_add3_u32 v77, v2, v3, s25
                                        ; implicit-def: $vgpr2
; %bb.215:                              ;   in Loop: Header=BB147_48 Depth=1
	s_andn2_saveexec_b64 s[14:15], s[0:1]
; %bb.216:                              ;   in Loop: Header=BB147_48 Depth=1
	v_or_b32_e32 v3, 0x10000, v2
	v_cmp_eq_u32_sdwa s[0:1], v2, v17 src0_sel:WORD_0 src1_sel:DWORD
	s_nop 1
	v_cndmask_b32_e64 v77, v3, v2, s[0:1]
; %bb.217:                              ;   in Loop: Header=BB147_48 Depth=1
	s_or_b64 exec, exec, s[14:15]
	v_mov_b32_e32 v21, v17
	v_lshl_add_u64 v[2:3], v[6:7], 0, v[20:21]
	global_load_dwordx4 v[2:5], v[2:3], off
	s_waitcnt vmcnt(0)
	v_lshrrev_b32_e32 v78, 16, v2
	v_lshrrev_b32_e32 v80, 16, v3
	v_lshrrev_b32_e32 v82, 16, v4
	v_lshrrev_b32_e32 v23, 16, v5
	s_and_saveexec_b64 s[14:15], vcc
	s_cbranch_execz .LBB147_219
; %bb.218:                              ;   in Loop: Header=BB147_48 Depth=1
	v_cmp_gt_i32_e64 s[0:1], s33, v40
	s_nop 1
	v_cndmask_b32_e64 v2, 0, v2, s[0:1]
	v_cmp_gt_i32_e64 s[0:1], s33, v47
	s_nop 1
	v_cndmask_b32_e64 v78, 0, v78, s[0:1]
	;; [unrolled: 3-line block ×8, first 2 shown]
.LBB147_219:                            ;   in Loop: Header=BB147_48 Depth=1
	s_or_b64 exec, exec, s[14:15]
	v_lshlrev_b32_e32 v2, 16, v2
	v_mul_f32_e32 v2, v48, v2
	v_and_b32_e32 v21, 0x7f800000, v2
	v_cmp_ne_u32_e64 s[0:1], s24, v21
                                        ; implicit-def: $vgpr21
	s_and_saveexec_b64 s[14:15], s[0:1]
	s_xor_b64 s[0:1], exec, s[14:15]
; %bb.220:                              ;   in Loop: Header=BB147_48 Depth=1
	v_bfe_u32 v21, v2, 16, 1
	v_add3_u32 v21, v2, v21, s25
                                        ; implicit-def: $vgpr2
; %bb.221:                              ;   in Loop: Header=BB147_48 Depth=1
	s_andn2_saveexec_b64 s[14:15], s[0:1]
; %bb.222:                              ;   in Loop: Header=BB147_48 Depth=1
	v_or_b32_e32 v21, 0x10000, v2
	v_cmp_eq_u32_sdwa s[0:1], v2, v17 src0_sel:WORD_0 src1_sel:DWORD
	s_nop 1
	v_cndmask_b32_e64 v21, v21, v2, s[0:1]
; %bb.223:                              ;   in Loop: Header=BB147_48 Depth=1
	s_or_b64 exec, exec, s[14:15]
	v_lshlrev_b32_e32 v2, 16, v78
	v_mul_f32_e32 v2, v49, v2
	v_and_b32_e32 v78, 0x7f800000, v2
	v_cmp_ne_u32_e64 s[0:1], s24, v78
                                        ; implicit-def: $vgpr78
	s_and_saveexec_b64 s[14:15], s[0:1]
	s_xor_b64 s[0:1], exec, s[14:15]
; %bb.224:                              ;   in Loop: Header=BB147_48 Depth=1
	v_bfe_u32 v78, v2, 16, 1
	v_add3_u32 v78, v2, v78, s25
                                        ; implicit-def: $vgpr2
; %bb.225:                              ;   in Loop: Header=BB147_48 Depth=1
	s_andn2_saveexec_b64 s[14:15], s[0:1]
; %bb.226:                              ;   in Loop: Header=BB147_48 Depth=1
	v_or_b32_e32 v78, 0x10000, v2
	v_cmp_eq_u32_sdwa s[0:1], v2, v17 src0_sel:WORD_0 src1_sel:DWORD
	s_nop 1
	v_cndmask_b32_e64 v78, v78, v2, s[0:1]
; %bb.227:                              ;   in Loop: Header=BB147_48 Depth=1
	s_or_b64 exec, exec, s[14:15]
	v_lshlrev_b32_e32 v2, 16, v3
	v_mul_f32_e32 v2, v50, v2
	v_and_b32_e32 v3, 0x7f800000, v2
	v_cmp_ne_u32_e64 s[0:1], s24, v3
                                        ; implicit-def: $vgpr79
	s_and_saveexec_b64 s[14:15], s[0:1]
	s_xor_b64 s[0:1], exec, s[14:15]
; %bb.228:                              ;   in Loop: Header=BB147_48 Depth=1
	v_bfe_u32 v3, v2, 16, 1
	v_add3_u32 v79, v2, v3, s25
                                        ; implicit-def: $vgpr2
; %bb.229:                              ;   in Loop: Header=BB147_48 Depth=1
	s_andn2_saveexec_b64 s[14:15], s[0:1]
; %bb.230:                              ;   in Loop: Header=BB147_48 Depth=1
	v_or_b32_e32 v3, 0x10000, v2
	v_cmp_eq_u32_sdwa s[0:1], v2, v17 src0_sel:WORD_0 src1_sel:DWORD
	s_nop 1
	v_cndmask_b32_e64 v79, v3, v2, s[0:1]
; %bb.231:                              ;   in Loop: Header=BB147_48 Depth=1
	s_or_b64 exec, exec, s[14:15]
	v_lshlrev_b32_e32 v2, 16, v80
	v_mul_f32_e32 v2, v51, v2
	v_and_b32_e32 v3, 0x7f800000, v2
	v_cmp_ne_u32_e64 s[0:1], s24, v3
                                        ; implicit-def: $vgpr80
	s_and_saveexec_b64 s[14:15], s[0:1]
	s_xor_b64 s[0:1], exec, s[14:15]
; %bb.232:                              ;   in Loop: Header=BB147_48 Depth=1
	v_bfe_u32 v3, v2, 16, 1
	v_add3_u32 v80, v2, v3, s25
                                        ; implicit-def: $vgpr2
; %bb.233:                              ;   in Loop: Header=BB147_48 Depth=1
	s_andn2_saveexec_b64 s[14:15], s[0:1]
; %bb.234:                              ;   in Loop: Header=BB147_48 Depth=1
	v_or_b32_e32 v3, 0x10000, v2
	v_cmp_eq_u32_sdwa s[0:1], v2, v17 src0_sel:WORD_0 src1_sel:DWORD
	s_nop 1
	v_cndmask_b32_e64 v80, v3, v2, s[0:1]
; %bb.235:                              ;   in Loop: Header=BB147_48 Depth=1
	s_or_b64 exec, exec, s[14:15]
	v_lshlrev_b32_e32 v2, 16, v4
	v_mul_f32_e32 v2, v52, v2
	v_and_b32_e32 v3, 0x7f800000, v2
	v_cmp_ne_u32_e64 s[0:1], s24, v3
                                        ; implicit-def: $vgpr81
	s_and_saveexec_b64 s[14:15], s[0:1]
	s_xor_b64 s[0:1], exec, s[14:15]
; %bb.236:                              ;   in Loop: Header=BB147_48 Depth=1
	v_bfe_u32 v3, v2, 16, 1
	v_add3_u32 v81, v2, v3, s25
                                        ; implicit-def: $vgpr2
; %bb.237:                              ;   in Loop: Header=BB147_48 Depth=1
	s_andn2_saveexec_b64 s[14:15], s[0:1]
; %bb.238:                              ;   in Loop: Header=BB147_48 Depth=1
	v_or_b32_e32 v3, 0x10000, v2
	v_cmp_eq_u32_sdwa s[0:1], v2, v17 src0_sel:WORD_0 src1_sel:DWORD
	s_nop 1
	v_cndmask_b32_e64 v81, v3, v2, s[0:1]
; %bb.239:                              ;   in Loop: Header=BB147_48 Depth=1
	s_or_b64 exec, exec, s[14:15]
	v_lshlrev_b32_e32 v2, 16, v82
	v_mul_f32_e32 v2, v53, v2
	v_and_b32_e32 v3, 0x7f800000, v2
	v_cmp_ne_u32_e64 s[0:1], s24, v3
                                        ; implicit-def: $vgpr82
	s_and_saveexec_b64 s[14:15], s[0:1]
	s_xor_b64 s[0:1], exec, s[14:15]
; %bb.240:                              ;   in Loop: Header=BB147_48 Depth=1
	v_bfe_u32 v3, v2, 16, 1
	v_add3_u32 v82, v2, v3, s25
                                        ; implicit-def: $vgpr2
; %bb.241:                              ;   in Loop: Header=BB147_48 Depth=1
	s_andn2_saveexec_b64 s[14:15], s[0:1]
; %bb.242:                              ;   in Loop: Header=BB147_48 Depth=1
	v_or_b32_e32 v3, 0x10000, v2
	v_cmp_eq_u32_sdwa s[0:1], v2, v17 src0_sel:WORD_0 src1_sel:DWORD
	s_nop 1
	v_cndmask_b32_e64 v82, v3, v2, s[0:1]
; %bb.243:                              ;   in Loop: Header=BB147_48 Depth=1
	s_or_b64 exec, exec, s[14:15]
	v_lshlrev_b32_e32 v2, 16, v5
	v_mul_f32_e32 v2, v54, v2
	v_and_b32_e32 v3, 0x7f800000, v2
	v_cmp_ne_u32_e64 s[0:1], s24, v3
                                        ; implicit-def: $vgpr83
	s_and_saveexec_b64 s[14:15], s[0:1]
	s_xor_b64 s[0:1], exec, s[14:15]
; %bb.244:                              ;   in Loop: Header=BB147_48 Depth=1
	v_bfe_u32 v3, v2, 16, 1
	v_add3_u32 v83, v2, v3, s25
                                        ; implicit-def: $vgpr2
; %bb.245:                              ;   in Loop: Header=BB147_48 Depth=1
	s_andn2_saveexec_b64 s[14:15], s[0:1]
; %bb.246:                              ;   in Loop: Header=BB147_48 Depth=1
	v_or_b32_e32 v3, 0x10000, v2
	v_cmp_eq_u32_sdwa s[0:1], v2, v17 src0_sel:WORD_0 src1_sel:DWORD
	s_nop 1
	v_cndmask_b32_e64 v83, v3, v2, s[0:1]
; %bb.247:                              ;   in Loop: Header=BB147_48 Depth=1
	s_or_b64 exec, exec, s[14:15]
	v_lshlrev_b32_e32 v2, 16, v23
	v_mul_f32_e32 v2, v55, v2
	v_and_b32_e32 v3, 0x7f800000, v2
	v_cmp_ne_u32_e64 s[0:1], s24, v3
                                        ; implicit-def: $vgpr84
	s_and_saveexec_b64 s[14:15], s[0:1]
	s_xor_b64 s[0:1], exec, s[14:15]
; %bb.248:                              ;   in Loop: Header=BB147_48 Depth=1
	v_bfe_u32 v3, v2, 16, 1
	v_add3_u32 v84, v2, v3, s25
                                        ; implicit-def: $vgpr2
; %bb.249:                              ;   in Loop: Header=BB147_48 Depth=1
	s_andn2_saveexec_b64 s[14:15], s[0:1]
; %bb.250:                              ;   in Loop: Header=BB147_48 Depth=1
	v_or_b32_e32 v3, 0x10000, v2
	v_cmp_eq_u32_sdwa s[0:1], v2, v17 src0_sel:WORD_0 src1_sel:DWORD
	s_nop 1
	v_cndmask_b32_e64 v84, v3, v2, s[0:1]
; %bb.251:                              ;   in Loop: Header=BB147_48 Depth=1
	s_or_b64 exec, exec, s[14:15]
	v_mov_b32_e32 v23, v17
	v_lshl_add_u64 v[2:3], v[6:7], 0, v[22:23]
	global_load_dwordx4 v[2:5], v[2:3], off
	s_waitcnt vmcnt(0)
	v_lshrrev_b32_e32 v6, 16, v2
	v_lshrrev_b32_e32 v23, 16, v3
	;; [unrolled: 1-line block ×4, first 2 shown]
	s_and_saveexec_b64 s[0:1], vcc
	s_cbranch_execz .LBB147_253
; %bb.252:                              ;   in Loop: Header=BB147_48 Depth=1
	v_cmp_gt_i32_e32 vcc, s33, v40
	s_nop 1
	v_cndmask_b32_e32 v2, 0, v2, vcc
	v_cmp_gt_i32_e32 vcc, s33, v47
	s_nop 1
	v_cndmask_b32_e32 v6, 0, v6, vcc
	;; [unrolled: 3-line block ×8, first 2 shown]
.LBB147_253:                            ;   in Loop: Header=BB147_48 Depth=1
	s_or_b64 exec, exec, s[0:1]
	v_lshlrev_b32_e32 v2, 16, v2
	v_mul_f32_e32 v40, v48, v2
	v_and_b32_e32 v2, 0x7f800000, v40
	v_cmp_ne_u32_e32 vcc, s24, v2
                                        ; implicit-def: $vgpr2
	s_and_saveexec_b64 s[0:1], vcc
	s_xor_b64 s[0:1], exec, s[0:1]
; %bb.254:                              ;   in Loop: Header=BB147_48 Depth=1
	v_bfe_u32 v2, v40, 16, 1
	v_add3_u32 v2, v40, v2, s25
                                        ; implicit-def: $vgpr40
; %bb.255:                              ;   in Loop: Header=BB147_48 Depth=1
	s_andn2_saveexec_b64 s[0:1], s[0:1]
; %bb.256:                              ;   in Loop: Header=BB147_48 Depth=1
	v_or_b32_e32 v2, 0x10000, v40
	v_cmp_eq_u32_sdwa vcc, v40, v17 src0_sel:WORD_0 src1_sel:DWORD
	s_nop 1
	v_cndmask_b32_e32 v2, v2, v40, vcc
; %bb.257:                              ;   in Loop: Header=BB147_48 Depth=1
	s_or_b64 exec, exec, s[0:1]
	v_lshlrev_b32_e32 v6, 16, v6
	v_mul_f32_e32 v40, v49, v6
	v_and_b32_e32 v6, 0x7f800000, v40
	v_cmp_ne_u32_e32 vcc, s24, v6
                                        ; implicit-def: $vgpr6
	s_and_saveexec_b64 s[0:1], vcc
	s_xor_b64 s[0:1], exec, s[0:1]
; %bb.258:                              ;   in Loop: Header=BB147_48 Depth=1
	v_bfe_u32 v6, v40, 16, 1
	v_add3_u32 v6, v40, v6, s25
                                        ; implicit-def: $vgpr40
; %bb.259:                              ;   in Loop: Header=BB147_48 Depth=1
	s_andn2_saveexec_b64 s[0:1], s[0:1]
; %bb.260:                              ;   in Loop: Header=BB147_48 Depth=1
	v_or_b32_e32 v6, 0x10000, v40
	v_cmp_eq_u32_sdwa vcc, v40, v17 src0_sel:WORD_0 src1_sel:DWORD
	s_nop 1
	v_cndmask_b32_e32 v6, v6, v40, vcc
; %bb.261:                              ;   in Loop: Header=BB147_48 Depth=1
	s_or_b64 exec, exec, s[0:1]
	v_lshlrev_b32_e32 v3, 16, v3
	v_mul_f32_e32 v40, v50, v3
	v_and_b32_e32 v3, 0x7f800000, v40
	v_cmp_ne_u32_e32 vcc, s24, v3
                                        ; implicit-def: $vgpr3
	s_and_saveexec_b64 s[0:1], vcc
	s_xor_b64 s[0:1], exec, s[0:1]
; %bb.262:                              ;   in Loop: Header=BB147_48 Depth=1
	v_bfe_u32 v3, v40, 16, 1
	v_add3_u32 v3, v40, v3, s25
                                        ; implicit-def: $vgpr40
; %bb.263:                              ;   in Loop: Header=BB147_48 Depth=1
	s_andn2_saveexec_b64 s[0:1], s[0:1]
; %bb.264:                              ;   in Loop: Header=BB147_48 Depth=1
	v_or_b32_e32 v3, 0x10000, v40
	v_cmp_eq_u32_sdwa vcc, v40, v17 src0_sel:WORD_0 src1_sel:DWORD
	s_nop 1
	v_cndmask_b32_e32 v3, v3, v40, vcc
; %bb.265:                              ;   in Loop: Header=BB147_48 Depth=1
	s_or_b64 exec, exec, s[0:1]
	v_lshlrev_b32_e32 v23, 16, v23
	v_mul_f32_e32 v40, v51, v23
	v_and_b32_e32 v23, 0x7f800000, v40
	v_cmp_ne_u32_e32 vcc, s24, v23
                                        ; implicit-def: $vgpr23
	s_and_saveexec_b64 s[0:1], vcc
	s_xor_b64 s[0:1], exec, s[0:1]
; %bb.266:                              ;   in Loop: Header=BB147_48 Depth=1
	v_bfe_u32 v23, v40, 16, 1
	v_add3_u32 v23, v40, v23, s25
                                        ; implicit-def: $vgpr40
; %bb.267:                              ;   in Loop: Header=BB147_48 Depth=1
	s_andn2_saveexec_b64 s[0:1], s[0:1]
; %bb.268:                              ;   in Loop: Header=BB147_48 Depth=1
	v_or_b32_e32 v23, 0x10000, v40
	v_cmp_eq_u32_sdwa vcc, v40, v17 src0_sel:WORD_0 src1_sel:DWORD
	s_nop 1
	v_cndmask_b32_e32 v23, v23, v40, vcc
; %bb.269:                              ;   in Loop: Header=BB147_48 Depth=1
	s_or_b64 exec, exec, s[0:1]
	v_lshlrev_b32_e32 v4, 16, v4
	v_mul_f32_e32 v40, v52, v4
	v_and_b32_e32 v4, 0x7f800000, v40
	v_cmp_ne_u32_e32 vcc, s24, v4
                                        ; implicit-def: $vgpr4
	s_and_saveexec_b64 s[0:1], vcc
	s_xor_b64 s[0:1], exec, s[0:1]
; %bb.270:                              ;   in Loop: Header=BB147_48 Depth=1
	v_bfe_u32 v4, v40, 16, 1
	v_add3_u32 v4, v40, v4, s25
                                        ; implicit-def: $vgpr40
; %bb.271:                              ;   in Loop: Header=BB147_48 Depth=1
	s_andn2_saveexec_b64 s[0:1], s[0:1]
; %bb.272:                              ;   in Loop: Header=BB147_48 Depth=1
	v_or_b32_e32 v4, 0x10000, v40
	v_cmp_eq_u32_sdwa vcc, v40, v17 src0_sel:WORD_0 src1_sel:DWORD
	s_nop 1
	v_cndmask_b32_e32 v4, v4, v40, vcc
; %bb.273:                              ;   in Loop: Header=BB147_48 Depth=1
	s_or_b64 exec, exec, s[0:1]
	v_lshlrev_b32_e32 v40, 16, v85
	v_mul_f32_e32 v41, v53, v40
	v_and_b32_e32 v40, 0x7f800000, v41
	v_cmp_ne_u32_e32 vcc, s24, v40
                                        ; implicit-def: $vgpr40
	s_and_saveexec_b64 s[0:1], vcc
	s_xor_b64 s[0:1], exec, s[0:1]
; %bb.274:                              ;   in Loop: Header=BB147_48 Depth=1
	v_bfe_u32 v40, v41, 16, 1
	v_add3_u32 v40, v41, v40, s25
                                        ; implicit-def: $vgpr41
; %bb.275:                              ;   in Loop: Header=BB147_48 Depth=1
	s_andn2_saveexec_b64 s[0:1], s[0:1]
; %bb.276:                              ;   in Loop: Header=BB147_48 Depth=1
	v_or_b32_e32 v40, 0x10000, v41
	v_cmp_eq_u32_sdwa vcc, v41, v17 src0_sel:WORD_0 src1_sel:DWORD
	s_nop 1
	v_cndmask_b32_e32 v40, v40, v41, vcc
; %bb.277:                              ;   in Loop: Header=BB147_48 Depth=1
	s_or_b64 exec, exec, s[0:1]
	v_lshlrev_b32_e32 v5, 16, v5
	v_mul_f32_e32 v41, v54, v5
	v_and_b32_e32 v5, 0x7f800000, v41
	v_cmp_ne_u32_e32 vcc, s24, v5
                                        ; implicit-def: $vgpr5
	s_and_saveexec_b64 s[0:1], vcc
	s_xor_b64 s[0:1], exec, s[0:1]
; %bb.278:                              ;   in Loop: Header=BB147_48 Depth=1
	v_bfe_u32 v5, v41, 16, 1
	v_add3_u32 v5, v41, v5, s25
                                        ; implicit-def: $vgpr41
; %bb.279:                              ;   in Loop: Header=BB147_48 Depth=1
	s_andn2_saveexec_b64 s[0:1], s[0:1]
; %bb.280:                              ;   in Loop: Header=BB147_48 Depth=1
	v_or_b32_e32 v5, 0x10000, v41
	v_cmp_eq_u32_sdwa vcc, v41, v17 src0_sel:WORD_0 src1_sel:DWORD
	s_nop 1
	v_cndmask_b32_e32 v5, v5, v41, vcc
; %bb.281:                              ;   in Loop: Header=BB147_48 Depth=1
	s_or_b64 exec, exec, s[0:1]
	v_lshlrev_b32_e32 v7, 16, v7
	v_mul_f32_e32 v41, v55, v7
	v_and_b32_e32 v7, 0x7f800000, v41
	v_cmp_ne_u32_e32 vcc, s24, v7
                                        ; implicit-def: $vgpr7
	s_and_saveexec_b64 s[0:1], vcc
	s_xor_b64 s[0:1], exec, s[0:1]
; %bb.282:                              ;   in Loop: Header=BB147_48 Depth=1
	v_bfe_u32 v7, v41, 16, 1
	v_add3_u32 v7, v41, v7, s25
                                        ; implicit-def: $vgpr41
; %bb.283:                              ;   in Loop: Header=BB147_48 Depth=1
	s_andn2_saveexec_b64 s[0:1], s[0:1]
	s_cbranch_execz .LBB147_46
; %bb.284:                              ;   in Loop: Header=BB147_48 Depth=1
	v_or_b32_e32 v7, 0x10000, v41
	v_cmp_eq_u32_sdwa vcc, v41, v17 src0_sel:WORD_0 src1_sel:DWORD
	s_nop 1
	v_cndmask_b32_e32 v7, v7, v41, vcc
	s_branch .LBB147_46
.LBB147_285:
	s_or_b64 exec, exec, s[8:9]
.LBB147_286:
	s_or_b64 exec, exec, s[2:3]
	ds_bpermute_b32 v2, v26, v14
	ds_bpermute_b32 v3, v26, v15
	;; [unrolled: 1-line block ×6, first 2 shown]
	s_waitcnt lgkmcnt(4)
	v_pk_add_f32 v[2:3], v[14:15], v[2:3]
	ds_bpermute_b32 v8, v27, v2
	s_waitcnt lgkmcnt(3)
	v_pk_add_f32 v[4:5], v[12:13], v[4:5]
	ds_bpermute_b32 v9, v27, v3
	;; [unrolled: 3-line block ×3, first 2 shown]
	ds_bpermute_b32 v13, v27, v5
	ds_bpermute_b32 v14, v27, v10
	;; [unrolled: 1-line block ×3, first 2 shown]
	v_and_b32_e32 v1, 0x3c3, v0
	s_waitcnt lgkmcnt(4)
	v_pk_add_f32 v[6:7], v[2:3], v[8:9]
	s_waitcnt lgkmcnt(2)
	v_pk_add_f32 v[2:3], v[4:5], v[12:13]
	v_cmp_eq_u32_e32 vcc, 64, v1
	s_waitcnt lgkmcnt(0)
	v_pk_add_f32 v[4:5], v[10:11], v[14:15]
	s_barrier
	s_and_saveexec_b64 s[0:1], vcc
	s_cbranch_execz .LBB147_288
; %bb.287:
	v_add_u32_e32 v1, 0xd0, v25
	ds_write2_b32 v1, v6, v7 offset1:16
	ds_write2_b32 v1, v2, v3 offset0:32 offset1:48
	ds_write2_b32 v1, v4, v5 offset0:64 offset1:80
.LBB147_288:
	s_or_b64 exec, exec, s[0:1]
	v_cmp_gt_u32_e32 vcc, 64, v0
	s_waitcnt lgkmcnt(0)
	s_barrier
	s_and_saveexec_b64 s[2:3], vcc
	s_cbranch_execz .LBB147_297
; %bb.289:
	v_cmp_eq_u32_e64 s[0:1], 0, v28
	v_lshrrev_b32_e32 v1, 2, v0
	s_and_saveexec_b64 s[6:7], s[0:1]
	s_cbranch_execnz .LBB147_325
; %bb.290:
	s_or_b64 exec, exec, s[6:7]
	s_and_saveexec_b64 s[6:7], s[0:1]
	s_cbranch_execnz .LBB147_326
.LBB147_291:
	s_or_b64 exec, exec, s[6:7]
	s_and_saveexec_b64 s[6:7], s[0:1]
	s_cbranch_execnz .LBB147_327
.LBB147_292:
	s_or_b64 exec, exec, s[6:7]
	s_and_saveexec_b64 s[6:7], s[0:1]
	s_cbranch_execnz .LBB147_328
.LBB147_293:
	s_or_b64 exec, exec, s[6:7]
	s_and_saveexec_b64 s[6:7], s[0:1]
	s_cbranch_execnz .LBB147_329
.LBB147_294:
	s_or_b64 exec, exec, s[6:7]
	s_and_saveexec_b64 s[6:7], s[0:1]
	s_cbranch_execz .LBB147_296
.LBB147_295:
	v_mov_b32_e32 v8, 0xd0
	v_lshl_add_u32 v1, v1, 2, v8
	ds_read_b32 v1, v1 offset:320
	s_waitcnt lgkmcnt(0)
	v_add_f32_e32 v5, v5, v1
.LBB147_296:
	s_or_b64 exec, exec, s[6:7]
.LBB147_297:
	s_or_b64 exec, exec, s[2:3]
	s_barrier
	s_and_saveexec_b64 s[0:1], vcc
	s_cbranch_execz .LBB147_324
; %bb.298:
	v_cmp_eq_u32_e32 vcc, 0, v28
	s_and_b64 exec, exec, vcc
	s_cbranch_execz .LBB147_324
; %bb.299:
	s_mov_b32 s0, 0x7f800000
	v_and_b32_e32 v1, 0x7f800000, v6
	v_cmp_ne_u32_e32 vcc, s0, v1
                                        ; implicit-def: $vgpr8
	s_and_saveexec_b64 s[0:1], vcc
	s_xor_b64 s[0:1], exec, s[0:1]
; %bb.300:
	v_bfe_u32 v1, v6, 16, 1
	s_movk_i32 s2, 0x7fff
	v_add3_u32 v8, v6, v1, s2
; %bb.301:
	s_andn2_saveexec_b64 s[0:1], s[0:1]
; %bb.302:
	v_mov_b32_e32 v1, 0
	v_or_b32_e32 v8, 0x10000, v6
	v_cmp_eq_u32_sdwa vcc, v6, v1 src0_sel:WORD_0 src1_sel:DWORD
	s_nop 1
	v_cndmask_b32_e32 v8, v8, v6, vcc
; %bb.303:
	s_or_b64 exec, exec, s[0:1]
	s_mul_i32 s0, s10, s11
	s_mul_i32 s0, s0, s5
	s_mulk_i32 s0, 0x60
	s_ashr_i32 s1, s0, 31
	s_lshl_b64 s[0:1], s[0:1], 1
	s_add_u32 s2, s22, s0
	s_mul_i32 s0, s11, s20
	s_addc_u32 s3, s23, s1
	s_ashr_i32 s1, s0, 31
	s_lshl_b64 s[0:1], s[0:1], 1
	s_add_u32 s2, s2, s0
	s_mul_i32 s0, s4, 0x60
	s_addc_u32 s3, s3, s1
	s_ashr_i32 s1, s0, 31
	s_lshl_b64 s[0:1], s[0:1], 1
	s_add_u32 s0, s2, s0
	v_lshrrev_b32_e32 v0, 1, v0
	s_mov_b32 s2, 0x7f800000
	v_and_b32_e32 v6, 0x7f800000, v7
	s_addc_u32 s1, s3, s1
	v_and_b32_e32 v0, 0x1fe, v0
	v_mov_b32_e32 v1, 0
	v_cmp_ne_u32_e32 vcc, s2, v6
	global_store_short_d16_hi v0, v8, s[0:1]
                                        ; implicit-def: $vgpr6
	s_and_saveexec_b64 s[2:3], vcc
	s_xor_b64 s[2:3], exec, s[2:3]
; %bb.304:
	v_bfe_u32 v6, v7, 16, 1
	s_movk_i32 s4, 0x7fff
	v_add3_u32 v6, v7, v6, s4
; %bb.305:
	s_or_saveexec_b64 s[2:3], s[2:3]
	v_lshl_add_u64 v[8:9], s[0:1], 0, v[0:1]
	s_xor_b64 exec, exec, s[2:3]
; %bb.306:
	v_mov_b32_e32 v0, 0
	v_or_b32_e32 v1, 0x10000, v7
	v_cmp_eq_u32_sdwa vcc, v7, v0 src0_sel:WORD_0 src1_sel:DWORD
	s_nop 1
	v_cndmask_b32_e32 v6, v1, v7, vcc
; %bb.307:
	s_or_b64 exec, exec, s[2:3]
	s_mov_b32 s0, 0x7f800000
	v_and_b32_e32 v0, 0x7f800000, v2
	v_cmp_ne_u32_e32 vcc, s0, v0
	global_store_short_d16_hi v[8:9], v6, off offset:32
                                        ; implicit-def: $vgpr0
	s_and_saveexec_b64 s[0:1], vcc
	s_xor_b64 s[0:1], exec, s[0:1]
; %bb.308:
	v_bfe_u32 v0, v2, 16, 1
	s_movk_i32 s2, 0x7fff
	v_add3_u32 v0, v2, v0, s2
; %bb.309:
	s_andn2_saveexec_b64 s[0:1], s[0:1]
; %bb.310:
	v_mov_b32_e32 v0, 0
	v_or_b32_e32 v1, 0x10000, v2
	v_cmp_eq_u32_sdwa vcc, v2, v0 src0_sel:WORD_0 src1_sel:DWORD
	s_nop 1
	v_cndmask_b32_e32 v0, v1, v2, vcc
; %bb.311:
	s_or_b64 exec, exec, s[0:1]
	global_store_short_d16_hi v[8:9], v0, off offset:64
	s_mov_b32 s0, 0x7f800000
	v_and_b32_e32 v0, 0x7f800000, v3
	v_cmp_ne_u32_e32 vcc, s0, v0
                                        ; implicit-def: $vgpr0
	s_and_saveexec_b64 s[0:1], vcc
	s_xor_b64 s[0:1], exec, s[0:1]
; %bb.312:
	v_bfe_u32 v0, v3, 16, 1
	s_movk_i32 s2, 0x7fff
	v_add3_u32 v0, v3, v0, s2
; %bb.313:
	s_andn2_saveexec_b64 s[0:1], s[0:1]
; %bb.314:
	v_mov_b32_e32 v0, 0
	v_or_b32_e32 v1, 0x10000, v3
	v_cmp_eq_u32_sdwa vcc, v3, v0 src0_sel:WORD_0 src1_sel:DWORD
	s_nop 1
	v_cndmask_b32_e32 v0, v1, v3, vcc
; %bb.315:
	s_or_b64 exec, exec, s[0:1]
	global_store_short_d16_hi v[8:9], v0, off offset:96
	s_mov_b32 s0, 0x7f800000
	v_and_b32_e32 v0, 0x7f800000, v4
	v_cmp_ne_u32_e32 vcc, s0, v0
	;; [unrolled: 21-line block ×3, first 2 shown]
                                        ; implicit-def: $vgpr6
	s_and_saveexec_b64 s[0:1], vcc
	s_xor_b64 s[0:1], exec, s[0:1]
; %bb.320:
	v_bfe_u32 v0, v5, 16, 1
	s_movk_i32 s2, 0x7fff
	v_add3_u32 v6, v5, v0, s2
                                        ; implicit-def: $vgpr0_vgpr1_vgpr2_vgpr3_vgpr4_vgpr5
; %bb.321:
	s_andn2_saveexec_b64 s[0:1], s[0:1]
; %bb.322:
	v_mov_b32_e32 v0, 0
	v_or_b32_e32 v1, 0x10000, v5
	v_cmp_eq_u32_sdwa vcc, v5, v0 src0_sel:WORD_0 src1_sel:DWORD
	s_nop 1
	v_cndmask_b32_e32 v6, v1, v5, vcc
; %bb.323:
	s_or_b64 exec, exec, s[0:1]
	global_store_short_d16_hi v[8:9], v6, off offset:160
.LBB147_324:
	s_endpgm
.LBB147_325:
	v_mov_b32_e32 v8, 0xd0
	v_lshl_add_u32 v8, v1, 2, v8
	ds_read_b32 v8, v8
	s_waitcnt lgkmcnt(0)
	v_add_f32_e32 v6, v6, v8
	s_or_b64 exec, exec, s[6:7]
	s_and_saveexec_b64 s[6:7], s[0:1]
	s_cbranch_execz .LBB147_291
.LBB147_326:
	v_mov_b32_e32 v8, 0xd0
	v_lshl_add_u32 v8, v1, 2, v8
	ds_read_b32 v8, v8 offset:64
	s_waitcnt lgkmcnt(0)
	v_add_f32_e32 v7, v7, v8
	s_or_b64 exec, exec, s[6:7]
	s_and_saveexec_b64 s[6:7], s[0:1]
	s_cbranch_execz .LBB147_292
.LBB147_327:
	v_mov_b32_e32 v8, 0xd0
	v_lshl_add_u32 v8, v1, 2, v8
	ds_read_b32 v8, v8 offset:128
	s_waitcnt lgkmcnt(0)
	v_add_f32_e32 v2, v2, v8
	s_or_b64 exec, exec, s[6:7]
	s_and_saveexec_b64 s[6:7], s[0:1]
	s_cbranch_execz .LBB147_293
.LBB147_328:
	v_mov_b32_e32 v8, 0xd0
	v_lshl_add_u32 v8, v1, 2, v8
	ds_read_b32 v8, v8 offset:192
	s_waitcnt lgkmcnt(0)
	v_add_f32_e32 v3, v3, v8
	s_or_b64 exec, exec, s[6:7]
	s_and_saveexec_b64 s[6:7], s[0:1]
	s_cbranch_execz .LBB147_294
.LBB147_329:
	v_mov_b32_e32 v8, 0xd0
	v_lshl_add_u32 v8, v1, 2, v8
	ds_read_b32 v8, v8 offset:256
	s_waitcnt lgkmcnt(0)
	v_add_f32_e32 v4, v4, v8
	s_or_b64 exec, exec, s[6:7]
	s_and_saveexec_b64 s[6:7], s[0:1]
	s_cbranch_execnz .LBB147_295
	s_branch .LBB147_296
	.section	.rodata,"a",@progbits
	.p2align	6, 0x0
	.amdhsa_kernel _ZN4vllm25paged_attention_v1_kernelI14__hip_bfloat16S1_Li96ELi32ELi128ELNS_18Fp8KVCacheDataTypeE0ELb1EEEvPT_PKS3_PKT0_S9_ifPKiSB_iPKfiiiSD_SD_iiiii
		.amdhsa_group_segment_fixed_size 208
		.amdhsa_private_segment_fixed_size 0
		.amdhsa_kernarg_size 384
		.amdhsa_user_sgpr_count 2
		.amdhsa_user_sgpr_dispatch_ptr 0
		.amdhsa_user_sgpr_queue_ptr 0
		.amdhsa_user_sgpr_kernarg_segment_ptr 1
		.amdhsa_user_sgpr_dispatch_id 0
		.amdhsa_user_sgpr_kernarg_preload_length 0
		.amdhsa_user_sgpr_kernarg_preload_offset 0
		.amdhsa_user_sgpr_private_segment_size 0
		.amdhsa_uses_dynamic_stack 0
		.amdhsa_enable_private_segment 0
		.amdhsa_system_sgpr_workgroup_id_x 1
		.amdhsa_system_sgpr_workgroup_id_y 1
		.amdhsa_system_sgpr_workgroup_id_z 1
		.amdhsa_system_sgpr_workgroup_info 0
		.amdhsa_system_vgpr_workitem_id 0
		.amdhsa_next_free_vgpr 110
		.amdhsa_next_free_sgpr 45
		.amdhsa_accum_offset 112
		.amdhsa_reserve_vcc 1
		.amdhsa_float_round_mode_32 0
		.amdhsa_float_round_mode_16_64 0
		.amdhsa_float_denorm_mode_32 3
		.amdhsa_float_denorm_mode_16_64 3
		.amdhsa_dx10_clamp 1
		.amdhsa_ieee_mode 1
		.amdhsa_fp16_overflow 0
		.amdhsa_tg_split 0
		.amdhsa_exception_fp_ieee_invalid_op 0
		.amdhsa_exception_fp_denorm_src 0
		.amdhsa_exception_fp_ieee_div_zero 0
		.amdhsa_exception_fp_ieee_overflow 0
		.amdhsa_exception_fp_ieee_underflow 0
		.amdhsa_exception_fp_ieee_inexact 0
		.amdhsa_exception_int_div_zero 0
	.end_amdhsa_kernel
	.section	.text._ZN4vllm25paged_attention_v1_kernelI14__hip_bfloat16S1_Li96ELi32ELi128ELNS_18Fp8KVCacheDataTypeE0ELb1EEEvPT_PKS3_PKT0_S9_ifPKiSB_iPKfiiiSD_SD_iiiii,"axG",@progbits,_ZN4vllm25paged_attention_v1_kernelI14__hip_bfloat16S1_Li96ELi32ELi128ELNS_18Fp8KVCacheDataTypeE0ELb1EEEvPT_PKS3_PKT0_S9_ifPKiSB_iPKfiiiSD_SD_iiiii,comdat
.Lfunc_end147:
	.size	_ZN4vllm25paged_attention_v1_kernelI14__hip_bfloat16S1_Li96ELi32ELi128ELNS_18Fp8KVCacheDataTypeE0ELb1EEEvPT_PKS3_PKT0_S9_ifPKiSB_iPKfiiiSD_SD_iiiii, .Lfunc_end147-_ZN4vllm25paged_attention_v1_kernelI14__hip_bfloat16S1_Li96ELi32ELi128ELNS_18Fp8KVCacheDataTypeE0ELb1EEEvPT_PKS3_PKT0_S9_ifPKiSB_iPKfiiiSD_SD_iiiii
                                        ; -- End function
	.section	.AMDGPU.csdata,"",@progbits
; Kernel info:
; codeLenInByte = 11988
; NumSgprs: 51
; NumVgprs: 110
; NumAgprs: 0
; TotalNumVgprs: 110
; ScratchSize: 0
; MemoryBound: 0
; FloatMode: 240
; IeeeMode: 1
; LDSByteSize: 208 bytes/workgroup (compile time only)
; SGPRBlocks: 6
; VGPRBlocks: 13
; NumSGPRsForWavesPerEU: 51
; NumVGPRsForWavesPerEU: 110
; AccumOffset: 112
; Occupancy: 4
; WaveLimiterHint : 1
; COMPUTE_PGM_RSRC2:SCRATCH_EN: 0
; COMPUTE_PGM_RSRC2:USER_SGPR: 2
; COMPUTE_PGM_RSRC2:TRAP_HANDLER: 0
; COMPUTE_PGM_RSRC2:TGID_X_EN: 1
; COMPUTE_PGM_RSRC2:TGID_Y_EN: 1
; COMPUTE_PGM_RSRC2:TGID_Z_EN: 1
; COMPUTE_PGM_RSRC2:TIDIG_COMP_CNT: 0
; COMPUTE_PGM_RSRC3_GFX90A:ACCUM_OFFSET: 27
; COMPUTE_PGM_RSRC3_GFX90A:TG_SPLIT: 0
	.section	.text._ZN4vllm25paged_attention_v1_kernelI14__hip_bfloat16S1_Li112ELi32ELi128ELNS_18Fp8KVCacheDataTypeE0ELb1EEEvPT_PKS3_PKT0_S9_ifPKiSB_iPKfiiiSD_SD_iiiii,"axG",@progbits,_ZN4vllm25paged_attention_v1_kernelI14__hip_bfloat16S1_Li112ELi32ELi128ELNS_18Fp8KVCacheDataTypeE0ELb1EEEvPT_PKS3_PKT0_S9_ifPKiSB_iPKfiiiSD_SD_iiiii,comdat
	.protected	_ZN4vllm25paged_attention_v1_kernelI14__hip_bfloat16S1_Li112ELi32ELi128ELNS_18Fp8KVCacheDataTypeE0ELb1EEEvPT_PKS3_PKT0_S9_ifPKiSB_iPKfiiiSD_SD_iiiii ; -- Begin function _ZN4vllm25paged_attention_v1_kernelI14__hip_bfloat16S1_Li112ELi32ELi128ELNS_18Fp8KVCacheDataTypeE0ELb1EEEvPT_PKS3_PKT0_S9_ifPKiSB_iPKfiiiSD_SD_iiiii
	.globl	_ZN4vllm25paged_attention_v1_kernelI14__hip_bfloat16S1_Li112ELi32ELi128ELNS_18Fp8KVCacheDataTypeE0ELb1EEEvPT_PKS3_PKT0_S9_ifPKiSB_iPKfiiiSD_SD_iiiii
	.p2align	8
	.type	_ZN4vllm25paged_attention_v1_kernelI14__hip_bfloat16S1_Li112ELi32ELi128ELNS_18Fp8KVCacheDataTypeE0ELb1EEEvPT_PKS3_PKT0_S9_ifPKiSB_iPKfiiiSD_SD_iiiii,@function
_ZN4vllm25paged_attention_v1_kernelI14__hip_bfloat16S1_Li112ELi32ELi128ELNS_18Fp8KVCacheDataTypeE0ELb1EEEvPT_PKS3_PKT0_S9_ifPKiSB_iPKfiiiSD_SD_iiiii: ; @_ZN4vllm25paged_attention_v1_kernelI14__hip_bfloat16S1_Li112ELi32ELi128ELNS_18Fp8KVCacheDataTypeE0ELb1EEEvPT_PKS3_PKT0_S9_ifPKiSB_iPKfiiiSD_SD_iiiii
; %bb.0:
	s_load_dword s5, s[0:1], 0x80
	s_load_dwordx2 s[6:7], s[0:1], 0x30
	s_load_dwordx2 s[30:31], s[0:1], 0x20
	s_mov_b32 s10, s3
	s_ashr_i32 s11, s3, 31
	s_lshl_b64 s[8:9], s[10:11], 2
	s_waitcnt lgkmcnt(0)
	s_add_u32 s6, s6, s8
	s_addc_u32 s7, s7, s9
	s_abs_i32 s3, s30
	v_cvt_f32_u32_e32 v1, s3
	s_sub_i32 s11, 0, s3
	s_abs_i32 s9, s5
	s_xor_b32 s8, s5, s30
	v_rcp_iflag_f32_e32 v1, v1
	s_ashr_i32 s8, s8, 31
	s_mov_b32 s42, 0
	v_mul_f32_e32 v1, 0x4f7ffffe, v1
	v_cvt_u32_f32_e32 v1, v1
	s_nop 0
	v_readfirstlane_b32 s12, v1
	s_mul_i32 s11, s11, s12
	s_mul_hi_u32 s11, s12, s11
	s_add_i32 s12, s12, s11
	s_mul_hi_u32 s11, s9, s12
	s_mul_i32 s12, s11, s3
	s_sub_i32 s9, s9, s12
	s_add_i32 s12, s11, 1
	s_sub_i32 s13, s9, s3
	s_cmp_ge_u32 s9, s3
	s_cselect_b32 s11, s12, s11
	s_cselect_b32 s9, s13, s9
	s_add_i32 s12, s11, 1
	s_cmp_ge_u32 s9, s3
	s_cselect_b32 s3, s12, s11
	s_xor_b32 s3, s3, s8
	s_sub_i32 s12, s3, s8
	s_abs_i32 s11, s12
	v_cvt_f32_u32_e32 v1, s11
	s_load_dwordx2 s[8:9], s[0:1], 0x40
	s_sub_i32 s3, 0, s11
	s_abs_i32 s22, s2
	v_rcp_iflag_f32_e32 v1, v1
	s_nop 0
	v_mul_f32_e32 v1, 0x4f7ffffe, v1
	v_cvt_u32_f32_e32 v1, v1
	s_nop 0
	v_readfirstlane_b32 s13, v1
	s_mul_i32 s3, s3, s13
	s_mul_hi_u32 s3, s13, s3
	s_add_i32 s13, s13, s3
	s_waitcnt lgkmcnt(0)
	s_cmp_eq_u64 s[8:9], 0
	s_mul_hi_u32 s23, s22, s13
	s_cbranch_scc1 .LBB148_2
; %bb.1:
	s_ashr_i32 s3, s2, 31
	s_lshl_b64 s[14:15], s[2:3], 2
	s_add_u32 s8, s8, s14
	s_addc_u32 s9, s9, s15
	s_load_dword s42, s[8:9], 0x0
.LBB148_2:
	s_load_dword s33, s[6:7], 0x0
	s_ashr_i32 s9, s12, 31
	s_load_dwordx4 s[12:15], s[0:1], 0x48
	s_ashr_i32 s3, s2, 31
	v_and_b32_e32 v2, 1, v0
	s_movk_i32 s8, 0x70
	s_mul_i32 s20, s2, 0x70
	v_cmp_gt_u32_e32 vcc, 28, v0
	v_lshlrev_b32_e32 v57, 3, v0
	s_and_saveexec_b64 s[6:7], vcc
	s_cbranch_execz .LBB148_4
; %bb.3:
	s_load_dwordx2 s[16:17], s[0:1], 0x8
	s_waitcnt lgkmcnt(0)
	s_mul_i32 s18, s10, s12
	s_ashr_i32 s19, s18, 31
	s_lshl_b64 s[18:19], s[18:19], 1
	v_lshlrev_b32_e32 v1, 2, v0
	s_add_u32 s12, s16, s18
	s_addc_u32 s15, s17, s19
	s_ashr_i32 s21, s20, 31
	s_lshl_b64 s[16:17], s[20:21], 1
	s_add_u32 s16, s12, s16
	s_addc_u32 s17, s15, s17
	global_load_dwordx2 v[4:5], v57, s[16:17]
	v_and_b32_e32 v1, 0xff8, v1
	v_mad_u32_u24 v1, v2, s8, v1
	s_waitcnt vmcnt(0)
	ds_write_b64 v1, v[4:5]
.LBB148_4:
	s_or_b64 exec, exec, s[6:7]
	s_mul_i32 s6, s23, s11
	s_sub_i32 s6, s22, s6
	s_xor_b32 s3, s3, s9
	s_add_i32 s7, s23, 1
	s_sub_i32 s9, s6, s11
	s_load_dwordx4 s[16:19], s[0:1], 0x68
	s_load_dword s8, s[0:1], 0x78
	s_cmp_ge_u32 s6, s11
	s_cselect_b32 s7, s7, s23
	s_cselect_b32 s6, s9, s6
	s_add_i32 s9, s7, 1
	s_cmp_ge_u32 s6, s11
	s_cselect_b32 s6, s9, s7
	s_waitcnt lgkmcnt(0)
	s_abs_i32 s21, s19
	v_cvt_f32_u32_e32 v1, s21
	s_xor_b32 s6, s6, s3
	s_sub_i32 s3, s6, s3
	s_sub_i32 s6, 0, s21
	v_rcp_iflag_f32_e32 v1, v1
	s_add_i32 s11, s33, -1
	s_abs_i32 s9, s11
	v_mul_f32_e32 v1, 0x4f7ffffe, v1
	v_cvt_u32_f32_e32 v1, v1
	s_barrier
	v_readfirstlane_b32 s40, v1
	s_mul_i32 s6, s6, s40
	s_mul_hi_u32 s6, s40, s6
	s_add_i32 s40, s40, s6
	s_cmp_lt_i32 s8, 0
	s_mul_hi_u32 s12, s9, s40
	s_cbranch_scc0 .LBB148_6
; %bb.5:
	s_mul_i32 s6, s16, s30
	s_add_i32 s6, s3, s6
	s_mul_i32 s6, s6, s8
	s_sub_i32 s41, 1, s6
	s_mov_b64 s[6:7], 0
	s_branch .LBB148_7
.LBB148_6:
	s_mov_b64 s[6:7], -1
                                        ; implicit-def: $sgpr41
.LBB148_7:
	s_load_dwordx2 s[24:25], s[0:1], 0x28
	s_ashr_i32 s15, s11, 31
	s_andn2_b64 vcc, exec, s[6:7]
	s_ashr_i32 s19, s19, 31
	s_cbranch_vccnz .LBB148_9
; %bb.8:
	s_mul_i32 s6, s5, s16
	s_add_i32 s2, s6, s2
	s_mul_i32 s2, s2, s8
	s_add_i32 s41, s2, 1
.LBB148_9:
	s_load_dword s2, s[0:1], 0x38
	s_load_dwordx2 s[22:23], s[0:1], 0x0
	s_load_dwordx2 s[28:29], s[0:1], 0x18
	s_load_dword s11, s[0:1], 0x88
	s_xor_b32 s6, s15, s19
	s_waitcnt lgkmcnt(0)
	s_mul_i32 s26, s10, s2
	s_mul_i32 s2, s12, s21
	s_sub_i32 s2, s9, s2
	s_ashr_i32 s27, s26, 31
	s_add_i32 s7, s12, 1
	s_sub_i32 s8, s2, s21
	s_cmp_ge_u32 s2, s21
	s_cselect_b32 s7, s7, s12
	s_cselect_b32 s2, s8, s2
	s_add_i32 s8, s7, 1
	s_cmp_ge_u32 s2, s21
	s_cselect_b32 s2, s8, s7
	s_xor_b32 s2, s2, s6
	s_sub_i32 s12, s2, s6
	s_add_i32 s2, s33, 31
	s_ashr_i32 s6, s2, 31
	s_lshr_b32 s6, s6, 27
	s_add_i32 s2, s2, s6
	s_ashr_i32 s16, s2, 5
	v_lshrrev_b32_e32 v1, 6, v0
	v_cmp_gt_i32_e64 s[6:7], s16, v1
	v_mov_b32_e32 v62, 0xff7fffff
	s_mul_i32 s14, s3, s14
	v_lshrrev_b32_e32 v58, 4, v0
	v_lshlrev_b32_e32 v56, 5, v1
	v_mbcnt_lo_u32_b32 v59, -1, 0
	s_and_saveexec_b64 s[34:35], s[6:7]
	s_cbranch_execz .LBB148_19
; %bb.10:
	s_load_dwordx2 s[0:1], s[0:1], 0x10
	s_ashr_i32 s15, s14, 31
	s_sub_i32 s30, s12, s17
	s_lshl_b64 s[2:3], s[14:15], 1
	v_bfe_u32 v60, v0, 1, 5
	s_waitcnt lgkmcnt(0)
	s_add_u32 s0, s0, s2
	s_addc_u32 s1, s1, s3
	s_abs_i32 s15, s18
	v_cvt_f32_u32_e32 v3, s15
	v_lshlrev_b32_e32 v4, 4, v60
	v_mov_b32_e32 v5, 0
	v_lshl_add_u64 v[6:7], s[0:1], 0, v[4:5]
	v_rcp_iflag_f32_e32 v3, v3
	s_sub_i32 s0, 0, s15
	v_cmp_eq_u32_e32 vcc, 0, v2
	v_mul_u32_u24_e32 v61, 0x70, v2
	v_mul_f32_e32 v3, 0x4f7ffffe, v3
	v_cvt_u32_f32_e32 v3, v3
	v_and_b32_e32 v4, 8, v57
	v_mbcnt_hi_u32_b32 v68, -1, v59
	v_lshl_add_u64 v[30:31], v[6:7], 0, v[4:5]
	v_mul_lo_u32 v2, s0, v3
	v_mul_hi_u32 v2, v3, v2
	v_add_u32_e32 v63, v3, v2
	v_lshlrev_b32_e32 v2, 2, v60
	s_lshl_b64 s[0:1], s[26:27], 2
	v_lshl_or_b32 v2, v1, 7, v2
	s_add_u32 s0, s24, s0
	v_add_u32_e32 v65, 0xf0, v2
	v_subrev_u32_e32 v2, s33, v60
	v_and_b32_e32 v4, 60, v58
	s_addc_u32 s1, s25, s1
	v_add_u32_e32 v66, 1, v2
	v_and_b32_e32 v2, 64, v68
	s_mov_b32 s43, s13
	v_cmp_neq_f32_e64 s[2:3], s42, 0
	v_lshl_add_u64 v[32:33], s[0:1], 0, v[4:5]
	v_lshlrev_b32_e32 v64, 5, v1
	s_mov_b64 s[36:37], 0
	v_mov_b32_e32 v67, 0xff7fffff
	s_movk_i32 s44, 0x1000
	v_xor_b32_e32 v69, 1, v68
	v_add_u32_e32 v70, 64, v2
	v_mov_b32_e32 v62, 0xff7fffff
	v_mov_b32_e32 v71, v1
	s_branch .LBB148_13
.LBB148_11:                             ;   in Loop: Header=BB148_13 Depth=1
	s_or_b64 exec, exec, s[38:39]
.LBB148_12:                             ;   in Loop: Header=BB148_13 Depth=1
	s_or_b64 exec, exec, s[8:9]
	v_add_u32_e32 v71, 2, v71
	v_cmp_le_i32_e64 s[0:1], s16, v71
	v_lshl_add_u64 v[32:33], v[32:33], 0, 8
	v_add_u32_e32 v64, 64, v64
	s_or_b64 s[36:37], s[0:1], s[36:37]
	v_add_u32_e32 v65, 0x100, v65
	s_andn2_b64 exec, exec, s[36:37]
	s_cbranch_execz .LBB148_18
.LBB148_13:                             ; =>This Inner Loop Header: Depth=1
	v_mul_hi_u32 v2, v64, s40
	s_waitcnt lgkmcnt(0)
	v_mul_lo_u32 v3, v2, s21
	v_sub_u32_e32 v3, v64, v3
	v_add_u32_e32 v4, 1, v2
	v_cmp_le_u32_e64 s[0:1], s21, v3
	s_nop 1
	v_cndmask_b32_e64 v2, v2, v4, s[0:1]
	v_subrev_u32_e32 v4, s21, v3
	v_cndmask_b32_e64 v3, v3, v4, s[0:1]
	v_add_u32_e32 v4, 1, v2
	v_cmp_le_u32_e64 s[0:1], s21, v3
	s_nop 1
	v_cndmask_b32_e64 v2, v2, v4, s[0:1]
	v_xor_b32_e32 v2, s19, v2
	v_subrev_u32_e32 v2, s19, v2
	v_add_u32_e32 v3, s41, v2
	v_sub_u32_e32 v5, 0, v3
	v_ashrrev_i32_e32 v4, 31, v3
	v_max_i32_e32 v3, v3, v5
	v_mul_hi_u32 v5, v3, v63
	v_mul_lo_u32 v5, v5, s15
	v_sub_u32_e32 v3, v3, v5
	v_subrev_u32_e32 v5, s15, v3
	v_cmp_le_u32_e64 s[0:1], s15, v3
	v_cmp_ge_i32_e64 s[8:9], s30, v2
	s_nop 0
	v_cndmask_b32_e64 v3, v3, v5, s[0:1]
	v_subrev_u32_e32 v5, s15, v3
	v_cmp_le_u32_e64 s[0:1], s15, v3
	s_nop 1
	v_cndmask_b32_e64 v3, v3, v5, s[0:1]
	v_xor_b32_e32 v3, v3, v4
	v_sub_u32_e32 v3, v3, v4
	v_cmp_ne_u32_e64 s[0:1], 0, v3
	s_and_b64 s[0:1], s[0:1], s[8:9]
	s_and_b64 s[38:39], vcc, s[0:1]
	s_and_saveexec_b64 s[8:9], s[38:39]
	s_cbranch_execz .LBB148_15
; %bb.14:                               ;   in Loop: Header=BB148_13 Depth=1
	ds_write_b32 v65, v67
.LBB148_15:                             ;   in Loop: Header=BB148_13 Depth=1
	s_or_b64 exec, exec, s[8:9]
	s_xor_b64 s[0:1], s[0:1], -1
	s_and_saveexec_b64 s[8:9], s[0:1]
	s_cbranch_execz .LBB148_12
; %bb.16:                               ;   in Loop: Header=BB148_13 Depth=1
	global_load_dword v2, v[32:33], off
	s_waitcnt vmcnt(0)
	v_mad_i64_i32 v[2:3], s[0:1], v2, s43, 0
	v_lshl_add_u64 v[36:37], v[2:3], 1, v[30:31]
	global_load_dwordx2 v[34:35], v[36:37], off offset:1024
	global_load_dwordx2 v[38:39], v[36:37], off offset:1536
	;; [unrolled: 1-line block ×3, first 2 shown]
	global_load_dwordx2 v[42:43], v[36:37], off
	ds_read_b128 v[26:29], v61
	ds_read_b128 v[22:25], v61 offset:16
	ds_read_b128 v[18:21], v61 offset:32
	;; [unrolled: 1-line block ×6, first 2 shown]
	global_load_dwordx2 v[46:47], v[36:37], off offset:2048
	global_load_dwordx2 v[48:49], v[36:37], off offset:2560
	;; [unrolled: 1-line block ×4, first 2 shown]
	v_cmp_lt_i32_e64 s[0:1], v69, v70
	s_waitcnt lgkmcnt(6)
	v_lshlrev_b32_e32 v73, 16, v26
	v_lshlrev_b32_e32 v74, 16, v27
	v_cndmask_b32_e64 v44, v68, v69, s[0:1]
	v_add_co_u32_e64 v54, s[0:1], s44, v36
	v_lshlrev_b32_e32 v72, 2, v44
	s_nop 0
	v_addc_co_u32_e64 v55, s[0:1], 0, v37, s[0:1]
	global_load_dwordx2 v[36:37], v[54:55], off
	global_load_dwordx2 v[44:45], v[54:55], off offset:512
	v_and_b32_e32 v97, 0xffff0000, v26
	v_and_b32_e32 v98, 0xffff0000, v27
	global_load_dwordx2 v[26:27], v[54:55], off offset:1024
	v_lshlrev_b32_e32 v75, 16, v28
	s_waitcnt lgkmcnt(5)
	v_lshlrev_b32_e32 v77, 16, v22
	v_lshlrev_b32_e32 v78, 16, v23
	s_waitcnt lgkmcnt(1)
	v_lshlrev_b32_e32 v93, 16, v6
	v_and_b32_e32 v99, 0xffff0000, v22
	v_and_b32_e32 v100, 0xffff0000, v23
	global_load_dwordx2 v[22:23], v[54:55], off offset:1536
	v_and_b32_e32 v101, 0xffff0000, v6
	v_lshlrev_b32_e32 v94, 16, v7
	v_and_b32_e32 v102, 0xffff0000, v7
	v_lshlrev_b32_e32 v76, 16, v29
	v_and_b32_e32 v28, 0xffff0000, v28
	s_waitcnt lgkmcnt(0)
	v_lshlrev_b32_e32 v105, 16, v2
	v_lshlrev_b32_e32 v107, 16, v3
	v_and_b32_e32 v29, 0xffff0000, v29
	v_lshlrev_b32_e32 v79, 16, v24
	v_and_b32_e32 v24, 0xffff0000, v24
	v_lshlrev_b32_e32 v80, 16, v25
	v_lshlrev_b32_e32 v81, 16, v18
	v_and_b32_e32 v18, 0xffff0000, v18
	v_lshlrev_b32_e32 v82, 16, v19
	v_lshlrev_b32_e32 v83, 16, v20
	v_and_b32_e32 v25, 0xffff0000, v25
	v_and_b32_e32 v20, 0xffff0000, v20
	v_lshlrev_b32_e32 v84, 16, v21
	v_lshlrev_b32_e32 v85, 16, v14
	v_and_b32_e32 v19, 0xffff0000, v19
	;; [unrolled: 4-line block ×5, first 2 shown]
	v_and_b32_e32 v12, 0xffff0000, v12
	v_lshlrev_b32_e32 v92, 16, v13
	v_and_b32_e32 v11, 0xffff0000, v11
	v_lshlrev_b32_e32 v95, 16, v8
	v_and_b32_e32 v13, 0xffff0000, v13
	v_and_b32_e32 v8, 0xffff0000, v8
	v_lshlrev_b32_e32 v96, 16, v9
	v_and_b32_e32 v9, 0xffff0000, v9
	s_waitcnt vmcnt(11)
	v_lshlrev_b32_e32 v106, 16, v34
	v_and_b32_e32 v34, 0xffff0000, v34
	s_waitcnt vmcnt(9)
	v_lshlrev_b32_e32 v6, 16, v40
	s_waitcnt vmcnt(8)
	v_lshlrev_b32_e32 v7, 16, v42
	v_mul_f32_e32 v75, v75, v6
	v_lshlrev_b32_e32 v104, 16, v41
	v_fmac_f32_e32 v75, v73, v7
	global_load_dwordx2 v[6:7], v[54:55], off offset:2048
	v_and_b32_e32 v40, 0xffff0000, v40
	v_lshlrev_b32_e32 v103, 16, v43
	v_mul_f32_e32 v76, v76, v104
	v_mul_f32_e32 v28, v28, v40
	v_and_b32_e32 v40, 0xffff0000, v2
	v_fmac_f32_e32 v76, v74, v103
	v_and_b32_e32 v74, 0xffff0000, v3
	global_load_dwordx2 v[2:3], v[54:55], off offset:2560
	v_and_b32_e32 v42, 0xffff0000, v42
	v_and_b32_e32 v41, 0xffff0000, v41
	v_fmac_f32_e32 v28, v97, v42
	v_and_b32_e32 v43, 0xffff0000, v43
	v_lshlrev_b32_e32 v73, 16, v35
	v_lshlrev_b32_e32 v104, 16, v38
	v_and_b32_e32 v38, 0xffff0000, v38
	v_mul_f32_e32 v29, v29, v41
	v_fmac_f32_e32 v28, v99, v34
	v_and_b32_e32 v35, 0xffff0000, v35
	v_lshlrev_b32_e32 v42, 16, v39
	v_fmac_f32_e32 v29, v98, v43
	s_waitcnt vmcnt(9)
	v_and_b32_e32 v43, 0xffff0000, v46
	v_fmac_f32_e32 v76, v78, v73
	v_fmac_f32_e32 v28, v24, v38
	v_and_b32_e32 v39, 0xffff0000, v39
	v_lshlrev_b32_e32 v41, 16, v46
	v_lshlrev_b32_e32 v46, 16, v47
	s_waitcnt vmcnt(8)
	v_lshlrev_b32_e32 v54, 16, v48
	v_fmac_f32_e32 v75, v77, v106
	v_and_b32_e32 v48, 0xffff0000, v48
	v_fmac_f32_e32 v29, v100, v35
	v_fmac_f32_e32 v76, v80, v42
	v_fmac_f32_e32 v28, v18, v43
	v_and_b32_e32 v47, 0xffff0000, v47
	v_lshlrev_b32_e32 v55, 16, v49
	s_waitcnt vmcnt(7)
	v_and_b32_e32 v34, 0xffff0000, v50
	v_fmac_f32_e32 v75, v79, v104
	v_fmac_f32_e32 v29, v25, v39
	v_fmac_f32_e32 v76, v82, v46
	v_fmac_f32_e32 v28, v20, v48
	v_and_b32_e32 v49, 0xffff0000, v49
	v_lshlrev_b32_e32 v77, 16, v50
	v_lshlrev_b32_e32 v50, 16, v51
	s_waitcnt vmcnt(6)
	v_lshlrev_b32_e32 v97, 16, v52
	v_and_b32_e32 v52, 0xffff0000, v52
	v_fmac_f32_e32 v75, v81, v41
	v_fmac_f32_e32 v29, v19, v47
	v_fmac_f32_e32 v76, v84, v55
	v_fmac_f32_e32 v28, v14, v34
	v_and_b32_e32 v51, 0xffff0000, v51
	v_lshlrev_b32_e32 v73, 16, v53
	s_waitcnt vmcnt(5)
	v_and_b32_e32 v35, 0xffff0000, v36
	v_fmac_f32_e32 v75, v83, v54
	v_fmac_f32_e32 v29, v21, v49
	v_fmac_f32_e32 v76, v86, v50
	v_fmac_f32_e32 v28, v16, v52
	v_and_b32_e32 v53, 0xffff0000, v53
	v_lshlrev_b32_e32 v78, 16, v36
	v_lshlrev_b32_e32 v36, 16, v37
	s_waitcnt vmcnt(4)
	v_lshlrev_b32_e32 v98, 16, v44
	v_and_b32_e32 v44, 0xffff0000, v44
	v_fmac_f32_e32 v75, v85, v77
	;; [unrolled: 18-line block ×3, first 2 shown]
	v_fmac_f32_e32 v29, v11, v37
	v_fmac_f32_e32 v76, v92, v79
	;; [unrolled: 1-line block ×3, first 2 shown]
	v_and_b32_e32 v27, 0xffff0000, v27
	v_fmac_f32_e32 v75, v91, v98
	v_fmac_f32_e32 v29, v13, v45
	;; [unrolled: 1-line block ×4, first 2 shown]
	v_lshlrev_b32_e32 v8, 16, v23
	v_fmac_f32_e32 v75, v93, v99
	v_fmac_f32_e32 v29, v102, v27
	v_and_b32_e32 v10, 0xffff0000, v23
	v_fmac_f32_e32 v76, v96, v8
	s_waitcnt vmcnt(1)
	v_lshlrev_b32_e32 v8, 16, v6
	v_and_b32_e32 v6, 0xffff0000, v6
	v_fmac_f32_e32 v75, v95, v38
	v_fmac_f32_e32 v29, v9, v10
	;; [unrolled: 1-line block ×3, first 2 shown]
	v_lshlrev_b32_e32 v6, 16, v7
	v_and_b32_e32 v7, 0xffff0000, v7
	v_fmac_f32_e32 v75, v105, v8
	v_fmac_f32_e32 v76, v107, v6
	;; [unrolled: 1-line block ×3, first 2 shown]
	v_lshlrev_b32_e32 v6, 16, v4
	v_and_b32_e32 v4, 0xffff0000, v4
	s_waitcnt vmcnt(0)
	v_lshlrev_b32_e32 v7, 16, v2
	v_and_b32_e32 v2, 0xffff0000, v2
	v_fmac_f32_e32 v75, v7, v6
	v_fmac_f32_e32 v28, v2, v4
	v_lshlrev_b32_e32 v2, 16, v5
	v_and_b32_e32 v4, 0xffff0000, v5
	v_lshlrev_b32_e32 v5, 16, v3
	v_and_b32_e32 v3, 0xffff0000, v3
	v_fmac_f32_e32 v76, v5, v2
	v_add_f32_e32 v2, v75, v28
	v_fmac_f32_e32 v29, v3, v4
	v_add_f32_e32 v2, v2, v76
	v_add_f32_e32 v2, v29, v2
	ds_bpermute_b32 v3, v72, v2
	s_and_saveexec_b64 s[38:39], vcc
	s_cbranch_execz .LBB148_11
; %bb.17:                               ;   in Loop: Header=BB148_13 Depth=1
	v_add_u32_e32 v4, v66, v64
	v_cvt_f32_i32_e32 v4, v4
	s_waitcnt lgkmcnt(0)
	v_add_f32_e32 v2, v2, v3
	v_add_u32_e32 v5, v60, v64
	v_cmp_gt_i32_e64 s[0:1], s33, v5
	v_mul_f32_e32 v3, s42, v4
	v_cndmask_b32_e64 v3, 0, v3, s[2:3]
	v_fmac_f32_e32 v3, s31, v2
	v_cndmask_b32_e64 v2, 0, v3, s[0:1]
	ds_write_b32 v65, v2
	v_max_f32_e32 v2, v62, v62
	v_max_f32_e32 v2, v2, v3
	v_cndmask_b32_e64 v62, v62, v2, s[0:1]
	s_branch .LBB148_11
.LBB148_18:
	s_or_b64 exec, exec, s[36:37]
.LBB148_19:
	s_or_b64 exec, exec, s[34:35]
	v_mbcnt_hi_u32_b32 v8, -1, v59
	v_and_b32_e32 v2, 64, v8
	v_add_u32_e32 v9, 64, v2
	v_xor_b32_e32 v2, 32, v8
	v_cmp_lt_i32_e32 vcc, v2, v9
	v_xor_b32_e32 v5, 16, v8
	v_max_f32_e32 v4, v62, v62
	v_cndmask_b32_e32 v2, v8, v2, vcc
	v_lshlrev_b32_e32 v2, 2, v2
	s_waitcnt lgkmcnt(0)
	ds_bpermute_b32 v3, v2, v62
	v_cmp_lt_i32_e32 vcc, v5, v9
	v_xor_b32_e32 v6, 8, v8
	v_xor_b32_e32 v7, 4, v8
	;; [unrolled: 1-line block ×3, first 2 shown]
	s_waitcnt lgkmcnt(0)
	v_max_f32_e32 v3, v3, v3
	v_max_f32_e32 v4, v4, v3
	v_cndmask_b32_e32 v3, v8, v5, vcc
	v_lshlrev_b32_e32 v3, 2, v3
	ds_bpermute_b32 v5, v3, v4
	v_cmp_lt_i32_e32 vcc, v6, v9
	v_and_b32_e32 v26, 63, v0
	s_waitcnt lgkmcnt(0)
	v_max_f32_e32 v5, v5, v5
	v_max_f32_e32 v5, v4, v5
	v_cndmask_b32_e32 v4, v8, v6, vcc
	v_lshlrev_b32_e32 v4, 2, v4
	ds_bpermute_b32 v6, v4, v5
	v_cmp_lt_i32_e32 vcc, v7, v9
	s_waitcnt lgkmcnt(0)
	v_max_f32_e32 v6, v6, v6
	v_max_f32_e32 v6, v5, v6
	v_cndmask_b32_e32 v5, v8, v7, vcc
	v_lshlrev_b32_e32 v5, 2, v5
	ds_bpermute_b32 v7, v5, v6
	v_cmp_lt_i32_e32 vcc, v10, v9
	s_waitcnt lgkmcnt(0)
	v_max_f32_e32 v7, v7, v7
	v_max_f32_e32 v7, v6, v7
	v_cndmask_b32_e32 v6, v8, v10, vcc
	v_lshlrev_b32_e32 v27, 2, v6
	ds_bpermute_b32 v10, v27, v7
	v_cmp_eq_u32_e32 vcc, 0, v26
	v_lshlrev_b32_e32 v6, 2, v1
	s_and_saveexec_b64 s[0:1], vcc
	s_cbranch_execz .LBB148_21
; %bb.20:
	s_waitcnt lgkmcnt(0)
	v_max_f32_e32 v10, v10, v10
	v_max_f32_e32 v7, v7, v7
	;; [unrolled: 1-line block ×3, first 2 shown]
	ds_write_b32 v6, v7 offset:224
.LBB148_21:
	s_or_b64 exec, exec, s[0:1]
	v_cmp_gt_u32_e64 s[0:1], 2, v26
	s_waitcnt lgkmcnt(0)
	v_mov_b32_e32 v10, 0xff7fffff
	v_lshlrev_b32_e32 v7, 2, v26
	s_barrier
	s_and_saveexec_b64 s[2:3], s[0:1]
	s_cbranch_execz .LBB148_23
; %bb.22:
	ds_read_b32 v10, v7 offset:224
.LBB148_23:
	s_or_b64 exec, exec, s[2:3]
	v_xor_b32_e32 v11, 1, v8
	v_cmp_lt_i32_e64 s[2:3], v11, v9
	s_nop 1
	v_cndmask_b32_e64 v9, v8, v11, s[2:3]
	v_lshlrev_b32_e32 v28, 2, v9
	s_waitcnt lgkmcnt(0)
	ds_bpermute_b32 v9, v28, v10
	v_max_f32_e32 v10, v10, v10
	v_lshlrev_b32_e32 v8, 2, v8
	v_and_b32_e32 v8, 0x100, v8
	s_lshl_b32 s2, s16, 5
	s_waitcnt lgkmcnt(0)
	v_max_f32_e32 v9, v9, v9
	v_max_f32_e32 v9, v10, v9
	ds_bpermute_b32 v10, v8, v9
	s_min_i32 s15, s2, s33
	v_cmp_gt_i32_e64 s[2:3], s15, v0
	v_mov_b32_e32 v9, 0
	s_and_saveexec_b64 s[30:31], s[2:3]
	s_cbranch_execz .LBB148_27
; %bb.24:
	v_mov_b32_e32 v9, 0xf0
	v_lshl_add_u32 v11, v0, 2, v9
	s_mov_b64 s[34:35], 0
	v_mov_b32_e32 v9, 0
	v_mov_b32_e32 v12, v0
.LBB148_25:                             ; =>This Inner Loop Header: Depth=1
	ds_read_b32 v13, v11
	v_add_u32_e32 v12, 0x80, v12
	v_cmp_le_i32_e64 s[8:9], s15, v12
	s_or_b64 s[34:35], s[8:9], s[34:35]
	s_waitcnt lgkmcnt(0)
	v_sub_f32_e32 v13, v13, v10
	v_mul_f32_e32 v13, 0x3fb8aa3b, v13
	v_exp_f32_e32 v13, v13
	ds_write_b32 v11, v13
	v_add_f32_e32 v9, v9, v13
	v_add_u32_e32 v11, 0x200, v11
	s_andn2_b64 exec, exec, s[34:35]
	s_cbranch_execnz .LBB148_25
; %bb.26:
	s_or_b64 exec, exec, s[34:35]
.LBB148_27:
	s_or_b64 exec, exec, s[30:31]
	ds_bpermute_b32 v2, v2, v9
	s_waitcnt lgkmcnt(0)
	v_add_f32_e32 v2, v9, v2
	ds_bpermute_b32 v3, v3, v2
	s_waitcnt lgkmcnt(0)
	v_add_f32_e32 v2, v2, v3
	;; [unrolled: 3-line block ×6, first 2 shown]
	s_and_saveexec_b64 s[8:9], vcc
	s_cbranch_execz .LBB148_29
; %bb.28:
	ds_write_b32 v6, v2 offset:232
.LBB148_29:
	s_or_b64 exec, exec, s[8:9]
	s_waitcnt lgkmcnt(0)
	s_barrier
	s_and_saveexec_b64 s[8:9], s[0:1]
	s_cbranch_execz .LBB148_31
; %bb.30:
	ds_read_b32 v2, v7 offset:232
.LBB148_31:
	s_or_b64 exec, exec, s[8:9]
	s_waitcnt lgkmcnt(0)
	ds_bpermute_b32 v3, v28, v2
	s_waitcnt lgkmcnt(0)
	v_add_f32_e32 v2, v2, v3
	ds_bpermute_b32 v2, v8, v2
	s_and_saveexec_b64 s[0:1], s[2:3]
	s_cbranch_execz .LBB148_44
; %bb.32:
	s_waitcnt lgkmcnt(0)
	v_add_f32_e32 v2, 0x358637bd, v2
	v_div_scale_f32 v3, s[2:3], v2, v2, 1.0
	v_rcp_f32_e32 v4, v3
	v_div_scale_f32 v5, vcc, 1.0, v2, 1.0
	s_movk_i32 s2, 0x7f
	v_fma_f32 v6, -v3, v4, 1.0
	v_fmac_f32_e32 v4, v6, v4
	v_mul_f32_e32 v6, v5, v4
	v_fma_f32 v7, -v3, v6, v5
	v_fmac_f32_e32 v6, v7, v4
	v_fma_f32 v3, -v3, v6, v5
	v_div_fmas_f32 v3, v3, v4, v6
	v_xad_u32 v4, v0, -1, s15
	v_div_fixup_f32 v2, v3, v2, 1.0
	v_cmp_lt_u32_e32 vcc, s2, v4
	s_mov_b64 s[8:9], -1
	v_mov_b32_e32 v3, v0
	s_and_saveexec_b64 s[2:3], vcc
	s_cbranch_execz .LBB148_41
; %bb.33:
	v_lshrrev_b32_e32 v4, 7, v4
	v_add_u32_e32 v6, -1, v4
	v_lshrrev_b32_e32 v5, 1, v6
	v_mov_b32_e32 v3, v2
	v_add_u32_e32 v5, 1, v5
	v_cmp_lt_u32_e32 vcc, 13, v6
	v_mov_b32_e32 v8, 0
	s_and_saveexec_b64 s[8:9], vcc
	s_cbranch_execz .LBB148_37
; %bb.34:
	v_mov_b32_e32 v7, 0xf0
	v_and_b32_e32 v6, -8, v5
	v_lshl_add_u32 v7, v0, 2, v7
	s_mov_b32 s34, 0
	s_mov_b64 s[30:31], 0
.LBB148_35:                             ; =>This Inner Loop Header: Depth=1
	ds_read2st64_b32 v[8:9], v7 offset1:2
	ds_read2st64_b32 v[10:11], v7 offset0:4 offset1:6
	ds_read2st64_b32 v[12:13], v7 offset0:8 offset1:10
	;; [unrolled: 1-line block ×3, first 2 shown]
	v_add_u32_e32 v6, -8, v6
	s_waitcnt lgkmcnt(3)
	v_pk_mul_f32 v[8:9], v[2:3], v[8:9]
	s_waitcnt lgkmcnt(2)
	v_pk_mul_f32 v[10:11], v[2:3], v[10:11]
	ds_write2st64_b32 v7, v8, v9 offset1:2
	ds_write2st64_b32 v7, v10, v11 offset0:4 offset1:6
	ds_read2st64_b32 v[10:11], v7 offset0:16 offset1:18
	s_waitcnt lgkmcnt(4)
	v_pk_mul_f32 v[8:9], v[2:3], v[12:13]
	ds_write2st64_b32 v7, v8, v9 offset0:8 offset1:10
	s_waitcnt lgkmcnt(4)
	v_pk_mul_f32 v[8:9], v[2:3], v[14:15]
	ds_write2st64_b32 v7, v8, v9 offset0:12 offset1:14
	ds_read2st64_b32 v[8:9], v7 offset0:20 offset1:22
	s_waitcnt lgkmcnt(3)
	v_pk_mul_f32 v[10:11], v[2:3], v[10:11]
	ds_read2st64_b32 v[12:13], v7 offset0:24 offset1:26
	ds_write2st64_b32 v7, v10, v11 offset0:16 offset1:18
	ds_read2st64_b32 v[10:11], v7 offset0:28 offset1:30
	s_waitcnt lgkmcnt(3)
	v_pk_mul_f32 v[8:9], v[2:3], v[8:9]
	ds_write2st64_b32 v7, v8, v9 offset0:20 offset1:22
	s_waitcnt lgkmcnt(3)
	v_pk_mul_f32 v[8:9], v[2:3], v[12:13]
	ds_write2st64_b32 v7, v8, v9 offset0:24 offset1:26
	s_waitcnt lgkmcnt(2)
	v_pk_mul_f32 v[8:9], v[2:3], v[10:11]
	s_add_i32 s34, s34, 16
	v_cmp_eq_u32_e32 vcc, 0, v6
	ds_write2st64_b32 v7, v8, v9 offset0:28 offset1:30
	v_add_u32_e32 v7, 0x2000, v7
	s_or_b64 s[30:31], vcc, s[30:31]
	v_mov_b32_e32 v8, s34
	s_andn2_b64 exec, exec, s[30:31]
	s_cbranch_execnz .LBB148_35
; %bb.36:
	s_or_b64 exec, exec, s[30:31]
.LBB148_37:
	s_or_b64 exec, exec, s[8:9]
	v_and_b32_e32 v5, 7, v5
	v_cmp_ne_u32_e32 vcc, 0, v5
	s_and_saveexec_b64 s[8:9], vcc
	s_cbranch_execz .LBB148_40
; %bb.38:
	v_lshlrev_b32_e32 v6, 9, v8
	v_lshlrev_b32_e32 v7, 2, v0
	s_movk_i32 s30, 0xf0
	v_add3_u32 v6, v6, v7, s30
	s_mov_b64 s[30:31], 0
.LBB148_39:                             ; =>This Inner Loop Header: Depth=1
	ds_read2st64_b32 v[8:9], v6 offset1:2
	v_add_u32_e32 v5, -1, v5
	v_cmp_eq_u32_e32 vcc, 0, v5
	s_or_b64 s[30:31], vcc, s[30:31]
	s_waitcnt lgkmcnt(0)
	v_pk_mul_f32 v[8:9], v[2:3], v[8:9]
	ds_write2st64_b32 v6, v8, v9 offset1:2
	v_add_u32_e32 v6, 0x400, v6
	s_andn2_b64 exec, exec, s[30:31]
	s_cbranch_execnz .LBB148_39
.LBB148_40:
	s_or_b64 exec, exec, s[8:9]
	v_add_u32_e32 v4, 1, v4
	v_and_b32_e32 v5, 0x3fffffe, v4
	v_cmp_ne_u32_e32 vcc, v4, v5
	v_lshl_add_u32 v3, v5, 7, v0
	s_orn2_b64 s[8:9], vcc, exec
.LBB148_41:
	s_or_b64 exec, exec, s[2:3]
	s_and_b64 exec, exec, s[8:9]
	s_cbranch_execz .LBB148_44
; %bb.42:
	v_mov_b32_e32 v4, 0xf0
	v_lshl_add_u32 v4, v3, 2, v4
	s_mov_b64 s[2:3], 0
.LBB148_43:                             ; =>This Inner Loop Header: Depth=1
	ds_read_b32 v5, v4
	v_add_u32_e32 v3, 0x80, v3
	v_cmp_le_i32_e32 vcc, s15, v3
	s_or_b64 s[2:3], vcc, s[2:3]
	s_waitcnt lgkmcnt(0)
	v_mul_f32_e32 v5, v2, v5
	ds_write_b32 v4, v5
	v_add_u32_e32 v4, 0x200, v4
	s_andn2_b64 exec, exec, s[2:3]
	s_cbranch_execnz .LBB148_43
.LBB148_44:
	s_or_b64 exec, exec, s[0:1]
	v_mov_b32_e32 v30, 0
	v_and_b32_e32 v29, 3, v0
	v_mov_b32_e32 v11, 0
	v_mov_b32_e32 v10, 0
	;; [unrolled: 1-line block ×6, first 2 shown]
	s_waitcnt lgkmcnt(0)
	s_barrier
	s_and_saveexec_b64 s[2:3], s[6:7]
	s_cbranch_execz .LBB148_320
; %bb.45:
	s_ashr_i32 s15, s14, 31
	s_sub_i32 s17, s12, s17
	s_lshl_b64 s[0:1], s[14:15], 1
	s_add_u32 s6, s28, s0
	s_addc_u32 s7, s29, s1
	s_abs_i32 s18, s18
	v_cvt_f32_u32_e32 v2, s18
	s_sub_i32 s0, 0, s18
	s_add_i32 s29, s16, -1
	v_mov_b32_e32 v17, 0
	v_rcp_iflag_f32_e32 v3, v2
	v_and_b32_e32 v2, 0x1f8, v57
	v_or_b32_e32 v4, 0x800, v2
	v_or_b32_e32 v6, 0xa00, v2
	v_mul_f32_e32 v3, 0x4f7ffffe, v3
	v_cvt_u32_f32_e32 v3, v3
	v_or_b32_e32 v8, 0xc00, v2
	v_and_b32_e32 v16, 60, v58
	v_and_b32_e32 v31, 24, v57
	v_mul_lo_u32 v5, s0, v3
	v_mul_hi_u32 v5, v3, v5
	s_lshl_b64 s[0:1], s[26:27], 2
	v_add_u32_e32 v32, v3, v5
	s_add_u32 s0, s24, s0
	v_lshlrev_b32_e32 v3, 5, v29
	s_addc_u32 s1, s25, s1
	v_lshl_or_b32 v3, v1, 7, v3
	s_mov_b32 s28, s13
	v_lshl_add_u64 v[18:19], s[0:1], 0, v[16:17]
	v_add_u32_e32 v33, 0xf0, v3
	s_mov_b64 s[8:9], 0
	s_mov_b32 s24, 0x7f800000
	s_movk_i32 s25, 0x7fff
	v_lshlrev_b32_e32 v16, 1, v2
	v_lshlrev_b32_e32 v20, 1, v4
	;; [unrolled: 1-line block ×4, first 2 shown]
	v_mov_b32_e32 v14, v17
	v_mov_b32_e32 v15, v17
	;; [unrolled: 1-line block ×7, first 2 shown]
	s_branch .LBB148_48
.LBB148_46:                             ;   in Loop: Header=BB148_48 Depth=1
	s_or_b64 exec, exec, s[0:1]
	v_and_b32_e32 v49, 0xffff0000, v90
	v_and_b32_e32 v48, 0xffff0000, v88
	;; [unrolled: 1-line block ×8, first 2 shown]
	v_pk_add_f32 v[48:49], v[52:53], v[48:49]
	v_pk_add_f32 v[44:45], v[46:47], v[44:45]
	v_add_f32_e32 v23, v48, v49
	v_add_f32_e32 v23, v23, v44
	v_and_b32_e32 v49, 0xffff0000, v83
	v_and_b32_e32 v48, 0xffff0000, v81
	;; [unrolled: 1-line block ×4, first 2 shown]
	v_add_f32_e32 v23, v23, v45
	v_and_b32_e32 v45, 0xffff0000, v87
	v_and_b32_e32 v44, 0xffff0000, v85
	;; [unrolled: 1-line block ×4, first 2 shown]
	v_pk_add_f32 v[48:49], v[52:53], v[48:49]
	v_pk_add_f32 v[44:45], v[46:47], v[44:45]
	v_add_f32_e32 v21, v48, v49
	v_add_f32_e32 v21, v21, v44
	v_and_b32_e32 v49, 0xffff0000, v76
	v_and_b32_e32 v48, 0xffff0000, v9
	;; [unrolled: 1-line block ×4, first 2 shown]
	v_add_f32_e32 v21, v21, v45
	v_and_b32_e32 v45, 0xffff0000, v80
	v_and_b32_e32 v44, 0xffff0000, v78
	;; [unrolled: 1-line block ×4, first 2 shown]
	v_pk_add_f32 v[8:9], v[8:9], v[48:49]
	v_pk_add_f32 v[44:45], v[46:47], v[44:45]
	v_add_f32_e32 v8, v8, v9
	v_add_f32_e32 v8, v8, v44
	;; [unrolled: 1-line block ×3, first 2 shown]
	v_and_b32_e32 v47, 0xffff0000, v70
	v_and_b32_e32 v46, 0xffff0000, v68
	;; [unrolled: 1-line block ×4, first 2 shown]
	v_add_f32_e32 v13, v13, v8
	v_and_b32_e32 v9, 0xffff0000, v74
	v_and_b32_e32 v8, 0xffff0000, v72
	;; [unrolled: 1-line block ×4, first 2 shown]
	v_pk_add_f32 v[46:47], v[48:49], v[46:47]
	v_add_f32_e32 v10, v10, v21
	v_pk_add_f32 v[8:9], v[44:45], v[8:9]
	v_add_f32_e32 v21, v46, v47
	v_add_f32_e32 v8, v21, v8
	;; [unrolled: 1-line block ×3, first 2 shown]
	v_and_b32_e32 v47, 0xffff0000, v62
	v_and_b32_e32 v46, 0xffff0000, v60
	;; [unrolled: 1-line block ×4, first 2 shown]
	v_add_f32_e32 v12, v12, v8
	v_and_b32_e32 v9, 0xffff0000, v66
	v_and_b32_e32 v8, 0xffff0000, v64
	;; [unrolled: 1-line block ×4, first 2 shown]
	v_pk_add_f32 v[46:47], v[48:49], v[46:47]
	v_pk_add_f32 v[8:9], v[44:45], v[8:9]
	v_add_f32_e32 v21, v46, v47
	v_add_f32_e32 v8, v21, v8
	;; [unrolled: 1-line block ×4, first 2 shown]
	v_and_b32_e32 v9, 0xffff0000, v41
	v_and_b32_e32 v8, 0xffff0000, v39
	;; [unrolled: 1-line block ×8, first 2 shown]
	v_pk_add_f32 v[34:35], v[34:35], v[40:41]
	v_pk_add_f32 v[8:9], v[38:39], v[8:9]
	v_add_f32_e32 v21, v34, v35
	v_add_f32_e32 v8, v21, v8
	;; [unrolled: 1-line block ×3, first 2 shown]
	v_and_b32_e32 v7, 0xffff0000, v7
	v_and_b32_e32 v6, 0xffff0000, v6
	;; [unrolled: 1-line block ×4, first 2 shown]
	v_add_f32_e32 v14, v14, v8
	v_and_b32_e32 v9, 0xffff0000, v25
	v_and_b32_e32 v8, 0xffff0000, v42
	v_and_b32_e32 v5, 0xffff0000, v5
	v_and_b32_e32 v4, 0xffff0000, v4
	v_pk_add_f32 v[2:3], v[2:3], v[6:7]
	v_pk_add_f32 v[4:5], v[4:5], v[8:9]
	v_add_f32_e32 v2, v2, v3
	v_add_f32_e32 v2, v2, v4
	;; [unrolled: 1-line block ×5, first 2 shown]
.LBB148_47:                             ;   in Loop: Header=BB148_48 Depth=1
	s_or_b64 exec, exec, s[12:13]
	v_add_u32_e32 v1, 2, v1
	v_cmp_le_i32_e32 vcc, s16, v1
	v_lshl_add_u64 v[18:19], v[18:19], 0, 8
	v_add_u32_e32 v56, 64, v56
	s_or_b64 s[8:9], vcc, s[8:9]
	v_add_u32_e32 v33, 0x100, v33
	s_andn2_b64 exec, exec, s[8:9]
	s_cbranch_execz .LBB148_319
.LBB148_48:                             ; =>This Inner Loop Header: Depth=1
	v_mul_hi_u32 v2, v56, s40
	v_mul_lo_u32 v3, v2, s21
	v_sub_u32_e32 v3, v56, v3
	v_add_u32_e32 v4, 1, v2
	v_cmp_le_u32_e32 vcc, s21, v3
	s_nop 1
	v_cndmask_b32_e32 v2, v2, v4, vcc
	v_subrev_u32_e32 v4, s21, v3
	v_cndmask_b32_e32 v3, v3, v4, vcc
	v_add_u32_e32 v4, 1, v2
	v_cmp_le_u32_e32 vcc, s21, v3
	s_nop 1
	v_cndmask_b32_e32 v2, v2, v4, vcc
	v_xor_b32_e32 v2, s19, v2
	v_subrev_u32_e32 v2, s19, v2
	v_add_u32_e32 v3, s41, v2
	v_sub_u32_e32 v5, 0, v3
	v_ashrrev_i32_e32 v4, 31, v3
	v_max_i32_e32 v3, v3, v5
	v_mul_hi_u32 v5, v3, v32
	v_mul_lo_u32 v5, v5, s18
	v_sub_u32_e32 v3, v3, v5
	v_subrev_u32_e32 v5, s18, v3
	v_cmp_le_u32_e32 vcc, s18, v3
	v_cmp_lt_i32_e64 s[0:1], s17, v2
	s_nop 0
	v_cndmask_b32_e32 v3, v3, v5, vcc
	v_subrev_u32_e32 v5, s18, v3
	v_cmp_le_u32_e32 vcc, s18, v3
	s_nop 1
	v_cndmask_b32_e32 v3, v3, v5, vcc
	v_xor_b32_e32 v3, v3, v4
	v_sub_u32_e32 v3, v3, v4
	v_cmp_eq_u32_e32 vcc, 0, v3
	s_or_b64 s[0:1], vcc, s[0:1]
	s_and_saveexec_b64 s[12:13], s[0:1]
	s_cbranch_execz .LBB148_47
; %bb.49:                               ;   in Loop: Header=BB148_48 Depth=1
	global_load_dword v39, v[18:19], off
	ds_read2_b64 v[6:9], v33 offset1:1
	ds_read2_b64 v[2:5], v33 offset0:2 offset1:3
                                        ; implicit-def: $vgpr34
	s_waitcnt lgkmcnt(1)
	v_and_b32_e32 v21, 0x7f800000, v6
	v_cmp_ne_u32_e32 vcc, s24, v21
	s_and_saveexec_b64 s[0:1], vcc
	s_xor_b64 s[0:1], exec, s[0:1]
; %bb.50:                               ;   in Loop: Header=BB148_48 Depth=1
	v_bfe_u32 v21, v6, 16, 1
	v_add3_u32 v34, v6, v21, s25
; %bb.51:                               ;   in Loop: Header=BB148_48 Depth=1
	s_andn2_saveexec_b64 s[0:1], s[0:1]
; %bb.52:                               ;   in Loop: Header=BB148_48 Depth=1
	v_or_b32_e32 v21, 0x10000, v6
	v_cmp_eq_u32_sdwa vcc, v6, v17 src0_sel:WORD_0 src1_sel:DWORD
	s_nop 1
	v_cndmask_b32_e32 v34, v21, v6, vcc
; %bb.53:                               ;   in Loop: Header=BB148_48 Depth=1
	s_or_b64 exec, exec, s[0:1]
	v_and_b32_e32 v6, 0x7f800000, v7
	v_cmp_ne_u32_e32 vcc, s24, v6
                                        ; implicit-def: $vgpr35
	s_and_saveexec_b64 s[0:1], vcc
	s_xor_b64 s[0:1], exec, s[0:1]
; %bb.54:                               ;   in Loop: Header=BB148_48 Depth=1
	v_bfe_u32 v6, v7, 16, 1
	v_add3_u32 v35, v7, v6, s25
; %bb.55:                               ;   in Loop: Header=BB148_48 Depth=1
	s_andn2_saveexec_b64 s[0:1], s[0:1]
; %bb.56:                               ;   in Loop: Header=BB148_48 Depth=1
	v_or_b32_e32 v6, 0x10000, v7
	v_cmp_eq_u32_sdwa vcc, v7, v17 src0_sel:WORD_0 src1_sel:DWORD
	s_nop 1
	v_cndmask_b32_e32 v35, v6, v7, vcc
; %bb.57:                               ;   in Loop: Header=BB148_48 Depth=1
	s_or_b64 exec, exec, s[0:1]
	v_and_b32_e32 v6, 0x7f800000, v8
	v_cmp_ne_u32_e32 vcc, s24, v6
                                        ; implicit-def: $vgpr36
	s_and_saveexec_b64 s[0:1], vcc
	s_xor_b64 s[0:1], exec, s[0:1]
; %bb.58:                               ;   in Loop: Header=BB148_48 Depth=1
	v_bfe_u32 v6, v8, 16, 1
	v_add3_u32 v36, v8, v6, s25
; %bb.59:                               ;   in Loop: Header=BB148_48 Depth=1
	s_andn2_saveexec_b64 s[0:1], s[0:1]
; %bb.60:                               ;   in Loop: Header=BB148_48 Depth=1
	v_or_b32_e32 v6, 0x10000, v8
	v_cmp_eq_u32_sdwa vcc, v8, v17 src0_sel:WORD_0 src1_sel:DWORD
	s_nop 1
	v_cndmask_b32_e32 v36, v6, v8, vcc
; %bb.61:                               ;   in Loop: Header=BB148_48 Depth=1
	s_or_b64 exec, exec, s[0:1]
	v_and_b32_e32 v6, 0x7f800000, v9
	v_cmp_ne_u32_e32 vcc, s24, v6
                                        ; implicit-def: $vgpr37
	s_and_saveexec_b64 s[0:1], vcc
	s_xor_b64 s[0:1], exec, s[0:1]
; %bb.62:                               ;   in Loop: Header=BB148_48 Depth=1
	v_bfe_u32 v6, v9, 16, 1
	v_add3_u32 v37, v9, v6, s25
                                        ; implicit-def: $vgpr6_vgpr7_vgpr8_vgpr9
; %bb.63:                               ;   in Loop: Header=BB148_48 Depth=1
	s_andn2_saveexec_b64 s[0:1], s[0:1]
; %bb.64:                               ;   in Loop: Header=BB148_48 Depth=1
	v_or_b32_e32 v6, 0x10000, v9
	v_cmp_eq_u32_sdwa vcc, v9, v17 src0_sel:WORD_0 src1_sel:DWORD
	s_nop 1
	v_cndmask_b32_e32 v37, v6, v9, vcc
; %bb.65:                               ;   in Loop: Header=BB148_48 Depth=1
	s_or_b64 exec, exec, s[0:1]
	s_waitcnt lgkmcnt(0)
	v_and_b32_e32 v6, 0x7f800000, v2
	v_cmp_ne_u32_e32 vcc, s24, v6
                                        ; implicit-def: $vgpr38
	s_and_saveexec_b64 s[0:1], vcc
	s_xor_b64 s[0:1], exec, s[0:1]
; %bb.66:                               ;   in Loop: Header=BB148_48 Depth=1
	v_bfe_u32 v6, v2, 16, 1
	v_add3_u32 v38, v2, v6, s25
; %bb.67:                               ;   in Loop: Header=BB148_48 Depth=1
	s_andn2_saveexec_b64 s[0:1], s[0:1]
; %bb.68:                               ;   in Loop: Header=BB148_48 Depth=1
	v_or_b32_e32 v6, 0x10000, v2
	v_cmp_eq_u32_sdwa vcc, v2, v17 src0_sel:WORD_0 src1_sel:DWORD
	s_nop 1
	v_cndmask_b32_e32 v38, v6, v2, vcc
; %bb.69:                               ;   in Loop: Header=BB148_48 Depth=1
	s_or_b64 exec, exec, s[0:1]
	v_and_b32_e32 v2, 0x7f800000, v3
	v_cmp_ne_u32_e32 vcc, s24, v2
                                        ; implicit-def: $vgpr25
	s_and_saveexec_b64 s[0:1], vcc
	s_xor_b64 s[0:1], exec, s[0:1]
; %bb.70:                               ;   in Loop: Header=BB148_48 Depth=1
	v_bfe_u32 v2, v3, 16, 1
	v_add3_u32 v25, v3, v2, s25
; %bb.71:                               ;   in Loop: Header=BB148_48 Depth=1
	s_andn2_saveexec_b64 s[0:1], s[0:1]
; %bb.72:                               ;   in Loop: Header=BB148_48 Depth=1
	v_or_b32_e32 v2, 0x10000, v3
	v_cmp_eq_u32_sdwa vcc, v3, v17 src0_sel:WORD_0 src1_sel:DWORD
	s_nop 1
	v_cndmask_b32_e32 v25, v2, v3, vcc
; %bb.73:                               ;   in Loop: Header=BB148_48 Depth=1
	s_or_b64 exec, exec, s[0:1]
	v_and_b32_e32 v2, 0x7f800000, v4
	v_cmp_ne_u32_e32 vcc, s24, v2
                                        ; implicit-def: $vgpr23
	s_and_saveexec_b64 s[0:1], vcc
	s_xor_b64 s[0:1], exec, s[0:1]
; %bb.74:                               ;   in Loop: Header=BB148_48 Depth=1
	v_bfe_u32 v2, v4, 16, 1
	v_add3_u32 v23, v4, v2, s25
; %bb.75:                               ;   in Loop: Header=BB148_48 Depth=1
	s_andn2_saveexec_b64 s[0:1], s[0:1]
; %bb.76:                               ;   in Loop: Header=BB148_48 Depth=1
	v_or_b32_e32 v2, 0x10000, v4
	v_cmp_eq_u32_sdwa vcc, v4, v17 src0_sel:WORD_0 src1_sel:DWORD
	s_nop 1
	v_cndmask_b32_e32 v23, v2, v4, vcc
; %bb.77:                               ;   in Loop: Header=BB148_48 Depth=1
	s_or_b64 exec, exec, s[0:1]
	v_and_b32_e32 v2, 0x7f800000, v5
	v_cmp_ne_u32_e32 vcc, s24, v2
                                        ; implicit-def: $vgpr21
	s_and_saveexec_b64 s[0:1], vcc
	s_xor_b64 s[0:1], exec, s[0:1]
; %bb.78:                               ;   in Loop: Header=BB148_48 Depth=1
	v_bfe_u32 v2, v5, 16, 1
	v_add3_u32 v21, v5, v2, s25
                                        ; implicit-def: $vgpr2_vgpr3_vgpr4_vgpr5
; %bb.79:                               ;   in Loop: Header=BB148_48 Depth=1
	s_andn2_saveexec_b64 s[0:1], s[0:1]
; %bb.80:                               ;   in Loop: Header=BB148_48 Depth=1
	v_or_b32_e32 v2, 0x10000, v5
	v_cmp_eq_u32_sdwa vcc, v5, v17 src0_sel:WORD_0 src1_sel:DWORD
	s_nop 1
	v_cndmask_b32_e32 v21, v2, v5, vcc
; %bb.81:                               ;   in Loop: Header=BB148_48 Depth=1
	s_or_b64 exec, exec, s[0:1]
	s_waitcnt vmcnt(0)
	v_mad_i64_i32 v[2:3], s[0:1], v39, s28, 0
	v_lshl_add_u64 v[6:7], v[2:3], 1, s[6:7]
	v_lshl_add_u64 v[8:9], v[6:7], 0, v[16:17]
	global_load_dwordx4 v[2:5], v[8:9], off
	v_add_u32_e32 v42, v31, v56
	v_cmp_eq_u32_e32 vcc, s29, v1
	v_add_u32_e32 v49, 1, v42
	v_add_u32_e32 v48, 2, v42
	;; [unrolled: 1-line block ×7, first 2 shown]
	s_waitcnt vmcnt(0)
	v_lshrrev_b32_e32 v50, 16, v2
	v_lshrrev_b32_e32 v40, 16, v3
	;; [unrolled: 1-line block ×4, first 2 shown]
	s_and_saveexec_b64 s[14:15], vcc
	s_cbranch_execz .LBB148_83
; %bb.82:                               ;   in Loop: Header=BB148_48 Depth=1
	v_cmp_gt_i32_e64 s[0:1], s33, v42
	s_nop 1
	v_cndmask_b32_e64 v2, 0, v2, s[0:1]
	v_cmp_gt_i32_e64 s[0:1], s33, v49
	s_nop 1
	v_cndmask_b32_e64 v50, 0, v50, s[0:1]
	;; [unrolled: 3-line block ×8, first 2 shown]
.LBB148_83:                             ;   in Loop: Header=BB148_48 Depth=1
	s_or_b64 exec, exec, s[14:15]
	v_and_b32_e32 v51, 0xffff0000, v34
	v_lshlrev_b32_e32 v2, 16, v2
	v_mul_f32_e32 v2, v51, v2
	v_and_b32_e32 v34, 0x7f800000, v2
	v_cmp_ne_u32_e64 s[0:1], s24, v34
                                        ; implicit-def: $vgpr34
	s_and_saveexec_b64 s[14:15], s[0:1]
	s_xor_b64 s[0:1], exec, s[14:15]
; %bb.84:                               ;   in Loop: Header=BB148_48 Depth=1
	v_bfe_u32 v34, v2, 16, 1
	v_add3_u32 v34, v2, v34, s25
                                        ; implicit-def: $vgpr2
; %bb.85:                               ;   in Loop: Header=BB148_48 Depth=1
	s_andn2_saveexec_b64 s[14:15], s[0:1]
; %bb.86:                               ;   in Loop: Header=BB148_48 Depth=1
	v_or_b32_e32 v34, 0x10000, v2
	v_cmp_eq_u32_sdwa s[0:1], v2, v17 src0_sel:WORD_0 src1_sel:DWORD
	s_nop 1
	v_cndmask_b32_e64 v34, v34, v2, s[0:1]
; %bb.87:                               ;   in Loop: Header=BB148_48 Depth=1
	s_or_b64 exec, exec, s[14:15]
	v_and_b32_e32 v52, 0xffff0000, v35
	v_lshlrev_b32_e32 v2, 16, v50
	v_mul_f32_e32 v2, v52, v2
	v_and_b32_e32 v35, 0x7f800000, v2
	v_cmp_ne_u32_e64 s[0:1], s24, v35
                                        ; implicit-def: $vgpr35
	s_and_saveexec_b64 s[14:15], s[0:1]
	s_xor_b64 s[0:1], exec, s[14:15]
; %bb.88:                               ;   in Loop: Header=BB148_48 Depth=1
	v_bfe_u32 v35, v2, 16, 1
	v_add3_u32 v35, v2, v35, s25
                                        ; implicit-def: $vgpr2
; %bb.89:                               ;   in Loop: Header=BB148_48 Depth=1
	s_andn2_saveexec_b64 s[14:15], s[0:1]
; %bb.90:                               ;   in Loop: Header=BB148_48 Depth=1
	v_or_b32_e32 v35, 0x10000, v2
	v_cmp_eq_u32_sdwa s[0:1], v2, v17 src0_sel:WORD_0 src1_sel:DWORD
	s_nop 1
	v_cndmask_b32_e64 v35, v35, v2, s[0:1]
; %bb.91:                               ;   in Loop: Header=BB148_48 Depth=1
	s_or_b64 exec, exec, s[14:15]
	v_and_b32_e32 v53, 0xffff0000, v36
	v_lshlrev_b32_e32 v2, 16, v3
	v_mul_f32_e32 v2, v53, v2
	v_and_b32_e32 v3, 0x7f800000, v2
	v_cmp_ne_u32_e64 s[0:1], s24, v3
                                        ; implicit-def: $vgpr36
	s_and_saveexec_b64 s[14:15], s[0:1]
	s_xor_b64 s[0:1], exec, s[14:15]
; %bb.92:                               ;   in Loop: Header=BB148_48 Depth=1
	v_bfe_u32 v3, v2, 16, 1
	v_add3_u32 v36, v2, v3, s25
                                        ; implicit-def: $vgpr2
; %bb.93:                               ;   in Loop: Header=BB148_48 Depth=1
	s_andn2_saveexec_b64 s[14:15], s[0:1]
; %bb.94:                               ;   in Loop: Header=BB148_48 Depth=1
	v_or_b32_e32 v3, 0x10000, v2
	v_cmp_eq_u32_sdwa s[0:1], v2, v17 src0_sel:WORD_0 src1_sel:DWORD
	s_nop 1
	v_cndmask_b32_e64 v36, v3, v2, s[0:1]
; %bb.95:                               ;   in Loop: Header=BB148_48 Depth=1
	s_or_b64 exec, exec, s[14:15]
	v_and_b32_e32 v54, 0xffff0000, v37
	v_lshlrev_b32_e32 v2, 16, v40
	v_mul_f32_e32 v2, v54, v2
	v_and_b32_e32 v3, 0x7f800000, v2
	v_cmp_ne_u32_e64 s[0:1], s24, v3
                                        ; implicit-def: $vgpr37
	s_and_saveexec_b64 s[14:15], s[0:1]
	s_xor_b64 s[0:1], exec, s[14:15]
; %bb.96:                               ;   in Loop: Header=BB148_48 Depth=1
	v_bfe_u32 v3, v2, 16, 1
	v_add3_u32 v37, v2, v3, s25
                                        ; implicit-def: $vgpr2
; %bb.97:                               ;   in Loop: Header=BB148_48 Depth=1
	s_andn2_saveexec_b64 s[14:15], s[0:1]
; %bb.98:                               ;   in Loop: Header=BB148_48 Depth=1
	v_or_b32_e32 v3, 0x10000, v2
	v_cmp_eq_u32_sdwa s[0:1], v2, v17 src0_sel:WORD_0 src1_sel:DWORD
	s_nop 1
	v_cndmask_b32_e64 v37, v3, v2, s[0:1]
; %bb.99:                               ;   in Loop: Header=BB148_48 Depth=1
	s_or_b64 exec, exec, s[14:15]
	v_and_b32_e32 v55, 0xffff0000, v38
	v_lshlrev_b32_e32 v2, 16, v4
	v_mul_f32_e32 v2, v55, v2
	v_and_b32_e32 v3, 0x7f800000, v2
	v_cmp_ne_u32_e64 s[0:1], s24, v3
                                        ; implicit-def: $vgpr38
	s_and_saveexec_b64 s[14:15], s[0:1]
	s_xor_b64 s[0:1], exec, s[14:15]
; %bb.100:                              ;   in Loop: Header=BB148_48 Depth=1
	v_bfe_u32 v3, v2, 16, 1
	v_add3_u32 v38, v2, v3, s25
                                        ; implicit-def: $vgpr2
; %bb.101:                              ;   in Loop: Header=BB148_48 Depth=1
	s_andn2_saveexec_b64 s[14:15], s[0:1]
; %bb.102:                              ;   in Loop: Header=BB148_48 Depth=1
	v_or_b32_e32 v3, 0x10000, v2
	v_cmp_eq_u32_sdwa s[0:1], v2, v17 src0_sel:WORD_0 src1_sel:DWORD
	s_nop 1
	v_cndmask_b32_e64 v38, v3, v2, s[0:1]
; %bb.103:                              ;   in Loop: Header=BB148_48 Depth=1
	s_or_b64 exec, exec, s[14:15]
	v_and_b32_e32 v57, 0xffff0000, v25
	v_lshlrev_b32_e32 v2, 16, v39
	v_mul_f32_e32 v2, v57, v2
	v_and_b32_e32 v3, 0x7f800000, v2
	v_cmp_ne_u32_e64 s[0:1], s24, v3
                                        ; implicit-def: $vgpr39
	s_and_saveexec_b64 s[14:15], s[0:1]
	s_xor_b64 s[0:1], exec, s[14:15]
; %bb.104:                              ;   in Loop: Header=BB148_48 Depth=1
	v_bfe_u32 v3, v2, 16, 1
	v_add3_u32 v39, v2, v3, s25
                                        ; implicit-def: $vgpr2
; %bb.105:                              ;   in Loop: Header=BB148_48 Depth=1
	s_andn2_saveexec_b64 s[14:15], s[0:1]
; %bb.106:                              ;   in Loop: Header=BB148_48 Depth=1
	v_or_b32_e32 v3, 0x10000, v2
	v_cmp_eq_u32_sdwa s[0:1], v2, v17 src0_sel:WORD_0 src1_sel:DWORD
	s_nop 1
	v_cndmask_b32_e64 v39, v3, v2, s[0:1]
; %bb.107:                              ;   in Loop: Header=BB148_48 Depth=1
	s_or_b64 exec, exec, s[14:15]
	v_and_b32_e32 v58, 0xffff0000, v23
	v_lshlrev_b32_e32 v2, 16, v5
	v_mul_f32_e32 v2, v58, v2
	v_and_b32_e32 v3, 0x7f800000, v2
	v_cmp_ne_u32_e64 s[0:1], s24, v3
                                        ; implicit-def: $vgpr40
	s_and_saveexec_b64 s[14:15], s[0:1]
	s_xor_b64 s[0:1], exec, s[14:15]
; %bb.108:                              ;   in Loop: Header=BB148_48 Depth=1
	v_bfe_u32 v3, v2, 16, 1
	v_add3_u32 v40, v2, v3, s25
                                        ; implicit-def: $vgpr2
; %bb.109:                              ;   in Loop: Header=BB148_48 Depth=1
	s_andn2_saveexec_b64 s[14:15], s[0:1]
; %bb.110:                              ;   in Loop: Header=BB148_48 Depth=1
	v_or_b32_e32 v3, 0x10000, v2
	v_cmp_eq_u32_sdwa s[0:1], v2, v17 src0_sel:WORD_0 src1_sel:DWORD
	s_nop 1
	v_cndmask_b32_e64 v40, v3, v2, s[0:1]
; %bb.111:                              ;   in Loop: Header=BB148_48 Depth=1
	s_or_b64 exec, exec, s[14:15]
	v_and_b32_e32 v59, 0xffff0000, v21
	v_lshlrev_b32_e32 v2, 16, v41
	v_mul_f32_e32 v2, v59, v2
	v_and_b32_e32 v3, 0x7f800000, v2
	v_cmp_ne_u32_e64 s[0:1], s24, v3
                                        ; implicit-def: $vgpr41
	s_and_saveexec_b64 s[14:15], s[0:1]
	s_xor_b64 s[0:1], exec, s[14:15]
; %bb.112:                              ;   in Loop: Header=BB148_48 Depth=1
	v_bfe_u32 v3, v2, 16, 1
	v_add3_u32 v41, v2, v3, s25
                                        ; implicit-def: $vgpr2
; %bb.113:                              ;   in Loop: Header=BB148_48 Depth=1
	s_andn2_saveexec_b64 s[14:15], s[0:1]
; %bb.114:                              ;   in Loop: Header=BB148_48 Depth=1
	v_or_b32_e32 v3, 0x10000, v2
	v_cmp_eq_u32_sdwa s[0:1], v2, v17 src0_sel:WORD_0 src1_sel:DWORD
	s_nop 1
	v_cndmask_b32_e64 v41, v3, v2, s[0:1]
; %bb.115:                              ;   in Loop: Header=BB148_48 Depth=1
	s_or_b64 exec, exec, s[14:15]
	global_load_dwordx4 v[2:5], v[8:9], off offset:1024
	s_waitcnt vmcnt(0)
	v_lshrrev_b32_e32 v60, 16, v2
	v_lshrrev_b32_e32 v25, 16, v3
	;; [unrolled: 1-line block ×4, first 2 shown]
	s_and_saveexec_b64 s[14:15], vcc
	s_cbranch_execz .LBB148_117
; %bb.116:                              ;   in Loop: Header=BB148_48 Depth=1
	v_cmp_gt_i32_e64 s[0:1], s33, v42
	s_nop 1
	v_cndmask_b32_e64 v2, 0, v2, s[0:1]
	v_cmp_gt_i32_e64 s[0:1], s33, v49
	s_nop 1
	v_cndmask_b32_e64 v60, 0, v60, s[0:1]
	;; [unrolled: 3-line block ×8, first 2 shown]
.LBB148_117:                            ;   in Loop: Header=BB148_48 Depth=1
	s_or_b64 exec, exec, s[14:15]
	v_lshlrev_b32_e32 v2, 16, v2
	v_mul_f32_e32 v2, v51, v2
	v_and_b32_e32 v50, 0x7f800000, v2
	v_cmp_ne_u32_e64 s[0:1], s24, v50
                                        ; implicit-def: $vgpr50
	s_and_saveexec_b64 s[14:15], s[0:1]
	s_xor_b64 s[0:1], exec, s[14:15]
; %bb.118:                              ;   in Loop: Header=BB148_48 Depth=1
	v_bfe_u32 v50, v2, 16, 1
	v_add3_u32 v50, v2, v50, s25
                                        ; implicit-def: $vgpr2
; %bb.119:                              ;   in Loop: Header=BB148_48 Depth=1
	s_andn2_saveexec_b64 s[14:15], s[0:1]
; %bb.120:                              ;   in Loop: Header=BB148_48 Depth=1
	v_or_b32_e32 v50, 0x10000, v2
	v_cmp_eq_u32_sdwa s[0:1], v2, v17 src0_sel:WORD_0 src1_sel:DWORD
	s_nop 1
	v_cndmask_b32_e64 v50, v50, v2, s[0:1]
; %bb.121:                              ;   in Loop: Header=BB148_48 Depth=1
	s_or_b64 exec, exec, s[14:15]
	v_lshlrev_b32_e32 v2, 16, v60
	v_mul_f32_e32 v2, v52, v2
	v_and_b32_e32 v60, 0x7f800000, v2
	v_cmp_ne_u32_e64 s[0:1], s24, v60
                                        ; implicit-def: $vgpr60
	s_and_saveexec_b64 s[14:15], s[0:1]
	s_xor_b64 s[0:1], exec, s[14:15]
; %bb.122:                              ;   in Loop: Header=BB148_48 Depth=1
	v_bfe_u32 v60, v2, 16, 1
	v_add3_u32 v60, v2, v60, s25
                                        ; implicit-def: $vgpr2
; %bb.123:                              ;   in Loop: Header=BB148_48 Depth=1
	s_andn2_saveexec_b64 s[14:15], s[0:1]
; %bb.124:                              ;   in Loop: Header=BB148_48 Depth=1
	v_or_b32_e32 v60, 0x10000, v2
	v_cmp_eq_u32_sdwa s[0:1], v2, v17 src0_sel:WORD_0 src1_sel:DWORD
	s_nop 1
	v_cndmask_b32_e64 v60, v60, v2, s[0:1]
; %bb.125:                              ;   in Loop: Header=BB148_48 Depth=1
	s_or_b64 exec, exec, s[14:15]
	v_lshlrev_b32_e32 v2, 16, v3
	v_mul_f32_e32 v2, v53, v2
	v_and_b32_e32 v3, 0x7f800000, v2
	v_cmp_ne_u32_e64 s[0:1], s24, v3
                                        ; implicit-def: $vgpr61
	s_and_saveexec_b64 s[14:15], s[0:1]
	s_xor_b64 s[0:1], exec, s[14:15]
; %bb.126:                              ;   in Loop: Header=BB148_48 Depth=1
	v_bfe_u32 v3, v2, 16, 1
	v_add3_u32 v61, v2, v3, s25
                                        ; implicit-def: $vgpr2
; %bb.127:                              ;   in Loop: Header=BB148_48 Depth=1
	s_andn2_saveexec_b64 s[14:15], s[0:1]
; %bb.128:                              ;   in Loop: Header=BB148_48 Depth=1
	v_or_b32_e32 v3, 0x10000, v2
	v_cmp_eq_u32_sdwa s[0:1], v2, v17 src0_sel:WORD_0 src1_sel:DWORD
	s_nop 1
	v_cndmask_b32_e64 v61, v3, v2, s[0:1]
; %bb.129:                              ;   in Loop: Header=BB148_48 Depth=1
	s_or_b64 exec, exec, s[14:15]
	v_lshlrev_b32_e32 v2, 16, v25
	v_mul_f32_e32 v2, v54, v2
	v_and_b32_e32 v3, 0x7f800000, v2
	v_cmp_ne_u32_e64 s[0:1], s24, v3
                                        ; implicit-def: $vgpr62
	s_and_saveexec_b64 s[14:15], s[0:1]
	s_xor_b64 s[0:1], exec, s[14:15]
; %bb.130:                              ;   in Loop: Header=BB148_48 Depth=1
	v_bfe_u32 v3, v2, 16, 1
	v_add3_u32 v62, v2, v3, s25
                                        ; implicit-def: $vgpr2
; %bb.131:                              ;   in Loop: Header=BB148_48 Depth=1
	s_andn2_saveexec_b64 s[14:15], s[0:1]
; %bb.132:                              ;   in Loop: Header=BB148_48 Depth=1
	v_or_b32_e32 v3, 0x10000, v2
	v_cmp_eq_u32_sdwa s[0:1], v2, v17 src0_sel:WORD_0 src1_sel:DWORD
	s_nop 1
	v_cndmask_b32_e64 v62, v3, v2, s[0:1]
; %bb.133:                              ;   in Loop: Header=BB148_48 Depth=1
	s_or_b64 exec, exec, s[14:15]
	v_lshlrev_b32_e32 v2, 16, v4
	v_mul_f32_e32 v2, v55, v2
	v_and_b32_e32 v3, 0x7f800000, v2
	v_cmp_ne_u32_e64 s[0:1], s24, v3
                                        ; implicit-def: $vgpr63
	s_and_saveexec_b64 s[14:15], s[0:1]
	s_xor_b64 s[0:1], exec, s[14:15]
; %bb.134:                              ;   in Loop: Header=BB148_48 Depth=1
	v_bfe_u32 v3, v2, 16, 1
	v_add3_u32 v63, v2, v3, s25
                                        ; implicit-def: $vgpr2
; %bb.135:                              ;   in Loop: Header=BB148_48 Depth=1
	s_andn2_saveexec_b64 s[14:15], s[0:1]
; %bb.136:                              ;   in Loop: Header=BB148_48 Depth=1
	v_or_b32_e32 v3, 0x10000, v2
	v_cmp_eq_u32_sdwa s[0:1], v2, v17 src0_sel:WORD_0 src1_sel:DWORD
	s_nop 1
	v_cndmask_b32_e64 v63, v3, v2, s[0:1]
; %bb.137:                              ;   in Loop: Header=BB148_48 Depth=1
	s_or_b64 exec, exec, s[14:15]
	v_lshlrev_b32_e32 v2, 16, v23
	v_mul_f32_e32 v2, v57, v2
	v_and_b32_e32 v3, 0x7f800000, v2
	v_cmp_ne_u32_e64 s[0:1], s24, v3
                                        ; implicit-def: $vgpr64
	s_and_saveexec_b64 s[14:15], s[0:1]
	s_xor_b64 s[0:1], exec, s[14:15]
; %bb.138:                              ;   in Loop: Header=BB148_48 Depth=1
	v_bfe_u32 v3, v2, 16, 1
	v_add3_u32 v64, v2, v3, s25
                                        ; implicit-def: $vgpr2
; %bb.139:                              ;   in Loop: Header=BB148_48 Depth=1
	s_andn2_saveexec_b64 s[14:15], s[0:1]
; %bb.140:                              ;   in Loop: Header=BB148_48 Depth=1
	v_or_b32_e32 v3, 0x10000, v2
	v_cmp_eq_u32_sdwa s[0:1], v2, v17 src0_sel:WORD_0 src1_sel:DWORD
	s_nop 1
	v_cndmask_b32_e64 v64, v3, v2, s[0:1]
; %bb.141:                              ;   in Loop: Header=BB148_48 Depth=1
	s_or_b64 exec, exec, s[14:15]
	v_lshlrev_b32_e32 v2, 16, v5
	v_mul_f32_e32 v2, v58, v2
	v_and_b32_e32 v3, 0x7f800000, v2
	v_cmp_ne_u32_e64 s[0:1], s24, v3
                                        ; implicit-def: $vgpr65
	s_and_saveexec_b64 s[14:15], s[0:1]
	s_xor_b64 s[0:1], exec, s[14:15]
; %bb.142:                              ;   in Loop: Header=BB148_48 Depth=1
	v_bfe_u32 v3, v2, 16, 1
	v_add3_u32 v65, v2, v3, s25
                                        ; implicit-def: $vgpr2
; %bb.143:                              ;   in Loop: Header=BB148_48 Depth=1
	s_andn2_saveexec_b64 s[14:15], s[0:1]
; %bb.144:                              ;   in Loop: Header=BB148_48 Depth=1
	v_or_b32_e32 v3, 0x10000, v2
	v_cmp_eq_u32_sdwa s[0:1], v2, v17 src0_sel:WORD_0 src1_sel:DWORD
	s_nop 1
	v_cndmask_b32_e64 v65, v3, v2, s[0:1]
; %bb.145:                              ;   in Loop: Header=BB148_48 Depth=1
	s_or_b64 exec, exec, s[14:15]
	v_lshlrev_b32_e32 v2, 16, v21
	v_mul_f32_e32 v2, v59, v2
	v_and_b32_e32 v3, 0x7f800000, v2
	v_cmp_ne_u32_e64 s[0:1], s24, v3
                                        ; implicit-def: $vgpr66
	s_and_saveexec_b64 s[14:15], s[0:1]
	s_xor_b64 s[0:1], exec, s[14:15]
; %bb.146:                              ;   in Loop: Header=BB148_48 Depth=1
	v_bfe_u32 v3, v2, 16, 1
	v_add3_u32 v66, v2, v3, s25
                                        ; implicit-def: $vgpr2
; %bb.147:                              ;   in Loop: Header=BB148_48 Depth=1
	s_andn2_saveexec_b64 s[14:15], s[0:1]
; %bb.148:                              ;   in Loop: Header=BB148_48 Depth=1
	v_or_b32_e32 v3, 0x10000, v2
	v_cmp_eq_u32_sdwa s[0:1], v2, v17 src0_sel:WORD_0 src1_sel:DWORD
	s_nop 1
	v_cndmask_b32_e64 v66, v3, v2, s[0:1]
; %bb.149:                              ;   in Loop: Header=BB148_48 Depth=1
	s_or_b64 exec, exec, s[14:15]
	global_load_dwordx4 v[2:5], v[8:9], off offset:2048
	s_waitcnt vmcnt(0)
	v_lshrrev_b32_e32 v68, 16, v2
	v_lshrrev_b32_e32 v25, 16, v3
	;; [unrolled: 1-line block ×4, first 2 shown]
	s_and_saveexec_b64 s[14:15], vcc
	s_cbranch_execz .LBB148_151
; %bb.150:                              ;   in Loop: Header=BB148_48 Depth=1
	v_cmp_gt_i32_e64 s[0:1], s33, v42
	s_nop 1
	v_cndmask_b32_e64 v2, 0, v2, s[0:1]
	v_cmp_gt_i32_e64 s[0:1], s33, v49
	s_nop 1
	v_cndmask_b32_e64 v68, 0, v68, s[0:1]
	;; [unrolled: 3-line block ×8, first 2 shown]
.LBB148_151:                            ;   in Loop: Header=BB148_48 Depth=1
	s_or_b64 exec, exec, s[14:15]
	v_lshlrev_b32_e32 v2, 16, v2
	v_mul_f32_e32 v2, v51, v2
	v_and_b32_e32 v67, 0x7f800000, v2
	v_cmp_ne_u32_e64 s[0:1], s24, v67
                                        ; implicit-def: $vgpr67
	s_and_saveexec_b64 s[14:15], s[0:1]
	s_xor_b64 s[0:1], exec, s[14:15]
; %bb.152:                              ;   in Loop: Header=BB148_48 Depth=1
	v_bfe_u32 v67, v2, 16, 1
	v_add3_u32 v67, v2, v67, s25
                                        ; implicit-def: $vgpr2
; %bb.153:                              ;   in Loop: Header=BB148_48 Depth=1
	s_andn2_saveexec_b64 s[14:15], s[0:1]
; %bb.154:                              ;   in Loop: Header=BB148_48 Depth=1
	v_or_b32_e32 v67, 0x10000, v2
	v_cmp_eq_u32_sdwa s[0:1], v2, v17 src0_sel:WORD_0 src1_sel:DWORD
	s_nop 1
	v_cndmask_b32_e64 v67, v67, v2, s[0:1]
; %bb.155:                              ;   in Loop: Header=BB148_48 Depth=1
	s_or_b64 exec, exec, s[14:15]
	v_lshlrev_b32_e32 v2, 16, v68
	v_mul_f32_e32 v2, v52, v2
	v_and_b32_e32 v68, 0x7f800000, v2
	v_cmp_ne_u32_e64 s[0:1], s24, v68
                                        ; implicit-def: $vgpr68
	s_and_saveexec_b64 s[14:15], s[0:1]
	s_xor_b64 s[0:1], exec, s[14:15]
; %bb.156:                              ;   in Loop: Header=BB148_48 Depth=1
	v_bfe_u32 v68, v2, 16, 1
	v_add3_u32 v68, v2, v68, s25
                                        ; implicit-def: $vgpr2
; %bb.157:                              ;   in Loop: Header=BB148_48 Depth=1
	s_andn2_saveexec_b64 s[14:15], s[0:1]
; %bb.158:                              ;   in Loop: Header=BB148_48 Depth=1
	v_or_b32_e32 v68, 0x10000, v2
	v_cmp_eq_u32_sdwa s[0:1], v2, v17 src0_sel:WORD_0 src1_sel:DWORD
	s_nop 1
	v_cndmask_b32_e64 v68, v68, v2, s[0:1]
; %bb.159:                              ;   in Loop: Header=BB148_48 Depth=1
	s_or_b64 exec, exec, s[14:15]
	v_lshlrev_b32_e32 v2, 16, v3
	v_mul_f32_e32 v2, v53, v2
	v_and_b32_e32 v3, 0x7f800000, v2
	v_cmp_ne_u32_e64 s[0:1], s24, v3
                                        ; implicit-def: $vgpr69
	s_and_saveexec_b64 s[14:15], s[0:1]
	s_xor_b64 s[0:1], exec, s[14:15]
; %bb.160:                              ;   in Loop: Header=BB148_48 Depth=1
	v_bfe_u32 v3, v2, 16, 1
	v_add3_u32 v69, v2, v3, s25
                                        ; implicit-def: $vgpr2
; %bb.161:                              ;   in Loop: Header=BB148_48 Depth=1
	s_andn2_saveexec_b64 s[14:15], s[0:1]
; %bb.162:                              ;   in Loop: Header=BB148_48 Depth=1
	v_or_b32_e32 v3, 0x10000, v2
	v_cmp_eq_u32_sdwa s[0:1], v2, v17 src0_sel:WORD_0 src1_sel:DWORD
	s_nop 1
	v_cndmask_b32_e64 v69, v3, v2, s[0:1]
; %bb.163:                              ;   in Loop: Header=BB148_48 Depth=1
	s_or_b64 exec, exec, s[14:15]
	v_lshlrev_b32_e32 v2, 16, v25
	v_mul_f32_e32 v2, v54, v2
	v_and_b32_e32 v3, 0x7f800000, v2
	v_cmp_ne_u32_e64 s[0:1], s24, v3
                                        ; implicit-def: $vgpr70
	s_and_saveexec_b64 s[14:15], s[0:1]
	s_xor_b64 s[0:1], exec, s[14:15]
; %bb.164:                              ;   in Loop: Header=BB148_48 Depth=1
	v_bfe_u32 v3, v2, 16, 1
	v_add3_u32 v70, v2, v3, s25
                                        ; implicit-def: $vgpr2
; %bb.165:                              ;   in Loop: Header=BB148_48 Depth=1
	s_andn2_saveexec_b64 s[14:15], s[0:1]
; %bb.166:                              ;   in Loop: Header=BB148_48 Depth=1
	v_or_b32_e32 v3, 0x10000, v2
	v_cmp_eq_u32_sdwa s[0:1], v2, v17 src0_sel:WORD_0 src1_sel:DWORD
	s_nop 1
	v_cndmask_b32_e64 v70, v3, v2, s[0:1]
; %bb.167:                              ;   in Loop: Header=BB148_48 Depth=1
	s_or_b64 exec, exec, s[14:15]
	v_lshlrev_b32_e32 v2, 16, v4
	v_mul_f32_e32 v2, v55, v2
	v_and_b32_e32 v3, 0x7f800000, v2
	v_cmp_ne_u32_e64 s[0:1], s24, v3
                                        ; implicit-def: $vgpr71
	s_and_saveexec_b64 s[14:15], s[0:1]
	s_xor_b64 s[0:1], exec, s[14:15]
; %bb.168:                              ;   in Loop: Header=BB148_48 Depth=1
	v_bfe_u32 v3, v2, 16, 1
	v_add3_u32 v71, v2, v3, s25
                                        ; implicit-def: $vgpr2
; %bb.169:                              ;   in Loop: Header=BB148_48 Depth=1
	s_andn2_saveexec_b64 s[14:15], s[0:1]
; %bb.170:                              ;   in Loop: Header=BB148_48 Depth=1
	v_or_b32_e32 v3, 0x10000, v2
	v_cmp_eq_u32_sdwa s[0:1], v2, v17 src0_sel:WORD_0 src1_sel:DWORD
	s_nop 1
	v_cndmask_b32_e64 v71, v3, v2, s[0:1]
; %bb.171:                              ;   in Loop: Header=BB148_48 Depth=1
	s_or_b64 exec, exec, s[14:15]
	v_lshlrev_b32_e32 v2, 16, v23
	v_mul_f32_e32 v2, v57, v2
	v_and_b32_e32 v3, 0x7f800000, v2
	v_cmp_ne_u32_e64 s[0:1], s24, v3
                                        ; implicit-def: $vgpr72
	s_and_saveexec_b64 s[14:15], s[0:1]
	s_xor_b64 s[0:1], exec, s[14:15]
; %bb.172:                              ;   in Loop: Header=BB148_48 Depth=1
	v_bfe_u32 v3, v2, 16, 1
	v_add3_u32 v72, v2, v3, s25
                                        ; implicit-def: $vgpr2
; %bb.173:                              ;   in Loop: Header=BB148_48 Depth=1
	s_andn2_saveexec_b64 s[14:15], s[0:1]
; %bb.174:                              ;   in Loop: Header=BB148_48 Depth=1
	v_or_b32_e32 v3, 0x10000, v2
	v_cmp_eq_u32_sdwa s[0:1], v2, v17 src0_sel:WORD_0 src1_sel:DWORD
	s_nop 1
	v_cndmask_b32_e64 v72, v3, v2, s[0:1]
; %bb.175:                              ;   in Loop: Header=BB148_48 Depth=1
	s_or_b64 exec, exec, s[14:15]
	v_lshlrev_b32_e32 v2, 16, v5
	v_mul_f32_e32 v2, v58, v2
	v_and_b32_e32 v3, 0x7f800000, v2
	v_cmp_ne_u32_e64 s[0:1], s24, v3
                                        ; implicit-def: $vgpr73
	s_and_saveexec_b64 s[14:15], s[0:1]
	s_xor_b64 s[0:1], exec, s[14:15]
; %bb.176:                              ;   in Loop: Header=BB148_48 Depth=1
	v_bfe_u32 v3, v2, 16, 1
	v_add3_u32 v73, v2, v3, s25
                                        ; implicit-def: $vgpr2
; %bb.177:                              ;   in Loop: Header=BB148_48 Depth=1
	s_andn2_saveexec_b64 s[14:15], s[0:1]
; %bb.178:                              ;   in Loop: Header=BB148_48 Depth=1
	v_or_b32_e32 v3, 0x10000, v2
	v_cmp_eq_u32_sdwa s[0:1], v2, v17 src0_sel:WORD_0 src1_sel:DWORD
	s_nop 1
	v_cndmask_b32_e64 v73, v3, v2, s[0:1]
; %bb.179:                              ;   in Loop: Header=BB148_48 Depth=1
	s_or_b64 exec, exec, s[14:15]
	v_lshlrev_b32_e32 v2, 16, v21
	v_mul_f32_e32 v2, v59, v2
	v_and_b32_e32 v3, 0x7f800000, v2
	v_cmp_ne_u32_e64 s[0:1], s24, v3
                                        ; implicit-def: $vgpr74
	s_and_saveexec_b64 s[14:15], s[0:1]
	s_xor_b64 s[0:1], exec, s[14:15]
; %bb.180:                              ;   in Loop: Header=BB148_48 Depth=1
	v_bfe_u32 v3, v2, 16, 1
	v_add3_u32 v74, v2, v3, s25
                                        ; implicit-def: $vgpr2
; %bb.181:                              ;   in Loop: Header=BB148_48 Depth=1
	s_andn2_saveexec_b64 s[14:15], s[0:1]
; %bb.182:                              ;   in Loop: Header=BB148_48 Depth=1
	v_or_b32_e32 v3, 0x10000, v2
	v_cmp_eq_u32_sdwa s[0:1], v2, v17 src0_sel:WORD_0 src1_sel:DWORD
	s_nop 1
	v_cndmask_b32_e64 v74, v3, v2, s[0:1]
; %bb.183:                              ;   in Loop: Header=BB148_48 Depth=1
	s_or_b64 exec, exec, s[14:15]
	global_load_dwordx4 v[2:5], v[8:9], off offset:3072
	s_waitcnt vmcnt(0)
	v_lshrrev_b32_e32 v9, 16, v2
	v_lshrrev_b32_e32 v25, 16, v3
	;; [unrolled: 1-line block ×4, first 2 shown]
	s_and_saveexec_b64 s[14:15], vcc
	s_cbranch_execz .LBB148_185
; %bb.184:                              ;   in Loop: Header=BB148_48 Depth=1
	v_cmp_gt_i32_e64 s[0:1], s33, v42
	s_nop 1
	v_cndmask_b32_e64 v2, 0, v2, s[0:1]
	v_cmp_gt_i32_e64 s[0:1], s33, v49
	s_nop 1
	v_cndmask_b32_e64 v9, 0, v9, s[0:1]
	;; [unrolled: 3-line block ×8, first 2 shown]
.LBB148_185:                            ;   in Loop: Header=BB148_48 Depth=1
	s_or_b64 exec, exec, s[14:15]
	v_lshlrev_b32_e32 v2, 16, v2
	v_mul_f32_e32 v2, v51, v2
	v_and_b32_e32 v8, 0x7f800000, v2
	v_cmp_ne_u32_e64 s[0:1], s24, v8
                                        ; implicit-def: $vgpr8
	s_and_saveexec_b64 s[14:15], s[0:1]
	s_xor_b64 s[0:1], exec, s[14:15]
; %bb.186:                              ;   in Loop: Header=BB148_48 Depth=1
	v_bfe_u32 v8, v2, 16, 1
	v_add3_u32 v8, v2, v8, s25
                                        ; implicit-def: $vgpr2
; %bb.187:                              ;   in Loop: Header=BB148_48 Depth=1
	s_andn2_saveexec_b64 s[14:15], s[0:1]
; %bb.188:                              ;   in Loop: Header=BB148_48 Depth=1
	v_or_b32_e32 v8, 0x10000, v2
	v_cmp_eq_u32_sdwa s[0:1], v2, v17 src0_sel:WORD_0 src1_sel:DWORD
	s_nop 1
	v_cndmask_b32_e64 v8, v8, v2, s[0:1]
; %bb.189:                              ;   in Loop: Header=BB148_48 Depth=1
	s_or_b64 exec, exec, s[14:15]
	v_lshlrev_b32_e32 v2, 16, v9
	v_mul_f32_e32 v2, v52, v2
	v_and_b32_e32 v9, 0x7f800000, v2
	v_cmp_ne_u32_e64 s[0:1], s24, v9
                                        ; implicit-def: $vgpr9
	s_and_saveexec_b64 s[14:15], s[0:1]
	s_xor_b64 s[0:1], exec, s[14:15]
; %bb.190:                              ;   in Loop: Header=BB148_48 Depth=1
	v_bfe_u32 v9, v2, 16, 1
	v_add3_u32 v9, v2, v9, s25
                                        ; implicit-def: $vgpr2
; %bb.191:                              ;   in Loop: Header=BB148_48 Depth=1
	s_andn2_saveexec_b64 s[14:15], s[0:1]
; %bb.192:                              ;   in Loop: Header=BB148_48 Depth=1
	v_or_b32_e32 v9, 0x10000, v2
	v_cmp_eq_u32_sdwa s[0:1], v2, v17 src0_sel:WORD_0 src1_sel:DWORD
	s_nop 1
	v_cndmask_b32_e64 v9, v9, v2, s[0:1]
; %bb.193:                              ;   in Loop: Header=BB148_48 Depth=1
	s_or_b64 exec, exec, s[14:15]
	v_lshlrev_b32_e32 v2, 16, v3
	v_mul_f32_e32 v2, v53, v2
	v_and_b32_e32 v3, 0x7f800000, v2
	v_cmp_ne_u32_e64 s[0:1], s24, v3
                                        ; implicit-def: $vgpr75
	s_and_saveexec_b64 s[14:15], s[0:1]
	s_xor_b64 s[0:1], exec, s[14:15]
; %bb.194:                              ;   in Loop: Header=BB148_48 Depth=1
	v_bfe_u32 v3, v2, 16, 1
	v_add3_u32 v75, v2, v3, s25
                                        ; implicit-def: $vgpr2
; %bb.195:                              ;   in Loop: Header=BB148_48 Depth=1
	s_andn2_saveexec_b64 s[14:15], s[0:1]
; %bb.196:                              ;   in Loop: Header=BB148_48 Depth=1
	v_or_b32_e32 v3, 0x10000, v2
	v_cmp_eq_u32_sdwa s[0:1], v2, v17 src0_sel:WORD_0 src1_sel:DWORD
	s_nop 1
	v_cndmask_b32_e64 v75, v3, v2, s[0:1]
; %bb.197:                              ;   in Loop: Header=BB148_48 Depth=1
	s_or_b64 exec, exec, s[14:15]
	v_lshlrev_b32_e32 v2, 16, v25
	v_mul_f32_e32 v2, v54, v2
	v_and_b32_e32 v3, 0x7f800000, v2
	v_cmp_ne_u32_e64 s[0:1], s24, v3
                                        ; implicit-def: $vgpr76
	s_and_saveexec_b64 s[14:15], s[0:1]
	s_xor_b64 s[0:1], exec, s[14:15]
; %bb.198:                              ;   in Loop: Header=BB148_48 Depth=1
	v_bfe_u32 v3, v2, 16, 1
	v_add3_u32 v76, v2, v3, s25
                                        ; implicit-def: $vgpr2
; %bb.199:                              ;   in Loop: Header=BB148_48 Depth=1
	s_andn2_saveexec_b64 s[14:15], s[0:1]
; %bb.200:                              ;   in Loop: Header=BB148_48 Depth=1
	v_or_b32_e32 v3, 0x10000, v2
	v_cmp_eq_u32_sdwa s[0:1], v2, v17 src0_sel:WORD_0 src1_sel:DWORD
	s_nop 1
	v_cndmask_b32_e64 v76, v3, v2, s[0:1]
; %bb.201:                              ;   in Loop: Header=BB148_48 Depth=1
	s_or_b64 exec, exec, s[14:15]
	v_lshlrev_b32_e32 v2, 16, v4
	v_mul_f32_e32 v2, v55, v2
	v_and_b32_e32 v3, 0x7f800000, v2
	v_cmp_ne_u32_e64 s[0:1], s24, v3
                                        ; implicit-def: $vgpr77
	s_and_saveexec_b64 s[14:15], s[0:1]
	s_xor_b64 s[0:1], exec, s[14:15]
; %bb.202:                              ;   in Loop: Header=BB148_48 Depth=1
	v_bfe_u32 v3, v2, 16, 1
	v_add3_u32 v77, v2, v3, s25
                                        ; implicit-def: $vgpr2
; %bb.203:                              ;   in Loop: Header=BB148_48 Depth=1
	s_andn2_saveexec_b64 s[14:15], s[0:1]
; %bb.204:                              ;   in Loop: Header=BB148_48 Depth=1
	v_or_b32_e32 v3, 0x10000, v2
	v_cmp_eq_u32_sdwa s[0:1], v2, v17 src0_sel:WORD_0 src1_sel:DWORD
	s_nop 1
	v_cndmask_b32_e64 v77, v3, v2, s[0:1]
; %bb.205:                              ;   in Loop: Header=BB148_48 Depth=1
	s_or_b64 exec, exec, s[14:15]
	v_lshlrev_b32_e32 v2, 16, v23
	v_mul_f32_e32 v2, v57, v2
	v_and_b32_e32 v3, 0x7f800000, v2
	v_cmp_ne_u32_e64 s[0:1], s24, v3
                                        ; implicit-def: $vgpr78
	s_and_saveexec_b64 s[14:15], s[0:1]
	s_xor_b64 s[0:1], exec, s[14:15]
; %bb.206:                              ;   in Loop: Header=BB148_48 Depth=1
	v_bfe_u32 v3, v2, 16, 1
	v_add3_u32 v78, v2, v3, s25
                                        ; implicit-def: $vgpr2
; %bb.207:                              ;   in Loop: Header=BB148_48 Depth=1
	s_andn2_saveexec_b64 s[14:15], s[0:1]
; %bb.208:                              ;   in Loop: Header=BB148_48 Depth=1
	v_or_b32_e32 v3, 0x10000, v2
	v_cmp_eq_u32_sdwa s[0:1], v2, v17 src0_sel:WORD_0 src1_sel:DWORD
	s_nop 1
	v_cndmask_b32_e64 v78, v3, v2, s[0:1]
; %bb.209:                              ;   in Loop: Header=BB148_48 Depth=1
	s_or_b64 exec, exec, s[14:15]
	v_lshlrev_b32_e32 v2, 16, v5
	v_mul_f32_e32 v2, v58, v2
	v_and_b32_e32 v3, 0x7f800000, v2
	v_cmp_ne_u32_e64 s[0:1], s24, v3
                                        ; implicit-def: $vgpr79
	s_and_saveexec_b64 s[14:15], s[0:1]
	s_xor_b64 s[0:1], exec, s[14:15]
; %bb.210:                              ;   in Loop: Header=BB148_48 Depth=1
	v_bfe_u32 v3, v2, 16, 1
	v_add3_u32 v79, v2, v3, s25
                                        ; implicit-def: $vgpr2
; %bb.211:                              ;   in Loop: Header=BB148_48 Depth=1
	s_andn2_saveexec_b64 s[14:15], s[0:1]
; %bb.212:                              ;   in Loop: Header=BB148_48 Depth=1
	v_or_b32_e32 v3, 0x10000, v2
	v_cmp_eq_u32_sdwa s[0:1], v2, v17 src0_sel:WORD_0 src1_sel:DWORD
	s_nop 1
	v_cndmask_b32_e64 v79, v3, v2, s[0:1]
; %bb.213:                              ;   in Loop: Header=BB148_48 Depth=1
	s_or_b64 exec, exec, s[14:15]
	v_lshlrev_b32_e32 v2, 16, v21
	v_mul_f32_e32 v2, v59, v2
	v_and_b32_e32 v3, 0x7f800000, v2
	v_cmp_ne_u32_e64 s[0:1], s24, v3
                                        ; implicit-def: $vgpr80
	s_and_saveexec_b64 s[14:15], s[0:1]
	s_xor_b64 s[0:1], exec, s[14:15]
; %bb.214:                              ;   in Loop: Header=BB148_48 Depth=1
	v_bfe_u32 v3, v2, 16, 1
	v_add3_u32 v80, v2, v3, s25
                                        ; implicit-def: $vgpr2
; %bb.215:                              ;   in Loop: Header=BB148_48 Depth=1
	s_andn2_saveexec_b64 s[14:15], s[0:1]
; %bb.216:                              ;   in Loop: Header=BB148_48 Depth=1
	v_or_b32_e32 v3, 0x10000, v2
	v_cmp_eq_u32_sdwa s[0:1], v2, v17 src0_sel:WORD_0 src1_sel:DWORD
	s_nop 1
	v_cndmask_b32_e64 v80, v3, v2, s[0:1]
; %bb.217:                              ;   in Loop: Header=BB148_48 Depth=1
	s_or_b64 exec, exec, s[14:15]
	v_mov_b32_e32 v21, v17
	v_lshl_add_u64 v[2:3], v[6:7], 0, v[20:21]
	global_load_dwordx4 v[2:5], v[2:3], off
	s_waitcnt vmcnt(0)
	v_lshrrev_b32_e32 v81, 16, v2
	v_lshrrev_b32_e32 v83, 16, v3
	;; [unrolled: 1-line block ×4, first 2 shown]
	s_and_saveexec_b64 s[14:15], vcc
	s_cbranch_execz .LBB148_219
; %bb.218:                              ;   in Loop: Header=BB148_48 Depth=1
	v_cmp_gt_i32_e64 s[0:1], s33, v42
	s_nop 1
	v_cndmask_b32_e64 v2, 0, v2, s[0:1]
	v_cmp_gt_i32_e64 s[0:1], s33, v49
	s_nop 1
	v_cndmask_b32_e64 v81, 0, v81, s[0:1]
	;; [unrolled: 3-line block ×8, first 2 shown]
.LBB148_219:                            ;   in Loop: Header=BB148_48 Depth=1
	s_or_b64 exec, exec, s[14:15]
	v_lshlrev_b32_e32 v2, 16, v2
	v_mul_f32_e32 v2, v51, v2
	v_and_b32_e32 v21, 0x7f800000, v2
	v_cmp_ne_u32_e64 s[0:1], s24, v21
                                        ; implicit-def: $vgpr21
	s_and_saveexec_b64 s[14:15], s[0:1]
	s_xor_b64 s[0:1], exec, s[14:15]
; %bb.220:                              ;   in Loop: Header=BB148_48 Depth=1
	v_bfe_u32 v21, v2, 16, 1
	v_add3_u32 v21, v2, v21, s25
                                        ; implicit-def: $vgpr2
; %bb.221:                              ;   in Loop: Header=BB148_48 Depth=1
	s_andn2_saveexec_b64 s[14:15], s[0:1]
; %bb.222:                              ;   in Loop: Header=BB148_48 Depth=1
	v_or_b32_e32 v21, 0x10000, v2
	v_cmp_eq_u32_sdwa s[0:1], v2, v17 src0_sel:WORD_0 src1_sel:DWORD
	s_nop 1
	v_cndmask_b32_e64 v21, v21, v2, s[0:1]
; %bb.223:                              ;   in Loop: Header=BB148_48 Depth=1
	s_or_b64 exec, exec, s[14:15]
	v_lshlrev_b32_e32 v2, 16, v81
	v_mul_f32_e32 v2, v52, v2
	v_and_b32_e32 v81, 0x7f800000, v2
	v_cmp_ne_u32_e64 s[0:1], s24, v81
                                        ; implicit-def: $vgpr81
	s_and_saveexec_b64 s[14:15], s[0:1]
	s_xor_b64 s[0:1], exec, s[14:15]
; %bb.224:                              ;   in Loop: Header=BB148_48 Depth=1
	v_bfe_u32 v81, v2, 16, 1
	v_add3_u32 v81, v2, v81, s25
                                        ; implicit-def: $vgpr2
; %bb.225:                              ;   in Loop: Header=BB148_48 Depth=1
	s_andn2_saveexec_b64 s[14:15], s[0:1]
; %bb.226:                              ;   in Loop: Header=BB148_48 Depth=1
	v_or_b32_e32 v81, 0x10000, v2
	v_cmp_eq_u32_sdwa s[0:1], v2, v17 src0_sel:WORD_0 src1_sel:DWORD
	s_nop 1
	v_cndmask_b32_e64 v81, v81, v2, s[0:1]
; %bb.227:                              ;   in Loop: Header=BB148_48 Depth=1
	s_or_b64 exec, exec, s[14:15]
	v_lshlrev_b32_e32 v2, 16, v3
	v_mul_f32_e32 v2, v53, v2
	v_and_b32_e32 v3, 0x7f800000, v2
	v_cmp_ne_u32_e64 s[0:1], s24, v3
                                        ; implicit-def: $vgpr82
	s_and_saveexec_b64 s[14:15], s[0:1]
	s_xor_b64 s[0:1], exec, s[14:15]
; %bb.228:                              ;   in Loop: Header=BB148_48 Depth=1
	v_bfe_u32 v3, v2, 16, 1
	v_add3_u32 v82, v2, v3, s25
                                        ; implicit-def: $vgpr2
; %bb.229:                              ;   in Loop: Header=BB148_48 Depth=1
	s_andn2_saveexec_b64 s[14:15], s[0:1]
; %bb.230:                              ;   in Loop: Header=BB148_48 Depth=1
	v_or_b32_e32 v3, 0x10000, v2
	v_cmp_eq_u32_sdwa s[0:1], v2, v17 src0_sel:WORD_0 src1_sel:DWORD
	s_nop 1
	v_cndmask_b32_e64 v82, v3, v2, s[0:1]
; %bb.231:                              ;   in Loop: Header=BB148_48 Depth=1
	s_or_b64 exec, exec, s[14:15]
	v_lshlrev_b32_e32 v2, 16, v83
	v_mul_f32_e32 v2, v54, v2
	v_and_b32_e32 v3, 0x7f800000, v2
	v_cmp_ne_u32_e64 s[0:1], s24, v3
                                        ; implicit-def: $vgpr83
	s_and_saveexec_b64 s[14:15], s[0:1]
	s_xor_b64 s[0:1], exec, s[14:15]
; %bb.232:                              ;   in Loop: Header=BB148_48 Depth=1
	v_bfe_u32 v3, v2, 16, 1
	v_add3_u32 v83, v2, v3, s25
                                        ; implicit-def: $vgpr2
; %bb.233:                              ;   in Loop: Header=BB148_48 Depth=1
	s_andn2_saveexec_b64 s[14:15], s[0:1]
; %bb.234:                              ;   in Loop: Header=BB148_48 Depth=1
	v_or_b32_e32 v3, 0x10000, v2
	v_cmp_eq_u32_sdwa s[0:1], v2, v17 src0_sel:WORD_0 src1_sel:DWORD
	s_nop 1
	v_cndmask_b32_e64 v83, v3, v2, s[0:1]
; %bb.235:                              ;   in Loop: Header=BB148_48 Depth=1
	s_or_b64 exec, exec, s[14:15]
	v_lshlrev_b32_e32 v2, 16, v4
	v_mul_f32_e32 v2, v55, v2
	v_and_b32_e32 v3, 0x7f800000, v2
	v_cmp_ne_u32_e64 s[0:1], s24, v3
                                        ; implicit-def: $vgpr84
	s_and_saveexec_b64 s[14:15], s[0:1]
	s_xor_b64 s[0:1], exec, s[14:15]
; %bb.236:                              ;   in Loop: Header=BB148_48 Depth=1
	v_bfe_u32 v3, v2, 16, 1
	v_add3_u32 v84, v2, v3, s25
                                        ; implicit-def: $vgpr2
; %bb.237:                              ;   in Loop: Header=BB148_48 Depth=1
	s_andn2_saveexec_b64 s[14:15], s[0:1]
; %bb.238:                              ;   in Loop: Header=BB148_48 Depth=1
	v_or_b32_e32 v3, 0x10000, v2
	v_cmp_eq_u32_sdwa s[0:1], v2, v17 src0_sel:WORD_0 src1_sel:DWORD
	s_nop 1
	v_cndmask_b32_e64 v84, v3, v2, s[0:1]
; %bb.239:                              ;   in Loop: Header=BB148_48 Depth=1
	s_or_b64 exec, exec, s[14:15]
	v_lshlrev_b32_e32 v2, 16, v25
	v_mul_f32_e32 v2, v57, v2
	v_and_b32_e32 v3, 0x7f800000, v2
	v_cmp_ne_u32_e64 s[0:1], s24, v3
                                        ; implicit-def: $vgpr85
	s_and_saveexec_b64 s[14:15], s[0:1]
	s_xor_b64 s[0:1], exec, s[14:15]
; %bb.240:                              ;   in Loop: Header=BB148_48 Depth=1
	v_bfe_u32 v3, v2, 16, 1
	v_add3_u32 v85, v2, v3, s25
                                        ; implicit-def: $vgpr2
; %bb.241:                              ;   in Loop: Header=BB148_48 Depth=1
	s_andn2_saveexec_b64 s[14:15], s[0:1]
; %bb.242:                              ;   in Loop: Header=BB148_48 Depth=1
	v_or_b32_e32 v3, 0x10000, v2
	v_cmp_eq_u32_sdwa s[0:1], v2, v17 src0_sel:WORD_0 src1_sel:DWORD
	s_nop 1
	v_cndmask_b32_e64 v85, v3, v2, s[0:1]
; %bb.243:                              ;   in Loop: Header=BB148_48 Depth=1
	s_or_b64 exec, exec, s[14:15]
	v_lshlrev_b32_e32 v2, 16, v5
	v_mul_f32_e32 v2, v58, v2
	v_and_b32_e32 v3, 0x7f800000, v2
	v_cmp_ne_u32_e64 s[0:1], s24, v3
                                        ; implicit-def: $vgpr86
	s_and_saveexec_b64 s[14:15], s[0:1]
	s_xor_b64 s[0:1], exec, s[14:15]
; %bb.244:                              ;   in Loop: Header=BB148_48 Depth=1
	v_bfe_u32 v3, v2, 16, 1
	v_add3_u32 v86, v2, v3, s25
                                        ; implicit-def: $vgpr2
; %bb.245:                              ;   in Loop: Header=BB148_48 Depth=1
	s_andn2_saveexec_b64 s[14:15], s[0:1]
; %bb.246:                              ;   in Loop: Header=BB148_48 Depth=1
	v_or_b32_e32 v3, 0x10000, v2
	v_cmp_eq_u32_sdwa s[0:1], v2, v17 src0_sel:WORD_0 src1_sel:DWORD
	s_nop 1
	v_cndmask_b32_e64 v86, v3, v2, s[0:1]
; %bb.247:                              ;   in Loop: Header=BB148_48 Depth=1
	s_or_b64 exec, exec, s[14:15]
	v_lshlrev_b32_e32 v2, 16, v23
	v_mul_f32_e32 v2, v59, v2
	v_and_b32_e32 v3, 0x7f800000, v2
	v_cmp_ne_u32_e64 s[0:1], s24, v3
                                        ; implicit-def: $vgpr87
	s_and_saveexec_b64 s[14:15], s[0:1]
	s_xor_b64 s[0:1], exec, s[14:15]
; %bb.248:                              ;   in Loop: Header=BB148_48 Depth=1
	v_bfe_u32 v3, v2, 16, 1
	v_add3_u32 v87, v2, v3, s25
                                        ; implicit-def: $vgpr2
; %bb.249:                              ;   in Loop: Header=BB148_48 Depth=1
	s_andn2_saveexec_b64 s[14:15], s[0:1]
; %bb.250:                              ;   in Loop: Header=BB148_48 Depth=1
	v_or_b32_e32 v3, 0x10000, v2
	v_cmp_eq_u32_sdwa s[0:1], v2, v17 src0_sel:WORD_0 src1_sel:DWORD
	s_nop 1
	v_cndmask_b32_e64 v87, v3, v2, s[0:1]
; %bb.251:                              ;   in Loop: Header=BB148_48 Depth=1
	s_or_b64 exec, exec, s[14:15]
	v_mov_b32_e32 v23, v17
	v_lshl_add_u64 v[2:3], v[6:7], 0, v[22:23]
	global_load_dwordx4 v[2:5], v[2:3], off
	s_waitcnt vmcnt(0)
	v_lshrrev_b32_e32 v88, 16, v2
	v_lshrrev_b32_e32 v90, 16, v3
	;; [unrolled: 1-line block ×4, first 2 shown]
	s_and_saveexec_b64 s[14:15], vcc
	s_cbranch_execz .LBB148_253
; %bb.252:                              ;   in Loop: Header=BB148_48 Depth=1
	v_cmp_gt_i32_e64 s[0:1], s33, v42
	s_nop 1
	v_cndmask_b32_e64 v2, 0, v2, s[0:1]
	v_cmp_gt_i32_e64 s[0:1], s33, v49
	s_nop 1
	v_cndmask_b32_e64 v88, 0, v88, s[0:1]
	;; [unrolled: 3-line block ×8, first 2 shown]
.LBB148_253:                            ;   in Loop: Header=BB148_48 Depth=1
	s_or_b64 exec, exec, s[14:15]
	v_lshlrev_b32_e32 v2, 16, v2
	v_mul_f32_e32 v2, v51, v2
	v_and_b32_e32 v23, 0x7f800000, v2
	v_cmp_ne_u32_e64 s[0:1], s24, v23
                                        ; implicit-def: $vgpr23
	s_and_saveexec_b64 s[14:15], s[0:1]
	s_xor_b64 s[0:1], exec, s[14:15]
; %bb.254:                              ;   in Loop: Header=BB148_48 Depth=1
	v_bfe_u32 v23, v2, 16, 1
	v_add3_u32 v23, v2, v23, s25
                                        ; implicit-def: $vgpr2
; %bb.255:                              ;   in Loop: Header=BB148_48 Depth=1
	s_andn2_saveexec_b64 s[14:15], s[0:1]
; %bb.256:                              ;   in Loop: Header=BB148_48 Depth=1
	v_or_b32_e32 v23, 0x10000, v2
	v_cmp_eq_u32_sdwa s[0:1], v2, v17 src0_sel:WORD_0 src1_sel:DWORD
	s_nop 1
	v_cndmask_b32_e64 v23, v23, v2, s[0:1]
; %bb.257:                              ;   in Loop: Header=BB148_48 Depth=1
	s_or_b64 exec, exec, s[14:15]
	v_lshlrev_b32_e32 v2, 16, v88
	v_mul_f32_e32 v2, v52, v2
	v_and_b32_e32 v88, 0x7f800000, v2
	v_cmp_ne_u32_e64 s[0:1], s24, v88
                                        ; implicit-def: $vgpr88
	s_and_saveexec_b64 s[14:15], s[0:1]
	s_xor_b64 s[0:1], exec, s[14:15]
; %bb.258:                              ;   in Loop: Header=BB148_48 Depth=1
	v_bfe_u32 v88, v2, 16, 1
	v_add3_u32 v88, v2, v88, s25
                                        ; implicit-def: $vgpr2
; %bb.259:                              ;   in Loop: Header=BB148_48 Depth=1
	s_andn2_saveexec_b64 s[14:15], s[0:1]
; %bb.260:                              ;   in Loop: Header=BB148_48 Depth=1
	v_or_b32_e32 v88, 0x10000, v2
	v_cmp_eq_u32_sdwa s[0:1], v2, v17 src0_sel:WORD_0 src1_sel:DWORD
	s_nop 1
	v_cndmask_b32_e64 v88, v88, v2, s[0:1]
; %bb.261:                              ;   in Loop: Header=BB148_48 Depth=1
	s_or_b64 exec, exec, s[14:15]
	v_lshlrev_b32_e32 v2, 16, v3
	v_mul_f32_e32 v2, v53, v2
	v_and_b32_e32 v3, 0x7f800000, v2
	v_cmp_ne_u32_e64 s[0:1], s24, v3
                                        ; implicit-def: $vgpr89
	s_and_saveexec_b64 s[14:15], s[0:1]
	s_xor_b64 s[0:1], exec, s[14:15]
; %bb.262:                              ;   in Loop: Header=BB148_48 Depth=1
	v_bfe_u32 v3, v2, 16, 1
	v_add3_u32 v89, v2, v3, s25
                                        ; implicit-def: $vgpr2
; %bb.263:                              ;   in Loop: Header=BB148_48 Depth=1
	s_andn2_saveexec_b64 s[14:15], s[0:1]
; %bb.264:                              ;   in Loop: Header=BB148_48 Depth=1
	v_or_b32_e32 v3, 0x10000, v2
	v_cmp_eq_u32_sdwa s[0:1], v2, v17 src0_sel:WORD_0 src1_sel:DWORD
	s_nop 1
	v_cndmask_b32_e64 v89, v3, v2, s[0:1]
; %bb.265:                              ;   in Loop: Header=BB148_48 Depth=1
	s_or_b64 exec, exec, s[14:15]
	v_lshlrev_b32_e32 v2, 16, v90
	v_mul_f32_e32 v2, v54, v2
	v_and_b32_e32 v3, 0x7f800000, v2
	v_cmp_ne_u32_e64 s[0:1], s24, v3
                                        ; implicit-def: $vgpr90
	s_and_saveexec_b64 s[14:15], s[0:1]
	s_xor_b64 s[0:1], exec, s[14:15]
; %bb.266:                              ;   in Loop: Header=BB148_48 Depth=1
	v_bfe_u32 v3, v2, 16, 1
	v_add3_u32 v90, v2, v3, s25
                                        ; implicit-def: $vgpr2
; %bb.267:                              ;   in Loop: Header=BB148_48 Depth=1
	s_andn2_saveexec_b64 s[14:15], s[0:1]
; %bb.268:                              ;   in Loop: Header=BB148_48 Depth=1
	v_or_b32_e32 v3, 0x10000, v2
	v_cmp_eq_u32_sdwa s[0:1], v2, v17 src0_sel:WORD_0 src1_sel:DWORD
	s_nop 1
	v_cndmask_b32_e64 v90, v3, v2, s[0:1]
; %bb.269:                              ;   in Loop: Header=BB148_48 Depth=1
	s_or_b64 exec, exec, s[14:15]
	v_lshlrev_b32_e32 v2, 16, v4
	v_mul_f32_e32 v2, v55, v2
	v_and_b32_e32 v3, 0x7f800000, v2
	v_cmp_ne_u32_e64 s[0:1], s24, v3
                                        ; implicit-def: $vgpr91
	s_and_saveexec_b64 s[14:15], s[0:1]
	s_xor_b64 s[0:1], exec, s[14:15]
; %bb.270:                              ;   in Loop: Header=BB148_48 Depth=1
	v_bfe_u32 v3, v2, 16, 1
	v_add3_u32 v91, v2, v3, s25
                                        ; implicit-def: $vgpr2
; %bb.271:                              ;   in Loop: Header=BB148_48 Depth=1
	s_andn2_saveexec_b64 s[14:15], s[0:1]
; %bb.272:                              ;   in Loop: Header=BB148_48 Depth=1
	v_or_b32_e32 v3, 0x10000, v2
	v_cmp_eq_u32_sdwa s[0:1], v2, v17 src0_sel:WORD_0 src1_sel:DWORD
	s_nop 1
	v_cndmask_b32_e64 v91, v3, v2, s[0:1]
; %bb.273:                              ;   in Loop: Header=BB148_48 Depth=1
	s_or_b64 exec, exec, s[14:15]
	v_lshlrev_b32_e32 v2, 16, v92
	v_mul_f32_e32 v2, v57, v2
	v_and_b32_e32 v3, 0x7f800000, v2
	v_cmp_ne_u32_e64 s[0:1], s24, v3
                                        ; implicit-def: $vgpr92
	s_and_saveexec_b64 s[14:15], s[0:1]
	s_xor_b64 s[0:1], exec, s[14:15]
; %bb.274:                              ;   in Loop: Header=BB148_48 Depth=1
	v_bfe_u32 v3, v2, 16, 1
	v_add3_u32 v92, v2, v3, s25
                                        ; implicit-def: $vgpr2
; %bb.275:                              ;   in Loop: Header=BB148_48 Depth=1
	s_andn2_saveexec_b64 s[14:15], s[0:1]
; %bb.276:                              ;   in Loop: Header=BB148_48 Depth=1
	v_or_b32_e32 v3, 0x10000, v2
	v_cmp_eq_u32_sdwa s[0:1], v2, v17 src0_sel:WORD_0 src1_sel:DWORD
	s_nop 1
	v_cndmask_b32_e64 v92, v3, v2, s[0:1]
; %bb.277:                              ;   in Loop: Header=BB148_48 Depth=1
	s_or_b64 exec, exec, s[14:15]
	v_lshlrev_b32_e32 v2, 16, v5
	v_mul_f32_e32 v2, v58, v2
	v_and_b32_e32 v3, 0x7f800000, v2
	v_cmp_ne_u32_e64 s[0:1], s24, v3
                                        ; implicit-def: $vgpr93
	s_and_saveexec_b64 s[14:15], s[0:1]
	s_xor_b64 s[0:1], exec, s[14:15]
; %bb.278:                              ;   in Loop: Header=BB148_48 Depth=1
	v_bfe_u32 v3, v2, 16, 1
	v_add3_u32 v93, v2, v3, s25
                                        ; implicit-def: $vgpr2
; %bb.279:                              ;   in Loop: Header=BB148_48 Depth=1
	s_andn2_saveexec_b64 s[14:15], s[0:1]
; %bb.280:                              ;   in Loop: Header=BB148_48 Depth=1
	v_or_b32_e32 v3, 0x10000, v2
	v_cmp_eq_u32_sdwa s[0:1], v2, v17 src0_sel:WORD_0 src1_sel:DWORD
	s_nop 1
	v_cndmask_b32_e64 v93, v3, v2, s[0:1]
; %bb.281:                              ;   in Loop: Header=BB148_48 Depth=1
	s_or_b64 exec, exec, s[14:15]
	v_lshlrev_b32_e32 v2, 16, v25
	v_mul_f32_e32 v2, v59, v2
	v_and_b32_e32 v3, 0x7f800000, v2
	v_cmp_ne_u32_e64 s[0:1], s24, v3
                                        ; implicit-def: $vgpr94
	s_and_saveexec_b64 s[14:15], s[0:1]
	s_xor_b64 s[0:1], exec, s[14:15]
; %bb.282:                              ;   in Loop: Header=BB148_48 Depth=1
	v_bfe_u32 v3, v2, 16, 1
	v_add3_u32 v94, v2, v3, s25
                                        ; implicit-def: $vgpr2
; %bb.283:                              ;   in Loop: Header=BB148_48 Depth=1
	s_andn2_saveexec_b64 s[14:15], s[0:1]
; %bb.284:                              ;   in Loop: Header=BB148_48 Depth=1
	v_or_b32_e32 v3, 0x10000, v2
	v_cmp_eq_u32_sdwa s[0:1], v2, v17 src0_sel:WORD_0 src1_sel:DWORD
	s_nop 1
	v_cndmask_b32_e64 v94, v3, v2, s[0:1]
; %bb.285:                              ;   in Loop: Header=BB148_48 Depth=1
	s_or_b64 exec, exec, s[14:15]
	v_mov_b32_e32 v25, v17
	v_lshl_add_u64 v[2:3], v[6:7], 0, v[24:25]
	global_load_dwordx4 v[2:5], v[2:3], off
	s_waitcnt vmcnt(0)
	v_lshrrev_b32_e32 v6, 16, v2
	v_lshrrev_b32_e32 v7, 16, v3
	;; [unrolled: 1-line block ×4, first 2 shown]
	s_and_saveexec_b64 s[0:1], vcc
	s_cbranch_execz .LBB148_287
; %bb.286:                              ;   in Loop: Header=BB148_48 Depth=1
	v_cmp_gt_i32_e32 vcc, s33, v42
	s_nop 1
	v_cndmask_b32_e32 v2, 0, v2, vcc
	v_cmp_gt_i32_e32 vcc, s33, v49
	s_nop 1
	v_cndmask_b32_e32 v6, 0, v6, vcc
	;; [unrolled: 3-line block ×8, first 2 shown]
.LBB148_287:                            ;   in Loop: Header=BB148_48 Depth=1
	s_or_b64 exec, exec, s[0:1]
	v_lshlrev_b32_e32 v2, 16, v2
	v_mul_f32_e32 v42, v51, v2
	v_and_b32_e32 v2, 0x7f800000, v42
	v_cmp_ne_u32_e32 vcc, s24, v2
                                        ; implicit-def: $vgpr2
	s_and_saveexec_b64 s[0:1], vcc
	s_xor_b64 s[0:1], exec, s[0:1]
; %bb.288:                              ;   in Loop: Header=BB148_48 Depth=1
	v_bfe_u32 v2, v42, 16, 1
	v_add3_u32 v2, v42, v2, s25
                                        ; implicit-def: $vgpr42
; %bb.289:                              ;   in Loop: Header=BB148_48 Depth=1
	s_andn2_saveexec_b64 s[0:1], s[0:1]
; %bb.290:                              ;   in Loop: Header=BB148_48 Depth=1
	v_or_b32_e32 v2, 0x10000, v42
	v_cmp_eq_u32_sdwa vcc, v42, v17 src0_sel:WORD_0 src1_sel:DWORD
	s_nop 1
	v_cndmask_b32_e32 v2, v2, v42, vcc
; %bb.291:                              ;   in Loop: Header=BB148_48 Depth=1
	s_or_b64 exec, exec, s[0:1]
	v_lshlrev_b32_e32 v6, 16, v6
	v_mul_f32_e32 v42, v52, v6
	v_and_b32_e32 v6, 0x7f800000, v42
	v_cmp_ne_u32_e32 vcc, s24, v6
                                        ; implicit-def: $vgpr6
	s_and_saveexec_b64 s[0:1], vcc
	s_xor_b64 s[0:1], exec, s[0:1]
; %bb.292:                              ;   in Loop: Header=BB148_48 Depth=1
	v_bfe_u32 v6, v42, 16, 1
	v_add3_u32 v6, v42, v6, s25
                                        ; implicit-def: $vgpr42
; %bb.293:                              ;   in Loop: Header=BB148_48 Depth=1
	s_andn2_saveexec_b64 s[0:1], s[0:1]
; %bb.294:                              ;   in Loop: Header=BB148_48 Depth=1
	v_or_b32_e32 v6, 0x10000, v42
	v_cmp_eq_u32_sdwa vcc, v42, v17 src0_sel:WORD_0 src1_sel:DWORD
	s_nop 1
	v_cndmask_b32_e32 v6, v6, v42, vcc
; %bb.295:                              ;   in Loop: Header=BB148_48 Depth=1
	s_or_b64 exec, exec, s[0:1]
	v_lshlrev_b32_e32 v3, 16, v3
	v_mul_f32_e32 v42, v53, v3
	v_and_b32_e32 v3, 0x7f800000, v42
	v_cmp_ne_u32_e32 vcc, s24, v3
                                        ; implicit-def: $vgpr3
	s_and_saveexec_b64 s[0:1], vcc
	s_xor_b64 s[0:1], exec, s[0:1]
; %bb.296:                              ;   in Loop: Header=BB148_48 Depth=1
	v_bfe_u32 v3, v42, 16, 1
	v_add3_u32 v3, v42, v3, s25
                                        ; implicit-def: $vgpr42
; %bb.297:                              ;   in Loop: Header=BB148_48 Depth=1
	s_andn2_saveexec_b64 s[0:1], s[0:1]
; %bb.298:                              ;   in Loop: Header=BB148_48 Depth=1
	v_or_b32_e32 v3, 0x10000, v42
	v_cmp_eq_u32_sdwa vcc, v42, v17 src0_sel:WORD_0 src1_sel:DWORD
	s_nop 1
	v_cndmask_b32_e32 v3, v3, v42, vcc
; %bb.299:                              ;   in Loop: Header=BB148_48 Depth=1
	s_or_b64 exec, exec, s[0:1]
	v_lshlrev_b32_e32 v7, 16, v7
	v_mul_f32_e32 v42, v54, v7
	v_and_b32_e32 v7, 0x7f800000, v42
	v_cmp_ne_u32_e32 vcc, s24, v7
                                        ; implicit-def: $vgpr7
	s_and_saveexec_b64 s[0:1], vcc
	s_xor_b64 s[0:1], exec, s[0:1]
; %bb.300:                              ;   in Loop: Header=BB148_48 Depth=1
	v_bfe_u32 v7, v42, 16, 1
	v_add3_u32 v7, v42, v7, s25
                                        ; implicit-def: $vgpr42
; %bb.301:                              ;   in Loop: Header=BB148_48 Depth=1
	s_andn2_saveexec_b64 s[0:1], s[0:1]
; %bb.302:                              ;   in Loop: Header=BB148_48 Depth=1
	v_or_b32_e32 v7, 0x10000, v42
	v_cmp_eq_u32_sdwa vcc, v42, v17 src0_sel:WORD_0 src1_sel:DWORD
	s_nop 1
	v_cndmask_b32_e32 v7, v7, v42, vcc
; %bb.303:                              ;   in Loop: Header=BB148_48 Depth=1
	s_or_b64 exec, exec, s[0:1]
	v_lshlrev_b32_e32 v4, 16, v4
	v_mul_f32_e32 v42, v55, v4
	v_and_b32_e32 v4, 0x7f800000, v42
	v_cmp_ne_u32_e32 vcc, s24, v4
                                        ; implicit-def: $vgpr4
	s_and_saveexec_b64 s[0:1], vcc
	s_xor_b64 s[0:1], exec, s[0:1]
; %bb.304:                              ;   in Loop: Header=BB148_48 Depth=1
	v_bfe_u32 v4, v42, 16, 1
	v_add3_u32 v4, v42, v4, s25
                                        ; implicit-def: $vgpr42
; %bb.305:                              ;   in Loop: Header=BB148_48 Depth=1
	s_andn2_saveexec_b64 s[0:1], s[0:1]
; %bb.306:                              ;   in Loop: Header=BB148_48 Depth=1
	v_or_b32_e32 v4, 0x10000, v42
	v_cmp_eq_u32_sdwa vcc, v42, v17 src0_sel:WORD_0 src1_sel:DWORD
	s_nop 1
	v_cndmask_b32_e32 v4, v4, v42, vcc
; %bb.307:                              ;   in Loop: Header=BB148_48 Depth=1
	s_or_b64 exec, exec, s[0:1]
	v_lshlrev_b32_e32 v42, 16, v95
	v_mul_f32_e32 v43, v57, v42
	v_and_b32_e32 v42, 0x7f800000, v43
	v_cmp_ne_u32_e32 vcc, s24, v42
                                        ; implicit-def: $vgpr42
	s_and_saveexec_b64 s[0:1], vcc
	s_xor_b64 s[0:1], exec, s[0:1]
; %bb.308:                              ;   in Loop: Header=BB148_48 Depth=1
	v_bfe_u32 v42, v43, 16, 1
	v_add3_u32 v42, v43, v42, s25
                                        ; implicit-def: $vgpr43
; %bb.309:                              ;   in Loop: Header=BB148_48 Depth=1
	s_andn2_saveexec_b64 s[0:1], s[0:1]
; %bb.310:                              ;   in Loop: Header=BB148_48 Depth=1
	v_or_b32_e32 v42, 0x10000, v43
	v_cmp_eq_u32_sdwa vcc, v43, v17 src0_sel:WORD_0 src1_sel:DWORD
	s_nop 1
	v_cndmask_b32_e32 v42, v42, v43, vcc
; %bb.311:                              ;   in Loop: Header=BB148_48 Depth=1
	s_or_b64 exec, exec, s[0:1]
	v_lshlrev_b32_e32 v5, 16, v5
	v_mul_f32_e32 v43, v58, v5
	v_and_b32_e32 v5, 0x7f800000, v43
	v_cmp_ne_u32_e32 vcc, s24, v5
                                        ; implicit-def: $vgpr5
	s_and_saveexec_b64 s[0:1], vcc
	s_xor_b64 s[0:1], exec, s[0:1]
; %bb.312:                              ;   in Loop: Header=BB148_48 Depth=1
	v_bfe_u32 v5, v43, 16, 1
	v_add3_u32 v5, v43, v5, s25
                                        ; implicit-def: $vgpr43
; %bb.313:                              ;   in Loop: Header=BB148_48 Depth=1
	s_andn2_saveexec_b64 s[0:1], s[0:1]
; %bb.314:                              ;   in Loop: Header=BB148_48 Depth=1
	v_or_b32_e32 v5, 0x10000, v43
	v_cmp_eq_u32_sdwa vcc, v43, v17 src0_sel:WORD_0 src1_sel:DWORD
	s_nop 1
	v_cndmask_b32_e32 v5, v5, v43, vcc
; %bb.315:                              ;   in Loop: Header=BB148_48 Depth=1
	s_or_b64 exec, exec, s[0:1]
	v_lshlrev_b32_e32 v25, 16, v25
	v_mul_f32_e32 v43, v59, v25
	v_and_b32_e32 v25, 0x7f800000, v43
	v_cmp_ne_u32_e32 vcc, s24, v25
                                        ; implicit-def: $vgpr25
	s_and_saveexec_b64 s[0:1], vcc
	s_xor_b64 s[0:1], exec, s[0:1]
; %bb.316:                              ;   in Loop: Header=BB148_48 Depth=1
	v_bfe_u32 v25, v43, 16, 1
	v_add3_u32 v25, v43, v25, s25
                                        ; implicit-def: $vgpr43
; %bb.317:                              ;   in Loop: Header=BB148_48 Depth=1
	s_andn2_saveexec_b64 s[0:1], s[0:1]
	s_cbranch_execz .LBB148_46
; %bb.318:                              ;   in Loop: Header=BB148_48 Depth=1
	v_or_b32_e32 v25, 0x10000, v43
	v_cmp_eq_u32_sdwa vcc, v43, v17 src0_sel:WORD_0 src1_sel:DWORD
	s_nop 1
	v_cndmask_b32_e32 v25, v25, v43, vcc
	s_branch .LBB148_46
.LBB148_319:
	s_or_b64 exec, exec, s[8:9]
.LBB148_320:
	s_or_b64 exec, exec, s[2:3]
	ds_bpermute_b32 v2, v27, v14
	ds_bpermute_b32 v3, v27, v15
	;; [unrolled: 1-line block ×7, first 2 shown]
	s_waitcnt lgkmcnt(5)
	v_pk_add_f32 v[2:3], v[14:15], v[2:3]
	s_waitcnt lgkmcnt(4)
	v_add_f32_e32 v1, v30, v1
	ds_bpermute_b32 v6, v28, v2
	ds_bpermute_b32 v7, v28, v3
	s_waitcnt lgkmcnt(4)
	v_pk_add_f32 v[4:5], v[12:13], v[4:5]
	s_waitcnt lgkmcnt(2)
	v_pk_add_f32 v[10:11], v[10:11], v[8:9]
	ds_bpermute_b32 v16, v28, v1
	ds_bpermute_b32 v12, v28, v4
	ds_bpermute_b32 v13, v28, v5
	ds_bpermute_b32 v14, v28, v10
	ds_bpermute_b32 v15, v28, v11
	s_waitcnt lgkmcnt(5)
	v_pk_add_f32 v[8:9], v[2:3], v[6:7]
	s_waitcnt lgkmcnt(4)
	v_add_f32_e32 v6, v1, v16
	v_and_b32_e32 v1, 0x3c3, v0
	s_waitcnt lgkmcnt(2)
	v_pk_add_f32 v[4:5], v[4:5], v[12:13]
	s_waitcnt lgkmcnt(0)
	v_pk_add_f32 v[2:3], v[10:11], v[14:15]
	v_cmp_eq_u32_e32 vcc, 64, v1
	s_barrier
	s_and_saveexec_b64 s[0:1], vcc
	s_cbranch_execz .LBB148_322
; %bb.321:
	v_add_u32_e32 v1, 0xf0, v26
	ds_write2_b32 v1, v8, v9 offset1:16
	ds_write2_b32 v1, v4, v5 offset0:32 offset1:48
	ds_write2_b32 v1, v2, v3 offset0:64 offset1:80
	ds_write_b32 v1, v6 offset:384
.LBB148_322:
	s_or_b64 exec, exec, s[0:1]
	v_cmp_gt_u32_e32 vcc, 64, v0
	s_waitcnt lgkmcnt(0)
	s_barrier
	s_and_saveexec_b64 s[2:3], vcc
	s_cbranch_execz .LBB148_332
; %bb.323:
	v_cmp_eq_u32_e64 s[0:1], 0, v29
	v_lshrrev_b32_e32 v1, 2, v0
	s_and_saveexec_b64 s[6:7], s[0:1]
	s_cbranch_execnz .LBB148_364
; %bb.324:
	s_or_b64 exec, exec, s[6:7]
	s_and_saveexec_b64 s[6:7], s[0:1]
	s_cbranch_execnz .LBB148_365
.LBB148_325:
	s_or_b64 exec, exec, s[6:7]
	s_and_saveexec_b64 s[6:7], s[0:1]
	s_cbranch_execnz .LBB148_366
.LBB148_326:
	s_or_b64 exec, exec, s[6:7]
	s_and_saveexec_b64 s[6:7], s[0:1]
	s_cbranch_execnz .LBB148_367
.LBB148_327:
	s_or_b64 exec, exec, s[6:7]
	s_and_saveexec_b64 s[6:7], s[0:1]
	s_cbranch_execnz .LBB148_368
.LBB148_328:
	s_or_b64 exec, exec, s[6:7]
	s_and_saveexec_b64 s[6:7], s[0:1]
	s_cbranch_execnz .LBB148_369
.LBB148_329:
	s_or_b64 exec, exec, s[6:7]
	s_and_saveexec_b64 s[6:7], s[0:1]
	s_cbranch_execz .LBB148_331
.LBB148_330:
	v_mov_b32_e32 v7, 0xf0
	v_lshl_add_u32 v1, v1, 2, v7
	ds_read_b32 v1, v1 offset:384
	s_waitcnt lgkmcnt(0)
	v_add_f32_e32 v6, v6, v1
.LBB148_331:
	s_or_b64 exec, exec, s[6:7]
.LBB148_332:
	s_or_b64 exec, exec, s[2:3]
	s_barrier
	s_and_saveexec_b64 s[0:1], vcc
	s_cbranch_execz .LBB148_363
; %bb.333:
	v_cmp_eq_u32_e32 vcc, 0, v29
	s_and_b64 exec, exec, vcc
	s_cbranch_execz .LBB148_363
; %bb.334:
	s_mov_b32 s0, 0x7f800000
	v_and_b32_e32 v1, 0x7f800000, v8
	v_cmp_ne_u32_e32 vcc, s0, v1
                                        ; implicit-def: $vgpr7
	s_and_saveexec_b64 s[0:1], vcc
	s_xor_b64 s[0:1], exec, s[0:1]
; %bb.335:
	v_bfe_u32 v1, v8, 16, 1
	s_movk_i32 s2, 0x7fff
	v_add3_u32 v7, v8, v1, s2
; %bb.336:
	s_andn2_saveexec_b64 s[0:1], s[0:1]
; %bb.337:
	v_mov_b32_e32 v1, 0
	v_or_b32_e32 v7, 0x10000, v8
	v_cmp_eq_u32_sdwa vcc, v8, v1 src0_sel:WORD_0 src1_sel:DWORD
	s_nop 1
	v_cndmask_b32_e32 v7, v7, v8, vcc
; %bb.338:
	s_or_b64 exec, exec, s[0:1]
	s_mul_i32 s0, s10, s11
	s_mul_i32 s0, s0, s5
	s_mulk_i32 s0, 0x70
	s_ashr_i32 s1, s0, 31
	s_lshl_b64 s[0:1], s[0:1], 1
	s_add_u32 s2, s22, s0
	s_mul_i32 s0, s11, s20
	s_addc_u32 s3, s23, s1
	s_ashr_i32 s1, s0, 31
	s_lshl_b64 s[0:1], s[0:1], 1
	s_add_u32 s2, s2, s0
	s_mul_i32 s0, s4, 0x70
	s_addc_u32 s3, s3, s1
	s_ashr_i32 s1, s0, 31
	s_lshl_b64 s[0:1], s[0:1], 1
	s_add_u32 s0, s2, s0
	v_lshrrev_b32_e32 v0, 1, v0
	s_addc_u32 s1, s3, s1
	v_and_b32_e32 v0, 0x1fe, v0
	global_store_short_d16_hi v0, v7, s[0:1]
	s_mov_b32 s2, 0x7f800000
	v_and_b32_e32 v7, 0x7f800000, v9
	v_mov_b32_e32 v1, 0
	v_cmp_ne_u32_e32 vcc, s2, v7
                                        ; implicit-def: $vgpr7
	s_and_saveexec_b64 s[2:3], vcc
	s_xor_b64 s[2:3], exec, s[2:3]
; %bb.339:
	v_bfe_u32 v7, v9, 16, 1
	s_movk_i32 s4, 0x7fff
	v_add3_u32 v7, v9, v7, s4
; %bb.340:
	s_or_saveexec_b64 s[2:3], s[2:3]
	v_lshl_add_u64 v[10:11], s[0:1], 0, v[0:1]
	s_xor_b64 exec, exec, s[2:3]
; %bb.341:
	v_mov_b32_e32 v0, 0
	v_or_b32_e32 v1, 0x10000, v9
	v_cmp_eq_u32_sdwa vcc, v9, v0 src0_sel:WORD_0 src1_sel:DWORD
	s_nop 1
	v_cndmask_b32_e32 v7, v1, v9, vcc
; %bb.342:
	s_or_b64 exec, exec, s[2:3]
	s_mov_b32 s0, 0x7f800000
	v_and_b32_e32 v0, 0x7f800000, v4
	v_cmp_ne_u32_e32 vcc, s0, v0
	global_store_short_d16_hi v[10:11], v7, off offset:32
                                        ; implicit-def: $vgpr0
	s_and_saveexec_b64 s[0:1], vcc
	s_xor_b64 s[0:1], exec, s[0:1]
; %bb.343:
	v_bfe_u32 v0, v4, 16, 1
	s_movk_i32 s2, 0x7fff
	v_add3_u32 v0, v4, v0, s2
; %bb.344:
	s_andn2_saveexec_b64 s[0:1], s[0:1]
; %bb.345:
	v_mov_b32_e32 v0, 0
	v_or_b32_e32 v1, 0x10000, v4
	v_cmp_eq_u32_sdwa vcc, v4, v0 src0_sel:WORD_0 src1_sel:DWORD
	s_nop 1
	v_cndmask_b32_e32 v0, v1, v4, vcc
; %bb.346:
	s_or_b64 exec, exec, s[0:1]
	global_store_short_d16_hi v[10:11], v0, off offset:64
	s_mov_b32 s0, 0x7f800000
	v_and_b32_e32 v0, 0x7f800000, v5
	v_cmp_ne_u32_e32 vcc, s0, v0
                                        ; implicit-def: $vgpr0
	s_and_saveexec_b64 s[0:1], vcc
	s_xor_b64 s[0:1], exec, s[0:1]
; %bb.347:
	v_bfe_u32 v0, v5, 16, 1
	s_movk_i32 s2, 0x7fff
	v_add3_u32 v0, v5, v0, s2
; %bb.348:
	s_andn2_saveexec_b64 s[0:1], s[0:1]
; %bb.349:
	v_mov_b32_e32 v0, 0
	v_or_b32_e32 v1, 0x10000, v5
	v_cmp_eq_u32_sdwa vcc, v5, v0 src0_sel:WORD_0 src1_sel:DWORD
	s_nop 1
	v_cndmask_b32_e32 v0, v1, v5, vcc
; %bb.350:
	s_or_b64 exec, exec, s[0:1]
	global_store_short_d16_hi v[10:11], v0, off offset:96
	s_mov_b32 s0, 0x7f800000
	v_and_b32_e32 v0, 0x7f800000, v2
	v_cmp_ne_u32_e32 vcc, s0, v0
	;; [unrolled: 21-line block ×4, first 2 shown]
                                        ; implicit-def: $vgpr7
	s_and_saveexec_b64 s[0:1], vcc
	s_xor_b64 s[0:1], exec, s[0:1]
; %bb.359:
	v_bfe_u32 v0, v6, 16, 1
	s_movk_i32 s2, 0x7fff
	v_add3_u32 v7, v6, v0, s2
                                        ; implicit-def: $vgpr0_vgpr1_vgpr2_vgpr3_vgpr4_vgpr5_vgpr6
; %bb.360:
	s_andn2_saveexec_b64 s[0:1], s[0:1]
; %bb.361:
	v_mov_b32_e32 v0, 0
	v_or_b32_e32 v1, 0x10000, v6
	v_cmp_eq_u32_sdwa vcc, v6, v0 src0_sel:WORD_0 src1_sel:DWORD
	s_nop 1
	v_cndmask_b32_e32 v7, v1, v6, vcc
; %bb.362:
	s_or_b64 exec, exec, s[0:1]
	global_store_short_d16_hi v[10:11], v7, off offset:192
.LBB148_363:
	s_endpgm
.LBB148_364:
	v_mov_b32_e32 v7, 0xf0
	v_lshl_add_u32 v7, v1, 2, v7
	ds_read_b32 v7, v7
	s_waitcnt lgkmcnt(0)
	v_add_f32_e32 v8, v8, v7
	s_or_b64 exec, exec, s[6:7]
	s_and_saveexec_b64 s[6:7], s[0:1]
	s_cbranch_execz .LBB148_325
.LBB148_365:
	v_mov_b32_e32 v7, 0xf0
	v_lshl_add_u32 v7, v1, 2, v7
	ds_read_b32 v7, v7 offset:64
	s_waitcnt lgkmcnt(0)
	v_add_f32_e32 v9, v9, v7
	s_or_b64 exec, exec, s[6:7]
	s_and_saveexec_b64 s[6:7], s[0:1]
	s_cbranch_execz .LBB148_326
.LBB148_366:
	v_mov_b32_e32 v7, 0xf0
	v_lshl_add_u32 v7, v1, 2, v7
	ds_read_b32 v7, v7 offset:128
	s_waitcnt lgkmcnt(0)
	v_add_f32_e32 v4, v4, v7
	s_or_b64 exec, exec, s[6:7]
	s_and_saveexec_b64 s[6:7], s[0:1]
	s_cbranch_execz .LBB148_327
.LBB148_367:
	v_mov_b32_e32 v7, 0xf0
	v_lshl_add_u32 v7, v1, 2, v7
	ds_read_b32 v7, v7 offset:192
	s_waitcnt lgkmcnt(0)
	v_add_f32_e32 v5, v5, v7
	s_or_b64 exec, exec, s[6:7]
	s_and_saveexec_b64 s[6:7], s[0:1]
	s_cbranch_execz .LBB148_328
.LBB148_368:
	v_mov_b32_e32 v7, 0xf0
	v_lshl_add_u32 v7, v1, 2, v7
	ds_read_b32 v7, v7 offset:256
	s_waitcnt lgkmcnt(0)
	v_add_f32_e32 v2, v2, v7
	s_or_b64 exec, exec, s[6:7]
	s_and_saveexec_b64 s[6:7], s[0:1]
	s_cbranch_execz .LBB148_329
.LBB148_369:
	v_mov_b32_e32 v7, 0xf0
	v_lshl_add_u32 v7, v1, 2, v7
	ds_read_b32 v7, v7 offset:320
	s_waitcnt lgkmcnt(0)
	v_add_f32_e32 v3, v3, v7
	s_or_b64 exec, exec, s[6:7]
	s_and_saveexec_b64 s[6:7], s[0:1]
	s_cbranch_execnz .LBB148_330
	s_branch .LBB148_331
	.section	.rodata,"a",@progbits
	.p2align	6, 0x0
	.amdhsa_kernel _ZN4vllm25paged_attention_v1_kernelI14__hip_bfloat16S1_Li112ELi32ELi128ELNS_18Fp8KVCacheDataTypeE0ELb1EEEvPT_PKS3_PKT0_S9_ifPKiSB_iPKfiiiSD_SD_iiiii
		.amdhsa_group_segment_fixed_size 240
		.amdhsa_private_segment_fixed_size 0
		.amdhsa_kernarg_size 384
		.amdhsa_user_sgpr_count 2
		.amdhsa_user_sgpr_dispatch_ptr 0
		.amdhsa_user_sgpr_queue_ptr 0
		.amdhsa_user_sgpr_kernarg_segment_ptr 1
		.amdhsa_user_sgpr_dispatch_id 0
		.amdhsa_user_sgpr_kernarg_preload_length 0
		.amdhsa_user_sgpr_kernarg_preload_offset 0
		.amdhsa_user_sgpr_private_segment_size 0
		.amdhsa_uses_dynamic_stack 0
		.amdhsa_enable_private_segment 0
		.amdhsa_system_sgpr_workgroup_id_x 1
		.amdhsa_system_sgpr_workgroup_id_y 1
		.amdhsa_system_sgpr_workgroup_id_z 1
		.amdhsa_system_sgpr_workgroup_info 0
		.amdhsa_system_vgpr_workitem_id 0
		.amdhsa_next_free_vgpr 108
		.amdhsa_next_free_sgpr 45
		.amdhsa_accum_offset 108
		.amdhsa_reserve_vcc 1
		.amdhsa_float_round_mode_32 0
		.amdhsa_float_round_mode_16_64 0
		.amdhsa_float_denorm_mode_32 3
		.amdhsa_float_denorm_mode_16_64 3
		.amdhsa_dx10_clamp 1
		.amdhsa_ieee_mode 1
		.amdhsa_fp16_overflow 0
		.amdhsa_tg_split 0
		.amdhsa_exception_fp_ieee_invalid_op 0
		.amdhsa_exception_fp_denorm_src 0
		.amdhsa_exception_fp_ieee_div_zero 0
		.amdhsa_exception_fp_ieee_overflow 0
		.amdhsa_exception_fp_ieee_underflow 0
		.amdhsa_exception_fp_ieee_inexact 0
		.amdhsa_exception_int_div_zero 0
	.end_amdhsa_kernel
	.section	.text._ZN4vllm25paged_attention_v1_kernelI14__hip_bfloat16S1_Li112ELi32ELi128ELNS_18Fp8KVCacheDataTypeE0ELb1EEEvPT_PKS3_PKT0_S9_ifPKiSB_iPKfiiiSD_SD_iiiii,"axG",@progbits,_ZN4vllm25paged_attention_v1_kernelI14__hip_bfloat16S1_Li112ELi32ELi128ELNS_18Fp8KVCacheDataTypeE0ELb1EEEvPT_PKS3_PKT0_S9_ifPKiSB_iPKfiiiSD_SD_iiiii,comdat
.Lfunc_end148:
	.size	_ZN4vllm25paged_attention_v1_kernelI14__hip_bfloat16S1_Li112ELi32ELi128ELNS_18Fp8KVCacheDataTypeE0ELb1EEEvPT_PKS3_PKT0_S9_ifPKiSB_iPKfiiiSD_SD_iiiii, .Lfunc_end148-_ZN4vllm25paged_attention_v1_kernelI14__hip_bfloat16S1_Li112ELi32ELi128ELNS_18Fp8KVCacheDataTypeE0ELb1EEEvPT_PKS3_PKT0_S9_ifPKiSB_iPKfiiiSD_SD_iiiii
                                        ; -- End function
	.section	.AMDGPU.csdata,"",@progbits
; Kernel info:
; codeLenInByte = 13344
; NumSgprs: 51
; NumVgprs: 108
; NumAgprs: 0
; TotalNumVgprs: 108
; ScratchSize: 0
; MemoryBound: 0
; FloatMode: 240
; IeeeMode: 1
; LDSByteSize: 240 bytes/workgroup (compile time only)
; SGPRBlocks: 6
; VGPRBlocks: 13
; NumSGPRsForWavesPerEU: 51
; NumVGPRsForWavesPerEU: 108
; AccumOffset: 108
; Occupancy: 4
; WaveLimiterHint : 1
; COMPUTE_PGM_RSRC2:SCRATCH_EN: 0
; COMPUTE_PGM_RSRC2:USER_SGPR: 2
; COMPUTE_PGM_RSRC2:TRAP_HANDLER: 0
; COMPUTE_PGM_RSRC2:TGID_X_EN: 1
; COMPUTE_PGM_RSRC2:TGID_Y_EN: 1
; COMPUTE_PGM_RSRC2:TGID_Z_EN: 1
; COMPUTE_PGM_RSRC2:TIDIG_COMP_CNT: 0
; COMPUTE_PGM_RSRC3_GFX90A:ACCUM_OFFSET: 26
; COMPUTE_PGM_RSRC3_GFX90A:TG_SPLIT: 0
	.section	.text._ZN4vllm25paged_attention_v1_kernelI14__hip_bfloat16S1_Li120ELi32ELi128ELNS_18Fp8KVCacheDataTypeE0ELb1EEEvPT_PKS3_PKT0_S9_ifPKiSB_iPKfiiiSD_SD_iiiii,"axG",@progbits,_ZN4vllm25paged_attention_v1_kernelI14__hip_bfloat16S1_Li120ELi32ELi128ELNS_18Fp8KVCacheDataTypeE0ELb1EEEvPT_PKS3_PKT0_S9_ifPKiSB_iPKfiiiSD_SD_iiiii,comdat
	.protected	_ZN4vllm25paged_attention_v1_kernelI14__hip_bfloat16S1_Li120ELi32ELi128ELNS_18Fp8KVCacheDataTypeE0ELb1EEEvPT_PKS3_PKT0_S9_ifPKiSB_iPKfiiiSD_SD_iiiii ; -- Begin function _ZN4vllm25paged_attention_v1_kernelI14__hip_bfloat16S1_Li120ELi32ELi128ELNS_18Fp8KVCacheDataTypeE0ELb1EEEvPT_PKS3_PKT0_S9_ifPKiSB_iPKfiiiSD_SD_iiiii
	.globl	_ZN4vllm25paged_attention_v1_kernelI14__hip_bfloat16S1_Li120ELi32ELi128ELNS_18Fp8KVCacheDataTypeE0ELb1EEEvPT_PKS3_PKT0_S9_ifPKiSB_iPKfiiiSD_SD_iiiii
	.p2align	8
	.type	_ZN4vllm25paged_attention_v1_kernelI14__hip_bfloat16S1_Li120ELi32ELi128ELNS_18Fp8KVCacheDataTypeE0ELb1EEEvPT_PKS3_PKT0_S9_ifPKiSB_iPKfiiiSD_SD_iiiii,@function
_ZN4vllm25paged_attention_v1_kernelI14__hip_bfloat16S1_Li120ELi32ELi128ELNS_18Fp8KVCacheDataTypeE0ELb1EEEvPT_PKS3_PKT0_S9_ifPKiSB_iPKfiiiSD_SD_iiiii: ; @_ZN4vllm25paged_attention_v1_kernelI14__hip_bfloat16S1_Li120ELi32ELi128ELNS_18Fp8KVCacheDataTypeE0ELb1EEEvPT_PKS3_PKT0_S9_ifPKiSB_iPKfiiiSD_SD_iiiii
; %bb.0:
	s_load_dword s5, s[0:1], 0x80
	s_load_dwordx2 s[6:7], s[0:1], 0x30
	s_load_dwordx2 s[30:31], s[0:1], 0x20
	s_mov_b32 s10, s3
	s_ashr_i32 s11, s3, 31
	s_lshl_b64 s[8:9], s[10:11], 2
	s_waitcnt lgkmcnt(0)
	s_add_u32 s6, s6, s8
	s_addc_u32 s7, s7, s9
	s_abs_i32 s3, s30
	v_cvt_f32_u32_e32 v1, s3
	s_sub_i32 s11, 0, s3
	s_abs_i32 s9, s5
	s_xor_b32 s8, s5, s30
	v_rcp_iflag_f32_e32 v1, v1
	s_ashr_i32 s8, s8, 31
	s_mov_b32 s43, 0
	v_mul_f32_e32 v1, 0x4f7ffffe, v1
	v_cvt_u32_f32_e32 v1, v1
	s_nop 0
	v_readfirstlane_b32 s12, v1
	s_mul_i32 s11, s11, s12
	s_mul_hi_u32 s11, s12, s11
	s_add_i32 s12, s12, s11
	s_mul_hi_u32 s11, s9, s12
	s_mul_i32 s12, s11, s3
	s_sub_i32 s9, s9, s12
	s_add_i32 s12, s11, 1
	s_sub_i32 s13, s9, s3
	s_cmp_ge_u32 s9, s3
	s_cselect_b32 s11, s12, s11
	s_cselect_b32 s9, s13, s9
	s_add_i32 s12, s11, 1
	s_cmp_ge_u32 s9, s3
	s_cselect_b32 s3, s12, s11
	s_xor_b32 s3, s3, s8
	s_sub_i32 s12, s3, s8
	s_abs_i32 s11, s12
	v_cvt_f32_u32_e32 v1, s11
	s_load_dwordx2 s[8:9], s[0:1], 0x40
	s_sub_i32 s3, 0, s11
	s_abs_i32 s22, s2
	v_rcp_iflag_f32_e32 v1, v1
	s_nop 0
	v_mul_f32_e32 v1, 0x4f7ffffe, v1
	v_cvt_u32_f32_e32 v1, v1
	s_nop 0
	v_readfirstlane_b32 s13, v1
	s_mul_i32 s3, s3, s13
	s_mul_hi_u32 s3, s13, s3
	s_add_i32 s13, s13, s3
	s_waitcnt lgkmcnt(0)
	s_cmp_eq_u64 s[8:9], 0
	s_mul_hi_u32 s23, s22, s13
	s_cbranch_scc1 .LBB149_2
; %bb.1:
	s_ashr_i32 s3, s2, 31
	s_lshl_b64 s[14:15], s[2:3], 2
	s_add_u32 s8, s8, s14
	s_addc_u32 s9, s9, s15
	s_load_dword s43, s[8:9], 0x0
.LBB149_2:
	s_load_dword s33, s[6:7], 0x0
	s_ashr_i32 s9, s12, 31
	s_load_dwordx4 s[12:15], s[0:1], 0x48
	s_ashr_i32 s3, s2, 31
	v_and_b32_e32 v2, 1, v0
	s_movk_i32 s8, 0x78
	s_mul_i32 s20, s2, 0x78
	v_cmp_gt_u32_e32 vcc, 30, v0
	v_lshlrev_b32_e32 v47, 3, v0
	s_and_saveexec_b64 s[6:7], vcc
	s_cbranch_execz .LBB149_4
; %bb.3:
	s_load_dwordx2 s[16:17], s[0:1], 0x8
	s_waitcnt lgkmcnt(0)
	s_mul_i32 s18, s10, s12
	s_ashr_i32 s19, s18, 31
	s_lshl_b64 s[18:19], s[18:19], 1
	v_lshlrev_b32_e32 v1, 2, v0
	s_add_u32 s12, s16, s18
	s_addc_u32 s15, s17, s19
	s_ashr_i32 s21, s20, 31
	s_lshl_b64 s[16:17], s[20:21], 1
	s_add_u32 s16, s12, s16
	s_addc_u32 s17, s15, s17
	global_load_dwordx2 v[4:5], v47, s[16:17]
	v_and_b32_e32 v1, 0xff8, v1
	v_mad_u32_u24 v1, v2, s8, v1
	s_waitcnt vmcnt(0)
	ds_write_b64 v1, v[4:5]
.LBB149_4:
	s_or_b64 exec, exec, s[6:7]
	s_mul_i32 s6, s23, s11
	s_sub_i32 s6, s22, s6
	s_xor_b32 s3, s3, s9
	s_add_i32 s7, s23, 1
	s_sub_i32 s9, s6, s11
	s_load_dwordx4 s[16:19], s[0:1], 0x68
	s_load_dword s8, s[0:1], 0x78
	s_cmp_ge_u32 s6, s11
	s_cselect_b32 s7, s7, s23
	s_cselect_b32 s6, s9, s6
	s_add_i32 s9, s7, 1
	s_cmp_ge_u32 s6, s11
	s_cselect_b32 s6, s9, s7
	s_waitcnt lgkmcnt(0)
	s_abs_i32 s21, s19
	v_cvt_f32_u32_e32 v1, s21
	s_xor_b32 s6, s6, s3
	s_sub_i32 s3, s6, s3
	s_sub_i32 s6, 0, s21
	v_rcp_iflag_f32_e32 v1, v1
	s_add_i32 s11, s33, -1
	s_abs_i32 s9, s11
	v_mul_f32_e32 v1, 0x4f7ffffe, v1
	v_cvt_u32_f32_e32 v1, v1
	s_barrier
	v_readfirstlane_b32 s40, v1
	s_mul_i32 s6, s6, s40
	s_mul_hi_u32 s6, s40, s6
	s_add_i32 s40, s40, s6
	s_cmp_lt_i32 s8, 0
	s_mul_hi_u32 s12, s9, s40
	s_cbranch_scc0 .LBB149_6
; %bb.5:
	s_mul_i32 s6, s16, s30
	s_add_i32 s6, s3, s6
	s_mul_i32 s6, s6, s8
	s_sub_i32 s41, 1, s6
	s_mov_b64 s[6:7], 0
	s_branch .LBB149_7
.LBB149_6:
	s_mov_b64 s[6:7], -1
                                        ; implicit-def: $sgpr41
.LBB149_7:
	s_load_dwordx2 s[24:25], s[0:1], 0x28
	s_ashr_i32 s15, s11, 31
	s_andn2_b64 vcc, exec, s[6:7]
	s_ashr_i32 s19, s19, 31
	s_cbranch_vccnz .LBB149_9
; %bb.8:
	s_mul_i32 s6, s5, s16
	s_add_i32 s2, s6, s2
	s_mul_i32 s2, s2, s8
	s_add_i32 s41, s2, 1
.LBB149_9:
	s_load_dword s2, s[0:1], 0x38
	s_load_dwordx2 s[22:23], s[0:1], 0x0
	s_load_dwordx2 s[28:29], s[0:1], 0x18
	s_load_dword s11, s[0:1], 0x88
	s_xor_b32 s6, s15, s19
	s_waitcnt lgkmcnt(0)
	s_mul_i32 s26, s10, s2
	s_mul_i32 s2, s12, s21
	s_sub_i32 s2, s9, s2
	s_ashr_i32 s27, s26, 31
	s_add_i32 s7, s12, 1
	s_sub_i32 s8, s2, s21
	s_cmp_ge_u32 s2, s21
	s_cselect_b32 s7, s7, s12
	s_cselect_b32 s2, s8, s2
	s_add_i32 s8, s7, 1
	s_cmp_ge_u32 s2, s21
	s_cselect_b32 s2, s8, s7
	s_xor_b32 s2, s2, s6
	s_sub_i32 s12, s2, s6
	s_add_i32 s2, s33, 31
	s_ashr_i32 s6, s2, 31
	s_lshr_b32 s6, s6, 27
	s_add_i32 s2, s2, s6
	s_ashr_i32 s42, s2, 5
	v_lshrrev_b32_e32 v1, 6, v0
	v_cmp_gt_i32_e64 s[6:7], s42, v1
	v_mov_b32_e32 v52, 0xff7fffff
	s_mul_i32 s14, s3, s14
	v_lshrrev_b32_e32 v48, 4, v0
	v_lshlrev_b32_e32 v46, 5, v1
	v_mbcnt_lo_u32_b32 v49, -1, 0
	s_and_saveexec_b64 s[34:35], s[6:7]
	s_cbranch_execz .LBB149_19
; %bb.10:
	s_load_dwordx2 s[0:1], s[0:1], 0x10
	s_ashr_i32 s15, s14, 31
	s_sub_i32 s16, s12, s17
	s_lshl_b64 s[2:3], s[14:15], 1
	v_bfe_u32 v50, v0, 1, 5
	s_waitcnt lgkmcnt(0)
	s_add_u32 s0, s0, s2
	s_addc_u32 s1, s1, s3
	s_abs_i32 s15, s18
	v_cvt_f32_u32_e32 v3, s15
	v_lshlrev_b32_e32 v4, 4, v50
	v_mov_b32_e32 v5, 0
	v_lshl_add_u64 v[6:7], s[0:1], 0, v[4:5]
	v_rcp_iflag_f32_e32 v3, v3
	s_sub_i32 s0, 0, s15
	v_cmp_eq_u32_e32 vcc, 0, v2
	v_mul_u32_u24_e32 v51, 0x78, v2
	v_mul_f32_e32 v3, 0x4f7ffffe, v3
	v_cvt_u32_f32_e32 v3, v3
	v_and_b32_e32 v4, 8, v47
	v_mbcnt_hi_u32_b32 v58, -1, v49
	v_lshl_add_u64 v[30:31], v[6:7], 0, v[4:5]
	v_mul_lo_u32 v2, s0, v3
	v_mul_hi_u32 v2, v3, v2
	v_add_u32_e32 v53, v3, v2
	v_lshlrev_b32_e32 v2, 2, v50
	s_lshl_b64 s[0:1], s[26:27], 2
	v_lshl_or_b32 v2, v1, 7, v2
	s_add_u32 s0, s24, s0
	v_add_u32_e32 v55, 0x100, v2
	v_subrev_u32_e32 v2, s33, v50
	v_and_b32_e32 v4, 60, v48
	s_addc_u32 s1, s25, s1
	v_add_u32_e32 v56, 1, v2
	v_and_b32_e32 v2, 64, v58
	s_mov_b32 s30, s13
	v_cmp_neq_f32_e64 s[2:3], s43, 0
	v_lshl_add_u64 v[32:33], s[0:1], 0, v[4:5]
	v_lshlrev_b32_e32 v54, 5, v1
	s_mov_b64 s[36:37], 0
	v_mov_b32_e32 v57, 0xff7fffff
	s_movk_i32 s44, 0x1000
	v_xor_b32_e32 v59, 1, v58
	v_add_u32_e32 v60, 64, v2
	v_mov_b32_e32 v52, 0xff7fffff
	v_mov_b32_e32 v61, v1
	s_branch .LBB149_13
.LBB149_11:                             ;   in Loop: Header=BB149_13 Depth=1
	s_or_b64 exec, exec, s[38:39]
.LBB149_12:                             ;   in Loop: Header=BB149_13 Depth=1
	s_or_b64 exec, exec, s[8:9]
	v_add_u32_e32 v61, 2, v61
	v_cmp_le_i32_e64 s[0:1], s42, v61
	v_lshl_add_u64 v[32:33], v[32:33], 0, 8
	v_add_u32_e32 v54, 64, v54
	s_or_b64 s[36:37], s[0:1], s[36:37]
	v_add_u32_e32 v55, 0x100, v55
	s_andn2_b64 exec, exec, s[36:37]
	s_cbranch_execz .LBB149_18
.LBB149_13:                             ; =>This Inner Loop Header: Depth=1
	v_mul_hi_u32 v2, v54, s40
	s_waitcnt lgkmcnt(0)
	v_mul_lo_u32 v3, v2, s21
	v_sub_u32_e32 v3, v54, v3
	v_add_u32_e32 v4, 1, v2
	v_cmp_le_u32_e64 s[0:1], s21, v3
	s_nop 1
	v_cndmask_b32_e64 v2, v2, v4, s[0:1]
	v_subrev_u32_e32 v4, s21, v3
	v_cndmask_b32_e64 v3, v3, v4, s[0:1]
	v_add_u32_e32 v4, 1, v2
	v_cmp_le_u32_e64 s[0:1], s21, v3
	s_nop 1
	v_cndmask_b32_e64 v2, v2, v4, s[0:1]
	v_xor_b32_e32 v2, s19, v2
	v_subrev_u32_e32 v2, s19, v2
	v_add_u32_e32 v3, s41, v2
	v_sub_u32_e32 v5, 0, v3
	v_ashrrev_i32_e32 v4, 31, v3
	v_max_i32_e32 v3, v3, v5
	v_mul_hi_u32 v5, v3, v53
	v_mul_lo_u32 v5, v5, s15
	v_sub_u32_e32 v3, v3, v5
	v_subrev_u32_e32 v5, s15, v3
	v_cmp_le_u32_e64 s[0:1], s15, v3
	v_cmp_ge_i32_e64 s[8:9], s16, v2
	s_nop 0
	v_cndmask_b32_e64 v3, v3, v5, s[0:1]
	v_subrev_u32_e32 v5, s15, v3
	v_cmp_le_u32_e64 s[0:1], s15, v3
	s_nop 1
	v_cndmask_b32_e64 v3, v3, v5, s[0:1]
	v_xor_b32_e32 v3, v3, v4
	v_sub_u32_e32 v3, v3, v4
	v_cmp_ne_u32_e64 s[0:1], 0, v3
	s_and_b64 s[0:1], s[0:1], s[8:9]
	s_and_b64 s[38:39], vcc, s[0:1]
	s_and_saveexec_b64 s[8:9], s[38:39]
	s_cbranch_execz .LBB149_15
; %bb.14:                               ;   in Loop: Header=BB149_13 Depth=1
	ds_write_b32 v55, v57
.LBB149_15:                             ;   in Loop: Header=BB149_13 Depth=1
	s_or_b64 exec, exec, s[8:9]
	s_xor_b64 s[0:1], s[0:1], -1
	s_and_saveexec_b64 s[8:9], s[0:1]
	s_cbranch_execz .LBB149_12
; %bb.16:                               ;   in Loop: Header=BB149_13 Depth=1
	global_load_dword v2, v[32:33], off
	s_waitcnt vmcnt(0)
	v_mad_i64_i32 v[2:3], s[0:1], v2, s30, 0
	v_lshl_add_u64 v[42:43], v[2:3], 1, v[30:31]
	global_load_dwordx2 v[36:37], v[42:43], off offset:1024
	global_load_dwordx2 v[34:35], v[42:43], off offset:1536
	;; [unrolled: 1-line block ×3, first 2 shown]
	global_load_dwordx2 v[40:41], v[42:43], off
	v_cmp_lt_i32_e64 s[0:1], v59, v60
	ds_read2_b64 v[26:29], v51 offset1:1
	ds_read2_b64 v[22:25], v51 offset0:2 offset1:3
	ds_read2_b64 v[18:21], v51 offset0:4 offset1:5
	;; [unrolled: 1-line block ×5, first 2 shown]
	v_cndmask_b32_e64 v62, v58, v59, s[0:1]
	ds_read2_b64 v[2:5], v51 offset0:12 offset1:13
	ds_read_b64 v[44:45], v51 offset:112
	v_lshlrev_b32_e32 v76, 2, v62
	global_load_dwordx2 v[62:63], v[42:43], off offset:2048
	global_load_dwordx2 v[64:65], v[42:43], off offset:2560
	;; [unrolled: 1-line block ×4, first 2 shown]
	v_add_co_u32_e64 v42, s[0:1], s44, v42
	s_waitcnt lgkmcnt(3)
	v_lshlrev_b32_e32 v93, 16, v10
	v_addc_co_u32_e64 v43, s[0:1], 0, v43, s[0:1]
	global_load_dwordx2 v[70:71], v[42:43], off
	global_load_dwordx2 v[72:73], v[42:43], off offset:512
	global_load_dwordx2 v[74:75], v[42:43], off offset:1024
	v_lshlrev_b32_e32 v94, 16, v11
	s_waitcnt lgkmcnt(2)
	v_lshlrev_b32_e32 v97, 16, v6
	v_lshlrev_b32_e32 v98, 16, v7
	;; [unrolled: 1-line block ×4, first 2 shown]
	v_and_b32_e32 v101, 0xffff0000, v10
	v_and_b32_e32 v102, 0xffff0000, v11
	;; [unrolled: 1-line block ×6, first 2 shown]
	s_waitcnt lgkmcnt(1)
	v_lshlrev_b32_e32 v107, 16, v2
	v_lshlrev_b32_e32 v108, 16, v3
	v_and_b32_e32 v109, 0xffff0000, v2
	v_and_b32_e32 v110, 0xffff0000, v3
	global_load_dwordx2 v[6:7], v[42:43], off offset:1536
	global_load_dwordx2 v[8:9], v[42:43], off offset:2048
	;; [unrolled: 1-line block ×4, first 2 shown]
	v_lshlrev_b32_e32 v79, 16, v28
	v_and_b32_e32 v28, 0xffff0000, v28
	v_lshlrev_b32_e32 v77, 16, v26
	v_lshlrev_b32_e32 v80, 16, v29
	v_and_b32_e32 v26, 0xffff0000, v26
	v_and_b32_e32 v29, 0xffff0000, v29
	v_lshlrev_b32_e32 v78, 16, v27
	v_lshlrev_b32_e32 v81, 16, v22
	v_and_b32_e32 v27, 0xffff0000, v27
	;; [unrolled: 4-line block ×7, first 2 shown]
	v_and_b32_e32 v16, 0xffff0000, v16
	v_lshlrev_b32_e32 v92, 16, v17
	v_and_b32_e32 v17, 0xffff0000, v17
	v_lshlrev_b32_e32 v95, 16, v12
	;; [unrolled: 2-line block ×3, first 2 shown]
	v_and_b32_e32 v13, 0xffff0000, v13
	s_waitcnt vmcnt(14)
	v_lshlrev_b32_e32 v113, 16, v36
	v_and_b32_e32 v36, 0xffff0000, v36
	s_waitcnt vmcnt(12)
	v_lshlrev_b32_e32 v42, 16, v38
	v_and_b32_e32 v38, 0xffff0000, v38
	s_waitcnt vmcnt(11)
	v_lshlrev_b32_e32 v43, 16, v40
	v_and_b32_e32 v40, 0xffff0000, v40
	v_lshlrev_b32_e32 v111, 16, v39
	v_and_b32_e32 v39, 0xffff0000, v39
	v_mul_f32_e32 v28, v28, v38
	v_lshlrev_b32_e32 v112, 16, v41
	v_and_b32_e32 v41, 0xffff0000, v41
	v_mul_f32_e32 v42, v79, v42
	v_mul_f32_e32 v38, v80, v111
	;; [unrolled: 1-line block ×3, first 2 shown]
	v_fmac_f32_e32 v28, v26, v40
	v_lshlrev_b32_e32 v114, 16, v37
	v_and_b32_e32 v37, 0xffff0000, v37
	v_lshlrev_b32_e32 v115, 16, v34
	v_and_b32_e32 v34, 0xffff0000, v34
	v_fmac_f32_e32 v42, v77, v43
	v_fmac_f32_e32 v38, v78, v112
	v_fmac_f32_e32 v29, v27, v41
	v_fmac_f32_e32 v28, v22, v36
	v_lshlrev_b32_e32 v116, 16, v35
	v_and_b32_e32 v35, 0xffff0000, v35
	s_waitcnt vmcnt(10)
	v_lshlrev_b32_e32 v117, 16, v62
	v_and_b32_e32 v62, 0xffff0000, v62
	v_fmac_f32_e32 v42, v81, v113
	v_fmac_f32_e32 v38, v82, v114
	v_fmac_f32_e32 v29, v23, v37
	v_fmac_f32_e32 v28, v24, v34
	v_lshlrev_b32_e32 v118, 16, v63
	v_and_b32_e32 v63, 0xffff0000, v63
	s_waitcnt vmcnt(9)
	;; [unrolled: 9-line block ×7, first 2 shown]
	v_lshlrev_b32_e32 v125, 16, v74
	v_and_b32_e32 v74, 0xffff0000, v74
	v_fmac_f32_e32 v42, v93, v39
	v_fmac_f32_e32 v38, v94, v79
	;; [unrolled: 1-line block ×4, first 2 shown]
	v_lshlrev_b32_e32 v126, 16, v75
	v_and_b32_e32 v75, 0xffff0000, v75
	v_fmac_f32_e32 v42, v95, v80
	v_fmac_f32_e32 v38, v96, v111
	;; [unrolled: 1-line block ×4, first 2 shown]
	s_waitcnt vmcnt(3)
	v_lshlrev_b32_e32 v12, 16, v6
	v_and_b32_e32 v6, 0xffff0000, v6
	v_fmac_f32_e32 v42, v97, v125
	v_fmac_f32_e32 v38, v98, v126
	;; [unrolled: 1-line block ×4, first 2 shown]
	v_lshlrev_b32_e32 v6, 16, v7
	v_and_b32_e32 v7, 0xffff0000, v7
	v_fmac_f32_e32 v42, v99, v12
	v_fmac_f32_e32 v38, v100, v6
	;; [unrolled: 1-line block ×3, first 2 shown]
	s_waitcnt vmcnt(2)
	v_lshlrev_b32_e32 v6, 16, v8
	v_and_b32_e32 v7, 0xffff0000, v8
	v_fmac_f32_e32 v42, v107, v6
	v_fmac_f32_e32 v28, v109, v7
	v_lshlrev_b32_e32 v6, 16, v9
	v_and_b32_e32 v7, 0xffff0000, v9
	v_fmac_f32_e32 v38, v108, v6
	v_fmac_f32_e32 v29, v110, v7
	v_lshlrev_b32_e32 v6, 16, v4
	v_and_b32_e32 v4, 0xffff0000, v4
	s_waitcnt vmcnt(1)
	v_lshlrev_b32_e32 v7, 16, v10
	v_and_b32_e32 v8, 0xffff0000, v10
	v_fmac_f32_e32 v42, v7, v6
	v_fmac_f32_e32 v28, v8, v4
	v_lshlrev_b32_e32 v4, 16, v5
	v_and_b32_e32 v5, 0xffff0000, v5
	v_lshlrev_b32_e32 v6, 16, v11
	v_and_b32_e32 v7, 0xffff0000, v11
	v_fmac_f32_e32 v38, v6, v4
	v_fmac_f32_e32 v29, v7, v5
	s_waitcnt lgkmcnt(0)
	v_lshlrev_b32_e32 v4, 16, v44
	v_and_b32_e32 v5, 0xffff0000, v44
	s_waitcnt vmcnt(0)
	v_lshlrev_b32_e32 v6, 16, v2
	v_and_b32_e32 v2, 0xffff0000, v2
	v_fmac_f32_e32 v42, v6, v4
	v_fmac_f32_e32 v28, v2, v5
	v_lshlrev_b32_e32 v2, 16, v45
	v_lshlrev_b32_e32 v5, 16, v3
	v_and_b32_e32 v4, 0xffff0000, v45
	v_and_b32_e32 v3, 0xffff0000, v3
	v_fmac_f32_e32 v38, v5, v2
	v_add_f32_e32 v2, v42, v28
	v_fmac_f32_e32 v29, v3, v4
	v_add_f32_e32 v2, v2, v38
	v_add_f32_e32 v2, v29, v2
	ds_bpermute_b32 v3, v76, v2
	s_and_saveexec_b64 s[38:39], vcc
	s_cbranch_execz .LBB149_11
; %bb.17:                               ;   in Loop: Header=BB149_13 Depth=1
	v_add_u32_e32 v4, v56, v54
	v_cvt_f32_i32_e32 v4, v4
	s_waitcnt lgkmcnt(0)
	v_add_f32_e32 v2, v2, v3
	v_add_u32_e32 v5, v50, v54
	v_cmp_gt_i32_e64 s[0:1], s33, v5
	v_mul_f32_e32 v3, s43, v4
	v_cndmask_b32_e64 v3, 0, v3, s[2:3]
	v_fmac_f32_e32 v3, s31, v2
	v_cndmask_b32_e64 v2, 0, v3, s[0:1]
	ds_write_b32 v55, v2
	v_max_f32_e32 v2, v52, v52
	v_max_f32_e32 v2, v2, v3
	v_cndmask_b32_e64 v52, v52, v2, s[0:1]
	s_branch .LBB149_11
.LBB149_18:
	s_or_b64 exec, exec, s[36:37]
.LBB149_19:
	s_or_b64 exec, exec, s[34:35]
	v_mbcnt_hi_u32_b32 v9, -1, v49
	v_and_b32_e32 v2, 64, v9
	v_add_u32_e32 v10, 64, v2
	v_xor_b32_e32 v2, 32, v9
	v_cmp_lt_i32_e32 vcc, v2, v10
	v_xor_b32_e32 v5, 16, v9
	v_max_f32_e32 v4, v52, v52
	v_cndmask_b32_e32 v2, v9, v2, vcc
	v_lshlrev_b32_e32 v2, 2, v2
	s_waitcnt lgkmcnt(0)
	ds_bpermute_b32 v3, v2, v52
	v_cmp_lt_i32_e32 vcc, v5, v10
	v_xor_b32_e32 v6, 8, v9
	v_xor_b32_e32 v7, 4, v9
	;; [unrolled: 1-line block ×3, first 2 shown]
	s_waitcnt lgkmcnt(0)
	v_max_f32_e32 v3, v3, v3
	v_max_f32_e32 v4, v4, v3
	v_cndmask_b32_e32 v3, v9, v5, vcc
	v_lshlrev_b32_e32 v3, 2, v3
	ds_bpermute_b32 v5, v3, v4
	v_cmp_lt_i32_e32 vcc, v6, v10
	s_waitcnt lgkmcnt(0)
	v_max_f32_e32 v5, v5, v5
	v_max_f32_e32 v4, v4, v5
	v_cndmask_b32_e32 v5, v9, v6, vcc
	v_lshlrev_b32_e32 v5, 2, v5
	ds_bpermute_b32 v6, v5, v4
	v_cmp_lt_i32_e32 vcc, v7, v10
	;; [unrolled: 7-line block ×3, first 2 shown]
	s_waitcnt lgkmcnt(0)
	v_max_f32_e32 v7, v7, v7
	v_max_f32_e32 v8, v4, v7
	v_cndmask_b32_e32 v4, v9, v11, vcc
	v_lshlrev_b32_e32 v30, 2, v4
	ds_bpermute_b32 v11, v30, v8
	v_and_b32_e32 v4, 63, v0
	v_cmp_eq_u32_e32 vcc, 0, v4
	v_lshlrev_b32_e32 v7, 2, v1
	s_and_saveexec_b64 s[0:1], vcc
	s_cbranch_execz .LBB149_21
; %bb.20:
	s_waitcnt lgkmcnt(0)
	v_max_f32_e32 v11, v11, v11
	v_max_f32_e32 v8, v8, v8
	;; [unrolled: 1-line block ×3, first 2 shown]
	ds_write_b32 v7, v8 offset:240
.LBB149_21:
	s_or_b64 exec, exec, s[0:1]
	v_cmp_gt_u32_e64 s[0:1], 2, v4
	s_waitcnt lgkmcnt(0)
	v_mov_b32_e32 v11, 0xff7fffff
	v_lshlrev_b32_e32 v8, 2, v4
	s_barrier
	s_and_saveexec_b64 s[2:3], s[0:1]
	s_cbranch_execz .LBB149_23
; %bb.22:
	ds_read_b32 v11, v8 offset:240
.LBB149_23:
	s_or_b64 exec, exec, s[2:3]
	v_xor_b32_e32 v12, 1, v9
	v_cmp_lt_i32_e64 s[2:3], v12, v10
	s_nop 1
	v_cndmask_b32_e64 v10, v9, v12, s[2:3]
	v_lshlrev_b32_e32 v31, 2, v10
	s_waitcnt lgkmcnt(0)
	ds_bpermute_b32 v10, v31, v11
	v_max_f32_e32 v11, v11, v11
	v_lshlrev_b32_e32 v9, 2, v9
	v_and_b32_e32 v9, 0x100, v9
	s_lshl_b32 s2, s42, 5
	s_waitcnt lgkmcnt(0)
	v_max_f32_e32 v10, v10, v10
	v_max_f32_e32 v10, v11, v10
	ds_bpermute_b32 v11, v9, v10
	s_min_i32 s15, s2, s33
	v_cmp_gt_i32_e64 s[2:3], s15, v0
	v_mov_b32_e32 v10, 0
	s_and_saveexec_b64 s[30:31], s[2:3]
	s_cbranch_execz .LBB149_27
; %bb.24:
	v_mov_b32_e32 v10, 0x100
	v_lshl_add_u32 v12, v0, 2, v10
	s_mov_b64 s[34:35], 0
	v_mov_b32_e32 v10, 0
	v_mov_b32_e32 v13, v0
.LBB149_25:                             ; =>This Inner Loop Header: Depth=1
	ds_read_b32 v14, v12
	v_add_u32_e32 v13, 0x80, v13
	v_cmp_le_i32_e64 s[8:9], s15, v13
	s_or_b64 s[34:35], s[8:9], s[34:35]
	s_waitcnt lgkmcnt(0)
	v_sub_f32_e32 v14, v14, v11
	v_mul_f32_e32 v14, 0x3fb8aa3b, v14
	v_exp_f32_e32 v14, v14
	ds_write_b32 v12, v14
	v_add_f32_e32 v10, v10, v14
	v_add_u32_e32 v12, 0x200, v12
	s_andn2_b64 exec, exec, s[34:35]
	s_cbranch_execnz .LBB149_25
; %bb.26:
	s_or_b64 exec, exec, s[34:35]
.LBB149_27:
	s_or_b64 exec, exec, s[30:31]
	ds_bpermute_b32 v2, v2, v10
	s_waitcnt lgkmcnt(0)
	v_add_f32_e32 v2, v10, v2
	ds_bpermute_b32 v3, v3, v2
	s_waitcnt lgkmcnt(0)
	v_add_f32_e32 v2, v2, v3
	ds_bpermute_b32 v3, v5, v2
	s_waitcnt lgkmcnt(0)
	v_add_f32_e32 v2, v2, v3
	ds_bpermute_b32 v3, v6, v2
	s_waitcnt lgkmcnt(0)
	v_add_f32_e32 v2, v2, v3
	ds_bpermute_b32 v3, v30, v2
	s_waitcnt lgkmcnt(0)
	v_add_f32_e32 v2, v2, v3
	ds_bpermute_b32 v3, v31, v2
	s_waitcnt lgkmcnt(0)
	v_add_f32_e32 v2, v2, v3
	s_and_saveexec_b64 s[8:9], vcc
	s_cbranch_execz .LBB149_29
; %bb.28:
	ds_write_b32 v7, v2 offset:248
.LBB149_29:
	s_or_b64 exec, exec, s[8:9]
	s_waitcnt lgkmcnt(0)
	s_barrier
	s_and_saveexec_b64 s[8:9], s[0:1]
	s_cbranch_execz .LBB149_31
; %bb.30:
	ds_read_b32 v2, v8 offset:248
.LBB149_31:
	s_or_b64 exec, exec, s[8:9]
	s_waitcnt lgkmcnt(0)
	ds_bpermute_b32 v3, v31, v2
	s_waitcnt lgkmcnt(0)
	v_add_f32_e32 v2, v2, v3
	ds_bpermute_b32 v2, v9, v2
	s_and_saveexec_b64 s[0:1], s[2:3]
	s_cbranch_execz .LBB149_44
; %bb.32:
	s_waitcnt lgkmcnt(0)
	v_add_f32_e32 v2, 0x358637bd, v2
	v_div_scale_f32 v3, s[2:3], v2, v2, 1.0
	v_rcp_f32_e32 v5, v3
	v_div_scale_f32 v6, vcc, 1.0, v2, 1.0
	s_movk_i32 s2, 0x7f
	v_fma_f32 v7, -v3, v5, 1.0
	v_fmac_f32_e32 v5, v7, v5
	v_mul_f32_e32 v7, v6, v5
	v_fma_f32 v8, -v3, v7, v6
	v_fmac_f32_e32 v7, v8, v5
	v_fma_f32 v3, -v3, v7, v6
	v_div_fmas_f32 v3, v3, v5, v7
	v_xad_u32 v5, v0, -1, s15
	v_div_fixup_f32 v2, v3, v2, 1.0
	v_cmp_lt_u32_e32 vcc, s2, v5
	s_mov_b64 s[8:9], -1
	v_mov_b32_e32 v3, v0
	s_and_saveexec_b64 s[2:3], vcc
	s_cbranch_execz .LBB149_41
; %bb.33:
	v_lshrrev_b32_e32 v5, 7, v5
	v_add_u32_e32 v7, -1, v5
	v_lshrrev_b32_e32 v6, 1, v7
	v_mov_b32_e32 v3, v2
	v_add_u32_e32 v6, 1, v6
	v_cmp_lt_u32_e32 vcc, 13, v7
	v_mov_b32_e32 v9, 0
	s_and_saveexec_b64 s[8:9], vcc
	s_cbranch_execz .LBB149_37
; %bb.34:
	v_mov_b32_e32 v8, 0x100
	v_and_b32_e32 v7, -8, v6
	v_lshl_add_u32 v8, v0, 2, v8
	s_mov_b32 s16, 0
	s_mov_b64 s[30:31], 0
.LBB149_35:                             ; =>This Inner Loop Header: Depth=1
	ds_read2st64_b32 v[10:11], v8 offset1:2
	ds_read2st64_b32 v[12:13], v8 offset0:4 offset1:6
	ds_read2st64_b32 v[14:15], v8 offset0:8 offset1:10
	;; [unrolled: 1-line block ×3, first 2 shown]
	v_add_u32_e32 v7, -8, v7
	s_waitcnt lgkmcnt(3)
	v_pk_mul_f32 v[10:11], v[2:3], v[10:11]
	s_waitcnt lgkmcnt(2)
	v_pk_mul_f32 v[12:13], v[2:3], v[12:13]
	ds_write2st64_b32 v8, v10, v11 offset1:2
	ds_write2st64_b32 v8, v12, v13 offset0:4 offset1:6
	ds_read2st64_b32 v[12:13], v8 offset0:16 offset1:18
	s_waitcnt lgkmcnt(4)
	v_pk_mul_f32 v[10:11], v[2:3], v[14:15]
	ds_write2st64_b32 v8, v10, v11 offset0:8 offset1:10
	s_waitcnt lgkmcnt(4)
	v_pk_mul_f32 v[10:11], v[2:3], v[16:17]
	ds_write2st64_b32 v8, v10, v11 offset0:12 offset1:14
	ds_read2st64_b32 v[10:11], v8 offset0:20 offset1:22
	s_waitcnt lgkmcnt(3)
	v_pk_mul_f32 v[12:13], v[2:3], v[12:13]
	ds_read2st64_b32 v[14:15], v8 offset0:24 offset1:26
	ds_write2st64_b32 v8, v12, v13 offset0:16 offset1:18
	ds_read2st64_b32 v[12:13], v8 offset0:28 offset1:30
	s_waitcnt lgkmcnt(3)
	v_pk_mul_f32 v[10:11], v[2:3], v[10:11]
	ds_write2st64_b32 v8, v10, v11 offset0:20 offset1:22
	s_waitcnt lgkmcnt(3)
	v_pk_mul_f32 v[10:11], v[2:3], v[14:15]
	ds_write2st64_b32 v8, v10, v11 offset0:24 offset1:26
	s_waitcnt lgkmcnt(2)
	v_pk_mul_f32 v[10:11], v[2:3], v[12:13]
	s_add_i32 s16, s16, 16
	v_cmp_eq_u32_e32 vcc, 0, v7
	ds_write2st64_b32 v8, v10, v11 offset0:28 offset1:30
	v_add_u32_e32 v8, 0x2000, v8
	s_or_b64 s[30:31], vcc, s[30:31]
	v_mov_b32_e32 v9, s16
	s_andn2_b64 exec, exec, s[30:31]
	s_cbranch_execnz .LBB149_35
; %bb.36:
	s_or_b64 exec, exec, s[30:31]
.LBB149_37:
	s_or_b64 exec, exec, s[8:9]
	v_and_b32_e32 v6, 7, v6
	v_cmp_ne_u32_e32 vcc, 0, v6
	s_and_saveexec_b64 s[8:9], vcc
	s_cbranch_execz .LBB149_40
; %bb.38:
	v_lshlrev_b32_e32 v7, 9, v9
	v_lshlrev_b32_e32 v8, 2, v0
	s_movk_i32 s16, 0x100
	v_add3_u32 v7, v7, v8, s16
	s_mov_b64 s[30:31], 0
.LBB149_39:                             ; =>This Inner Loop Header: Depth=1
	ds_read2st64_b32 v[8:9], v7 offset1:2
	v_add_u32_e32 v6, -1, v6
	v_cmp_eq_u32_e32 vcc, 0, v6
	s_or_b64 s[30:31], vcc, s[30:31]
	s_waitcnt lgkmcnt(0)
	v_pk_mul_f32 v[8:9], v[2:3], v[8:9]
	ds_write2st64_b32 v7, v8, v9 offset1:2
	v_add_u32_e32 v7, 0x400, v7
	s_andn2_b64 exec, exec, s[30:31]
	s_cbranch_execnz .LBB149_39
.LBB149_40:
	s_or_b64 exec, exec, s[8:9]
	v_add_u32_e32 v5, 1, v5
	v_and_b32_e32 v6, 0x3fffffe, v5
	v_cmp_ne_u32_e32 vcc, v5, v6
	v_lshl_add_u32 v3, v6, 7, v0
	s_orn2_b64 s[8:9], vcc, exec
.LBB149_41:
	s_or_b64 exec, exec, s[2:3]
	s_and_b64 exec, exec, s[8:9]
	s_cbranch_execz .LBB149_44
; %bb.42:
	v_mov_b32_e32 v5, 0x100
	v_lshl_add_u32 v5, v3, 2, v5
	s_mov_b64 s[2:3], 0
.LBB149_43:                             ; =>This Inner Loop Header: Depth=1
	ds_read_b32 v6, v5
	v_add_u32_e32 v3, 0x80, v3
	v_cmp_le_i32_e32 vcc, s15, v3
	s_or_b64 s[2:3], vcc, s[2:3]
	s_waitcnt lgkmcnt(0)
	v_mul_f32_e32 v6, v2, v6
	ds_write_b32 v5, v6
	v_add_u32_e32 v5, 0x200, v5
	s_andn2_b64 exec, exec, s[2:3]
	s_cbranch_execnz .LBB149_43
.LBB149_44:
	s_or_b64 exec, exec, s[0:1]
	v_mov_b32_e32 v11, 0
	v_lshrrev_b32_e32 v33, 2, v4
	v_and_b32_e32 v32, 3, v0
	v_mov_b32_e32 v10, 0
	v_mov_b32_e32 v13, 0
	;; [unrolled: 1-line block ×7, first 2 shown]
	s_waitcnt lgkmcnt(0)
	s_barrier
	s_and_saveexec_b64 s[8:9], s[6:7]
	s_cbranch_execz .LBB149_356
; %bb.45:
	s_ashr_i32 s15, s14, 31
	s_sub_i32 s30, s12, s17
	s_lshl_b64 s[0:1], s[14:15], 1
	s_add_u32 s6, s28, s0
	s_addc_u32 s7, s29, s1
	s_abs_i32 s18, s18
	v_cvt_f32_u32_e32 v3, s18
	v_or_b32_e32 v5, 0x70, v33
	s_movk_i32 s0, 0x78
	v_and_b32_e32 v34, 24, v47
	v_rcp_iflag_f32_e32 v3, v3
	v_cmp_gt_u32_e32 vcc, s0, v5
	s_sub_i32 s0, 0, s18
	v_lshl_or_b32 v10, v5, 5, v34
	v_mul_f32_e32 v3, 0x4f7ffffe, v3
	v_cvt_u32_f32_e32 v3, v3
	s_add_i32 s28, s42, -1
	v_lshl_or_b32 v2, v33, 5, v34
	v_mov_b32_e32 v19, 0
	v_mul_lo_u32 v5, s0, v3
	v_mul_hi_u32 v5, v3, v5
	s_lshl_b64 s[0:1], s[26:27], 2
	v_add_u32_e32 v35, v3, v5
	s_add_u32 s0, s24, s0
	v_lshlrev_b32_e32 v3, 5, v32
	v_or_b32_e32 v4, 0x800, v2
	v_or_b32_e32 v6, 0xa00, v2
	;; [unrolled: 1-line block ×3, first 2 shown]
	v_and_b32_e32 v18, 60, v48
	s_addc_u32 s1, s25, s1
	v_lshl_or_b32 v3, v1, 7, v3
	s_mov_b32 s31, s13
	v_lshl_add_u64 v[20:21], s[0:1], 0, v[18:19]
	v_add_u32_e32 v36, 0x100, v3
	s_mov_b64 s[12:13], 0
	s_mov_b32 s24, 0x7f800000
	s_movk_i32 s25, 0x7fff
	v_lshlrev_b32_e32 v18, 1, v2
	v_lshlrev_b32_e32 v22, 1, v4
	;; [unrolled: 1-line block ×5, first 2 shown]
	v_mov_b32_e32 v16, v19
	v_mov_b32_e32 v17, v19
	;; [unrolled: 1-line block ×8, first 2 shown]
	s_branch .LBB149_49
.LBB149_46:                             ;   in Loop: Header=BB149_49 Depth=1
	s_or_b64 exec, exec, s[16:17]
	v_and_b32_e32 v51, 0xffff0000, v44
	v_and_b32_e32 v50, 0xffff0000, v7
	;; [unrolled: 1-line block ×8, first 2 shown]
	v_pk_add_f32 v[2:3], v[2:3], v[50:51]
	v_pk_add_f32 v[4:5], v[4:5], v[48:49]
	v_add_f32_e32 v2, v2, v3
	v_add_f32_e32 v2, v2, v4
	;; [unrolled: 1-line block ×4, first 2 shown]
.LBB149_47:                             ;   in Loop: Header=BB149_49 Depth=1
	s_or_b64 exec, exec, s[2:3]
	v_and_b32_e32 v7, 0xffff0000, v40
	v_and_b32_e32 v6, 0xffff0000, v38
	;; [unrolled: 1-line block ×8, first 2 shown]
	v_pk_add_f32 v[6:7], v[38:39], v[6:7]
	v_pk_add_f32 v[2:3], v[4:5], v[2:3]
	v_add_f32_e32 v4, v6, v7
	v_add_f32_e32 v2, v4, v2
	v_add_f32_e32 v2, v2, v3
	v_and_b32_e32 v7, 0xffff0000, v58
	v_and_b32_e32 v6, 0xffff0000, v56
	v_and_b32_e32 v39, 0xffff0000, v57
	v_and_b32_e32 v38, 0xffff0000, v55
	v_add_f32_e32 v16, v16, v2
	v_and_b32_e32 v3, 0xffff0000, v62
	v_and_b32_e32 v2, 0xffff0000, v60
	v_and_b32_e32 v5, 0xffff0000, v61
	v_and_b32_e32 v4, 0xffff0000, v59
	v_pk_add_f32 v[6:7], v[38:39], v[6:7]
	v_pk_add_f32 v[2:3], v[4:5], v[2:3]
	v_add_f32_e32 v4, v6, v7
	v_add_f32_e32 v2, v4, v2
	v_add_f32_e32 v2, v2, v3
	v_and_b32_e32 v7, 0xffff0000, v66
	v_and_b32_e32 v6, 0xffff0000, v64
	v_and_b32_e32 v39, 0xffff0000, v65
	v_and_b32_e32 v38, 0xffff0000, v63
	v_add_f32_e32 v17, v17, v2
	v_and_b32_e32 v3, 0xffff0000, v70
	v_and_b32_e32 v2, 0xffff0000, v68
	v_and_b32_e32 v5, 0xffff0000, v69
	v_and_b32_e32 v4, 0xffff0000, v67
	;; [unrolled: 14-line block ×6, first 2 shown]
	v_pk_add_f32 v[6:7], v[8:9], v[6:7]
	v_pk_add_f32 v[2:3], v[4:5], v[2:3]
	v_add_f32_e32 v4, v6, v7
	v_add_f32_e32 v2, v4, v2
	;; [unrolled: 1-line block ×4, first 2 shown]
.LBB149_48:                             ;   in Loop: Header=BB149_49 Depth=1
	s_or_b64 exec, exec, s[14:15]
	v_add_u32_e32 v1, 2, v1
	v_cmp_le_i32_e64 s[0:1], s42, v1
	v_lshl_add_u64 v[20:21], v[20:21], 0, 8
	v_add_u32_e32 v46, 64, v46
	s_or_b64 s[12:13], s[0:1], s[12:13]
	v_add_u32_e32 v36, 0x100, v36
	s_andn2_b64 exec, exec, s[12:13]
	s_cbranch_execz .LBB149_355
.LBB149_49:                             ; =>This Inner Loop Header: Depth=1
	v_mul_hi_u32 v2, v46, s40
	v_mul_lo_u32 v3, v2, s21
	v_sub_u32_e32 v3, v46, v3
	v_add_u32_e32 v4, 1, v2
	v_cmp_le_u32_e64 s[0:1], s21, v3
	s_nop 1
	v_cndmask_b32_e64 v2, v2, v4, s[0:1]
	v_subrev_u32_e32 v4, s21, v3
	v_cndmask_b32_e64 v3, v3, v4, s[0:1]
	v_add_u32_e32 v4, 1, v2
	v_cmp_le_u32_e64 s[0:1], s21, v3
	s_nop 1
	v_cndmask_b32_e64 v2, v2, v4, s[0:1]
	v_xor_b32_e32 v2, s19, v2
	v_subrev_u32_e32 v2, s19, v2
	v_add_u32_e32 v3, s41, v2
	v_sub_u32_e32 v5, 0, v3
	v_ashrrev_i32_e32 v4, 31, v3
	v_max_i32_e32 v3, v3, v5
	v_mul_hi_u32 v5, v3, v35
	v_mul_lo_u32 v5, v5, s18
	v_sub_u32_e32 v3, v3, v5
	v_subrev_u32_e32 v5, s18, v3
	v_cmp_le_u32_e64 s[0:1], s18, v3
	v_cmp_lt_i32_e64 s[2:3], s30, v2
	s_nop 0
	v_cndmask_b32_e64 v3, v3, v5, s[0:1]
	v_subrev_u32_e32 v5, s18, v3
	v_cmp_le_u32_e64 s[0:1], s18, v3
	s_nop 1
	v_cndmask_b32_e64 v3, v3, v5, s[0:1]
	v_xor_b32_e32 v3, v3, v4
	v_sub_u32_e32 v3, v3, v4
	v_cmp_eq_u32_e64 s[0:1], 0, v3
	s_or_b64 s[0:1], s[0:1], s[2:3]
	s_and_saveexec_b64 s[14:15], s[0:1]
	s_cbranch_execz .LBB149_48
; %bb.50:                               ;   in Loop: Header=BB149_49 Depth=1
	global_load_dword v41, v[20:21], off
	ds_read2_b64 v[6:9], v36 offset1:1
	ds_read2_b64 v[2:5], v36 offset0:2 offset1:3
                                        ; implicit-def: $vgpr37
	s_waitcnt lgkmcnt(1)
	v_and_b32_e32 v23, 0x7f800000, v6
	v_cmp_ne_u32_e64 s[0:1], s24, v23
	s_and_saveexec_b64 s[2:3], s[0:1]
	s_xor_b64 s[0:1], exec, s[2:3]
; %bb.51:                               ;   in Loop: Header=BB149_49 Depth=1
	v_bfe_u32 v23, v6, 16, 1
	v_add3_u32 v37, v6, v23, s25
; %bb.52:                               ;   in Loop: Header=BB149_49 Depth=1
	s_andn2_saveexec_b64 s[2:3], s[0:1]
; %bb.53:                               ;   in Loop: Header=BB149_49 Depth=1
	v_or_b32_e32 v23, 0x10000, v6
	v_cmp_eq_u32_sdwa s[0:1], v6, v19 src0_sel:WORD_0 src1_sel:DWORD
	s_nop 1
	v_cndmask_b32_e64 v37, v23, v6, s[0:1]
; %bb.54:                               ;   in Loop: Header=BB149_49 Depth=1
	s_or_b64 exec, exec, s[2:3]
	v_and_b32_e32 v6, 0x7f800000, v7
	v_cmp_ne_u32_e64 s[0:1], s24, v6
                                        ; implicit-def: $vgpr38
	s_and_saveexec_b64 s[2:3], s[0:1]
	s_xor_b64 s[0:1], exec, s[2:3]
; %bb.55:                               ;   in Loop: Header=BB149_49 Depth=1
	v_bfe_u32 v6, v7, 16, 1
	v_add3_u32 v38, v7, v6, s25
; %bb.56:                               ;   in Loop: Header=BB149_49 Depth=1
	s_andn2_saveexec_b64 s[2:3], s[0:1]
; %bb.57:                               ;   in Loop: Header=BB149_49 Depth=1
	v_or_b32_e32 v6, 0x10000, v7
	v_cmp_eq_u32_sdwa s[0:1], v7, v19 src0_sel:WORD_0 src1_sel:DWORD
	s_nop 1
	v_cndmask_b32_e64 v38, v6, v7, s[0:1]
; %bb.58:                               ;   in Loop: Header=BB149_49 Depth=1
	s_or_b64 exec, exec, s[2:3]
	v_and_b32_e32 v6, 0x7f800000, v8
	v_cmp_ne_u32_e64 s[0:1], s24, v6
                                        ; implicit-def: $vgpr39
	s_and_saveexec_b64 s[2:3], s[0:1]
	s_xor_b64 s[0:1], exec, s[2:3]
; %bb.59:                               ;   in Loop: Header=BB149_49 Depth=1
	v_bfe_u32 v6, v8, 16, 1
	v_add3_u32 v39, v8, v6, s25
; %bb.60:                               ;   in Loop: Header=BB149_49 Depth=1
	s_andn2_saveexec_b64 s[2:3], s[0:1]
; %bb.61:                               ;   in Loop: Header=BB149_49 Depth=1
	v_or_b32_e32 v6, 0x10000, v8
	v_cmp_eq_u32_sdwa s[0:1], v8, v19 src0_sel:WORD_0 src1_sel:DWORD
	s_nop 1
	v_cndmask_b32_e64 v39, v6, v8, s[0:1]
; %bb.62:                               ;   in Loop: Header=BB149_49 Depth=1
	s_or_b64 exec, exec, s[2:3]
	v_and_b32_e32 v6, 0x7f800000, v9
	v_cmp_ne_u32_e64 s[0:1], s24, v6
                                        ; implicit-def: $vgpr40
	s_and_saveexec_b64 s[2:3], s[0:1]
	s_xor_b64 s[0:1], exec, s[2:3]
; %bb.63:                               ;   in Loop: Header=BB149_49 Depth=1
	v_bfe_u32 v6, v9, 16, 1
	v_add3_u32 v40, v9, v6, s25
                                        ; implicit-def: $vgpr6_vgpr7_vgpr8_vgpr9
; %bb.64:                               ;   in Loop: Header=BB149_49 Depth=1
	s_andn2_saveexec_b64 s[2:3], s[0:1]
; %bb.65:                               ;   in Loop: Header=BB149_49 Depth=1
	v_or_b32_e32 v6, 0x10000, v9
	v_cmp_eq_u32_sdwa s[0:1], v9, v19 src0_sel:WORD_0 src1_sel:DWORD
	s_nop 1
	v_cndmask_b32_e64 v40, v6, v9, s[0:1]
; %bb.66:                               ;   in Loop: Header=BB149_49 Depth=1
	s_or_b64 exec, exec, s[2:3]
	s_waitcnt lgkmcnt(0)
	v_and_b32_e32 v6, 0x7f800000, v2
	v_cmp_ne_u32_e64 s[0:1], s24, v6
                                        ; implicit-def: $vgpr29
	s_and_saveexec_b64 s[2:3], s[0:1]
	s_xor_b64 s[0:1], exec, s[2:3]
; %bb.67:                               ;   in Loop: Header=BB149_49 Depth=1
	v_bfe_u32 v6, v2, 16, 1
	v_add3_u32 v29, v2, v6, s25
; %bb.68:                               ;   in Loop: Header=BB149_49 Depth=1
	s_andn2_saveexec_b64 s[2:3], s[0:1]
; %bb.69:                               ;   in Loop: Header=BB149_49 Depth=1
	v_or_b32_e32 v6, 0x10000, v2
	v_cmp_eq_u32_sdwa s[0:1], v2, v19 src0_sel:WORD_0 src1_sel:DWORD
	s_nop 1
	v_cndmask_b32_e64 v29, v6, v2, s[0:1]
; %bb.70:                               ;   in Loop: Header=BB149_49 Depth=1
	s_or_b64 exec, exec, s[2:3]
	v_and_b32_e32 v2, 0x7f800000, v3
	v_cmp_ne_u32_e64 s[0:1], s24, v2
                                        ; implicit-def: $vgpr27
	s_and_saveexec_b64 s[2:3], s[0:1]
	s_xor_b64 s[0:1], exec, s[2:3]
; %bb.71:                               ;   in Loop: Header=BB149_49 Depth=1
	v_bfe_u32 v2, v3, 16, 1
	v_add3_u32 v27, v3, v2, s25
; %bb.72:                               ;   in Loop: Header=BB149_49 Depth=1
	s_andn2_saveexec_b64 s[2:3], s[0:1]
; %bb.73:                               ;   in Loop: Header=BB149_49 Depth=1
	v_or_b32_e32 v2, 0x10000, v3
	v_cmp_eq_u32_sdwa s[0:1], v3, v19 src0_sel:WORD_0 src1_sel:DWORD
	s_nop 1
	v_cndmask_b32_e64 v27, v2, v3, s[0:1]
; %bb.74:                               ;   in Loop: Header=BB149_49 Depth=1
	s_or_b64 exec, exec, s[2:3]
	v_and_b32_e32 v2, 0x7f800000, v4
	v_cmp_ne_u32_e64 s[0:1], s24, v2
                                        ; implicit-def: $vgpr25
	s_and_saveexec_b64 s[2:3], s[0:1]
	s_xor_b64 s[0:1], exec, s[2:3]
; %bb.75:                               ;   in Loop: Header=BB149_49 Depth=1
	v_bfe_u32 v2, v4, 16, 1
	v_add3_u32 v25, v4, v2, s25
; %bb.76:                               ;   in Loop: Header=BB149_49 Depth=1
	s_andn2_saveexec_b64 s[2:3], s[0:1]
; %bb.77:                               ;   in Loop: Header=BB149_49 Depth=1
	v_or_b32_e32 v2, 0x10000, v4
	v_cmp_eq_u32_sdwa s[0:1], v4, v19 src0_sel:WORD_0 src1_sel:DWORD
	s_nop 1
	v_cndmask_b32_e64 v25, v2, v4, s[0:1]
; %bb.78:                               ;   in Loop: Header=BB149_49 Depth=1
	s_or_b64 exec, exec, s[2:3]
	v_and_b32_e32 v2, 0x7f800000, v5
	v_cmp_ne_u32_e64 s[0:1], s24, v2
                                        ; implicit-def: $vgpr23
	s_and_saveexec_b64 s[2:3], s[0:1]
	s_xor_b64 s[0:1], exec, s[2:3]
; %bb.79:                               ;   in Loop: Header=BB149_49 Depth=1
	v_bfe_u32 v2, v5, 16, 1
	v_add3_u32 v23, v5, v2, s25
                                        ; implicit-def: $vgpr2_vgpr3_vgpr4_vgpr5
; %bb.80:                               ;   in Loop: Header=BB149_49 Depth=1
	s_andn2_saveexec_b64 s[2:3], s[0:1]
; %bb.81:                               ;   in Loop: Header=BB149_49 Depth=1
	v_or_b32_e32 v2, 0x10000, v5
	v_cmp_eq_u32_sdwa s[0:1], v5, v19 src0_sel:WORD_0 src1_sel:DWORD
	s_nop 1
	v_cndmask_b32_e64 v23, v2, v5, s[0:1]
; %bb.82:                               ;   in Loop: Header=BB149_49 Depth=1
	s_or_b64 exec, exec, s[2:3]
	s_waitcnt vmcnt(0)
	v_mad_i64_i32 v[2:3], s[0:1], v41, s31, 0
	v_lshl_add_u64 v[6:7], v[2:3], 1, s[6:7]
	v_lshl_add_u64 v[8:9], v[6:7], 0, v[18:19]
	global_load_dwordx4 v[2:5], v[8:9], off
	v_add_u32_e32 v44, v34, v46
	v_cmp_eq_u32_e64 s[0:1], s28, v1
	s_waitcnt vmcnt(0)
	v_lshrrev_b32_e32 v43, 16, v2
	v_lshrrev_b32_e32 v41, 16, v3
	;; [unrolled: 1-line block ×4, first 2 shown]
	s_and_saveexec_b64 s[16:17], s[0:1]
	s_cbranch_execz .LBB149_84
; %bb.83:                               ;   in Loop: Header=BB149_49 Depth=1
	v_cmp_gt_i32_e64 s[2:3], s33, v44
	v_add_u32_e32 v47, 1, v44
	s_nop 0
	v_cndmask_b32_e64 v2, 0, v2, s[2:3]
	v_cmp_gt_i32_e64 s[2:3], s33, v47
	v_add_u32_e32 v47, 2, v44
	s_nop 0
	v_cndmask_b32_e64 v43, 0, v43, s[2:3]
	;; [unrolled: 4-line block ×7, first 2 shown]
	v_cmp_gt_i32_e64 s[2:3], s33, v47
	s_nop 1
	v_cndmask_b32_e64 v45, 0, v45, s[2:3]
.LBB149_84:                             ;   in Loop: Header=BB149_49 Depth=1
	s_or_b64 exec, exec, s[16:17]
	v_and_b32_e32 v47, 0xffff0000, v37
	v_lshlrev_b32_e32 v2, 16, v2
	v_mul_f32_e32 v2, v47, v2
	v_and_b32_e32 v37, 0x7f800000, v2
	v_cmp_ne_u32_e64 s[2:3], s24, v37
                                        ; implicit-def: $vgpr37
	s_and_saveexec_b64 s[16:17], s[2:3]
	s_xor_b64 s[2:3], exec, s[16:17]
; %bb.85:                               ;   in Loop: Header=BB149_49 Depth=1
	v_bfe_u32 v37, v2, 16, 1
	v_add3_u32 v37, v2, v37, s25
                                        ; implicit-def: $vgpr2
; %bb.86:                               ;   in Loop: Header=BB149_49 Depth=1
	s_andn2_saveexec_b64 s[16:17], s[2:3]
; %bb.87:                               ;   in Loop: Header=BB149_49 Depth=1
	v_or_b32_e32 v37, 0x10000, v2
	v_cmp_eq_u32_sdwa s[2:3], v2, v19 src0_sel:WORD_0 src1_sel:DWORD
	s_nop 1
	v_cndmask_b32_e64 v37, v37, v2, s[2:3]
; %bb.88:                               ;   in Loop: Header=BB149_49 Depth=1
	s_or_b64 exec, exec, s[16:17]
	v_and_b32_e32 v48, 0xffff0000, v38
	v_lshlrev_b32_e32 v2, 16, v43
	v_mul_f32_e32 v2, v48, v2
	v_and_b32_e32 v38, 0x7f800000, v2
	v_cmp_ne_u32_e64 s[2:3], s24, v38
                                        ; implicit-def: $vgpr38
	s_and_saveexec_b64 s[16:17], s[2:3]
	s_xor_b64 s[2:3], exec, s[16:17]
; %bb.89:                               ;   in Loop: Header=BB149_49 Depth=1
	v_bfe_u32 v38, v2, 16, 1
	v_add3_u32 v38, v2, v38, s25
                                        ; implicit-def: $vgpr2
; %bb.90:                               ;   in Loop: Header=BB149_49 Depth=1
	s_andn2_saveexec_b64 s[16:17], s[2:3]
; %bb.91:                               ;   in Loop: Header=BB149_49 Depth=1
	v_or_b32_e32 v38, 0x10000, v2
	v_cmp_eq_u32_sdwa s[2:3], v2, v19 src0_sel:WORD_0 src1_sel:DWORD
	s_nop 1
	v_cndmask_b32_e64 v38, v38, v2, s[2:3]
; %bb.92:                               ;   in Loop: Header=BB149_49 Depth=1
	s_or_b64 exec, exec, s[16:17]
	v_and_b32_e32 v49, 0xffff0000, v39
	v_lshlrev_b32_e32 v2, 16, v3
	v_mul_f32_e32 v2, v49, v2
	v_and_b32_e32 v3, 0x7f800000, v2
	v_cmp_ne_u32_e64 s[2:3], s24, v3
                                        ; implicit-def: $vgpr39
	s_and_saveexec_b64 s[16:17], s[2:3]
	s_xor_b64 s[2:3], exec, s[16:17]
; %bb.93:                               ;   in Loop: Header=BB149_49 Depth=1
	v_bfe_u32 v3, v2, 16, 1
	v_add3_u32 v39, v2, v3, s25
                                        ; implicit-def: $vgpr2
; %bb.94:                               ;   in Loop: Header=BB149_49 Depth=1
	s_andn2_saveexec_b64 s[16:17], s[2:3]
; %bb.95:                               ;   in Loop: Header=BB149_49 Depth=1
	v_or_b32_e32 v3, 0x10000, v2
	v_cmp_eq_u32_sdwa s[2:3], v2, v19 src0_sel:WORD_0 src1_sel:DWORD
	s_nop 1
	v_cndmask_b32_e64 v39, v3, v2, s[2:3]
; %bb.96:                               ;   in Loop: Header=BB149_49 Depth=1
	s_or_b64 exec, exec, s[16:17]
	v_and_b32_e32 v50, 0xffff0000, v40
	v_lshlrev_b32_e32 v2, 16, v41
	v_mul_f32_e32 v2, v50, v2
	v_and_b32_e32 v3, 0x7f800000, v2
	v_cmp_ne_u32_e64 s[2:3], s24, v3
                                        ; implicit-def: $vgpr40
	s_and_saveexec_b64 s[16:17], s[2:3]
	s_xor_b64 s[2:3], exec, s[16:17]
; %bb.97:                               ;   in Loop: Header=BB149_49 Depth=1
	v_bfe_u32 v3, v2, 16, 1
	v_add3_u32 v40, v2, v3, s25
                                        ; implicit-def: $vgpr2
; %bb.98:                               ;   in Loop: Header=BB149_49 Depth=1
	s_andn2_saveexec_b64 s[16:17], s[2:3]
; %bb.99:                               ;   in Loop: Header=BB149_49 Depth=1
	v_or_b32_e32 v3, 0x10000, v2
	v_cmp_eq_u32_sdwa s[2:3], v2, v19 src0_sel:WORD_0 src1_sel:DWORD
	s_nop 1
	v_cndmask_b32_e64 v40, v3, v2, s[2:3]
; %bb.100:                              ;   in Loop: Header=BB149_49 Depth=1
	s_or_b64 exec, exec, s[16:17]
	v_and_b32_e32 v51, 0xffff0000, v29
	v_lshlrev_b32_e32 v2, 16, v4
	v_mul_f32_e32 v2, v51, v2
	v_and_b32_e32 v3, 0x7f800000, v2
	v_cmp_ne_u32_e64 s[2:3], s24, v3
                                        ; implicit-def: $vgpr41
	s_and_saveexec_b64 s[16:17], s[2:3]
	s_xor_b64 s[2:3], exec, s[16:17]
; %bb.101:                              ;   in Loop: Header=BB149_49 Depth=1
	v_bfe_u32 v3, v2, 16, 1
	v_add3_u32 v41, v2, v3, s25
                                        ; implicit-def: $vgpr2
; %bb.102:                              ;   in Loop: Header=BB149_49 Depth=1
	s_andn2_saveexec_b64 s[16:17], s[2:3]
; %bb.103:                              ;   in Loop: Header=BB149_49 Depth=1
	v_or_b32_e32 v3, 0x10000, v2
	v_cmp_eq_u32_sdwa s[2:3], v2, v19 src0_sel:WORD_0 src1_sel:DWORD
	s_nop 1
	v_cndmask_b32_e64 v41, v3, v2, s[2:3]
; %bb.104:                              ;   in Loop: Header=BB149_49 Depth=1
	s_or_b64 exec, exec, s[16:17]
	v_and_b32_e32 v52, 0xffff0000, v27
	v_lshlrev_b32_e32 v2, 16, v42
	v_mul_f32_e32 v2, v52, v2
	v_and_b32_e32 v3, 0x7f800000, v2
	v_cmp_ne_u32_e64 s[2:3], s24, v3
                                        ; implicit-def: $vgpr42
	s_and_saveexec_b64 s[16:17], s[2:3]
	s_xor_b64 s[2:3], exec, s[16:17]
; %bb.105:                              ;   in Loop: Header=BB149_49 Depth=1
	v_bfe_u32 v3, v2, 16, 1
	v_add3_u32 v42, v2, v3, s25
                                        ; implicit-def: $vgpr2
; %bb.106:                              ;   in Loop: Header=BB149_49 Depth=1
	s_andn2_saveexec_b64 s[16:17], s[2:3]
; %bb.107:                              ;   in Loop: Header=BB149_49 Depth=1
	v_or_b32_e32 v3, 0x10000, v2
	v_cmp_eq_u32_sdwa s[2:3], v2, v19 src0_sel:WORD_0 src1_sel:DWORD
	s_nop 1
	v_cndmask_b32_e64 v42, v3, v2, s[2:3]
; %bb.108:                              ;   in Loop: Header=BB149_49 Depth=1
	s_or_b64 exec, exec, s[16:17]
	v_and_b32_e32 v53, 0xffff0000, v25
	v_lshlrev_b32_e32 v2, 16, v5
	v_mul_f32_e32 v2, v53, v2
	v_and_b32_e32 v3, 0x7f800000, v2
	v_cmp_ne_u32_e64 s[2:3], s24, v3
                                        ; implicit-def: $vgpr43
	s_and_saveexec_b64 s[16:17], s[2:3]
	s_xor_b64 s[2:3], exec, s[16:17]
; %bb.109:                              ;   in Loop: Header=BB149_49 Depth=1
	v_bfe_u32 v3, v2, 16, 1
	v_add3_u32 v43, v2, v3, s25
                                        ; implicit-def: $vgpr2
; %bb.110:                              ;   in Loop: Header=BB149_49 Depth=1
	s_andn2_saveexec_b64 s[16:17], s[2:3]
; %bb.111:                              ;   in Loop: Header=BB149_49 Depth=1
	v_or_b32_e32 v3, 0x10000, v2
	v_cmp_eq_u32_sdwa s[2:3], v2, v19 src0_sel:WORD_0 src1_sel:DWORD
	s_nop 1
	v_cndmask_b32_e64 v43, v3, v2, s[2:3]
; %bb.112:                              ;   in Loop: Header=BB149_49 Depth=1
	s_or_b64 exec, exec, s[16:17]
	v_and_b32_e32 v54, 0xffff0000, v23
	v_lshlrev_b32_e32 v2, 16, v45
	v_mul_f32_e32 v2, v54, v2
	v_and_b32_e32 v3, 0x7f800000, v2
	v_cmp_ne_u32_e64 s[2:3], s24, v3
                                        ; implicit-def: $vgpr45
	s_and_saveexec_b64 s[16:17], s[2:3]
	s_xor_b64 s[2:3], exec, s[16:17]
; %bb.113:                              ;   in Loop: Header=BB149_49 Depth=1
	v_bfe_u32 v3, v2, 16, 1
	v_add3_u32 v45, v2, v3, s25
                                        ; implicit-def: $vgpr2
; %bb.114:                              ;   in Loop: Header=BB149_49 Depth=1
	s_andn2_saveexec_b64 s[16:17], s[2:3]
; %bb.115:                              ;   in Loop: Header=BB149_49 Depth=1
	v_or_b32_e32 v3, 0x10000, v2
	v_cmp_eq_u32_sdwa s[2:3], v2, v19 src0_sel:WORD_0 src1_sel:DWORD
	s_nop 1
	v_cndmask_b32_e64 v45, v3, v2, s[2:3]
; %bb.116:                              ;   in Loop: Header=BB149_49 Depth=1
	s_or_b64 exec, exec, s[16:17]
	global_load_dwordx4 v[2:5], v[8:9], off offset:1024
	s_waitcnt vmcnt(0)
	v_lshrrev_b32_e32 v29, 16, v2
	v_lshrrev_b32_e32 v27, 16, v3
	;; [unrolled: 1-line block ×4, first 2 shown]
	s_and_saveexec_b64 s[16:17], s[0:1]
	s_cbranch_execz .LBB149_118
; %bb.117:                              ;   in Loop: Header=BB149_49 Depth=1
	v_cmp_gt_i32_e64 s[2:3], s33, v44
	v_add_u32_e32 v55, 1, v44
	s_nop 0
	v_cndmask_b32_e64 v2, 0, v2, s[2:3]
	v_cmp_gt_i32_e64 s[2:3], s33, v55
	v_add_u32_e32 v55, 2, v44
	s_nop 0
	v_cndmask_b32_e64 v29, 0, v29, s[2:3]
	;; [unrolled: 4-line block ×7, first 2 shown]
	v_cmp_gt_i32_e64 s[2:3], s33, v55
	s_nop 1
	v_cndmask_b32_e64 v23, 0, v23, s[2:3]
.LBB149_118:                            ;   in Loop: Header=BB149_49 Depth=1
	s_or_b64 exec, exec, s[16:17]
	v_lshlrev_b32_e32 v2, 16, v2
	v_mul_f32_e32 v2, v47, v2
	v_and_b32_e32 v55, 0x7f800000, v2
	v_cmp_ne_u32_e64 s[2:3], s24, v55
                                        ; implicit-def: $vgpr55
	s_and_saveexec_b64 s[16:17], s[2:3]
	s_xor_b64 s[2:3], exec, s[16:17]
; %bb.119:                              ;   in Loop: Header=BB149_49 Depth=1
	v_bfe_u32 v55, v2, 16, 1
	v_add3_u32 v55, v2, v55, s25
                                        ; implicit-def: $vgpr2
; %bb.120:                              ;   in Loop: Header=BB149_49 Depth=1
	s_andn2_saveexec_b64 s[16:17], s[2:3]
; %bb.121:                              ;   in Loop: Header=BB149_49 Depth=1
	v_or_b32_e32 v55, 0x10000, v2
	v_cmp_eq_u32_sdwa s[2:3], v2, v19 src0_sel:WORD_0 src1_sel:DWORD
	s_nop 1
	v_cndmask_b32_e64 v55, v55, v2, s[2:3]
; %bb.122:                              ;   in Loop: Header=BB149_49 Depth=1
	s_or_b64 exec, exec, s[16:17]
	v_lshlrev_b32_e32 v2, 16, v29
	v_mul_f32_e32 v2, v48, v2
	v_and_b32_e32 v29, 0x7f800000, v2
	v_cmp_ne_u32_e64 s[2:3], s24, v29
                                        ; implicit-def: $vgpr56
	s_and_saveexec_b64 s[16:17], s[2:3]
	s_xor_b64 s[2:3], exec, s[16:17]
; %bb.123:                              ;   in Loop: Header=BB149_49 Depth=1
	v_bfe_u32 v29, v2, 16, 1
	v_add3_u32 v56, v2, v29, s25
                                        ; implicit-def: $vgpr2
; %bb.124:                              ;   in Loop: Header=BB149_49 Depth=1
	s_andn2_saveexec_b64 s[16:17], s[2:3]
; %bb.125:                              ;   in Loop: Header=BB149_49 Depth=1
	v_or_b32_e32 v29, 0x10000, v2
	v_cmp_eq_u32_sdwa s[2:3], v2, v19 src0_sel:WORD_0 src1_sel:DWORD
	s_nop 1
	v_cndmask_b32_e64 v56, v29, v2, s[2:3]
; %bb.126:                              ;   in Loop: Header=BB149_49 Depth=1
	s_or_b64 exec, exec, s[16:17]
	v_lshlrev_b32_e32 v2, 16, v3
	v_mul_f32_e32 v2, v49, v2
	v_and_b32_e32 v3, 0x7f800000, v2
	v_cmp_ne_u32_e64 s[2:3], s24, v3
                                        ; implicit-def: $vgpr57
	s_and_saveexec_b64 s[16:17], s[2:3]
	s_xor_b64 s[2:3], exec, s[16:17]
; %bb.127:                              ;   in Loop: Header=BB149_49 Depth=1
	v_bfe_u32 v3, v2, 16, 1
	v_add3_u32 v57, v2, v3, s25
                                        ; implicit-def: $vgpr2
; %bb.128:                              ;   in Loop: Header=BB149_49 Depth=1
	s_andn2_saveexec_b64 s[16:17], s[2:3]
; %bb.129:                              ;   in Loop: Header=BB149_49 Depth=1
	v_or_b32_e32 v3, 0x10000, v2
	v_cmp_eq_u32_sdwa s[2:3], v2, v19 src0_sel:WORD_0 src1_sel:DWORD
	s_nop 1
	v_cndmask_b32_e64 v57, v3, v2, s[2:3]
; %bb.130:                              ;   in Loop: Header=BB149_49 Depth=1
	s_or_b64 exec, exec, s[16:17]
	v_lshlrev_b32_e32 v2, 16, v27
	v_mul_f32_e32 v2, v50, v2
	v_and_b32_e32 v3, 0x7f800000, v2
	v_cmp_ne_u32_e64 s[2:3], s24, v3
                                        ; implicit-def: $vgpr58
	s_and_saveexec_b64 s[16:17], s[2:3]
	s_xor_b64 s[2:3], exec, s[16:17]
; %bb.131:                              ;   in Loop: Header=BB149_49 Depth=1
	v_bfe_u32 v3, v2, 16, 1
	v_add3_u32 v58, v2, v3, s25
                                        ; implicit-def: $vgpr2
; %bb.132:                              ;   in Loop: Header=BB149_49 Depth=1
	s_andn2_saveexec_b64 s[16:17], s[2:3]
; %bb.133:                              ;   in Loop: Header=BB149_49 Depth=1
	v_or_b32_e32 v3, 0x10000, v2
	v_cmp_eq_u32_sdwa s[2:3], v2, v19 src0_sel:WORD_0 src1_sel:DWORD
	s_nop 1
	v_cndmask_b32_e64 v58, v3, v2, s[2:3]
; %bb.134:                              ;   in Loop: Header=BB149_49 Depth=1
	s_or_b64 exec, exec, s[16:17]
	v_lshlrev_b32_e32 v2, 16, v4
	v_mul_f32_e32 v2, v51, v2
	v_and_b32_e32 v3, 0x7f800000, v2
	v_cmp_ne_u32_e64 s[2:3], s24, v3
                                        ; implicit-def: $vgpr59
	s_and_saveexec_b64 s[16:17], s[2:3]
	s_xor_b64 s[2:3], exec, s[16:17]
; %bb.135:                              ;   in Loop: Header=BB149_49 Depth=1
	v_bfe_u32 v3, v2, 16, 1
	v_add3_u32 v59, v2, v3, s25
                                        ; implicit-def: $vgpr2
; %bb.136:                              ;   in Loop: Header=BB149_49 Depth=1
	s_andn2_saveexec_b64 s[16:17], s[2:3]
; %bb.137:                              ;   in Loop: Header=BB149_49 Depth=1
	v_or_b32_e32 v3, 0x10000, v2
	v_cmp_eq_u32_sdwa s[2:3], v2, v19 src0_sel:WORD_0 src1_sel:DWORD
	s_nop 1
	v_cndmask_b32_e64 v59, v3, v2, s[2:3]
; %bb.138:                              ;   in Loop: Header=BB149_49 Depth=1
	s_or_b64 exec, exec, s[16:17]
	v_lshlrev_b32_e32 v2, 16, v25
	v_mul_f32_e32 v2, v52, v2
	v_and_b32_e32 v3, 0x7f800000, v2
	v_cmp_ne_u32_e64 s[2:3], s24, v3
                                        ; implicit-def: $vgpr60
	s_and_saveexec_b64 s[16:17], s[2:3]
	s_xor_b64 s[2:3], exec, s[16:17]
; %bb.139:                              ;   in Loop: Header=BB149_49 Depth=1
	v_bfe_u32 v3, v2, 16, 1
	v_add3_u32 v60, v2, v3, s25
                                        ; implicit-def: $vgpr2
; %bb.140:                              ;   in Loop: Header=BB149_49 Depth=1
	s_andn2_saveexec_b64 s[16:17], s[2:3]
; %bb.141:                              ;   in Loop: Header=BB149_49 Depth=1
	v_or_b32_e32 v3, 0x10000, v2
	v_cmp_eq_u32_sdwa s[2:3], v2, v19 src0_sel:WORD_0 src1_sel:DWORD
	s_nop 1
	v_cndmask_b32_e64 v60, v3, v2, s[2:3]
; %bb.142:                              ;   in Loop: Header=BB149_49 Depth=1
	s_or_b64 exec, exec, s[16:17]
	v_lshlrev_b32_e32 v2, 16, v5
	v_mul_f32_e32 v2, v53, v2
	v_and_b32_e32 v3, 0x7f800000, v2
	v_cmp_ne_u32_e64 s[2:3], s24, v3
                                        ; implicit-def: $vgpr61
	s_and_saveexec_b64 s[16:17], s[2:3]
	s_xor_b64 s[2:3], exec, s[16:17]
; %bb.143:                              ;   in Loop: Header=BB149_49 Depth=1
	v_bfe_u32 v3, v2, 16, 1
	v_add3_u32 v61, v2, v3, s25
                                        ; implicit-def: $vgpr2
; %bb.144:                              ;   in Loop: Header=BB149_49 Depth=1
	s_andn2_saveexec_b64 s[16:17], s[2:3]
; %bb.145:                              ;   in Loop: Header=BB149_49 Depth=1
	v_or_b32_e32 v3, 0x10000, v2
	v_cmp_eq_u32_sdwa s[2:3], v2, v19 src0_sel:WORD_0 src1_sel:DWORD
	s_nop 1
	v_cndmask_b32_e64 v61, v3, v2, s[2:3]
; %bb.146:                              ;   in Loop: Header=BB149_49 Depth=1
	s_or_b64 exec, exec, s[16:17]
	v_lshlrev_b32_e32 v2, 16, v23
	v_mul_f32_e32 v2, v54, v2
	v_and_b32_e32 v3, 0x7f800000, v2
	v_cmp_ne_u32_e64 s[2:3], s24, v3
                                        ; implicit-def: $vgpr62
	s_and_saveexec_b64 s[16:17], s[2:3]
	s_xor_b64 s[2:3], exec, s[16:17]
; %bb.147:                              ;   in Loop: Header=BB149_49 Depth=1
	v_bfe_u32 v3, v2, 16, 1
	v_add3_u32 v62, v2, v3, s25
                                        ; implicit-def: $vgpr2
; %bb.148:                              ;   in Loop: Header=BB149_49 Depth=1
	s_andn2_saveexec_b64 s[16:17], s[2:3]
; %bb.149:                              ;   in Loop: Header=BB149_49 Depth=1
	v_or_b32_e32 v3, 0x10000, v2
	v_cmp_eq_u32_sdwa s[2:3], v2, v19 src0_sel:WORD_0 src1_sel:DWORD
	s_nop 1
	v_cndmask_b32_e64 v62, v3, v2, s[2:3]
; %bb.150:                              ;   in Loop: Header=BB149_49 Depth=1
	s_or_b64 exec, exec, s[16:17]
	global_load_dwordx4 v[2:5], v[8:9], off offset:2048
	s_waitcnt vmcnt(0)
	v_lshrrev_b32_e32 v29, 16, v2
	v_lshrrev_b32_e32 v27, 16, v3
	v_lshrrev_b32_e32 v25, 16, v4
	v_lshrrev_b32_e32 v23, 16, v5
	s_and_saveexec_b64 s[16:17], s[0:1]
	s_cbranch_execz .LBB149_152
; %bb.151:                              ;   in Loop: Header=BB149_49 Depth=1
	v_cmp_gt_i32_e64 s[2:3], s33, v44
	v_add_u32_e32 v63, 1, v44
	s_nop 0
	v_cndmask_b32_e64 v2, 0, v2, s[2:3]
	v_cmp_gt_i32_e64 s[2:3], s33, v63
	v_add_u32_e32 v63, 2, v44
	s_nop 0
	v_cndmask_b32_e64 v29, 0, v29, s[2:3]
	;; [unrolled: 4-line block ×7, first 2 shown]
	v_cmp_gt_i32_e64 s[2:3], s33, v63
	s_nop 1
	v_cndmask_b32_e64 v23, 0, v23, s[2:3]
.LBB149_152:                            ;   in Loop: Header=BB149_49 Depth=1
	s_or_b64 exec, exec, s[16:17]
	v_lshlrev_b32_e32 v2, 16, v2
	v_mul_f32_e32 v2, v47, v2
	v_and_b32_e32 v63, 0x7f800000, v2
	v_cmp_ne_u32_e64 s[2:3], s24, v63
                                        ; implicit-def: $vgpr63
	s_and_saveexec_b64 s[16:17], s[2:3]
	s_xor_b64 s[2:3], exec, s[16:17]
; %bb.153:                              ;   in Loop: Header=BB149_49 Depth=1
	v_bfe_u32 v63, v2, 16, 1
	v_add3_u32 v63, v2, v63, s25
                                        ; implicit-def: $vgpr2
; %bb.154:                              ;   in Loop: Header=BB149_49 Depth=1
	s_andn2_saveexec_b64 s[16:17], s[2:3]
; %bb.155:                              ;   in Loop: Header=BB149_49 Depth=1
	v_or_b32_e32 v63, 0x10000, v2
	v_cmp_eq_u32_sdwa s[2:3], v2, v19 src0_sel:WORD_0 src1_sel:DWORD
	s_nop 1
	v_cndmask_b32_e64 v63, v63, v2, s[2:3]
; %bb.156:                              ;   in Loop: Header=BB149_49 Depth=1
	s_or_b64 exec, exec, s[16:17]
	v_lshlrev_b32_e32 v2, 16, v29
	v_mul_f32_e32 v2, v48, v2
	v_and_b32_e32 v29, 0x7f800000, v2
	v_cmp_ne_u32_e64 s[2:3], s24, v29
                                        ; implicit-def: $vgpr64
	s_and_saveexec_b64 s[16:17], s[2:3]
	s_xor_b64 s[2:3], exec, s[16:17]
; %bb.157:                              ;   in Loop: Header=BB149_49 Depth=1
	v_bfe_u32 v29, v2, 16, 1
	v_add3_u32 v64, v2, v29, s25
                                        ; implicit-def: $vgpr2
; %bb.158:                              ;   in Loop: Header=BB149_49 Depth=1
	s_andn2_saveexec_b64 s[16:17], s[2:3]
; %bb.159:                              ;   in Loop: Header=BB149_49 Depth=1
	v_or_b32_e32 v29, 0x10000, v2
	v_cmp_eq_u32_sdwa s[2:3], v2, v19 src0_sel:WORD_0 src1_sel:DWORD
	s_nop 1
	v_cndmask_b32_e64 v64, v29, v2, s[2:3]
; %bb.160:                              ;   in Loop: Header=BB149_49 Depth=1
	s_or_b64 exec, exec, s[16:17]
	v_lshlrev_b32_e32 v2, 16, v3
	v_mul_f32_e32 v2, v49, v2
	v_and_b32_e32 v3, 0x7f800000, v2
	v_cmp_ne_u32_e64 s[2:3], s24, v3
                                        ; implicit-def: $vgpr65
	s_and_saveexec_b64 s[16:17], s[2:3]
	s_xor_b64 s[2:3], exec, s[16:17]
; %bb.161:                              ;   in Loop: Header=BB149_49 Depth=1
	v_bfe_u32 v3, v2, 16, 1
	v_add3_u32 v65, v2, v3, s25
                                        ; implicit-def: $vgpr2
; %bb.162:                              ;   in Loop: Header=BB149_49 Depth=1
	s_andn2_saveexec_b64 s[16:17], s[2:3]
; %bb.163:                              ;   in Loop: Header=BB149_49 Depth=1
	v_or_b32_e32 v3, 0x10000, v2
	v_cmp_eq_u32_sdwa s[2:3], v2, v19 src0_sel:WORD_0 src1_sel:DWORD
	s_nop 1
	v_cndmask_b32_e64 v65, v3, v2, s[2:3]
; %bb.164:                              ;   in Loop: Header=BB149_49 Depth=1
	s_or_b64 exec, exec, s[16:17]
	v_lshlrev_b32_e32 v2, 16, v27
	v_mul_f32_e32 v2, v50, v2
	v_and_b32_e32 v3, 0x7f800000, v2
	v_cmp_ne_u32_e64 s[2:3], s24, v3
                                        ; implicit-def: $vgpr66
	s_and_saveexec_b64 s[16:17], s[2:3]
	s_xor_b64 s[2:3], exec, s[16:17]
; %bb.165:                              ;   in Loop: Header=BB149_49 Depth=1
	v_bfe_u32 v3, v2, 16, 1
	v_add3_u32 v66, v2, v3, s25
                                        ; implicit-def: $vgpr2
; %bb.166:                              ;   in Loop: Header=BB149_49 Depth=1
	s_andn2_saveexec_b64 s[16:17], s[2:3]
; %bb.167:                              ;   in Loop: Header=BB149_49 Depth=1
	v_or_b32_e32 v3, 0x10000, v2
	v_cmp_eq_u32_sdwa s[2:3], v2, v19 src0_sel:WORD_0 src1_sel:DWORD
	s_nop 1
	v_cndmask_b32_e64 v66, v3, v2, s[2:3]
; %bb.168:                              ;   in Loop: Header=BB149_49 Depth=1
	s_or_b64 exec, exec, s[16:17]
	v_lshlrev_b32_e32 v2, 16, v4
	v_mul_f32_e32 v2, v51, v2
	v_and_b32_e32 v3, 0x7f800000, v2
	v_cmp_ne_u32_e64 s[2:3], s24, v3
                                        ; implicit-def: $vgpr67
	s_and_saveexec_b64 s[16:17], s[2:3]
	s_xor_b64 s[2:3], exec, s[16:17]
; %bb.169:                              ;   in Loop: Header=BB149_49 Depth=1
	v_bfe_u32 v3, v2, 16, 1
	v_add3_u32 v67, v2, v3, s25
                                        ; implicit-def: $vgpr2
; %bb.170:                              ;   in Loop: Header=BB149_49 Depth=1
	s_andn2_saveexec_b64 s[16:17], s[2:3]
; %bb.171:                              ;   in Loop: Header=BB149_49 Depth=1
	v_or_b32_e32 v3, 0x10000, v2
	v_cmp_eq_u32_sdwa s[2:3], v2, v19 src0_sel:WORD_0 src1_sel:DWORD
	s_nop 1
	v_cndmask_b32_e64 v67, v3, v2, s[2:3]
; %bb.172:                              ;   in Loop: Header=BB149_49 Depth=1
	s_or_b64 exec, exec, s[16:17]
	v_lshlrev_b32_e32 v2, 16, v25
	v_mul_f32_e32 v2, v52, v2
	v_and_b32_e32 v3, 0x7f800000, v2
	v_cmp_ne_u32_e64 s[2:3], s24, v3
                                        ; implicit-def: $vgpr68
	s_and_saveexec_b64 s[16:17], s[2:3]
	s_xor_b64 s[2:3], exec, s[16:17]
; %bb.173:                              ;   in Loop: Header=BB149_49 Depth=1
	v_bfe_u32 v3, v2, 16, 1
	v_add3_u32 v68, v2, v3, s25
                                        ; implicit-def: $vgpr2
; %bb.174:                              ;   in Loop: Header=BB149_49 Depth=1
	s_andn2_saveexec_b64 s[16:17], s[2:3]
; %bb.175:                              ;   in Loop: Header=BB149_49 Depth=1
	v_or_b32_e32 v3, 0x10000, v2
	v_cmp_eq_u32_sdwa s[2:3], v2, v19 src0_sel:WORD_0 src1_sel:DWORD
	s_nop 1
	v_cndmask_b32_e64 v68, v3, v2, s[2:3]
; %bb.176:                              ;   in Loop: Header=BB149_49 Depth=1
	s_or_b64 exec, exec, s[16:17]
	v_lshlrev_b32_e32 v2, 16, v5
	v_mul_f32_e32 v2, v53, v2
	v_and_b32_e32 v3, 0x7f800000, v2
	v_cmp_ne_u32_e64 s[2:3], s24, v3
                                        ; implicit-def: $vgpr69
	s_and_saveexec_b64 s[16:17], s[2:3]
	s_xor_b64 s[2:3], exec, s[16:17]
; %bb.177:                              ;   in Loop: Header=BB149_49 Depth=1
	v_bfe_u32 v3, v2, 16, 1
	v_add3_u32 v69, v2, v3, s25
                                        ; implicit-def: $vgpr2
; %bb.178:                              ;   in Loop: Header=BB149_49 Depth=1
	s_andn2_saveexec_b64 s[16:17], s[2:3]
; %bb.179:                              ;   in Loop: Header=BB149_49 Depth=1
	v_or_b32_e32 v3, 0x10000, v2
	v_cmp_eq_u32_sdwa s[2:3], v2, v19 src0_sel:WORD_0 src1_sel:DWORD
	s_nop 1
	v_cndmask_b32_e64 v69, v3, v2, s[2:3]
; %bb.180:                              ;   in Loop: Header=BB149_49 Depth=1
	s_or_b64 exec, exec, s[16:17]
	v_lshlrev_b32_e32 v2, 16, v23
	v_mul_f32_e32 v2, v54, v2
	v_and_b32_e32 v3, 0x7f800000, v2
	v_cmp_ne_u32_e64 s[2:3], s24, v3
                                        ; implicit-def: $vgpr70
	s_and_saveexec_b64 s[16:17], s[2:3]
	s_xor_b64 s[2:3], exec, s[16:17]
; %bb.181:                              ;   in Loop: Header=BB149_49 Depth=1
	v_bfe_u32 v3, v2, 16, 1
	v_add3_u32 v70, v2, v3, s25
                                        ; implicit-def: $vgpr2
; %bb.182:                              ;   in Loop: Header=BB149_49 Depth=1
	s_andn2_saveexec_b64 s[16:17], s[2:3]
; %bb.183:                              ;   in Loop: Header=BB149_49 Depth=1
	v_or_b32_e32 v3, 0x10000, v2
	v_cmp_eq_u32_sdwa s[2:3], v2, v19 src0_sel:WORD_0 src1_sel:DWORD
	s_nop 1
	v_cndmask_b32_e64 v70, v3, v2, s[2:3]
; %bb.184:                              ;   in Loop: Header=BB149_49 Depth=1
	s_or_b64 exec, exec, s[16:17]
	global_load_dwordx4 v[2:5], v[8:9], off offset:3072
	s_waitcnt vmcnt(0)
	v_lshrrev_b32_e32 v9, 16, v2
	v_lshrrev_b32_e32 v27, 16, v3
	;; [unrolled: 1-line block ×4, first 2 shown]
	s_and_saveexec_b64 s[16:17], s[0:1]
	s_cbranch_execz .LBB149_186
; %bb.185:                              ;   in Loop: Header=BB149_49 Depth=1
	v_cmp_gt_i32_e64 s[2:3], s33, v44
	v_add_u32_e32 v8, 1, v44
	s_nop 0
	v_cndmask_b32_e64 v2, 0, v2, s[2:3]
	v_cmp_gt_i32_e64 s[2:3], s33, v8
	v_add_u32_e32 v8, 2, v44
	s_nop 0
	v_cndmask_b32_e64 v9, 0, v9, s[2:3]
	;; [unrolled: 4-line block ×7, first 2 shown]
	v_cmp_gt_i32_e64 s[2:3], s33, v8
	s_nop 1
	v_cndmask_b32_e64 v23, 0, v23, s[2:3]
.LBB149_186:                            ;   in Loop: Header=BB149_49 Depth=1
	s_or_b64 exec, exec, s[16:17]
	v_lshlrev_b32_e32 v2, 16, v2
	v_mul_f32_e32 v2, v47, v2
	v_and_b32_e32 v8, 0x7f800000, v2
	v_cmp_ne_u32_e64 s[2:3], s24, v8
                                        ; implicit-def: $vgpr8
	s_and_saveexec_b64 s[16:17], s[2:3]
	s_xor_b64 s[2:3], exec, s[16:17]
; %bb.187:                              ;   in Loop: Header=BB149_49 Depth=1
	v_bfe_u32 v8, v2, 16, 1
	v_add3_u32 v8, v2, v8, s25
                                        ; implicit-def: $vgpr2
; %bb.188:                              ;   in Loop: Header=BB149_49 Depth=1
	s_andn2_saveexec_b64 s[16:17], s[2:3]
; %bb.189:                              ;   in Loop: Header=BB149_49 Depth=1
	v_or_b32_e32 v8, 0x10000, v2
	v_cmp_eq_u32_sdwa s[2:3], v2, v19 src0_sel:WORD_0 src1_sel:DWORD
	s_nop 1
	v_cndmask_b32_e64 v8, v8, v2, s[2:3]
; %bb.190:                              ;   in Loop: Header=BB149_49 Depth=1
	s_or_b64 exec, exec, s[16:17]
	v_lshlrev_b32_e32 v2, 16, v9
	v_mul_f32_e32 v2, v48, v2
	v_and_b32_e32 v9, 0x7f800000, v2
	v_cmp_ne_u32_e64 s[2:3], s24, v9
                                        ; implicit-def: $vgpr9
	s_and_saveexec_b64 s[16:17], s[2:3]
	s_xor_b64 s[2:3], exec, s[16:17]
; %bb.191:                              ;   in Loop: Header=BB149_49 Depth=1
	v_bfe_u32 v9, v2, 16, 1
	v_add3_u32 v9, v2, v9, s25
                                        ; implicit-def: $vgpr2
; %bb.192:                              ;   in Loop: Header=BB149_49 Depth=1
	s_andn2_saveexec_b64 s[16:17], s[2:3]
; %bb.193:                              ;   in Loop: Header=BB149_49 Depth=1
	v_or_b32_e32 v9, 0x10000, v2
	v_cmp_eq_u32_sdwa s[2:3], v2, v19 src0_sel:WORD_0 src1_sel:DWORD
	s_nop 1
	v_cndmask_b32_e64 v9, v9, v2, s[2:3]
; %bb.194:                              ;   in Loop: Header=BB149_49 Depth=1
	s_or_b64 exec, exec, s[16:17]
	v_lshlrev_b32_e32 v2, 16, v3
	v_mul_f32_e32 v2, v49, v2
	v_and_b32_e32 v3, 0x7f800000, v2
	v_cmp_ne_u32_e64 s[2:3], s24, v3
                                        ; implicit-def: $vgpr71
	s_and_saveexec_b64 s[16:17], s[2:3]
	s_xor_b64 s[2:3], exec, s[16:17]
; %bb.195:                              ;   in Loop: Header=BB149_49 Depth=1
	v_bfe_u32 v3, v2, 16, 1
	v_add3_u32 v71, v2, v3, s25
                                        ; implicit-def: $vgpr2
; %bb.196:                              ;   in Loop: Header=BB149_49 Depth=1
	s_andn2_saveexec_b64 s[16:17], s[2:3]
; %bb.197:                              ;   in Loop: Header=BB149_49 Depth=1
	v_or_b32_e32 v3, 0x10000, v2
	v_cmp_eq_u32_sdwa s[2:3], v2, v19 src0_sel:WORD_0 src1_sel:DWORD
	s_nop 1
	v_cndmask_b32_e64 v71, v3, v2, s[2:3]
; %bb.198:                              ;   in Loop: Header=BB149_49 Depth=1
	s_or_b64 exec, exec, s[16:17]
	v_lshlrev_b32_e32 v2, 16, v27
	v_mul_f32_e32 v2, v50, v2
	v_and_b32_e32 v3, 0x7f800000, v2
	v_cmp_ne_u32_e64 s[2:3], s24, v3
                                        ; implicit-def: $vgpr72
	s_and_saveexec_b64 s[16:17], s[2:3]
	s_xor_b64 s[2:3], exec, s[16:17]
; %bb.199:                              ;   in Loop: Header=BB149_49 Depth=1
	v_bfe_u32 v3, v2, 16, 1
	v_add3_u32 v72, v2, v3, s25
                                        ; implicit-def: $vgpr2
; %bb.200:                              ;   in Loop: Header=BB149_49 Depth=1
	s_andn2_saveexec_b64 s[16:17], s[2:3]
; %bb.201:                              ;   in Loop: Header=BB149_49 Depth=1
	v_or_b32_e32 v3, 0x10000, v2
	v_cmp_eq_u32_sdwa s[2:3], v2, v19 src0_sel:WORD_0 src1_sel:DWORD
	s_nop 1
	v_cndmask_b32_e64 v72, v3, v2, s[2:3]
; %bb.202:                              ;   in Loop: Header=BB149_49 Depth=1
	s_or_b64 exec, exec, s[16:17]
	v_lshlrev_b32_e32 v2, 16, v4
	v_mul_f32_e32 v2, v51, v2
	v_and_b32_e32 v3, 0x7f800000, v2
	v_cmp_ne_u32_e64 s[2:3], s24, v3
                                        ; implicit-def: $vgpr73
	s_and_saveexec_b64 s[16:17], s[2:3]
	s_xor_b64 s[2:3], exec, s[16:17]
; %bb.203:                              ;   in Loop: Header=BB149_49 Depth=1
	v_bfe_u32 v3, v2, 16, 1
	v_add3_u32 v73, v2, v3, s25
                                        ; implicit-def: $vgpr2
; %bb.204:                              ;   in Loop: Header=BB149_49 Depth=1
	s_andn2_saveexec_b64 s[16:17], s[2:3]
; %bb.205:                              ;   in Loop: Header=BB149_49 Depth=1
	v_or_b32_e32 v3, 0x10000, v2
	v_cmp_eq_u32_sdwa s[2:3], v2, v19 src0_sel:WORD_0 src1_sel:DWORD
	s_nop 1
	v_cndmask_b32_e64 v73, v3, v2, s[2:3]
; %bb.206:                              ;   in Loop: Header=BB149_49 Depth=1
	s_or_b64 exec, exec, s[16:17]
	v_lshlrev_b32_e32 v2, 16, v25
	v_mul_f32_e32 v2, v52, v2
	v_and_b32_e32 v3, 0x7f800000, v2
	v_cmp_ne_u32_e64 s[2:3], s24, v3
                                        ; implicit-def: $vgpr74
	s_and_saveexec_b64 s[16:17], s[2:3]
	s_xor_b64 s[2:3], exec, s[16:17]
; %bb.207:                              ;   in Loop: Header=BB149_49 Depth=1
	v_bfe_u32 v3, v2, 16, 1
	v_add3_u32 v74, v2, v3, s25
                                        ; implicit-def: $vgpr2
; %bb.208:                              ;   in Loop: Header=BB149_49 Depth=1
	s_andn2_saveexec_b64 s[16:17], s[2:3]
; %bb.209:                              ;   in Loop: Header=BB149_49 Depth=1
	v_or_b32_e32 v3, 0x10000, v2
	v_cmp_eq_u32_sdwa s[2:3], v2, v19 src0_sel:WORD_0 src1_sel:DWORD
	s_nop 1
	v_cndmask_b32_e64 v74, v3, v2, s[2:3]
; %bb.210:                              ;   in Loop: Header=BB149_49 Depth=1
	s_or_b64 exec, exec, s[16:17]
	v_lshlrev_b32_e32 v2, 16, v5
	v_mul_f32_e32 v2, v53, v2
	v_and_b32_e32 v3, 0x7f800000, v2
	v_cmp_ne_u32_e64 s[2:3], s24, v3
                                        ; implicit-def: $vgpr75
	s_and_saveexec_b64 s[16:17], s[2:3]
	s_xor_b64 s[2:3], exec, s[16:17]
; %bb.211:                              ;   in Loop: Header=BB149_49 Depth=1
	v_bfe_u32 v3, v2, 16, 1
	v_add3_u32 v75, v2, v3, s25
                                        ; implicit-def: $vgpr2
; %bb.212:                              ;   in Loop: Header=BB149_49 Depth=1
	s_andn2_saveexec_b64 s[16:17], s[2:3]
; %bb.213:                              ;   in Loop: Header=BB149_49 Depth=1
	v_or_b32_e32 v3, 0x10000, v2
	v_cmp_eq_u32_sdwa s[2:3], v2, v19 src0_sel:WORD_0 src1_sel:DWORD
	s_nop 1
	v_cndmask_b32_e64 v75, v3, v2, s[2:3]
; %bb.214:                              ;   in Loop: Header=BB149_49 Depth=1
	s_or_b64 exec, exec, s[16:17]
	v_lshlrev_b32_e32 v2, 16, v23
	v_mul_f32_e32 v2, v54, v2
	v_and_b32_e32 v3, 0x7f800000, v2
	v_cmp_ne_u32_e64 s[2:3], s24, v3
                                        ; implicit-def: $vgpr76
	s_and_saveexec_b64 s[16:17], s[2:3]
	s_xor_b64 s[2:3], exec, s[16:17]
; %bb.215:                              ;   in Loop: Header=BB149_49 Depth=1
	v_bfe_u32 v3, v2, 16, 1
	v_add3_u32 v76, v2, v3, s25
                                        ; implicit-def: $vgpr2
; %bb.216:                              ;   in Loop: Header=BB149_49 Depth=1
	s_andn2_saveexec_b64 s[16:17], s[2:3]
; %bb.217:                              ;   in Loop: Header=BB149_49 Depth=1
	v_or_b32_e32 v3, 0x10000, v2
	v_cmp_eq_u32_sdwa s[2:3], v2, v19 src0_sel:WORD_0 src1_sel:DWORD
	s_nop 1
	v_cndmask_b32_e64 v76, v3, v2, s[2:3]
; %bb.218:                              ;   in Loop: Header=BB149_49 Depth=1
	s_or_b64 exec, exec, s[16:17]
	v_mov_b32_e32 v23, v19
	v_lshl_add_u64 v[2:3], v[6:7], 0, v[22:23]
	global_load_dwordx4 v[2:5], v[2:3], off
	s_waitcnt vmcnt(0)
	v_lshrrev_b32_e32 v77, 16, v2
	v_lshrrev_b32_e32 v29, 16, v3
	;; [unrolled: 1-line block ×4, first 2 shown]
	s_and_saveexec_b64 s[16:17], s[0:1]
	s_cbranch_execz .LBB149_220
; %bb.219:                              ;   in Loop: Header=BB149_49 Depth=1
	v_cmp_gt_i32_e64 s[2:3], s33, v44
	v_add_u32_e32 v23, 1, v44
	s_nop 0
	v_cndmask_b32_e64 v2, 0, v2, s[2:3]
	v_cmp_gt_i32_e64 s[2:3], s33, v23
	v_add_u32_e32 v23, 2, v44
	s_nop 0
	v_cndmask_b32_e64 v77, 0, v77, s[2:3]
	;; [unrolled: 4-line block ×7, first 2 shown]
	v_cmp_gt_i32_e64 s[2:3], s33, v23
	s_nop 1
	v_cndmask_b32_e64 v25, 0, v25, s[2:3]
.LBB149_220:                            ;   in Loop: Header=BB149_49 Depth=1
	s_or_b64 exec, exec, s[16:17]
	v_lshlrev_b32_e32 v2, 16, v2
	v_mul_f32_e32 v2, v47, v2
	v_and_b32_e32 v23, 0x7f800000, v2
	v_cmp_ne_u32_e64 s[2:3], s24, v23
                                        ; implicit-def: $vgpr23
	s_and_saveexec_b64 s[16:17], s[2:3]
	s_xor_b64 s[2:3], exec, s[16:17]
; %bb.221:                              ;   in Loop: Header=BB149_49 Depth=1
	v_bfe_u32 v23, v2, 16, 1
	v_add3_u32 v23, v2, v23, s25
                                        ; implicit-def: $vgpr2
; %bb.222:                              ;   in Loop: Header=BB149_49 Depth=1
	s_andn2_saveexec_b64 s[16:17], s[2:3]
; %bb.223:                              ;   in Loop: Header=BB149_49 Depth=1
	v_or_b32_e32 v23, 0x10000, v2
	v_cmp_eq_u32_sdwa s[2:3], v2, v19 src0_sel:WORD_0 src1_sel:DWORD
	s_nop 1
	v_cndmask_b32_e64 v23, v23, v2, s[2:3]
; %bb.224:                              ;   in Loop: Header=BB149_49 Depth=1
	s_or_b64 exec, exec, s[16:17]
	v_lshlrev_b32_e32 v2, 16, v77
	v_mul_f32_e32 v2, v48, v2
	v_and_b32_e32 v77, 0x7f800000, v2
	v_cmp_ne_u32_e64 s[2:3], s24, v77
                                        ; implicit-def: $vgpr77
	s_and_saveexec_b64 s[16:17], s[2:3]
	s_xor_b64 s[2:3], exec, s[16:17]
; %bb.225:                              ;   in Loop: Header=BB149_49 Depth=1
	v_bfe_u32 v77, v2, 16, 1
	v_add3_u32 v77, v2, v77, s25
                                        ; implicit-def: $vgpr2
; %bb.226:                              ;   in Loop: Header=BB149_49 Depth=1
	s_andn2_saveexec_b64 s[16:17], s[2:3]
; %bb.227:                              ;   in Loop: Header=BB149_49 Depth=1
	v_or_b32_e32 v77, 0x10000, v2
	v_cmp_eq_u32_sdwa s[2:3], v2, v19 src0_sel:WORD_0 src1_sel:DWORD
	s_nop 1
	v_cndmask_b32_e64 v77, v77, v2, s[2:3]
; %bb.228:                              ;   in Loop: Header=BB149_49 Depth=1
	s_or_b64 exec, exec, s[16:17]
	v_lshlrev_b32_e32 v2, 16, v3
	v_mul_f32_e32 v2, v49, v2
	v_and_b32_e32 v3, 0x7f800000, v2
	v_cmp_ne_u32_e64 s[2:3], s24, v3
                                        ; implicit-def: $vgpr78
	s_and_saveexec_b64 s[16:17], s[2:3]
	s_xor_b64 s[2:3], exec, s[16:17]
; %bb.229:                              ;   in Loop: Header=BB149_49 Depth=1
	v_bfe_u32 v3, v2, 16, 1
	v_add3_u32 v78, v2, v3, s25
                                        ; implicit-def: $vgpr2
; %bb.230:                              ;   in Loop: Header=BB149_49 Depth=1
	s_andn2_saveexec_b64 s[16:17], s[2:3]
; %bb.231:                              ;   in Loop: Header=BB149_49 Depth=1
	v_or_b32_e32 v3, 0x10000, v2
	v_cmp_eq_u32_sdwa s[2:3], v2, v19 src0_sel:WORD_0 src1_sel:DWORD
	s_nop 1
	v_cndmask_b32_e64 v78, v3, v2, s[2:3]
; %bb.232:                              ;   in Loop: Header=BB149_49 Depth=1
	s_or_b64 exec, exec, s[16:17]
	v_lshlrev_b32_e32 v2, 16, v29
	v_mul_f32_e32 v2, v50, v2
	v_and_b32_e32 v3, 0x7f800000, v2
	v_cmp_ne_u32_e64 s[2:3], s24, v3
                                        ; implicit-def: $vgpr79
	s_and_saveexec_b64 s[16:17], s[2:3]
	s_xor_b64 s[2:3], exec, s[16:17]
; %bb.233:                              ;   in Loop: Header=BB149_49 Depth=1
	v_bfe_u32 v3, v2, 16, 1
	v_add3_u32 v79, v2, v3, s25
                                        ; implicit-def: $vgpr2
; %bb.234:                              ;   in Loop: Header=BB149_49 Depth=1
	s_andn2_saveexec_b64 s[16:17], s[2:3]
; %bb.235:                              ;   in Loop: Header=BB149_49 Depth=1
	v_or_b32_e32 v3, 0x10000, v2
	v_cmp_eq_u32_sdwa s[2:3], v2, v19 src0_sel:WORD_0 src1_sel:DWORD
	s_nop 1
	v_cndmask_b32_e64 v79, v3, v2, s[2:3]
; %bb.236:                              ;   in Loop: Header=BB149_49 Depth=1
	s_or_b64 exec, exec, s[16:17]
	v_lshlrev_b32_e32 v2, 16, v4
	v_mul_f32_e32 v2, v51, v2
	v_and_b32_e32 v3, 0x7f800000, v2
	v_cmp_ne_u32_e64 s[2:3], s24, v3
                                        ; implicit-def: $vgpr80
	s_and_saveexec_b64 s[16:17], s[2:3]
	s_xor_b64 s[2:3], exec, s[16:17]
; %bb.237:                              ;   in Loop: Header=BB149_49 Depth=1
	v_bfe_u32 v3, v2, 16, 1
	v_add3_u32 v80, v2, v3, s25
                                        ; implicit-def: $vgpr2
; %bb.238:                              ;   in Loop: Header=BB149_49 Depth=1
	s_andn2_saveexec_b64 s[16:17], s[2:3]
; %bb.239:                              ;   in Loop: Header=BB149_49 Depth=1
	v_or_b32_e32 v3, 0x10000, v2
	v_cmp_eq_u32_sdwa s[2:3], v2, v19 src0_sel:WORD_0 src1_sel:DWORD
	s_nop 1
	v_cndmask_b32_e64 v80, v3, v2, s[2:3]
; %bb.240:                              ;   in Loop: Header=BB149_49 Depth=1
	s_or_b64 exec, exec, s[16:17]
	v_lshlrev_b32_e32 v2, 16, v27
	v_mul_f32_e32 v2, v52, v2
	v_and_b32_e32 v3, 0x7f800000, v2
	v_cmp_ne_u32_e64 s[2:3], s24, v3
                                        ; implicit-def: $vgpr81
	s_and_saveexec_b64 s[16:17], s[2:3]
	s_xor_b64 s[2:3], exec, s[16:17]
; %bb.241:                              ;   in Loop: Header=BB149_49 Depth=1
	v_bfe_u32 v3, v2, 16, 1
	v_add3_u32 v81, v2, v3, s25
                                        ; implicit-def: $vgpr2
; %bb.242:                              ;   in Loop: Header=BB149_49 Depth=1
	s_andn2_saveexec_b64 s[16:17], s[2:3]
; %bb.243:                              ;   in Loop: Header=BB149_49 Depth=1
	v_or_b32_e32 v3, 0x10000, v2
	v_cmp_eq_u32_sdwa s[2:3], v2, v19 src0_sel:WORD_0 src1_sel:DWORD
	s_nop 1
	v_cndmask_b32_e64 v81, v3, v2, s[2:3]
; %bb.244:                              ;   in Loop: Header=BB149_49 Depth=1
	s_or_b64 exec, exec, s[16:17]
	v_lshlrev_b32_e32 v2, 16, v5
	v_mul_f32_e32 v2, v53, v2
	v_and_b32_e32 v3, 0x7f800000, v2
	v_cmp_ne_u32_e64 s[2:3], s24, v3
                                        ; implicit-def: $vgpr82
	s_and_saveexec_b64 s[16:17], s[2:3]
	s_xor_b64 s[2:3], exec, s[16:17]
; %bb.245:                              ;   in Loop: Header=BB149_49 Depth=1
	v_bfe_u32 v3, v2, 16, 1
	v_add3_u32 v82, v2, v3, s25
                                        ; implicit-def: $vgpr2
; %bb.246:                              ;   in Loop: Header=BB149_49 Depth=1
	s_andn2_saveexec_b64 s[16:17], s[2:3]
; %bb.247:                              ;   in Loop: Header=BB149_49 Depth=1
	v_or_b32_e32 v3, 0x10000, v2
	v_cmp_eq_u32_sdwa s[2:3], v2, v19 src0_sel:WORD_0 src1_sel:DWORD
	s_nop 1
	v_cndmask_b32_e64 v82, v3, v2, s[2:3]
; %bb.248:                              ;   in Loop: Header=BB149_49 Depth=1
	s_or_b64 exec, exec, s[16:17]
	v_lshlrev_b32_e32 v2, 16, v25
	v_mul_f32_e32 v2, v54, v2
	v_and_b32_e32 v3, 0x7f800000, v2
	v_cmp_ne_u32_e64 s[2:3], s24, v3
                                        ; implicit-def: $vgpr83
	s_and_saveexec_b64 s[16:17], s[2:3]
	s_xor_b64 s[2:3], exec, s[16:17]
; %bb.249:                              ;   in Loop: Header=BB149_49 Depth=1
	v_bfe_u32 v3, v2, 16, 1
	v_add3_u32 v83, v2, v3, s25
                                        ; implicit-def: $vgpr2
; %bb.250:                              ;   in Loop: Header=BB149_49 Depth=1
	s_andn2_saveexec_b64 s[16:17], s[2:3]
; %bb.251:                              ;   in Loop: Header=BB149_49 Depth=1
	v_or_b32_e32 v3, 0x10000, v2
	v_cmp_eq_u32_sdwa s[2:3], v2, v19 src0_sel:WORD_0 src1_sel:DWORD
	s_nop 1
	v_cndmask_b32_e64 v83, v3, v2, s[2:3]
; %bb.252:                              ;   in Loop: Header=BB149_49 Depth=1
	s_or_b64 exec, exec, s[16:17]
	v_mov_b32_e32 v25, v19
	v_lshl_add_u64 v[2:3], v[6:7], 0, v[24:25]
	global_load_dwordx4 v[2:5], v[2:3], off
	s_waitcnt vmcnt(0)
	v_lshrrev_b32_e32 v84, 16, v2
	v_lshrrev_b32_e32 v86, 16, v3
	;; [unrolled: 1-line block ×4, first 2 shown]
	s_and_saveexec_b64 s[16:17], s[0:1]
	s_cbranch_execz .LBB149_254
; %bb.253:                              ;   in Loop: Header=BB149_49 Depth=1
	v_cmp_gt_i32_e64 s[2:3], s33, v44
	v_add_u32_e32 v25, 1, v44
	s_nop 0
	v_cndmask_b32_e64 v2, 0, v2, s[2:3]
	v_cmp_gt_i32_e64 s[2:3], s33, v25
	v_add_u32_e32 v25, 2, v44
	s_nop 0
	v_cndmask_b32_e64 v84, 0, v84, s[2:3]
	;; [unrolled: 4-line block ×7, first 2 shown]
	v_cmp_gt_i32_e64 s[2:3], s33, v25
	s_nop 1
	v_cndmask_b32_e64 v27, 0, v27, s[2:3]
.LBB149_254:                            ;   in Loop: Header=BB149_49 Depth=1
	s_or_b64 exec, exec, s[16:17]
	v_lshlrev_b32_e32 v2, 16, v2
	v_mul_f32_e32 v2, v47, v2
	v_and_b32_e32 v25, 0x7f800000, v2
	v_cmp_ne_u32_e64 s[2:3], s24, v25
                                        ; implicit-def: $vgpr25
	s_and_saveexec_b64 s[16:17], s[2:3]
	s_xor_b64 s[2:3], exec, s[16:17]
; %bb.255:                              ;   in Loop: Header=BB149_49 Depth=1
	v_bfe_u32 v25, v2, 16, 1
	v_add3_u32 v25, v2, v25, s25
                                        ; implicit-def: $vgpr2
; %bb.256:                              ;   in Loop: Header=BB149_49 Depth=1
	s_andn2_saveexec_b64 s[16:17], s[2:3]
; %bb.257:                              ;   in Loop: Header=BB149_49 Depth=1
	v_or_b32_e32 v25, 0x10000, v2
	v_cmp_eq_u32_sdwa s[2:3], v2, v19 src0_sel:WORD_0 src1_sel:DWORD
	s_nop 1
	v_cndmask_b32_e64 v25, v25, v2, s[2:3]
; %bb.258:                              ;   in Loop: Header=BB149_49 Depth=1
	s_or_b64 exec, exec, s[16:17]
	v_lshlrev_b32_e32 v2, 16, v84
	v_mul_f32_e32 v2, v48, v2
	v_and_b32_e32 v84, 0x7f800000, v2
	v_cmp_ne_u32_e64 s[2:3], s24, v84
                                        ; implicit-def: $vgpr84
	s_and_saveexec_b64 s[16:17], s[2:3]
	s_xor_b64 s[2:3], exec, s[16:17]
; %bb.259:                              ;   in Loop: Header=BB149_49 Depth=1
	v_bfe_u32 v84, v2, 16, 1
	v_add3_u32 v84, v2, v84, s25
                                        ; implicit-def: $vgpr2
; %bb.260:                              ;   in Loop: Header=BB149_49 Depth=1
	s_andn2_saveexec_b64 s[16:17], s[2:3]
; %bb.261:                              ;   in Loop: Header=BB149_49 Depth=1
	v_or_b32_e32 v84, 0x10000, v2
	v_cmp_eq_u32_sdwa s[2:3], v2, v19 src0_sel:WORD_0 src1_sel:DWORD
	s_nop 1
	v_cndmask_b32_e64 v84, v84, v2, s[2:3]
; %bb.262:                              ;   in Loop: Header=BB149_49 Depth=1
	s_or_b64 exec, exec, s[16:17]
	v_lshlrev_b32_e32 v2, 16, v3
	v_mul_f32_e32 v2, v49, v2
	v_and_b32_e32 v3, 0x7f800000, v2
	v_cmp_ne_u32_e64 s[2:3], s24, v3
                                        ; implicit-def: $vgpr85
	s_and_saveexec_b64 s[16:17], s[2:3]
	s_xor_b64 s[2:3], exec, s[16:17]
; %bb.263:                              ;   in Loop: Header=BB149_49 Depth=1
	v_bfe_u32 v3, v2, 16, 1
	v_add3_u32 v85, v2, v3, s25
                                        ; implicit-def: $vgpr2
; %bb.264:                              ;   in Loop: Header=BB149_49 Depth=1
	s_andn2_saveexec_b64 s[16:17], s[2:3]
; %bb.265:                              ;   in Loop: Header=BB149_49 Depth=1
	v_or_b32_e32 v3, 0x10000, v2
	v_cmp_eq_u32_sdwa s[2:3], v2, v19 src0_sel:WORD_0 src1_sel:DWORD
	s_nop 1
	v_cndmask_b32_e64 v85, v3, v2, s[2:3]
; %bb.266:                              ;   in Loop: Header=BB149_49 Depth=1
	s_or_b64 exec, exec, s[16:17]
	v_lshlrev_b32_e32 v2, 16, v86
	v_mul_f32_e32 v2, v50, v2
	v_and_b32_e32 v3, 0x7f800000, v2
	v_cmp_ne_u32_e64 s[2:3], s24, v3
                                        ; implicit-def: $vgpr86
	s_and_saveexec_b64 s[16:17], s[2:3]
	s_xor_b64 s[2:3], exec, s[16:17]
; %bb.267:                              ;   in Loop: Header=BB149_49 Depth=1
	v_bfe_u32 v3, v2, 16, 1
	v_add3_u32 v86, v2, v3, s25
                                        ; implicit-def: $vgpr2
; %bb.268:                              ;   in Loop: Header=BB149_49 Depth=1
	s_andn2_saveexec_b64 s[16:17], s[2:3]
; %bb.269:                              ;   in Loop: Header=BB149_49 Depth=1
	v_or_b32_e32 v3, 0x10000, v2
	v_cmp_eq_u32_sdwa s[2:3], v2, v19 src0_sel:WORD_0 src1_sel:DWORD
	s_nop 1
	v_cndmask_b32_e64 v86, v3, v2, s[2:3]
; %bb.270:                              ;   in Loop: Header=BB149_49 Depth=1
	s_or_b64 exec, exec, s[16:17]
	v_lshlrev_b32_e32 v2, 16, v4
	v_mul_f32_e32 v2, v51, v2
	v_and_b32_e32 v3, 0x7f800000, v2
	v_cmp_ne_u32_e64 s[2:3], s24, v3
                                        ; implicit-def: $vgpr87
	s_and_saveexec_b64 s[16:17], s[2:3]
	s_xor_b64 s[2:3], exec, s[16:17]
; %bb.271:                              ;   in Loop: Header=BB149_49 Depth=1
	v_bfe_u32 v3, v2, 16, 1
	v_add3_u32 v87, v2, v3, s25
                                        ; implicit-def: $vgpr2
; %bb.272:                              ;   in Loop: Header=BB149_49 Depth=1
	s_andn2_saveexec_b64 s[16:17], s[2:3]
; %bb.273:                              ;   in Loop: Header=BB149_49 Depth=1
	v_or_b32_e32 v3, 0x10000, v2
	v_cmp_eq_u32_sdwa s[2:3], v2, v19 src0_sel:WORD_0 src1_sel:DWORD
	s_nop 1
	v_cndmask_b32_e64 v87, v3, v2, s[2:3]
; %bb.274:                              ;   in Loop: Header=BB149_49 Depth=1
	s_or_b64 exec, exec, s[16:17]
	v_lshlrev_b32_e32 v2, 16, v29
	v_mul_f32_e32 v2, v52, v2
	v_and_b32_e32 v3, 0x7f800000, v2
	v_cmp_ne_u32_e64 s[2:3], s24, v3
                                        ; implicit-def: $vgpr88
	s_and_saveexec_b64 s[16:17], s[2:3]
	s_xor_b64 s[2:3], exec, s[16:17]
; %bb.275:                              ;   in Loop: Header=BB149_49 Depth=1
	v_bfe_u32 v3, v2, 16, 1
	v_add3_u32 v88, v2, v3, s25
                                        ; implicit-def: $vgpr2
; %bb.276:                              ;   in Loop: Header=BB149_49 Depth=1
	s_andn2_saveexec_b64 s[16:17], s[2:3]
; %bb.277:                              ;   in Loop: Header=BB149_49 Depth=1
	v_or_b32_e32 v3, 0x10000, v2
	v_cmp_eq_u32_sdwa s[2:3], v2, v19 src0_sel:WORD_0 src1_sel:DWORD
	s_nop 1
	v_cndmask_b32_e64 v88, v3, v2, s[2:3]
; %bb.278:                              ;   in Loop: Header=BB149_49 Depth=1
	s_or_b64 exec, exec, s[16:17]
	v_lshlrev_b32_e32 v2, 16, v5
	v_mul_f32_e32 v2, v53, v2
	v_and_b32_e32 v3, 0x7f800000, v2
	v_cmp_ne_u32_e64 s[2:3], s24, v3
                                        ; implicit-def: $vgpr89
	s_and_saveexec_b64 s[16:17], s[2:3]
	s_xor_b64 s[2:3], exec, s[16:17]
; %bb.279:                              ;   in Loop: Header=BB149_49 Depth=1
	v_bfe_u32 v3, v2, 16, 1
	v_add3_u32 v89, v2, v3, s25
                                        ; implicit-def: $vgpr2
; %bb.280:                              ;   in Loop: Header=BB149_49 Depth=1
	s_andn2_saveexec_b64 s[16:17], s[2:3]
; %bb.281:                              ;   in Loop: Header=BB149_49 Depth=1
	v_or_b32_e32 v3, 0x10000, v2
	v_cmp_eq_u32_sdwa s[2:3], v2, v19 src0_sel:WORD_0 src1_sel:DWORD
	s_nop 1
	v_cndmask_b32_e64 v89, v3, v2, s[2:3]
; %bb.282:                              ;   in Loop: Header=BB149_49 Depth=1
	s_or_b64 exec, exec, s[16:17]
	v_lshlrev_b32_e32 v2, 16, v27
	v_mul_f32_e32 v2, v54, v2
	v_and_b32_e32 v3, 0x7f800000, v2
	v_cmp_ne_u32_e64 s[2:3], s24, v3
                                        ; implicit-def: $vgpr90
	s_and_saveexec_b64 s[16:17], s[2:3]
	s_xor_b64 s[2:3], exec, s[16:17]
; %bb.283:                              ;   in Loop: Header=BB149_49 Depth=1
	v_bfe_u32 v3, v2, 16, 1
	v_add3_u32 v90, v2, v3, s25
                                        ; implicit-def: $vgpr2
; %bb.284:                              ;   in Loop: Header=BB149_49 Depth=1
	s_andn2_saveexec_b64 s[16:17], s[2:3]
; %bb.285:                              ;   in Loop: Header=BB149_49 Depth=1
	v_or_b32_e32 v3, 0x10000, v2
	v_cmp_eq_u32_sdwa s[2:3], v2, v19 src0_sel:WORD_0 src1_sel:DWORD
	s_nop 1
	v_cndmask_b32_e64 v90, v3, v2, s[2:3]
; %bb.286:                              ;   in Loop: Header=BB149_49 Depth=1
	s_or_b64 exec, exec, s[16:17]
	v_mov_b32_e32 v27, v19
	v_lshl_add_u64 v[2:3], v[6:7], 0, v[26:27]
	global_load_dwordx4 v[2:5], v[2:3], off
	s_waitcnt vmcnt(0)
	v_lshrrev_b32_e32 v91, 16, v2
	v_lshrrev_b32_e32 v93, 16, v3
	;; [unrolled: 1-line block ×4, first 2 shown]
	s_and_saveexec_b64 s[16:17], s[0:1]
	s_cbranch_execz .LBB149_288
; %bb.287:                              ;   in Loop: Header=BB149_49 Depth=1
	v_cmp_gt_i32_e64 s[2:3], s33, v44
	v_add_u32_e32 v27, 1, v44
	s_nop 0
	v_cndmask_b32_e64 v2, 0, v2, s[2:3]
	v_cmp_gt_i32_e64 s[2:3], s33, v27
	v_add_u32_e32 v27, 2, v44
	s_nop 0
	v_cndmask_b32_e64 v91, 0, v91, s[2:3]
	;; [unrolled: 4-line block ×7, first 2 shown]
	v_cmp_gt_i32_e64 s[2:3], s33, v27
	s_nop 1
	v_cndmask_b32_e64 v29, 0, v29, s[2:3]
.LBB149_288:                            ;   in Loop: Header=BB149_49 Depth=1
	s_or_b64 exec, exec, s[16:17]
	v_lshlrev_b32_e32 v2, 16, v2
	v_mul_f32_e32 v2, v47, v2
	v_and_b32_e32 v27, 0x7f800000, v2
	v_cmp_ne_u32_e64 s[2:3], s24, v27
                                        ; implicit-def: $vgpr27
	s_and_saveexec_b64 s[16:17], s[2:3]
	s_xor_b64 s[2:3], exec, s[16:17]
; %bb.289:                              ;   in Loop: Header=BB149_49 Depth=1
	v_bfe_u32 v27, v2, 16, 1
	v_add3_u32 v27, v2, v27, s25
                                        ; implicit-def: $vgpr2
; %bb.290:                              ;   in Loop: Header=BB149_49 Depth=1
	s_andn2_saveexec_b64 s[16:17], s[2:3]
; %bb.291:                              ;   in Loop: Header=BB149_49 Depth=1
	v_or_b32_e32 v27, 0x10000, v2
	v_cmp_eq_u32_sdwa s[2:3], v2, v19 src0_sel:WORD_0 src1_sel:DWORD
	s_nop 1
	v_cndmask_b32_e64 v27, v27, v2, s[2:3]
; %bb.292:                              ;   in Loop: Header=BB149_49 Depth=1
	s_or_b64 exec, exec, s[16:17]
	v_lshlrev_b32_e32 v2, 16, v91
	v_mul_f32_e32 v2, v48, v2
	v_and_b32_e32 v91, 0x7f800000, v2
	v_cmp_ne_u32_e64 s[2:3], s24, v91
                                        ; implicit-def: $vgpr91
	s_and_saveexec_b64 s[16:17], s[2:3]
	s_xor_b64 s[2:3], exec, s[16:17]
; %bb.293:                              ;   in Loop: Header=BB149_49 Depth=1
	v_bfe_u32 v91, v2, 16, 1
	v_add3_u32 v91, v2, v91, s25
                                        ; implicit-def: $vgpr2
; %bb.294:                              ;   in Loop: Header=BB149_49 Depth=1
	s_andn2_saveexec_b64 s[16:17], s[2:3]
; %bb.295:                              ;   in Loop: Header=BB149_49 Depth=1
	v_or_b32_e32 v91, 0x10000, v2
	v_cmp_eq_u32_sdwa s[2:3], v2, v19 src0_sel:WORD_0 src1_sel:DWORD
	s_nop 1
	v_cndmask_b32_e64 v91, v91, v2, s[2:3]
; %bb.296:                              ;   in Loop: Header=BB149_49 Depth=1
	s_or_b64 exec, exec, s[16:17]
	v_lshlrev_b32_e32 v2, 16, v3
	v_mul_f32_e32 v2, v49, v2
	v_and_b32_e32 v3, 0x7f800000, v2
	v_cmp_ne_u32_e64 s[2:3], s24, v3
                                        ; implicit-def: $vgpr92
	s_and_saveexec_b64 s[16:17], s[2:3]
	s_xor_b64 s[2:3], exec, s[16:17]
; %bb.297:                              ;   in Loop: Header=BB149_49 Depth=1
	v_bfe_u32 v3, v2, 16, 1
	v_add3_u32 v92, v2, v3, s25
                                        ; implicit-def: $vgpr2
; %bb.298:                              ;   in Loop: Header=BB149_49 Depth=1
	s_andn2_saveexec_b64 s[16:17], s[2:3]
; %bb.299:                              ;   in Loop: Header=BB149_49 Depth=1
	v_or_b32_e32 v3, 0x10000, v2
	v_cmp_eq_u32_sdwa s[2:3], v2, v19 src0_sel:WORD_0 src1_sel:DWORD
	s_nop 1
	v_cndmask_b32_e64 v92, v3, v2, s[2:3]
; %bb.300:                              ;   in Loop: Header=BB149_49 Depth=1
	s_or_b64 exec, exec, s[16:17]
	v_lshlrev_b32_e32 v2, 16, v93
	v_mul_f32_e32 v2, v50, v2
	v_and_b32_e32 v3, 0x7f800000, v2
	v_cmp_ne_u32_e64 s[2:3], s24, v3
                                        ; implicit-def: $vgpr93
	s_and_saveexec_b64 s[16:17], s[2:3]
	s_xor_b64 s[2:3], exec, s[16:17]
; %bb.301:                              ;   in Loop: Header=BB149_49 Depth=1
	v_bfe_u32 v3, v2, 16, 1
	v_add3_u32 v93, v2, v3, s25
                                        ; implicit-def: $vgpr2
; %bb.302:                              ;   in Loop: Header=BB149_49 Depth=1
	s_andn2_saveexec_b64 s[16:17], s[2:3]
; %bb.303:                              ;   in Loop: Header=BB149_49 Depth=1
	v_or_b32_e32 v3, 0x10000, v2
	v_cmp_eq_u32_sdwa s[2:3], v2, v19 src0_sel:WORD_0 src1_sel:DWORD
	s_nop 1
	v_cndmask_b32_e64 v93, v3, v2, s[2:3]
; %bb.304:                              ;   in Loop: Header=BB149_49 Depth=1
	s_or_b64 exec, exec, s[16:17]
	v_lshlrev_b32_e32 v2, 16, v4
	v_mul_f32_e32 v2, v51, v2
	v_and_b32_e32 v3, 0x7f800000, v2
	v_cmp_ne_u32_e64 s[2:3], s24, v3
                                        ; implicit-def: $vgpr94
	s_and_saveexec_b64 s[16:17], s[2:3]
	s_xor_b64 s[2:3], exec, s[16:17]
; %bb.305:                              ;   in Loop: Header=BB149_49 Depth=1
	v_bfe_u32 v3, v2, 16, 1
	v_add3_u32 v94, v2, v3, s25
                                        ; implicit-def: $vgpr2
; %bb.306:                              ;   in Loop: Header=BB149_49 Depth=1
	s_andn2_saveexec_b64 s[16:17], s[2:3]
; %bb.307:                              ;   in Loop: Header=BB149_49 Depth=1
	v_or_b32_e32 v3, 0x10000, v2
	v_cmp_eq_u32_sdwa s[2:3], v2, v19 src0_sel:WORD_0 src1_sel:DWORD
	s_nop 1
	v_cndmask_b32_e64 v94, v3, v2, s[2:3]
; %bb.308:                              ;   in Loop: Header=BB149_49 Depth=1
	s_or_b64 exec, exec, s[16:17]
	v_lshlrev_b32_e32 v2, 16, v95
	v_mul_f32_e32 v2, v52, v2
	v_and_b32_e32 v3, 0x7f800000, v2
	v_cmp_ne_u32_e64 s[2:3], s24, v3
                                        ; implicit-def: $vgpr95
	s_and_saveexec_b64 s[16:17], s[2:3]
	s_xor_b64 s[2:3], exec, s[16:17]
; %bb.309:                              ;   in Loop: Header=BB149_49 Depth=1
	v_bfe_u32 v3, v2, 16, 1
	v_add3_u32 v95, v2, v3, s25
                                        ; implicit-def: $vgpr2
; %bb.310:                              ;   in Loop: Header=BB149_49 Depth=1
	s_andn2_saveexec_b64 s[16:17], s[2:3]
; %bb.311:                              ;   in Loop: Header=BB149_49 Depth=1
	v_or_b32_e32 v3, 0x10000, v2
	v_cmp_eq_u32_sdwa s[2:3], v2, v19 src0_sel:WORD_0 src1_sel:DWORD
	s_nop 1
	v_cndmask_b32_e64 v95, v3, v2, s[2:3]
; %bb.312:                              ;   in Loop: Header=BB149_49 Depth=1
	s_or_b64 exec, exec, s[16:17]
	v_lshlrev_b32_e32 v2, 16, v5
	v_mul_f32_e32 v2, v53, v2
	v_and_b32_e32 v3, 0x7f800000, v2
	v_cmp_ne_u32_e64 s[2:3], s24, v3
                                        ; implicit-def: $vgpr96
	s_and_saveexec_b64 s[16:17], s[2:3]
	s_xor_b64 s[2:3], exec, s[16:17]
; %bb.313:                              ;   in Loop: Header=BB149_49 Depth=1
	v_bfe_u32 v3, v2, 16, 1
	v_add3_u32 v96, v2, v3, s25
                                        ; implicit-def: $vgpr2
; %bb.314:                              ;   in Loop: Header=BB149_49 Depth=1
	s_andn2_saveexec_b64 s[16:17], s[2:3]
; %bb.315:                              ;   in Loop: Header=BB149_49 Depth=1
	v_or_b32_e32 v3, 0x10000, v2
	v_cmp_eq_u32_sdwa s[2:3], v2, v19 src0_sel:WORD_0 src1_sel:DWORD
	s_nop 1
	v_cndmask_b32_e64 v96, v3, v2, s[2:3]
; %bb.316:                              ;   in Loop: Header=BB149_49 Depth=1
	s_or_b64 exec, exec, s[16:17]
	v_lshlrev_b32_e32 v2, 16, v29
	v_mul_f32_e32 v2, v54, v2
	v_and_b32_e32 v3, 0x7f800000, v2
	v_cmp_ne_u32_e64 s[2:3], s24, v3
                                        ; implicit-def: $vgpr97
	s_and_saveexec_b64 s[16:17], s[2:3]
	s_xor_b64 s[2:3], exec, s[16:17]
	s_cbranch_execnz .LBB149_319
; %bb.317:                              ;   in Loop: Header=BB149_49 Depth=1
	s_andn2_saveexec_b64 s[16:17], s[2:3]
	s_cbranch_execnz .LBB149_320
.LBB149_318:                            ;   in Loop: Header=BB149_49 Depth=1
	s_or_b64 exec, exec, s[16:17]
	s_and_saveexec_b64 s[2:3], vcc
	s_cbranch_execz .LBB149_47
	s_branch .LBB149_321
.LBB149_319:                            ;   in Loop: Header=BB149_49 Depth=1
	v_bfe_u32 v3, v2, 16, 1
	v_add3_u32 v97, v2, v3, s25
                                        ; implicit-def: $vgpr2
	s_andn2_saveexec_b64 s[16:17], s[2:3]
	s_cbranch_execz .LBB149_318
.LBB149_320:                            ;   in Loop: Header=BB149_49 Depth=1
	v_or_b32_e32 v3, 0x10000, v2
	v_cmp_eq_u32_sdwa s[2:3], v2, v19 src0_sel:WORD_0 src1_sel:DWORD
	s_nop 1
	v_cndmask_b32_e64 v97, v3, v2, s[2:3]
	s_or_b64 exec, exec, s[16:17]
	s_and_saveexec_b64 s[2:3], vcc
	s_cbranch_execz .LBB149_47
.LBB149_321:                            ;   in Loop: Header=BB149_49 Depth=1
	v_mov_b32_e32 v29, v19
	v_lshl_add_u64 v[2:3], v[6:7], 0, v[28:29]
	global_load_dwordx4 v[2:5], v[2:3], off
	s_waitcnt vmcnt(0)
	v_lshrrev_b32_e32 v7, 16, v2
	v_lshrrev_b32_e32 v98, 16, v3
	;; [unrolled: 1-line block ×4, first 2 shown]
	s_and_saveexec_b64 s[16:17], s[0:1]
	s_cbranch_execz .LBB149_323
; %bb.322:                              ;   in Loop: Header=BB149_49 Depth=1
	v_cmp_gt_i32_e64 s[0:1], s33, v44
	v_add_u32_e32 v99, 1, v44
	s_nop 0
	v_cndmask_b32_e64 v2, 0, v2, s[0:1]
	v_cmp_gt_i32_e64 s[0:1], s33, v99
	v_add_u32_e32 v99, 2, v44
	s_nop 0
	v_cndmask_b32_e64 v7, 0, v7, s[0:1]
	;; [unrolled: 4-line block ×5, first 2 shown]
	v_cmp_gt_i32_e64 s[0:1], s33, v99
	v_add_u32_e32 v99, 6, v44
	v_add_u32_e32 v44, 7, v44
	v_cndmask_b32_e64 v29, 0, v29, s[0:1]
	v_cmp_gt_i32_e64 s[0:1], s33, v99
	s_nop 1
	v_cndmask_b32_e64 v5, 0, v5, s[0:1]
	v_cmp_gt_i32_e64 s[0:1], s33, v44
	s_nop 1
	v_cndmask_b32_e64 v6, 0, v6, s[0:1]
.LBB149_323:                            ;   in Loop: Header=BB149_49 Depth=1
	s_or_b64 exec, exec, s[16:17]
	v_lshlrev_b32_e32 v2, 16, v2
	v_mul_f32_e32 v44, v47, v2
	v_and_b32_e32 v2, 0x7f800000, v44
	v_cmp_ne_u32_e64 s[0:1], s24, v2
                                        ; implicit-def: $vgpr2
	s_and_saveexec_b64 s[16:17], s[0:1]
	s_xor_b64 s[0:1], exec, s[16:17]
; %bb.324:                              ;   in Loop: Header=BB149_49 Depth=1
	v_bfe_u32 v2, v44, 16, 1
	v_add3_u32 v2, v44, v2, s25
                                        ; implicit-def: $vgpr44
; %bb.325:                              ;   in Loop: Header=BB149_49 Depth=1
	s_andn2_saveexec_b64 s[16:17], s[0:1]
; %bb.326:                              ;   in Loop: Header=BB149_49 Depth=1
	v_or_b32_e32 v2, 0x10000, v44
	v_cmp_eq_u32_sdwa s[0:1], v44, v19 src0_sel:WORD_0 src1_sel:DWORD
	s_nop 1
	v_cndmask_b32_e64 v2, v2, v44, s[0:1]
; %bb.327:                              ;   in Loop: Header=BB149_49 Depth=1
	s_or_b64 exec, exec, s[16:17]
	v_lshlrev_b32_e32 v7, 16, v7
	v_mul_f32_e32 v44, v48, v7
	v_and_b32_e32 v7, 0x7f800000, v44
	v_cmp_ne_u32_e64 s[0:1], s24, v7
                                        ; implicit-def: $vgpr7
	s_and_saveexec_b64 s[16:17], s[0:1]
	s_xor_b64 s[0:1], exec, s[16:17]
; %bb.328:                              ;   in Loop: Header=BB149_49 Depth=1
	v_bfe_u32 v7, v44, 16, 1
	v_add3_u32 v7, v44, v7, s25
                                        ; implicit-def: $vgpr44
; %bb.329:                              ;   in Loop: Header=BB149_49 Depth=1
	s_andn2_saveexec_b64 s[16:17], s[0:1]
; %bb.330:                              ;   in Loop: Header=BB149_49 Depth=1
	v_or_b32_e32 v7, 0x10000, v44
	v_cmp_eq_u32_sdwa s[0:1], v44, v19 src0_sel:WORD_0 src1_sel:DWORD
	s_nop 1
	v_cndmask_b32_e64 v7, v7, v44, s[0:1]
; %bb.331:                              ;   in Loop: Header=BB149_49 Depth=1
	s_or_b64 exec, exec, s[16:17]
	v_lshlrev_b32_e32 v3, 16, v3
	v_mul_f32_e32 v44, v49, v3
	v_and_b32_e32 v3, 0x7f800000, v44
	v_cmp_ne_u32_e64 s[0:1], s24, v3
                                        ; implicit-def: $vgpr3
	s_and_saveexec_b64 s[16:17], s[0:1]
	s_xor_b64 s[0:1], exec, s[16:17]
; %bb.332:                              ;   in Loop: Header=BB149_49 Depth=1
	v_bfe_u32 v3, v44, 16, 1
	v_add3_u32 v3, v44, v3, s25
                                        ; implicit-def: $vgpr44
; %bb.333:                              ;   in Loop: Header=BB149_49 Depth=1
	s_andn2_saveexec_b64 s[16:17], s[0:1]
; %bb.334:                              ;   in Loop: Header=BB149_49 Depth=1
	v_or_b32_e32 v3, 0x10000, v44
	v_cmp_eq_u32_sdwa s[0:1], v44, v19 src0_sel:WORD_0 src1_sel:DWORD
	s_nop 1
	v_cndmask_b32_e64 v3, v3, v44, s[0:1]
; %bb.335:                              ;   in Loop: Header=BB149_49 Depth=1
	s_or_b64 exec, exec, s[16:17]
	v_lshlrev_b32_e32 v44, 16, v98
	v_mul_f32_e32 v47, v50, v44
	v_and_b32_e32 v44, 0x7f800000, v47
	v_cmp_ne_u32_e64 s[0:1], s24, v44
                                        ; implicit-def: $vgpr44
	s_and_saveexec_b64 s[16:17], s[0:1]
	s_xor_b64 s[0:1], exec, s[16:17]
; %bb.336:                              ;   in Loop: Header=BB149_49 Depth=1
	v_bfe_u32 v44, v47, 16, 1
	v_add3_u32 v44, v47, v44, s25
                                        ; implicit-def: $vgpr47
; %bb.337:                              ;   in Loop: Header=BB149_49 Depth=1
	s_andn2_saveexec_b64 s[16:17], s[0:1]
; %bb.338:                              ;   in Loop: Header=BB149_49 Depth=1
	v_or_b32_e32 v44, 0x10000, v47
	v_cmp_eq_u32_sdwa s[0:1], v47, v19 src0_sel:WORD_0 src1_sel:DWORD
	s_nop 1
	v_cndmask_b32_e64 v44, v44, v47, s[0:1]
; %bb.339:                              ;   in Loop: Header=BB149_49 Depth=1
	s_or_b64 exec, exec, s[16:17]
	v_lshlrev_b32_e32 v4, 16, v4
	v_mul_f32_e32 v47, v51, v4
	v_and_b32_e32 v4, 0x7f800000, v47
	v_cmp_ne_u32_e64 s[0:1], s24, v4
                                        ; implicit-def: $vgpr4
	s_and_saveexec_b64 s[16:17], s[0:1]
	s_xor_b64 s[0:1], exec, s[16:17]
; %bb.340:                              ;   in Loop: Header=BB149_49 Depth=1
	v_bfe_u32 v4, v47, 16, 1
	v_add3_u32 v4, v47, v4, s25
                                        ; implicit-def: $vgpr47
; %bb.341:                              ;   in Loop: Header=BB149_49 Depth=1
	s_andn2_saveexec_b64 s[16:17], s[0:1]
; %bb.342:                              ;   in Loop: Header=BB149_49 Depth=1
	v_or_b32_e32 v4, 0x10000, v47
	v_cmp_eq_u32_sdwa s[0:1], v47, v19 src0_sel:WORD_0 src1_sel:DWORD
	s_nop 1
	v_cndmask_b32_e64 v4, v4, v47, s[0:1]
; %bb.343:                              ;   in Loop: Header=BB149_49 Depth=1
	s_or_b64 exec, exec, s[16:17]
	v_lshlrev_b32_e32 v29, 16, v29
	v_mul_f32_e32 v47, v52, v29
	v_and_b32_e32 v29, 0x7f800000, v47
	v_cmp_ne_u32_e64 s[0:1], s24, v29
                                        ; implicit-def: $vgpr29
	s_and_saveexec_b64 s[16:17], s[0:1]
	s_xor_b64 s[0:1], exec, s[16:17]
; %bb.344:                              ;   in Loop: Header=BB149_49 Depth=1
	v_bfe_u32 v29, v47, 16, 1
	v_add3_u32 v29, v47, v29, s25
                                        ; implicit-def: $vgpr47
; %bb.345:                              ;   in Loop: Header=BB149_49 Depth=1
	s_andn2_saveexec_b64 s[16:17], s[0:1]
; %bb.346:                              ;   in Loop: Header=BB149_49 Depth=1
	v_or_b32_e32 v29, 0x10000, v47
	v_cmp_eq_u32_sdwa s[0:1], v47, v19 src0_sel:WORD_0 src1_sel:DWORD
	s_nop 1
	v_cndmask_b32_e64 v29, v29, v47, s[0:1]
; %bb.347:                              ;   in Loop: Header=BB149_49 Depth=1
	s_or_b64 exec, exec, s[16:17]
	v_lshlrev_b32_e32 v5, 16, v5
	v_mul_f32_e32 v47, v53, v5
	v_and_b32_e32 v5, 0x7f800000, v47
	v_cmp_ne_u32_e64 s[0:1], s24, v5
                                        ; implicit-def: $vgpr5
	s_and_saveexec_b64 s[16:17], s[0:1]
	s_xor_b64 s[0:1], exec, s[16:17]
; %bb.348:                              ;   in Loop: Header=BB149_49 Depth=1
	v_bfe_u32 v5, v47, 16, 1
	v_add3_u32 v5, v47, v5, s25
                                        ; implicit-def: $vgpr47
; %bb.349:                              ;   in Loop: Header=BB149_49 Depth=1
	s_andn2_saveexec_b64 s[16:17], s[0:1]
; %bb.350:                              ;   in Loop: Header=BB149_49 Depth=1
	v_or_b32_e32 v5, 0x10000, v47
	v_cmp_eq_u32_sdwa s[0:1], v47, v19 src0_sel:WORD_0 src1_sel:DWORD
	s_nop 1
	v_cndmask_b32_e64 v5, v5, v47, s[0:1]
; %bb.351:                              ;   in Loop: Header=BB149_49 Depth=1
	s_or_b64 exec, exec, s[16:17]
	v_lshlrev_b32_e32 v6, 16, v6
	v_mul_f32_e32 v6, v54, v6
	v_and_b32_e32 v47, 0x7f800000, v6
	v_cmp_ne_u32_e64 s[0:1], s24, v47
                                        ; implicit-def: $vgpr47
	s_and_saveexec_b64 s[16:17], s[0:1]
	s_xor_b64 s[0:1], exec, s[16:17]
; %bb.352:                              ;   in Loop: Header=BB149_49 Depth=1
	v_bfe_u32 v47, v6, 16, 1
	v_add3_u32 v47, v6, v47, s25
                                        ; implicit-def: $vgpr6
; %bb.353:                              ;   in Loop: Header=BB149_49 Depth=1
	s_andn2_saveexec_b64 s[16:17], s[0:1]
	s_cbranch_execz .LBB149_46
; %bb.354:                              ;   in Loop: Header=BB149_49 Depth=1
	v_or_b32_e32 v47, 0x10000, v6
	v_cmp_eq_u32_sdwa s[0:1], v6, v19 src0_sel:WORD_0 src1_sel:DWORD
	s_nop 1
	v_cndmask_b32_e64 v47, v47, v6, s[0:1]
	s_branch .LBB149_46
.LBB149_355:
	s_or_b64 exec, exec, s[12:13]
.LBB149_356:
	s_or_b64 exec, exec, s[8:9]
	ds_bpermute_b32 v2, v30, v16
	ds_bpermute_b32 v3, v30, v17
	;; [unrolled: 1-line block ×6, first 2 shown]
	s_waitcnt lgkmcnt(4)
	v_pk_add_f32 v[2:3], v[16:17], v[2:3]
	ds_bpermute_b32 v16, v30, v10
	ds_bpermute_b32 v17, v30, v11
	s_waitcnt lgkmcnt(4)
	v_pk_add_f32 v[4:5], v[14:15], v[4:5]
	s_waitcnt lgkmcnt(2)
	v_pk_add_f32 v[12:13], v[12:13], v[8:9]
	ds_bpermute_b32 v6, v31, v2
	ds_bpermute_b32 v7, v31, v3
	s_waitcnt lgkmcnt(2)
	v_pk_add_f32 v[10:11], v[10:11], v[16:17]
	ds_bpermute_b32 v14, v31, v4
	ds_bpermute_b32 v15, v31, v5
	;; [unrolled: 1-line block ×6, first 2 shown]
	v_and_b32_e32 v1, 0x3c0, v0
	s_waitcnt lgkmcnt(6)
	v_pk_add_f32 v[8:9], v[2:3], v[6:7]
	s_waitcnt lgkmcnt(4)
	v_pk_add_f32 v[4:5], v[4:5], v[14:15]
	;; [unrolled: 2-line block ×4, first 2 shown]
	v_cmp_eq_u32_e32 vcc, 64, v1
	s_barrier
	s_and_saveexec_b64 s[2:3], vcc
	s_cbranch_execz .LBB149_361
; %bb.357:
	v_cmp_eq_u32_e32 vcc, 0, v32
	s_and_saveexec_b64 s[0:1], vcc
	s_cbranch_execz .LBB149_359
; %bb.358:
	v_mov_b32_e32 v1, 0x100
	v_lshl_add_u32 v1, v33, 2, v1
	ds_write2_b32 v1, v8, v9 offset1:16
	ds_write2_b32 v1, v4, v5 offset0:32 offset1:48
	ds_write2_b32 v1, v2, v3 offset0:64 offset1:80
	ds_write_b32 v1, v6 offset:384
.LBB149_359:
	s_or_b64 exec, exec, s[0:1]
	v_or_b32_e32 v1, 0x70, v33
	s_movk_i32 s0, 0x78
	v_cmp_gt_u32_e64 s[0:1], s0, v1
	s_and_b64 s[0:1], vcc, s[0:1]
	s_and_b64 exec, exec, s[0:1]
	s_cbranch_execz .LBB149_361
; %bb.360:
	v_mov_b32_e32 v1, 0x100
	v_lshl_add_u32 v1, v33, 2, v1
	ds_write_b32 v1, v7 offset:448
.LBB149_361:
	s_or_b64 exec, exec, s[2:3]
	v_cmp_gt_u32_e32 vcc, 64, v0
	v_lshrrev_b32_e32 v10, 2, v0
	s_waitcnt lgkmcnt(0)
	s_barrier
	s_and_saveexec_b64 s[6:7], vcc
	s_cbranch_execz .LBB149_373
; %bb.362:
	v_cmp_eq_u32_e64 s[0:1], 0, v32
	s_and_saveexec_b64 s[2:3], s[0:1]
	s_cbranch_execnz .LBB149_411
; %bb.363:
	s_or_b64 exec, exec, s[2:3]
	s_and_saveexec_b64 s[2:3], s[0:1]
	s_cbranch_execnz .LBB149_412
.LBB149_364:
	s_or_b64 exec, exec, s[2:3]
	s_and_saveexec_b64 s[2:3], s[0:1]
	s_cbranch_execnz .LBB149_413
.LBB149_365:
	s_or_b64 exec, exec, s[2:3]
	s_and_saveexec_b64 s[2:3], s[0:1]
	s_cbranch_execnz .LBB149_414
.LBB149_366:
	s_or_b64 exec, exec, s[2:3]
	s_and_saveexec_b64 s[2:3], s[0:1]
	s_cbranch_execnz .LBB149_415
.LBB149_367:
	s_or_b64 exec, exec, s[2:3]
	s_and_saveexec_b64 s[2:3], s[0:1]
	s_cbranch_execnz .LBB149_416
.LBB149_368:
	s_or_b64 exec, exec, s[2:3]
	s_and_saveexec_b64 s[2:3], s[0:1]
	s_cbranch_execz .LBB149_370
.LBB149_369:
	v_mov_b32_e32 v0, 0x100
	v_lshl_add_u32 v0, v10, 2, v0
	ds_read_b32 v0, v0 offset:384
	s_waitcnt lgkmcnt(0)
	v_add_f32_e32 v6, v6, v0
.LBB149_370:
	s_or_b64 exec, exec, s[2:3]
	v_or_b32_e32 v0, 0x70, v10
	s_movk_i32 s2, 0x78
	v_cmp_gt_u32_e64 s[2:3], s2, v0
	s_and_b64 s[2:3], s[0:1], s[2:3]
	s_and_saveexec_b64 s[0:1], s[2:3]
	s_cbranch_execz .LBB149_372
; %bb.371:
	v_mov_b32_e32 v0, 0x100
	v_lshl_add_u32 v0, v10, 2, v0
	ds_read_b32 v0, v0 offset:448
	s_waitcnt lgkmcnt(0)
	v_add_f32_e32 v7, v7, v0
.LBB149_372:
	s_or_b64 exec, exec, s[0:1]
.LBB149_373:
	s_or_b64 exec, exec, s[6:7]
	s_barrier
	s_and_saveexec_b64 s[0:1], vcc
	s_cbranch_execz .LBB149_410
; %bb.374:
	s_mul_i32 s0, s10, s11
	s_mul_i32 s0, s0, s5
	s_mulk_i32 s0, 0x78
	s_ashr_i32 s1, s0, 31
	s_lshl_b64 s[0:1], s[0:1], 1
	s_add_u32 s2, s22, s0
	s_mul_i32 s0, s11, s20
	s_addc_u32 s3, s23, s1
	s_ashr_i32 s1, s0, 31
	s_lshl_b64 s[0:1], s[0:1], 1
	s_add_u32 s2, s2, s0
	s_mul_i32 s0, s4, 0x78
	s_addc_u32 s3, s3, s1
	s_ashr_i32 s1, s0, 31
	s_lshl_b64 s[0:1], s[0:1], 1
	s_add_u32 s2, s2, s0
	s_addc_u32 s3, s3, s1
	v_cmp_eq_u32_e32 vcc, 0, v32
	s_and_saveexec_b64 s[4:5], vcc
	s_cbranch_execz .LBB149_404
; %bb.375:
	s_mov_b32 s0, 0x7f800000
	v_and_b32_e32 v0, 0x7f800000, v8
	v_cmp_ne_u32_e64 s[0:1], s0, v0
                                        ; implicit-def: $vgpr11
	s_and_saveexec_b64 s[6:7], s[0:1]
	s_xor_b64 s[0:1], exec, s[6:7]
; %bb.376:
	v_bfe_u32 v0, v8, 16, 1
	s_movk_i32 s6, 0x7fff
	v_add3_u32 v11, v8, v0, s6
; %bb.377:
	s_andn2_saveexec_b64 s[6:7], s[0:1]
; %bb.378:
	v_mov_b32_e32 v0, 0
	v_or_b32_e32 v1, 0x10000, v8
	v_cmp_eq_u32_sdwa s[0:1], v8, v0 src0_sel:WORD_0 src1_sel:DWORD
	s_nop 1
	v_cndmask_b32_e64 v11, v1, v8, s[0:1]
; %bb.379:
	s_or_b64 exec, exec, s[6:7]
	s_mov_b32 s0, 0x7f800000
	v_and_b32_e32 v8, 0x7f800000, v9
	v_lshlrev_b32_e32 v0, 1, v10
	v_mov_b32_e32 v1, 0
	v_cmp_ne_u32_e64 s[0:1], s0, v8
	global_store_short_d16_hi v0, v11, s[2:3]
                                        ; implicit-def: $vgpr8
	s_and_saveexec_b64 s[6:7], s[0:1]
	s_xor_b64 s[0:1], exec, s[6:7]
; %bb.380:
	v_bfe_u32 v8, v9, 16, 1
	s_movk_i32 s6, 0x7fff
	v_add3_u32 v8, v9, v8, s6
; %bb.381:
	s_or_saveexec_b64 s[6:7], s[0:1]
	v_lshl_add_u64 v[0:1], s[2:3], 0, v[0:1]
	s_xor_b64 exec, exec, s[6:7]
; %bb.382:
	v_mov_b32_e32 v8, 0
	v_or_b32_e32 v11, 0x10000, v9
	v_cmp_eq_u32_sdwa s[0:1], v9, v8 src0_sel:WORD_0 src1_sel:DWORD
	s_nop 1
	v_cndmask_b32_e64 v8, v11, v9, s[0:1]
; %bb.383:
	s_or_b64 exec, exec, s[6:7]
	global_store_short_d16_hi v[0:1], v8, off offset:32
	s_mov_b32 s0, 0x7f800000
	v_and_b32_e32 v8, 0x7f800000, v4
	v_cmp_ne_u32_e64 s[0:1], s0, v8
                                        ; implicit-def: $vgpr8
	s_and_saveexec_b64 s[6:7], s[0:1]
	s_xor_b64 s[0:1], exec, s[6:7]
; %bb.384:
	v_bfe_u32 v8, v4, 16, 1
	s_movk_i32 s6, 0x7fff
	v_add3_u32 v8, v4, v8, s6
; %bb.385:
	s_andn2_saveexec_b64 s[6:7], s[0:1]
; %bb.386:
	v_mov_b32_e32 v8, 0
	v_or_b32_e32 v9, 0x10000, v4
	v_cmp_eq_u32_sdwa s[0:1], v4, v8 src0_sel:WORD_0 src1_sel:DWORD
	s_nop 1
	v_cndmask_b32_e64 v8, v9, v4, s[0:1]
; %bb.387:
	s_or_b64 exec, exec, s[6:7]
	s_mov_b32 s0, 0x7f800000
	v_and_b32_e32 v4, 0x7f800000, v5
	v_cmp_ne_u32_e64 s[0:1], s0, v4
	global_store_short_d16_hi v[0:1], v8, off offset:64
                                        ; implicit-def: $vgpr4
	s_and_saveexec_b64 s[6:7], s[0:1]
	s_xor_b64 s[0:1], exec, s[6:7]
; %bb.388:
	v_bfe_u32 v4, v5, 16, 1
	s_movk_i32 s6, 0x7fff
	v_add3_u32 v4, v5, v4, s6
; %bb.389:
	s_andn2_saveexec_b64 s[6:7], s[0:1]
; %bb.390:
	v_mov_b32_e32 v4, 0
	v_or_b32_e32 v8, 0x10000, v5
	v_cmp_eq_u32_sdwa s[0:1], v5, v4 src0_sel:WORD_0 src1_sel:DWORD
	s_nop 1
	v_cndmask_b32_e64 v4, v8, v5, s[0:1]
; %bb.391:
	s_or_b64 exec, exec, s[6:7]
	global_store_short_d16_hi v[0:1], v4, off offset:96
	s_mov_b32 s0, 0x7f800000
	v_and_b32_e32 v4, 0x7f800000, v2
	v_cmp_ne_u32_e64 s[0:1], s0, v4
                                        ; implicit-def: $vgpr4
	s_and_saveexec_b64 s[6:7], s[0:1]
	s_xor_b64 s[0:1], exec, s[6:7]
; %bb.392:
	v_bfe_u32 v4, v2, 16, 1
	s_movk_i32 s6, 0x7fff
	v_add3_u32 v4, v2, v4, s6
; %bb.393:
	s_andn2_saveexec_b64 s[6:7], s[0:1]
; %bb.394:
	v_mov_b32_e32 v4, 0
	v_or_b32_e32 v5, 0x10000, v2
	v_cmp_eq_u32_sdwa s[0:1], v2, v4 src0_sel:WORD_0 src1_sel:DWORD
	s_nop 1
	v_cndmask_b32_e64 v4, v5, v2, s[0:1]
; %bb.395:
	s_or_b64 exec, exec, s[6:7]
	s_mov_b32 s0, 0x7f800000
	v_and_b32_e32 v2, 0x7f800000, v3
	v_cmp_ne_u32_e64 s[0:1], s0, v2
	global_store_short_d16_hi v[0:1], v4, off offset:128
                                        ; implicit-def: $vgpr2
	s_and_saveexec_b64 s[6:7], s[0:1]
	s_xor_b64 s[0:1], exec, s[6:7]
; %bb.396:
	v_bfe_u32 v2, v3, 16, 1
	s_movk_i32 s6, 0x7fff
	v_add3_u32 v2, v3, v2, s6
; %bb.397:
	s_andn2_saveexec_b64 s[6:7], s[0:1]
; %bb.398:
	v_mov_b32_e32 v2, 0
	v_or_b32_e32 v4, 0x10000, v3
	v_cmp_eq_u32_sdwa s[0:1], v3, v2 src0_sel:WORD_0 src1_sel:DWORD
	s_nop 1
	v_cndmask_b32_e64 v2, v4, v3, s[0:1]
; %bb.399:
	s_or_b64 exec, exec, s[6:7]
	global_store_short_d16_hi v[0:1], v2, off offset:160
	s_mov_b32 s0, 0x7f800000
	v_and_b32_e32 v2, 0x7f800000, v6
	v_cmp_ne_u32_e64 s[0:1], s0, v2
                                        ; implicit-def: $vgpr2
	s_and_saveexec_b64 s[6:7], s[0:1]
	s_xor_b64 s[0:1], exec, s[6:7]
; %bb.400:
	v_bfe_u32 v2, v6, 16, 1
	s_movk_i32 s6, 0x7fff
	v_add3_u32 v2, v6, v2, s6
; %bb.401:
	s_andn2_saveexec_b64 s[6:7], s[0:1]
; %bb.402:
	v_mov_b32_e32 v2, 0
	v_or_b32_e32 v3, 0x10000, v6
	v_cmp_eq_u32_sdwa s[0:1], v6, v2 src0_sel:WORD_0 src1_sel:DWORD
	s_nop 1
	v_cndmask_b32_e64 v2, v3, v6, s[0:1]
; %bb.403:
	s_or_b64 exec, exec, s[6:7]
	global_store_short_d16_hi v[0:1], v2, off offset:192
.LBB149_404:
	s_or_b64 exec, exec, s[4:5]
	v_or_b32_e32 v0, 0x70, v10
	s_movk_i32 s0, 0x78
	v_cmp_gt_u32_e64 s[0:1], s0, v0
	s_and_b64 s[0:1], vcc, s[0:1]
	s_and_b64 exec, exec, s[0:1]
	s_cbranch_execz .LBB149_410
; %bb.405:
	s_mov_b32 s0, 0x7f800000
	v_and_b32_e32 v0, 0x7f800000, v7
	v_cmp_ne_u32_e32 vcc, s0, v0
                                        ; implicit-def: $vgpr8
	s_and_saveexec_b64 s[0:1], vcc
	s_xor_b64 s[0:1], exec, s[0:1]
; %bb.406:
	v_bfe_u32 v0, v7, 16, 1
	s_movk_i32 s4, 0x7fff
	v_add3_u32 v8, v7, v0, s4
                                        ; implicit-def: $vgpr0_vgpr1_vgpr2_vgpr3_vgpr4_vgpr5_vgpr6_vgpr7
; %bb.407:
	s_andn2_saveexec_b64 s[0:1], s[0:1]
; %bb.408:
	v_mov_b32_e32 v0, 0
	v_or_b32_e32 v1, 0x10000, v7
	v_cmp_eq_u32_sdwa vcc, v7, v0 src0_sel:WORD_0 src1_sel:DWORD
	s_nop 1
	v_cndmask_b32_e32 v8, v1, v7, vcc
; %bb.409:
	s_or_b64 exec, exec, s[0:1]
	v_lshlrev_b32_e32 v0, 1, v10
	global_store_short_d16_hi v0, v8, s[2:3] offset:224
.LBB149_410:
	s_endpgm
.LBB149_411:
	v_mov_b32_e32 v0, 0x100
	v_lshl_add_u32 v0, v10, 2, v0
	ds_read_b32 v0, v0
	s_waitcnt lgkmcnt(0)
	v_add_f32_e32 v8, v8, v0
	s_or_b64 exec, exec, s[2:3]
	s_and_saveexec_b64 s[2:3], s[0:1]
	s_cbranch_execz .LBB149_364
.LBB149_412:
	v_mov_b32_e32 v0, 0x100
	v_lshl_add_u32 v0, v10, 2, v0
	ds_read_b32 v0, v0 offset:64
	s_waitcnt lgkmcnt(0)
	v_add_f32_e32 v9, v9, v0
	s_or_b64 exec, exec, s[2:3]
	s_and_saveexec_b64 s[2:3], s[0:1]
	s_cbranch_execz .LBB149_365
.LBB149_413:
	v_mov_b32_e32 v0, 0x100
	v_lshl_add_u32 v0, v10, 2, v0
	ds_read_b32 v0, v0 offset:128
	s_waitcnt lgkmcnt(0)
	v_add_f32_e32 v4, v4, v0
	s_or_b64 exec, exec, s[2:3]
	s_and_saveexec_b64 s[2:3], s[0:1]
	s_cbranch_execz .LBB149_366
.LBB149_414:
	v_mov_b32_e32 v0, 0x100
	v_lshl_add_u32 v0, v10, 2, v0
	ds_read_b32 v0, v0 offset:192
	s_waitcnt lgkmcnt(0)
	v_add_f32_e32 v5, v5, v0
	s_or_b64 exec, exec, s[2:3]
	s_and_saveexec_b64 s[2:3], s[0:1]
	s_cbranch_execz .LBB149_367
.LBB149_415:
	v_mov_b32_e32 v0, 0x100
	v_lshl_add_u32 v0, v10, 2, v0
	ds_read_b32 v0, v0 offset:256
	s_waitcnt lgkmcnt(0)
	v_add_f32_e32 v2, v2, v0
	s_or_b64 exec, exec, s[2:3]
	s_and_saveexec_b64 s[2:3], s[0:1]
	s_cbranch_execz .LBB149_368
.LBB149_416:
	v_mov_b32_e32 v0, 0x100
	v_lshl_add_u32 v0, v10, 2, v0
	ds_read_b32 v0, v0 offset:320
	s_waitcnt lgkmcnt(0)
	v_add_f32_e32 v3, v3, v0
	s_or_b64 exec, exec, s[2:3]
	s_and_saveexec_b64 s[2:3], s[0:1]
	s_cbranch_execnz .LBB149_369
	s_branch .LBB149_370
	.section	.rodata,"a",@progbits
	.p2align	6, 0x0
	.amdhsa_kernel _ZN4vllm25paged_attention_v1_kernelI14__hip_bfloat16S1_Li120ELi32ELi128ELNS_18Fp8KVCacheDataTypeE0ELb1EEEvPT_PKS3_PKT0_S9_ifPKiSB_iPKfiiiSD_SD_iiiii
		.amdhsa_group_segment_fixed_size 256
		.amdhsa_private_segment_fixed_size 0
		.amdhsa_kernarg_size 384
		.amdhsa_user_sgpr_count 2
		.amdhsa_user_sgpr_dispatch_ptr 0
		.amdhsa_user_sgpr_queue_ptr 0
		.amdhsa_user_sgpr_kernarg_segment_ptr 1
		.amdhsa_user_sgpr_dispatch_id 0
		.amdhsa_user_sgpr_kernarg_preload_length 0
		.amdhsa_user_sgpr_kernarg_preload_offset 0
		.amdhsa_user_sgpr_private_segment_size 0
		.amdhsa_uses_dynamic_stack 0
		.amdhsa_enable_private_segment 0
		.amdhsa_system_sgpr_workgroup_id_x 1
		.amdhsa_system_sgpr_workgroup_id_y 1
		.amdhsa_system_sgpr_workgroup_id_z 1
		.amdhsa_system_sgpr_workgroup_info 0
		.amdhsa_system_vgpr_workitem_id 0
		.amdhsa_next_free_vgpr 127
		.amdhsa_next_free_sgpr 45
		.amdhsa_accum_offset 128
		.amdhsa_reserve_vcc 1
		.amdhsa_float_round_mode_32 0
		.amdhsa_float_round_mode_16_64 0
		.amdhsa_float_denorm_mode_32 3
		.amdhsa_float_denorm_mode_16_64 3
		.amdhsa_dx10_clamp 1
		.amdhsa_ieee_mode 1
		.amdhsa_fp16_overflow 0
		.amdhsa_tg_split 0
		.amdhsa_exception_fp_ieee_invalid_op 0
		.amdhsa_exception_fp_denorm_src 0
		.amdhsa_exception_fp_ieee_div_zero 0
		.amdhsa_exception_fp_ieee_overflow 0
		.amdhsa_exception_fp_ieee_underflow 0
		.amdhsa_exception_fp_ieee_inexact 0
		.amdhsa_exception_int_div_zero 0
	.end_amdhsa_kernel
	.section	.text._ZN4vllm25paged_attention_v1_kernelI14__hip_bfloat16S1_Li120ELi32ELi128ELNS_18Fp8KVCacheDataTypeE0ELb1EEEvPT_PKS3_PKT0_S9_ifPKiSB_iPKfiiiSD_SD_iiiii,"axG",@progbits,_ZN4vllm25paged_attention_v1_kernelI14__hip_bfloat16S1_Li120ELi32ELi128ELNS_18Fp8KVCacheDataTypeE0ELb1EEEvPT_PKS3_PKT0_S9_ifPKiSB_iPKfiiiSD_SD_iiiii,comdat
.Lfunc_end149:
	.size	_ZN4vllm25paged_attention_v1_kernelI14__hip_bfloat16S1_Li120ELi32ELi128ELNS_18Fp8KVCacheDataTypeE0ELb1EEEvPT_PKS3_PKT0_S9_ifPKiSB_iPKfiiiSD_SD_iiiii, .Lfunc_end149-_ZN4vllm25paged_attention_v1_kernelI14__hip_bfloat16S1_Li120ELi32ELi128ELNS_18Fp8KVCacheDataTypeE0ELb1EEEvPT_PKS3_PKT0_S9_ifPKiSB_iPKfiiiSD_SD_iiiii
                                        ; -- End function
	.section	.AMDGPU.csdata,"",@progbits
; Kernel info:
; codeLenInByte = 15272
; NumSgprs: 51
; NumVgprs: 127
; NumAgprs: 0
; TotalNumVgprs: 127
; ScratchSize: 0
; MemoryBound: 0
; FloatMode: 240
; IeeeMode: 1
; LDSByteSize: 256 bytes/workgroup (compile time only)
; SGPRBlocks: 6
; VGPRBlocks: 15
; NumSGPRsForWavesPerEU: 51
; NumVGPRsForWavesPerEU: 127
; AccumOffset: 128
; Occupancy: 4
; WaveLimiterHint : 1
; COMPUTE_PGM_RSRC2:SCRATCH_EN: 0
; COMPUTE_PGM_RSRC2:USER_SGPR: 2
; COMPUTE_PGM_RSRC2:TRAP_HANDLER: 0
; COMPUTE_PGM_RSRC2:TGID_X_EN: 1
; COMPUTE_PGM_RSRC2:TGID_Y_EN: 1
; COMPUTE_PGM_RSRC2:TGID_Z_EN: 1
; COMPUTE_PGM_RSRC2:TIDIG_COMP_CNT: 0
; COMPUTE_PGM_RSRC3_GFX90A:ACCUM_OFFSET: 31
; COMPUTE_PGM_RSRC3_GFX90A:TG_SPLIT: 0
	.section	.text._ZN4vllm25paged_attention_v1_kernelI14__hip_bfloat16S1_Li128ELi32ELi128ELNS_18Fp8KVCacheDataTypeE0ELb1EEEvPT_PKS3_PKT0_S9_ifPKiSB_iPKfiiiSD_SD_iiiii,"axG",@progbits,_ZN4vllm25paged_attention_v1_kernelI14__hip_bfloat16S1_Li128ELi32ELi128ELNS_18Fp8KVCacheDataTypeE0ELb1EEEvPT_PKS3_PKT0_S9_ifPKiSB_iPKfiiiSD_SD_iiiii,comdat
	.protected	_ZN4vllm25paged_attention_v1_kernelI14__hip_bfloat16S1_Li128ELi32ELi128ELNS_18Fp8KVCacheDataTypeE0ELb1EEEvPT_PKS3_PKT0_S9_ifPKiSB_iPKfiiiSD_SD_iiiii ; -- Begin function _ZN4vllm25paged_attention_v1_kernelI14__hip_bfloat16S1_Li128ELi32ELi128ELNS_18Fp8KVCacheDataTypeE0ELb1EEEvPT_PKS3_PKT0_S9_ifPKiSB_iPKfiiiSD_SD_iiiii
	.globl	_ZN4vllm25paged_attention_v1_kernelI14__hip_bfloat16S1_Li128ELi32ELi128ELNS_18Fp8KVCacheDataTypeE0ELb1EEEvPT_PKS3_PKT0_S9_ifPKiSB_iPKfiiiSD_SD_iiiii
	.p2align	8
	.type	_ZN4vllm25paged_attention_v1_kernelI14__hip_bfloat16S1_Li128ELi32ELi128ELNS_18Fp8KVCacheDataTypeE0ELb1EEEvPT_PKS3_PKT0_S9_ifPKiSB_iPKfiiiSD_SD_iiiii,@function
_ZN4vllm25paged_attention_v1_kernelI14__hip_bfloat16S1_Li128ELi32ELi128ELNS_18Fp8KVCacheDataTypeE0ELb1EEEvPT_PKS3_PKT0_S9_ifPKiSB_iPKfiiiSD_SD_iiiii: ; @_ZN4vllm25paged_attention_v1_kernelI14__hip_bfloat16S1_Li128ELi32ELi128ELNS_18Fp8KVCacheDataTypeE0ELb1EEEvPT_PKS3_PKT0_S9_ifPKiSB_iPKfiiiSD_SD_iiiii
; %bb.0:
	s_load_dword s5, s[0:1], 0x80
	s_load_dwordx2 s[6:7], s[0:1], 0x30
	s_load_dwordx2 s[30:31], s[0:1], 0x20
	s_mov_b32 s10, s3
	s_ashr_i32 s11, s3, 31
	s_lshl_b64 s[8:9], s[10:11], 2
	s_waitcnt lgkmcnt(0)
	s_add_u32 s6, s6, s8
	s_addc_u32 s7, s7, s9
	s_abs_i32 s3, s30
	v_cvt_f32_u32_e32 v1, s3
	s_sub_i32 s11, 0, s3
	s_abs_i32 s9, s5
	s_xor_b32 s8, s5, s30
	v_rcp_iflag_f32_e32 v1, v1
	s_ashr_i32 s8, s8, 31
	s_mov_b32 s42, 0
	v_mul_f32_e32 v1, 0x4f7ffffe, v1
	v_cvt_u32_f32_e32 v1, v1
	s_nop 0
	v_readfirstlane_b32 s12, v1
	s_mul_i32 s11, s11, s12
	s_mul_hi_u32 s11, s12, s11
	s_add_i32 s12, s12, s11
	s_mul_hi_u32 s11, s9, s12
	s_mul_i32 s12, s11, s3
	s_sub_i32 s9, s9, s12
	s_add_i32 s12, s11, 1
	s_sub_i32 s13, s9, s3
	s_cmp_ge_u32 s9, s3
	s_cselect_b32 s11, s12, s11
	s_cselect_b32 s9, s13, s9
	s_add_i32 s12, s11, 1
	s_cmp_ge_u32 s9, s3
	s_cselect_b32 s3, s12, s11
	s_xor_b32 s3, s3, s8
	s_sub_i32 s12, s3, s8
	s_abs_i32 s11, s12
	v_cvt_f32_u32_e32 v1, s11
	s_load_dwordx2 s[8:9], s[0:1], 0x40
	s_sub_i32 s3, 0, s11
	s_abs_i32 s22, s2
	v_rcp_iflag_f32_e32 v1, v1
	s_nop 0
	v_mul_f32_e32 v1, 0x4f7ffffe, v1
	v_cvt_u32_f32_e32 v1, v1
	s_nop 0
	v_readfirstlane_b32 s13, v1
	s_mul_i32 s3, s3, s13
	s_mul_hi_u32 s3, s13, s3
	s_add_i32 s13, s13, s3
	s_waitcnt lgkmcnt(0)
	s_cmp_eq_u64 s[8:9], 0
	s_mul_hi_u32 s23, s22, s13
	s_cbranch_scc1 .LBB150_2
; %bb.1:
	s_ashr_i32 s3, s2, 31
	s_lshl_b64 s[14:15], s[2:3], 2
	s_add_u32 s8, s8, s14
	s_addc_u32 s9, s9, s15
	s_load_dword s42, s[8:9], 0x0
.LBB150_2:
	s_load_dword s33, s[6:7], 0x0
	s_ashr_i32 s9, s12, 31
	s_load_dwordx4 s[12:15], s[0:1], 0x48
	s_ashr_i32 s3, s2, 31
	v_and_b32_e32 v2, 1, v0
	s_lshl_b32 s20, s2, 7
	v_cmp_gt_u32_e32 vcc, 32, v0
	v_lshlrev_b32_e32 v36, 3, v0
	s_and_saveexec_b64 s[6:7], vcc
	s_cbranch_execz .LBB150_4
; %bb.3:
	s_load_dwordx2 s[16:17], s[0:1], 0x8
	s_waitcnt lgkmcnt(0)
	s_mul_i32 s18, s10, s12
	s_ashr_i32 s19, s18, 31
	s_lshl_b64 s[18:19], s[18:19], 1
	v_lshlrev_b32_e32 v1, 2, v0
	s_add_u32 s8, s16, s18
	s_addc_u32 s12, s17, s19
	s_ashr_i32 s21, s20, 31
	s_lshl_b64 s[16:17], s[20:21], 1
	s_add_u32 s16, s8, s16
	s_addc_u32 s17, s12, s17
	global_load_dwordx2 v[4:5], v36, s[16:17]
	v_and_b32_e32 v1, 0xff8, v1
	v_lshl_add_u32 v1, v2, 7, v1
	s_waitcnt vmcnt(0)
	ds_write_b64 v1, v[4:5]
.LBB150_4:
	s_or_b64 exec, exec, s[6:7]
	s_mul_i32 s6, s23, s11
	s_sub_i32 s6, s22, s6
	s_xor_b32 s3, s3, s9
	s_add_i32 s7, s23, 1
	s_sub_i32 s9, s6, s11
	s_load_dwordx4 s[16:19], s[0:1], 0x68
	s_load_dword s8, s[0:1], 0x78
	s_cmp_ge_u32 s6, s11
	s_cselect_b32 s7, s7, s23
	s_cselect_b32 s6, s9, s6
	s_add_i32 s9, s7, 1
	s_cmp_ge_u32 s6, s11
	s_cselect_b32 s6, s9, s7
	s_waitcnt lgkmcnt(0)
	s_abs_i32 s21, s19
	v_cvt_f32_u32_e32 v1, s21
	s_xor_b32 s6, s6, s3
	s_sub_i32 s3, s6, s3
	s_sub_i32 s6, 0, s21
	v_rcp_iflag_f32_e32 v1, v1
	s_add_i32 s11, s33, -1
	s_abs_i32 s9, s11
	v_mul_f32_e32 v1, 0x4f7ffffe, v1
	v_cvt_u32_f32_e32 v1, v1
	s_barrier
	v_readfirstlane_b32 s40, v1
	s_mul_i32 s6, s6, s40
	s_mul_hi_u32 s6, s40, s6
	s_add_i32 s40, s40, s6
	s_cmp_lt_i32 s8, 0
	s_mul_hi_u32 s12, s9, s40
	s_cbranch_scc0 .LBB150_6
; %bb.5:
	s_mul_i32 s6, s16, s30
	s_add_i32 s6, s3, s6
	s_mul_i32 s6, s6, s8
	s_sub_i32 s41, 1, s6
	s_mov_b64 s[6:7], 0
	s_branch .LBB150_7
.LBB150_6:
	s_mov_b64 s[6:7], -1
                                        ; implicit-def: $sgpr41
.LBB150_7:
	s_load_dwordx2 s[24:25], s[0:1], 0x28
	s_ashr_i32 s15, s11, 31
	s_andn2_b64 vcc, exec, s[6:7]
	s_ashr_i32 s19, s19, 31
	s_cbranch_vccnz .LBB150_9
; %bb.8:
	s_mul_i32 s6, s5, s16
	s_add_i32 s2, s6, s2
	s_mul_i32 s2, s2, s8
	s_add_i32 s41, s2, 1
.LBB150_9:
	s_load_dword s2, s[0:1], 0x38
	s_load_dwordx2 s[22:23], s[0:1], 0x0
	s_load_dwordx2 s[28:29], s[0:1], 0x18
	s_load_dword s11, s[0:1], 0x88
	s_xor_b32 s6, s15, s19
	s_waitcnt lgkmcnt(0)
	s_mul_i32 s26, s10, s2
	s_mul_i32 s2, s12, s21
	s_sub_i32 s2, s9, s2
	s_ashr_i32 s27, s26, 31
	s_add_i32 s7, s12, 1
	s_sub_i32 s8, s2, s21
	s_cmp_ge_u32 s2, s21
	s_cselect_b32 s7, s7, s12
	s_cselect_b32 s2, s8, s2
	s_add_i32 s8, s7, 1
	s_cmp_ge_u32 s2, s21
	s_cselect_b32 s2, s8, s7
	s_xor_b32 s2, s2, s6
	s_sub_i32 s12, s2, s6
	s_add_i32 s2, s33, 31
	s_ashr_i32 s6, s2, 31
	s_lshr_b32 s6, s6, 27
	s_add_i32 s2, s2, s6
	s_ashr_i32 s16, s2, 5
	v_lshrrev_b32_e32 v1, 6, v0
	v_cmp_gt_i32_e64 s[6:7], s16, v1
	v_mov_b32_e32 v38, 0xff7fffff
	s_mul_i32 s14, s3, s14
	v_lshrrev_b32_e32 v37, 4, v0
	v_lshlrev_b32_e32 v32, 5, v1
	v_mbcnt_lo_u32_b32 v33, -1, 0
	s_and_saveexec_b64 s[34:35], s[6:7]
	s_cbranch_execz .LBB150_19
; %bb.10:
	s_load_dwordx2 s[0:1], s[0:1], 0x10
	s_ashr_i32 s15, s14, 31
	s_sub_i32 s30, s12, s17
	s_lshl_b64 s[2:3], s[14:15], 1
	v_bfe_u32 v34, v0, 1, 5
	s_waitcnt lgkmcnt(0)
	s_add_u32 s0, s0, s2
	s_addc_u32 s1, s1, s3
	s_abs_i32 s15, s18
	v_cvt_f32_u32_e32 v3, s15
	v_lshlrev_b32_e32 v4, 4, v34
	v_mov_b32_e32 v5, 0
	v_lshl_add_u64 v[6:7], s[0:1], 0, v[4:5]
	v_rcp_iflag_f32_e32 v3, v3
	s_sub_i32 s0, 0, s15
	v_cmp_eq_u32_e32 vcc, 0, v2
	v_lshlrev_b32_e32 v35, 7, v2
	v_mul_f32_e32 v3, 0x4f7ffffe, v3
	v_cvt_u32_f32_e32 v3, v3
	v_and_b32_e32 v4, 8, v36
	v_mbcnt_hi_u32_b32 v44, -1, v33
	v_lshl_add_u64 v[10:11], v[6:7], 0, v[4:5]
	v_mul_lo_u32 v2, s0, v3
	v_mul_hi_u32 v2, v3, v2
	v_add_u32_e32 v39, v3, v2
	v_lshlrev_b32_e32 v2, 2, v34
	s_lshl_b64 s[0:1], s[26:27], 2
	v_lshl_or_b32 v2, v1, 7, v2
	s_add_u32 s0, s24, s0
	v_add_u32_e32 v41, 0x110, v2
	v_subrev_u32_e32 v2, s33, v34
	v_and_b32_e32 v4, 60, v37
	s_addc_u32 s1, s25, s1
	v_add_u32_e32 v42, 1, v2
	v_and_b32_e32 v2, 64, v44
	s_mov_b32 s43, s13
	v_cmp_neq_f32_e64 s[2:3], s42, 0
	v_lshl_add_u64 v[12:13], s[0:1], 0, v[4:5]
	v_lshlrev_b32_e32 v40, 5, v1
	s_mov_b64 s[36:37], 0
	v_mov_b32_e32 v43, 0xff7fffff
	s_movk_i32 s44, 0x1000
	v_xor_b32_e32 v45, 1, v44
	v_add_u32_e32 v46, 64, v2
	v_mov_b32_e32 v38, 0xff7fffff
	v_mov_b32_e32 v47, v1
	s_branch .LBB150_13
.LBB150_11:                             ;   in Loop: Header=BB150_13 Depth=1
	s_or_b64 exec, exec, s[38:39]
.LBB150_12:                             ;   in Loop: Header=BB150_13 Depth=1
	s_or_b64 exec, exec, s[8:9]
	v_add_u32_e32 v47, 2, v47
	v_cmp_le_i32_e64 s[0:1], s16, v47
	v_lshl_add_u64 v[12:13], v[12:13], 0, 8
	v_add_u32_e32 v40, 64, v40
	s_or_b64 s[36:37], s[0:1], s[36:37]
	v_add_u32_e32 v41, 0x100, v41
	s_andn2_b64 exec, exec, s[36:37]
	s_cbranch_execz .LBB150_18
.LBB150_13:                             ; =>This Inner Loop Header: Depth=1
	v_mul_hi_u32 v2, v40, s40
	s_waitcnt lgkmcnt(0)
	v_mul_lo_u32 v3, v2, s21
	v_sub_u32_e32 v3, v40, v3
	v_add_u32_e32 v4, 1, v2
	v_cmp_le_u32_e64 s[0:1], s21, v3
	s_nop 1
	v_cndmask_b32_e64 v2, v2, v4, s[0:1]
	v_subrev_u32_e32 v4, s21, v3
	v_cndmask_b32_e64 v3, v3, v4, s[0:1]
	v_add_u32_e32 v4, 1, v2
	v_cmp_le_u32_e64 s[0:1], s21, v3
	s_nop 1
	v_cndmask_b32_e64 v2, v2, v4, s[0:1]
	v_xor_b32_e32 v2, s19, v2
	v_subrev_u32_e32 v2, s19, v2
	v_add_u32_e32 v3, s41, v2
	v_sub_u32_e32 v5, 0, v3
	v_ashrrev_i32_e32 v4, 31, v3
	v_max_i32_e32 v3, v3, v5
	v_mul_hi_u32 v5, v3, v39
	v_mul_lo_u32 v5, v5, s15
	v_sub_u32_e32 v3, v3, v5
	v_subrev_u32_e32 v5, s15, v3
	v_cmp_le_u32_e64 s[0:1], s15, v3
	v_cmp_ge_i32_e64 s[8:9], s30, v2
	s_nop 0
	v_cndmask_b32_e64 v3, v3, v5, s[0:1]
	v_subrev_u32_e32 v5, s15, v3
	v_cmp_le_u32_e64 s[0:1], s15, v3
	s_nop 1
	v_cndmask_b32_e64 v3, v3, v5, s[0:1]
	v_xor_b32_e32 v3, v3, v4
	v_sub_u32_e32 v3, v3, v4
	v_cmp_ne_u32_e64 s[0:1], 0, v3
	s_and_b64 s[0:1], s[0:1], s[8:9]
	s_and_b64 s[38:39], vcc, s[0:1]
	s_and_saveexec_b64 s[8:9], s[38:39]
	s_cbranch_execz .LBB150_15
; %bb.14:                               ;   in Loop: Header=BB150_13 Depth=1
	ds_write_b32 v41, v43
.LBB150_15:                             ;   in Loop: Header=BB150_13 Depth=1
	s_or_b64 exec, exec, s[8:9]
	s_xor_b64 s[0:1], s[0:1], -1
	s_and_saveexec_b64 s[8:9], s[0:1]
	s_cbranch_execz .LBB150_12
; %bb.16:                               ;   in Loop: Header=BB150_13 Depth=1
	global_load_dword v30, v[12:13], off
	ds_read_b128 v[6:9], v35
	ds_read_b128 v[14:17], v35 offset:16
	ds_read_b128 v[18:21], v35 offset:32
	;; [unrolled: 1-line block ×5, first 2 shown]
	s_waitcnt lgkmcnt(5)
	v_lshlrev_b32_e32 v65, 16, v8
	v_lshlrev_b32_e32 v67, 16, v9
	v_and_b32_e32 v66, 0xffff0000, v8
	v_and_b32_e32 v85, 0xffff0000, v9
	s_waitcnt lgkmcnt(4)
	v_lshlrev_b32_e32 v76, 16, v14
	v_lshlrev_b32_e32 v77, 16, v15
	v_lshlrev_b32_e32 v78, 16, v16
	v_lshlrev_b32_e32 v79, 16, v17
	s_waitcnt lgkmcnt(3)
	v_lshlrev_b32_e32 v80, 16, v18
	v_lshlrev_b32_e32 v81, 16, v19
	v_and_b32_e32 v86, 0xffff0000, v14
	v_and_b32_e32 v87, 0xffff0000, v15
	;; [unrolled: 1-line block ×6, first 2 shown]
	v_lshlrev_b32_e32 v82, 16, v20
	v_and_b32_e32 v92, 0xffff0000, v20
	v_lshlrev_b32_e32 v69, 16, v7
	v_lshlrev_b32_e32 v4, 16, v21
	v_and_b32_e32 v84, 0xffff0000, v7
	v_and_b32_e32 v7, 0xffff0000, v21
	s_waitcnt lgkmcnt(1)
	v_lshlrev_b32_e32 v62, 16, v26
	v_lshlrev_b32_e32 v54, 16, v27
	s_waitcnt lgkmcnt(0)
	v_lshlrev_b32_e32 v51, 16, v72
	v_lshlrev_b32_e32 v50, 16, v73
	v_and_b32_e32 v83, 0xffff0000, v6
	v_and_b32_e32 v63, 0xffff0000, v26
	;; [unrolled: 1-line block ×5, first 2 shown]
	v_lshlrev_b32_e32 v31, 16, v6
	v_lshlrev_b32_e32 v3, 16, v22
	v_and_b32_e32 v6, 0xffff0000, v22
	v_lshlrev_b32_e32 v49, 16, v74
	v_lshlrev_b32_e32 v48, 16, v75
	v_and_b32_e32 v56, 0xffff0000, v74
	v_and_b32_e32 v55, 0xffff0000, v75
	v_lshlrev_b32_e32 v71, 16, v24
	v_lshlrev_b32_e32 v68, 16, v25
	v_and_b32_e32 v70, 0xffff0000, v24
	v_and_b32_e32 v64, 0xffff0000, v25
	v_lshlrev_b32_e32 v2, 16, v23
	v_and_b32_e32 v5, 0xffff0000, v23
	v_lshlrev_b32_e32 v53, 16, v28
	v_lshlrev_b32_e32 v52, 16, v29
	v_and_b32_e32 v60, 0xffff0000, v28
	v_and_b32_e32 v59, 0xffff0000, v29
	s_waitcnt vmcnt(0)
	v_mad_i64_i32 v[8:9], s[0:1], v30, s43, 0
	v_lshl_add_u64 v[8:9], v[8:9], 1, v[10:11]
	global_load_dwordx2 v[14:15], v[8:9], off offset:512
	global_load_dwordx2 v[16:17], v[8:9], off offset:1024
	global_load_dwordx2 v[18:19], v[8:9], off offset:1536
	v_add_co_u32_e64 v30, s[0:1], s44, v8
	global_load_dwordx2 v[72:73], v[8:9], off offset:2560
	global_load_dwordx2 v[26:27], v[8:9], off offset:3584
	;; [unrolled: 1-line block ×3, first 2 shown]
	s_waitcnt vmcnt(5)
	v_lshlrev_b32_e32 v20, 16, v14
	v_mul_f32_e32 v65, v65, v20
	global_load_dwordx2 v[20:21], v[8:9], off
	v_and_b32_e32 v14, 0xffff0000, v14
	v_mul_f32_e32 v66, v66, v14
	s_waitcnt vmcnt(0)
	v_and_b32_e32 v14, 0xffff0000, v20
	v_fmac_f32_e32 v66, v83, v14
	v_lshlrev_b32_e32 v14, 16, v15
	v_mul_f32_e32 v67, v67, v14
	v_lshlrev_b32_e32 v14, 16, v21
	v_and_b32_e32 v15, 0xffff0000, v15
	v_lshlrev_b32_e32 v22, 16, v20
	v_fmac_f32_e32 v67, v69, v14
	v_and_b32_e32 v14, 0xffff0000, v21
	v_mul_f32_e32 v69, v85, v15
	v_fmac_f32_e32 v65, v31, v22
	v_fmac_f32_e32 v69, v84, v14
	v_lshlrev_b32_e32 v14, 16, v16
	v_and_b32_e32 v15, 0xffff0000, v16
	v_fmac_f32_e32 v65, v76, v14
	v_fmac_f32_e32 v66, v86, v15
	global_load_dwordx2 v[14:15], v[8:9], off offset:2048
	v_addc_co_u32_e64 v31, s[0:1], 0, v9, s[0:1]
	v_lshlrev_b32_e32 v16, 16, v17
	global_load_dwordx2 v[24:25], v[30:31], off
	global_load_dwordx2 v[22:23], v[30:31], off offset:512
	v_and_b32_e32 v17, 0xffff0000, v17
	v_lshlrev_b32_e32 v20, 16, v18
	v_lshlrev_b32_e32 v21, 16, v19
	v_fmac_f32_e32 v67, v77, v16
	v_and_b32_e32 v18, 0xffff0000, v18
	v_and_b32_e32 v19, 0xffff0000, v19
	v_fmac_f32_e32 v69, v87, v17
	v_fmac_f32_e32 v65, v78, v20
	;; [unrolled: 1-line block ×3, first 2 shown]
	global_load_dwordx2 v[20:21], v[30:31], off offset:1024
	v_fmac_f32_e32 v66, v88, v18
	v_fmac_f32_e32 v69, v89, v19
	global_load_dwordx2 v[18:19], v[30:31], off offset:1536
	global_load_dwordx2 v[16:17], v[30:31], off offset:2048
	;; [unrolled: 1-line block ×3, first 2 shown]
	v_cmp_lt_i32_e64 s[0:1], v45, v46
	s_waitcnt vmcnt(6)
	v_lshlrev_b32_e32 v8, 16, v14
	v_and_b32_e32 v9, 0xffff0000, v14
	v_lshlrev_b32_e32 v14, 16, v15
	v_and_b32_e32 v15, 0xffff0000, v15
	v_fmac_f32_e32 v65, v80, v8
	v_lshlrev_b32_e32 v8, 16, v72
	v_fmac_f32_e32 v66, v90, v9
	v_fmac_f32_e32 v67, v81, v14
	;; [unrolled: 1-line block ×3, first 2 shown]
	global_load_dwordx2 v[14:15], v[30:31], off offset:2560
	v_fmac_f32_e32 v65, v82, v8
	v_and_b32_e32 v8, 0xffff0000, v72
	v_fmac_f32_e32 v66, v92, v8
	v_lshlrev_b32_e32 v8, 16, v73
	v_fmac_f32_e32 v67, v4, v8
	v_and_b32_e32 v4, 0xffff0000, v73
	v_lshlrev_b32_e32 v8, 16, v74
	v_fmac_f32_e32 v69, v7, v4
	v_and_b32_e32 v4, 0xffff0000, v74
	v_lshlrev_b32_e32 v7, 16, v75
	v_and_b32_e32 v9, 0xffff0000, v75
	v_fmac_f32_e32 v65, v3, v8
	v_fmac_f32_e32 v66, v6, v4
	;; [unrolled: 1-line block ×4, first 2 shown]
	ds_read_b128 v[2:5], v35 offset:96
	ds_read_b128 v[6:9], v35 offset:112
	global_load_dwordx2 v[30:31], v[30:31], off offset:3584
	v_lshlrev_b32_e32 v73, 16, v26
	v_and_b32_e32 v26, 0xffff0000, v26
	v_fmac_f32_e32 v66, v70, v26
	v_lshlrev_b32_e32 v70, 16, v27
	v_fmac_f32_e32 v67, v68, v70
	v_and_b32_e32 v27, 0xffff0000, v27
	s_waitcnt vmcnt(7)
	v_lshlrev_b32_e32 v68, 16, v24
	v_and_b32_e32 v24, 0xffff0000, v24
	v_fmac_f32_e32 v65, v71, v73
	v_fmac_f32_e32 v69, v64, v27
	v_lshlrev_b32_e32 v27, 16, v25
	s_waitcnt vmcnt(6)
	v_lshlrev_b32_e32 v64, 16, v22
	v_and_b32_e32 v22, 0xffff0000, v22
	v_fmac_f32_e32 v66, v63, v24
	v_and_b32_e32 v25, 0xffff0000, v25
	v_fmac_f32_e32 v65, v62, v68
	v_lshlrev_b32_e32 v62, 16, v23
	s_waitcnt vmcnt(5)
	v_lshlrev_b32_e32 v68, 16, v20
	v_and_b32_e32 v20, 0xffff0000, v20
	v_fmac_f32_e32 v67, v54, v27
	v_fmac_f32_e32 v66, v60, v22
	v_and_b32_e32 v23, 0xffff0000, v23
	v_lshlrev_b32_e32 v24, 16, v21
	v_fmac_f32_e32 v69, v61, v25
	v_fmac_f32_e32 v67, v52, v62
	;; [unrolled: 1-line block ×3, first 2 shown]
	s_waitcnt vmcnt(4)
	v_lshlrev_b32_e32 v20, 16, v18
	v_and_b32_e32 v18, 0xffff0000, v18
	v_and_b32_e32 v21, 0xffff0000, v21
	v_fmac_f32_e32 v65, v53, v64
	v_fmac_f32_e32 v69, v59, v23
	;; [unrolled: 1-line block ×4, first 2 shown]
	v_lshlrev_b32_e32 v18, 16, v19
	s_waitcnt lgkmcnt(1)
	v_lshlrev_b32_e32 v71, 16, v2
	v_and_b32_e32 v2, 0xffff0000, v2
	v_fmac_f32_e32 v65, v51, v68
	v_fmac_f32_e32 v69, v57, v21
	v_and_b32_e32 v19, 0xffff0000, v19
	v_fmac_f32_e32 v67, v48, v18
	s_waitcnt vmcnt(3)
	v_lshlrev_b32_e32 v18, 16, v16
	v_and_b32_e32 v16, 0xffff0000, v16
	v_lshlrev_b32_e32 v26, 16, v3
	v_and_b32_e32 v3, 0xffff0000, v3
	v_fmac_f32_e32 v65, v49, v20
	v_fmac_f32_e32 v69, v55, v19
	;; [unrolled: 1-line block ×3, first 2 shown]
	v_lshlrev_b32_e32 v2, 16, v17
	v_and_b32_e32 v16, 0xffff0000, v17
	v_fmac_f32_e32 v65, v71, v18
	v_fmac_f32_e32 v67, v26, v2
	;; [unrolled: 1-line block ×3, first 2 shown]
	v_lshlrev_b32_e32 v2, 16, v4
	v_and_b32_e32 v3, 0xffff0000, v4
	v_cndmask_b32_e64 v72, v44, v45, s[0:1]
	v_lshlrev_b32_e32 v72, 2, v72
	s_waitcnt vmcnt(1)
	v_lshlrev_b32_e32 v4, 16, v14
	v_and_b32_e32 v14, 0xffff0000, v14
	v_fmac_f32_e32 v65, v4, v2
	v_fmac_f32_e32 v66, v14, v3
	v_lshlrev_b32_e32 v2, 16, v5
	v_and_b32_e32 v3, 0xffff0000, v5
	v_lshlrev_b32_e32 v4, 16, v15
	v_and_b32_e32 v5, 0xffff0000, v15
	v_fmac_f32_e32 v67, v4, v2
	v_fmac_f32_e32 v69, v5, v3
	s_waitcnt lgkmcnt(0)
	v_lshlrev_b32_e32 v2, 16, v6
	v_and_b32_e32 v3, 0xffff0000, v6
	v_lshlrev_b32_e32 v4, 16, v28
	v_and_b32_e32 v5, 0xffff0000, v28
	v_fmac_f32_e32 v65, v4, v2
	v_fmac_f32_e32 v66, v5, v3
	v_lshlrev_b32_e32 v2, 16, v7
	v_and_b32_e32 v3, 0xffff0000, v7
	v_lshlrev_b32_e32 v4, 16, v29
	v_and_b32_e32 v5, 0xffff0000, v29
	v_fmac_f32_e32 v67, v4, v2
	v_fmac_f32_e32 v69, v5, v3
	v_lshlrev_b32_e32 v2, 16, v8
	v_and_b32_e32 v3, 0xffff0000, v8
	s_waitcnt vmcnt(0)
	v_lshlrev_b32_e32 v4, 16, v30
	v_and_b32_e32 v5, 0xffff0000, v30
	v_fmac_f32_e32 v65, v4, v2
	v_fmac_f32_e32 v66, v5, v3
	v_lshlrev_b32_e32 v2, 16, v9
	v_lshlrev_b32_e32 v4, 16, v31
	v_and_b32_e32 v3, 0xffff0000, v9
	v_and_b32_e32 v5, 0xffff0000, v31
	v_fmac_f32_e32 v67, v4, v2
	v_add_f32_e32 v2, v65, v66
	v_fmac_f32_e32 v69, v5, v3
	v_add_f32_e32 v2, v2, v67
	v_add_f32_e32 v2, v69, v2
	ds_bpermute_b32 v3, v72, v2
	s_and_saveexec_b64 s[38:39], vcc
	s_cbranch_execz .LBB150_11
; %bb.17:                               ;   in Loop: Header=BB150_13 Depth=1
	v_add_u32_e32 v4, v42, v40
	v_cvt_f32_i32_e32 v4, v4
	s_waitcnt lgkmcnt(0)
	v_add_f32_e32 v2, v2, v3
	v_add_u32_e32 v5, v34, v40
	v_cmp_gt_i32_e64 s[0:1], s33, v5
	v_mul_f32_e32 v3, s42, v4
	v_cndmask_b32_e64 v3, 0, v3, s[2:3]
	v_fmac_f32_e32 v3, s31, v2
	v_cndmask_b32_e64 v2, 0, v3, s[0:1]
	ds_write_b32 v41, v2
	v_max_f32_e32 v2, v38, v38
	v_max_f32_e32 v2, v2, v3
	v_cndmask_b32_e64 v38, v38, v2, s[0:1]
	s_branch .LBB150_11
.LBB150_18:
	s_or_b64 exec, exec, s[36:37]
.LBB150_19:
	s_or_b64 exec, exec, s[34:35]
	v_mbcnt_hi_u32_b32 v8, -1, v33
	v_and_b32_e32 v2, 64, v8
	v_add_u32_e32 v9, 64, v2
	v_xor_b32_e32 v2, 32, v8
	v_cmp_lt_i32_e32 vcc, v2, v9
	v_xor_b32_e32 v5, 16, v8
	v_max_f32_e32 v4, v38, v38
	v_cndmask_b32_e32 v2, v8, v2, vcc
	v_lshlrev_b32_e32 v2, 2, v2
	s_waitcnt lgkmcnt(0)
	ds_bpermute_b32 v3, v2, v38
	v_cmp_lt_i32_e32 vcc, v5, v9
	v_xor_b32_e32 v6, 8, v8
	v_xor_b32_e32 v7, 4, v8
	;; [unrolled: 1-line block ×3, first 2 shown]
	s_waitcnt lgkmcnt(0)
	v_max_f32_e32 v3, v3, v3
	v_max_f32_e32 v4, v4, v3
	v_cndmask_b32_e32 v3, v8, v5, vcc
	v_lshlrev_b32_e32 v3, 2, v3
	ds_bpermute_b32 v5, v3, v4
	v_cmp_lt_i32_e32 vcc, v6, v9
	v_and_b32_e32 v30, 63, v0
	s_waitcnt lgkmcnt(0)
	v_max_f32_e32 v5, v5, v5
	v_max_f32_e32 v5, v4, v5
	v_cndmask_b32_e32 v4, v8, v6, vcc
	v_lshlrev_b32_e32 v4, 2, v4
	ds_bpermute_b32 v6, v4, v5
	v_cmp_lt_i32_e32 vcc, v7, v9
	s_waitcnt lgkmcnt(0)
	v_max_f32_e32 v6, v6, v6
	v_max_f32_e32 v6, v5, v6
	v_cndmask_b32_e32 v5, v8, v7, vcc
	v_lshlrev_b32_e32 v5, 2, v5
	ds_bpermute_b32 v7, v5, v6
	v_cmp_lt_i32_e32 vcc, v10, v9
	s_waitcnt lgkmcnt(0)
	v_max_f32_e32 v7, v7, v7
	v_max_f32_e32 v7, v6, v7
	v_cndmask_b32_e32 v6, v8, v10, vcc
	v_lshlrev_b32_e32 v31, 2, v6
	ds_bpermute_b32 v10, v31, v7
	v_cmp_eq_u32_e32 vcc, 0, v30
	v_lshlrev_b32_e32 v6, 2, v1
	s_and_saveexec_b64 s[0:1], vcc
	s_cbranch_execz .LBB150_21
; %bb.20:
	s_waitcnt lgkmcnt(0)
	v_max_f32_e32 v10, v10, v10
	v_max_f32_e32 v7, v7, v7
	;; [unrolled: 1-line block ×3, first 2 shown]
	ds_write_b32 v6, v7 offset:256
.LBB150_21:
	s_or_b64 exec, exec, s[0:1]
	v_cmp_gt_u32_e64 s[0:1], 2, v30
	s_waitcnt lgkmcnt(0)
	v_mov_b32_e32 v10, 0xff7fffff
	v_lshlrev_b32_e32 v7, 2, v30
	s_barrier
	s_and_saveexec_b64 s[2:3], s[0:1]
	s_cbranch_execz .LBB150_23
; %bb.22:
	ds_read_b32 v10, v7 offset:256
.LBB150_23:
	s_or_b64 exec, exec, s[2:3]
	v_xor_b32_e32 v11, 1, v8
	v_cmp_lt_i32_e64 s[2:3], v11, v9
	s_nop 1
	v_cndmask_b32_e64 v9, v8, v11, s[2:3]
	v_lshlrev_b32_e32 v33, 2, v9
	s_waitcnt lgkmcnt(0)
	ds_bpermute_b32 v9, v33, v10
	v_max_f32_e32 v10, v10, v10
	v_lshlrev_b32_e32 v8, 2, v8
	v_and_b32_e32 v8, 0x100, v8
	s_lshl_b32 s2, s16, 5
	s_waitcnt lgkmcnt(0)
	v_max_f32_e32 v9, v9, v9
	v_max_f32_e32 v9, v10, v9
	ds_bpermute_b32 v10, v8, v9
	s_min_i32 s15, s2, s33
	v_cmp_gt_i32_e64 s[2:3], s15, v0
	v_mov_b32_e32 v9, 0
	s_and_saveexec_b64 s[30:31], s[2:3]
	s_cbranch_execz .LBB150_27
; %bb.24:
	v_mov_b32_e32 v9, 0x110
	v_lshl_add_u32 v11, v0, 2, v9
	s_mov_b64 s[34:35], 0
	v_mov_b32_e32 v9, 0
	v_mov_b32_e32 v12, v0
.LBB150_25:                             ; =>This Inner Loop Header: Depth=1
	ds_read_b32 v13, v11
	v_add_u32_e32 v12, 0x80, v12
	v_cmp_le_i32_e64 s[8:9], s15, v12
	s_or_b64 s[34:35], s[8:9], s[34:35]
	s_waitcnt lgkmcnt(0)
	v_sub_f32_e32 v13, v13, v10
	v_mul_f32_e32 v13, 0x3fb8aa3b, v13
	v_exp_f32_e32 v13, v13
	ds_write_b32 v11, v13
	v_add_f32_e32 v9, v9, v13
	v_add_u32_e32 v11, 0x200, v11
	s_andn2_b64 exec, exec, s[34:35]
	s_cbranch_execnz .LBB150_25
; %bb.26:
	s_or_b64 exec, exec, s[34:35]
.LBB150_27:
	s_or_b64 exec, exec, s[30:31]
	ds_bpermute_b32 v2, v2, v9
	s_waitcnt lgkmcnt(0)
	v_add_f32_e32 v2, v9, v2
	ds_bpermute_b32 v3, v3, v2
	s_waitcnt lgkmcnt(0)
	v_add_f32_e32 v2, v2, v3
	;; [unrolled: 3-line block ×6, first 2 shown]
	s_and_saveexec_b64 s[8:9], vcc
	s_cbranch_execz .LBB150_29
; %bb.28:
	ds_write_b32 v6, v2 offset:264
.LBB150_29:
	s_or_b64 exec, exec, s[8:9]
	s_waitcnt lgkmcnt(0)
	s_barrier
	s_and_saveexec_b64 s[8:9], s[0:1]
	s_cbranch_execz .LBB150_31
; %bb.30:
	ds_read_b32 v2, v7 offset:264
.LBB150_31:
	s_or_b64 exec, exec, s[8:9]
	s_waitcnt lgkmcnt(0)
	ds_bpermute_b32 v3, v33, v2
	s_waitcnt lgkmcnt(0)
	v_add_f32_e32 v2, v2, v3
	ds_bpermute_b32 v2, v8, v2
	s_and_saveexec_b64 s[0:1], s[2:3]
	s_cbranch_execz .LBB150_44
; %bb.32:
	s_waitcnt lgkmcnt(0)
	v_add_f32_e32 v2, 0x358637bd, v2
	v_div_scale_f32 v3, s[2:3], v2, v2, 1.0
	v_rcp_f32_e32 v4, v3
	v_div_scale_f32 v5, vcc, 1.0, v2, 1.0
	s_movk_i32 s2, 0x7f
	v_fma_f32 v6, -v3, v4, 1.0
	v_fmac_f32_e32 v4, v6, v4
	v_mul_f32_e32 v6, v5, v4
	v_fma_f32 v7, -v3, v6, v5
	v_fmac_f32_e32 v6, v7, v4
	v_fma_f32 v3, -v3, v6, v5
	v_div_fmas_f32 v3, v3, v4, v6
	v_xad_u32 v4, v0, -1, s15
	v_div_fixup_f32 v2, v3, v2, 1.0
	v_cmp_lt_u32_e32 vcc, s2, v4
	s_mov_b64 s[8:9], -1
	v_mov_b32_e32 v3, v0
	s_and_saveexec_b64 s[2:3], vcc
	s_cbranch_execz .LBB150_41
; %bb.33:
	v_lshrrev_b32_e32 v4, 7, v4
	v_add_u32_e32 v6, -1, v4
	v_lshrrev_b32_e32 v5, 1, v6
	v_mov_b32_e32 v3, v2
	v_add_u32_e32 v5, 1, v5
	v_cmp_lt_u32_e32 vcc, 13, v6
	v_mov_b32_e32 v8, 0
	s_and_saveexec_b64 s[8:9], vcc
	s_cbranch_execz .LBB150_37
; %bb.34:
	v_mov_b32_e32 v7, 0x110
	v_and_b32_e32 v6, -8, v5
	v_lshl_add_u32 v7, v0, 2, v7
	s_mov_b32 s34, 0
	s_mov_b64 s[30:31], 0
.LBB150_35:                             ; =>This Inner Loop Header: Depth=1
	ds_read2st64_b32 v[8:9], v7 offset1:2
	ds_read2st64_b32 v[10:11], v7 offset0:4 offset1:6
	ds_read2st64_b32 v[12:13], v7 offset0:8 offset1:10
	;; [unrolled: 1-line block ×3, first 2 shown]
	v_add_u32_e32 v6, -8, v6
	s_waitcnt lgkmcnt(3)
	v_pk_mul_f32 v[8:9], v[2:3], v[8:9]
	s_waitcnt lgkmcnt(2)
	v_pk_mul_f32 v[10:11], v[2:3], v[10:11]
	ds_write2st64_b32 v7, v8, v9 offset1:2
	ds_write2st64_b32 v7, v10, v11 offset0:4 offset1:6
	ds_read2st64_b32 v[10:11], v7 offset0:16 offset1:18
	s_waitcnt lgkmcnt(4)
	v_pk_mul_f32 v[8:9], v[2:3], v[12:13]
	ds_write2st64_b32 v7, v8, v9 offset0:8 offset1:10
	s_waitcnt lgkmcnt(4)
	v_pk_mul_f32 v[8:9], v[2:3], v[14:15]
	ds_write2st64_b32 v7, v8, v9 offset0:12 offset1:14
	ds_read2st64_b32 v[8:9], v7 offset0:20 offset1:22
	s_waitcnt lgkmcnt(3)
	v_pk_mul_f32 v[10:11], v[2:3], v[10:11]
	ds_read2st64_b32 v[12:13], v7 offset0:24 offset1:26
	ds_write2st64_b32 v7, v10, v11 offset0:16 offset1:18
	ds_read2st64_b32 v[10:11], v7 offset0:28 offset1:30
	s_waitcnt lgkmcnt(3)
	v_pk_mul_f32 v[8:9], v[2:3], v[8:9]
	ds_write2st64_b32 v7, v8, v9 offset0:20 offset1:22
	s_waitcnt lgkmcnt(3)
	v_pk_mul_f32 v[8:9], v[2:3], v[12:13]
	ds_write2st64_b32 v7, v8, v9 offset0:24 offset1:26
	s_waitcnt lgkmcnt(2)
	v_pk_mul_f32 v[8:9], v[2:3], v[10:11]
	s_add_i32 s34, s34, 16
	v_cmp_eq_u32_e32 vcc, 0, v6
	ds_write2st64_b32 v7, v8, v9 offset0:28 offset1:30
	v_add_u32_e32 v7, 0x2000, v7
	s_or_b64 s[30:31], vcc, s[30:31]
	v_mov_b32_e32 v8, s34
	s_andn2_b64 exec, exec, s[30:31]
	s_cbranch_execnz .LBB150_35
; %bb.36:
	s_or_b64 exec, exec, s[30:31]
.LBB150_37:
	s_or_b64 exec, exec, s[8:9]
	v_and_b32_e32 v5, 7, v5
	v_cmp_ne_u32_e32 vcc, 0, v5
	s_and_saveexec_b64 s[8:9], vcc
	s_cbranch_execz .LBB150_40
; %bb.38:
	v_lshlrev_b32_e32 v6, 9, v8
	v_lshlrev_b32_e32 v7, 2, v0
	s_movk_i32 s30, 0x110
	v_add3_u32 v6, v6, v7, s30
	s_mov_b64 s[30:31], 0
.LBB150_39:                             ; =>This Inner Loop Header: Depth=1
	ds_read2st64_b32 v[8:9], v6 offset1:2
	v_add_u32_e32 v5, -1, v5
	v_cmp_eq_u32_e32 vcc, 0, v5
	s_or_b64 s[30:31], vcc, s[30:31]
	s_waitcnt lgkmcnt(0)
	v_pk_mul_f32 v[8:9], v[2:3], v[8:9]
	ds_write2st64_b32 v6, v8, v9 offset1:2
	v_add_u32_e32 v6, 0x400, v6
	s_andn2_b64 exec, exec, s[30:31]
	s_cbranch_execnz .LBB150_39
.LBB150_40:
	s_or_b64 exec, exec, s[8:9]
	v_add_u32_e32 v4, 1, v4
	v_and_b32_e32 v5, 0x3fffffe, v4
	v_cmp_ne_u32_e32 vcc, v4, v5
	v_lshl_add_u32 v3, v5, 7, v0
	s_orn2_b64 s[8:9], vcc, exec
.LBB150_41:
	s_or_b64 exec, exec, s[2:3]
	s_and_b64 exec, exec, s[8:9]
	s_cbranch_execz .LBB150_44
; %bb.42:
	v_mov_b32_e32 v4, 0x110
	v_lshl_add_u32 v4, v3, 2, v4
	s_mov_b64 s[2:3], 0
.LBB150_43:                             ; =>This Inner Loop Header: Depth=1
	ds_read_b32 v5, v4
	v_add_u32_e32 v3, 0x80, v3
	v_cmp_le_i32_e32 vcc, s15, v3
	s_or_b64 s[2:3], vcc, s[2:3]
	s_waitcnt lgkmcnt(0)
	v_mul_f32_e32 v5, v2, v5
	ds_write_b32 v4, v5
	v_add_u32_e32 v4, 0x200, v4
	s_andn2_b64 exec, exec, s[2:3]
	s_cbranch_execnz .LBB150_43
.LBB150_44:
	s_or_b64 exec, exec, s[0:1]
	v_mov_b32_e32 v11, 0
	v_and_b32_e32 v34, 3, v0
	v_mov_b32_e32 v10, 0
	v_mov_b32_e32 v13, 0
	;; [unrolled: 1-line block ×7, first 2 shown]
	s_waitcnt lgkmcnt(0)
	s_barrier
	s_and_saveexec_b64 s[2:3], s[6:7]
	s_cbranch_execz .LBB150_354
; %bb.45:
	s_ashr_i32 s15, s14, 31
	s_sub_i32 s17, s12, s17
	s_lshl_b64 s[0:1], s[14:15], 1
	s_add_u32 s6, s28, s0
	s_addc_u32 s7, s29, s1
	s_abs_i32 s18, s18
	v_cvt_f32_u32_e32 v3, s18
	s_sub_i32 s0, 0, s18
	s_add_i32 s29, s16, -1
	v_and_b32_e32 v35, 24, v36
	v_rcp_iflag_f32_e32 v3, v3
	v_and_b32_e32 v2, 0x1f8, v36
	v_mov_b32_e32 v19, 0
	v_or_b32_e32 v4, 0x800, v2
	v_mul_f32_e32 v3, 0x4f7ffffe, v3
	v_cvt_u32_f32_e32 v3, v3
	v_or_b32_e32 v6, 0xa00, v2
	v_or_b32_e32 v8, 0xc00, v2
	;; [unrolled: 1-line block ×3, first 2 shown]
	v_mul_lo_u32 v5, s0, v3
	v_mul_hi_u32 v5, v3, v5
	s_lshl_b64 s[0:1], s[26:27], 2
	v_add_u32_e32 v36, v3, v5
	s_add_u32 s0, s24, s0
	v_lshlrev_b32_e32 v3, 5, v34
	v_and_b32_e32 v18, 60, v37
	s_addc_u32 s1, s25, s1
	v_lshl_or_b32 v3, v1, 7, v3
	s_mov_b32 s28, s13
	v_lshl_add_u64 v[20:21], s[0:1], 0, v[18:19]
	v_add_u32_e32 v37, 0x110, v3
	s_mov_b64 s[8:9], 0
	s_mov_b32 s24, 0x7f800000
	s_movk_i32 s25, 0x7fff
	v_lshlrev_b32_e32 v18, 1, v2
	v_lshlrev_b32_e32 v22, 1, v4
	;; [unrolled: 1-line block ×5, first 2 shown]
	v_mov_b32_e32 v16, v19
	v_mov_b32_e32 v17, v19
	;; [unrolled: 1-line block ×8, first 2 shown]
	s_branch .LBB150_48
.LBB150_46:                             ;   in Loop: Header=BB150_48 Depth=1
	s_or_b64 exec, exec, s[0:1]
	v_and_b32_e32 v53, 0xffff0000, v100
	v_and_b32_e32 v52, 0xffff0000, v98
	;; [unrolled: 1-line block ×8, first 2 shown]
	v_pk_add_f32 v[52:53], v[54:55], v[52:53]
	v_pk_add_f32 v[48:49], v[50:51], v[48:49]
	v_add_f32_e32 v27, v52, v53
	v_add_f32_e32 v27, v27, v48
	v_and_b32_e32 v53, 0xffff0000, v93
	v_and_b32_e32 v52, 0xffff0000, v91
	v_and_b32_e32 v55, 0xffff0000, v92
	v_and_b32_e32 v54, 0xffff0000, v25
	v_add_f32_e32 v27, v27, v49
	v_and_b32_e32 v49, 0xffff0000, v97
	v_and_b32_e32 v48, 0xffff0000, v95
	v_and_b32_e32 v51, 0xffff0000, v96
	v_and_b32_e32 v50, 0xffff0000, v94
	v_pk_add_f32 v[52:53], v[54:55], v[52:53]
	v_pk_add_f32 v[48:49], v[50:51], v[48:49]
	v_add_f32_e32 v25, v52, v53
	v_add_f32_e32 v25, v25, v48
	v_and_b32_e32 v53, 0xffff0000, v86
	v_and_b32_e32 v52, 0xffff0000, v84
	v_and_b32_e32 v55, 0xffff0000, v85
	v_and_b32_e32 v54, 0xffff0000, v23
	v_add_f32_e32 v25, v25, v49
	v_and_b32_e32 v49, 0xffff0000, v90
	v_and_b32_e32 v48, 0xffff0000, v88
	v_and_b32_e32 v51, 0xffff0000, v89
	v_and_b32_e32 v50, 0xffff0000, v87
	;; [unrolled: 13-line block ×3, first 2 shown]
	v_pk_add_f32 v[8:9], v[8:9], v[52:53]
	v_pk_add_f32 v[48:49], v[50:51], v[48:49]
	v_add_f32_e32 v8, v8, v9
	v_add_f32_e32 v8, v8, v48
	;; [unrolled: 1-line block ×3, first 2 shown]
	v_and_b32_e32 v51, 0xffff0000, v73
	v_and_b32_e32 v50, 0xffff0000, v71
	;; [unrolled: 1-line block ×4, first 2 shown]
	v_add_f32_e32 v15, v15, v8
	v_and_b32_e32 v9, 0xffff0000, v77
	v_and_b32_e32 v8, 0xffff0000, v75
	;; [unrolled: 1-line block ×4, first 2 shown]
	v_pk_add_f32 v[50:51], v[52:53], v[50:51]
	v_add_f32_e32 v12, v12, v23
	v_pk_add_f32 v[8:9], v[48:49], v[8:9]
	v_add_f32_e32 v23, v50, v51
	v_add_f32_e32 v8, v23, v8
	;; [unrolled: 1-line block ×3, first 2 shown]
	v_and_b32_e32 v51, 0xffff0000, v65
	v_and_b32_e32 v50, 0xffff0000, v56
	;; [unrolled: 1-line block ×4, first 2 shown]
	v_add_f32_e32 v14, v14, v8
	v_and_b32_e32 v9, 0xffff0000, v69
	v_and_b32_e32 v8, 0xffff0000, v67
	;; [unrolled: 1-line block ×4, first 2 shown]
	v_pk_add_f32 v[50:51], v[52:53], v[50:51]
	v_pk_add_f32 v[8:9], v[48:49], v[8:9]
	v_add_f32_e32 v23, v50, v51
	v_add_f32_e32 v8, v23, v8
	;; [unrolled: 1-line block ×4, first 2 shown]
	v_and_b32_e32 v9, 0xffff0000, v45
	v_and_b32_e32 v8, 0xffff0000, v43
	;; [unrolled: 1-line block ×8, first 2 shown]
	v_pk_add_f32 v[38:39], v[38:39], v[44:45]
	v_pk_add_f32 v[8:9], v[42:43], v[8:9]
	v_add_f32_e32 v23, v38, v39
	v_add_f32_e32 v8, v23, v8
	;; [unrolled: 1-line block ×3, first 2 shown]
	v_and_b32_e32 v7, 0xffff0000, v7
	v_and_b32_e32 v6, 0xffff0000, v6
	;; [unrolled: 1-line block ×4, first 2 shown]
	v_add_f32_e32 v16, v16, v8
	v_and_b32_e32 v9, 0xffff0000, v29
	v_and_b32_e32 v8, 0xffff0000, v46
	;; [unrolled: 1-line block ×4, first 2 shown]
	v_pk_add_f32 v[2:3], v[2:3], v[6:7]
	v_pk_add_f32 v[4:5], v[4:5], v[8:9]
	v_add_f32_e32 v2, v2, v3
	v_add_f32_e32 v2, v2, v4
	;; [unrolled: 1-line block ×6, first 2 shown]
.LBB150_47:                             ;   in Loop: Header=BB150_48 Depth=1
	s_or_b64 exec, exec, s[12:13]
	v_add_u32_e32 v1, 2, v1
	v_cmp_le_i32_e32 vcc, s16, v1
	v_lshl_add_u64 v[20:21], v[20:21], 0, 8
	v_add_u32_e32 v32, 64, v32
	s_or_b64 s[8:9], vcc, s[8:9]
	v_add_u32_e32 v37, 0x100, v37
	s_andn2_b64 exec, exec, s[8:9]
	s_cbranch_execz .LBB150_353
.LBB150_48:                             ; =>This Inner Loop Header: Depth=1
	v_mul_hi_u32 v2, v32, s40
	v_mul_lo_u32 v3, v2, s21
	v_sub_u32_e32 v3, v32, v3
	v_add_u32_e32 v4, 1, v2
	v_cmp_le_u32_e32 vcc, s21, v3
	s_nop 1
	v_cndmask_b32_e32 v2, v2, v4, vcc
	v_subrev_u32_e32 v4, s21, v3
	v_cndmask_b32_e32 v3, v3, v4, vcc
	v_add_u32_e32 v4, 1, v2
	v_cmp_le_u32_e32 vcc, s21, v3
	s_nop 1
	v_cndmask_b32_e32 v2, v2, v4, vcc
	v_xor_b32_e32 v2, s19, v2
	v_subrev_u32_e32 v2, s19, v2
	v_add_u32_e32 v3, s41, v2
	v_sub_u32_e32 v5, 0, v3
	v_ashrrev_i32_e32 v4, 31, v3
	v_max_i32_e32 v3, v3, v5
	v_mul_hi_u32 v5, v3, v36
	v_mul_lo_u32 v5, v5, s18
	v_sub_u32_e32 v3, v3, v5
	v_subrev_u32_e32 v5, s18, v3
	v_cmp_le_u32_e32 vcc, s18, v3
	v_cmp_lt_i32_e64 s[0:1], s17, v2
	s_nop 0
	v_cndmask_b32_e32 v3, v3, v5, vcc
	v_subrev_u32_e32 v5, s18, v3
	v_cmp_le_u32_e32 vcc, s18, v3
	s_nop 1
	v_cndmask_b32_e32 v3, v3, v5, vcc
	v_xor_b32_e32 v3, v3, v4
	v_sub_u32_e32 v3, v3, v4
	v_cmp_eq_u32_e32 vcc, 0, v3
	s_or_b64 s[0:1], vcc, s[0:1]
	s_and_saveexec_b64 s[12:13], s[0:1]
	s_cbranch_execz .LBB150_47
; %bb.49:                               ;   in Loop: Header=BB150_48 Depth=1
	global_load_dword v42, v[20:21], off
	ds_read2_b64 v[6:9], v37 offset1:1
	ds_read2_b64 v[2:5], v37 offset0:2 offset1:3
                                        ; implicit-def: $vgpr38
	s_waitcnt lgkmcnt(1)
	v_and_b32_e32 v23, 0x7f800000, v6
	v_cmp_ne_u32_e32 vcc, s24, v23
	s_and_saveexec_b64 s[0:1], vcc
	s_xor_b64 s[0:1], exec, s[0:1]
; %bb.50:                               ;   in Loop: Header=BB150_48 Depth=1
	v_bfe_u32 v23, v6, 16, 1
	v_add3_u32 v38, v6, v23, s25
; %bb.51:                               ;   in Loop: Header=BB150_48 Depth=1
	s_andn2_saveexec_b64 s[0:1], s[0:1]
; %bb.52:                               ;   in Loop: Header=BB150_48 Depth=1
	v_or_b32_e32 v23, 0x10000, v6
	v_cmp_eq_u32_sdwa vcc, v6, v19 src0_sel:WORD_0 src1_sel:DWORD
	s_nop 1
	v_cndmask_b32_e32 v38, v23, v6, vcc
; %bb.53:                               ;   in Loop: Header=BB150_48 Depth=1
	s_or_b64 exec, exec, s[0:1]
	v_and_b32_e32 v6, 0x7f800000, v7
	v_cmp_ne_u32_e32 vcc, s24, v6
                                        ; implicit-def: $vgpr39
	s_and_saveexec_b64 s[0:1], vcc
	s_xor_b64 s[0:1], exec, s[0:1]
; %bb.54:                               ;   in Loop: Header=BB150_48 Depth=1
	v_bfe_u32 v6, v7, 16, 1
	v_add3_u32 v39, v7, v6, s25
; %bb.55:                               ;   in Loop: Header=BB150_48 Depth=1
	s_andn2_saveexec_b64 s[0:1], s[0:1]
; %bb.56:                               ;   in Loop: Header=BB150_48 Depth=1
	v_or_b32_e32 v6, 0x10000, v7
	v_cmp_eq_u32_sdwa vcc, v7, v19 src0_sel:WORD_0 src1_sel:DWORD
	s_nop 1
	v_cndmask_b32_e32 v39, v6, v7, vcc
; %bb.57:                               ;   in Loop: Header=BB150_48 Depth=1
	s_or_b64 exec, exec, s[0:1]
	v_and_b32_e32 v6, 0x7f800000, v8
	v_cmp_ne_u32_e32 vcc, s24, v6
                                        ; implicit-def: $vgpr40
	s_and_saveexec_b64 s[0:1], vcc
	s_xor_b64 s[0:1], exec, s[0:1]
; %bb.58:                               ;   in Loop: Header=BB150_48 Depth=1
	v_bfe_u32 v6, v8, 16, 1
	v_add3_u32 v40, v8, v6, s25
; %bb.59:                               ;   in Loop: Header=BB150_48 Depth=1
	s_andn2_saveexec_b64 s[0:1], s[0:1]
; %bb.60:                               ;   in Loop: Header=BB150_48 Depth=1
	v_or_b32_e32 v6, 0x10000, v8
	v_cmp_eq_u32_sdwa vcc, v8, v19 src0_sel:WORD_0 src1_sel:DWORD
	s_nop 1
	v_cndmask_b32_e32 v40, v6, v8, vcc
; %bb.61:                               ;   in Loop: Header=BB150_48 Depth=1
	s_or_b64 exec, exec, s[0:1]
	v_and_b32_e32 v6, 0x7f800000, v9
	v_cmp_ne_u32_e32 vcc, s24, v6
                                        ; implicit-def: $vgpr41
	s_and_saveexec_b64 s[0:1], vcc
	s_xor_b64 s[0:1], exec, s[0:1]
; %bb.62:                               ;   in Loop: Header=BB150_48 Depth=1
	v_bfe_u32 v6, v9, 16, 1
	v_add3_u32 v41, v9, v6, s25
                                        ; implicit-def: $vgpr6_vgpr7_vgpr8_vgpr9
; %bb.63:                               ;   in Loop: Header=BB150_48 Depth=1
	s_andn2_saveexec_b64 s[0:1], s[0:1]
; %bb.64:                               ;   in Loop: Header=BB150_48 Depth=1
	v_or_b32_e32 v6, 0x10000, v9
	v_cmp_eq_u32_sdwa vcc, v9, v19 src0_sel:WORD_0 src1_sel:DWORD
	s_nop 1
	v_cndmask_b32_e32 v41, v6, v9, vcc
; %bb.65:                               ;   in Loop: Header=BB150_48 Depth=1
	s_or_b64 exec, exec, s[0:1]
	s_waitcnt lgkmcnt(0)
	v_and_b32_e32 v6, 0x7f800000, v2
	v_cmp_ne_u32_e32 vcc, s24, v6
                                        ; implicit-def: $vgpr29
	s_and_saveexec_b64 s[0:1], vcc
	s_xor_b64 s[0:1], exec, s[0:1]
; %bb.66:                               ;   in Loop: Header=BB150_48 Depth=1
	v_bfe_u32 v6, v2, 16, 1
	v_add3_u32 v29, v2, v6, s25
; %bb.67:                               ;   in Loop: Header=BB150_48 Depth=1
	s_andn2_saveexec_b64 s[0:1], s[0:1]
; %bb.68:                               ;   in Loop: Header=BB150_48 Depth=1
	v_or_b32_e32 v6, 0x10000, v2
	v_cmp_eq_u32_sdwa vcc, v2, v19 src0_sel:WORD_0 src1_sel:DWORD
	s_nop 1
	v_cndmask_b32_e32 v29, v6, v2, vcc
; %bb.69:                               ;   in Loop: Header=BB150_48 Depth=1
	s_or_b64 exec, exec, s[0:1]
	v_and_b32_e32 v2, 0x7f800000, v3
	v_cmp_ne_u32_e32 vcc, s24, v2
                                        ; implicit-def: $vgpr27
	s_and_saveexec_b64 s[0:1], vcc
	s_xor_b64 s[0:1], exec, s[0:1]
; %bb.70:                               ;   in Loop: Header=BB150_48 Depth=1
	v_bfe_u32 v2, v3, 16, 1
	v_add3_u32 v27, v3, v2, s25
; %bb.71:                               ;   in Loop: Header=BB150_48 Depth=1
	s_andn2_saveexec_b64 s[0:1], s[0:1]
; %bb.72:                               ;   in Loop: Header=BB150_48 Depth=1
	v_or_b32_e32 v2, 0x10000, v3
	v_cmp_eq_u32_sdwa vcc, v3, v19 src0_sel:WORD_0 src1_sel:DWORD
	s_nop 1
	v_cndmask_b32_e32 v27, v2, v3, vcc
; %bb.73:                               ;   in Loop: Header=BB150_48 Depth=1
	s_or_b64 exec, exec, s[0:1]
	v_and_b32_e32 v2, 0x7f800000, v4
	v_cmp_ne_u32_e32 vcc, s24, v2
                                        ; implicit-def: $vgpr25
	s_and_saveexec_b64 s[0:1], vcc
	s_xor_b64 s[0:1], exec, s[0:1]
; %bb.74:                               ;   in Loop: Header=BB150_48 Depth=1
	v_bfe_u32 v2, v4, 16, 1
	v_add3_u32 v25, v4, v2, s25
; %bb.75:                               ;   in Loop: Header=BB150_48 Depth=1
	s_andn2_saveexec_b64 s[0:1], s[0:1]
; %bb.76:                               ;   in Loop: Header=BB150_48 Depth=1
	v_or_b32_e32 v2, 0x10000, v4
	v_cmp_eq_u32_sdwa vcc, v4, v19 src0_sel:WORD_0 src1_sel:DWORD
	s_nop 1
	v_cndmask_b32_e32 v25, v2, v4, vcc
; %bb.77:                               ;   in Loop: Header=BB150_48 Depth=1
	s_or_b64 exec, exec, s[0:1]
	v_and_b32_e32 v2, 0x7f800000, v5
	v_cmp_ne_u32_e32 vcc, s24, v2
                                        ; implicit-def: $vgpr23
	s_and_saveexec_b64 s[0:1], vcc
	s_xor_b64 s[0:1], exec, s[0:1]
; %bb.78:                               ;   in Loop: Header=BB150_48 Depth=1
	v_bfe_u32 v2, v5, 16, 1
	v_add3_u32 v23, v5, v2, s25
                                        ; implicit-def: $vgpr2_vgpr3_vgpr4_vgpr5
; %bb.79:                               ;   in Loop: Header=BB150_48 Depth=1
	s_andn2_saveexec_b64 s[0:1], s[0:1]
; %bb.80:                               ;   in Loop: Header=BB150_48 Depth=1
	v_or_b32_e32 v2, 0x10000, v5
	v_cmp_eq_u32_sdwa vcc, v5, v19 src0_sel:WORD_0 src1_sel:DWORD
	s_nop 1
	v_cndmask_b32_e32 v23, v2, v5, vcc
; %bb.81:                               ;   in Loop: Header=BB150_48 Depth=1
	s_or_b64 exec, exec, s[0:1]
	s_waitcnt vmcnt(0)
	v_mad_i64_i32 v[2:3], s[0:1], v42, s28, 0
	v_lshl_add_u64 v[6:7], v[2:3], 1, s[6:7]
	v_lshl_add_u64 v[8:9], v[6:7], 0, v[18:19]
	global_load_dwordx4 v[2:5], v[8:9], off
	v_add_u32_e32 v46, v35, v32
	v_cmp_eq_u32_e32 vcc, s29, v1
	v_add_u32_e32 v54, 1, v46
	v_add_u32_e32 v53, 2, v46
	v_add_u32_e32 v51, 3, v46
	v_add_u32_e32 v50, 4, v46
	v_add_u32_e32 v49, 5, v46
	v_add_u32_e32 v48, 6, v46
	v_add_u32_e32 v52, 7, v46
	s_waitcnt vmcnt(0)
	v_lshrrev_b32_e32 v44, 16, v2
	v_lshrrev_b32_e32 v42, 16, v3
	;; [unrolled: 1-line block ×4, first 2 shown]
	s_and_saveexec_b64 s[14:15], vcc
	s_cbranch_execz .LBB150_83
; %bb.82:                               ;   in Loop: Header=BB150_48 Depth=1
	v_cmp_gt_i32_e64 s[0:1], s33, v46
	s_nop 1
	v_cndmask_b32_e64 v2, 0, v2, s[0:1]
	v_cmp_gt_i32_e64 s[0:1], s33, v54
	s_nop 1
	v_cndmask_b32_e64 v44, 0, v44, s[0:1]
	;; [unrolled: 3-line block ×8, first 2 shown]
.LBB150_83:                             ;   in Loop: Header=BB150_48 Depth=1
	s_or_b64 exec, exec, s[14:15]
	v_and_b32_e32 v55, 0xffff0000, v38
	v_lshlrev_b32_e32 v2, 16, v2
	v_mul_f32_e32 v2, v55, v2
	v_and_b32_e32 v38, 0x7f800000, v2
	v_cmp_ne_u32_e64 s[0:1], s24, v38
                                        ; implicit-def: $vgpr38
	s_and_saveexec_b64 s[14:15], s[0:1]
	s_xor_b64 s[0:1], exec, s[14:15]
; %bb.84:                               ;   in Loop: Header=BB150_48 Depth=1
	v_bfe_u32 v38, v2, 16, 1
	v_add3_u32 v38, v2, v38, s25
                                        ; implicit-def: $vgpr2
; %bb.85:                               ;   in Loop: Header=BB150_48 Depth=1
	s_andn2_saveexec_b64 s[14:15], s[0:1]
; %bb.86:                               ;   in Loop: Header=BB150_48 Depth=1
	v_or_b32_e32 v38, 0x10000, v2
	v_cmp_eq_u32_sdwa s[0:1], v2, v19 src0_sel:WORD_0 src1_sel:DWORD
	s_nop 1
	v_cndmask_b32_e64 v38, v38, v2, s[0:1]
; %bb.87:                               ;   in Loop: Header=BB150_48 Depth=1
	s_or_b64 exec, exec, s[14:15]
	v_and_b32_e32 v57, 0xffff0000, v39
	v_lshlrev_b32_e32 v2, 16, v44
	v_mul_f32_e32 v2, v57, v2
	v_and_b32_e32 v39, 0x7f800000, v2
	v_cmp_ne_u32_e64 s[0:1], s24, v39
                                        ; implicit-def: $vgpr39
	s_and_saveexec_b64 s[14:15], s[0:1]
	s_xor_b64 s[0:1], exec, s[14:15]
; %bb.88:                               ;   in Loop: Header=BB150_48 Depth=1
	v_bfe_u32 v39, v2, 16, 1
	v_add3_u32 v39, v2, v39, s25
                                        ; implicit-def: $vgpr2
; %bb.89:                               ;   in Loop: Header=BB150_48 Depth=1
	s_andn2_saveexec_b64 s[14:15], s[0:1]
; %bb.90:                               ;   in Loop: Header=BB150_48 Depth=1
	v_or_b32_e32 v39, 0x10000, v2
	v_cmp_eq_u32_sdwa s[0:1], v2, v19 src0_sel:WORD_0 src1_sel:DWORD
	s_nop 1
	v_cndmask_b32_e64 v39, v39, v2, s[0:1]
; %bb.91:                               ;   in Loop: Header=BB150_48 Depth=1
	s_or_b64 exec, exec, s[14:15]
	v_and_b32_e32 v58, 0xffff0000, v40
	v_lshlrev_b32_e32 v2, 16, v3
	v_mul_f32_e32 v2, v58, v2
	v_and_b32_e32 v3, 0x7f800000, v2
	v_cmp_ne_u32_e64 s[0:1], s24, v3
                                        ; implicit-def: $vgpr40
	s_and_saveexec_b64 s[14:15], s[0:1]
	s_xor_b64 s[0:1], exec, s[14:15]
; %bb.92:                               ;   in Loop: Header=BB150_48 Depth=1
	v_bfe_u32 v3, v2, 16, 1
	v_add3_u32 v40, v2, v3, s25
                                        ; implicit-def: $vgpr2
; %bb.93:                               ;   in Loop: Header=BB150_48 Depth=1
	s_andn2_saveexec_b64 s[14:15], s[0:1]
; %bb.94:                               ;   in Loop: Header=BB150_48 Depth=1
	v_or_b32_e32 v3, 0x10000, v2
	v_cmp_eq_u32_sdwa s[0:1], v2, v19 src0_sel:WORD_0 src1_sel:DWORD
	s_nop 1
	v_cndmask_b32_e64 v40, v3, v2, s[0:1]
; %bb.95:                               ;   in Loop: Header=BB150_48 Depth=1
	s_or_b64 exec, exec, s[14:15]
	v_and_b32_e32 v59, 0xffff0000, v41
	v_lshlrev_b32_e32 v2, 16, v42
	v_mul_f32_e32 v2, v59, v2
	v_and_b32_e32 v3, 0x7f800000, v2
	v_cmp_ne_u32_e64 s[0:1], s24, v3
                                        ; implicit-def: $vgpr41
	s_and_saveexec_b64 s[14:15], s[0:1]
	s_xor_b64 s[0:1], exec, s[14:15]
; %bb.96:                               ;   in Loop: Header=BB150_48 Depth=1
	v_bfe_u32 v3, v2, 16, 1
	v_add3_u32 v41, v2, v3, s25
                                        ; implicit-def: $vgpr2
; %bb.97:                               ;   in Loop: Header=BB150_48 Depth=1
	s_andn2_saveexec_b64 s[14:15], s[0:1]
; %bb.98:                               ;   in Loop: Header=BB150_48 Depth=1
	v_or_b32_e32 v3, 0x10000, v2
	v_cmp_eq_u32_sdwa s[0:1], v2, v19 src0_sel:WORD_0 src1_sel:DWORD
	s_nop 1
	v_cndmask_b32_e64 v41, v3, v2, s[0:1]
; %bb.99:                               ;   in Loop: Header=BB150_48 Depth=1
	s_or_b64 exec, exec, s[14:15]
	v_and_b32_e32 v60, 0xffff0000, v29
	v_lshlrev_b32_e32 v2, 16, v4
	v_mul_f32_e32 v2, v60, v2
	v_and_b32_e32 v3, 0x7f800000, v2
	v_cmp_ne_u32_e64 s[0:1], s24, v3
                                        ; implicit-def: $vgpr42
	s_and_saveexec_b64 s[14:15], s[0:1]
	s_xor_b64 s[0:1], exec, s[14:15]
; %bb.100:                              ;   in Loop: Header=BB150_48 Depth=1
	v_bfe_u32 v3, v2, 16, 1
	v_add3_u32 v42, v2, v3, s25
                                        ; implicit-def: $vgpr2
; %bb.101:                              ;   in Loop: Header=BB150_48 Depth=1
	s_andn2_saveexec_b64 s[14:15], s[0:1]
; %bb.102:                              ;   in Loop: Header=BB150_48 Depth=1
	v_or_b32_e32 v3, 0x10000, v2
	v_cmp_eq_u32_sdwa s[0:1], v2, v19 src0_sel:WORD_0 src1_sel:DWORD
	s_nop 1
	v_cndmask_b32_e64 v42, v3, v2, s[0:1]
; %bb.103:                              ;   in Loop: Header=BB150_48 Depth=1
	s_or_b64 exec, exec, s[14:15]
	v_and_b32_e32 v61, 0xffff0000, v27
	v_lshlrev_b32_e32 v2, 16, v43
	v_mul_f32_e32 v2, v61, v2
	v_and_b32_e32 v3, 0x7f800000, v2
	v_cmp_ne_u32_e64 s[0:1], s24, v3
                                        ; implicit-def: $vgpr43
	s_and_saveexec_b64 s[14:15], s[0:1]
	s_xor_b64 s[0:1], exec, s[14:15]
; %bb.104:                              ;   in Loop: Header=BB150_48 Depth=1
	v_bfe_u32 v3, v2, 16, 1
	v_add3_u32 v43, v2, v3, s25
                                        ; implicit-def: $vgpr2
; %bb.105:                              ;   in Loop: Header=BB150_48 Depth=1
	s_andn2_saveexec_b64 s[14:15], s[0:1]
; %bb.106:                              ;   in Loop: Header=BB150_48 Depth=1
	v_or_b32_e32 v3, 0x10000, v2
	v_cmp_eq_u32_sdwa s[0:1], v2, v19 src0_sel:WORD_0 src1_sel:DWORD
	s_nop 1
	v_cndmask_b32_e64 v43, v3, v2, s[0:1]
; %bb.107:                              ;   in Loop: Header=BB150_48 Depth=1
	s_or_b64 exec, exec, s[14:15]
	v_and_b32_e32 v62, 0xffff0000, v25
	v_lshlrev_b32_e32 v2, 16, v5
	v_mul_f32_e32 v2, v62, v2
	v_and_b32_e32 v3, 0x7f800000, v2
	v_cmp_ne_u32_e64 s[0:1], s24, v3
                                        ; implicit-def: $vgpr44
	s_and_saveexec_b64 s[14:15], s[0:1]
	s_xor_b64 s[0:1], exec, s[14:15]
; %bb.108:                              ;   in Loop: Header=BB150_48 Depth=1
	v_bfe_u32 v3, v2, 16, 1
	v_add3_u32 v44, v2, v3, s25
                                        ; implicit-def: $vgpr2
; %bb.109:                              ;   in Loop: Header=BB150_48 Depth=1
	s_andn2_saveexec_b64 s[14:15], s[0:1]
; %bb.110:                              ;   in Loop: Header=BB150_48 Depth=1
	v_or_b32_e32 v3, 0x10000, v2
	v_cmp_eq_u32_sdwa s[0:1], v2, v19 src0_sel:WORD_0 src1_sel:DWORD
	s_nop 1
	v_cndmask_b32_e64 v44, v3, v2, s[0:1]
; %bb.111:                              ;   in Loop: Header=BB150_48 Depth=1
	s_or_b64 exec, exec, s[14:15]
	v_and_b32_e32 v63, 0xffff0000, v23
	v_lshlrev_b32_e32 v2, 16, v45
	v_mul_f32_e32 v2, v63, v2
	v_and_b32_e32 v3, 0x7f800000, v2
	v_cmp_ne_u32_e64 s[0:1], s24, v3
                                        ; implicit-def: $vgpr45
	s_and_saveexec_b64 s[14:15], s[0:1]
	s_xor_b64 s[0:1], exec, s[14:15]
; %bb.112:                              ;   in Loop: Header=BB150_48 Depth=1
	v_bfe_u32 v3, v2, 16, 1
	v_add3_u32 v45, v2, v3, s25
                                        ; implicit-def: $vgpr2
; %bb.113:                              ;   in Loop: Header=BB150_48 Depth=1
	s_andn2_saveexec_b64 s[14:15], s[0:1]
; %bb.114:                              ;   in Loop: Header=BB150_48 Depth=1
	v_or_b32_e32 v3, 0x10000, v2
	v_cmp_eq_u32_sdwa s[0:1], v2, v19 src0_sel:WORD_0 src1_sel:DWORD
	s_nop 1
	v_cndmask_b32_e64 v45, v3, v2, s[0:1]
; %bb.115:                              ;   in Loop: Header=BB150_48 Depth=1
	s_or_b64 exec, exec, s[14:15]
	global_load_dwordx4 v[2:5], v[8:9], off offset:1024
	s_waitcnt vmcnt(0)
	v_lshrrev_b32_e32 v29, 16, v2
	v_lshrrev_b32_e32 v27, 16, v3
	;; [unrolled: 1-line block ×4, first 2 shown]
	s_and_saveexec_b64 s[14:15], vcc
	s_cbranch_execz .LBB150_117
; %bb.116:                              ;   in Loop: Header=BB150_48 Depth=1
	v_cmp_gt_i32_e64 s[0:1], s33, v46
	s_nop 1
	v_cndmask_b32_e64 v2, 0, v2, s[0:1]
	v_cmp_gt_i32_e64 s[0:1], s33, v54
	s_nop 1
	v_cndmask_b32_e64 v29, 0, v29, s[0:1]
	;; [unrolled: 3-line block ×8, first 2 shown]
.LBB150_117:                            ;   in Loop: Header=BB150_48 Depth=1
	s_or_b64 exec, exec, s[14:15]
	v_lshlrev_b32_e32 v2, 16, v2
	v_mul_f32_e32 v2, v55, v2
	v_and_b32_e32 v47, 0x7f800000, v2
	v_cmp_ne_u32_e64 s[0:1], s24, v47
                                        ; implicit-def: $vgpr47
	s_and_saveexec_b64 s[14:15], s[0:1]
	s_xor_b64 s[0:1], exec, s[14:15]
; %bb.118:                              ;   in Loop: Header=BB150_48 Depth=1
	v_bfe_u32 v47, v2, 16, 1
	v_add3_u32 v47, v2, v47, s25
                                        ; implicit-def: $vgpr2
; %bb.119:                              ;   in Loop: Header=BB150_48 Depth=1
	s_andn2_saveexec_b64 s[14:15], s[0:1]
; %bb.120:                              ;   in Loop: Header=BB150_48 Depth=1
	v_or_b32_e32 v47, 0x10000, v2
	v_cmp_eq_u32_sdwa s[0:1], v2, v19 src0_sel:WORD_0 src1_sel:DWORD
	s_nop 1
	v_cndmask_b32_e64 v47, v47, v2, s[0:1]
; %bb.121:                              ;   in Loop: Header=BB150_48 Depth=1
	s_or_b64 exec, exec, s[14:15]
	v_lshlrev_b32_e32 v2, 16, v29
	v_mul_f32_e32 v2, v57, v2
	v_and_b32_e32 v29, 0x7f800000, v2
	v_cmp_ne_u32_e64 s[0:1], s24, v29
                                        ; implicit-def: $vgpr56
	s_and_saveexec_b64 s[14:15], s[0:1]
	s_xor_b64 s[0:1], exec, s[14:15]
; %bb.122:                              ;   in Loop: Header=BB150_48 Depth=1
	v_bfe_u32 v29, v2, 16, 1
	v_add3_u32 v56, v2, v29, s25
                                        ; implicit-def: $vgpr2
; %bb.123:                              ;   in Loop: Header=BB150_48 Depth=1
	s_andn2_saveexec_b64 s[14:15], s[0:1]
; %bb.124:                              ;   in Loop: Header=BB150_48 Depth=1
	v_or_b32_e32 v29, 0x10000, v2
	v_cmp_eq_u32_sdwa s[0:1], v2, v19 src0_sel:WORD_0 src1_sel:DWORD
	s_nop 1
	v_cndmask_b32_e64 v56, v29, v2, s[0:1]
; %bb.125:                              ;   in Loop: Header=BB150_48 Depth=1
	s_or_b64 exec, exec, s[14:15]
	v_lshlrev_b32_e32 v2, 16, v3
	v_mul_f32_e32 v2, v58, v2
	v_and_b32_e32 v3, 0x7f800000, v2
	v_cmp_ne_u32_e64 s[0:1], s24, v3
                                        ; implicit-def: $vgpr64
	s_and_saveexec_b64 s[14:15], s[0:1]
	s_xor_b64 s[0:1], exec, s[14:15]
; %bb.126:                              ;   in Loop: Header=BB150_48 Depth=1
	v_bfe_u32 v3, v2, 16, 1
	v_add3_u32 v64, v2, v3, s25
                                        ; implicit-def: $vgpr2
; %bb.127:                              ;   in Loop: Header=BB150_48 Depth=1
	s_andn2_saveexec_b64 s[14:15], s[0:1]
; %bb.128:                              ;   in Loop: Header=BB150_48 Depth=1
	v_or_b32_e32 v3, 0x10000, v2
	v_cmp_eq_u32_sdwa s[0:1], v2, v19 src0_sel:WORD_0 src1_sel:DWORD
	s_nop 1
	v_cndmask_b32_e64 v64, v3, v2, s[0:1]
; %bb.129:                              ;   in Loop: Header=BB150_48 Depth=1
	s_or_b64 exec, exec, s[14:15]
	v_lshlrev_b32_e32 v2, 16, v27
	v_mul_f32_e32 v2, v59, v2
	v_and_b32_e32 v3, 0x7f800000, v2
	v_cmp_ne_u32_e64 s[0:1], s24, v3
                                        ; implicit-def: $vgpr65
	s_and_saveexec_b64 s[14:15], s[0:1]
	s_xor_b64 s[0:1], exec, s[14:15]
; %bb.130:                              ;   in Loop: Header=BB150_48 Depth=1
	v_bfe_u32 v3, v2, 16, 1
	v_add3_u32 v65, v2, v3, s25
                                        ; implicit-def: $vgpr2
; %bb.131:                              ;   in Loop: Header=BB150_48 Depth=1
	s_andn2_saveexec_b64 s[14:15], s[0:1]
; %bb.132:                              ;   in Loop: Header=BB150_48 Depth=1
	v_or_b32_e32 v3, 0x10000, v2
	v_cmp_eq_u32_sdwa s[0:1], v2, v19 src0_sel:WORD_0 src1_sel:DWORD
	s_nop 1
	v_cndmask_b32_e64 v65, v3, v2, s[0:1]
; %bb.133:                              ;   in Loop: Header=BB150_48 Depth=1
	s_or_b64 exec, exec, s[14:15]
	v_lshlrev_b32_e32 v2, 16, v4
	v_mul_f32_e32 v2, v60, v2
	v_and_b32_e32 v3, 0x7f800000, v2
	v_cmp_ne_u32_e64 s[0:1], s24, v3
                                        ; implicit-def: $vgpr66
	s_and_saveexec_b64 s[14:15], s[0:1]
	s_xor_b64 s[0:1], exec, s[14:15]
; %bb.134:                              ;   in Loop: Header=BB150_48 Depth=1
	v_bfe_u32 v3, v2, 16, 1
	v_add3_u32 v66, v2, v3, s25
                                        ; implicit-def: $vgpr2
; %bb.135:                              ;   in Loop: Header=BB150_48 Depth=1
	s_andn2_saveexec_b64 s[14:15], s[0:1]
; %bb.136:                              ;   in Loop: Header=BB150_48 Depth=1
	v_or_b32_e32 v3, 0x10000, v2
	v_cmp_eq_u32_sdwa s[0:1], v2, v19 src0_sel:WORD_0 src1_sel:DWORD
	s_nop 1
	v_cndmask_b32_e64 v66, v3, v2, s[0:1]
; %bb.137:                              ;   in Loop: Header=BB150_48 Depth=1
	s_or_b64 exec, exec, s[14:15]
	v_lshlrev_b32_e32 v2, 16, v25
	v_mul_f32_e32 v2, v61, v2
	v_and_b32_e32 v3, 0x7f800000, v2
	v_cmp_ne_u32_e64 s[0:1], s24, v3
                                        ; implicit-def: $vgpr67
	s_and_saveexec_b64 s[14:15], s[0:1]
	s_xor_b64 s[0:1], exec, s[14:15]
; %bb.138:                              ;   in Loop: Header=BB150_48 Depth=1
	v_bfe_u32 v3, v2, 16, 1
	v_add3_u32 v67, v2, v3, s25
                                        ; implicit-def: $vgpr2
; %bb.139:                              ;   in Loop: Header=BB150_48 Depth=1
	s_andn2_saveexec_b64 s[14:15], s[0:1]
; %bb.140:                              ;   in Loop: Header=BB150_48 Depth=1
	v_or_b32_e32 v3, 0x10000, v2
	v_cmp_eq_u32_sdwa s[0:1], v2, v19 src0_sel:WORD_0 src1_sel:DWORD
	s_nop 1
	v_cndmask_b32_e64 v67, v3, v2, s[0:1]
; %bb.141:                              ;   in Loop: Header=BB150_48 Depth=1
	s_or_b64 exec, exec, s[14:15]
	v_lshlrev_b32_e32 v2, 16, v5
	v_mul_f32_e32 v2, v62, v2
	v_and_b32_e32 v3, 0x7f800000, v2
	v_cmp_ne_u32_e64 s[0:1], s24, v3
                                        ; implicit-def: $vgpr68
	s_and_saveexec_b64 s[14:15], s[0:1]
	s_xor_b64 s[0:1], exec, s[14:15]
; %bb.142:                              ;   in Loop: Header=BB150_48 Depth=1
	v_bfe_u32 v3, v2, 16, 1
	v_add3_u32 v68, v2, v3, s25
                                        ; implicit-def: $vgpr2
; %bb.143:                              ;   in Loop: Header=BB150_48 Depth=1
	s_andn2_saveexec_b64 s[14:15], s[0:1]
; %bb.144:                              ;   in Loop: Header=BB150_48 Depth=1
	v_or_b32_e32 v3, 0x10000, v2
	v_cmp_eq_u32_sdwa s[0:1], v2, v19 src0_sel:WORD_0 src1_sel:DWORD
	s_nop 1
	v_cndmask_b32_e64 v68, v3, v2, s[0:1]
; %bb.145:                              ;   in Loop: Header=BB150_48 Depth=1
	s_or_b64 exec, exec, s[14:15]
	v_lshlrev_b32_e32 v2, 16, v23
	v_mul_f32_e32 v2, v63, v2
	v_and_b32_e32 v3, 0x7f800000, v2
	v_cmp_ne_u32_e64 s[0:1], s24, v3
                                        ; implicit-def: $vgpr69
	s_and_saveexec_b64 s[14:15], s[0:1]
	s_xor_b64 s[0:1], exec, s[14:15]
; %bb.146:                              ;   in Loop: Header=BB150_48 Depth=1
	v_bfe_u32 v3, v2, 16, 1
	v_add3_u32 v69, v2, v3, s25
                                        ; implicit-def: $vgpr2
; %bb.147:                              ;   in Loop: Header=BB150_48 Depth=1
	s_andn2_saveexec_b64 s[14:15], s[0:1]
; %bb.148:                              ;   in Loop: Header=BB150_48 Depth=1
	v_or_b32_e32 v3, 0x10000, v2
	v_cmp_eq_u32_sdwa s[0:1], v2, v19 src0_sel:WORD_0 src1_sel:DWORD
	s_nop 1
	v_cndmask_b32_e64 v69, v3, v2, s[0:1]
; %bb.149:                              ;   in Loop: Header=BB150_48 Depth=1
	s_or_b64 exec, exec, s[14:15]
	global_load_dwordx4 v[2:5], v[8:9], off offset:2048
	s_waitcnt vmcnt(0)
	v_lshrrev_b32_e32 v29, 16, v2
	v_lshrrev_b32_e32 v27, 16, v3
	;; [unrolled: 1-line block ×4, first 2 shown]
	s_and_saveexec_b64 s[14:15], vcc
	s_cbranch_execz .LBB150_151
; %bb.150:                              ;   in Loop: Header=BB150_48 Depth=1
	v_cmp_gt_i32_e64 s[0:1], s33, v46
	s_nop 1
	v_cndmask_b32_e64 v2, 0, v2, s[0:1]
	v_cmp_gt_i32_e64 s[0:1], s33, v54
	s_nop 1
	v_cndmask_b32_e64 v29, 0, v29, s[0:1]
	v_cmp_gt_i32_e64 s[0:1], s33, v53
	s_nop 1
	v_cndmask_b32_e64 v3, 0, v3, s[0:1]
	v_cmp_gt_i32_e64 s[0:1], s33, v51
	s_nop 1
	v_cndmask_b32_e64 v27, 0, v27, s[0:1]
	v_cmp_gt_i32_e64 s[0:1], s33, v50
	s_nop 1
	v_cndmask_b32_e64 v4, 0, v4, s[0:1]
	v_cmp_gt_i32_e64 s[0:1], s33, v49
	s_nop 1
	v_cndmask_b32_e64 v25, 0, v25, s[0:1]
	v_cmp_gt_i32_e64 s[0:1], s33, v48
	s_nop 1
	v_cndmask_b32_e64 v5, 0, v5, s[0:1]
	v_cmp_gt_i32_e64 s[0:1], s33, v52
	s_nop 1
	v_cndmask_b32_e64 v23, 0, v23, s[0:1]
.LBB150_151:                            ;   in Loop: Header=BB150_48 Depth=1
	s_or_b64 exec, exec, s[14:15]
	v_lshlrev_b32_e32 v2, 16, v2
	v_mul_f32_e32 v2, v55, v2
	v_and_b32_e32 v70, 0x7f800000, v2
	v_cmp_ne_u32_e64 s[0:1], s24, v70
                                        ; implicit-def: $vgpr70
	s_and_saveexec_b64 s[14:15], s[0:1]
	s_xor_b64 s[0:1], exec, s[14:15]
; %bb.152:                              ;   in Loop: Header=BB150_48 Depth=1
	v_bfe_u32 v70, v2, 16, 1
	v_add3_u32 v70, v2, v70, s25
                                        ; implicit-def: $vgpr2
; %bb.153:                              ;   in Loop: Header=BB150_48 Depth=1
	s_andn2_saveexec_b64 s[14:15], s[0:1]
; %bb.154:                              ;   in Loop: Header=BB150_48 Depth=1
	v_or_b32_e32 v70, 0x10000, v2
	v_cmp_eq_u32_sdwa s[0:1], v2, v19 src0_sel:WORD_0 src1_sel:DWORD
	s_nop 1
	v_cndmask_b32_e64 v70, v70, v2, s[0:1]
; %bb.155:                              ;   in Loop: Header=BB150_48 Depth=1
	s_or_b64 exec, exec, s[14:15]
	v_lshlrev_b32_e32 v2, 16, v29
	v_mul_f32_e32 v2, v57, v2
	v_and_b32_e32 v29, 0x7f800000, v2
	v_cmp_ne_u32_e64 s[0:1], s24, v29
                                        ; implicit-def: $vgpr71
	s_and_saveexec_b64 s[14:15], s[0:1]
	s_xor_b64 s[0:1], exec, s[14:15]
; %bb.156:                              ;   in Loop: Header=BB150_48 Depth=1
	v_bfe_u32 v29, v2, 16, 1
	v_add3_u32 v71, v2, v29, s25
                                        ; implicit-def: $vgpr2
; %bb.157:                              ;   in Loop: Header=BB150_48 Depth=1
	s_andn2_saveexec_b64 s[14:15], s[0:1]
; %bb.158:                              ;   in Loop: Header=BB150_48 Depth=1
	v_or_b32_e32 v29, 0x10000, v2
	v_cmp_eq_u32_sdwa s[0:1], v2, v19 src0_sel:WORD_0 src1_sel:DWORD
	s_nop 1
	v_cndmask_b32_e64 v71, v29, v2, s[0:1]
; %bb.159:                              ;   in Loop: Header=BB150_48 Depth=1
	s_or_b64 exec, exec, s[14:15]
	v_lshlrev_b32_e32 v2, 16, v3
	v_mul_f32_e32 v2, v58, v2
	v_and_b32_e32 v3, 0x7f800000, v2
	v_cmp_ne_u32_e64 s[0:1], s24, v3
                                        ; implicit-def: $vgpr72
	s_and_saveexec_b64 s[14:15], s[0:1]
	s_xor_b64 s[0:1], exec, s[14:15]
; %bb.160:                              ;   in Loop: Header=BB150_48 Depth=1
	v_bfe_u32 v3, v2, 16, 1
	v_add3_u32 v72, v2, v3, s25
                                        ; implicit-def: $vgpr2
; %bb.161:                              ;   in Loop: Header=BB150_48 Depth=1
	s_andn2_saveexec_b64 s[14:15], s[0:1]
; %bb.162:                              ;   in Loop: Header=BB150_48 Depth=1
	v_or_b32_e32 v3, 0x10000, v2
	v_cmp_eq_u32_sdwa s[0:1], v2, v19 src0_sel:WORD_0 src1_sel:DWORD
	s_nop 1
	v_cndmask_b32_e64 v72, v3, v2, s[0:1]
; %bb.163:                              ;   in Loop: Header=BB150_48 Depth=1
	s_or_b64 exec, exec, s[14:15]
	v_lshlrev_b32_e32 v2, 16, v27
	v_mul_f32_e32 v2, v59, v2
	v_and_b32_e32 v3, 0x7f800000, v2
	v_cmp_ne_u32_e64 s[0:1], s24, v3
                                        ; implicit-def: $vgpr73
	s_and_saveexec_b64 s[14:15], s[0:1]
	s_xor_b64 s[0:1], exec, s[14:15]
; %bb.164:                              ;   in Loop: Header=BB150_48 Depth=1
	v_bfe_u32 v3, v2, 16, 1
	v_add3_u32 v73, v2, v3, s25
                                        ; implicit-def: $vgpr2
; %bb.165:                              ;   in Loop: Header=BB150_48 Depth=1
	s_andn2_saveexec_b64 s[14:15], s[0:1]
; %bb.166:                              ;   in Loop: Header=BB150_48 Depth=1
	v_or_b32_e32 v3, 0x10000, v2
	v_cmp_eq_u32_sdwa s[0:1], v2, v19 src0_sel:WORD_0 src1_sel:DWORD
	s_nop 1
	v_cndmask_b32_e64 v73, v3, v2, s[0:1]
; %bb.167:                              ;   in Loop: Header=BB150_48 Depth=1
	s_or_b64 exec, exec, s[14:15]
	v_lshlrev_b32_e32 v2, 16, v4
	v_mul_f32_e32 v2, v60, v2
	v_and_b32_e32 v3, 0x7f800000, v2
	v_cmp_ne_u32_e64 s[0:1], s24, v3
                                        ; implicit-def: $vgpr74
	s_and_saveexec_b64 s[14:15], s[0:1]
	s_xor_b64 s[0:1], exec, s[14:15]
; %bb.168:                              ;   in Loop: Header=BB150_48 Depth=1
	v_bfe_u32 v3, v2, 16, 1
	v_add3_u32 v74, v2, v3, s25
                                        ; implicit-def: $vgpr2
; %bb.169:                              ;   in Loop: Header=BB150_48 Depth=1
	s_andn2_saveexec_b64 s[14:15], s[0:1]
; %bb.170:                              ;   in Loop: Header=BB150_48 Depth=1
	v_or_b32_e32 v3, 0x10000, v2
	v_cmp_eq_u32_sdwa s[0:1], v2, v19 src0_sel:WORD_0 src1_sel:DWORD
	s_nop 1
	v_cndmask_b32_e64 v74, v3, v2, s[0:1]
; %bb.171:                              ;   in Loop: Header=BB150_48 Depth=1
	s_or_b64 exec, exec, s[14:15]
	v_lshlrev_b32_e32 v2, 16, v25
	v_mul_f32_e32 v2, v61, v2
	v_and_b32_e32 v3, 0x7f800000, v2
	v_cmp_ne_u32_e64 s[0:1], s24, v3
                                        ; implicit-def: $vgpr75
	s_and_saveexec_b64 s[14:15], s[0:1]
	s_xor_b64 s[0:1], exec, s[14:15]
; %bb.172:                              ;   in Loop: Header=BB150_48 Depth=1
	v_bfe_u32 v3, v2, 16, 1
	v_add3_u32 v75, v2, v3, s25
                                        ; implicit-def: $vgpr2
; %bb.173:                              ;   in Loop: Header=BB150_48 Depth=1
	s_andn2_saveexec_b64 s[14:15], s[0:1]
; %bb.174:                              ;   in Loop: Header=BB150_48 Depth=1
	v_or_b32_e32 v3, 0x10000, v2
	v_cmp_eq_u32_sdwa s[0:1], v2, v19 src0_sel:WORD_0 src1_sel:DWORD
	s_nop 1
	v_cndmask_b32_e64 v75, v3, v2, s[0:1]
; %bb.175:                              ;   in Loop: Header=BB150_48 Depth=1
	s_or_b64 exec, exec, s[14:15]
	v_lshlrev_b32_e32 v2, 16, v5
	v_mul_f32_e32 v2, v62, v2
	v_and_b32_e32 v3, 0x7f800000, v2
	v_cmp_ne_u32_e64 s[0:1], s24, v3
                                        ; implicit-def: $vgpr76
	s_and_saveexec_b64 s[14:15], s[0:1]
	s_xor_b64 s[0:1], exec, s[14:15]
; %bb.176:                              ;   in Loop: Header=BB150_48 Depth=1
	v_bfe_u32 v3, v2, 16, 1
	v_add3_u32 v76, v2, v3, s25
                                        ; implicit-def: $vgpr2
; %bb.177:                              ;   in Loop: Header=BB150_48 Depth=1
	s_andn2_saveexec_b64 s[14:15], s[0:1]
; %bb.178:                              ;   in Loop: Header=BB150_48 Depth=1
	v_or_b32_e32 v3, 0x10000, v2
	v_cmp_eq_u32_sdwa s[0:1], v2, v19 src0_sel:WORD_0 src1_sel:DWORD
	s_nop 1
	v_cndmask_b32_e64 v76, v3, v2, s[0:1]
; %bb.179:                              ;   in Loop: Header=BB150_48 Depth=1
	s_or_b64 exec, exec, s[14:15]
	v_lshlrev_b32_e32 v2, 16, v23
	v_mul_f32_e32 v2, v63, v2
	v_and_b32_e32 v3, 0x7f800000, v2
	v_cmp_ne_u32_e64 s[0:1], s24, v3
                                        ; implicit-def: $vgpr77
	s_and_saveexec_b64 s[14:15], s[0:1]
	s_xor_b64 s[0:1], exec, s[14:15]
; %bb.180:                              ;   in Loop: Header=BB150_48 Depth=1
	v_bfe_u32 v3, v2, 16, 1
	v_add3_u32 v77, v2, v3, s25
                                        ; implicit-def: $vgpr2
; %bb.181:                              ;   in Loop: Header=BB150_48 Depth=1
	s_andn2_saveexec_b64 s[14:15], s[0:1]
; %bb.182:                              ;   in Loop: Header=BB150_48 Depth=1
	v_or_b32_e32 v3, 0x10000, v2
	v_cmp_eq_u32_sdwa s[0:1], v2, v19 src0_sel:WORD_0 src1_sel:DWORD
	s_nop 1
	v_cndmask_b32_e64 v77, v3, v2, s[0:1]
; %bb.183:                              ;   in Loop: Header=BB150_48 Depth=1
	s_or_b64 exec, exec, s[14:15]
	global_load_dwordx4 v[2:5], v[8:9], off offset:3072
	s_waitcnt vmcnt(0)
	v_lshrrev_b32_e32 v9, 16, v2
	v_lshrrev_b32_e32 v27, 16, v3
	;; [unrolled: 1-line block ×4, first 2 shown]
	s_and_saveexec_b64 s[14:15], vcc
	s_cbranch_execz .LBB150_185
; %bb.184:                              ;   in Loop: Header=BB150_48 Depth=1
	v_cmp_gt_i32_e64 s[0:1], s33, v46
	s_nop 1
	v_cndmask_b32_e64 v2, 0, v2, s[0:1]
	v_cmp_gt_i32_e64 s[0:1], s33, v54
	s_nop 1
	v_cndmask_b32_e64 v9, 0, v9, s[0:1]
	;; [unrolled: 3-line block ×8, first 2 shown]
.LBB150_185:                            ;   in Loop: Header=BB150_48 Depth=1
	s_or_b64 exec, exec, s[14:15]
	v_lshlrev_b32_e32 v2, 16, v2
	v_mul_f32_e32 v2, v55, v2
	v_and_b32_e32 v8, 0x7f800000, v2
	v_cmp_ne_u32_e64 s[0:1], s24, v8
                                        ; implicit-def: $vgpr8
	s_and_saveexec_b64 s[14:15], s[0:1]
	s_xor_b64 s[0:1], exec, s[14:15]
; %bb.186:                              ;   in Loop: Header=BB150_48 Depth=1
	v_bfe_u32 v8, v2, 16, 1
	v_add3_u32 v8, v2, v8, s25
                                        ; implicit-def: $vgpr2
; %bb.187:                              ;   in Loop: Header=BB150_48 Depth=1
	s_andn2_saveexec_b64 s[14:15], s[0:1]
; %bb.188:                              ;   in Loop: Header=BB150_48 Depth=1
	v_or_b32_e32 v8, 0x10000, v2
	v_cmp_eq_u32_sdwa s[0:1], v2, v19 src0_sel:WORD_0 src1_sel:DWORD
	s_nop 1
	v_cndmask_b32_e64 v8, v8, v2, s[0:1]
; %bb.189:                              ;   in Loop: Header=BB150_48 Depth=1
	s_or_b64 exec, exec, s[14:15]
	v_lshlrev_b32_e32 v2, 16, v9
	v_mul_f32_e32 v2, v57, v2
	v_and_b32_e32 v9, 0x7f800000, v2
	v_cmp_ne_u32_e64 s[0:1], s24, v9
                                        ; implicit-def: $vgpr9
	s_and_saveexec_b64 s[14:15], s[0:1]
	s_xor_b64 s[0:1], exec, s[14:15]
; %bb.190:                              ;   in Loop: Header=BB150_48 Depth=1
	v_bfe_u32 v9, v2, 16, 1
	v_add3_u32 v9, v2, v9, s25
                                        ; implicit-def: $vgpr2
; %bb.191:                              ;   in Loop: Header=BB150_48 Depth=1
	s_andn2_saveexec_b64 s[14:15], s[0:1]
; %bb.192:                              ;   in Loop: Header=BB150_48 Depth=1
	v_or_b32_e32 v9, 0x10000, v2
	v_cmp_eq_u32_sdwa s[0:1], v2, v19 src0_sel:WORD_0 src1_sel:DWORD
	s_nop 1
	v_cndmask_b32_e64 v9, v9, v2, s[0:1]
; %bb.193:                              ;   in Loop: Header=BB150_48 Depth=1
	s_or_b64 exec, exec, s[14:15]
	v_lshlrev_b32_e32 v2, 16, v3
	v_mul_f32_e32 v2, v58, v2
	v_and_b32_e32 v3, 0x7f800000, v2
	v_cmp_ne_u32_e64 s[0:1], s24, v3
                                        ; implicit-def: $vgpr78
	s_and_saveexec_b64 s[14:15], s[0:1]
	s_xor_b64 s[0:1], exec, s[14:15]
; %bb.194:                              ;   in Loop: Header=BB150_48 Depth=1
	v_bfe_u32 v3, v2, 16, 1
	v_add3_u32 v78, v2, v3, s25
                                        ; implicit-def: $vgpr2
; %bb.195:                              ;   in Loop: Header=BB150_48 Depth=1
	s_andn2_saveexec_b64 s[14:15], s[0:1]
; %bb.196:                              ;   in Loop: Header=BB150_48 Depth=1
	v_or_b32_e32 v3, 0x10000, v2
	v_cmp_eq_u32_sdwa s[0:1], v2, v19 src0_sel:WORD_0 src1_sel:DWORD
	s_nop 1
	v_cndmask_b32_e64 v78, v3, v2, s[0:1]
; %bb.197:                              ;   in Loop: Header=BB150_48 Depth=1
	s_or_b64 exec, exec, s[14:15]
	v_lshlrev_b32_e32 v2, 16, v27
	v_mul_f32_e32 v2, v59, v2
	v_and_b32_e32 v3, 0x7f800000, v2
	v_cmp_ne_u32_e64 s[0:1], s24, v3
                                        ; implicit-def: $vgpr79
	s_and_saveexec_b64 s[14:15], s[0:1]
	s_xor_b64 s[0:1], exec, s[14:15]
; %bb.198:                              ;   in Loop: Header=BB150_48 Depth=1
	v_bfe_u32 v3, v2, 16, 1
	v_add3_u32 v79, v2, v3, s25
                                        ; implicit-def: $vgpr2
; %bb.199:                              ;   in Loop: Header=BB150_48 Depth=1
	s_andn2_saveexec_b64 s[14:15], s[0:1]
; %bb.200:                              ;   in Loop: Header=BB150_48 Depth=1
	v_or_b32_e32 v3, 0x10000, v2
	v_cmp_eq_u32_sdwa s[0:1], v2, v19 src0_sel:WORD_0 src1_sel:DWORD
	s_nop 1
	v_cndmask_b32_e64 v79, v3, v2, s[0:1]
; %bb.201:                              ;   in Loop: Header=BB150_48 Depth=1
	s_or_b64 exec, exec, s[14:15]
	v_lshlrev_b32_e32 v2, 16, v4
	v_mul_f32_e32 v2, v60, v2
	v_and_b32_e32 v3, 0x7f800000, v2
	v_cmp_ne_u32_e64 s[0:1], s24, v3
                                        ; implicit-def: $vgpr80
	s_and_saveexec_b64 s[14:15], s[0:1]
	s_xor_b64 s[0:1], exec, s[14:15]
; %bb.202:                              ;   in Loop: Header=BB150_48 Depth=1
	v_bfe_u32 v3, v2, 16, 1
	v_add3_u32 v80, v2, v3, s25
                                        ; implicit-def: $vgpr2
; %bb.203:                              ;   in Loop: Header=BB150_48 Depth=1
	s_andn2_saveexec_b64 s[14:15], s[0:1]
; %bb.204:                              ;   in Loop: Header=BB150_48 Depth=1
	v_or_b32_e32 v3, 0x10000, v2
	v_cmp_eq_u32_sdwa s[0:1], v2, v19 src0_sel:WORD_0 src1_sel:DWORD
	s_nop 1
	v_cndmask_b32_e64 v80, v3, v2, s[0:1]
; %bb.205:                              ;   in Loop: Header=BB150_48 Depth=1
	s_or_b64 exec, exec, s[14:15]
	v_lshlrev_b32_e32 v2, 16, v25
	v_mul_f32_e32 v2, v61, v2
	v_and_b32_e32 v3, 0x7f800000, v2
	v_cmp_ne_u32_e64 s[0:1], s24, v3
                                        ; implicit-def: $vgpr81
	s_and_saveexec_b64 s[14:15], s[0:1]
	s_xor_b64 s[0:1], exec, s[14:15]
; %bb.206:                              ;   in Loop: Header=BB150_48 Depth=1
	v_bfe_u32 v3, v2, 16, 1
	v_add3_u32 v81, v2, v3, s25
                                        ; implicit-def: $vgpr2
; %bb.207:                              ;   in Loop: Header=BB150_48 Depth=1
	s_andn2_saveexec_b64 s[14:15], s[0:1]
; %bb.208:                              ;   in Loop: Header=BB150_48 Depth=1
	v_or_b32_e32 v3, 0x10000, v2
	v_cmp_eq_u32_sdwa s[0:1], v2, v19 src0_sel:WORD_0 src1_sel:DWORD
	s_nop 1
	v_cndmask_b32_e64 v81, v3, v2, s[0:1]
; %bb.209:                              ;   in Loop: Header=BB150_48 Depth=1
	s_or_b64 exec, exec, s[14:15]
	v_lshlrev_b32_e32 v2, 16, v5
	v_mul_f32_e32 v2, v62, v2
	v_and_b32_e32 v3, 0x7f800000, v2
	v_cmp_ne_u32_e64 s[0:1], s24, v3
                                        ; implicit-def: $vgpr82
	s_and_saveexec_b64 s[14:15], s[0:1]
	s_xor_b64 s[0:1], exec, s[14:15]
; %bb.210:                              ;   in Loop: Header=BB150_48 Depth=1
	v_bfe_u32 v3, v2, 16, 1
	v_add3_u32 v82, v2, v3, s25
                                        ; implicit-def: $vgpr2
; %bb.211:                              ;   in Loop: Header=BB150_48 Depth=1
	s_andn2_saveexec_b64 s[14:15], s[0:1]
; %bb.212:                              ;   in Loop: Header=BB150_48 Depth=1
	v_or_b32_e32 v3, 0x10000, v2
	v_cmp_eq_u32_sdwa s[0:1], v2, v19 src0_sel:WORD_0 src1_sel:DWORD
	s_nop 1
	v_cndmask_b32_e64 v82, v3, v2, s[0:1]
; %bb.213:                              ;   in Loop: Header=BB150_48 Depth=1
	s_or_b64 exec, exec, s[14:15]
	v_lshlrev_b32_e32 v2, 16, v23
	v_mul_f32_e32 v2, v63, v2
	v_and_b32_e32 v3, 0x7f800000, v2
	v_cmp_ne_u32_e64 s[0:1], s24, v3
                                        ; implicit-def: $vgpr83
	s_and_saveexec_b64 s[14:15], s[0:1]
	s_xor_b64 s[0:1], exec, s[14:15]
; %bb.214:                              ;   in Loop: Header=BB150_48 Depth=1
	v_bfe_u32 v3, v2, 16, 1
	v_add3_u32 v83, v2, v3, s25
                                        ; implicit-def: $vgpr2
; %bb.215:                              ;   in Loop: Header=BB150_48 Depth=1
	s_andn2_saveexec_b64 s[14:15], s[0:1]
; %bb.216:                              ;   in Loop: Header=BB150_48 Depth=1
	v_or_b32_e32 v3, 0x10000, v2
	v_cmp_eq_u32_sdwa s[0:1], v2, v19 src0_sel:WORD_0 src1_sel:DWORD
	s_nop 1
	v_cndmask_b32_e64 v83, v3, v2, s[0:1]
; %bb.217:                              ;   in Loop: Header=BB150_48 Depth=1
	s_or_b64 exec, exec, s[14:15]
	v_mov_b32_e32 v23, v19
	v_lshl_add_u64 v[2:3], v[6:7], 0, v[22:23]
	global_load_dwordx4 v[2:5], v[2:3], off
	s_waitcnt vmcnt(0)
	v_lshrrev_b32_e32 v84, 16, v2
	v_lshrrev_b32_e32 v29, 16, v3
	;; [unrolled: 1-line block ×4, first 2 shown]
	s_and_saveexec_b64 s[14:15], vcc
	s_cbranch_execz .LBB150_219
; %bb.218:                              ;   in Loop: Header=BB150_48 Depth=1
	v_cmp_gt_i32_e64 s[0:1], s33, v46
	s_nop 1
	v_cndmask_b32_e64 v2, 0, v2, s[0:1]
	v_cmp_gt_i32_e64 s[0:1], s33, v54
	s_nop 1
	v_cndmask_b32_e64 v84, 0, v84, s[0:1]
	;; [unrolled: 3-line block ×8, first 2 shown]
.LBB150_219:                            ;   in Loop: Header=BB150_48 Depth=1
	s_or_b64 exec, exec, s[14:15]
	v_lshlrev_b32_e32 v2, 16, v2
	v_mul_f32_e32 v2, v55, v2
	v_and_b32_e32 v23, 0x7f800000, v2
	v_cmp_ne_u32_e64 s[0:1], s24, v23
                                        ; implicit-def: $vgpr23
	s_and_saveexec_b64 s[14:15], s[0:1]
	s_xor_b64 s[0:1], exec, s[14:15]
; %bb.220:                              ;   in Loop: Header=BB150_48 Depth=1
	v_bfe_u32 v23, v2, 16, 1
	v_add3_u32 v23, v2, v23, s25
                                        ; implicit-def: $vgpr2
; %bb.221:                              ;   in Loop: Header=BB150_48 Depth=1
	s_andn2_saveexec_b64 s[14:15], s[0:1]
; %bb.222:                              ;   in Loop: Header=BB150_48 Depth=1
	v_or_b32_e32 v23, 0x10000, v2
	v_cmp_eq_u32_sdwa s[0:1], v2, v19 src0_sel:WORD_0 src1_sel:DWORD
	s_nop 1
	v_cndmask_b32_e64 v23, v23, v2, s[0:1]
; %bb.223:                              ;   in Loop: Header=BB150_48 Depth=1
	s_or_b64 exec, exec, s[14:15]
	v_lshlrev_b32_e32 v2, 16, v84
	v_mul_f32_e32 v2, v57, v2
	v_and_b32_e32 v84, 0x7f800000, v2
	v_cmp_ne_u32_e64 s[0:1], s24, v84
                                        ; implicit-def: $vgpr84
	s_and_saveexec_b64 s[14:15], s[0:1]
	s_xor_b64 s[0:1], exec, s[14:15]
; %bb.224:                              ;   in Loop: Header=BB150_48 Depth=1
	v_bfe_u32 v84, v2, 16, 1
	v_add3_u32 v84, v2, v84, s25
                                        ; implicit-def: $vgpr2
; %bb.225:                              ;   in Loop: Header=BB150_48 Depth=1
	s_andn2_saveexec_b64 s[14:15], s[0:1]
; %bb.226:                              ;   in Loop: Header=BB150_48 Depth=1
	v_or_b32_e32 v84, 0x10000, v2
	v_cmp_eq_u32_sdwa s[0:1], v2, v19 src0_sel:WORD_0 src1_sel:DWORD
	s_nop 1
	v_cndmask_b32_e64 v84, v84, v2, s[0:1]
; %bb.227:                              ;   in Loop: Header=BB150_48 Depth=1
	s_or_b64 exec, exec, s[14:15]
	v_lshlrev_b32_e32 v2, 16, v3
	v_mul_f32_e32 v2, v58, v2
	v_and_b32_e32 v3, 0x7f800000, v2
	v_cmp_ne_u32_e64 s[0:1], s24, v3
                                        ; implicit-def: $vgpr85
	s_and_saveexec_b64 s[14:15], s[0:1]
	s_xor_b64 s[0:1], exec, s[14:15]
; %bb.228:                              ;   in Loop: Header=BB150_48 Depth=1
	v_bfe_u32 v3, v2, 16, 1
	v_add3_u32 v85, v2, v3, s25
                                        ; implicit-def: $vgpr2
; %bb.229:                              ;   in Loop: Header=BB150_48 Depth=1
	s_andn2_saveexec_b64 s[14:15], s[0:1]
; %bb.230:                              ;   in Loop: Header=BB150_48 Depth=1
	v_or_b32_e32 v3, 0x10000, v2
	v_cmp_eq_u32_sdwa s[0:1], v2, v19 src0_sel:WORD_0 src1_sel:DWORD
	s_nop 1
	v_cndmask_b32_e64 v85, v3, v2, s[0:1]
; %bb.231:                              ;   in Loop: Header=BB150_48 Depth=1
	s_or_b64 exec, exec, s[14:15]
	v_lshlrev_b32_e32 v2, 16, v29
	v_mul_f32_e32 v2, v59, v2
	v_and_b32_e32 v3, 0x7f800000, v2
	v_cmp_ne_u32_e64 s[0:1], s24, v3
                                        ; implicit-def: $vgpr86
	s_and_saveexec_b64 s[14:15], s[0:1]
	s_xor_b64 s[0:1], exec, s[14:15]
; %bb.232:                              ;   in Loop: Header=BB150_48 Depth=1
	v_bfe_u32 v3, v2, 16, 1
	v_add3_u32 v86, v2, v3, s25
                                        ; implicit-def: $vgpr2
; %bb.233:                              ;   in Loop: Header=BB150_48 Depth=1
	s_andn2_saveexec_b64 s[14:15], s[0:1]
; %bb.234:                              ;   in Loop: Header=BB150_48 Depth=1
	v_or_b32_e32 v3, 0x10000, v2
	v_cmp_eq_u32_sdwa s[0:1], v2, v19 src0_sel:WORD_0 src1_sel:DWORD
	s_nop 1
	v_cndmask_b32_e64 v86, v3, v2, s[0:1]
; %bb.235:                              ;   in Loop: Header=BB150_48 Depth=1
	s_or_b64 exec, exec, s[14:15]
	v_lshlrev_b32_e32 v2, 16, v4
	v_mul_f32_e32 v2, v60, v2
	v_and_b32_e32 v3, 0x7f800000, v2
	v_cmp_ne_u32_e64 s[0:1], s24, v3
                                        ; implicit-def: $vgpr87
	s_and_saveexec_b64 s[14:15], s[0:1]
	s_xor_b64 s[0:1], exec, s[14:15]
; %bb.236:                              ;   in Loop: Header=BB150_48 Depth=1
	v_bfe_u32 v3, v2, 16, 1
	v_add3_u32 v87, v2, v3, s25
                                        ; implicit-def: $vgpr2
; %bb.237:                              ;   in Loop: Header=BB150_48 Depth=1
	s_andn2_saveexec_b64 s[14:15], s[0:1]
; %bb.238:                              ;   in Loop: Header=BB150_48 Depth=1
	v_or_b32_e32 v3, 0x10000, v2
	v_cmp_eq_u32_sdwa s[0:1], v2, v19 src0_sel:WORD_0 src1_sel:DWORD
	s_nop 1
	v_cndmask_b32_e64 v87, v3, v2, s[0:1]
; %bb.239:                              ;   in Loop: Header=BB150_48 Depth=1
	s_or_b64 exec, exec, s[14:15]
	v_lshlrev_b32_e32 v2, 16, v27
	v_mul_f32_e32 v2, v61, v2
	v_and_b32_e32 v3, 0x7f800000, v2
	v_cmp_ne_u32_e64 s[0:1], s24, v3
                                        ; implicit-def: $vgpr88
	s_and_saveexec_b64 s[14:15], s[0:1]
	s_xor_b64 s[0:1], exec, s[14:15]
; %bb.240:                              ;   in Loop: Header=BB150_48 Depth=1
	v_bfe_u32 v3, v2, 16, 1
	v_add3_u32 v88, v2, v3, s25
                                        ; implicit-def: $vgpr2
; %bb.241:                              ;   in Loop: Header=BB150_48 Depth=1
	s_andn2_saveexec_b64 s[14:15], s[0:1]
; %bb.242:                              ;   in Loop: Header=BB150_48 Depth=1
	v_or_b32_e32 v3, 0x10000, v2
	v_cmp_eq_u32_sdwa s[0:1], v2, v19 src0_sel:WORD_0 src1_sel:DWORD
	s_nop 1
	v_cndmask_b32_e64 v88, v3, v2, s[0:1]
; %bb.243:                              ;   in Loop: Header=BB150_48 Depth=1
	s_or_b64 exec, exec, s[14:15]
	v_lshlrev_b32_e32 v2, 16, v5
	v_mul_f32_e32 v2, v62, v2
	v_and_b32_e32 v3, 0x7f800000, v2
	v_cmp_ne_u32_e64 s[0:1], s24, v3
                                        ; implicit-def: $vgpr89
	s_and_saveexec_b64 s[14:15], s[0:1]
	s_xor_b64 s[0:1], exec, s[14:15]
; %bb.244:                              ;   in Loop: Header=BB150_48 Depth=1
	v_bfe_u32 v3, v2, 16, 1
	v_add3_u32 v89, v2, v3, s25
                                        ; implicit-def: $vgpr2
; %bb.245:                              ;   in Loop: Header=BB150_48 Depth=1
	s_andn2_saveexec_b64 s[14:15], s[0:1]
; %bb.246:                              ;   in Loop: Header=BB150_48 Depth=1
	v_or_b32_e32 v3, 0x10000, v2
	v_cmp_eq_u32_sdwa s[0:1], v2, v19 src0_sel:WORD_0 src1_sel:DWORD
	s_nop 1
	v_cndmask_b32_e64 v89, v3, v2, s[0:1]
; %bb.247:                              ;   in Loop: Header=BB150_48 Depth=1
	s_or_b64 exec, exec, s[14:15]
	v_lshlrev_b32_e32 v2, 16, v25
	v_mul_f32_e32 v2, v63, v2
	v_and_b32_e32 v3, 0x7f800000, v2
	v_cmp_ne_u32_e64 s[0:1], s24, v3
                                        ; implicit-def: $vgpr90
	s_and_saveexec_b64 s[14:15], s[0:1]
	s_xor_b64 s[0:1], exec, s[14:15]
; %bb.248:                              ;   in Loop: Header=BB150_48 Depth=1
	v_bfe_u32 v3, v2, 16, 1
	v_add3_u32 v90, v2, v3, s25
                                        ; implicit-def: $vgpr2
; %bb.249:                              ;   in Loop: Header=BB150_48 Depth=1
	s_andn2_saveexec_b64 s[14:15], s[0:1]
; %bb.250:                              ;   in Loop: Header=BB150_48 Depth=1
	v_or_b32_e32 v3, 0x10000, v2
	v_cmp_eq_u32_sdwa s[0:1], v2, v19 src0_sel:WORD_0 src1_sel:DWORD
	s_nop 1
	v_cndmask_b32_e64 v90, v3, v2, s[0:1]
; %bb.251:                              ;   in Loop: Header=BB150_48 Depth=1
	s_or_b64 exec, exec, s[14:15]
	v_mov_b32_e32 v25, v19
	v_lshl_add_u64 v[2:3], v[6:7], 0, v[24:25]
	global_load_dwordx4 v[2:5], v[2:3], off
	s_waitcnt vmcnt(0)
	v_lshrrev_b32_e32 v91, 16, v2
	v_lshrrev_b32_e32 v93, 16, v3
	;; [unrolled: 1-line block ×4, first 2 shown]
	s_and_saveexec_b64 s[14:15], vcc
	s_cbranch_execz .LBB150_253
; %bb.252:                              ;   in Loop: Header=BB150_48 Depth=1
	v_cmp_gt_i32_e64 s[0:1], s33, v46
	s_nop 1
	v_cndmask_b32_e64 v2, 0, v2, s[0:1]
	v_cmp_gt_i32_e64 s[0:1], s33, v54
	s_nop 1
	v_cndmask_b32_e64 v91, 0, v91, s[0:1]
	;; [unrolled: 3-line block ×8, first 2 shown]
.LBB150_253:                            ;   in Loop: Header=BB150_48 Depth=1
	s_or_b64 exec, exec, s[14:15]
	v_lshlrev_b32_e32 v2, 16, v2
	v_mul_f32_e32 v2, v55, v2
	v_and_b32_e32 v25, 0x7f800000, v2
	v_cmp_ne_u32_e64 s[0:1], s24, v25
                                        ; implicit-def: $vgpr25
	s_and_saveexec_b64 s[14:15], s[0:1]
	s_xor_b64 s[0:1], exec, s[14:15]
; %bb.254:                              ;   in Loop: Header=BB150_48 Depth=1
	v_bfe_u32 v25, v2, 16, 1
	v_add3_u32 v25, v2, v25, s25
                                        ; implicit-def: $vgpr2
; %bb.255:                              ;   in Loop: Header=BB150_48 Depth=1
	s_andn2_saveexec_b64 s[14:15], s[0:1]
; %bb.256:                              ;   in Loop: Header=BB150_48 Depth=1
	v_or_b32_e32 v25, 0x10000, v2
	v_cmp_eq_u32_sdwa s[0:1], v2, v19 src0_sel:WORD_0 src1_sel:DWORD
	s_nop 1
	v_cndmask_b32_e64 v25, v25, v2, s[0:1]
; %bb.257:                              ;   in Loop: Header=BB150_48 Depth=1
	s_or_b64 exec, exec, s[14:15]
	v_lshlrev_b32_e32 v2, 16, v91
	v_mul_f32_e32 v2, v57, v2
	v_and_b32_e32 v91, 0x7f800000, v2
	v_cmp_ne_u32_e64 s[0:1], s24, v91
                                        ; implicit-def: $vgpr91
	s_and_saveexec_b64 s[14:15], s[0:1]
	s_xor_b64 s[0:1], exec, s[14:15]
; %bb.258:                              ;   in Loop: Header=BB150_48 Depth=1
	v_bfe_u32 v91, v2, 16, 1
	v_add3_u32 v91, v2, v91, s25
                                        ; implicit-def: $vgpr2
; %bb.259:                              ;   in Loop: Header=BB150_48 Depth=1
	s_andn2_saveexec_b64 s[14:15], s[0:1]
; %bb.260:                              ;   in Loop: Header=BB150_48 Depth=1
	v_or_b32_e32 v91, 0x10000, v2
	v_cmp_eq_u32_sdwa s[0:1], v2, v19 src0_sel:WORD_0 src1_sel:DWORD
	s_nop 1
	v_cndmask_b32_e64 v91, v91, v2, s[0:1]
; %bb.261:                              ;   in Loop: Header=BB150_48 Depth=1
	s_or_b64 exec, exec, s[14:15]
	v_lshlrev_b32_e32 v2, 16, v3
	v_mul_f32_e32 v2, v58, v2
	v_and_b32_e32 v3, 0x7f800000, v2
	v_cmp_ne_u32_e64 s[0:1], s24, v3
                                        ; implicit-def: $vgpr92
	s_and_saveexec_b64 s[14:15], s[0:1]
	s_xor_b64 s[0:1], exec, s[14:15]
; %bb.262:                              ;   in Loop: Header=BB150_48 Depth=1
	v_bfe_u32 v3, v2, 16, 1
	v_add3_u32 v92, v2, v3, s25
                                        ; implicit-def: $vgpr2
; %bb.263:                              ;   in Loop: Header=BB150_48 Depth=1
	s_andn2_saveexec_b64 s[14:15], s[0:1]
; %bb.264:                              ;   in Loop: Header=BB150_48 Depth=1
	v_or_b32_e32 v3, 0x10000, v2
	v_cmp_eq_u32_sdwa s[0:1], v2, v19 src0_sel:WORD_0 src1_sel:DWORD
	s_nop 1
	v_cndmask_b32_e64 v92, v3, v2, s[0:1]
; %bb.265:                              ;   in Loop: Header=BB150_48 Depth=1
	s_or_b64 exec, exec, s[14:15]
	v_lshlrev_b32_e32 v2, 16, v93
	v_mul_f32_e32 v2, v59, v2
	v_and_b32_e32 v3, 0x7f800000, v2
	v_cmp_ne_u32_e64 s[0:1], s24, v3
                                        ; implicit-def: $vgpr93
	s_and_saveexec_b64 s[14:15], s[0:1]
	s_xor_b64 s[0:1], exec, s[14:15]
; %bb.266:                              ;   in Loop: Header=BB150_48 Depth=1
	v_bfe_u32 v3, v2, 16, 1
	v_add3_u32 v93, v2, v3, s25
                                        ; implicit-def: $vgpr2
; %bb.267:                              ;   in Loop: Header=BB150_48 Depth=1
	s_andn2_saveexec_b64 s[14:15], s[0:1]
; %bb.268:                              ;   in Loop: Header=BB150_48 Depth=1
	v_or_b32_e32 v3, 0x10000, v2
	v_cmp_eq_u32_sdwa s[0:1], v2, v19 src0_sel:WORD_0 src1_sel:DWORD
	s_nop 1
	v_cndmask_b32_e64 v93, v3, v2, s[0:1]
; %bb.269:                              ;   in Loop: Header=BB150_48 Depth=1
	s_or_b64 exec, exec, s[14:15]
	v_lshlrev_b32_e32 v2, 16, v4
	v_mul_f32_e32 v2, v60, v2
	v_and_b32_e32 v3, 0x7f800000, v2
	v_cmp_ne_u32_e64 s[0:1], s24, v3
                                        ; implicit-def: $vgpr94
	s_and_saveexec_b64 s[14:15], s[0:1]
	s_xor_b64 s[0:1], exec, s[14:15]
; %bb.270:                              ;   in Loop: Header=BB150_48 Depth=1
	v_bfe_u32 v3, v2, 16, 1
	v_add3_u32 v94, v2, v3, s25
                                        ; implicit-def: $vgpr2
; %bb.271:                              ;   in Loop: Header=BB150_48 Depth=1
	s_andn2_saveexec_b64 s[14:15], s[0:1]
; %bb.272:                              ;   in Loop: Header=BB150_48 Depth=1
	v_or_b32_e32 v3, 0x10000, v2
	v_cmp_eq_u32_sdwa s[0:1], v2, v19 src0_sel:WORD_0 src1_sel:DWORD
	s_nop 1
	v_cndmask_b32_e64 v94, v3, v2, s[0:1]
; %bb.273:                              ;   in Loop: Header=BB150_48 Depth=1
	s_or_b64 exec, exec, s[14:15]
	v_lshlrev_b32_e32 v2, 16, v29
	v_mul_f32_e32 v2, v61, v2
	v_and_b32_e32 v3, 0x7f800000, v2
	v_cmp_ne_u32_e64 s[0:1], s24, v3
                                        ; implicit-def: $vgpr95
	s_and_saveexec_b64 s[14:15], s[0:1]
	s_xor_b64 s[0:1], exec, s[14:15]
; %bb.274:                              ;   in Loop: Header=BB150_48 Depth=1
	v_bfe_u32 v3, v2, 16, 1
	v_add3_u32 v95, v2, v3, s25
                                        ; implicit-def: $vgpr2
; %bb.275:                              ;   in Loop: Header=BB150_48 Depth=1
	s_andn2_saveexec_b64 s[14:15], s[0:1]
; %bb.276:                              ;   in Loop: Header=BB150_48 Depth=1
	v_or_b32_e32 v3, 0x10000, v2
	v_cmp_eq_u32_sdwa s[0:1], v2, v19 src0_sel:WORD_0 src1_sel:DWORD
	s_nop 1
	v_cndmask_b32_e64 v95, v3, v2, s[0:1]
; %bb.277:                              ;   in Loop: Header=BB150_48 Depth=1
	s_or_b64 exec, exec, s[14:15]
	v_lshlrev_b32_e32 v2, 16, v5
	v_mul_f32_e32 v2, v62, v2
	v_and_b32_e32 v3, 0x7f800000, v2
	v_cmp_ne_u32_e64 s[0:1], s24, v3
                                        ; implicit-def: $vgpr96
	s_and_saveexec_b64 s[14:15], s[0:1]
	s_xor_b64 s[0:1], exec, s[14:15]
; %bb.278:                              ;   in Loop: Header=BB150_48 Depth=1
	v_bfe_u32 v3, v2, 16, 1
	v_add3_u32 v96, v2, v3, s25
                                        ; implicit-def: $vgpr2
; %bb.279:                              ;   in Loop: Header=BB150_48 Depth=1
	s_andn2_saveexec_b64 s[14:15], s[0:1]
; %bb.280:                              ;   in Loop: Header=BB150_48 Depth=1
	v_or_b32_e32 v3, 0x10000, v2
	v_cmp_eq_u32_sdwa s[0:1], v2, v19 src0_sel:WORD_0 src1_sel:DWORD
	s_nop 1
	v_cndmask_b32_e64 v96, v3, v2, s[0:1]
; %bb.281:                              ;   in Loop: Header=BB150_48 Depth=1
	s_or_b64 exec, exec, s[14:15]
	v_lshlrev_b32_e32 v2, 16, v27
	v_mul_f32_e32 v2, v63, v2
	v_and_b32_e32 v3, 0x7f800000, v2
	v_cmp_ne_u32_e64 s[0:1], s24, v3
                                        ; implicit-def: $vgpr97
	s_and_saveexec_b64 s[14:15], s[0:1]
	s_xor_b64 s[0:1], exec, s[14:15]
; %bb.282:                              ;   in Loop: Header=BB150_48 Depth=1
	v_bfe_u32 v3, v2, 16, 1
	v_add3_u32 v97, v2, v3, s25
                                        ; implicit-def: $vgpr2
; %bb.283:                              ;   in Loop: Header=BB150_48 Depth=1
	s_andn2_saveexec_b64 s[14:15], s[0:1]
; %bb.284:                              ;   in Loop: Header=BB150_48 Depth=1
	v_or_b32_e32 v3, 0x10000, v2
	v_cmp_eq_u32_sdwa s[0:1], v2, v19 src0_sel:WORD_0 src1_sel:DWORD
	s_nop 1
	v_cndmask_b32_e64 v97, v3, v2, s[0:1]
; %bb.285:                              ;   in Loop: Header=BB150_48 Depth=1
	s_or_b64 exec, exec, s[14:15]
	v_mov_b32_e32 v27, v19
	v_lshl_add_u64 v[2:3], v[6:7], 0, v[26:27]
	global_load_dwordx4 v[2:5], v[2:3], off
	s_waitcnt vmcnt(0)
	v_lshrrev_b32_e32 v98, 16, v2
	v_lshrrev_b32_e32 v100, 16, v3
	;; [unrolled: 1-line block ×4, first 2 shown]
	s_and_saveexec_b64 s[14:15], vcc
	s_cbranch_execz .LBB150_287
; %bb.286:                              ;   in Loop: Header=BB150_48 Depth=1
	v_cmp_gt_i32_e64 s[0:1], s33, v46
	s_nop 1
	v_cndmask_b32_e64 v2, 0, v2, s[0:1]
	v_cmp_gt_i32_e64 s[0:1], s33, v54
	s_nop 1
	v_cndmask_b32_e64 v98, 0, v98, s[0:1]
	;; [unrolled: 3-line block ×8, first 2 shown]
.LBB150_287:                            ;   in Loop: Header=BB150_48 Depth=1
	s_or_b64 exec, exec, s[14:15]
	v_lshlrev_b32_e32 v2, 16, v2
	v_mul_f32_e32 v2, v55, v2
	v_and_b32_e32 v27, 0x7f800000, v2
	v_cmp_ne_u32_e64 s[0:1], s24, v27
                                        ; implicit-def: $vgpr27
	s_and_saveexec_b64 s[14:15], s[0:1]
	s_xor_b64 s[0:1], exec, s[14:15]
; %bb.288:                              ;   in Loop: Header=BB150_48 Depth=1
	v_bfe_u32 v27, v2, 16, 1
	v_add3_u32 v27, v2, v27, s25
                                        ; implicit-def: $vgpr2
; %bb.289:                              ;   in Loop: Header=BB150_48 Depth=1
	s_andn2_saveexec_b64 s[14:15], s[0:1]
; %bb.290:                              ;   in Loop: Header=BB150_48 Depth=1
	v_or_b32_e32 v27, 0x10000, v2
	v_cmp_eq_u32_sdwa s[0:1], v2, v19 src0_sel:WORD_0 src1_sel:DWORD
	s_nop 1
	v_cndmask_b32_e64 v27, v27, v2, s[0:1]
; %bb.291:                              ;   in Loop: Header=BB150_48 Depth=1
	s_or_b64 exec, exec, s[14:15]
	v_lshlrev_b32_e32 v2, 16, v98
	v_mul_f32_e32 v2, v57, v2
	v_and_b32_e32 v98, 0x7f800000, v2
	v_cmp_ne_u32_e64 s[0:1], s24, v98
                                        ; implicit-def: $vgpr98
	s_and_saveexec_b64 s[14:15], s[0:1]
	s_xor_b64 s[0:1], exec, s[14:15]
; %bb.292:                              ;   in Loop: Header=BB150_48 Depth=1
	v_bfe_u32 v98, v2, 16, 1
	v_add3_u32 v98, v2, v98, s25
                                        ; implicit-def: $vgpr2
; %bb.293:                              ;   in Loop: Header=BB150_48 Depth=1
	s_andn2_saveexec_b64 s[14:15], s[0:1]
; %bb.294:                              ;   in Loop: Header=BB150_48 Depth=1
	v_or_b32_e32 v98, 0x10000, v2
	v_cmp_eq_u32_sdwa s[0:1], v2, v19 src0_sel:WORD_0 src1_sel:DWORD
	s_nop 1
	v_cndmask_b32_e64 v98, v98, v2, s[0:1]
; %bb.295:                              ;   in Loop: Header=BB150_48 Depth=1
	s_or_b64 exec, exec, s[14:15]
	v_lshlrev_b32_e32 v2, 16, v3
	v_mul_f32_e32 v2, v58, v2
	v_and_b32_e32 v3, 0x7f800000, v2
	v_cmp_ne_u32_e64 s[0:1], s24, v3
                                        ; implicit-def: $vgpr99
	s_and_saveexec_b64 s[14:15], s[0:1]
	s_xor_b64 s[0:1], exec, s[14:15]
; %bb.296:                              ;   in Loop: Header=BB150_48 Depth=1
	v_bfe_u32 v3, v2, 16, 1
	v_add3_u32 v99, v2, v3, s25
                                        ; implicit-def: $vgpr2
; %bb.297:                              ;   in Loop: Header=BB150_48 Depth=1
	s_andn2_saveexec_b64 s[14:15], s[0:1]
; %bb.298:                              ;   in Loop: Header=BB150_48 Depth=1
	v_or_b32_e32 v3, 0x10000, v2
	v_cmp_eq_u32_sdwa s[0:1], v2, v19 src0_sel:WORD_0 src1_sel:DWORD
	s_nop 1
	v_cndmask_b32_e64 v99, v3, v2, s[0:1]
; %bb.299:                              ;   in Loop: Header=BB150_48 Depth=1
	s_or_b64 exec, exec, s[14:15]
	v_lshlrev_b32_e32 v2, 16, v100
	v_mul_f32_e32 v2, v59, v2
	v_and_b32_e32 v3, 0x7f800000, v2
	v_cmp_ne_u32_e64 s[0:1], s24, v3
                                        ; implicit-def: $vgpr100
	s_and_saveexec_b64 s[14:15], s[0:1]
	s_xor_b64 s[0:1], exec, s[14:15]
; %bb.300:                              ;   in Loop: Header=BB150_48 Depth=1
	v_bfe_u32 v3, v2, 16, 1
	v_add3_u32 v100, v2, v3, s25
                                        ; implicit-def: $vgpr2
; %bb.301:                              ;   in Loop: Header=BB150_48 Depth=1
	s_andn2_saveexec_b64 s[14:15], s[0:1]
; %bb.302:                              ;   in Loop: Header=BB150_48 Depth=1
	v_or_b32_e32 v3, 0x10000, v2
	v_cmp_eq_u32_sdwa s[0:1], v2, v19 src0_sel:WORD_0 src1_sel:DWORD
	s_nop 1
	v_cndmask_b32_e64 v100, v3, v2, s[0:1]
; %bb.303:                              ;   in Loop: Header=BB150_48 Depth=1
	s_or_b64 exec, exec, s[14:15]
	v_lshlrev_b32_e32 v2, 16, v4
	v_mul_f32_e32 v2, v60, v2
	v_and_b32_e32 v3, 0x7f800000, v2
	v_cmp_ne_u32_e64 s[0:1], s24, v3
                                        ; implicit-def: $vgpr101
	s_and_saveexec_b64 s[14:15], s[0:1]
	s_xor_b64 s[0:1], exec, s[14:15]
; %bb.304:                              ;   in Loop: Header=BB150_48 Depth=1
	v_bfe_u32 v3, v2, 16, 1
	v_add3_u32 v101, v2, v3, s25
                                        ; implicit-def: $vgpr2
; %bb.305:                              ;   in Loop: Header=BB150_48 Depth=1
	s_andn2_saveexec_b64 s[14:15], s[0:1]
; %bb.306:                              ;   in Loop: Header=BB150_48 Depth=1
	v_or_b32_e32 v3, 0x10000, v2
	v_cmp_eq_u32_sdwa s[0:1], v2, v19 src0_sel:WORD_0 src1_sel:DWORD
	s_nop 1
	v_cndmask_b32_e64 v101, v3, v2, s[0:1]
; %bb.307:                              ;   in Loop: Header=BB150_48 Depth=1
	s_or_b64 exec, exec, s[14:15]
	v_lshlrev_b32_e32 v2, 16, v102
	v_mul_f32_e32 v2, v61, v2
	v_and_b32_e32 v3, 0x7f800000, v2
	v_cmp_ne_u32_e64 s[0:1], s24, v3
                                        ; implicit-def: $vgpr102
	s_and_saveexec_b64 s[14:15], s[0:1]
	s_xor_b64 s[0:1], exec, s[14:15]
; %bb.308:                              ;   in Loop: Header=BB150_48 Depth=1
	v_bfe_u32 v3, v2, 16, 1
	v_add3_u32 v102, v2, v3, s25
                                        ; implicit-def: $vgpr2
; %bb.309:                              ;   in Loop: Header=BB150_48 Depth=1
	s_andn2_saveexec_b64 s[14:15], s[0:1]
; %bb.310:                              ;   in Loop: Header=BB150_48 Depth=1
	v_or_b32_e32 v3, 0x10000, v2
	v_cmp_eq_u32_sdwa s[0:1], v2, v19 src0_sel:WORD_0 src1_sel:DWORD
	s_nop 1
	v_cndmask_b32_e64 v102, v3, v2, s[0:1]
; %bb.311:                              ;   in Loop: Header=BB150_48 Depth=1
	s_or_b64 exec, exec, s[14:15]
	v_lshlrev_b32_e32 v2, 16, v5
	v_mul_f32_e32 v2, v62, v2
	v_and_b32_e32 v3, 0x7f800000, v2
	v_cmp_ne_u32_e64 s[0:1], s24, v3
                                        ; implicit-def: $vgpr103
	s_and_saveexec_b64 s[14:15], s[0:1]
	s_xor_b64 s[0:1], exec, s[14:15]
; %bb.312:                              ;   in Loop: Header=BB150_48 Depth=1
	v_bfe_u32 v3, v2, 16, 1
	v_add3_u32 v103, v2, v3, s25
                                        ; implicit-def: $vgpr2
; %bb.313:                              ;   in Loop: Header=BB150_48 Depth=1
	s_andn2_saveexec_b64 s[14:15], s[0:1]
; %bb.314:                              ;   in Loop: Header=BB150_48 Depth=1
	v_or_b32_e32 v3, 0x10000, v2
	v_cmp_eq_u32_sdwa s[0:1], v2, v19 src0_sel:WORD_0 src1_sel:DWORD
	s_nop 1
	v_cndmask_b32_e64 v103, v3, v2, s[0:1]
; %bb.315:                              ;   in Loop: Header=BB150_48 Depth=1
	s_or_b64 exec, exec, s[14:15]
	v_lshlrev_b32_e32 v2, 16, v29
	v_mul_f32_e32 v2, v63, v2
	v_and_b32_e32 v3, 0x7f800000, v2
	v_cmp_ne_u32_e64 s[0:1], s24, v3
                                        ; implicit-def: $vgpr104
	s_and_saveexec_b64 s[14:15], s[0:1]
	s_xor_b64 s[0:1], exec, s[14:15]
; %bb.316:                              ;   in Loop: Header=BB150_48 Depth=1
	v_bfe_u32 v3, v2, 16, 1
	v_add3_u32 v104, v2, v3, s25
                                        ; implicit-def: $vgpr2
; %bb.317:                              ;   in Loop: Header=BB150_48 Depth=1
	s_andn2_saveexec_b64 s[14:15], s[0:1]
; %bb.318:                              ;   in Loop: Header=BB150_48 Depth=1
	v_or_b32_e32 v3, 0x10000, v2
	v_cmp_eq_u32_sdwa s[0:1], v2, v19 src0_sel:WORD_0 src1_sel:DWORD
	s_nop 1
	v_cndmask_b32_e64 v104, v3, v2, s[0:1]
; %bb.319:                              ;   in Loop: Header=BB150_48 Depth=1
	s_or_b64 exec, exec, s[14:15]
	v_mov_b32_e32 v29, v19
	v_lshl_add_u64 v[2:3], v[6:7], 0, v[28:29]
	global_load_dwordx4 v[2:5], v[2:3], off
	s_waitcnt vmcnt(0)
	v_lshrrev_b32_e32 v6, 16, v2
	v_lshrrev_b32_e32 v7, 16, v3
	;; [unrolled: 1-line block ×4, first 2 shown]
	s_and_saveexec_b64 s[0:1], vcc
	s_cbranch_execz .LBB150_321
; %bb.320:                              ;   in Loop: Header=BB150_48 Depth=1
	v_cmp_gt_i32_e32 vcc, s33, v46
	s_nop 1
	v_cndmask_b32_e32 v2, 0, v2, vcc
	v_cmp_gt_i32_e32 vcc, s33, v54
	s_nop 1
	v_cndmask_b32_e32 v6, 0, v6, vcc
	;; [unrolled: 3-line block ×8, first 2 shown]
.LBB150_321:                            ;   in Loop: Header=BB150_48 Depth=1
	s_or_b64 exec, exec, s[0:1]
	v_lshlrev_b32_e32 v2, 16, v2
	v_mul_f32_e32 v46, v55, v2
	v_and_b32_e32 v2, 0x7f800000, v46
	v_cmp_ne_u32_e32 vcc, s24, v2
                                        ; implicit-def: $vgpr2
	s_and_saveexec_b64 s[0:1], vcc
	s_xor_b64 s[0:1], exec, s[0:1]
; %bb.322:                              ;   in Loop: Header=BB150_48 Depth=1
	v_bfe_u32 v2, v46, 16, 1
	v_add3_u32 v2, v46, v2, s25
                                        ; implicit-def: $vgpr46
; %bb.323:                              ;   in Loop: Header=BB150_48 Depth=1
	s_andn2_saveexec_b64 s[0:1], s[0:1]
; %bb.324:                              ;   in Loop: Header=BB150_48 Depth=1
	v_or_b32_e32 v2, 0x10000, v46
	v_cmp_eq_u32_sdwa vcc, v46, v19 src0_sel:WORD_0 src1_sel:DWORD
	s_nop 1
	v_cndmask_b32_e32 v2, v2, v46, vcc
; %bb.325:                              ;   in Loop: Header=BB150_48 Depth=1
	s_or_b64 exec, exec, s[0:1]
	v_lshlrev_b32_e32 v6, 16, v6
	v_mul_f32_e32 v46, v57, v6
	v_and_b32_e32 v6, 0x7f800000, v46
	v_cmp_ne_u32_e32 vcc, s24, v6
                                        ; implicit-def: $vgpr6
	s_and_saveexec_b64 s[0:1], vcc
	s_xor_b64 s[0:1], exec, s[0:1]
; %bb.326:                              ;   in Loop: Header=BB150_48 Depth=1
	v_bfe_u32 v6, v46, 16, 1
	v_add3_u32 v6, v46, v6, s25
                                        ; implicit-def: $vgpr46
; %bb.327:                              ;   in Loop: Header=BB150_48 Depth=1
	s_andn2_saveexec_b64 s[0:1], s[0:1]
; %bb.328:                              ;   in Loop: Header=BB150_48 Depth=1
	v_or_b32_e32 v6, 0x10000, v46
	v_cmp_eq_u32_sdwa vcc, v46, v19 src0_sel:WORD_0 src1_sel:DWORD
	s_nop 1
	v_cndmask_b32_e32 v6, v6, v46, vcc
; %bb.329:                              ;   in Loop: Header=BB150_48 Depth=1
	s_or_b64 exec, exec, s[0:1]
	v_lshlrev_b32_e32 v3, 16, v3
	v_mul_f32_e32 v46, v58, v3
	v_and_b32_e32 v3, 0x7f800000, v46
	v_cmp_ne_u32_e32 vcc, s24, v3
                                        ; implicit-def: $vgpr3
	s_and_saveexec_b64 s[0:1], vcc
	s_xor_b64 s[0:1], exec, s[0:1]
; %bb.330:                              ;   in Loop: Header=BB150_48 Depth=1
	v_bfe_u32 v3, v46, 16, 1
	v_add3_u32 v3, v46, v3, s25
                                        ; implicit-def: $vgpr46
; %bb.331:                              ;   in Loop: Header=BB150_48 Depth=1
	s_andn2_saveexec_b64 s[0:1], s[0:1]
; %bb.332:                              ;   in Loop: Header=BB150_48 Depth=1
	v_or_b32_e32 v3, 0x10000, v46
	v_cmp_eq_u32_sdwa vcc, v46, v19 src0_sel:WORD_0 src1_sel:DWORD
	s_nop 1
	v_cndmask_b32_e32 v3, v3, v46, vcc
; %bb.333:                              ;   in Loop: Header=BB150_48 Depth=1
	s_or_b64 exec, exec, s[0:1]
	v_lshlrev_b32_e32 v7, 16, v7
	v_mul_f32_e32 v46, v59, v7
	v_and_b32_e32 v7, 0x7f800000, v46
	v_cmp_ne_u32_e32 vcc, s24, v7
                                        ; implicit-def: $vgpr7
	s_and_saveexec_b64 s[0:1], vcc
	s_xor_b64 s[0:1], exec, s[0:1]
; %bb.334:                              ;   in Loop: Header=BB150_48 Depth=1
	v_bfe_u32 v7, v46, 16, 1
	v_add3_u32 v7, v46, v7, s25
                                        ; implicit-def: $vgpr46
; %bb.335:                              ;   in Loop: Header=BB150_48 Depth=1
	s_andn2_saveexec_b64 s[0:1], s[0:1]
; %bb.336:                              ;   in Loop: Header=BB150_48 Depth=1
	v_or_b32_e32 v7, 0x10000, v46
	v_cmp_eq_u32_sdwa vcc, v46, v19 src0_sel:WORD_0 src1_sel:DWORD
	s_nop 1
	v_cndmask_b32_e32 v7, v7, v46, vcc
; %bb.337:                              ;   in Loop: Header=BB150_48 Depth=1
	s_or_b64 exec, exec, s[0:1]
	v_lshlrev_b32_e32 v4, 16, v4
	v_mul_f32_e32 v46, v60, v4
	v_and_b32_e32 v4, 0x7f800000, v46
	v_cmp_ne_u32_e32 vcc, s24, v4
                                        ; implicit-def: $vgpr4
	s_and_saveexec_b64 s[0:1], vcc
	s_xor_b64 s[0:1], exec, s[0:1]
; %bb.338:                              ;   in Loop: Header=BB150_48 Depth=1
	v_bfe_u32 v4, v46, 16, 1
	v_add3_u32 v4, v46, v4, s25
                                        ; implicit-def: $vgpr46
; %bb.339:                              ;   in Loop: Header=BB150_48 Depth=1
	s_andn2_saveexec_b64 s[0:1], s[0:1]
; %bb.340:                              ;   in Loop: Header=BB150_48 Depth=1
	v_or_b32_e32 v4, 0x10000, v46
	v_cmp_eq_u32_sdwa vcc, v46, v19 src0_sel:WORD_0 src1_sel:DWORD
	s_nop 1
	v_cndmask_b32_e32 v4, v4, v46, vcc
; %bb.341:                              ;   in Loop: Header=BB150_48 Depth=1
	s_or_b64 exec, exec, s[0:1]
	v_lshlrev_b32_e32 v46, 16, v105
	v_mul_f32_e32 v48, v61, v46
	v_and_b32_e32 v46, 0x7f800000, v48
	v_cmp_ne_u32_e32 vcc, s24, v46
                                        ; implicit-def: $vgpr46
	s_and_saveexec_b64 s[0:1], vcc
	s_xor_b64 s[0:1], exec, s[0:1]
; %bb.342:                              ;   in Loop: Header=BB150_48 Depth=1
	v_bfe_u32 v46, v48, 16, 1
	v_add3_u32 v46, v48, v46, s25
                                        ; implicit-def: $vgpr48
; %bb.343:                              ;   in Loop: Header=BB150_48 Depth=1
	s_andn2_saveexec_b64 s[0:1], s[0:1]
; %bb.344:                              ;   in Loop: Header=BB150_48 Depth=1
	v_or_b32_e32 v46, 0x10000, v48
	v_cmp_eq_u32_sdwa vcc, v48, v19 src0_sel:WORD_0 src1_sel:DWORD
	s_nop 1
	v_cndmask_b32_e32 v46, v46, v48, vcc
; %bb.345:                              ;   in Loop: Header=BB150_48 Depth=1
	s_or_b64 exec, exec, s[0:1]
	v_lshlrev_b32_e32 v5, 16, v5
	v_mul_f32_e32 v48, v62, v5
	v_and_b32_e32 v5, 0x7f800000, v48
	v_cmp_ne_u32_e32 vcc, s24, v5
                                        ; implicit-def: $vgpr5
	s_and_saveexec_b64 s[0:1], vcc
	s_xor_b64 s[0:1], exec, s[0:1]
; %bb.346:                              ;   in Loop: Header=BB150_48 Depth=1
	v_bfe_u32 v5, v48, 16, 1
	v_add3_u32 v5, v48, v5, s25
                                        ; implicit-def: $vgpr48
; %bb.347:                              ;   in Loop: Header=BB150_48 Depth=1
	s_andn2_saveexec_b64 s[0:1], s[0:1]
; %bb.348:                              ;   in Loop: Header=BB150_48 Depth=1
	v_or_b32_e32 v5, 0x10000, v48
	v_cmp_eq_u32_sdwa vcc, v48, v19 src0_sel:WORD_0 src1_sel:DWORD
	s_nop 1
	v_cndmask_b32_e32 v5, v5, v48, vcc
; %bb.349:                              ;   in Loop: Header=BB150_48 Depth=1
	s_or_b64 exec, exec, s[0:1]
	v_lshlrev_b32_e32 v29, 16, v29
	v_mul_f32_e32 v48, v63, v29
	v_and_b32_e32 v29, 0x7f800000, v48
	v_cmp_ne_u32_e32 vcc, s24, v29
                                        ; implicit-def: $vgpr29
	s_and_saveexec_b64 s[0:1], vcc
	s_xor_b64 s[0:1], exec, s[0:1]
; %bb.350:                              ;   in Loop: Header=BB150_48 Depth=1
	v_bfe_u32 v29, v48, 16, 1
	v_add3_u32 v29, v48, v29, s25
                                        ; implicit-def: $vgpr48
; %bb.351:                              ;   in Loop: Header=BB150_48 Depth=1
	s_andn2_saveexec_b64 s[0:1], s[0:1]
	s_cbranch_execz .LBB150_46
; %bb.352:                              ;   in Loop: Header=BB150_48 Depth=1
	v_or_b32_e32 v29, 0x10000, v48
	v_cmp_eq_u32_sdwa vcc, v48, v19 src0_sel:WORD_0 src1_sel:DWORD
	s_nop 1
	v_cndmask_b32_e32 v29, v29, v48, vcc
	s_branch .LBB150_46
.LBB150_353:
	s_or_b64 exec, exec, s[8:9]
.LBB150_354:
	s_or_b64 exec, exec, s[2:3]
	ds_bpermute_b32 v2, v31, v16
	ds_bpermute_b32 v3, v31, v17
	;; [unrolled: 1-line block ×6, first 2 shown]
	s_waitcnt lgkmcnt(4)
	v_pk_add_f32 v[2:3], v[16:17], v[2:3]
	ds_bpermute_b32 v16, v31, v10
	ds_bpermute_b32 v17, v31, v11
	s_waitcnt lgkmcnt(4)
	v_pk_add_f32 v[4:5], v[14:15], v[4:5]
	s_waitcnt lgkmcnt(2)
	v_pk_add_f32 v[12:13], v[12:13], v[8:9]
	ds_bpermute_b32 v6, v33, v2
	ds_bpermute_b32 v7, v33, v3
	s_waitcnt lgkmcnt(2)
	v_pk_add_f32 v[10:11], v[10:11], v[16:17]
	ds_bpermute_b32 v14, v33, v4
	ds_bpermute_b32 v15, v33, v5
	;; [unrolled: 1-line block ×6, first 2 shown]
	v_and_b32_e32 v1, 0x3c3, v0
	s_waitcnt lgkmcnt(6)
	v_pk_add_f32 v[8:9], v[2:3], v[6:7]
	s_waitcnt lgkmcnt(4)
	v_pk_add_f32 v[4:5], v[4:5], v[14:15]
	;; [unrolled: 2-line block ×4, first 2 shown]
	v_cmp_eq_u32_e32 vcc, 64, v1
	s_barrier
	s_and_saveexec_b64 s[0:1], vcc
	s_cbranch_execz .LBB150_356
; %bb.355:
	v_add_u32_e32 v1, 0x110, v30
	ds_write2_b32 v1, v8, v9 offset1:16
	ds_write2_b32 v1, v4, v5 offset0:32 offset1:48
	ds_write2_b32 v1, v2, v3 offset0:64 offset1:80
	ds_write2_b32 v1, v6, v7 offset0:96 offset1:112
.LBB150_356:
	s_or_b64 exec, exec, s[0:1]
	v_cmp_gt_u32_e32 vcc, 64, v0
	s_waitcnt lgkmcnt(0)
	s_barrier
	s_and_saveexec_b64 s[2:3], vcc
	s_cbranch_execz .LBB150_367
; %bb.357:
	v_cmp_eq_u32_e64 s[0:1], 0, v34
	v_lshrrev_b32_e32 v1, 2, v0
	s_and_saveexec_b64 s[6:7], s[0:1]
	s_cbranch_execnz .LBB150_403
; %bb.358:
	s_or_b64 exec, exec, s[6:7]
	s_and_saveexec_b64 s[6:7], s[0:1]
	s_cbranch_execnz .LBB150_404
.LBB150_359:
	s_or_b64 exec, exec, s[6:7]
	s_and_saveexec_b64 s[6:7], s[0:1]
	s_cbranch_execnz .LBB150_405
.LBB150_360:
	s_or_b64 exec, exec, s[6:7]
	s_and_saveexec_b64 s[6:7], s[0:1]
	s_cbranch_execnz .LBB150_406
.LBB150_361:
	s_or_b64 exec, exec, s[6:7]
	s_and_saveexec_b64 s[6:7], s[0:1]
	s_cbranch_execnz .LBB150_407
.LBB150_362:
	s_or_b64 exec, exec, s[6:7]
	s_and_saveexec_b64 s[6:7], s[0:1]
	s_cbranch_execnz .LBB150_408
.LBB150_363:
	s_or_b64 exec, exec, s[6:7]
	s_and_saveexec_b64 s[6:7], s[0:1]
	s_cbranch_execnz .LBB150_409
.LBB150_364:
	s_or_b64 exec, exec, s[6:7]
	s_and_saveexec_b64 s[6:7], s[0:1]
	s_cbranch_execz .LBB150_366
.LBB150_365:
	v_mov_b32_e32 v10, 0x110
	v_lshl_add_u32 v1, v1, 2, v10
	ds_read_b32 v1, v1 offset:448
	s_waitcnt lgkmcnt(0)
	v_add_f32_e32 v7, v7, v1
.LBB150_366:
	s_or_b64 exec, exec, s[6:7]
.LBB150_367:
	s_or_b64 exec, exec, s[2:3]
	s_barrier
	s_and_saveexec_b64 s[0:1], vcc
	s_cbranch_execz .LBB150_402
; %bb.368:
	v_cmp_eq_u32_e32 vcc, 0, v34
	s_and_b64 exec, exec, vcc
	s_cbranch_execz .LBB150_402
; %bb.369:
	s_mov_b32 s0, 0x7f800000
	v_and_b32_e32 v1, 0x7f800000, v8
	v_cmp_ne_u32_e32 vcc, s0, v1
                                        ; implicit-def: $vgpr10
	s_and_saveexec_b64 s[0:1], vcc
	s_xor_b64 s[0:1], exec, s[0:1]
; %bb.370:
	v_bfe_u32 v1, v8, 16, 1
	s_movk_i32 s2, 0x7fff
	v_add3_u32 v10, v8, v1, s2
; %bb.371:
	s_andn2_saveexec_b64 s[0:1], s[0:1]
; %bb.372:
	v_mov_b32_e32 v1, 0
	v_or_b32_e32 v10, 0x10000, v8
	v_cmp_eq_u32_sdwa vcc, v8, v1 src0_sel:WORD_0 src1_sel:DWORD
	s_nop 1
	v_cndmask_b32_e32 v10, v10, v8, vcc
; %bb.373:
	s_or_b64 exec, exec, s[0:1]
	s_mul_i32 s0, s10, s11
	s_mul_i32 s0, s0, s5
	s_lshl_b32 s0, s0, 7
	s_ashr_i32 s1, s0, 31
	s_lshl_b64 s[0:1], s[0:1], 1
	s_add_u32 s2, s22, s0
	s_mul_i32 s0, s11, s20
	s_addc_u32 s3, s23, s1
	s_ashr_i32 s1, s0, 31
	s_lshl_b64 s[0:1], s[0:1], 1
	s_add_u32 s2, s2, s0
	s_addc_u32 s3, s3, s1
	s_lshl_b32 s0, s4, 7
	s_ashr_i32 s1, s0, 31
	s_lshl_b64 s[0:1], s[0:1], 1
	s_add_u32 s0, s2, s0
	v_lshrrev_b32_e32 v0, 1, v0
	s_mov_b32 s2, 0x7f800000
	v_and_b32_e32 v8, 0x7f800000, v9
	s_addc_u32 s1, s3, s1
	v_and_b32_e32 v0, 0x1fe, v0
	v_mov_b32_e32 v1, 0
	v_cmp_ne_u32_e32 vcc, s2, v8
	global_store_short_d16_hi v0, v10, s[0:1]
                                        ; implicit-def: $vgpr8
	s_and_saveexec_b64 s[2:3], vcc
	s_xor_b64 s[2:3], exec, s[2:3]
; %bb.374:
	v_bfe_u32 v8, v9, 16, 1
	s_movk_i32 s4, 0x7fff
	v_add3_u32 v8, v9, v8, s4
; %bb.375:
	s_or_saveexec_b64 s[2:3], s[2:3]
	v_lshl_add_u64 v[10:11], s[0:1], 0, v[0:1]
	s_xor_b64 exec, exec, s[2:3]
; %bb.376:
	v_mov_b32_e32 v0, 0
	v_or_b32_e32 v1, 0x10000, v9
	v_cmp_eq_u32_sdwa vcc, v9, v0 src0_sel:WORD_0 src1_sel:DWORD
	s_nop 1
	v_cndmask_b32_e32 v8, v1, v9, vcc
; %bb.377:
	s_or_b64 exec, exec, s[2:3]
	s_mov_b32 s0, 0x7f800000
	v_and_b32_e32 v0, 0x7f800000, v4
	v_cmp_ne_u32_e32 vcc, s0, v0
	global_store_short_d16_hi v[10:11], v8, off offset:32
                                        ; implicit-def: $vgpr0
	s_and_saveexec_b64 s[0:1], vcc
	s_xor_b64 s[0:1], exec, s[0:1]
; %bb.378:
	v_bfe_u32 v0, v4, 16, 1
	s_movk_i32 s2, 0x7fff
	v_add3_u32 v0, v4, v0, s2
; %bb.379:
	s_andn2_saveexec_b64 s[0:1], s[0:1]
; %bb.380:
	v_mov_b32_e32 v0, 0
	v_or_b32_e32 v1, 0x10000, v4
	v_cmp_eq_u32_sdwa vcc, v4, v0 src0_sel:WORD_0 src1_sel:DWORD
	s_nop 1
	v_cndmask_b32_e32 v0, v1, v4, vcc
; %bb.381:
	s_or_b64 exec, exec, s[0:1]
	global_store_short_d16_hi v[10:11], v0, off offset:64
	s_mov_b32 s0, 0x7f800000
	v_and_b32_e32 v0, 0x7f800000, v5
	v_cmp_ne_u32_e32 vcc, s0, v0
                                        ; implicit-def: $vgpr0
	s_and_saveexec_b64 s[0:1], vcc
	s_xor_b64 s[0:1], exec, s[0:1]
; %bb.382:
	v_bfe_u32 v0, v5, 16, 1
	s_movk_i32 s2, 0x7fff
	v_add3_u32 v0, v5, v0, s2
; %bb.383:
	s_andn2_saveexec_b64 s[0:1], s[0:1]
; %bb.384:
	v_mov_b32_e32 v0, 0
	v_or_b32_e32 v1, 0x10000, v5
	v_cmp_eq_u32_sdwa vcc, v5, v0 src0_sel:WORD_0 src1_sel:DWORD
	s_nop 1
	v_cndmask_b32_e32 v0, v1, v5, vcc
; %bb.385:
	s_or_b64 exec, exec, s[0:1]
	global_store_short_d16_hi v[10:11], v0, off offset:96
	s_mov_b32 s0, 0x7f800000
	v_and_b32_e32 v0, 0x7f800000, v2
	v_cmp_ne_u32_e32 vcc, s0, v0
	;; [unrolled: 21-line block ×5, first 2 shown]
                                        ; implicit-def: $vgpr8
	s_and_saveexec_b64 s[0:1], vcc
	s_xor_b64 s[0:1], exec, s[0:1]
; %bb.398:
	v_bfe_u32 v0, v7, 16, 1
	s_movk_i32 s2, 0x7fff
	v_add3_u32 v8, v7, v0, s2
                                        ; implicit-def: $vgpr0_vgpr1_vgpr2_vgpr3_vgpr4_vgpr5_vgpr6_vgpr7
; %bb.399:
	s_andn2_saveexec_b64 s[0:1], s[0:1]
; %bb.400:
	v_mov_b32_e32 v0, 0
	v_or_b32_e32 v1, 0x10000, v7
	v_cmp_eq_u32_sdwa vcc, v7, v0 src0_sel:WORD_0 src1_sel:DWORD
	s_nop 1
	v_cndmask_b32_e32 v8, v1, v7, vcc
; %bb.401:
	s_or_b64 exec, exec, s[0:1]
	global_store_short_d16_hi v[10:11], v8, off offset:224
.LBB150_402:
	s_endpgm
.LBB150_403:
	v_mov_b32_e32 v10, 0x110
	v_lshl_add_u32 v10, v1, 2, v10
	ds_read_b32 v10, v10
	s_waitcnt lgkmcnt(0)
	v_add_f32_e32 v8, v8, v10
	s_or_b64 exec, exec, s[6:7]
	s_and_saveexec_b64 s[6:7], s[0:1]
	s_cbranch_execz .LBB150_359
.LBB150_404:
	v_mov_b32_e32 v10, 0x110
	v_lshl_add_u32 v10, v1, 2, v10
	ds_read_b32 v10, v10 offset:64
	s_waitcnt lgkmcnt(0)
	v_add_f32_e32 v9, v9, v10
	s_or_b64 exec, exec, s[6:7]
	s_and_saveexec_b64 s[6:7], s[0:1]
	s_cbranch_execz .LBB150_360
.LBB150_405:
	v_mov_b32_e32 v10, 0x110
	v_lshl_add_u32 v10, v1, 2, v10
	ds_read_b32 v10, v10 offset:128
	s_waitcnt lgkmcnt(0)
	v_add_f32_e32 v4, v4, v10
	s_or_b64 exec, exec, s[6:7]
	s_and_saveexec_b64 s[6:7], s[0:1]
	s_cbranch_execz .LBB150_361
.LBB150_406:
	v_mov_b32_e32 v10, 0x110
	v_lshl_add_u32 v10, v1, 2, v10
	ds_read_b32 v10, v10 offset:192
	s_waitcnt lgkmcnt(0)
	v_add_f32_e32 v5, v5, v10
	s_or_b64 exec, exec, s[6:7]
	s_and_saveexec_b64 s[6:7], s[0:1]
	s_cbranch_execz .LBB150_362
.LBB150_407:
	v_mov_b32_e32 v10, 0x110
	v_lshl_add_u32 v10, v1, 2, v10
	ds_read_b32 v10, v10 offset:256
	s_waitcnt lgkmcnt(0)
	v_add_f32_e32 v2, v2, v10
	s_or_b64 exec, exec, s[6:7]
	s_and_saveexec_b64 s[6:7], s[0:1]
	s_cbranch_execz .LBB150_363
.LBB150_408:
	v_mov_b32_e32 v10, 0x110
	v_lshl_add_u32 v10, v1, 2, v10
	ds_read_b32 v10, v10 offset:320
	s_waitcnt lgkmcnt(0)
	v_add_f32_e32 v3, v3, v10
	s_or_b64 exec, exec, s[6:7]
	s_and_saveexec_b64 s[6:7], s[0:1]
	s_cbranch_execz .LBB150_364
.LBB150_409:
	v_mov_b32_e32 v10, 0x110
	v_lshl_add_u32 v10, v1, 2, v10
	ds_read_b32 v10, v10 offset:384
	s_waitcnt lgkmcnt(0)
	v_add_f32_e32 v6, v6, v10
	s_or_b64 exec, exec, s[6:7]
	s_and_saveexec_b64 s[6:7], s[0:1]
	s_cbranch_execnz .LBB150_365
	s_branch .LBB150_366
	.section	.rodata,"a",@progbits
	.p2align	6, 0x0
	.amdhsa_kernel _ZN4vllm25paged_attention_v1_kernelI14__hip_bfloat16S1_Li128ELi32ELi128ELNS_18Fp8KVCacheDataTypeE0ELb1EEEvPT_PKS3_PKT0_S9_ifPKiSB_iPKfiiiSD_SD_iiiii
		.amdhsa_group_segment_fixed_size 272
		.amdhsa_private_segment_fixed_size 0
		.amdhsa_kernarg_size 384
		.amdhsa_user_sgpr_count 2
		.amdhsa_user_sgpr_dispatch_ptr 0
		.amdhsa_user_sgpr_queue_ptr 0
		.amdhsa_user_sgpr_kernarg_segment_ptr 1
		.amdhsa_user_sgpr_dispatch_id 0
		.amdhsa_user_sgpr_kernarg_preload_length 0
		.amdhsa_user_sgpr_kernarg_preload_offset 0
		.amdhsa_user_sgpr_private_segment_size 0
		.amdhsa_uses_dynamic_stack 0
		.amdhsa_enable_private_segment 0
		.amdhsa_system_sgpr_workgroup_id_x 1
		.amdhsa_system_sgpr_workgroup_id_y 1
		.amdhsa_system_sgpr_workgroup_id_z 1
		.amdhsa_system_sgpr_workgroup_info 0
		.amdhsa_system_vgpr_workitem_id 0
		.amdhsa_next_free_vgpr 106
		.amdhsa_next_free_sgpr 45
		.amdhsa_accum_offset 108
		.amdhsa_reserve_vcc 1
		.amdhsa_float_round_mode_32 0
		.amdhsa_float_round_mode_16_64 0
		.amdhsa_float_denorm_mode_32 3
		.amdhsa_float_denorm_mode_16_64 3
		.amdhsa_dx10_clamp 1
		.amdhsa_ieee_mode 1
		.amdhsa_fp16_overflow 0
		.amdhsa_tg_split 0
		.amdhsa_exception_fp_ieee_invalid_op 0
		.amdhsa_exception_fp_denorm_src 0
		.amdhsa_exception_fp_ieee_div_zero 0
		.amdhsa_exception_fp_ieee_overflow 0
		.amdhsa_exception_fp_ieee_underflow 0
		.amdhsa_exception_fp_ieee_inexact 0
		.amdhsa_exception_int_div_zero 0
	.end_amdhsa_kernel
	.section	.text._ZN4vllm25paged_attention_v1_kernelI14__hip_bfloat16S1_Li128ELi32ELi128ELNS_18Fp8KVCacheDataTypeE0ELb1EEEvPT_PKS3_PKT0_S9_ifPKiSB_iPKfiiiSD_SD_iiiii,"axG",@progbits,_ZN4vllm25paged_attention_v1_kernelI14__hip_bfloat16S1_Li128ELi32ELi128ELNS_18Fp8KVCacheDataTypeE0ELb1EEEvPT_PKS3_PKT0_S9_ifPKiSB_iPKfiiiSD_SD_iiiii,comdat
.Lfunc_end150:
	.size	_ZN4vllm25paged_attention_v1_kernelI14__hip_bfloat16S1_Li128ELi32ELi128ELNS_18Fp8KVCacheDataTypeE0ELb1EEEvPT_PKS3_PKT0_S9_ifPKiSB_iPKfiiiSD_SD_iiiii, .Lfunc_end150-_ZN4vllm25paged_attention_v1_kernelI14__hip_bfloat16S1_Li128ELi32ELi128ELNS_18Fp8KVCacheDataTypeE0ELb1EEEvPT_PKS3_PKT0_S9_ifPKiSB_iPKfiiiSD_SD_iiiii
                                        ; -- End function
	.section	.AMDGPU.csdata,"",@progbits
; Kernel info:
; codeLenInByte = 14648
; NumSgprs: 51
; NumVgprs: 106
; NumAgprs: 0
; TotalNumVgprs: 106
; ScratchSize: 0
; MemoryBound: 0
; FloatMode: 240
; IeeeMode: 1
; LDSByteSize: 272 bytes/workgroup (compile time only)
; SGPRBlocks: 6
; VGPRBlocks: 13
; NumSGPRsForWavesPerEU: 51
; NumVGPRsForWavesPerEU: 106
; AccumOffset: 108
; Occupancy: 4
; WaveLimiterHint : 1
; COMPUTE_PGM_RSRC2:SCRATCH_EN: 0
; COMPUTE_PGM_RSRC2:USER_SGPR: 2
; COMPUTE_PGM_RSRC2:TRAP_HANDLER: 0
; COMPUTE_PGM_RSRC2:TGID_X_EN: 1
; COMPUTE_PGM_RSRC2:TGID_Y_EN: 1
; COMPUTE_PGM_RSRC2:TGID_Z_EN: 1
; COMPUTE_PGM_RSRC2:TIDIG_COMP_CNT: 0
; COMPUTE_PGM_RSRC3_GFX90A:ACCUM_OFFSET: 26
; COMPUTE_PGM_RSRC3_GFX90A:TG_SPLIT: 0
	.section	.text._ZN4vllm25paged_attention_v1_kernelI14__hip_bfloat16S1_Li192ELi32ELi128ELNS_18Fp8KVCacheDataTypeE0ELb1EEEvPT_PKS3_PKT0_S9_ifPKiSB_iPKfiiiSD_SD_iiiii,"axG",@progbits,_ZN4vllm25paged_attention_v1_kernelI14__hip_bfloat16S1_Li192ELi32ELi128ELNS_18Fp8KVCacheDataTypeE0ELb1EEEvPT_PKS3_PKT0_S9_ifPKiSB_iPKfiiiSD_SD_iiiii,comdat
	.protected	_ZN4vllm25paged_attention_v1_kernelI14__hip_bfloat16S1_Li192ELi32ELi128ELNS_18Fp8KVCacheDataTypeE0ELb1EEEvPT_PKS3_PKT0_S9_ifPKiSB_iPKfiiiSD_SD_iiiii ; -- Begin function _ZN4vllm25paged_attention_v1_kernelI14__hip_bfloat16S1_Li192ELi32ELi128ELNS_18Fp8KVCacheDataTypeE0ELb1EEEvPT_PKS3_PKT0_S9_ifPKiSB_iPKfiiiSD_SD_iiiii
	.globl	_ZN4vllm25paged_attention_v1_kernelI14__hip_bfloat16S1_Li192ELi32ELi128ELNS_18Fp8KVCacheDataTypeE0ELb1EEEvPT_PKS3_PKT0_S9_ifPKiSB_iPKfiiiSD_SD_iiiii
	.p2align	8
	.type	_ZN4vllm25paged_attention_v1_kernelI14__hip_bfloat16S1_Li192ELi32ELi128ELNS_18Fp8KVCacheDataTypeE0ELb1EEEvPT_PKS3_PKT0_S9_ifPKiSB_iPKfiiiSD_SD_iiiii,@function
_ZN4vllm25paged_attention_v1_kernelI14__hip_bfloat16S1_Li192ELi32ELi128ELNS_18Fp8KVCacheDataTypeE0ELb1EEEvPT_PKS3_PKT0_S9_ifPKiSB_iPKfiiiSD_SD_iiiii: ; @_ZN4vllm25paged_attention_v1_kernelI14__hip_bfloat16S1_Li192ELi32ELi128ELNS_18Fp8KVCacheDataTypeE0ELb1EEEvPT_PKS3_PKT0_S9_ifPKiSB_iPKfiiiSD_SD_iiiii
; %bb.0:
	s_load_dword s5, s[0:1], 0x80
	s_load_dwordx2 s[6:7], s[0:1], 0x30
	s_load_dwordx2 s[30:31], s[0:1], 0x20
	s_mov_b32 s10, s3
	s_ashr_i32 s11, s3, 31
	s_lshl_b64 s[8:9], s[10:11], 2
	s_waitcnt lgkmcnt(0)
	s_add_u32 s6, s6, s8
	s_addc_u32 s7, s7, s9
	s_abs_i32 s3, s30
	v_mov_b32_e32 v13, v0
	v_cvt_f32_u32_e32 v0, s3
	s_sub_i32 s11, 0, s3
	s_abs_i32 s9, s5
	s_xor_b32 s8, s5, s30
	v_rcp_iflag_f32_e32 v0, v0
	s_ashr_i32 s8, s8, 31
	s_mov_b32 s42, 0
	v_mul_f32_e32 v0, 0x4f7ffffe, v0
	v_cvt_u32_f32_e32 v0, v0
	s_nop 0
	v_readfirstlane_b32 s12, v0
	s_mul_i32 s11, s11, s12
	s_mul_hi_u32 s11, s12, s11
	s_add_i32 s12, s12, s11
	s_mul_hi_u32 s11, s9, s12
	s_mul_i32 s12, s11, s3
	s_sub_i32 s9, s9, s12
	s_add_i32 s12, s11, 1
	s_sub_i32 s13, s9, s3
	s_cmp_ge_u32 s9, s3
	s_cselect_b32 s11, s12, s11
	s_cselect_b32 s9, s13, s9
	s_add_i32 s12, s11, 1
	s_cmp_ge_u32 s9, s3
	s_cselect_b32 s3, s12, s11
	s_xor_b32 s3, s3, s8
	s_sub_i32 s12, s3, s8
	s_abs_i32 s11, s12
	v_cvt_f32_u32_e32 v0, s11
	s_load_dwordx2 s[8:9], s[0:1], 0x40
	s_sub_i32 s3, 0, s11
	s_abs_i32 s22, s2
	v_rcp_iflag_f32_e32 v0, v0
	s_nop 0
	v_mul_f32_e32 v0, 0x4f7ffffe, v0
	v_cvt_u32_f32_e32 v0, v0
	s_nop 0
	v_readfirstlane_b32 s13, v0
	s_mul_i32 s3, s3, s13
	s_mul_hi_u32 s3, s13, s3
	s_add_i32 s13, s13, s3
	s_waitcnt lgkmcnt(0)
	s_cmp_eq_u64 s[8:9], 0
	s_mul_hi_u32 s23, s22, s13
	s_cbranch_scc1 .LBB151_2
; %bb.1:
	s_ashr_i32 s3, s2, 31
	s_lshl_b64 s[14:15], s[2:3], 2
	s_add_u32 s8, s8, s14
	s_addc_u32 s9, s9, s15
	s_load_dword s42, s[8:9], 0x0
.LBB151_2:
	s_load_dword s33, s[6:7], 0x0
	s_ashr_i32 s9, s12, 31
	s_load_dwordx4 s[12:15], s[0:1], 0x48
	s_ashr_i32 s3, s2, 31
	v_and_b32_e32 v0, 1, v13
	s_movk_i32 s8, 0xc0
	s_mul_i32 s20, s2, 0xc0
	v_cmp_gt_u32_e32 vcc, 48, v13
	v_lshlrev_b32_e32 v48, 3, v13
	s_and_saveexec_b64 s[6:7], vcc
	s_cbranch_execz .LBB151_4
; %bb.3:
	s_load_dwordx2 s[16:17], s[0:1], 0x8
	s_waitcnt lgkmcnt(0)
	s_mul_i32 s18, s10, s12
	s_ashr_i32 s19, s18, 31
	s_lshl_b64 s[18:19], s[18:19], 1
	v_lshlrev_b32_e32 v1, 2, v13
	s_add_u32 s12, s16, s18
	s_addc_u32 s15, s17, s19
	s_ashr_i32 s21, s20, 31
	s_lshl_b64 s[16:17], s[20:21], 1
	s_add_u32 s16, s12, s16
	s_addc_u32 s17, s15, s17
	global_load_dwordx2 v[2:3], v48, s[16:17]
	v_and_b32_e32 v1, 0xff8, v1
	v_mad_u32_u24 v1, v0, s8, v1
	s_waitcnt vmcnt(0)
	ds_write_b64 v1, v[2:3]
.LBB151_4:
	s_or_b64 exec, exec, s[6:7]
	s_mul_i32 s6, s23, s11
	s_sub_i32 s6, s22, s6
	s_xor_b32 s3, s3, s9
	s_add_i32 s7, s23, 1
	s_sub_i32 s9, s6, s11
	s_load_dwordx4 s[16:19], s[0:1], 0x68
	s_load_dword s8, s[0:1], 0x78
	s_cmp_ge_u32 s6, s11
	s_cselect_b32 s7, s7, s23
	s_cselect_b32 s6, s9, s6
	s_add_i32 s9, s7, 1
	s_cmp_ge_u32 s6, s11
	s_cselect_b32 s6, s9, s7
	s_waitcnt lgkmcnt(0)
	s_abs_i32 s21, s19
	v_cvt_f32_u32_e32 v1, s21
	s_xor_b32 s6, s6, s3
	s_sub_i32 s3, s6, s3
	s_sub_i32 s6, 0, s21
	v_rcp_iflag_f32_e32 v1, v1
	s_add_i32 s11, s33, -1
	s_abs_i32 s9, s11
	v_mul_f32_e32 v1, 0x4f7ffffe, v1
	v_cvt_u32_f32_e32 v1, v1
	s_barrier
	v_readfirstlane_b32 s40, v1
	s_mul_i32 s6, s6, s40
	s_mul_hi_u32 s6, s40, s6
	s_add_i32 s40, s40, s6
	s_cmp_lt_i32 s8, 0
	s_mul_hi_u32 s12, s9, s40
	s_cbranch_scc0 .LBB151_6
; %bb.5:
	s_mul_i32 s6, s16, s30
	s_add_i32 s6, s3, s6
	s_mul_i32 s6, s6, s8
	s_sub_i32 s41, 1, s6
	s_mov_b64 s[6:7], 0
	s_branch .LBB151_7
.LBB151_6:
	s_mov_b64 s[6:7], -1
                                        ; implicit-def: $sgpr41
.LBB151_7:
	s_load_dwordx2 s[24:25], s[0:1], 0x28
	s_ashr_i32 s15, s11, 31
	s_andn2_b64 vcc, exec, s[6:7]
	s_ashr_i32 s19, s19, 31
	s_cbranch_vccnz .LBB151_9
; %bb.8:
	s_mul_i32 s6, s5, s16
	s_add_i32 s2, s6, s2
	s_mul_i32 s2, s2, s8
	s_add_i32 s41, s2, 1
.LBB151_9:
	s_load_dword s2, s[0:1], 0x38
	s_load_dwordx2 s[22:23], s[0:1], 0x0
	s_load_dwordx2 s[28:29], s[0:1], 0x18
	s_load_dword s11, s[0:1], 0x88
	s_xor_b32 s6, s15, s19
	s_waitcnt lgkmcnt(0)
	s_mul_i32 s26, s10, s2
	s_mul_i32 s2, s12, s21
	s_sub_i32 s2, s9, s2
	s_ashr_i32 s27, s26, 31
	s_add_i32 s7, s12, 1
	s_sub_i32 s8, s2, s21
	s_cmp_ge_u32 s2, s21
	s_cselect_b32 s7, s7, s12
	s_cselect_b32 s2, s8, s2
	s_add_i32 s8, s7, 1
	s_cmp_ge_u32 s2, s21
	s_cselect_b32 s2, s8, s7
	s_xor_b32 s2, s2, s6
	s_sub_i32 s12, s2, s6
	s_add_i32 s2, s33, 31
	s_ashr_i32 s6, s2, 31
	s_lshr_b32 s6, s6, 27
	s_add_i32 s2, s2, s6
	s_ashr_i32 s16, s2, 5
	v_lshrrev_b32_e32 v1, 6, v13
	v_cmp_gt_i32_e64 s[6:7], s16, v1
	v_mov_b32_e32 v46, 0xff7fffff
	s_mul_i32 s14, s3, s14
	v_lshrrev_b32_e32 v49, 4, v13
	v_lshlrev_b32_e32 v42, 5, v1
	v_mbcnt_lo_u32_b32 v43, -1, 0
	s_mov_b64 s[34:35], exec
	s_and_b64 s[2:3], s[34:35], s[6:7]
	scratch_store_dword off, v13, off offset:52 ; 4-byte Folded Spill
	s_mov_b64 exec, s[2:3]
	s_cbranch_execz .LBB151_19
; %bb.10:
	s_load_dwordx2 s[0:1], s[0:1], 0x10
	s_ashr_i32 s15, s14, 31
	s_sub_i32 s30, s12, s17
	s_lshl_b64 s[2:3], s[14:15], 1
	v_bfe_u32 v44, v13, 1, 5
	s_waitcnt lgkmcnt(0)
	s_add_u32 s0, s0, s2
	s_addc_u32 s1, s1, s3
	s_abs_i32 s15, s18
	v_cvt_f32_u32_e32 v4, s15
	v_lshlrev_b32_e32 v2, 4, v44
	v_mov_b32_e32 v3, 0
	v_cmp_eq_u32_e32 vcc, 0, v0
	v_rcp_iflag_f32_e32 v6, v4
	v_lshl_add_u64 v[4:5], s[0:1], 0, v[2:3]
	v_and_b32_e32 v2, 8, v48
	v_lshl_add_u64 v[10:11], v[4:5], 0, v[2:3]
	v_mul_f32_e32 v2, 0x4f7ffffe, v6
	v_cvt_u32_f32_e32 v2, v2
	s_sub_i32 s0, 0, s15
	v_mul_u32_u24_e32 v45, 0xc0, v0
	v_mbcnt_hi_u32_b32 v54, -1, v43
	v_mul_lo_u32 v0, s0, v2
	v_mul_hi_u32 v0, v2, v0
	v_add_u32_e32 v47, v2, v0
	v_lshlrev_b32_e32 v0, 2, v44
	s_lshl_b64 s[0:1], s[26:27], 2
	v_lshl_or_b32 v0, v1, 7, v0
	s_add_u32 s0, s24, s0
	v_add_u32_e32 v51, 0x190, v0
	v_subrev_u32_e32 v0, s33, v44
	v_and_b32_e32 v2, 60, v49
	s_addc_u32 s1, s25, s1
	v_add_u32_e32 v52, 1, v0
	v_and_b32_e32 v0, 64, v54
	s_mov_b32 s43, s13
	v_cmp_neq_f32_e64 s[2:3], s42, 0
	v_lshl_add_u64 v[12:13], s[0:1], 0, v[2:3]
	v_lshlrev_b32_e32 v50, 5, v1
	s_mov_b64 s[36:37], 0
	v_mov_b32_e32 v53, 0xff7fffff
	s_movk_i32 s44, 0x1000
	s_movk_i32 s45, 0x2000
	v_xor_b32_e32 v55, 1, v54
	v_add_u32_e32 v56, 64, v0
	v_mov_b32_e32 v46, 0xff7fffff
	v_mov_b32_e32 v57, v1
	s_branch .LBB151_13
.LBB151_11:                             ;   in Loop: Header=BB151_13 Depth=1
	s_or_b64 exec, exec, s[38:39]
.LBB151_12:                             ;   in Loop: Header=BB151_13 Depth=1
	s_or_b64 exec, exec, s[8:9]
	v_add_u32_e32 v57, 2, v57
	v_cmp_le_i32_e64 s[0:1], s16, v57
	v_lshl_add_u64 v[12:13], v[12:13], 0, 8
	v_add_u32_e32 v50, 64, v50
	s_or_b64 s[36:37], s[0:1], s[36:37]
	v_add_u32_e32 v51, 0x100, v51
	s_andn2_b64 exec, exec, s[36:37]
	s_cbranch_execz .LBB151_18
.LBB151_13:                             ; =>This Inner Loop Header: Depth=1
	v_mul_hi_u32 v0, v50, s40
	s_waitcnt lgkmcnt(0)
	v_mul_lo_u32 v2, v0, s21
	v_sub_u32_e32 v2, v50, v2
	v_add_u32_e32 v3, 1, v0
	v_cmp_le_u32_e64 s[0:1], s21, v2
	s_nop 1
	v_cndmask_b32_e64 v0, v0, v3, s[0:1]
	v_subrev_u32_e32 v3, s21, v2
	v_cndmask_b32_e64 v2, v2, v3, s[0:1]
	v_add_u32_e32 v3, 1, v0
	v_cmp_le_u32_e64 s[0:1], s21, v2
	s_nop 1
	v_cndmask_b32_e64 v0, v0, v3, s[0:1]
	v_xor_b32_e32 v0, s19, v0
	v_subrev_u32_e32 v0, s19, v0
	v_add_u32_e32 v2, s41, v0
	v_sub_u32_e32 v4, 0, v2
	v_ashrrev_i32_e32 v3, 31, v2
	v_max_i32_e32 v2, v2, v4
	v_mul_hi_u32 v4, v2, v47
	v_mul_lo_u32 v4, v4, s15
	v_sub_u32_e32 v2, v2, v4
	v_subrev_u32_e32 v4, s15, v2
	v_cmp_le_u32_e64 s[0:1], s15, v2
	v_cmp_ge_i32_e64 s[8:9], s30, v0
	s_nop 0
	v_cndmask_b32_e64 v2, v2, v4, s[0:1]
	v_subrev_u32_e32 v4, s15, v2
	v_cmp_le_u32_e64 s[0:1], s15, v2
	s_nop 1
	v_cndmask_b32_e64 v2, v2, v4, s[0:1]
	v_xor_b32_e32 v2, v2, v3
	v_sub_u32_e32 v2, v2, v3
	v_cmp_ne_u32_e64 s[0:1], 0, v2
	s_and_b64 s[0:1], s[0:1], s[8:9]
	s_and_b64 s[38:39], vcc, s[0:1]
	s_and_saveexec_b64 s[8:9], s[38:39]
	s_cbranch_execz .LBB151_15
; %bb.14:                               ;   in Loop: Header=BB151_13 Depth=1
	ds_write_b32 v51, v53
.LBB151_15:                             ;   in Loop: Header=BB151_13 Depth=1
	s_or_b64 exec, exec, s[8:9]
	s_xor_b64 s[0:1], s[0:1], -1
	s_and_saveexec_b64 s[8:9], s[0:1]
	s_cbranch_execz .LBB151_12
; %bb.16:                               ;   in Loop: Header=BB151_13 Depth=1
	global_load_dword v0, v[12:13], off
	ds_read_b128 v[14:17], v45
	ds_read_b128 v[18:21], v45 offset:16
	ds_read_b128 v[22:25], v45 offset:32
	;; [unrolled: 1-line block ×5, first 2 shown]
	s_waitcnt lgkmcnt(5)
	v_lshlrev_b32_e32 v27, 16, v14
	v_lshlrev_b32_e32 v32, 16, v15
	v_and_b32_e32 v59, 0xffff0000, v14
	v_and_b32_e32 v84, 0xffff0000, v15
	v_lshlrev_b32_e32 v33, 16, v16
	v_lshlrev_b32_e32 v39, 16, v17
	s_waitcnt lgkmcnt(4)
	v_lshlrev_b32_e32 v41, 16, v18
	v_lshlrev_b32_e32 v73, 16, v19
	;; [unrolled: 1-line block ×4, first 2 shown]
	v_and_b32_e32 v58, 0xffff0000, v16
	v_and_b32_e32 v60, 0xffff0000, v17
	;; [unrolled: 1-line block ×6, first 2 shown]
	s_waitcnt lgkmcnt(2)
	v_lshlrev_b32_e32 v7, 16, v28
	v_lshlrev_b32_e32 v5, 16, v29
	s_waitcnt lgkmcnt(1)
	v_lshlrev_b32_e32 v72, 16, v68
	v_lshlrev_b32_e32 v65, 16, v69
	;; [unrolled: 3-line block ×3, first 2 shown]
	v_and_b32_e32 v9, 0xffff0000, v28
	v_and_b32_e32 v8, 0xffff0000, v29
	;; [unrolled: 1-line block ×6, first 2 shown]
	v_lshlrev_b32_e32 v81, 16, v23
	v_and_b32_e32 v89, 0xffff0000, v23
	v_lshlrev_b32_e32 v4, 16, v30
	v_lshlrev_b32_e32 v38, 16, v31
	v_and_b32_e32 v6, 0xffff0000, v30
	v_and_b32_e32 v40, 0xffff0000, v31
	v_lshlrev_b32_e32 v82, 16, v24
	v_and_b32_e32 v90, 0xffff0000, v24
	v_lshlrev_b32_e32 v83, 16, v25
	;; [unrolled: 2-line block ×4, first 2 shown]
	v_lshlrev_b32_e32 v34, 16, v67
	v_and_b32_e32 v37, 0xffff0000, v66
	v_and_b32_e32 v36, 0xffff0000, v67
	v_and_b32_e32 v67, 0xffff0000, v76
	v_lshlrev_b32_e32 v61, 16, v77
	v_lshlrev_b32_e32 v62, 16, v76
	v_and_b32_e32 v66, 0xffff0000, v77
	s_waitcnt vmcnt(0)
	v_mad_i64_i32 v[2:3], s[0:1], v0, s43, 0
	v_lshl_add_u64 v[14:15], v[2:3], 1, v[10:11]
	global_load_dwordx2 v[2:3], v[14:15], off offset:512
	global_load_dwordx2 v[16:17], v[14:15], off offset:1024
	;; [unrolled: 1-line block ×3, first 2 shown]
	global_load_dwordx2 v[20:21], v[14:15], off
	global_load_dwordx2 v[74:75], v[14:15], off offset:2560
	global_load_dwordx2 v[28:29], v[14:15], off offset:3584
	s_waitcnt vmcnt(5)
	v_lshlrev_b32_e32 v0, 16, v2
	v_and_b32_e32 v2, 0xffff0000, v2
	v_mul_f32_e32 v58, v58, v2
	s_waitcnt vmcnt(2)
	v_and_b32_e32 v2, 0xffff0000, v20
	v_fmac_f32_e32 v58, v59, v2
	v_lshlrev_b32_e32 v2, 16, v3
	v_mul_f32_e32 v59, v39, v2
	v_lshlrev_b32_e32 v2, 16, v21
	v_and_b32_e32 v3, 0xffff0000, v3
	v_fmac_f32_e32 v59, v32, v2
	v_and_b32_e32 v2, 0xffff0000, v21
	v_mul_f32_e32 v60, v60, v3
	v_lshlrev_b32_e32 v23, 16, v20
	v_fmac_f32_e32 v60, v84, v2
	v_lshlrev_b32_e32 v2, 16, v16
	v_and_b32_e32 v3, 0xffff0000, v16
	v_lshlrev_b32_e32 v20, 16, v17
	v_and_b32_e32 v21, 0xffff0000, v17
	global_load_dwordx2 v[16:17], v[14:15], off offset:2048
	v_mul_f32_e32 v0, v33, v0
	v_fmac_f32_e32 v0, v27, v23
	v_fmac_f32_e32 v0, v41, v2
	;; [unrolled: 1-line block ×3, first 2 shown]
	global_load_dwordx2 v[2:3], v[14:15], off offset:3072
	v_add_co_u32_e64 v32, s[0:1], s44, v14
	v_fmac_f32_e32 v59, v73, v20
	s_nop 0
	v_addc_co_u32_e64 v33, s[0:1], 0, v15, s[0:1]
	v_add_co_u32_e64 v20, s[0:1], s45, v14
	v_fmac_f32_e32 v60, v86, v21
	s_nop 0
	v_addc_co_u32_e64 v21, s[0:1], 0, v15, s[0:1]
	global_load_dwordx2 v[30:31], v[20:21], off offset:-4096
	v_lshlrev_b32_e32 v24, 16, v19
	v_fmac_f32_e32 v59, v79, v24
	global_load_dwordx2 v[24:25], v[32:33], off offset:512
	v_lshlrev_b32_e32 v23, 16, v18
	v_and_b32_e32 v18, 0xffff0000, v18
	v_fmac_f32_e32 v58, v87, v18
	v_fmac_f32_e32 v0, v78, v23
	v_and_b32_e32 v19, 0xffff0000, v19
	v_fmac_f32_e32 v60, v88, v19
	s_waitcnt vmcnt(5)
	v_and_b32_e32 v27, 0xffff0000, v75
	v_cmp_lt_i32_e64 s[0:1], v55, v56
	global_load_dwordx2 v[18:19], v[32:33], off offset:1536
	s_waitcnt vmcnt(4)
	v_and_b32_e32 v15, 0xffff0000, v16
	v_fmac_f32_e32 v58, v22, v15
	global_load_dwordx2 v[22:23], v[32:33], off offset:1024
	v_lshlrev_b32_e32 v14, 16, v16
	v_lshlrev_b32_e32 v16, 16, v17
	v_and_b32_e32 v17, 0xffff0000, v17
	v_fmac_f32_e32 v0, v80, v14
	v_lshlrev_b32_e32 v14, 16, v74
	v_fmac_f32_e32 v59, v81, v16
	v_fmac_f32_e32 v60, v89, v17
	;; [unrolled: 1-line block ×3, first 2 shown]
	global_load_dwordx2 v[16:17], v[32:33], off offset:2048
	v_and_b32_e32 v14, 0xffff0000, v74
	v_fmac_f32_e32 v58, v90, v14
	v_lshlrev_b32_e32 v14, 16, v75
	v_fmac_f32_e32 v59, v83, v14
	global_load_dwordx2 v[14:15], v[32:33], off offset:2560
	s_waitcnt vmcnt(6)
	v_lshlrev_b32_e32 v39, 16, v2
	v_fmac_f32_e32 v60, v26, v27
	global_load_dwordx2 v[26:27], v[32:33], off offset:3072
	v_fmac_f32_e32 v0, v7, v39
	v_and_b32_e32 v2, 0xffff0000, v2
	v_lshlrev_b32_e32 v7, 16, v3
	v_lshlrev_b32_e32 v39, 16, v28
	v_fmac_f32_e32 v58, v9, v2
	v_and_b32_e32 v9, 0xffff0000, v28
	v_fmac_f32_e32 v59, v5, v7
	v_lshlrev_b32_e32 v28, 16, v29
	v_fmac_f32_e32 v0, v4, v39
	v_fmac_f32_e32 v59, v38, v28
	global_load_dwordx2 v[38:39], v[32:33], off offset:3584
	v_and_b32_e32 v3, 0xffff0000, v3
	v_fmac_f32_e32 v60, v8, v3
	v_and_b32_e32 v28, 0xffff0000, v29
	v_fmac_f32_e32 v58, v6, v9
	s_waitcnt vmcnt(7)
	v_lshlrev_b32_e32 v29, 16, v30
	v_fmac_f32_e32 v60, v40, v28
	v_and_b32_e32 v28, 0xffff0000, v30
	v_lshlrev_b32_e32 v30, 16, v31
	v_and_b32_e32 v31, 0xffff0000, v31
	ds_read_b128 v[2:5], v45 offset:96
	ds_read_b128 v[6:9], v45 offset:112
	v_fmac_f32_e32 v0, v35, v29
	v_fmac_f32_e32 v58, v37, v28
	;; [unrolled: 1-line block ×4, first 2 shown]
	global_load_dwordx2 v[40:41], v[20:21], off
	global_load_dwordx2 v[36:37], v[20:21], off offset:512
	global_load_dwordx2 v[34:35], v[20:21], off offset:1024
	;; [unrolled: 1-line block ×3, first 2 shown]
	s_waitcnt vmcnt(10)
	v_lshlrev_b32_e32 v28, 16, v24
	v_fmac_f32_e32 v0, v72, v28
	v_and_b32_e32 v24, 0xffff0000, v24
	v_lshlrev_b32_e32 v28, 16, v25
	v_and_b32_e32 v25, 0xffff0000, v25
	v_fmac_f32_e32 v58, v71, v24
	v_fmac_f32_e32 v59, v65, v28
	;; [unrolled: 1-line block ×3, first 2 shown]
	global_load_dwordx2 v[32:33], v[20:21], off offset:2048
	global_load_dwordx2 v[28:29], v[20:21], off offset:2560
	global_load_dwordx2 v[24:25], v[20:21], off offset:3072
	s_nop 0
	global_load_dwordx2 v[20:21], v[20:21], off offset:3584
	s_waitcnt lgkmcnt(1)
	v_lshlrev_b32_e32 v74, 16, v2
	v_and_b32_e32 v2, 0xffff0000, v2
	v_lshlrev_b32_e32 v75, 16, v3
	v_and_b32_e32 v3, 0xffff0000, v3
	v_cndmask_b32_e64 v73, v54, v55, s[0:1]
	s_waitcnt vmcnt(12)
	v_lshlrev_b32_e32 v65, 16, v22
	v_fmac_f32_e32 v0, v64, v65
	v_and_b32_e32 v22, 0xffff0000, v22
	v_lshlrev_b32_e32 v64, 16, v23
	v_and_b32_e32 v23, 0xffff0000, v23
	v_fmac_f32_e32 v58, v69, v22
	v_fmac_f32_e32 v60, v68, v23
	v_lshlrev_b32_e32 v23, 16, v18
	v_and_b32_e32 v18, 0xffff0000, v18
	v_fmac_f32_e32 v59, v63, v64
	v_fmac_f32_e32 v58, v67, v18
	v_lshlrev_b32_e32 v18, 16, v19
	v_and_b32_e32 v19, 0xffff0000, v19
	v_fmac_f32_e32 v59, v61, v18
	s_waitcnt vmcnt(11)
	v_lshlrev_b32_e32 v18, 16, v16
	v_and_b32_e32 v16, 0xffff0000, v16
	v_fmac_f32_e32 v0, v62, v23
	v_fmac_f32_e32 v60, v66, v19
	;; [unrolled: 1-line block ×3, first 2 shown]
	v_lshlrev_b32_e32 v2, 16, v17
	v_and_b32_e32 v16, 0xffff0000, v17
	v_fmac_f32_e32 v0, v74, v18
	v_fmac_f32_e32 v59, v75, v2
	;; [unrolled: 1-line block ×3, first 2 shown]
	v_lshlrev_b32_e32 v2, 16, v4
	v_and_b32_e32 v3, 0xffff0000, v4
	s_waitcnt vmcnt(10)
	v_lshlrev_b32_e32 v4, 16, v14
	v_and_b32_e32 v14, 0xffff0000, v14
	v_fmac_f32_e32 v0, v4, v2
	v_fmac_f32_e32 v58, v14, v3
	v_lshlrev_b32_e32 v2, 16, v5
	v_and_b32_e32 v3, 0xffff0000, v5
	v_lshlrev_b32_e32 v4, 16, v15
	v_and_b32_e32 v5, 0xffff0000, v15
	v_fmac_f32_e32 v59, v4, v2
	v_fmac_f32_e32 v60, v5, v3
	s_waitcnt lgkmcnt(0)
	v_lshlrev_b32_e32 v2, 16, v6
	v_and_b32_e32 v3, 0xffff0000, v6
	s_waitcnt vmcnt(9)
	v_lshlrev_b32_e32 v4, 16, v26
	v_and_b32_e32 v5, 0xffff0000, v26
	v_fmac_f32_e32 v0, v4, v2
	v_fmac_f32_e32 v58, v5, v3
	v_lshlrev_b32_e32 v2, 16, v7
	v_and_b32_e32 v3, 0xffff0000, v7
	v_lshlrev_b32_e32 v4, 16, v27
	v_and_b32_e32 v5, 0xffff0000, v27
	v_fmac_f32_e32 v59, v4, v2
	v_fmac_f32_e32 v60, v5, v3
	v_lshlrev_b32_e32 v2, 16, v8
	v_and_b32_e32 v3, 0xffff0000, v8
	s_waitcnt vmcnt(8)
	v_lshlrev_b32_e32 v4, 16, v38
	v_and_b32_e32 v5, 0xffff0000, v38
	v_fmac_f32_e32 v0, v4, v2
	v_fmac_f32_e32 v58, v5, v3
	ds_read_b128 v[2:5], v45 offset:128
	v_lshlrev_b32_e32 v6, 16, v9
	v_and_b32_e32 v7, 0xffff0000, v9
	v_lshlrev_b32_e32 v8, 16, v39
	v_and_b32_e32 v9, 0xffff0000, v39
	v_fmac_f32_e32 v59, v8, v6
	v_fmac_f32_e32 v60, v9, v7
	ds_read_b128 v[6:9], v45 offset:144
	s_waitcnt lgkmcnt(1)
	v_lshlrev_b32_e32 v14, 16, v2
	v_and_b32_e32 v2, 0xffff0000, v2
	s_waitcnt vmcnt(7)
	v_lshlrev_b32_e32 v15, 16, v40
	v_and_b32_e32 v16, 0xffff0000, v40
	v_fmac_f32_e32 v0, v15, v14
	v_fmac_f32_e32 v58, v16, v2
	v_lshlrev_b32_e32 v2, 16, v3
	v_and_b32_e32 v3, 0xffff0000, v3
	v_lshlrev_b32_e32 v14, 16, v41
	v_and_b32_e32 v15, 0xffff0000, v41
	v_fmac_f32_e32 v59, v14, v2
	v_fmac_f32_e32 v60, v15, v3
	v_lshlrev_b32_e32 v2, 16, v4
	v_and_b32_e32 v3, 0xffff0000, v4
	s_waitcnt vmcnt(6)
	v_lshlrev_b32_e32 v4, 16, v36
	v_and_b32_e32 v14, 0xffff0000, v36
	v_fmac_f32_e32 v0, v4, v2
	v_fmac_f32_e32 v58, v14, v3
	v_lshlrev_b32_e32 v2, 16, v5
	v_and_b32_e32 v3, 0xffff0000, v5
	v_lshlrev_b32_e32 v4, 16, v37
	v_and_b32_e32 v5, 0xffff0000, v37
	v_fmac_f32_e32 v59, v4, v2
	v_fmac_f32_e32 v60, v5, v3
	s_waitcnt lgkmcnt(0)
	v_lshlrev_b32_e32 v2, 16, v6
	v_and_b32_e32 v3, 0xffff0000, v6
	s_waitcnt vmcnt(5)
	v_lshlrev_b32_e32 v4, 16, v34
	v_and_b32_e32 v5, 0xffff0000, v34
	v_fmac_f32_e32 v0, v4, v2
	v_fmac_f32_e32 v58, v5, v3
	v_lshlrev_b32_e32 v2, 16, v7
	v_and_b32_e32 v3, 0xffff0000, v7
	v_lshlrev_b32_e32 v4, 16, v35
	v_and_b32_e32 v5, 0xffff0000, v35
	v_fmac_f32_e32 v59, v4, v2
	v_fmac_f32_e32 v60, v5, v3
	v_lshlrev_b32_e32 v2, 16, v8
	v_and_b32_e32 v3, 0xffff0000, v8
	s_waitcnt vmcnt(4)
	v_lshlrev_b32_e32 v4, 16, v30
	v_and_b32_e32 v5, 0xffff0000, v30
	v_fmac_f32_e32 v0, v4, v2
	v_fmac_f32_e32 v58, v5, v3
	ds_read_b128 v[2:5], v45 offset:160
	v_lshlrev_b32_e32 v6, 16, v9
	v_and_b32_e32 v7, 0xffff0000, v9
	v_lshlrev_b32_e32 v8, 16, v31
	v_and_b32_e32 v9, 0xffff0000, v31
	v_fmac_f32_e32 v59, v8, v6
	v_fmac_f32_e32 v60, v9, v7
	ds_read_b128 v[6:9], v45 offset:176
	s_waitcnt lgkmcnt(1)
	v_lshlrev_b32_e32 v14, 16, v2
	v_and_b32_e32 v2, 0xffff0000, v2
	s_waitcnt vmcnt(3)
	v_lshlrev_b32_e32 v15, 16, v32
	v_and_b32_e32 v16, 0xffff0000, v32
	v_fmac_f32_e32 v0, v15, v14
	v_fmac_f32_e32 v58, v16, v2
	v_lshlrev_b32_e32 v2, 16, v3
	v_and_b32_e32 v3, 0xffff0000, v3
	v_lshlrev_b32_e32 v14, 16, v33
	v_and_b32_e32 v15, 0xffff0000, v33
	v_fmac_f32_e32 v59, v14, v2
	v_fmac_f32_e32 v60, v15, v3
	v_lshlrev_b32_e32 v2, 16, v4
	v_and_b32_e32 v3, 0xffff0000, v4
	s_waitcnt vmcnt(2)
	v_lshlrev_b32_e32 v4, 16, v28
	v_and_b32_e32 v14, 0xffff0000, v28
	v_fmac_f32_e32 v0, v4, v2
	v_fmac_f32_e32 v58, v14, v3
	v_lshlrev_b32_e32 v2, 16, v5
	v_and_b32_e32 v3, 0xffff0000, v5
	v_lshlrev_b32_e32 v4, 16, v29
	v_and_b32_e32 v5, 0xffff0000, v29
	v_fmac_f32_e32 v59, v4, v2
	v_fmac_f32_e32 v60, v5, v3
	s_waitcnt lgkmcnt(0)
	v_lshlrev_b32_e32 v2, 16, v6
	v_and_b32_e32 v3, 0xffff0000, v6
	s_waitcnt vmcnt(1)
	v_lshlrev_b32_e32 v4, 16, v24
	v_and_b32_e32 v5, 0xffff0000, v24
	v_fmac_f32_e32 v0, v4, v2
	v_fmac_f32_e32 v58, v5, v3
	v_lshlrev_b32_e32 v2, 16, v7
	v_and_b32_e32 v3, 0xffff0000, v7
	v_lshlrev_b32_e32 v4, 16, v25
	v_and_b32_e32 v5, 0xffff0000, v25
	v_fmac_f32_e32 v59, v4, v2
	v_fmac_f32_e32 v60, v5, v3
	v_lshlrev_b32_e32 v2, 16, v8
	v_and_b32_e32 v3, 0xffff0000, v8
	s_waitcnt vmcnt(0)
	v_lshlrev_b32_e32 v4, 16, v20
	v_and_b32_e32 v5, 0xffff0000, v20
	v_fmac_f32_e32 v0, v4, v2
	v_fmac_f32_e32 v58, v5, v3
	v_lshlrev_b32_e32 v2, 16, v9
	v_lshlrev_b32_e32 v4, 16, v21
	v_and_b32_e32 v3, 0xffff0000, v9
	v_and_b32_e32 v5, 0xffff0000, v21
	v_fmac_f32_e32 v59, v4, v2
	v_add_f32_e32 v0, v0, v58
	v_fmac_f32_e32 v60, v5, v3
	v_add_f32_e32 v0, v0, v59
	v_lshlrev_b32_e32 v22, 2, v73
	v_add_f32_e32 v0, v60, v0
	ds_bpermute_b32 v2, v22, v0
	s_and_saveexec_b64 s[38:39], vcc
	s_cbranch_execz .LBB151_11
; %bb.17:                               ;   in Loop: Header=BB151_13 Depth=1
	v_add_u32_e32 v3, v52, v50
	v_cvt_f32_i32_e32 v3, v3
	s_waitcnt lgkmcnt(0)
	v_add_f32_e32 v0, v0, v2
	v_add_u32_e32 v4, v44, v50
	v_cmp_gt_i32_e64 s[0:1], s33, v4
	v_mul_f32_e32 v2, s42, v3
	v_cndmask_b32_e64 v2, 0, v2, s[2:3]
	v_fmac_f32_e32 v2, s31, v0
	v_cndmask_b32_e64 v0, 0, v2, s[0:1]
	ds_write_b32 v51, v0
	v_max_f32_e32 v0, v46, v46
	v_max_f32_e32 v0, v0, v2
	v_cndmask_b32_e64 v46, v46, v0, s[0:1]
	s_branch .LBB151_11
.LBB151_18:
	s_or_b64 exec, exec, s[36:37]
	scratch_load_dword v13, off, off offset:52 ; 4-byte Folded Reload
.LBB151_19:
	s_or_b64 exec, exec, s[34:35]
	v_mbcnt_hi_u32_b32 v7, -1, v43
	v_and_b32_e32 v0, 64, v7
	v_add_u32_e32 v8, 64, v0
	v_xor_b32_e32 v0, 32, v7
	v_cmp_lt_i32_e32 vcc, v0, v8
	v_xor_b32_e32 v4, 16, v7
	v_max_f32_e32 v3, v46, v46
	v_cndmask_b32_e32 v0, v7, v0, vcc
	v_lshlrev_b32_e32 v0, 2, v0
	s_waitcnt lgkmcnt(0)
	ds_bpermute_b32 v2, v0, v46
	v_cmp_lt_i32_e32 vcc, v4, v8
	v_xor_b32_e32 v5, 8, v7
	v_xor_b32_e32 v6, 4, v7
	;; [unrolled: 1-line block ×3, first 2 shown]
	s_waitcnt lgkmcnt(0)
	v_max_f32_e32 v2, v2, v2
	v_max_f32_e32 v3, v3, v2
	v_cndmask_b32_e32 v2, v7, v4, vcc
	v_lshlrev_b32_e32 v2, 2, v2
	ds_bpermute_b32 v4, v2, v3
	v_cmp_lt_i32_e32 vcc, v5, v8
	s_waitcnt vmcnt(0)
	v_and_b32_e32 v24, 63, v13
	s_waitcnt lgkmcnt(0)
	v_max_f32_e32 v4, v4, v4
	v_max_f32_e32 v4, v3, v4
	v_cndmask_b32_e32 v3, v7, v5, vcc
	v_lshlrev_b32_e32 v3, 2, v3
	ds_bpermute_b32 v5, v3, v4
	v_cmp_lt_i32_e32 vcc, v6, v8
	s_waitcnt lgkmcnt(0)
	v_max_f32_e32 v5, v5, v5
	v_max_f32_e32 v5, v4, v5
	v_cndmask_b32_e32 v4, v7, v6, vcc
	v_lshlrev_b32_e32 v4, 2, v4
	ds_bpermute_b32 v6, v4, v5
	v_cmp_lt_i32_e32 vcc, v9, v8
	s_waitcnt lgkmcnt(0)
	v_max_f32_e32 v6, v6, v6
	v_max_f32_e32 v6, v5, v6
	v_cndmask_b32_e32 v5, v7, v9, vcc
	v_lshlrev_b32_e32 v25, 2, v5
	ds_bpermute_b32 v9, v25, v6
	v_cmp_eq_u32_e32 vcc, 0, v24
	v_lshlrev_b32_e32 v5, 2, v1
	s_and_saveexec_b64 s[0:1], vcc
	s_cbranch_execz .LBB151_21
; %bb.20:
	s_waitcnt lgkmcnt(0)
	v_max_f32_e32 v9, v9, v9
	v_max_f32_e32 v6, v6, v6
	;; [unrolled: 1-line block ×3, first 2 shown]
	ds_write_b32 v5, v6 offset:384
.LBB151_21:
	s_or_b64 exec, exec, s[0:1]
	v_cmp_gt_u32_e64 s[0:1], 2, v24
	s_waitcnt lgkmcnt(0)
	v_mov_b32_e32 v9, 0xff7fffff
	v_lshlrev_b32_e32 v6, 2, v24
	s_barrier
	s_and_saveexec_b64 s[2:3], s[0:1]
	s_cbranch_execz .LBB151_23
; %bb.22:
	ds_read_b32 v9, v6 offset:384
.LBB151_23:
	s_or_b64 exec, exec, s[2:3]
	v_xor_b32_e32 v10, 1, v7
	v_cmp_lt_i32_e64 s[2:3], v10, v8
	s_nop 1
	v_cndmask_b32_e64 v8, v7, v10, s[2:3]
	v_lshlrev_b32_e32 v27, 2, v8
	s_waitcnt lgkmcnt(0)
	ds_bpermute_b32 v8, v27, v9
	v_max_f32_e32 v9, v9, v9
	v_lshlrev_b32_e32 v7, 2, v7
	v_and_b32_e32 v7, 0x100, v7
	s_lshl_b32 s2, s16, 5
	s_waitcnt lgkmcnt(0)
	v_max_f32_e32 v8, v8, v8
	v_max_f32_e32 v8, v9, v8
	ds_bpermute_b32 v9, v7, v8
	s_min_i32 s15, s2, s33
	v_cmp_gt_i32_e64 s[2:3], s15, v13
	v_mov_b32_e32 v8, 0
	s_and_saveexec_b64 s[30:31], s[2:3]
	s_cbranch_execz .LBB151_27
; %bb.24:
	v_mov_b32_e32 v8, 0x190
	v_lshl_add_u32 v10, v13, 2, v8
	s_mov_b64 s[34:35], 0
	v_mov_b32_e32 v8, 0
	v_mov_b32_e32 v11, v13
.LBB151_25:                             ; =>This Inner Loop Header: Depth=1
	ds_read_b32 v12, v10
	v_add_u32_e32 v11, 0x80, v11
	v_cmp_le_i32_e64 s[8:9], s15, v11
	s_or_b64 s[34:35], s[8:9], s[34:35]
	s_waitcnt lgkmcnt(0)
	v_sub_f32_e32 v12, v12, v9
	v_mul_f32_e32 v12, 0x3fb8aa3b, v12
	v_exp_f32_e32 v12, v12
	ds_write_b32 v10, v12
	v_add_f32_e32 v8, v8, v12
	v_add_u32_e32 v10, 0x200, v10
	s_andn2_b64 exec, exec, s[34:35]
	s_cbranch_execnz .LBB151_25
; %bb.26:
	s_or_b64 exec, exec, s[34:35]
.LBB151_27:
	s_or_b64 exec, exec, s[30:31]
	ds_bpermute_b32 v0, v0, v8
	s_waitcnt lgkmcnt(0)
	v_add_f32_e32 v0, v8, v0
	ds_bpermute_b32 v2, v2, v0
	s_waitcnt lgkmcnt(0)
	v_add_f32_e32 v0, v0, v2
	ds_bpermute_b32 v2, v3, v0
	s_waitcnt lgkmcnt(0)
	v_add_f32_e32 v0, v0, v2
	ds_bpermute_b32 v2, v4, v0
	s_waitcnt lgkmcnt(0)
	v_add_f32_e32 v0, v0, v2
	ds_bpermute_b32 v2, v25, v0
	s_waitcnt lgkmcnt(0)
	v_add_f32_e32 v0, v0, v2
	ds_bpermute_b32 v2, v27, v0
	s_waitcnt lgkmcnt(0)
	v_add_f32_e32 v0, v0, v2
	s_and_saveexec_b64 s[8:9], vcc
	s_cbranch_execz .LBB151_29
; %bb.28:
	ds_write_b32 v5, v0 offset:392
.LBB151_29:
	s_or_b64 exec, exec, s[8:9]
	s_waitcnt lgkmcnt(0)
	s_barrier
	s_and_saveexec_b64 s[8:9], s[0:1]
	s_cbranch_execz .LBB151_31
; %bb.30:
	ds_read_b32 v0, v6 offset:392
.LBB151_31:
	s_or_b64 exec, exec, s[8:9]
	s_waitcnt lgkmcnt(0)
	ds_bpermute_b32 v2, v27, v0
	s_waitcnt lgkmcnt(0)
	v_add_f32_e32 v0, v0, v2
	ds_bpermute_b32 v0, v7, v0
	s_and_saveexec_b64 s[0:1], s[2:3]
	s_cbranch_execz .LBB151_44
; %bb.32:
	s_waitcnt lgkmcnt(0)
	v_add_f32_e32 v0, 0x358637bd, v0
	v_div_scale_f32 v2, s[2:3], v0, v0, 1.0
	v_rcp_f32_e32 v3, v2
	v_div_scale_f32 v4, vcc, 1.0, v0, 1.0
	s_movk_i32 s2, 0x7f
	v_fma_f32 v5, -v2, v3, 1.0
	v_fmac_f32_e32 v3, v5, v3
	v_mul_f32_e32 v5, v4, v3
	v_fma_f32 v6, -v2, v5, v4
	v_fmac_f32_e32 v5, v6, v3
	v_fma_f32 v2, -v2, v5, v4
	v_div_fmas_f32 v2, v2, v3, v5
	v_xad_u32 v3, v13, -1, s15
	v_div_fixup_f32 v2, v2, v0, 1.0
	v_cmp_lt_u32_e32 vcc, s2, v3
	s_mov_b64 s[8:9], -1
	v_mov_b32_e32 v0, v13
	s_and_saveexec_b64 s[2:3], vcc
	s_cbranch_execz .LBB151_41
; %bb.33:
	v_lshrrev_b32_e32 v0, 7, v3
	v_add_u32_e32 v5, -1, v0
	v_lshrrev_b32_e32 v4, 1, v5
	v_mov_b32_e32 v3, v2
	v_add_u32_e32 v4, 1, v4
	v_cmp_lt_u32_e32 vcc, 13, v5
	v_mov_b32_e32 v7, 0
	s_and_saveexec_b64 s[8:9], vcc
	s_cbranch_execz .LBB151_37
; %bb.34:
	v_mov_b32_e32 v6, 0x190
	v_and_b32_e32 v5, -8, v4
	v_lshl_add_u32 v6, v13, 2, v6
	s_mov_b32 s34, 0
	s_mov_b64 s[30:31], 0
.LBB151_35:                             ; =>This Inner Loop Header: Depth=1
	ds_read2st64_b32 v[8:9], v6 offset1:2
	ds_read2st64_b32 v[10:11], v6 offset0:4 offset1:6
	ds_read2st64_b32 v[12:13], v6 offset0:8 offset1:10
	;; [unrolled: 1-line block ×3, first 2 shown]
	v_add_u32_e32 v5, -8, v5
	s_waitcnt lgkmcnt(3)
	v_pk_mul_f32 v[8:9], v[2:3], v[8:9]
	s_waitcnt lgkmcnt(2)
	v_pk_mul_f32 v[10:11], v[2:3], v[10:11]
	ds_write2st64_b32 v6, v8, v9 offset1:2
	ds_write2st64_b32 v6, v10, v11 offset0:4 offset1:6
	ds_read2st64_b32 v[10:11], v6 offset0:16 offset1:18
	s_waitcnt lgkmcnt(4)
	v_pk_mul_f32 v[8:9], v[2:3], v[12:13]
	ds_write2st64_b32 v6, v8, v9 offset0:8 offset1:10
	s_waitcnt lgkmcnt(4)
	v_pk_mul_f32 v[8:9], v[2:3], v[14:15]
	ds_write2st64_b32 v6, v8, v9 offset0:12 offset1:14
	ds_read2st64_b32 v[8:9], v6 offset0:20 offset1:22
	s_waitcnt lgkmcnt(3)
	v_pk_mul_f32 v[10:11], v[2:3], v[10:11]
	ds_read2st64_b32 v[12:13], v6 offset0:24 offset1:26
	ds_write2st64_b32 v6, v10, v11 offset0:16 offset1:18
	ds_read2st64_b32 v[10:11], v6 offset0:28 offset1:30
	s_waitcnt lgkmcnt(3)
	v_pk_mul_f32 v[8:9], v[2:3], v[8:9]
	ds_write2st64_b32 v6, v8, v9 offset0:20 offset1:22
	s_waitcnt lgkmcnt(3)
	v_pk_mul_f32 v[8:9], v[2:3], v[12:13]
	ds_write2st64_b32 v6, v8, v9 offset0:24 offset1:26
	s_waitcnt lgkmcnt(2)
	v_pk_mul_f32 v[8:9], v[2:3], v[10:11]
	s_add_i32 s34, s34, 16
	v_cmp_eq_u32_e32 vcc, 0, v5
	ds_write2st64_b32 v6, v8, v9 offset0:28 offset1:30
	v_add_u32_e32 v6, 0x2000, v6
	s_or_b64 s[30:31], vcc, s[30:31]
	v_mov_b32_e32 v7, s34
	s_andn2_b64 exec, exec, s[30:31]
	s_cbranch_execnz .LBB151_35
; %bb.36:
	s_or_b64 exec, exec, s[30:31]
	scratch_load_dword v13, off, off offset:52 ; 4-byte Folded Reload
.LBB151_37:
	s_or_b64 exec, exec, s[8:9]
	v_and_b32_e32 v4, 7, v4
	v_cmp_ne_u32_e32 vcc, 0, v4
	s_and_saveexec_b64 s[8:9], vcc
	s_cbranch_execz .LBB151_40
; %bb.38:
	v_lshlrev_b32_e32 v5, 9, v7
	s_waitcnt vmcnt(0)
	v_lshlrev_b32_e32 v6, 2, v13
	s_movk_i32 s30, 0x190
	v_add3_u32 v5, v5, v6, s30
	s_mov_b64 s[30:31], 0
.LBB151_39:                             ; =>This Inner Loop Header: Depth=1
	ds_read2st64_b32 v[6:7], v5 offset1:2
	v_add_u32_e32 v4, -1, v4
	v_cmp_eq_u32_e32 vcc, 0, v4
	s_or_b64 s[30:31], vcc, s[30:31]
	s_waitcnt lgkmcnt(0)
	v_pk_mul_f32 v[6:7], v[2:3], v[6:7]
	ds_write2st64_b32 v5, v6, v7 offset1:2
	v_add_u32_e32 v5, 0x400, v5
	s_andn2_b64 exec, exec, s[30:31]
	s_cbranch_execnz .LBB151_39
.LBB151_40:
	s_or_b64 exec, exec, s[8:9]
	v_add_u32_e32 v3, 1, v0
	v_and_b32_e32 v4, 0x3fffffe, v3
	v_cmp_ne_u32_e32 vcc, v3, v4
	s_waitcnt vmcnt(0)
	v_lshl_add_u32 v0, v4, 7, v13
	s_orn2_b64 s[8:9], vcc, exec
.LBB151_41:
	s_or_b64 exec, exec, s[2:3]
	s_and_b64 exec, exec, s[8:9]
	s_cbranch_execz .LBB151_44
; %bb.42:
	v_mov_b32_e32 v3, 0x190
	v_lshl_add_u32 v3, v0, 2, v3
	s_mov_b64 s[2:3], 0
.LBB151_43:                             ; =>This Inner Loop Header: Depth=1
	ds_read_b32 v4, v3
	v_add_u32_e32 v0, 0x80, v0
	v_cmp_le_i32_e32 vcc, s15, v0
	s_or_b64 s[2:3], vcc, s[2:3]
	s_waitcnt lgkmcnt(0)
	v_mul_f32_e32 v4, v2, v4
	ds_write_b32 v3, v4
	v_add_u32_e32 v3, 0x200, v3
	s_andn2_b64 exec, exec, s[2:3]
	s_cbranch_execnz .LBB151_43
.LBB151_44:
	s_or_b64 exec, exec, s[0:1]
	v_mov_b32_e32 v22, 0
	v_and_b32_e32 v26, 3, v13
	v_mov_b32_e32 v23, 0
	v_mov_b32_e32 v18, 0
	;; [unrolled: 1-line block ×11, first 2 shown]
	s_waitcnt lgkmcnt(0)
	s_barrier
	s_and_saveexec_b64 s[2:3], s[6:7]
	s_cbranch_execz .LBB151_490
; %bb.45:
	s_ashr_i32 s15, s14, 31
	s_sub_i32 s17, s12, s17
	s_lshl_b64 s[0:1], s[14:15], 1
	s_add_u32 s6, s28, s0
	s_addc_u32 s7, s29, s1
	s_abs_i32 s18, s18
	v_cvt_f32_u32_e32 v3, s18
	s_sub_i32 s0, 0, s18
	v_and_b32_e32 v0, 24, v48
	s_add_i32 s28, s16, -1
	v_rcp_iflag_f32_e32 v3, v3
	scratch_store_dword off, v27, off offset:68 ; 4-byte Folded Spill
	scratch_store_dword off, v25, off offset:64 ; 4-byte Folded Spill
	;; [unrolled: 1-line block ×4, first 2 shown]
	v_and_b32_e32 v0, 0x1f8, v48
	v_mul_f32_e32 v3, 0x4f7ffffe, v3
	v_cvt_u32_f32_e32 v3, v3
	v_mov_b32_e32 v21, 0
	v_or_b32_e32 v2, 0x800, v0
	v_or_b32_e32 v4, 0xa00, v0
	v_mul_lo_u32 v5, s0, v3
	v_mul_hi_u32 v5, v3, v5
	v_add_u32_e32 v3, v3, v5
	s_lshl_b64 s[0:1], s[26:27], 2
	scratch_store_dword off, v3, off        ; 4-byte Folded Spill
	s_add_u32 s0, s24, s0
	v_lshlrev_b32_e32 v3, 5, v26
	v_or_b32_e32 v6, 0xc00, v0
	v_or_b32_e32 v8, 0xe00, v0
	;; [unrolled: 1-line block ×6, first 2 shown]
	v_and_b32_e32 v20, 60, v49
	s_addc_u32 s1, s25, s1
	v_lshl_or_b32 v3, v1, 7, v3
	s_mov_b32 s30, s13
	v_lshl_add_u64 v[24:25], s[0:1], 0, v[20:21]
	scratch_store_dword off, v26, off offset:60 ; 4-byte Folded Spill
	v_add_u32_e32 v49, 0x190, v3
	s_mov_b64 s[8:9], 0
	s_mov_b32 s24, 0x7f800000
	s_movk_i32 s25, 0x7fff
	v_lshlrev_b32_e32 v20, 1, v0
	v_lshlrev_b32_e32 v26, 1, v2
	;; [unrolled: 1-line block ×9, first 2 shown]
	v_mov_b32_e32 v11, v21
	v_mov_b32_e32 v10, v21
	;; [unrolled: 1-line block ×12, first 2 shown]
	s_branch .LBB151_48
.LBB151_46:                             ;   in Loop: Header=BB151_48 Depth=1
	s_or_b64 exec, exec, s[0:1]
	v_and_b32_e32 v55, 0xffff0000, v55
	v_and_b32_e32 v54, 0xffff0000, v54
	;; [unrolled: 1-line block ×6, first 2 shown]
	v_add_f32_e32 v39, v39, v53
	v_add_f32_e32 v53, v54, v55
	v_and_b32_e32 v58, 0xffff0000, v58
	v_and_b32_e32 v60, 0xffff0000, v60
	v_add_f32_e32 v39, v39, v53
	v_add_f32_e32 v53, v56, v57
	;; [unrolled: 1-line block ×5, first 2 shown]
	v_and_b32_e32 v48, 0xffff0000, v48
	v_and_b32_e32 v46, 0xffff0000, v46
	;; [unrolled: 1-line block ×4, first 2 shown]
	v_add_f32_e32 v10, v10, v39
	v_and_b32_e32 v0, 0xffff0000, v0
	v_and_b32_e32 v39, 0xffff0000, v50
	v_add_f32_e32 v37, v37, v45
	v_add_f32_e32 v45, v46, v48
	v_and_b32_e32 v50, 0xffff0000, v51
	v_and_b32_e32 v51, 0xffff0000, v52
	v_add_f32_e32 v37, v37, v45
	v_add_f32_e32 v0, v39, v0
	;; [unrolled: 1-line block ×6, first 2 shown]
	v_and_b32_e32 v0, 0xffff0000, v44
	v_and_b32_e32 v39, 0xffff0000, v126
	;; [unrolled: 1-line block ×6, first 2 shown]
	v_add_f32_e32 v35, v35, v45
	v_add_f32_e32 v39, v44, v39
	v_and_b32_e32 v43, 0xffff0000, v43
	v_and_b32_e32 v46, 0xffff0000, v47
	v_add_f32_e32 v35, v35, v39
	v_add_f32_e32 v0, v37, v0
	v_add_f32_e32 v0, v35, v0
	v_add_f32_e32 v35, v43, v46
	v_add_f32_e32 v0, v0, v35
	v_and_b32_e32 v37, 0xffff0000, v119
	v_and_b32_e32 v39, 0xffff0000, v118
	v_and_b32_e32 v43, 0xffff0000, v117
	v_and_b32_e32 v33, 0xffff0000, v33
	v_add_f32_e32 v12, v12, v0
	v_and_b32_e32 v0, 0xffff0000, v121
	v_and_b32_e32 v35, 0xffff0000, v120
	v_add_f32_e32 v33, v33, v43
	v_add_f32_e32 v37, v39, v37
	v_and_b32_e32 v44, 0xffff0000, v122
	v_and_b32_e32 v45, 0xffff0000, v123
	v_add_f32_e32 v33, v33, v37
	v_add_f32_e32 v0, v35, v0
	v_add_f32_e32 v0, v33, v0
	v_add_f32_e32 v33, v44, v45
	v_add_f32_e32 v0, v0, v33
	v_and_b32_e32 v35, 0xffff0000, v112
	v_and_b32_e32 v37, 0xffff0000, v111
	v_and_b32_e32 v39, 0xffff0000, v110
	v_and_b32_e32 v31, 0xffff0000, v31
	v_add_f32_e32 v15, v15, v0
	v_and_b32_e32 v0, 0xffff0000, v114
	v_and_b32_e32 v33, 0xffff0000, v113
	;; [unrolled: 16-line block ×5, first 2 shown]
	v_add_f32_e32 v8, v8, v9
	v_add_f32_e32 v9, v31, v29
	;; [unrolled: 1-line block ×4, first 2 shown]
	v_and_b32_e32 v9, 0xffff0000, v85
	v_and_b32_e32 v27, 0xffff0000, v84
	;; [unrolled: 1-line block ×4, first 2 shown]
	v_add_f32_e32 v29, v31, v29
	v_add_f32_e32 v9, v27, v9
	;; [unrolled: 1-line block ×3, first 2 shown]
	scratch_load_dword v27, off, off offset:44 ; 4-byte Folded Reload
	scratch_load_dword v29, off, off offset:40 ; 4-byte Folded Reload
	;; [unrolled: 1-line block ×3, first 2 shown]
	v_and_b32_e32 v33, 0xffff0000, v94
	v_and_b32_e32 v35, 0xffff0000, v95
	v_add_f32_e32 v0, v8, v0
	v_add_f32_e32 v8, v33, v35
	;; [unrolled: 1-line block ×4, first 2 shown]
	v_and_b32_e32 v0, 0xffff0000, v87
	v_and_b32_e32 v8, 0xffff0000, v86
	;; [unrolled: 1-line block ×4, first 2 shown]
	v_add_f32_e32 v0, v8, v0
	v_add_f32_e32 v0, v9, v0
	;; [unrolled: 1-line block ×4, first 2 shown]
	v_and_b32_e32 v9, 0xffff0000, v77
	v_add_f32_e32 v18, v18, v0
	v_and_b32_e32 v0, 0xffff0000, v79
	v_and_b32_e32 v8, 0xffff0000, v78
	;; [unrolled: 1-line block ×4, first 2 shown]
	v_add_f32_e32 v0, v8, v0
	v_add_f32_e32 v8, v33, v35
	scratch_load_dword v33, off, off offset:28 ; 4-byte Folded Reload
	scratch_load_dword v35, off, off offset:32 ; 4-byte Folded Reload
	v_and_b32_e32 v7, 0xffff0000, v7
	v_and_b32_e32 v6, 0xffff0000, v6
	;; [unrolled: 1-line block ×6, first 2 shown]
	v_pk_add_f32 v[2:3], v[2:3], v[6:7]
	s_waitcnt vmcnt(4)
	v_and_b32_e32 v27, 0xffff0000, v27
	s_waitcnt vmcnt(3)
	v_and_b32_e32 v29, 0xffff0000, v29
	;; [unrolled: 2-line block ×3, first 2 shown]
	v_add_f32_e32 v29, v31, v29
	v_add_f32_e32 v9, v27, v9
	v_add_f32_e32 v9, v29, v9
	v_add_f32_e32 v0, v9, v0
	v_add_f32_e32 v0, v0, v8
	v_add_f32_e32 v23, v23, v0
	scratch_load_dword v0, off, off offset:24 ; 4-byte Folded Reload
	scratch_load_dword v8, off, off offset:20 ; 4-byte Folded Reload
	;; [unrolled: 1-line block ×6, first 2 shown]
	s_waitcnt vmcnt(7)
	v_and_b32_e32 v33, 0xffff0000, v33
	s_waitcnt vmcnt(6)
	v_and_b32_e32 v35, 0xffff0000, v35
	;; [unrolled: 2-line block ×8, first 2 shown]
	v_add_f32_e32 v29, v31, v29
	v_add_f32_e32 v9, v27, v9
	;; [unrolled: 1-line block ×7, first 2 shown]
	v_and_b32_e32 v9, 0xffff0000, v41
	v_and_b32_e32 v8, 0xffff0000, v59
	v_add_f32_e32 v22, v22, v0
	v_pk_add_f32 v[4:5], v[4:5], v[8:9]
	v_add_f32_e32 v0, v2, v3
	v_add_f32_e32 v0, v0, v4
	;; [unrolled: 1-line block ×4, first 2 shown]
.LBB151_47:                             ;   in Loop: Header=BB151_48 Depth=1
	s_or_b64 exec, exec, s[12:13]
	v_add_u32_e32 v1, 2, v1
	v_cmp_le_i32_e32 vcc, s16, v1
	v_lshl_add_u64 v[24:25], v[24:25], 0, 8
	v_add_u32_e32 v42, 64, v42
	s_or_b64 s[8:9], vcc, s[8:9]
	v_add_u32_e32 v49, 0x100, v49
	s_andn2_b64 exec, exec, s[8:9]
	s_cbranch_execz .LBB151_489
.LBB151_48:                             ; =>This Inner Loop Header: Depth=1
	v_mul_hi_u32 v0, v42, s40
	v_mul_lo_u32 v2, v0, s21
	v_sub_u32_e32 v2, v42, v2
	v_add_u32_e32 v3, 1, v0
	v_cmp_le_u32_e32 vcc, s21, v2
	s_nop 1
	v_cndmask_b32_e32 v0, v0, v3, vcc
	v_subrev_u32_e32 v3, s21, v2
	v_cndmask_b32_e32 v2, v2, v3, vcc
	v_add_u32_e32 v3, 1, v0
	v_cmp_le_u32_e32 vcc, s21, v2
	s_nop 1
	v_cndmask_b32_e32 v0, v0, v3, vcc
	v_xor_b32_e32 v0, s19, v0
	v_subrev_u32_e32 v0, s19, v0
	v_add_u32_e32 v2, s41, v0
	v_sub_u32_e32 v4, 0, v2
	v_ashrrev_i32_e32 v3, 31, v2
	v_max_i32_e32 v2, v2, v4
	scratch_load_dword v4, off, off         ; 4-byte Folded Reload
	v_cmp_lt_i32_e64 s[0:1], s17, v0
	s_waitcnt vmcnt(0)
	v_mul_hi_u32 v4, v2, v4
	v_mul_lo_u32 v4, v4, s18
	v_sub_u32_e32 v2, v2, v4
	v_subrev_u32_e32 v4, s18, v2
	v_cmp_le_u32_e32 vcc, s18, v2
	s_nop 1
	v_cndmask_b32_e32 v2, v2, v4, vcc
	v_subrev_u32_e32 v4, s18, v2
	v_cmp_le_u32_e32 vcc, s18, v2
	s_nop 1
	v_cndmask_b32_e32 v2, v2, v4, vcc
	v_xor_b32_e32 v2, v2, v3
	v_sub_u32_e32 v2, v2, v3
	v_cmp_eq_u32_e32 vcc, 0, v2
	s_or_b64 s[0:1], vcc, s[0:1]
	s_and_saveexec_b64 s[12:13], s[0:1]
	s_cbranch_execz .LBB151_47
; %bb.49:                               ;   in Loop: Header=BB151_48 Depth=1
	global_load_dword v41, v[24:25], off
	ds_read2_b64 v[6:9], v49 offset1:1
	ds_read2_b64 v[2:5], v49 offset0:2 offset1:3
                                        ; implicit-def: $vgpr39
	s_waitcnt lgkmcnt(1)
	v_and_b32_e32 v0, 0x7f800000, v6
	v_cmp_ne_u32_e32 vcc, s24, v0
	s_and_saveexec_b64 s[0:1], vcc
	s_xor_b64 s[0:1], exec, s[0:1]
; %bb.50:                               ;   in Loop: Header=BB151_48 Depth=1
	v_bfe_u32 v0, v6, 16, 1
	v_add3_u32 v39, v6, v0, s25
; %bb.51:                               ;   in Loop: Header=BB151_48 Depth=1
	s_andn2_saveexec_b64 s[0:1], s[0:1]
; %bb.52:                               ;   in Loop: Header=BB151_48 Depth=1
	v_or_b32_e32 v0, 0x10000, v6
	v_cmp_eq_u32_sdwa vcc, v6, v21 src0_sel:WORD_0 src1_sel:DWORD
	s_nop 1
	v_cndmask_b32_e32 v39, v0, v6, vcc
; %bb.53:                               ;   in Loop: Header=BB151_48 Depth=1
	s_or_b64 exec, exec, s[0:1]
	v_and_b32_e32 v0, 0x7f800000, v7
	v_cmp_ne_u32_e32 vcc, s24, v0
                                        ; implicit-def: $vgpr37
	s_and_saveexec_b64 s[0:1], vcc
	s_xor_b64 s[0:1], exec, s[0:1]
; %bb.54:                               ;   in Loop: Header=BB151_48 Depth=1
	v_bfe_u32 v0, v7, 16, 1
	v_add3_u32 v37, v7, v0, s25
; %bb.55:                               ;   in Loop: Header=BB151_48 Depth=1
	s_andn2_saveexec_b64 s[0:1], s[0:1]
; %bb.56:                               ;   in Loop: Header=BB151_48 Depth=1
	v_or_b32_e32 v0, 0x10000, v7
	v_cmp_eq_u32_sdwa vcc, v7, v21 src0_sel:WORD_0 src1_sel:DWORD
	s_nop 1
	v_cndmask_b32_e32 v37, v0, v7, vcc
; %bb.57:                               ;   in Loop: Header=BB151_48 Depth=1
	s_or_b64 exec, exec, s[0:1]
	v_and_b32_e32 v0, 0x7f800000, v8
	v_cmp_ne_u32_e32 vcc, s24, v0
                                        ; implicit-def: $vgpr35
	s_and_saveexec_b64 s[0:1], vcc
	s_xor_b64 s[0:1], exec, s[0:1]
; %bb.58:                               ;   in Loop: Header=BB151_48 Depth=1
	v_bfe_u32 v0, v8, 16, 1
	v_add3_u32 v35, v8, v0, s25
; %bb.59:                               ;   in Loop: Header=BB151_48 Depth=1
	s_andn2_saveexec_b64 s[0:1], s[0:1]
; %bb.60:                               ;   in Loop: Header=BB151_48 Depth=1
	v_or_b32_e32 v0, 0x10000, v8
	v_cmp_eq_u32_sdwa vcc, v8, v21 src0_sel:WORD_0 src1_sel:DWORD
	s_nop 1
	v_cndmask_b32_e32 v35, v0, v8, vcc
; %bb.61:                               ;   in Loop: Header=BB151_48 Depth=1
	s_or_b64 exec, exec, s[0:1]
	v_and_b32_e32 v0, 0x7f800000, v9
	v_cmp_ne_u32_e32 vcc, s24, v0
                                        ; implicit-def: $vgpr33
	s_and_saveexec_b64 s[0:1], vcc
	s_xor_b64 s[0:1], exec, s[0:1]
; %bb.62:                               ;   in Loop: Header=BB151_48 Depth=1
	v_bfe_u32 v0, v9, 16, 1
	v_add3_u32 v33, v9, v0, s25
                                        ; implicit-def: $vgpr6_vgpr7_vgpr8_vgpr9
; %bb.63:                               ;   in Loop: Header=BB151_48 Depth=1
	s_andn2_saveexec_b64 s[0:1], s[0:1]
; %bb.64:                               ;   in Loop: Header=BB151_48 Depth=1
	v_or_b32_e32 v0, 0x10000, v9
	v_cmp_eq_u32_sdwa vcc, v9, v21 src0_sel:WORD_0 src1_sel:DWORD
	s_nop 1
	v_cndmask_b32_e32 v33, v0, v9, vcc
; %bb.65:                               ;   in Loop: Header=BB151_48 Depth=1
	s_or_b64 exec, exec, s[0:1]
	s_waitcnt lgkmcnt(0)
	v_and_b32_e32 v0, 0x7f800000, v2
	v_cmp_ne_u32_e32 vcc, s24, v0
                                        ; implicit-def: $vgpr31
	s_and_saveexec_b64 s[0:1], vcc
	s_xor_b64 s[0:1], exec, s[0:1]
; %bb.66:                               ;   in Loop: Header=BB151_48 Depth=1
	v_bfe_u32 v0, v2, 16, 1
	v_add3_u32 v31, v2, v0, s25
; %bb.67:                               ;   in Loop: Header=BB151_48 Depth=1
	s_andn2_saveexec_b64 s[0:1], s[0:1]
; %bb.68:                               ;   in Loop: Header=BB151_48 Depth=1
	v_or_b32_e32 v0, 0x10000, v2
	v_cmp_eq_u32_sdwa vcc, v2, v21 src0_sel:WORD_0 src1_sel:DWORD
	s_nop 1
	v_cndmask_b32_e32 v31, v0, v2, vcc
; %bb.69:                               ;   in Loop: Header=BB151_48 Depth=1
	s_or_b64 exec, exec, s[0:1]
	v_and_b32_e32 v0, 0x7f800000, v3
	v_cmp_ne_u32_e32 vcc, s24, v0
                                        ; implicit-def: $vgpr29
	s_and_saveexec_b64 s[0:1], vcc
	s_xor_b64 s[0:1], exec, s[0:1]
; %bb.70:                               ;   in Loop: Header=BB151_48 Depth=1
	v_bfe_u32 v0, v3, 16, 1
	v_add3_u32 v29, v3, v0, s25
; %bb.71:                               ;   in Loop: Header=BB151_48 Depth=1
	s_andn2_saveexec_b64 s[0:1], s[0:1]
; %bb.72:                               ;   in Loop: Header=BB151_48 Depth=1
	v_or_b32_e32 v0, 0x10000, v3
	v_cmp_eq_u32_sdwa vcc, v3, v21 src0_sel:WORD_0 src1_sel:DWORD
	s_nop 1
	v_cndmask_b32_e32 v29, v0, v3, vcc
; %bb.73:                               ;   in Loop: Header=BB151_48 Depth=1
	s_or_b64 exec, exec, s[0:1]
	v_and_b32_e32 v0, 0x7f800000, v4
	v_cmp_ne_u32_e32 vcc, s24, v0
                                        ; implicit-def: $vgpr27
	s_and_saveexec_b64 s[0:1], vcc
	s_xor_b64 s[0:1], exec, s[0:1]
; %bb.74:                               ;   in Loop: Header=BB151_48 Depth=1
	v_bfe_u32 v0, v4, 16, 1
	v_add3_u32 v27, v4, v0, s25
; %bb.75:                               ;   in Loop: Header=BB151_48 Depth=1
	s_andn2_saveexec_b64 s[0:1], s[0:1]
; %bb.76:                               ;   in Loop: Header=BB151_48 Depth=1
	v_or_b32_e32 v0, 0x10000, v4
	v_cmp_eq_u32_sdwa vcc, v4, v21 src0_sel:WORD_0 src1_sel:DWORD
	s_nop 1
	v_cndmask_b32_e32 v27, v0, v4, vcc
; %bb.77:                               ;   in Loop: Header=BB151_48 Depth=1
	s_or_b64 exec, exec, s[0:1]
	v_and_b32_e32 v0, 0x7f800000, v5
	v_cmp_ne_u32_e32 vcc, s24, v0
                                        ; implicit-def: $vgpr0
	s_and_saveexec_b64 s[0:1], vcc
	s_xor_b64 s[0:1], exec, s[0:1]
; %bb.78:                               ;   in Loop: Header=BB151_48 Depth=1
	v_bfe_u32 v0, v5, 16, 1
	v_add3_u32 v0, v5, v0, s25
                                        ; implicit-def: $vgpr2_vgpr3_vgpr4_vgpr5
; %bb.79:                               ;   in Loop: Header=BB151_48 Depth=1
	s_andn2_saveexec_b64 s[0:1], s[0:1]
; %bb.80:                               ;   in Loop: Header=BB151_48 Depth=1
	v_or_b32_e32 v0, 0x10000, v5
	v_cmp_eq_u32_sdwa vcc, v5, v21 src0_sel:WORD_0 src1_sel:DWORD
	s_nop 1
	v_cndmask_b32_e32 v0, v0, v5, vcc
; %bb.81:                               ;   in Loop: Header=BB151_48 Depth=1
	s_or_b64 exec, exec, s[0:1]
	s_waitcnt vmcnt(0)
	v_mad_i64_i32 v[2:3], s[0:1], v41, s30, 0
	v_lshl_add_u64 v[6:7], v[2:3], 1, s[6:7]
	v_lshl_add_u64 v[8:9], v[6:7], 0, v[20:21]
	global_load_dwordx4 v[2:5], v[8:9], off
	scratch_load_dword v41, off, off offset:48 ; 4-byte Folded Reload
	v_cmp_eq_u32_e32 vcc, s28, v1
	s_waitcnt vmcnt(1)
	v_lshrrev_b32_e32 v45, 16, v2
	s_waitcnt vmcnt(0)
	v_add_u32_e32 v59, v41, v42
	v_add_u32_e32 v67, 1, v59
	;; [unrolled: 1-line block ×7, first 2 shown]
	v_lshrrev_b32_e32 v44, 16, v3
	v_lshrrev_b32_e32 v43, 16, v4
	;; [unrolled: 1-line block ×3, first 2 shown]
	v_add_u32_e32 v65, 7, v59
	s_and_saveexec_b64 s[14:15], vcc
	s_cbranch_execz .LBB151_83
; %bb.82:                               ;   in Loop: Header=BB151_48 Depth=1
	v_cmp_gt_i32_e64 s[0:1], s33, v59
	s_nop 1
	v_cndmask_b32_e64 v2, 0, v2, s[0:1]
	v_cmp_gt_i32_e64 s[0:1], s33, v67
	s_nop 1
	v_cndmask_b32_e64 v45, 0, v45, s[0:1]
	;; [unrolled: 3-line block ×8, first 2 shown]
.LBB151_83:                             ;   in Loop: Header=BB151_48 Depth=1
	s_or_b64 exec, exec, s[14:15]
	v_and_b32_e32 v68, 0xffff0000, v39
	v_lshlrev_b32_e32 v2, 16, v2
	v_mul_f32_e32 v2, v68, v2
	v_and_b32_e32 v39, 0x7f800000, v2
	v_cmp_ne_u32_e64 s[0:1], s24, v39
                                        ; implicit-def: $vgpr39
                                        ; kill: killed $vgpr39
	s_and_saveexec_b64 s[14:15], s[0:1]
	s_xor_b64 s[0:1], exec, s[14:15]
	s_cbranch_execz .LBB151_85
; %bb.84:                               ;   in Loop: Header=BB151_48 Depth=1
	v_bfe_u32 v39, v2, 16, 1
	v_add3_u32 v2, v2, v39, s25
	scratch_store_dword off, v2, off offset:4 ; 4-byte Folded Spill
                                        ; implicit-def: $vgpr2
.LBB151_85:                             ;   in Loop: Header=BB151_48 Depth=1
	s_andn2_saveexec_b64 s[14:15], s[0:1]
	s_cbranch_execz .LBB151_87
; %bb.86:                               ;   in Loop: Header=BB151_48 Depth=1
	v_or_b32_e32 v39, 0x10000, v2
	v_cmp_eq_u32_sdwa s[0:1], v2, v21 src0_sel:WORD_0 src1_sel:DWORD
	s_nop 1
	v_cndmask_b32_e64 v2, v39, v2, s[0:1]
	scratch_store_dword off, v2, off offset:4 ; 4-byte Folded Spill
.LBB151_87:                             ;   in Loop: Header=BB151_48 Depth=1
	s_or_b64 exec, exec, s[14:15]
	v_and_b32_e32 v69, 0xffff0000, v37
	v_lshlrev_b32_e32 v2, 16, v45
	v_mul_f32_e32 v2, v69, v2
	v_and_b32_e32 v37, 0x7f800000, v2
	v_cmp_ne_u32_e64 s[0:1], s24, v37
                                        ; implicit-def: $vgpr37
                                        ; kill: killed $vgpr37
	s_and_saveexec_b64 s[14:15], s[0:1]
	s_xor_b64 s[0:1], exec, s[14:15]
	s_cbranch_execz .LBB151_89
; %bb.88:                               ;   in Loop: Header=BB151_48 Depth=1
	v_bfe_u32 v37, v2, 16, 1
	v_add3_u32 v2, v2, v37, s25
	scratch_store_dword off, v2, off offset:8 ; 4-byte Folded Spill
                                        ; implicit-def: $vgpr2
.LBB151_89:                             ;   in Loop: Header=BB151_48 Depth=1
	s_andn2_saveexec_b64 s[14:15], s[0:1]
	s_cbranch_execz .LBB151_91
; %bb.90:                               ;   in Loop: Header=BB151_48 Depth=1
	v_or_b32_e32 v37, 0x10000, v2
	v_cmp_eq_u32_sdwa s[0:1], v2, v21 src0_sel:WORD_0 src1_sel:DWORD
	s_nop 1
	v_cndmask_b32_e64 v2, v37, v2, s[0:1]
	scratch_store_dword off, v2, off offset:8 ; 4-byte Folded Spill
.LBB151_91:                             ;   in Loop: Header=BB151_48 Depth=1
	s_or_b64 exec, exec, s[14:15]
	v_and_b32_e32 v70, 0xffff0000, v35
	v_lshlrev_b32_e32 v2, 16, v3
	v_mul_f32_e32 v2, v70, v2
	v_and_b32_e32 v3, 0x7f800000, v2
	v_cmp_ne_u32_e64 s[0:1], s24, v3
                                        ; implicit-def: $vgpr3
                                        ; kill: killed $vgpr3
	s_and_saveexec_b64 s[14:15], s[0:1]
	s_xor_b64 s[0:1], exec, s[14:15]
	s_cbranch_execz .LBB151_93
; %bb.92:                               ;   in Loop: Header=BB151_48 Depth=1
	v_bfe_u32 v3, v2, 16, 1
	v_add3_u32 v2, v2, v3, s25
	scratch_store_dword off, v2, off offset:12 ; 4-byte Folded Spill
                                        ; implicit-def: $vgpr2
.LBB151_93:                             ;   in Loop: Header=BB151_48 Depth=1
	s_andn2_saveexec_b64 s[14:15], s[0:1]
	s_cbranch_execz .LBB151_95
; %bb.94:                               ;   in Loop: Header=BB151_48 Depth=1
	v_or_b32_e32 v3, 0x10000, v2
	v_cmp_eq_u32_sdwa s[0:1], v2, v21 src0_sel:WORD_0 src1_sel:DWORD
	s_nop 1
	v_cndmask_b32_e64 v2, v3, v2, s[0:1]
	scratch_store_dword off, v2, off offset:12 ; 4-byte Folded Spill
.LBB151_95:                             ;   in Loop: Header=BB151_48 Depth=1
	s_or_b64 exec, exec, s[14:15]
	v_and_b32_e32 v71, 0xffff0000, v33
	v_lshlrev_b32_e32 v2, 16, v44
	v_mul_f32_e32 v2, v71, v2
	v_and_b32_e32 v3, 0x7f800000, v2
	v_cmp_ne_u32_e64 s[0:1], s24, v3
                                        ; implicit-def: $vgpr3
                                        ; kill: killed $vgpr3
	;; [unrolled: 26-line block ×3, first 2 shown]
	s_and_saveexec_b64 s[14:15], s[0:1]
	s_xor_b64 s[0:1], exec, s[14:15]
	s_cbranch_execz .LBB151_101
; %bb.100:                              ;   in Loop: Header=BB151_48 Depth=1
	v_bfe_u32 v3, v2, 16, 1
	v_add3_u32 v2, v2, v3, s25
	scratch_store_dword off, v2, off offset:20 ; 4-byte Folded Spill
                                        ; implicit-def: $vgpr2
.LBB151_101:                            ;   in Loop: Header=BB151_48 Depth=1
	s_andn2_saveexec_b64 s[14:15], s[0:1]
	s_cbranch_execz .LBB151_103
; %bb.102:                              ;   in Loop: Header=BB151_48 Depth=1
	v_or_b32_e32 v3, 0x10000, v2
	v_cmp_eq_u32_sdwa s[0:1], v2, v21 src0_sel:WORD_0 src1_sel:DWORD
	s_nop 1
	v_cndmask_b32_e64 v2, v3, v2, s[0:1]
	scratch_store_dword off, v2, off offset:20 ; 4-byte Folded Spill
.LBB151_103:                            ;   in Loop: Header=BB151_48 Depth=1
	s_or_b64 exec, exec, s[14:15]
	v_and_b32_e32 v74, 0xffff0000, v29
	v_lshlrev_b32_e32 v2, 16, v43
	v_mul_f32_e32 v2, v74, v2
	v_and_b32_e32 v3, 0x7f800000, v2
	v_cmp_ne_u32_e64 s[0:1], s24, v3
                                        ; implicit-def: $vgpr3
                                        ; kill: killed $vgpr3
	s_and_saveexec_b64 s[14:15], s[0:1]
	s_xor_b64 s[0:1], exec, s[14:15]
	s_cbranch_execz .LBB151_105
; %bb.104:                              ;   in Loop: Header=BB151_48 Depth=1
	v_bfe_u32 v3, v2, 16, 1
	v_add3_u32 v2, v2, v3, s25
	scratch_store_dword off, v2, off offset:24 ; 4-byte Folded Spill
                                        ; implicit-def: $vgpr2
.LBB151_105:                            ;   in Loop: Header=BB151_48 Depth=1
	s_andn2_saveexec_b64 s[14:15], s[0:1]
	s_cbranch_execz .LBB151_107
; %bb.106:                              ;   in Loop: Header=BB151_48 Depth=1
	v_or_b32_e32 v3, 0x10000, v2
	v_cmp_eq_u32_sdwa s[0:1], v2, v21 src0_sel:WORD_0 src1_sel:DWORD
	s_nop 1
	v_cndmask_b32_e64 v2, v3, v2, s[0:1]
	scratch_store_dword off, v2, off offset:24 ; 4-byte Folded Spill
.LBB151_107:                            ;   in Loop: Header=BB151_48 Depth=1
	s_or_b64 exec, exec, s[14:15]
	v_and_b32_e32 v75, 0xffff0000, v27
	v_lshlrev_b32_e32 v2, 16, v5
	v_mul_f32_e32 v2, v75, v2
	v_and_b32_e32 v3, 0x7f800000, v2
	v_cmp_ne_u32_e64 s[0:1], s24, v3
                                        ; implicit-def: $vgpr3
                                        ; kill: killed $vgpr3
	s_and_saveexec_b64 s[14:15], s[0:1]
	s_xor_b64 s[0:1], exec, s[14:15]
	s_cbranch_execz .LBB151_109
; %bb.108:                              ;   in Loop: Header=BB151_48 Depth=1
	v_bfe_u32 v3, v2, 16, 1
	v_add3_u32 v2, v2, v3, s25
	scratch_store_dword off, v2, off offset:28 ; 4-byte Folded Spill
                                        ; implicit-def: $vgpr2
.LBB151_109:                            ;   in Loop: Header=BB151_48 Depth=1
	s_andn2_saveexec_b64 s[14:15], s[0:1]
	s_cbranch_execz .LBB151_111
; %bb.110:                              ;   in Loop: Header=BB151_48 Depth=1
	v_or_b32_e32 v3, 0x10000, v2
	v_cmp_eq_u32_sdwa s[0:1], v2, v21 src0_sel:WORD_0 src1_sel:DWORD
	s_nop 1
	v_cndmask_b32_e64 v2, v3, v2, s[0:1]
	scratch_store_dword off, v2, off offset:28 ; 4-byte Folded Spill
.LBB151_111:                            ;   in Loop: Header=BB151_48 Depth=1
	s_or_b64 exec, exec, s[14:15]
	v_and_b32_e32 v76, 0xffff0000, v0
	v_lshlrev_b32_e32 v0, 16, v41
	v_mul_f32_e32 v0, v76, v0
	v_and_b32_e32 v2, 0x7f800000, v0
	v_cmp_ne_u32_e64 s[0:1], s24, v2
                                        ; implicit-def: $vgpr2
                                        ; kill: killed $vgpr2
	s_and_saveexec_b64 s[14:15], s[0:1]
	s_xor_b64 s[0:1], exec, s[14:15]
	s_cbranch_execz .LBB151_113
; %bb.112:                              ;   in Loop: Header=BB151_48 Depth=1
	v_bfe_u32 v2, v0, 16, 1
	v_add3_u32 v0, v0, v2, s25
	scratch_store_dword off, v0, off offset:32 ; 4-byte Folded Spill
                                        ; implicit-def: $vgpr0
.LBB151_113:                            ;   in Loop: Header=BB151_48 Depth=1
	s_andn2_saveexec_b64 s[14:15], s[0:1]
	s_cbranch_execz .LBB151_115
; %bb.114:                              ;   in Loop: Header=BB151_48 Depth=1
	v_or_b32_e32 v2, 0x10000, v0
	v_cmp_eq_u32_sdwa s[0:1], v0, v21 src0_sel:WORD_0 src1_sel:DWORD
	s_nop 1
	v_cndmask_b32_e64 v0, v2, v0, s[0:1]
	scratch_store_dword off, v0, off offset:32 ; 4-byte Folded Spill
.LBB151_115:                            ;   in Loop: Header=BB151_48 Depth=1
	s_or_b64 exec, exec, s[14:15]
	global_load_dwordx4 v[2:5], v[8:9], off offset:1024
	s_waitcnt vmcnt(0)
	v_lshrrev_b32_e32 v31, 16, v2
	v_lshrrev_b32_e32 v29, 16, v3
	;; [unrolled: 1-line block ×4, first 2 shown]
	s_and_saveexec_b64 s[14:15], vcc
	s_cbranch_execz .LBB151_117
; %bb.116:                              ;   in Loop: Header=BB151_48 Depth=1
	v_cmp_gt_i32_e64 s[0:1], s33, v59
	s_nop 1
	v_cndmask_b32_e64 v2, 0, v2, s[0:1]
	v_cmp_gt_i32_e64 s[0:1], s33, v67
	s_nop 1
	v_cndmask_b32_e64 v31, 0, v31, s[0:1]
	;; [unrolled: 3-line block ×8, first 2 shown]
.LBB151_117:                            ;   in Loop: Header=BB151_48 Depth=1
	s_or_b64 exec, exec, s[14:15]
	v_lshlrev_b32_e32 v2, 16, v2
	v_mul_f32_e32 v2, v68, v2
	v_and_b32_e32 v33, 0x7f800000, v2
	v_cmp_ne_u32_e64 s[0:1], s24, v33
                                        ; implicit-def: $vgpr33
                                        ; kill: killed $vgpr33
	s_and_saveexec_b64 s[14:15], s[0:1]
	s_xor_b64 s[0:1], exec, s[14:15]
	s_cbranch_execz .LBB151_119
; %bb.118:                              ;   in Loop: Header=BB151_48 Depth=1
	v_bfe_u32 v33, v2, 16, 1
	v_add3_u32 v2, v2, v33, s25
	scratch_store_dword off, v2, off offset:36 ; 4-byte Folded Spill
                                        ; implicit-def: $vgpr2
.LBB151_119:                            ;   in Loop: Header=BB151_48 Depth=1
	s_andn2_saveexec_b64 s[14:15], s[0:1]
	s_cbranch_execz .LBB151_121
; %bb.120:                              ;   in Loop: Header=BB151_48 Depth=1
	v_or_b32_e32 v33, 0x10000, v2
	v_cmp_eq_u32_sdwa s[0:1], v2, v21 src0_sel:WORD_0 src1_sel:DWORD
	s_nop 1
	v_cndmask_b32_e64 v2, v33, v2, s[0:1]
	scratch_store_dword off, v2, off offset:36 ; 4-byte Folded Spill
.LBB151_121:                            ;   in Loop: Header=BB151_48 Depth=1
	s_or_b64 exec, exec, s[14:15]
	v_lshlrev_b32_e32 v2, 16, v31
	v_mul_f32_e32 v2, v69, v2
	v_and_b32_e32 v31, 0x7f800000, v2
	v_cmp_ne_u32_e64 s[0:1], s24, v31
                                        ; implicit-def: $vgpr31
                                        ; kill: killed $vgpr31
	s_and_saveexec_b64 s[14:15], s[0:1]
	s_xor_b64 s[0:1], exec, s[14:15]
	s_cbranch_execz .LBB151_123
; %bb.122:                              ;   in Loop: Header=BB151_48 Depth=1
	v_bfe_u32 v31, v2, 16, 1
	v_add3_u32 v2, v2, v31, s25
	scratch_store_dword off, v2, off offset:40 ; 4-byte Folded Spill
                                        ; implicit-def: $vgpr2
.LBB151_123:                            ;   in Loop: Header=BB151_48 Depth=1
	s_andn2_saveexec_b64 s[14:15], s[0:1]
	s_cbranch_execz .LBB151_125
; %bb.124:                              ;   in Loop: Header=BB151_48 Depth=1
	v_or_b32_e32 v31, 0x10000, v2
	v_cmp_eq_u32_sdwa s[0:1], v2, v21 src0_sel:WORD_0 src1_sel:DWORD
	s_nop 1
	v_cndmask_b32_e64 v2, v31, v2, s[0:1]
	scratch_store_dword off, v2, off offset:40 ; 4-byte Folded Spill
.LBB151_125:                            ;   in Loop: Header=BB151_48 Depth=1
	s_or_b64 exec, exec, s[14:15]
	v_lshlrev_b32_e32 v2, 16, v3
	v_mul_f32_e32 v2, v70, v2
	v_and_b32_e32 v3, 0x7f800000, v2
	v_cmp_ne_u32_e64 s[0:1], s24, v3
                                        ; implicit-def: $vgpr3
                                        ; kill: killed $vgpr3
	s_and_saveexec_b64 s[14:15], s[0:1]
	s_xor_b64 s[0:1], exec, s[14:15]
	s_cbranch_execz .LBB151_127
; %bb.126:                              ;   in Loop: Header=BB151_48 Depth=1
	v_bfe_u32 v3, v2, 16, 1
	v_add3_u32 v2, v2, v3, s25
	scratch_store_dword off, v2, off offset:44 ; 4-byte Folded Spill
                                        ; implicit-def: $vgpr2
.LBB151_127:                            ;   in Loop: Header=BB151_48 Depth=1
	s_andn2_saveexec_b64 s[14:15], s[0:1]
	s_cbranch_execz .LBB151_129
; %bb.128:                              ;   in Loop: Header=BB151_48 Depth=1
	v_or_b32_e32 v3, 0x10000, v2
	v_cmp_eq_u32_sdwa s[0:1], v2, v21 src0_sel:WORD_0 src1_sel:DWORD
	s_nop 1
	v_cndmask_b32_e64 v2, v3, v2, s[0:1]
	scratch_store_dword off, v2, off offset:44 ; 4-byte Folded Spill
.LBB151_129:                            ;   in Loop: Header=BB151_48 Depth=1
	s_or_b64 exec, exec, s[14:15]
	v_lshlrev_b32_e32 v2, 16, v29
	v_mul_f32_e32 v2, v71, v2
	v_and_b32_e32 v3, 0x7f800000, v2
	v_cmp_ne_u32_e64 s[0:1], s24, v3
                                        ; implicit-def: $vgpr77
	s_and_saveexec_b64 s[14:15], s[0:1]
	s_xor_b64 s[0:1], exec, s[14:15]
; %bb.130:                              ;   in Loop: Header=BB151_48 Depth=1
	v_bfe_u32 v3, v2, 16, 1
	v_add3_u32 v77, v2, v3, s25
                                        ; implicit-def: $vgpr2
; %bb.131:                              ;   in Loop: Header=BB151_48 Depth=1
	s_andn2_saveexec_b64 s[14:15], s[0:1]
; %bb.132:                              ;   in Loop: Header=BB151_48 Depth=1
	v_or_b32_e32 v3, 0x10000, v2
	v_cmp_eq_u32_sdwa s[0:1], v2, v21 src0_sel:WORD_0 src1_sel:DWORD
	s_nop 1
	v_cndmask_b32_e64 v77, v3, v2, s[0:1]
; %bb.133:                              ;   in Loop: Header=BB151_48 Depth=1
	s_or_b64 exec, exec, s[14:15]
	v_lshlrev_b32_e32 v2, 16, v4
	v_mul_f32_e32 v2, v73, v2
	v_and_b32_e32 v3, 0x7f800000, v2
	v_cmp_ne_u32_e64 s[0:1], s24, v3
                                        ; implicit-def: $vgpr78
	s_and_saveexec_b64 s[14:15], s[0:1]
	s_xor_b64 s[0:1], exec, s[14:15]
; %bb.134:                              ;   in Loop: Header=BB151_48 Depth=1
	v_bfe_u32 v3, v2, 16, 1
	v_add3_u32 v78, v2, v3, s25
                                        ; implicit-def: $vgpr2
; %bb.135:                              ;   in Loop: Header=BB151_48 Depth=1
	s_andn2_saveexec_b64 s[14:15], s[0:1]
; %bb.136:                              ;   in Loop: Header=BB151_48 Depth=1
	v_or_b32_e32 v3, 0x10000, v2
	v_cmp_eq_u32_sdwa s[0:1], v2, v21 src0_sel:WORD_0 src1_sel:DWORD
	s_nop 1
	v_cndmask_b32_e64 v78, v3, v2, s[0:1]
; %bb.137:                              ;   in Loop: Header=BB151_48 Depth=1
	s_or_b64 exec, exec, s[14:15]
	v_lshlrev_b32_e32 v2, 16, v27
	v_mul_f32_e32 v2, v74, v2
	v_and_b32_e32 v3, 0x7f800000, v2
	v_cmp_ne_u32_e64 s[0:1], s24, v3
                                        ; implicit-def: $vgpr79
	s_and_saveexec_b64 s[14:15], s[0:1]
	s_xor_b64 s[0:1], exec, s[14:15]
; %bb.138:                              ;   in Loop: Header=BB151_48 Depth=1
	v_bfe_u32 v3, v2, 16, 1
	v_add3_u32 v79, v2, v3, s25
                                        ; implicit-def: $vgpr2
; %bb.139:                              ;   in Loop: Header=BB151_48 Depth=1
	s_andn2_saveexec_b64 s[14:15], s[0:1]
; %bb.140:                              ;   in Loop: Header=BB151_48 Depth=1
	v_or_b32_e32 v3, 0x10000, v2
	v_cmp_eq_u32_sdwa s[0:1], v2, v21 src0_sel:WORD_0 src1_sel:DWORD
	s_nop 1
	v_cndmask_b32_e64 v79, v3, v2, s[0:1]
; %bb.141:                              ;   in Loop: Header=BB151_48 Depth=1
	s_or_b64 exec, exec, s[14:15]
	v_lshlrev_b32_e32 v2, 16, v5
	v_mul_f32_e32 v2, v75, v2
	v_and_b32_e32 v3, 0x7f800000, v2
	v_cmp_ne_u32_e64 s[0:1], s24, v3
                                        ; implicit-def: $vgpr80
	s_and_saveexec_b64 s[14:15], s[0:1]
	s_xor_b64 s[0:1], exec, s[14:15]
; %bb.142:                              ;   in Loop: Header=BB151_48 Depth=1
	v_bfe_u32 v3, v2, 16, 1
	v_add3_u32 v80, v2, v3, s25
                                        ; implicit-def: $vgpr2
; %bb.143:                              ;   in Loop: Header=BB151_48 Depth=1
	s_andn2_saveexec_b64 s[14:15], s[0:1]
; %bb.144:                              ;   in Loop: Header=BB151_48 Depth=1
	v_or_b32_e32 v3, 0x10000, v2
	v_cmp_eq_u32_sdwa s[0:1], v2, v21 src0_sel:WORD_0 src1_sel:DWORD
	s_nop 1
	v_cndmask_b32_e64 v80, v3, v2, s[0:1]
; %bb.145:                              ;   in Loop: Header=BB151_48 Depth=1
	s_or_b64 exec, exec, s[14:15]
	v_lshlrev_b32_e32 v0, 16, v0
	v_mul_f32_e32 v0, v76, v0
	v_and_b32_e32 v2, 0x7f800000, v0
	v_cmp_ne_u32_e64 s[0:1], s24, v2
                                        ; implicit-def: $vgpr81
	s_and_saveexec_b64 s[14:15], s[0:1]
	s_xor_b64 s[0:1], exec, s[14:15]
; %bb.146:                              ;   in Loop: Header=BB151_48 Depth=1
	v_bfe_u32 v2, v0, 16, 1
	v_add3_u32 v81, v0, v2, s25
                                        ; implicit-def: $vgpr0
; %bb.147:                              ;   in Loop: Header=BB151_48 Depth=1
	s_andn2_saveexec_b64 s[14:15], s[0:1]
; %bb.148:                              ;   in Loop: Header=BB151_48 Depth=1
	v_or_b32_e32 v2, 0x10000, v0
	v_cmp_eq_u32_sdwa s[0:1], v0, v21 src0_sel:WORD_0 src1_sel:DWORD
	s_nop 1
	v_cndmask_b32_e64 v81, v2, v0, s[0:1]
; %bb.149:                              ;   in Loop: Header=BB151_48 Depth=1
	s_or_b64 exec, exec, s[14:15]
	global_load_dwordx4 v[2:5], v[8:9], off offset:2048
	s_waitcnt vmcnt(0)
	v_lshrrev_b32_e32 v31, 16, v2
	v_lshrrev_b32_e32 v29, 16, v3
	;; [unrolled: 1-line block ×4, first 2 shown]
	s_and_saveexec_b64 s[14:15], vcc
	s_cbranch_execz .LBB151_151
; %bb.150:                              ;   in Loop: Header=BB151_48 Depth=1
	v_cmp_gt_i32_e64 s[0:1], s33, v59
	s_nop 1
	v_cndmask_b32_e64 v2, 0, v2, s[0:1]
	v_cmp_gt_i32_e64 s[0:1], s33, v67
	s_nop 1
	v_cndmask_b32_e64 v31, 0, v31, s[0:1]
	;; [unrolled: 3-line block ×8, first 2 shown]
.LBB151_151:                            ;   in Loop: Header=BB151_48 Depth=1
	s_or_b64 exec, exec, s[14:15]
	v_lshlrev_b32_e32 v2, 16, v2
	v_mul_f32_e32 v2, v68, v2
	v_and_b32_e32 v33, 0x7f800000, v2
	v_cmp_ne_u32_e64 s[0:1], s24, v33
                                        ; implicit-def: $vgpr82
	s_and_saveexec_b64 s[14:15], s[0:1]
	s_xor_b64 s[0:1], exec, s[14:15]
; %bb.152:                              ;   in Loop: Header=BB151_48 Depth=1
	v_bfe_u32 v33, v2, 16, 1
	v_add3_u32 v82, v2, v33, s25
                                        ; implicit-def: $vgpr2
; %bb.153:                              ;   in Loop: Header=BB151_48 Depth=1
	s_andn2_saveexec_b64 s[14:15], s[0:1]
; %bb.154:                              ;   in Loop: Header=BB151_48 Depth=1
	v_or_b32_e32 v33, 0x10000, v2
	v_cmp_eq_u32_sdwa s[0:1], v2, v21 src0_sel:WORD_0 src1_sel:DWORD
	s_nop 1
	v_cndmask_b32_e64 v82, v33, v2, s[0:1]
; %bb.155:                              ;   in Loop: Header=BB151_48 Depth=1
	s_or_b64 exec, exec, s[14:15]
	v_lshlrev_b32_e32 v2, 16, v31
	v_mul_f32_e32 v2, v69, v2
	v_and_b32_e32 v31, 0x7f800000, v2
	v_cmp_ne_u32_e64 s[0:1], s24, v31
                                        ; implicit-def: $vgpr83
	s_and_saveexec_b64 s[14:15], s[0:1]
	s_xor_b64 s[0:1], exec, s[14:15]
; %bb.156:                              ;   in Loop: Header=BB151_48 Depth=1
	v_bfe_u32 v31, v2, 16, 1
	v_add3_u32 v83, v2, v31, s25
                                        ; implicit-def: $vgpr2
; %bb.157:                              ;   in Loop: Header=BB151_48 Depth=1
	s_andn2_saveexec_b64 s[14:15], s[0:1]
; %bb.158:                              ;   in Loop: Header=BB151_48 Depth=1
	v_or_b32_e32 v31, 0x10000, v2
	v_cmp_eq_u32_sdwa s[0:1], v2, v21 src0_sel:WORD_0 src1_sel:DWORD
	s_nop 1
	v_cndmask_b32_e64 v83, v31, v2, s[0:1]
; %bb.159:                              ;   in Loop: Header=BB151_48 Depth=1
	s_or_b64 exec, exec, s[14:15]
	v_lshlrev_b32_e32 v2, 16, v3
	v_mul_f32_e32 v2, v70, v2
	v_and_b32_e32 v3, 0x7f800000, v2
	v_cmp_ne_u32_e64 s[0:1], s24, v3
                                        ; implicit-def: $vgpr84
	s_and_saveexec_b64 s[14:15], s[0:1]
	s_xor_b64 s[0:1], exec, s[14:15]
; %bb.160:                              ;   in Loop: Header=BB151_48 Depth=1
	v_bfe_u32 v3, v2, 16, 1
	v_add3_u32 v84, v2, v3, s25
                                        ; implicit-def: $vgpr2
; %bb.161:                              ;   in Loop: Header=BB151_48 Depth=1
	s_andn2_saveexec_b64 s[14:15], s[0:1]
; %bb.162:                              ;   in Loop: Header=BB151_48 Depth=1
	v_or_b32_e32 v3, 0x10000, v2
	v_cmp_eq_u32_sdwa s[0:1], v2, v21 src0_sel:WORD_0 src1_sel:DWORD
	s_nop 1
	v_cndmask_b32_e64 v84, v3, v2, s[0:1]
; %bb.163:                              ;   in Loop: Header=BB151_48 Depth=1
	s_or_b64 exec, exec, s[14:15]
	v_lshlrev_b32_e32 v2, 16, v29
	v_mul_f32_e32 v2, v71, v2
	v_and_b32_e32 v3, 0x7f800000, v2
	v_cmp_ne_u32_e64 s[0:1], s24, v3
                                        ; implicit-def: $vgpr85
	s_and_saveexec_b64 s[14:15], s[0:1]
	s_xor_b64 s[0:1], exec, s[14:15]
; %bb.164:                              ;   in Loop: Header=BB151_48 Depth=1
	v_bfe_u32 v3, v2, 16, 1
	v_add3_u32 v85, v2, v3, s25
                                        ; implicit-def: $vgpr2
; %bb.165:                              ;   in Loop: Header=BB151_48 Depth=1
	s_andn2_saveexec_b64 s[14:15], s[0:1]
; %bb.166:                              ;   in Loop: Header=BB151_48 Depth=1
	v_or_b32_e32 v3, 0x10000, v2
	v_cmp_eq_u32_sdwa s[0:1], v2, v21 src0_sel:WORD_0 src1_sel:DWORD
	s_nop 1
	v_cndmask_b32_e64 v85, v3, v2, s[0:1]
; %bb.167:                              ;   in Loop: Header=BB151_48 Depth=1
	s_or_b64 exec, exec, s[14:15]
	v_lshlrev_b32_e32 v2, 16, v4
	v_mul_f32_e32 v2, v73, v2
	v_and_b32_e32 v3, 0x7f800000, v2
	v_cmp_ne_u32_e64 s[0:1], s24, v3
                                        ; implicit-def: $vgpr86
	s_and_saveexec_b64 s[14:15], s[0:1]
	s_xor_b64 s[0:1], exec, s[14:15]
; %bb.168:                              ;   in Loop: Header=BB151_48 Depth=1
	v_bfe_u32 v3, v2, 16, 1
	v_add3_u32 v86, v2, v3, s25
                                        ; implicit-def: $vgpr2
; %bb.169:                              ;   in Loop: Header=BB151_48 Depth=1
	s_andn2_saveexec_b64 s[14:15], s[0:1]
; %bb.170:                              ;   in Loop: Header=BB151_48 Depth=1
	v_or_b32_e32 v3, 0x10000, v2
	v_cmp_eq_u32_sdwa s[0:1], v2, v21 src0_sel:WORD_0 src1_sel:DWORD
	s_nop 1
	v_cndmask_b32_e64 v86, v3, v2, s[0:1]
; %bb.171:                              ;   in Loop: Header=BB151_48 Depth=1
	s_or_b64 exec, exec, s[14:15]
	v_lshlrev_b32_e32 v2, 16, v27
	v_mul_f32_e32 v2, v74, v2
	v_and_b32_e32 v3, 0x7f800000, v2
	v_cmp_ne_u32_e64 s[0:1], s24, v3
                                        ; implicit-def: $vgpr87
	s_and_saveexec_b64 s[14:15], s[0:1]
	s_xor_b64 s[0:1], exec, s[14:15]
; %bb.172:                              ;   in Loop: Header=BB151_48 Depth=1
	v_bfe_u32 v3, v2, 16, 1
	v_add3_u32 v87, v2, v3, s25
                                        ; implicit-def: $vgpr2
; %bb.173:                              ;   in Loop: Header=BB151_48 Depth=1
	s_andn2_saveexec_b64 s[14:15], s[0:1]
; %bb.174:                              ;   in Loop: Header=BB151_48 Depth=1
	v_or_b32_e32 v3, 0x10000, v2
	v_cmp_eq_u32_sdwa s[0:1], v2, v21 src0_sel:WORD_0 src1_sel:DWORD
	s_nop 1
	v_cndmask_b32_e64 v87, v3, v2, s[0:1]
; %bb.175:                              ;   in Loop: Header=BB151_48 Depth=1
	s_or_b64 exec, exec, s[14:15]
	v_lshlrev_b32_e32 v2, 16, v5
	v_mul_f32_e32 v2, v75, v2
	v_and_b32_e32 v3, 0x7f800000, v2
	v_cmp_ne_u32_e64 s[0:1], s24, v3
                                        ; implicit-def: $vgpr88
	s_and_saveexec_b64 s[14:15], s[0:1]
	s_xor_b64 s[0:1], exec, s[14:15]
; %bb.176:                              ;   in Loop: Header=BB151_48 Depth=1
	v_bfe_u32 v3, v2, 16, 1
	v_add3_u32 v88, v2, v3, s25
                                        ; implicit-def: $vgpr2
; %bb.177:                              ;   in Loop: Header=BB151_48 Depth=1
	s_andn2_saveexec_b64 s[14:15], s[0:1]
; %bb.178:                              ;   in Loop: Header=BB151_48 Depth=1
	v_or_b32_e32 v3, 0x10000, v2
	v_cmp_eq_u32_sdwa s[0:1], v2, v21 src0_sel:WORD_0 src1_sel:DWORD
	s_nop 1
	v_cndmask_b32_e64 v88, v3, v2, s[0:1]
; %bb.179:                              ;   in Loop: Header=BB151_48 Depth=1
	s_or_b64 exec, exec, s[14:15]
	v_lshlrev_b32_e32 v0, 16, v0
	v_mul_f32_e32 v0, v76, v0
	v_and_b32_e32 v2, 0x7f800000, v0
	v_cmp_ne_u32_e64 s[0:1], s24, v2
                                        ; implicit-def: $vgpr89
	s_and_saveexec_b64 s[14:15], s[0:1]
	s_xor_b64 s[0:1], exec, s[14:15]
; %bb.180:                              ;   in Loop: Header=BB151_48 Depth=1
	v_bfe_u32 v2, v0, 16, 1
	v_add3_u32 v89, v0, v2, s25
                                        ; implicit-def: $vgpr0
; %bb.181:                              ;   in Loop: Header=BB151_48 Depth=1
	s_andn2_saveexec_b64 s[14:15], s[0:1]
; %bb.182:                              ;   in Loop: Header=BB151_48 Depth=1
	v_or_b32_e32 v2, 0x10000, v0
	v_cmp_eq_u32_sdwa s[0:1], v0, v21 src0_sel:WORD_0 src1_sel:DWORD
	s_nop 1
	v_cndmask_b32_e64 v89, v2, v0, s[0:1]
; %bb.183:                              ;   in Loop: Header=BB151_48 Depth=1
	s_or_b64 exec, exec, s[14:15]
	global_load_dwordx4 v[2:5], v[8:9], off offset:3072
	s_waitcnt vmcnt(0)
	v_lshrrev_b32_e32 v9, 16, v2
	v_lshrrev_b32_e32 v29, 16, v3
	;; [unrolled: 1-line block ×4, first 2 shown]
	s_and_saveexec_b64 s[14:15], vcc
	s_cbranch_execz .LBB151_185
; %bb.184:                              ;   in Loop: Header=BB151_48 Depth=1
	v_cmp_gt_i32_e64 s[0:1], s33, v59
	s_nop 1
	v_cndmask_b32_e64 v2, 0, v2, s[0:1]
	v_cmp_gt_i32_e64 s[0:1], s33, v67
	s_nop 1
	v_cndmask_b32_e64 v9, 0, v9, s[0:1]
	;; [unrolled: 3-line block ×8, first 2 shown]
.LBB151_185:                            ;   in Loop: Header=BB151_48 Depth=1
	s_or_b64 exec, exec, s[14:15]
	v_lshlrev_b32_e32 v2, 16, v2
	v_mul_f32_e32 v2, v68, v2
	v_and_b32_e32 v8, 0x7f800000, v2
	v_cmp_ne_u32_e64 s[0:1], s24, v8
                                        ; implicit-def: $vgpr8
	s_and_saveexec_b64 s[14:15], s[0:1]
	s_xor_b64 s[0:1], exec, s[14:15]
; %bb.186:                              ;   in Loop: Header=BB151_48 Depth=1
	v_bfe_u32 v8, v2, 16, 1
	v_add3_u32 v8, v2, v8, s25
                                        ; implicit-def: $vgpr2
; %bb.187:                              ;   in Loop: Header=BB151_48 Depth=1
	s_andn2_saveexec_b64 s[14:15], s[0:1]
; %bb.188:                              ;   in Loop: Header=BB151_48 Depth=1
	v_or_b32_e32 v8, 0x10000, v2
	v_cmp_eq_u32_sdwa s[0:1], v2, v21 src0_sel:WORD_0 src1_sel:DWORD
	s_nop 1
	v_cndmask_b32_e64 v8, v8, v2, s[0:1]
; %bb.189:                              ;   in Loop: Header=BB151_48 Depth=1
	s_or_b64 exec, exec, s[14:15]
	v_lshlrev_b32_e32 v2, 16, v9
	v_mul_f32_e32 v2, v69, v2
	v_and_b32_e32 v9, 0x7f800000, v2
	v_cmp_ne_u32_e64 s[0:1], s24, v9
                                        ; implicit-def: $vgpr9
	s_and_saveexec_b64 s[14:15], s[0:1]
	s_xor_b64 s[0:1], exec, s[14:15]
; %bb.190:                              ;   in Loop: Header=BB151_48 Depth=1
	v_bfe_u32 v9, v2, 16, 1
	v_add3_u32 v9, v2, v9, s25
                                        ; implicit-def: $vgpr2
; %bb.191:                              ;   in Loop: Header=BB151_48 Depth=1
	s_andn2_saveexec_b64 s[14:15], s[0:1]
; %bb.192:                              ;   in Loop: Header=BB151_48 Depth=1
	v_or_b32_e32 v9, 0x10000, v2
	v_cmp_eq_u32_sdwa s[0:1], v2, v21 src0_sel:WORD_0 src1_sel:DWORD
	s_nop 1
	v_cndmask_b32_e64 v9, v9, v2, s[0:1]
; %bb.193:                              ;   in Loop: Header=BB151_48 Depth=1
	s_or_b64 exec, exec, s[14:15]
	v_lshlrev_b32_e32 v2, 16, v3
	v_mul_f32_e32 v2, v70, v2
	v_and_b32_e32 v3, 0x7f800000, v2
	v_cmp_ne_u32_e64 s[0:1], s24, v3
                                        ; implicit-def: $vgpr90
	s_and_saveexec_b64 s[14:15], s[0:1]
	s_xor_b64 s[0:1], exec, s[14:15]
; %bb.194:                              ;   in Loop: Header=BB151_48 Depth=1
	v_bfe_u32 v3, v2, 16, 1
	v_add3_u32 v90, v2, v3, s25
                                        ; implicit-def: $vgpr2
; %bb.195:                              ;   in Loop: Header=BB151_48 Depth=1
	s_andn2_saveexec_b64 s[14:15], s[0:1]
; %bb.196:                              ;   in Loop: Header=BB151_48 Depth=1
	v_or_b32_e32 v3, 0x10000, v2
	v_cmp_eq_u32_sdwa s[0:1], v2, v21 src0_sel:WORD_0 src1_sel:DWORD
	s_nop 1
	v_cndmask_b32_e64 v90, v3, v2, s[0:1]
; %bb.197:                              ;   in Loop: Header=BB151_48 Depth=1
	s_or_b64 exec, exec, s[14:15]
	v_lshlrev_b32_e32 v2, 16, v29
	v_mul_f32_e32 v2, v71, v2
	v_and_b32_e32 v3, 0x7f800000, v2
	v_cmp_ne_u32_e64 s[0:1], s24, v3
                                        ; implicit-def: $vgpr91
	s_and_saveexec_b64 s[14:15], s[0:1]
	s_xor_b64 s[0:1], exec, s[14:15]
; %bb.198:                              ;   in Loop: Header=BB151_48 Depth=1
	v_bfe_u32 v3, v2, 16, 1
	v_add3_u32 v91, v2, v3, s25
                                        ; implicit-def: $vgpr2
; %bb.199:                              ;   in Loop: Header=BB151_48 Depth=1
	s_andn2_saveexec_b64 s[14:15], s[0:1]
; %bb.200:                              ;   in Loop: Header=BB151_48 Depth=1
	v_or_b32_e32 v3, 0x10000, v2
	v_cmp_eq_u32_sdwa s[0:1], v2, v21 src0_sel:WORD_0 src1_sel:DWORD
	s_nop 1
	v_cndmask_b32_e64 v91, v3, v2, s[0:1]
; %bb.201:                              ;   in Loop: Header=BB151_48 Depth=1
	s_or_b64 exec, exec, s[14:15]
	v_lshlrev_b32_e32 v2, 16, v4
	v_mul_f32_e32 v2, v73, v2
	v_and_b32_e32 v3, 0x7f800000, v2
	v_cmp_ne_u32_e64 s[0:1], s24, v3
                                        ; implicit-def: $vgpr92
	s_and_saveexec_b64 s[14:15], s[0:1]
	s_xor_b64 s[0:1], exec, s[14:15]
; %bb.202:                              ;   in Loop: Header=BB151_48 Depth=1
	v_bfe_u32 v3, v2, 16, 1
	v_add3_u32 v92, v2, v3, s25
                                        ; implicit-def: $vgpr2
; %bb.203:                              ;   in Loop: Header=BB151_48 Depth=1
	s_andn2_saveexec_b64 s[14:15], s[0:1]
; %bb.204:                              ;   in Loop: Header=BB151_48 Depth=1
	v_or_b32_e32 v3, 0x10000, v2
	v_cmp_eq_u32_sdwa s[0:1], v2, v21 src0_sel:WORD_0 src1_sel:DWORD
	s_nop 1
	v_cndmask_b32_e64 v92, v3, v2, s[0:1]
; %bb.205:                              ;   in Loop: Header=BB151_48 Depth=1
	s_or_b64 exec, exec, s[14:15]
	v_lshlrev_b32_e32 v2, 16, v27
	v_mul_f32_e32 v2, v74, v2
	v_and_b32_e32 v3, 0x7f800000, v2
	v_cmp_ne_u32_e64 s[0:1], s24, v3
                                        ; implicit-def: $vgpr93
	s_and_saveexec_b64 s[14:15], s[0:1]
	s_xor_b64 s[0:1], exec, s[14:15]
; %bb.206:                              ;   in Loop: Header=BB151_48 Depth=1
	v_bfe_u32 v3, v2, 16, 1
	v_add3_u32 v93, v2, v3, s25
                                        ; implicit-def: $vgpr2
; %bb.207:                              ;   in Loop: Header=BB151_48 Depth=1
	s_andn2_saveexec_b64 s[14:15], s[0:1]
; %bb.208:                              ;   in Loop: Header=BB151_48 Depth=1
	v_or_b32_e32 v3, 0x10000, v2
	v_cmp_eq_u32_sdwa s[0:1], v2, v21 src0_sel:WORD_0 src1_sel:DWORD
	s_nop 1
	v_cndmask_b32_e64 v93, v3, v2, s[0:1]
; %bb.209:                              ;   in Loop: Header=BB151_48 Depth=1
	s_or_b64 exec, exec, s[14:15]
	v_lshlrev_b32_e32 v2, 16, v5
	v_mul_f32_e32 v2, v75, v2
	v_and_b32_e32 v3, 0x7f800000, v2
	v_cmp_ne_u32_e64 s[0:1], s24, v3
                                        ; implicit-def: $vgpr94
	s_and_saveexec_b64 s[14:15], s[0:1]
	s_xor_b64 s[0:1], exec, s[14:15]
; %bb.210:                              ;   in Loop: Header=BB151_48 Depth=1
	v_bfe_u32 v3, v2, 16, 1
	v_add3_u32 v94, v2, v3, s25
                                        ; implicit-def: $vgpr2
; %bb.211:                              ;   in Loop: Header=BB151_48 Depth=1
	s_andn2_saveexec_b64 s[14:15], s[0:1]
; %bb.212:                              ;   in Loop: Header=BB151_48 Depth=1
	v_or_b32_e32 v3, 0x10000, v2
	v_cmp_eq_u32_sdwa s[0:1], v2, v21 src0_sel:WORD_0 src1_sel:DWORD
	s_nop 1
	v_cndmask_b32_e64 v94, v3, v2, s[0:1]
; %bb.213:                              ;   in Loop: Header=BB151_48 Depth=1
	s_or_b64 exec, exec, s[14:15]
	v_lshlrev_b32_e32 v0, 16, v0
	v_mul_f32_e32 v0, v76, v0
	v_and_b32_e32 v2, 0x7f800000, v0
	v_cmp_ne_u32_e64 s[0:1], s24, v2
                                        ; implicit-def: $vgpr95
	s_and_saveexec_b64 s[14:15], s[0:1]
	s_xor_b64 s[0:1], exec, s[14:15]
; %bb.214:                              ;   in Loop: Header=BB151_48 Depth=1
	v_bfe_u32 v2, v0, 16, 1
	v_add3_u32 v95, v0, v2, s25
                                        ; implicit-def: $vgpr0
; %bb.215:                              ;   in Loop: Header=BB151_48 Depth=1
	s_andn2_saveexec_b64 s[14:15], s[0:1]
; %bb.216:                              ;   in Loop: Header=BB151_48 Depth=1
	v_or_b32_e32 v2, 0x10000, v0
	v_cmp_eq_u32_sdwa s[0:1], v0, v21 src0_sel:WORD_0 src1_sel:DWORD
	s_nop 1
	v_cndmask_b32_e64 v95, v2, v0, s[0:1]
; %bb.217:                              ;   in Loop: Header=BB151_48 Depth=1
	s_or_b64 exec, exec, s[14:15]
	v_mov_b32_e32 v27, v21
	v_lshl_add_u64 v[2:3], v[6:7], 0, v[26:27]
	global_load_dwordx4 v[2:5], v[2:3], off
	s_waitcnt vmcnt(0)
	v_lshrrev_b32_e32 v33, 16, v2
	v_lshrrev_b32_e32 v31, 16, v3
	;; [unrolled: 1-line block ×4, first 2 shown]
	s_and_saveexec_b64 s[14:15], vcc
	s_cbranch_execz .LBB151_219
; %bb.218:                              ;   in Loop: Header=BB151_48 Depth=1
	v_cmp_gt_i32_e64 s[0:1], s33, v59
	s_nop 1
	v_cndmask_b32_e64 v2, 0, v2, s[0:1]
	v_cmp_gt_i32_e64 s[0:1], s33, v67
	s_nop 1
	v_cndmask_b32_e64 v33, 0, v33, s[0:1]
	;; [unrolled: 3-line block ×8, first 2 shown]
.LBB151_219:                            ;   in Loop: Header=BB151_48 Depth=1
	s_or_b64 exec, exec, s[14:15]
	v_lshlrev_b32_e32 v2, 16, v2
	v_mul_f32_e32 v2, v68, v2
	v_and_b32_e32 v27, 0x7f800000, v2
	v_cmp_ne_u32_e64 s[0:1], s24, v27
                                        ; implicit-def: $vgpr27
	s_and_saveexec_b64 s[14:15], s[0:1]
	s_xor_b64 s[0:1], exec, s[14:15]
; %bb.220:                              ;   in Loop: Header=BB151_48 Depth=1
	v_bfe_u32 v27, v2, 16, 1
	v_add3_u32 v27, v2, v27, s25
                                        ; implicit-def: $vgpr2
; %bb.221:                              ;   in Loop: Header=BB151_48 Depth=1
	s_andn2_saveexec_b64 s[14:15], s[0:1]
; %bb.222:                              ;   in Loop: Header=BB151_48 Depth=1
	v_or_b32_e32 v27, 0x10000, v2
	v_cmp_eq_u32_sdwa s[0:1], v2, v21 src0_sel:WORD_0 src1_sel:DWORD
	s_nop 1
	v_cndmask_b32_e64 v27, v27, v2, s[0:1]
; %bb.223:                              ;   in Loop: Header=BB151_48 Depth=1
	s_or_b64 exec, exec, s[14:15]
	v_lshlrev_b32_e32 v2, 16, v33
	v_mul_f32_e32 v2, v69, v2
	v_and_b32_e32 v33, 0x7f800000, v2
	v_cmp_ne_u32_e64 s[0:1], s24, v33
                                        ; implicit-def: $vgpr96
	s_and_saveexec_b64 s[14:15], s[0:1]
	s_xor_b64 s[0:1], exec, s[14:15]
; %bb.224:                              ;   in Loop: Header=BB151_48 Depth=1
	v_bfe_u32 v33, v2, 16, 1
	v_add3_u32 v96, v2, v33, s25
                                        ; implicit-def: $vgpr2
; %bb.225:                              ;   in Loop: Header=BB151_48 Depth=1
	s_andn2_saveexec_b64 s[14:15], s[0:1]
; %bb.226:                              ;   in Loop: Header=BB151_48 Depth=1
	v_or_b32_e32 v33, 0x10000, v2
	v_cmp_eq_u32_sdwa s[0:1], v2, v21 src0_sel:WORD_0 src1_sel:DWORD
	s_nop 1
	v_cndmask_b32_e64 v96, v33, v2, s[0:1]
; %bb.227:                              ;   in Loop: Header=BB151_48 Depth=1
	s_or_b64 exec, exec, s[14:15]
	v_lshlrev_b32_e32 v2, 16, v3
	v_mul_f32_e32 v2, v70, v2
	v_and_b32_e32 v3, 0x7f800000, v2
	v_cmp_ne_u32_e64 s[0:1], s24, v3
                                        ; implicit-def: $vgpr97
	s_and_saveexec_b64 s[14:15], s[0:1]
	s_xor_b64 s[0:1], exec, s[14:15]
; %bb.228:                              ;   in Loop: Header=BB151_48 Depth=1
	v_bfe_u32 v3, v2, 16, 1
	v_add3_u32 v97, v2, v3, s25
                                        ; implicit-def: $vgpr2
; %bb.229:                              ;   in Loop: Header=BB151_48 Depth=1
	s_andn2_saveexec_b64 s[14:15], s[0:1]
; %bb.230:                              ;   in Loop: Header=BB151_48 Depth=1
	v_or_b32_e32 v3, 0x10000, v2
	v_cmp_eq_u32_sdwa s[0:1], v2, v21 src0_sel:WORD_0 src1_sel:DWORD
	s_nop 1
	v_cndmask_b32_e64 v97, v3, v2, s[0:1]
; %bb.231:                              ;   in Loop: Header=BB151_48 Depth=1
	s_or_b64 exec, exec, s[14:15]
	v_lshlrev_b32_e32 v2, 16, v31
	v_mul_f32_e32 v2, v71, v2
	v_and_b32_e32 v3, 0x7f800000, v2
	v_cmp_ne_u32_e64 s[0:1], s24, v3
                                        ; implicit-def: $vgpr98
	s_and_saveexec_b64 s[14:15], s[0:1]
	s_xor_b64 s[0:1], exec, s[14:15]
; %bb.232:                              ;   in Loop: Header=BB151_48 Depth=1
	v_bfe_u32 v3, v2, 16, 1
	v_add3_u32 v98, v2, v3, s25
                                        ; implicit-def: $vgpr2
; %bb.233:                              ;   in Loop: Header=BB151_48 Depth=1
	s_andn2_saveexec_b64 s[14:15], s[0:1]
; %bb.234:                              ;   in Loop: Header=BB151_48 Depth=1
	v_or_b32_e32 v3, 0x10000, v2
	v_cmp_eq_u32_sdwa s[0:1], v2, v21 src0_sel:WORD_0 src1_sel:DWORD
	s_nop 1
	v_cndmask_b32_e64 v98, v3, v2, s[0:1]
; %bb.235:                              ;   in Loop: Header=BB151_48 Depth=1
	s_or_b64 exec, exec, s[14:15]
	v_lshlrev_b32_e32 v2, 16, v4
	v_mul_f32_e32 v2, v73, v2
	v_and_b32_e32 v3, 0x7f800000, v2
	v_cmp_ne_u32_e64 s[0:1], s24, v3
                                        ; implicit-def: $vgpr99
	s_and_saveexec_b64 s[14:15], s[0:1]
	s_xor_b64 s[0:1], exec, s[14:15]
; %bb.236:                              ;   in Loop: Header=BB151_48 Depth=1
	v_bfe_u32 v3, v2, 16, 1
	v_add3_u32 v99, v2, v3, s25
                                        ; implicit-def: $vgpr2
; %bb.237:                              ;   in Loop: Header=BB151_48 Depth=1
	s_andn2_saveexec_b64 s[14:15], s[0:1]
; %bb.238:                              ;   in Loop: Header=BB151_48 Depth=1
	v_or_b32_e32 v3, 0x10000, v2
	v_cmp_eq_u32_sdwa s[0:1], v2, v21 src0_sel:WORD_0 src1_sel:DWORD
	s_nop 1
	v_cndmask_b32_e64 v99, v3, v2, s[0:1]
; %bb.239:                              ;   in Loop: Header=BB151_48 Depth=1
	s_or_b64 exec, exec, s[14:15]
	v_lshlrev_b32_e32 v2, 16, v29
	v_mul_f32_e32 v2, v74, v2
	v_and_b32_e32 v3, 0x7f800000, v2
	v_cmp_ne_u32_e64 s[0:1], s24, v3
                                        ; implicit-def: $vgpr100
	s_and_saveexec_b64 s[14:15], s[0:1]
	s_xor_b64 s[0:1], exec, s[14:15]
; %bb.240:                              ;   in Loop: Header=BB151_48 Depth=1
	v_bfe_u32 v3, v2, 16, 1
	v_add3_u32 v100, v2, v3, s25
                                        ; implicit-def: $vgpr2
; %bb.241:                              ;   in Loop: Header=BB151_48 Depth=1
	s_andn2_saveexec_b64 s[14:15], s[0:1]
; %bb.242:                              ;   in Loop: Header=BB151_48 Depth=1
	v_or_b32_e32 v3, 0x10000, v2
	v_cmp_eq_u32_sdwa s[0:1], v2, v21 src0_sel:WORD_0 src1_sel:DWORD
	s_nop 1
	v_cndmask_b32_e64 v100, v3, v2, s[0:1]
; %bb.243:                              ;   in Loop: Header=BB151_48 Depth=1
	s_or_b64 exec, exec, s[14:15]
	v_lshlrev_b32_e32 v2, 16, v5
	v_mul_f32_e32 v2, v75, v2
	v_and_b32_e32 v3, 0x7f800000, v2
	v_cmp_ne_u32_e64 s[0:1], s24, v3
                                        ; implicit-def: $vgpr101
	s_and_saveexec_b64 s[14:15], s[0:1]
	s_xor_b64 s[0:1], exec, s[14:15]
; %bb.244:                              ;   in Loop: Header=BB151_48 Depth=1
	v_bfe_u32 v3, v2, 16, 1
	v_add3_u32 v101, v2, v3, s25
                                        ; implicit-def: $vgpr2
; %bb.245:                              ;   in Loop: Header=BB151_48 Depth=1
	s_andn2_saveexec_b64 s[14:15], s[0:1]
; %bb.246:                              ;   in Loop: Header=BB151_48 Depth=1
	v_or_b32_e32 v3, 0x10000, v2
	v_cmp_eq_u32_sdwa s[0:1], v2, v21 src0_sel:WORD_0 src1_sel:DWORD
	s_nop 1
	v_cndmask_b32_e64 v101, v3, v2, s[0:1]
; %bb.247:                              ;   in Loop: Header=BB151_48 Depth=1
	s_or_b64 exec, exec, s[14:15]
	v_lshlrev_b32_e32 v0, 16, v0
	v_mul_f32_e32 v0, v76, v0
	v_and_b32_e32 v2, 0x7f800000, v0
	v_cmp_ne_u32_e64 s[0:1], s24, v2
                                        ; implicit-def: $vgpr102
	s_and_saveexec_b64 s[14:15], s[0:1]
	s_xor_b64 s[0:1], exec, s[14:15]
; %bb.248:                              ;   in Loop: Header=BB151_48 Depth=1
	v_bfe_u32 v2, v0, 16, 1
	v_add3_u32 v102, v0, v2, s25
                                        ; implicit-def: $vgpr0
; %bb.249:                              ;   in Loop: Header=BB151_48 Depth=1
	s_andn2_saveexec_b64 s[14:15], s[0:1]
; %bb.250:                              ;   in Loop: Header=BB151_48 Depth=1
	v_or_b32_e32 v2, 0x10000, v0
	v_cmp_eq_u32_sdwa s[0:1], v0, v21 src0_sel:WORD_0 src1_sel:DWORD
	s_nop 1
	v_cndmask_b32_e64 v102, v2, v0, s[0:1]
; %bb.251:                              ;   in Loop: Header=BB151_48 Depth=1
	s_or_b64 exec, exec, s[14:15]
	v_mov_b32_e32 v29, v21
	v_lshl_add_u64 v[2:3], v[6:7], 0, v[28:29]
	global_load_dwordx4 v[2:5], v[2:3], off
	s_waitcnt vmcnt(0)
	v_lshrrev_b32_e32 v35, 16, v2
	v_lshrrev_b32_e32 v33, 16, v3
	v_lshrrev_b32_e32 v31, 16, v4
	v_lshrrev_b32_e32 v0, 16, v5
	s_and_saveexec_b64 s[14:15], vcc
	s_cbranch_execz .LBB151_253
; %bb.252:                              ;   in Loop: Header=BB151_48 Depth=1
	v_cmp_gt_i32_e64 s[0:1], s33, v59
	s_nop 1
	v_cndmask_b32_e64 v2, 0, v2, s[0:1]
	v_cmp_gt_i32_e64 s[0:1], s33, v67
	s_nop 1
	v_cndmask_b32_e64 v35, 0, v35, s[0:1]
	;; [unrolled: 3-line block ×8, first 2 shown]
.LBB151_253:                            ;   in Loop: Header=BB151_48 Depth=1
	s_or_b64 exec, exec, s[14:15]
	v_lshlrev_b32_e32 v2, 16, v2
	v_mul_f32_e32 v2, v68, v2
	v_and_b32_e32 v29, 0x7f800000, v2
	v_cmp_ne_u32_e64 s[0:1], s24, v29
                                        ; implicit-def: $vgpr29
	s_and_saveexec_b64 s[14:15], s[0:1]
	s_xor_b64 s[0:1], exec, s[14:15]
; %bb.254:                              ;   in Loop: Header=BB151_48 Depth=1
	v_bfe_u32 v29, v2, 16, 1
	v_add3_u32 v29, v2, v29, s25
                                        ; implicit-def: $vgpr2
; %bb.255:                              ;   in Loop: Header=BB151_48 Depth=1
	s_andn2_saveexec_b64 s[14:15], s[0:1]
; %bb.256:                              ;   in Loop: Header=BB151_48 Depth=1
	v_or_b32_e32 v29, 0x10000, v2
	v_cmp_eq_u32_sdwa s[0:1], v2, v21 src0_sel:WORD_0 src1_sel:DWORD
	s_nop 1
	v_cndmask_b32_e64 v29, v29, v2, s[0:1]
; %bb.257:                              ;   in Loop: Header=BB151_48 Depth=1
	s_or_b64 exec, exec, s[14:15]
	v_lshlrev_b32_e32 v2, 16, v35
	v_mul_f32_e32 v2, v69, v2
	v_and_b32_e32 v35, 0x7f800000, v2
	v_cmp_ne_u32_e64 s[0:1], s24, v35
                                        ; implicit-def: $vgpr103
	s_and_saveexec_b64 s[14:15], s[0:1]
	s_xor_b64 s[0:1], exec, s[14:15]
; %bb.258:                              ;   in Loop: Header=BB151_48 Depth=1
	v_bfe_u32 v35, v2, 16, 1
	v_add3_u32 v103, v2, v35, s25
                                        ; implicit-def: $vgpr2
; %bb.259:                              ;   in Loop: Header=BB151_48 Depth=1
	s_andn2_saveexec_b64 s[14:15], s[0:1]
; %bb.260:                              ;   in Loop: Header=BB151_48 Depth=1
	v_or_b32_e32 v35, 0x10000, v2
	v_cmp_eq_u32_sdwa s[0:1], v2, v21 src0_sel:WORD_0 src1_sel:DWORD
	s_nop 1
	v_cndmask_b32_e64 v103, v35, v2, s[0:1]
; %bb.261:                              ;   in Loop: Header=BB151_48 Depth=1
	s_or_b64 exec, exec, s[14:15]
	v_lshlrev_b32_e32 v2, 16, v3
	v_mul_f32_e32 v2, v70, v2
	v_and_b32_e32 v3, 0x7f800000, v2
	v_cmp_ne_u32_e64 s[0:1], s24, v3
                                        ; implicit-def: $vgpr104
	s_and_saveexec_b64 s[14:15], s[0:1]
	s_xor_b64 s[0:1], exec, s[14:15]
; %bb.262:                              ;   in Loop: Header=BB151_48 Depth=1
	v_bfe_u32 v3, v2, 16, 1
	v_add3_u32 v104, v2, v3, s25
                                        ; implicit-def: $vgpr2
; %bb.263:                              ;   in Loop: Header=BB151_48 Depth=1
	s_andn2_saveexec_b64 s[14:15], s[0:1]
; %bb.264:                              ;   in Loop: Header=BB151_48 Depth=1
	v_or_b32_e32 v3, 0x10000, v2
	v_cmp_eq_u32_sdwa s[0:1], v2, v21 src0_sel:WORD_0 src1_sel:DWORD
	s_nop 1
	v_cndmask_b32_e64 v104, v3, v2, s[0:1]
; %bb.265:                              ;   in Loop: Header=BB151_48 Depth=1
	s_or_b64 exec, exec, s[14:15]
	v_lshlrev_b32_e32 v2, 16, v33
	v_mul_f32_e32 v2, v71, v2
	v_and_b32_e32 v3, 0x7f800000, v2
	v_cmp_ne_u32_e64 s[0:1], s24, v3
                                        ; implicit-def: $vgpr105
	s_and_saveexec_b64 s[14:15], s[0:1]
	s_xor_b64 s[0:1], exec, s[14:15]
; %bb.266:                              ;   in Loop: Header=BB151_48 Depth=1
	v_bfe_u32 v3, v2, 16, 1
	v_add3_u32 v105, v2, v3, s25
                                        ; implicit-def: $vgpr2
; %bb.267:                              ;   in Loop: Header=BB151_48 Depth=1
	s_andn2_saveexec_b64 s[14:15], s[0:1]
; %bb.268:                              ;   in Loop: Header=BB151_48 Depth=1
	v_or_b32_e32 v3, 0x10000, v2
	v_cmp_eq_u32_sdwa s[0:1], v2, v21 src0_sel:WORD_0 src1_sel:DWORD
	s_nop 1
	v_cndmask_b32_e64 v105, v3, v2, s[0:1]
; %bb.269:                              ;   in Loop: Header=BB151_48 Depth=1
	s_or_b64 exec, exec, s[14:15]
	v_lshlrev_b32_e32 v2, 16, v4
	v_mul_f32_e32 v2, v73, v2
	v_and_b32_e32 v3, 0x7f800000, v2
	v_cmp_ne_u32_e64 s[0:1], s24, v3
                                        ; implicit-def: $vgpr106
	s_and_saveexec_b64 s[14:15], s[0:1]
	s_xor_b64 s[0:1], exec, s[14:15]
; %bb.270:                              ;   in Loop: Header=BB151_48 Depth=1
	v_bfe_u32 v3, v2, 16, 1
	v_add3_u32 v106, v2, v3, s25
                                        ; implicit-def: $vgpr2
; %bb.271:                              ;   in Loop: Header=BB151_48 Depth=1
	s_andn2_saveexec_b64 s[14:15], s[0:1]
; %bb.272:                              ;   in Loop: Header=BB151_48 Depth=1
	v_or_b32_e32 v3, 0x10000, v2
	v_cmp_eq_u32_sdwa s[0:1], v2, v21 src0_sel:WORD_0 src1_sel:DWORD
	s_nop 1
	v_cndmask_b32_e64 v106, v3, v2, s[0:1]
; %bb.273:                              ;   in Loop: Header=BB151_48 Depth=1
	s_or_b64 exec, exec, s[14:15]
	v_lshlrev_b32_e32 v2, 16, v31
	v_mul_f32_e32 v2, v74, v2
	v_and_b32_e32 v3, 0x7f800000, v2
	v_cmp_ne_u32_e64 s[0:1], s24, v3
                                        ; implicit-def: $vgpr107
	s_and_saveexec_b64 s[14:15], s[0:1]
	s_xor_b64 s[0:1], exec, s[14:15]
; %bb.274:                              ;   in Loop: Header=BB151_48 Depth=1
	v_bfe_u32 v3, v2, 16, 1
	v_add3_u32 v107, v2, v3, s25
                                        ; implicit-def: $vgpr2
; %bb.275:                              ;   in Loop: Header=BB151_48 Depth=1
	s_andn2_saveexec_b64 s[14:15], s[0:1]
; %bb.276:                              ;   in Loop: Header=BB151_48 Depth=1
	v_or_b32_e32 v3, 0x10000, v2
	v_cmp_eq_u32_sdwa s[0:1], v2, v21 src0_sel:WORD_0 src1_sel:DWORD
	s_nop 1
	v_cndmask_b32_e64 v107, v3, v2, s[0:1]
; %bb.277:                              ;   in Loop: Header=BB151_48 Depth=1
	s_or_b64 exec, exec, s[14:15]
	v_lshlrev_b32_e32 v2, 16, v5
	v_mul_f32_e32 v2, v75, v2
	v_and_b32_e32 v3, 0x7f800000, v2
	v_cmp_ne_u32_e64 s[0:1], s24, v3
                                        ; implicit-def: $vgpr108
	s_and_saveexec_b64 s[14:15], s[0:1]
	s_xor_b64 s[0:1], exec, s[14:15]
; %bb.278:                              ;   in Loop: Header=BB151_48 Depth=1
	v_bfe_u32 v3, v2, 16, 1
	v_add3_u32 v108, v2, v3, s25
                                        ; implicit-def: $vgpr2
; %bb.279:                              ;   in Loop: Header=BB151_48 Depth=1
	s_andn2_saveexec_b64 s[14:15], s[0:1]
; %bb.280:                              ;   in Loop: Header=BB151_48 Depth=1
	v_or_b32_e32 v3, 0x10000, v2
	v_cmp_eq_u32_sdwa s[0:1], v2, v21 src0_sel:WORD_0 src1_sel:DWORD
	s_nop 1
	v_cndmask_b32_e64 v108, v3, v2, s[0:1]
; %bb.281:                              ;   in Loop: Header=BB151_48 Depth=1
	s_or_b64 exec, exec, s[14:15]
	v_lshlrev_b32_e32 v0, 16, v0
	v_mul_f32_e32 v0, v76, v0
	v_and_b32_e32 v2, 0x7f800000, v0
	v_cmp_ne_u32_e64 s[0:1], s24, v2
                                        ; implicit-def: $vgpr109
	s_and_saveexec_b64 s[14:15], s[0:1]
	s_xor_b64 s[0:1], exec, s[14:15]
; %bb.282:                              ;   in Loop: Header=BB151_48 Depth=1
	v_bfe_u32 v2, v0, 16, 1
	v_add3_u32 v109, v0, v2, s25
                                        ; implicit-def: $vgpr0
; %bb.283:                              ;   in Loop: Header=BB151_48 Depth=1
	s_andn2_saveexec_b64 s[14:15], s[0:1]
; %bb.284:                              ;   in Loop: Header=BB151_48 Depth=1
	v_or_b32_e32 v2, 0x10000, v0
	v_cmp_eq_u32_sdwa s[0:1], v0, v21 src0_sel:WORD_0 src1_sel:DWORD
	s_nop 1
	v_cndmask_b32_e64 v109, v2, v0, s[0:1]
; %bb.285:                              ;   in Loop: Header=BB151_48 Depth=1
	s_or_b64 exec, exec, s[14:15]
	v_mov_b32_e32 v31, v21
	v_lshl_add_u64 v[2:3], v[6:7], 0, v[30:31]
	global_load_dwordx4 v[2:5], v[2:3], off
	s_waitcnt vmcnt(0)
	v_lshrrev_b32_e32 v37, 16, v2
	v_lshrrev_b32_e32 v35, 16, v3
	;; [unrolled: 1-line block ×4, first 2 shown]
	s_and_saveexec_b64 s[14:15], vcc
	s_cbranch_execz .LBB151_287
; %bb.286:                              ;   in Loop: Header=BB151_48 Depth=1
	v_cmp_gt_i32_e64 s[0:1], s33, v59
	s_nop 1
	v_cndmask_b32_e64 v2, 0, v2, s[0:1]
	v_cmp_gt_i32_e64 s[0:1], s33, v67
	s_nop 1
	v_cndmask_b32_e64 v37, 0, v37, s[0:1]
	;; [unrolled: 3-line block ×8, first 2 shown]
.LBB151_287:                            ;   in Loop: Header=BB151_48 Depth=1
	s_or_b64 exec, exec, s[14:15]
	v_lshlrev_b32_e32 v2, 16, v2
	v_mul_f32_e32 v2, v68, v2
	v_and_b32_e32 v31, 0x7f800000, v2
	v_cmp_ne_u32_e64 s[0:1], s24, v31
                                        ; implicit-def: $vgpr31
	s_and_saveexec_b64 s[14:15], s[0:1]
	s_xor_b64 s[0:1], exec, s[14:15]
; %bb.288:                              ;   in Loop: Header=BB151_48 Depth=1
	v_bfe_u32 v31, v2, 16, 1
	v_add3_u32 v31, v2, v31, s25
                                        ; implicit-def: $vgpr2
; %bb.289:                              ;   in Loop: Header=BB151_48 Depth=1
	s_andn2_saveexec_b64 s[14:15], s[0:1]
; %bb.290:                              ;   in Loop: Header=BB151_48 Depth=1
	v_or_b32_e32 v31, 0x10000, v2
	v_cmp_eq_u32_sdwa s[0:1], v2, v21 src0_sel:WORD_0 src1_sel:DWORD
	s_nop 1
	v_cndmask_b32_e64 v31, v31, v2, s[0:1]
; %bb.291:                              ;   in Loop: Header=BB151_48 Depth=1
	s_or_b64 exec, exec, s[14:15]
	v_lshlrev_b32_e32 v2, 16, v37
	v_mul_f32_e32 v2, v69, v2
	v_and_b32_e32 v37, 0x7f800000, v2
	v_cmp_ne_u32_e64 s[0:1], s24, v37
                                        ; implicit-def: $vgpr110
	s_and_saveexec_b64 s[14:15], s[0:1]
	s_xor_b64 s[0:1], exec, s[14:15]
; %bb.292:                              ;   in Loop: Header=BB151_48 Depth=1
	v_bfe_u32 v37, v2, 16, 1
	v_add3_u32 v110, v2, v37, s25
                                        ; implicit-def: $vgpr2
; %bb.293:                              ;   in Loop: Header=BB151_48 Depth=1
	s_andn2_saveexec_b64 s[14:15], s[0:1]
; %bb.294:                              ;   in Loop: Header=BB151_48 Depth=1
	v_or_b32_e32 v37, 0x10000, v2
	v_cmp_eq_u32_sdwa s[0:1], v2, v21 src0_sel:WORD_0 src1_sel:DWORD
	s_nop 1
	v_cndmask_b32_e64 v110, v37, v2, s[0:1]
; %bb.295:                              ;   in Loop: Header=BB151_48 Depth=1
	s_or_b64 exec, exec, s[14:15]
	v_lshlrev_b32_e32 v2, 16, v3
	v_mul_f32_e32 v2, v70, v2
	v_and_b32_e32 v3, 0x7f800000, v2
	v_cmp_ne_u32_e64 s[0:1], s24, v3
                                        ; implicit-def: $vgpr111
	s_and_saveexec_b64 s[14:15], s[0:1]
	s_xor_b64 s[0:1], exec, s[14:15]
; %bb.296:                              ;   in Loop: Header=BB151_48 Depth=1
	v_bfe_u32 v3, v2, 16, 1
	v_add3_u32 v111, v2, v3, s25
                                        ; implicit-def: $vgpr2
; %bb.297:                              ;   in Loop: Header=BB151_48 Depth=1
	s_andn2_saveexec_b64 s[14:15], s[0:1]
; %bb.298:                              ;   in Loop: Header=BB151_48 Depth=1
	v_or_b32_e32 v3, 0x10000, v2
	v_cmp_eq_u32_sdwa s[0:1], v2, v21 src0_sel:WORD_0 src1_sel:DWORD
	s_nop 1
	v_cndmask_b32_e64 v111, v3, v2, s[0:1]
; %bb.299:                              ;   in Loop: Header=BB151_48 Depth=1
	s_or_b64 exec, exec, s[14:15]
	v_lshlrev_b32_e32 v2, 16, v35
	v_mul_f32_e32 v2, v71, v2
	v_and_b32_e32 v3, 0x7f800000, v2
	v_cmp_ne_u32_e64 s[0:1], s24, v3
                                        ; implicit-def: $vgpr112
	s_and_saveexec_b64 s[14:15], s[0:1]
	s_xor_b64 s[0:1], exec, s[14:15]
; %bb.300:                              ;   in Loop: Header=BB151_48 Depth=1
	v_bfe_u32 v3, v2, 16, 1
	v_add3_u32 v112, v2, v3, s25
                                        ; implicit-def: $vgpr2
; %bb.301:                              ;   in Loop: Header=BB151_48 Depth=1
	s_andn2_saveexec_b64 s[14:15], s[0:1]
; %bb.302:                              ;   in Loop: Header=BB151_48 Depth=1
	v_or_b32_e32 v3, 0x10000, v2
	v_cmp_eq_u32_sdwa s[0:1], v2, v21 src0_sel:WORD_0 src1_sel:DWORD
	s_nop 1
	v_cndmask_b32_e64 v112, v3, v2, s[0:1]
; %bb.303:                              ;   in Loop: Header=BB151_48 Depth=1
	s_or_b64 exec, exec, s[14:15]
	v_lshlrev_b32_e32 v2, 16, v4
	v_mul_f32_e32 v2, v73, v2
	v_and_b32_e32 v3, 0x7f800000, v2
	v_cmp_ne_u32_e64 s[0:1], s24, v3
                                        ; implicit-def: $vgpr113
	s_and_saveexec_b64 s[14:15], s[0:1]
	s_xor_b64 s[0:1], exec, s[14:15]
; %bb.304:                              ;   in Loop: Header=BB151_48 Depth=1
	v_bfe_u32 v3, v2, 16, 1
	v_add3_u32 v113, v2, v3, s25
                                        ; implicit-def: $vgpr2
; %bb.305:                              ;   in Loop: Header=BB151_48 Depth=1
	s_andn2_saveexec_b64 s[14:15], s[0:1]
; %bb.306:                              ;   in Loop: Header=BB151_48 Depth=1
	v_or_b32_e32 v3, 0x10000, v2
	v_cmp_eq_u32_sdwa s[0:1], v2, v21 src0_sel:WORD_0 src1_sel:DWORD
	s_nop 1
	v_cndmask_b32_e64 v113, v3, v2, s[0:1]
; %bb.307:                              ;   in Loop: Header=BB151_48 Depth=1
	s_or_b64 exec, exec, s[14:15]
	v_lshlrev_b32_e32 v2, 16, v33
	v_mul_f32_e32 v2, v74, v2
	v_and_b32_e32 v3, 0x7f800000, v2
	v_cmp_ne_u32_e64 s[0:1], s24, v3
                                        ; implicit-def: $vgpr114
	s_and_saveexec_b64 s[14:15], s[0:1]
	s_xor_b64 s[0:1], exec, s[14:15]
; %bb.308:                              ;   in Loop: Header=BB151_48 Depth=1
	v_bfe_u32 v3, v2, 16, 1
	v_add3_u32 v114, v2, v3, s25
                                        ; implicit-def: $vgpr2
; %bb.309:                              ;   in Loop: Header=BB151_48 Depth=1
	s_andn2_saveexec_b64 s[14:15], s[0:1]
; %bb.310:                              ;   in Loop: Header=BB151_48 Depth=1
	v_or_b32_e32 v3, 0x10000, v2
	v_cmp_eq_u32_sdwa s[0:1], v2, v21 src0_sel:WORD_0 src1_sel:DWORD
	s_nop 1
	v_cndmask_b32_e64 v114, v3, v2, s[0:1]
; %bb.311:                              ;   in Loop: Header=BB151_48 Depth=1
	s_or_b64 exec, exec, s[14:15]
	v_lshlrev_b32_e32 v2, 16, v5
	v_mul_f32_e32 v2, v75, v2
	v_and_b32_e32 v3, 0x7f800000, v2
	v_cmp_ne_u32_e64 s[0:1], s24, v3
                                        ; implicit-def: $vgpr115
	s_and_saveexec_b64 s[14:15], s[0:1]
	s_xor_b64 s[0:1], exec, s[14:15]
; %bb.312:                              ;   in Loop: Header=BB151_48 Depth=1
	v_bfe_u32 v3, v2, 16, 1
	v_add3_u32 v115, v2, v3, s25
                                        ; implicit-def: $vgpr2
; %bb.313:                              ;   in Loop: Header=BB151_48 Depth=1
	s_andn2_saveexec_b64 s[14:15], s[0:1]
; %bb.314:                              ;   in Loop: Header=BB151_48 Depth=1
	v_or_b32_e32 v3, 0x10000, v2
	v_cmp_eq_u32_sdwa s[0:1], v2, v21 src0_sel:WORD_0 src1_sel:DWORD
	s_nop 1
	v_cndmask_b32_e64 v115, v3, v2, s[0:1]
; %bb.315:                              ;   in Loop: Header=BB151_48 Depth=1
	s_or_b64 exec, exec, s[14:15]
	v_lshlrev_b32_e32 v0, 16, v0
	v_mul_f32_e32 v0, v76, v0
	v_and_b32_e32 v2, 0x7f800000, v0
	v_cmp_ne_u32_e64 s[0:1], s24, v2
                                        ; implicit-def: $vgpr116
	s_and_saveexec_b64 s[14:15], s[0:1]
	s_xor_b64 s[0:1], exec, s[14:15]
; %bb.316:                              ;   in Loop: Header=BB151_48 Depth=1
	v_bfe_u32 v2, v0, 16, 1
	v_add3_u32 v116, v0, v2, s25
                                        ; implicit-def: $vgpr0
; %bb.317:                              ;   in Loop: Header=BB151_48 Depth=1
	s_andn2_saveexec_b64 s[14:15], s[0:1]
; %bb.318:                              ;   in Loop: Header=BB151_48 Depth=1
	v_or_b32_e32 v2, 0x10000, v0
	v_cmp_eq_u32_sdwa s[0:1], v0, v21 src0_sel:WORD_0 src1_sel:DWORD
	s_nop 1
	v_cndmask_b32_e64 v116, v2, v0, s[0:1]
; %bb.319:                              ;   in Loop: Header=BB151_48 Depth=1
	s_or_b64 exec, exec, s[14:15]
	v_mov_b32_e32 v33, v21
	v_lshl_add_u64 v[2:3], v[6:7], 0, v[32:33]
	global_load_dwordx4 v[2:5], v[2:3], off
	s_waitcnt vmcnt(0)
	v_lshrrev_b32_e32 v39, 16, v2
	v_lshrrev_b32_e32 v37, 16, v3
	;; [unrolled: 1-line block ×4, first 2 shown]
	s_and_saveexec_b64 s[14:15], vcc
	s_cbranch_execz .LBB151_321
; %bb.320:                              ;   in Loop: Header=BB151_48 Depth=1
	v_cmp_gt_i32_e64 s[0:1], s33, v59
	s_nop 1
	v_cndmask_b32_e64 v2, 0, v2, s[0:1]
	v_cmp_gt_i32_e64 s[0:1], s33, v67
	s_nop 1
	v_cndmask_b32_e64 v39, 0, v39, s[0:1]
	;; [unrolled: 3-line block ×8, first 2 shown]
.LBB151_321:                            ;   in Loop: Header=BB151_48 Depth=1
	s_or_b64 exec, exec, s[14:15]
	v_lshlrev_b32_e32 v2, 16, v2
	v_mul_f32_e32 v2, v68, v2
	v_and_b32_e32 v33, 0x7f800000, v2
	v_cmp_ne_u32_e64 s[0:1], s24, v33
                                        ; implicit-def: $vgpr33
	s_and_saveexec_b64 s[14:15], s[0:1]
	s_xor_b64 s[0:1], exec, s[14:15]
; %bb.322:                              ;   in Loop: Header=BB151_48 Depth=1
	v_bfe_u32 v33, v2, 16, 1
	v_add3_u32 v33, v2, v33, s25
                                        ; implicit-def: $vgpr2
; %bb.323:                              ;   in Loop: Header=BB151_48 Depth=1
	s_andn2_saveexec_b64 s[14:15], s[0:1]
; %bb.324:                              ;   in Loop: Header=BB151_48 Depth=1
	v_or_b32_e32 v33, 0x10000, v2
	v_cmp_eq_u32_sdwa s[0:1], v2, v21 src0_sel:WORD_0 src1_sel:DWORD
	s_nop 1
	v_cndmask_b32_e64 v33, v33, v2, s[0:1]
; %bb.325:                              ;   in Loop: Header=BB151_48 Depth=1
	s_or_b64 exec, exec, s[14:15]
	v_lshlrev_b32_e32 v2, 16, v39
	v_mul_f32_e32 v2, v69, v2
	v_and_b32_e32 v39, 0x7f800000, v2
	v_cmp_ne_u32_e64 s[0:1], s24, v39
                                        ; implicit-def: $vgpr117
	s_and_saveexec_b64 s[14:15], s[0:1]
	s_xor_b64 s[0:1], exec, s[14:15]
; %bb.326:                              ;   in Loop: Header=BB151_48 Depth=1
	v_bfe_u32 v39, v2, 16, 1
	v_add3_u32 v117, v2, v39, s25
                                        ; implicit-def: $vgpr2
; %bb.327:                              ;   in Loop: Header=BB151_48 Depth=1
	s_andn2_saveexec_b64 s[14:15], s[0:1]
; %bb.328:                              ;   in Loop: Header=BB151_48 Depth=1
	v_or_b32_e32 v39, 0x10000, v2
	v_cmp_eq_u32_sdwa s[0:1], v2, v21 src0_sel:WORD_0 src1_sel:DWORD
	s_nop 1
	v_cndmask_b32_e64 v117, v39, v2, s[0:1]
; %bb.329:                              ;   in Loop: Header=BB151_48 Depth=1
	s_or_b64 exec, exec, s[14:15]
	v_lshlrev_b32_e32 v2, 16, v3
	v_mul_f32_e32 v2, v70, v2
	v_and_b32_e32 v3, 0x7f800000, v2
	v_cmp_ne_u32_e64 s[0:1], s24, v3
                                        ; implicit-def: $vgpr118
	s_and_saveexec_b64 s[14:15], s[0:1]
	s_xor_b64 s[0:1], exec, s[14:15]
; %bb.330:                              ;   in Loop: Header=BB151_48 Depth=1
	v_bfe_u32 v3, v2, 16, 1
	v_add3_u32 v118, v2, v3, s25
                                        ; implicit-def: $vgpr2
; %bb.331:                              ;   in Loop: Header=BB151_48 Depth=1
	s_andn2_saveexec_b64 s[14:15], s[0:1]
; %bb.332:                              ;   in Loop: Header=BB151_48 Depth=1
	v_or_b32_e32 v3, 0x10000, v2
	v_cmp_eq_u32_sdwa s[0:1], v2, v21 src0_sel:WORD_0 src1_sel:DWORD
	s_nop 1
	v_cndmask_b32_e64 v118, v3, v2, s[0:1]
; %bb.333:                              ;   in Loop: Header=BB151_48 Depth=1
	s_or_b64 exec, exec, s[14:15]
	v_lshlrev_b32_e32 v2, 16, v37
	v_mul_f32_e32 v2, v71, v2
	v_and_b32_e32 v3, 0x7f800000, v2
	v_cmp_ne_u32_e64 s[0:1], s24, v3
                                        ; implicit-def: $vgpr119
	s_and_saveexec_b64 s[14:15], s[0:1]
	s_xor_b64 s[0:1], exec, s[14:15]
; %bb.334:                              ;   in Loop: Header=BB151_48 Depth=1
	v_bfe_u32 v3, v2, 16, 1
	v_add3_u32 v119, v2, v3, s25
                                        ; implicit-def: $vgpr2
; %bb.335:                              ;   in Loop: Header=BB151_48 Depth=1
	s_andn2_saveexec_b64 s[14:15], s[0:1]
; %bb.336:                              ;   in Loop: Header=BB151_48 Depth=1
	v_or_b32_e32 v3, 0x10000, v2
	v_cmp_eq_u32_sdwa s[0:1], v2, v21 src0_sel:WORD_0 src1_sel:DWORD
	s_nop 1
	v_cndmask_b32_e64 v119, v3, v2, s[0:1]
; %bb.337:                              ;   in Loop: Header=BB151_48 Depth=1
	s_or_b64 exec, exec, s[14:15]
	v_lshlrev_b32_e32 v2, 16, v4
	v_mul_f32_e32 v2, v73, v2
	v_and_b32_e32 v3, 0x7f800000, v2
	v_cmp_ne_u32_e64 s[0:1], s24, v3
                                        ; implicit-def: $vgpr120
	s_and_saveexec_b64 s[14:15], s[0:1]
	s_xor_b64 s[0:1], exec, s[14:15]
; %bb.338:                              ;   in Loop: Header=BB151_48 Depth=1
	v_bfe_u32 v3, v2, 16, 1
	v_add3_u32 v120, v2, v3, s25
                                        ; implicit-def: $vgpr2
; %bb.339:                              ;   in Loop: Header=BB151_48 Depth=1
	s_andn2_saveexec_b64 s[14:15], s[0:1]
; %bb.340:                              ;   in Loop: Header=BB151_48 Depth=1
	v_or_b32_e32 v3, 0x10000, v2
	v_cmp_eq_u32_sdwa s[0:1], v2, v21 src0_sel:WORD_0 src1_sel:DWORD
	s_nop 1
	v_cndmask_b32_e64 v120, v3, v2, s[0:1]
; %bb.341:                              ;   in Loop: Header=BB151_48 Depth=1
	s_or_b64 exec, exec, s[14:15]
	v_lshlrev_b32_e32 v2, 16, v35
	v_mul_f32_e32 v2, v74, v2
	v_and_b32_e32 v3, 0x7f800000, v2
	v_cmp_ne_u32_e64 s[0:1], s24, v3
                                        ; implicit-def: $vgpr121
	s_and_saveexec_b64 s[14:15], s[0:1]
	s_xor_b64 s[0:1], exec, s[14:15]
; %bb.342:                              ;   in Loop: Header=BB151_48 Depth=1
	v_bfe_u32 v3, v2, 16, 1
	v_add3_u32 v121, v2, v3, s25
                                        ; implicit-def: $vgpr2
; %bb.343:                              ;   in Loop: Header=BB151_48 Depth=1
	s_andn2_saveexec_b64 s[14:15], s[0:1]
; %bb.344:                              ;   in Loop: Header=BB151_48 Depth=1
	v_or_b32_e32 v3, 0x10000, v2
	v_cmp_eq_u32_sdwa s[0:1], v2, v21 src0_sel:WORD_0 src1_sel:DWORD
	s_nop 1
	v_cndmask_b32_e64 v121, v3, v2, s[0:1]
; %bb.345:                              ;   in Loop: Header=BB151_48 Depth=1
	s_or_b64 exec, exec, s[14:15]
	v_lshlrev_b32_e32 v2, 16, v5
	v_mul_f32_e32 v2, v75, v2
	v_and_b32_e32 v3, 0x7f800000, v2
	v_cmp_ne_u32_e64 s[0:1], s24, v3
                                        ; implicit-def: $vgpr122
	s_and_saveexec_b64 s[14:15], s[0:1]
	s_xor_b64 s[0:1], exec, s[14:15]
; %bb.346:                              ;   in Loop: Header=BB151_48 Depth=1
	v_bfe_u32 v3, v2, 16, 1
	v_add3_u32 v122, v2, v3, s25
                                        ; implicit-def: $vgpr2
; %bb.347:                              ;   in Loop: Header=BB151_48 Depth=1
	s_andn2_saveexec_b64 s[14:15], s[0:1]
; %bb.348:                              ;   in Loop: Header=BB151_48 Depth=1
	v_or_b32_e32 v3, 0x10000, v2
	v_cmp_eq_u32_sdwa s[0:1], v2, v21 src0_sel:WORD_0 src1_sel:DWORD
	s_nop 1
	v_cndmask_b32_e64 v122, v3, v2, s[0:1]
; %bb.349:                              ;   in Loop: Header=BB151_48 Depth=1
	s_or_b64 exec, exec, s[14:15]
	v_lshlrev_b32_e32 v0, 16, v0
	v_mul_f32_e32 v0, v76, v0
	v_and_b32_e32 v2, 0x7f800000, v0
	v_cmp_ne_u32_e64 s[0:1], s24, v2
                                        ; implicit-def: $vgpr123
	s_and_saveexec_b64 s[14:15], s[0:1]
	s_xor_b64 s[0:1], exec, s[14:15]
; %bb.350:                              ;   in Loop: Header=BB151_48 Depth=1
	v_bfe_u32 v2, v0, 16, 1
	v_add3_u32 v123, v0, v2, s25
                                        ; implicit-def: $vgpr0
; %bb.351:                              ;   in Loop: Header=BB151_48 Depth=1
	s_andn2_saveexec_b64 s[14:15], s[0:1]
; %bb.352:                              ;   in Loop: Header=BB151_48 Depth=1
	v_or_b32_e32 v2, 0x10000, v0
	v_cmp_eq_u32_sdwa s[0:1], v0, v21 src0_sel:WORD_0 src1_sel:DWORD
	s_nop 1
	v_cndmask_b32_e64 v123, v2, v0, s[0:1]
; %bb.353:                              ;   in Loop: Header=BB151_48 Depth=1
	s_or_b64 exec, exec, s[14:15]
	v_mov_b32_e32 v35, v21
	v_lshl_add_u64 v[2:3], v[6:7], 0, v[34:35]
	global_load_dwordx4 v[2:5], v[2:3], off
	s_waitcnt vmcnt(0)
	v_lshrrev_b32_e32 v41, 16, v2
	v_lshrrev_b32_e32 v39, 16, v3
	;; [unrolled: 1-line block ×4, first 2 shown]
	s_and_saveexec_b64 s[14:15], vcc
	s_cbranch_execz .LBB151_355
; %bb.354:                              ;   in Loop: Header=BB151_48 Depth=1
	v_cmp_gt_i32_e64 s[0:1], s33, v59
	s_nop 1
	v_cndmask_b32_e64 v2, 0, v2, s[0:1]
	v_cmp_gt_i32_e64 s[0:1], s33, v67
	s_nop 1
	v_cndmask_b32_e64 v41, 0, v41, s[0:1]
	;; [unrolled: 3-line block ×8, first 2 shown]
.LBB151_355:                            ;   in Loop: Header=BB151_48 Depth=1
	s_or_b64 exec, exec, s[14:15]
	v_lshlrev_b32_e32 v2, 16, v2
	v_mul_f32_e32 v2, v68, v2
	v_and_b32_e32 v35, 0x7f800000, v2
	v_cmp_ne_u32_e64 s[0:1], s24, v35
                                        ; implicit-def: $vgpr35
	s_and_saveexec_b64 s[14:15], s[0:1]
	s_xor_b64 s[0:1], exec, s[14:15]
; %bb.356:                              ;   in Loop: Header=BB151_48 Depth=1
	v_bfe_u32 v35, v2, 16, 1
	v_add3_u32 v35, v2, v35, s25
                                        ; implicit-def: $vgpr2
; %bb.357:                              ;   in Loop: Header=BB151_48 Depth=1
	s_andn2_saveexec_b64 s[14:15], s[0:1]
; %bb.358:                              ;   in Loop: Header=BB151_48 Depth=1
	v_or_b32_e32 v35, 0x10000, v2
	v_cmp_eq_u32_sdwa s[0:1], v2, v21 src0_sel:WORD_0 src1_sel:DWORD
	s_nop 1
	v_cndmask_b32_e64 v35, v35, v2, s[0:1]
; %bb.359:                              ;   in Loop: Header=BB151_48 Depth=1
	s_or_b64 exec, exec, s[14:15]
	v_lshlrev_b32_e32 v2, 16, v41
	v_mul_f32_e32 v2, v69, v2
	v_and_b32_e32 v41, 0x7f800000, v2
	v_cmp_ne_u32_e64 s[0:1], s24, v41
                                        ; implicit-def: $vgpr124
	s_and_saveexec_b64 s[14:15], s[0:1]
	s_xor_b64 s[0:1], exec, s[14:15]
; %bb.360:                              ;   in Loop: Header=BB151_48 Depth=1
	v_bfe_u32 v41, v2, 16, 1
	v_add3_u32 v124, v2, v41, s25
                                        ; implicit-def: $vgpr2
; %bb.361:                              ;   in Loop: Header=BB151_48 Depth=1
	s_andn2_saveexec_b64 s[14:15], s[0:1]
; %bb.362:                              ;   in Loop: Header=BB151_48 Depth=1
	v_or_b32_e32 v41, 0x10000, v2
	v_cmp_eq_u32_sdwa s[0:1], v2, v21 src0_sel:WORD_0 src1_sel:DWORD
	s_nop 1
	v_cndmask_b32_e64 v124, v41, v2, s[0:1]
; %bb.363:                              ;   in Loop: Header=BB151_48 Depth=1
	s_or_b64 exec, exec, s[14:15]
	v_lshlrev_b32_e32 v2, 16, v3
	v_mul_f32_e32 v2, v70, v2
	v_and_b32_e32 v3, 0x7f800000, v2
	v_cmp_ne_u32_e64 s[0:1], s24, v3
                                        ; implicit-def: $vgpr125
	s_and_saveexec_b64 s[14:15], s[0:1]
	s_xor_b64 s[0:1], exec, s[14:15]
; %bb.364:                              ;   in Loop: Header=BB151_48 Depth=1
	v_bfe_u32 v3, v2, 16, 1
	v_add3_u32 v125, v2, v3, s25
                                        ; implicit-def: $vgpr2
; %bb.365:                              ;   in Loop: Header=BB151_48 Depth=1
	s_andn2_saveexec_b64 s[14:15], s[0:1]
; %bb.366:                              ;   in Loop: Header=BB151_48 Depth=1
	v_or_b32_e32 v3, 0x10000, v2
	v_cmp_eq_u32_sdwa s[0:1], v2, v21 src0_sel:WORD_0 src1_sel:DWORD
	s_nop 1
	v_cndmask_b32_e64 v125, v3, v2, s[0:1]
; %bb.367:                              ;   in Loop: Header=BB151_48 Depth=1
	s_or_b64 exec, exec, s[14:15]
	v_lshlrev_b32_e32 v2, 16, v39
	v_mul_f32_e32 v2, v71, v2
	v_and_b32_e32 v3, 0x7f800000, v2
	v_cmp_ne_u32_e64 s[0:1], s24, v3
                                        ; implicit-def: $vgpr126
	s_and_saveexec_b64 s[14:15], s[0:1]
	s_xor_b64 s[0:1], exec, s[14:15]
; %bb.368:                              ;   in Loop: Header=BB151_48 Depth=1
	v_bfe_u32 v3, v2, 16, 1
	v_add3_u32 v126, v2, v3, s25
                                        ; implicit-def: $vgpr2
; %bb.369:                              ;   in Loop: Header=BB151_48 Depth=1
	s_andn2_saveexec_b64 s[14:15], s[0:1]
; %bb.370:                              ;   in Loop: Header=BB151_48 Depth=1
	v_or_b32_e32 v3, 0x10000, v2
	v_cmp_eq_u32_sdwa s[0:1], v2, v21 src0_sel:WORD_0 src1_sel:DWORD
	s_nop 1
	v_cndmask_b32_e64 v126, v3, v2, s[0:1]
; %bb.371:                              ;   in Loop: Header=BB151_48 Depth=1
	s_or_b64 exec, exec, s[14:15]
	v_lshlrev_b32_e32 v2, 16, v4
	v_mul_f32_e32 v2, v73, v2
	v_and_b32_e32 v3, 0x7f800000, v2
	v_cmp_ne_u32_e64 s[0:1], s24, v3
                                        ; implicit-def: $vgpr127
	s_and_saveexec_b64 s[14:15], s[0:1]
	s_xor_b64 s[0:1], exec, s[14:15]
; %bb.372:                              ;   in Loop: Header=BB151_48 Depth=1
	v_bfe_u32 v3, v2, 16, 1
	v_add3_u32 v127, v2, v3, s25
                                        ; implicit-def: $vgpr2
; %bb.373:                              ;   in Loop: Header=BB151_48 Depth=1
	s_andn2_saveexec_b64 s[14:15], s[0:1]
; %bb.374:                              ;   in Loop: Header=BB151_48 Depth=1
	v_or_b32_e32 v3, 0x10000, v2
	v_cmp_eq_u32_sdwa s[0:1], v2, v21 src0_sel:WORD_0 src1_sel:DWORD
	s_nop 1
	v_cndmask_b32_e64 v127, v3, v2, s[0:1]
; %bb.375:                              ;   in Loop: Header=BB151_48 Depth=1
	s_or_b64 exec, exec, s[14:15]
	v_lshlrev_b32_e32 v2, 16, v37
	v_mul_f32_e32 v2, v74, v2
	v_and_b32_e32 v3, 0x7f800000, v2
	v_cmp_ne_u32_e64 s[0:1], s24, v3
                                        ; implicit-def: $vgpr44
	s_and_saveexec_b64 s[14:15], s[0:1]
	s_xor_b64 s[0:1], exec, s[14:15]
; %bb.376:                              ;   in Loop: Header=BB151_48 Depth=1
	v_bfe_u32 v3, v2, 16, 1
	v_add3_u32 v44, v2, v3, s25
                                        ; implicit-def: $vgpr2
; %bb.377:                              ;   in Loop: Header=BB151_48 Depth=1
	s_andn2_saveexec_b64 s[14:15], s[0:1]
; %bb.378:                              ;   in Loop: Header=BB151_48 Depth=1
	v_or_b32_e32 v3, 0x10000, v2
	v_cmp_eq_u32_sdwa s[0:1], v2, v21 src0_sel:WORD_0 src1_sel:DWORD
	s_nop 1
	v_cndmask_b32_e64 v44, v3, v2, s[0:1]
; %bb.379:                              ;   in Loop: Header=BB151_48 Depth=1
	s_or_b64 exec, exec, s[14:15]
	v_lshlrev_b32_e32 v2, 16, v5
	v_mul_f32_e32 v2, v75, v2
	v_and_b32_e32 v3, 0x7f800000, v2
	v_cmp_ne_u32_e64 s[0:1], s24, v3
                                        ; implicit-def: $vgpr43
	s_and_saveexec_b64 s[14:15], s[0:1]
	s_xor_b64 s[0:1], exec, s[14:15]
; %bb.380:                              ;   in Loop: Header=BB151_48 Depth=1
	v_bfe_u32 v3, v2, 16, 1
	v_add3_u32 v43, v2, v3, s25
                                        ; implicit-def: $vgpr2
; %bb.381:                              ;   in Loop: Header=BB151_48 Depth=1
	s_andn2_saveexec_b64 s[14:15], s[0:1]
; %bb.382:                              ;   in Loop: Header=BB151_48 Depth=1
	v_or_b32_e32 v3, 0x10000, v2
	v_cmp_eq_u32_sdwa s[0:1], v2, v21 src0_sel:WORD_0 src1_sel:DWORD
	s_nop 1
	v_cndmask_b32_e64 v43, v3, v2, s[0:1]
; %bb.383:                              ;   in Loop: Header=BB151_48 Depth=1
	s_or_b64 exec, exec, s[14:15]
	v_lshlrev_b32_e32 v0, 16, v0
	v_mul_f32_e32 v0, v76, v0
	v_and_b32_e32 v2, 0x7f800000, v0
	v_cmp_ne_u32_e64 s[0:1], s24, v2
                                        ; implicit-def: $vgpr47
	s_and_saveexec_b64 s[14:15], s[0:1]
	s_xor_b64 s[0:1], exec, s[14:15]
; %bb.384:                              ;   in Loop: Header=BB151_48 Depth=1
	v_bfe_u32 v2, v0, 16, 1
	v_add3_u32 v47, v0, v2, s25
                                        ; implicit-def: $vgpr0
; %bb.385:                              ;   in Loop: Header=BB151_48 Depth=1
	s_andn2_saveexec_b64 s[14:15], s[0:1]
; %bb.386:                              ;   in Loop: Header=BB151_48 Depth=1
	v_or_b32_e32 v2, 0x10000, v0
	v_cmp_eq_u32_sdwa s[0:1], v0, v21 src0_sel:WORD_0 src1_sel:DWORD
	s_nop 1
	v_cndmask_b32_e64 v47, v2, v0, s[0:1]
; %bb.387:                              ;   in Loop: Header=BB151_48 Depth=1
	s_or_b64 exec, exec, s[14:15]
	v_mov_b32_e32 v37, v21
	v_lshl_add_u64 v[2:3], v[6:7], 0, v[36:37]
	global_load_dwordx4 v[2:5], v[2:3], off
	s_waitcnt vmcnt(0)
	v_lshrrev_b32_e32 v45, 16, v2
	v_lshrrev_b32_e32 v41, 16, v3
	;; [unrolled: 1-line block ×4, first 2 shown]
	s_and_saveexec_b64 s[14:15], vcc
	s_cbranch_execz .LBB151_389
; %bb.388:                              ;   in Loop: Header=BB151_48 Depth=1
	v_cmp_gt_i32_e64 s[0:1], s33, v59
	s_nop 1
	v_cndmask_b32_e64 v2, 0, v2, s[0:1]
	v_cmp_gt_i32_e64 s[0:1], s33, v67
	s_nop 1
	v_cndmask_b32_e64 v45, 0, v45, s[0:1]
	;; [unrolled: 3-line block ×8, first 2 shown]
.LBB151_389:                            ;   in Loop: Header=BB151_48 Depth=1
	s_or_b64 exec, exec, s[14:15]
	v_lshlrev_b32_e32 v2, 16, v2
	v_mul_f32_e32 v2, v68, v2
	v_and_b32_e32 v37, 0x7f800000, v2
	v_cmp_ne_u32_e64 s[0:1], s24, v37
                                        ; implicit-def: $vgpr37
	s_and_saveexec_b64 s[14:15], s[0:1]
	s_xor_b64 s[0:1], exec, s[14:15]
; %bb.390:                              ;   in Loop: Header=BB151_48 Depth=1
	v_bfe_u32 v37, v2, 16, 1
	v_add3_u32 v37, v2, v37, s25
                                        ; implicit-def: $vgpr2
; %bb.391:                              ;   in Loop: Header=BB151_48 Depth=1
	s_andn2_saveexec_b64 s[14:15], s[0:1]
; %bb.392:                              ;   in Loop: Header=BB151_48 Depth=1
	v_or_b32_e32 v37, 0x10000, v2
	v_cmp_eq_u32_sdwa s[0:1], v2, v21 src0_sel:WORD_0 src1_sel:DWORD
	s_nop 1
	v_cndmask_b32_e64 v37, v37, v2, s[0:1]
; %bb.393:                              ;   in Loop: Header=BB151_48 Depth=1
	s_or_b64 exec, exec, s[14:15]
	v_lshlrev_b32_e32 v2, 16, v45
	v_mul_f32_e32 v2, v69, v2
	v_and_b32_e32 v45, 0x7f800000, v2
	v_cmp_ne_u32_e64 s[0:1], s24, v45
                                        ; implicit-def: $vgpr45
	s_and_saveexec_b64 s[14:15], s[0:1]
	s_xor_b64 s[0:1], exec, s[14:15]
; %bb.394:                              ;   in Loop: Header=BB151_48 Depth=1
	v_bfe_u32 v45, v2, 16, 1
	v_add3_u32 v45, v2, v45, s25
                                        ; implicit-def: $vgpr2
; %bb.395:                              ;   in Loop: Header=BB151_48 Depth=1
	s_andn2_saveexec_b64 s[14:15], s[0:1]
; %bb.396:                              ;   in Loop: Header=BB151_48 Depth=1
	v_or_b32_e32 v45, 0x10000, v2
	v_cmp_eq_u32_sdwa s[0:1], v2, v21 src0_sel:WORD_0 src1_sel:DWORD
	s_nop 1
	v_cndmask_b32_e64 v45, v45, v2, s[0:1]
; %bb.397:                              ;   in Loop: Header=BB151_48 Depth=1
	s_or_b64 exec, exec, s[14:15]
	v_lshlrev_b32_e32 v2, 16, v3
	v_mul_f32_e32 v2, v70, v2
	v_and_b32_e32 v3, 0x7f800000, v2
	v_cmp_ne_u32_e64 s[0:1], s24, v3
                                        ; implicit-def: $vgpr46
	s_and_saveexec_b64 s[14:15], s[0:1]
	s_xor_b64 s[0:1], exec, s[14:15]
; %bb.398:                              ;   in Loop: Header=BB151_48 Depth=1
	v_bfe_u32 v3, v2, 16, 1
	v_add3_u32 v46, v2, v3, s25
                                        ; implicit-def: $vgpr2
; %bb.399:                              ;   in Loop: Header=BB151_48 Depth=1
	s_andn2_saveexec_b64 s[14:15], s[0:1]
; %bb.400:                              ;   in Loop: Header=BB151_48 Depth=1
	v_or_b32_e32 v3, 0x10000, v2
	v_cmp_eq_u32_sdwa s[0:1], v2, v21 src0_sel:WORD_0 src1_sel:DWORD
	s_nop 1
	v_cndmask_b32_e64 v46, v3, v2, s[0:1]
; %bb.401:                              ;   in Loop: Header=BB151_48 Depth=1
	s_or_b64 exec, exec, s[14:15]
	v_lshlrev_b32_e32 v2, 16, v41
	v_mul_f32_e32 v2, v71, v2
	v_and_b32_e32 v3, 0x7f800000, v2
	v_cmp_ne_u32_e64 s[0:1], s24, v3
                                        ; implicit-def: $vgpr48
	s_and_saveexec_b64 s[14:15], s[0:1]
	s_xor_b64 s[0:1], exec, s[14:15]
; %bb.402:                              ;   in Loop: Header=BB151_48 Depth=1
	v_bfe_u32 v3, v2, 16, 1
	v_add3_u32 v48, v2, v3, s25
                                        ; implicit-def: $vgpr2
; %bb.403:                              ;   in Loop: Header=BB151_48 Depth=1
	s_andn2_saveexec_b64 s[14:15], s[0:1]
; %bb.404:                              ;   in Loop: Header=BB151_48 Depth=1
	v_or_b32_e32 v3, 0x10000, v2
	v_cmp_eq_u32_sdwa s[0:1], v2, v21 src0_sel:WORD_0 src1_sel:DWORD
	s_nop 1
	v_cndmask_b32_e64 v48, v3, v2, s[0:1]
; %bb.405:                              ;   in Loop: Header=BB151_48 Depth=1
	s_or_b64 exec, exec, s[14:15]
	v_lshlrev_b32_e32 v2, 16, v4
	v_mul_f32_e32 v2, v73, v2
	v_and_b32_e32 v3, 0x7f800000, v2
	v_cmp_ne_u32_e64 s[0:1], s24, v3
                                        ; implicit-def: $vgpr50
	s_and_saveexec_b64 s[14:15], s[0:1]
	s_xor_b64 s[0:1], exec, s[14:15]
; %bb.406:                              ;   in Loop: Header=BB151_48 Depth=1
	v_bfe_u32 v3, v2, 16, 1
	v_add3_u32 v50, v2, v3, s25
                                        ; implicit-def: $vgpr2
; %bb.407:                              ;   in Loop: Header=BB151_48 Depth=1
	s_andn2_saveexec_b64 s[14:15], s[0:1]
; %bb.408:                              ;   in Loop: Header=BB151_48 Depth=1
	v_or_b32_e32 v3, 0x10000, v2
	v_cmp_eq_u32_sdwa s[0:1], v2, v21 src0_sel:WORD_0 src1_sel:DWORD
	s_nop 1
	v_cndmask_b32_e64 v50, v3, v2, s[0:1]
; %bb.409:                              ;   in Loop: Header=BB151_48 Depth=1
	s_or_b64 exec, exec, s[14:15]
	v_lshlrev_b32_e32 v0, 16, v0
	v_mul_f32_e32 v2, v74, v0
	v_and_b32_e32 v0, 0x7f800000, v2
	v_cmp_ne_u32_e64 s[0:1], s24, v0
                                        ; implicit-def: $vgpr0
	s_and_saveexec_b64 s[14:15], s[0:1]
	s_xor_b64 s[0:1], exec, s[14:15]
; %bb.410:                              ;   in Loop: Header=BB151_48 Depth=1
	v_bfe_u32 v0, v2, 16, 1
	v_add3_u32 v0, v2, v0, s25
                                        ; implicit-def: $vgpr2
; %bb.411:                              ;   in Loop: Header=BB151_48 Depth=1
	s_andn2_saveexec_b64 s[14:15], s[0:1]
; %bb.412:                              ;   in Loop: Header=BB151_48 Depth=1
	v_or_b32_e32 v0, 0x10000, v2
	v_cmp_eq_u32_sdwa s[0:1], v2, v21 src0_sel:WORD_0 src1_sel:DWORD
	s_nop 1
	v_cndmask_b32_e64 v0, v0, v2, s[0:1]
; %bb.413:                              ;   in Loop: Header=BB151_48 Depth=1
	s_or_b64 exec, exec, s[14:15]
	v_lshlrev_b32_e32 v2, 16, v5
	v_mul_f32_e32 v2, v75, v2
	v_and_b32_e32 v3, 0x7f800000, v2
	v_cmp_ne_u32_e64 s[0:1], s24, v3
                                        ; implicit-def: $vgpr51
	s_and_saveexec_b64 s[14:15], s[0:1]
	s_xor_b64 s[0:1], exec, s[14:15]
; %bb.414:                              ;   in Loop: Header=BB151_48 Depth=1
	v_bfe_u32 v3, v2, 16, 1
	v_add3_u32 v51, v2, v3, s25
                                        ; implicit-def: $vgpr2
; %bb.415:                              ;   in Loop: Header=BB151_48 Depth=1
	s_andn2_saveexec_b64 s[14:15], s[0:1]
; %bb.416:                              ;   in Loop: Header=BB151_48 Depth=1
	v_or_b32_e32 v3, 0x10000, v2
	v_cmp_eq_u32_sdwa s[0:1], v2, v21 src0_sel:WORD_0 src1_sel:DWORD
	s_nop 1
	v_cndmask_b32_e64 v51, v3, v2, s[0:1]
; %bb.417:                              ;   in Loop: Header=BB151_48 Depth=1
	s_or_b64 exec, exec, s[14:15]
	v_lshlrev_b32_e32 v2, 16, v39
	v_mul_f32_e32 v2, v76, v2
	v_and_b32_e32 v3, 0x7f800000, v2
	v_cmp_ne_u32_e64 s[0:1], s24, v3
                                        ; implicit-def: $vgpr52
	s_and_saveexec_b64 s[14:15], s[0:1]
	s_xor_b64 s[0:1], exec, s[14:15]
; %bb.418:                              ;   in Loop: Header=BB151_48 Depth=1
	v_bfe_u32 v3, v2, 16, 1
	v_add3_u32 v52, v2, v3, s25
                                        ; implicit-def: $vgpr2
; %bb.419:                              ;   in Loop: Header=BB151_48 Depth=1
	s_andn2_saveexec_b64 s[14:15], s[0:1]
; %bb.420:                              ;   in Loop: Header=BB151_48 Depth=1
	v_or_b32_e32 v3, 0x10000, v2
	v_cmp_eq_u32_sdwa s[0:1], v2, v21 src0_sel:WORD_0 src1_sel:DWORD
	s_nop 1
	v_cndmask_b32_e64 v52, v3, v2, s[0:1]
; %bb.421:                              ;   in Loop: Header=BB151_48 Depth=1
	s_or_b64 exec, exec, s[14:15]
	v_mov_b32_e32 v39, v21
	v_lshl_add_u64 v[2:3], v[6:7], 0, v[38:39]
	global_load_dwordx4 v[2:5], v[2:3], off
	s_waitcnt vmcnt(0)
	v_lshrrev_b32_e32 v53, 16, v2
	v_lshrrev_b32_e32 v55, 16, v3
	;; [unrolled: 1-line block ×4, first 2 shown]
	s_and_saveexec_b64 s[14:15], vcc
	s_cbranch_execz .LBB151_423
; %bb.422:                              ;   in Loop: Header=BB151_48 Depth=1
	v_cmp_gt_i32_e64 s[0:1], s33, v59
	s_nop 1
	v_cndmask_b32_e64 v2, 0, v2, s[0:1]
	v_cmp_gt_i32_e64 s[0:1], s33, v67
	s_nop 1
	v_cndmask_b32_e64 v53, 0, v53, s[0:1]
	;; [unrolled: 3-line block ×8, first 2 shown]
.LBB151_423:                            ;   in Loop: Header=BB151_48 Depth=1
	s_or_b64 exec, exec, s[14:15]
	v_lshlrev_b32_e32 v2, 16, v2
	v_mul_f32_e32 v2, v68, v2
	v_and_b32_e32 v39, 0x7f800000, v2
	v_cmp_ne_u32_e64 s[0:1], s24, v39
                                        ; implicit-def: $vgpr39
	s_and_saveexec_b64 s[14:15], s[0:1]
	s_xor_b64 s[0:1], exec, s[14:15]
; %bb.424:                              ;   in Loop: Header=BB151_48 Depth=1
	v_bfe_u32 v39, v2, 16, 1
	v_add3_u32 v39, v2, v39, s25
                                        ; implicit-def: $vgpr2
; %bb.425:                              ;   in Loop: Header=BB151_48 Depth=1
	s_andn2_saveexec_b64 s[14:15], s[0:1]
; %bb.426:                              ;   in Loop: Header=BB151_48 Depth=1
	v_or_b32_e32 v39, 0x10000, v2
	v_cmp_eq_u32_sdwa s[0:1], v2, v21 src0_sel:WORD_0 src1_sel:DWORD
	s_nop 1
	v_cndmask_b32_e64 v39, v39, v2, s[0:1]
; %bb.427:                              ;   in Loop: Header=BB151_48 Depth=1
	s_or_b64 exec, exec, s[14:15]
	v_lshlrev_b32_e32 v2, 16, v53
	v_mul_f32_e32 v2, v69, v2
	v_and_b32_e32 v53, 0x7f800000, v2
	v_cmp_ne_u32_e64 s[0:1], s24, v53
                                        ; implicit-def: $vgpr53
	s_and_saveexec_b64 s[14:15], s[0:1]
	s_xor_b64 s[0:1], exec, s[14:15]
; %bb.428:                              ;   in Loop: Header=BB151_48 Depth=1
	v_bfe_u32 v53, v2, 16, 1
	v_add3_u32 v53, v2, v53, s25
                                        ; implicit-def: $vgpr2
; %bb.429:                              ;   in Loop: Header=BB151_48 Depth=1
	s_andn2_saveexec_b64 s[14:15], s[0:1]
; %bb.430:                              ;   in Loop: Header=BB151_48 Depth=1
	v_or_b32_e32 v53, 0x10000, v2
	v_cmp_eq_u32_sdwa s[0:1], v2, v21 src0_sel:WORD_0 src1_sel:DWORD
	s_nop 1
	v_cndmask_b32_e64 v53, v53, v2, s[0:1]
; %bb.431:                              ;   in Loop: Header=BB151_48 Depth=1
	s_or_b64 exec, exec, s[14:15]
	v_lshlrev_b32_e32 v2, 16, v3
	v_mul_f32_e32 v2, v70, v2
	v_and_b32_e32 v3, 0x7f800000, v2
	v_cmp_ne_u32_e64 s[0:1], s24, v3
                                        ; implicit-def: $vgpr54
	s_and_saveexec_b64 s[14:15], s[0:1]
	s_xor_b64 s[0:1], exec, s[14:15]
; %bb.432:                              ;   in Loop: Header=BB151_48 Depth=1
	v_bfe_u32 v3, v2, 16, 1
	v_add3_u32 v54, v2, v3, s25
                                        ; implicit-def: $vgpr2
; %bb.433:                              ;   in Loop: Header=BB151_48 Depth=1
	s_andn2_saveexec_b64 s[14:15], s[0:1]
; %bb.434:                              ;   in Loop: Header=BB151_48 Depth=1
	v_or_b32_e32 v3, 0x10000, v2
	v_cmp_eq_u32_sdwa s[0:1], v2, v21 src0_sel:WORD_0 src1_sel:DWORD
	s_nop 1
	v_cndmask_b32_e64 v54, v3, v2, s[0:1]
; %bb.435:                              ;   in Loop: Header=BB151_48 Depth=1
	s_or_b64 exec, exec, s[14:15]
	v_lshlrev_b32_e32 v2, 16, v55
	v_mul_f32_e32 v2, v71, v2
	v_and_b32_e32 v3, 0x7f800000, v2
	v_cmp_ne_u32_e64 s[0:1], s24, v3
                                        ; implicit-def: $vgpr55
	s_and_saveexec_b64 s[14:15], s[0:1]
	s_xor_b64 s[0:1], exec, s[14:15]
; %bb.436:                              ;   in Loop: Header=BB151_48 Depth=1
	v_bfe_u32 v3, v2, 16, 1
	v_add3_u32 v55, v2, v3, s25
                                        ; implicit-def: $vgpr2
; %bb.437:                              ;   in Loop: Header=BB151_48 Depth=1
	s_andn2_saveexec_b64 s[14:15], s[0:1]
; %bb.438:                              ;   in Loop: Header=BB151_48 Depth=1
	v_or_b32_e32 v3, 0x10000, v2
	v_cmp_eq_u32_sdwa s[0:1], v2, v21 src0_sel:WORD_0 src1_sel:DWORD
	s_nop 1
	v_cndmask_b32_e64 v55, v3, v2, s[0:1]
; %bb.439:                              ;   in Loop: Header=BB151_48 Depth=1
	s_or_b64 exec, exec, s[14:15]
	v_lshlrev_b32_e32 v2, 16, v4
	v_mul_f32_e32 v2, v73, v2
	v_and_b32_e32 v3, 0x7f800000, v2
	v_cmp_ne_u32_e64 s[0:1], s24, v3
                                        ; implicit-def: $vgpr56
	s_and_saveexec_b64 s[14:15], s[0:1]
	s_xor_b64 s[0:1], exec, s[14:15]
; %bb.440:                              ;   in Loop: Header=BB151_48 Depth=1
	v_bfe_u32 v3, v2, 16, 1
	v_add3_u32 v56, v2, v3, s25
                                        ; implicit-def: $vgpr2
; %bb.441:                              ;   in Loop: Header=BB151_48 Depth=1
	s_andn2_saveexec_b64 s[14:15], s[0:1]
; %bb.442:                              ;   in Loop: Header=BB151_48 Depth=1
	v_or_b32_e32 v3, 0x10000, v2
	v_cmp_eq_u32_sdwa s[0:1], v2, v21 src0_sel:WORD_0 src1_sel:DWORD
	s_nop 1
	v_cndmask_b32_e64 v56, v3, v2, s[0:1]
; %bb.443:                              ;   in Loop: Header=BB151_48 Depth=1
	s_or_b64 exec, exec, s[14:15]
	v_lshlrev_b32_e32 v2, 16, v57
	v_mul_f32_e32 v2, v74, v2
	v_and_b32_e32 v3, 0x7f800000, v2
	v_cmp_ne_u32_e64 s[0:1], s24, v3
                                        ; implicit-def: $vgpr57
	s_and_saveexec_b64 s[14:15], s[0:1]
	s_xor_b64 s[0:1], exec, s[14:15]
; %bb.444:                              ;   in Loop: Header=BB151_48 Depth=1
	v_bfe_u32 v3, v2, 16, 1
	v_add3_u32 v57, v2, v3, s25
                                        ; implicit-def: $vgpr2
; %bb.445:                              ;   in Loop: Header=BB151_48 Depth=1
	s_andn2_saveexec_b64 s[14:15], s[0:1]
; %bb.446:                              ;   in Loop: Header=BB151_48 Depth=1
	v_or_b32_e32 v3, 0x10000, v2
	v_cmp_eq_u32_sdwa s[0:1], v2, v21 src0_sel:WORD_0 src1_sel:DWORD
	s_nop 1
	v_cndmask_b32_e64 v57, v3, v2, s[0:1]
; %bb.447:                              ;   in Loop: Header=BB151_48 Depth=1
	s_or_b64 exec, exec, s[14:15]
	v_lshlrev_b32_e32 v2, 16, v5
	v_mul_f32_e32 v2, v75, v2
	v_and_b32_e32 v3, 0x7f800000, v2
	v_cmp_ne_u32_e64 s[0:1], s24, v3
                                        ; implicit-def: $vgpr58
	s_and_saveexec_b64 s[14:15], s[0:1]
	s_xor_b64 s[0:1], exec, s[14:15]
; %bb.448:                              ;   in Loop: Header=BB151_48 Depth=1
	v_bfe_u32 v3, v2, 16, 1
	v_add3_u32 v58, v2, v3, s25
                                        ; implicit-def: $vgpr2
; %bb.449:                              ;   in Loop: Header=BB151_48 Depth=1
	s_andn2_saveexec_b64 s[14:15], s[0:1]
; %bb.450:                              ;   in Loop: Header=BB151_48 Depth=1
	v_or_b32_e32 v3, 0x10000, v2
	v_cmp_eq_u32_sdwa s[0:1], v2, v21 src0_sel:WORD_0 src1_sel:DWORD
	s_nop 1
	v_cndmask_b32_e64 v58, v3, v2, s[0:1]
; %bb.451:                              ;   in Loop: Header=BB151_48 Depth=1
	s_or_b64 exec, exec, s[14:15]
	v_lshlrev_b32_e32 v2, 16, v41
	v_mul_f32_e32 v2, v76, v2
	v_and_b32_e32 v3, 0x7f800000, v2
	v_cmp_ne_u32_e64 s[0:1], s24, v3
                                        ; implicit-def: $vgpr60
	s_and_saveexec_b64 s[14:15], s[0:1]
	s_xor_b64 s[0:1], exec, s[14:15]
; %bb.452:                              ;   in Loop: Header=BB151_48 Depth=1
	v_bfe_u32 v3, v2, 16, 1
	v_add3_u32 v60, v2, v3, s25
                                        ; implicit-def: $vgpr2
; %bb.453:                              ;   in Loop: Header=BB151_48 Depth=1
	s_andn2_saveexec_b64 s[14:15], s[0:1]
; %bb.454:                              ;   in Loop: Header=BB151_48 Depth=1
	v_or_b32_e32 v3, 0x10000, v2
	v_cmp_eq_u32_sdwa s[0:1], v2, v21 src0_sel:WORD_0 src1_sel:DWORD
	s_nop 1
	v_cndmask_b32_e64 v60, v3, v2, s[0:1]
; %bb.455:                              ;   in Loop: Header=BB151_48 Depth=1
	s_or_b64 exec, exec, s[14:15]
	v_mov_b32_e32 v41, v21
	v_lshl_add_u64 v[2:3], v[6:7], 0, v[40:41]
	global_load_dwordx4 v[2:5], v[2:3], off
	s_waitcnt vmcnt(0)
	v_lshrrev_b32_e32 v6, 16, v2
	v_lshrrev_b32_e32 v7, 16, v3
	v_lshrrev_b32_e32 v72, 16, v4
	v_lshrrev_b32_e32 v41, 16, v5
	s_and_saveexec_b64 s[0:1], vcc
	s_cbranch_execz .LBB151_457
; %bb.456:                              ;   in Loop: Header=BB151_48 Depth=1
	v_cmp_gt_i32_e32 vcc, s33, v59
	s_nop 1
	v_cndmask_b32_e32 v2, 0, v2, vcc
	v_cmp_gt_i32_e32 vcc, s33, v67
	s_nop 1
	v_cndmask_b32_e32 v6, 0, v6, vcc
	;; [unrolled: 3-line block ×8, first 2 shown]
.LBB151_457:                            ;   in Loop: Header=BB151_48 Depth=1
	s_or_b64 exec, exec, s[0:1]
	v_lshlrev_b32_e32 v2, 16, v2
	v_mul_f32_e32 v59, v68, v2
	v_and_b32_e32 v2, 0x7f800000, v59
	v_cmp_ne_u32_e32 vcc, s24, v2
                                        ; implicit-def: $vgpr2
	s_and_saveexec_b64 s[0:1], vcc
	s_xor_b64 s[0:1], exec, s[0:1]
; %bb.458:                              ;   in Loop: Header=BB151_48 Depth=1
	v_bfe_u32 v2, v59, 16, 1
	v_add3_u32 v2, v59, v2, s25
                                        ; implicit-def: $vgpr59
; %bb.459:                              ;   in Loop: Header=BB151_48 Depth=1
	s_andn2_saveexec_b64 s[0:1], s[0:1]
; %bb.460:                              ;   in Loop: Header=BB151_48 Depth=1
	v_or_b32_e32 v2, 0x10000, v59
	v_cmp_eq_u32_sdwa vcc, v59, v21 src0_sel:WORD_0 src1_sel:DWORD
	s_nop 1
	v_cndmask_b32_e32 v2, v2, v59, vcc
; %bb.461:                              ;   in Loop: Header=BB151_48 Depth=1
	s_or_b64 exec, exec, s[0:1]
	v_lshlrev_b32_e32 v6, 16, v6
	v_mul_f32_e32 v59, v69, v6
	v_and_b32_e32 v6, 0x7f800000, v59
	v_cmp_ne_u32_e32 vcc, s24, v6
                                        ; implicit-def: $vgpr6
	s_and_saveexec_b64 s[0:1], vcc
	s_xor_b64 s[0:1], exec, s[0:1]
; %bb.462:                              ;   in Loop: Header=BB151_48 Depth=1
	v_bfe_u32 v6, v59, 16, 1
	v_add3_u32 v6, v59, v6, s25
                                        ; implicit-def: $vgpr59
; %bb.463:                              ;   in Loop: Header=BB151_48 Depth=1
	s_andn2_saveexec_b64 s[0:1], s[0:1]
; %bb.464:                              ;   in Loop: Header=BB151_48 Depth=1
	v_or_b32_e32 v6, 0x10000, v59
	v_cmp_eq_u32_sdwa vcc, v59, v21 src0_sel:WORD_0 src1_sel:DWORD
	s_nop 1
	v_cndmask_b32_e32 v6, v6, v59, vcc
; %bb.465:                              ;   in Loop: Header=BB151_48 Depth=1
	s_or_b64 exec, exec, s[0:1]
	v_lshlrev_b32_e32 v3, 16, v3
	v_mul_f32_e32 v59, v70, v3
	v_and_b32_e32 v3, 0x7f800000, v59
	v_cmp_ne_u32_e32 vcc, s24, v3
                                        ; implicit-def: $vgpr3
	s_and_saveexec_b64 s[0:1], vcc
	s_xor_b64 s[0:1], exec, s[0:1]
; %bb.466:                              ;   in Loop: Header=BB151_48 Depth=1
	v_bfe_u32 v3, v59, 16, 1
	v_add3_u32 v3, v59, v3, s25
                                        ; implicit-def: $vgpr59
; %bb.467:                              ;   in Loop: Header=BB151_48 Depth=1
	s_andn2_saveexec_b64 s[0:1], s[0:1]
; %bb.468:                              ;   in Loop: Header=BB151_48 Depth=1
	v_or_b32_e32 v3, 0x10000, v59
	v_cmp_eq_u32_sdwa vcc, v59, v21 src0_sel:WORD_0 src1_sel:DWORD
	s_nop 1
	v_cndmask_b32_e32 v3, v3, v59, vcc
; %bb.469:                              ;   in Loop: Header=BB151_48 Depth=1
	s_or_b64 exec, exec, s[0:1]
	v_lshlrev_b32_e32 v7, 16, v7
	v_mul_f32_e32 v59, v71, v7
	v_and_b32_e32 v7, 0x7f800000, v59
	v_cmp_ne_u32_e32 vcc, s24, v7
                                        ; implicit-def: $vgpr7
	s_and_saveexec_b64 s[0:1], vcc
	s_xor_b64 s[0:1], exec, s[0:1]
; %bb.470:                              ;   in Loop: Header=BB151_48 Depth=1
	v_bfe_u32 v7, v59, 16, 1
	v_add3_u32 v7, v59, v7, s25
                                        ; implicit-def: $vgpr59
; %bb.471:                              ;   in Loop: Header=BB151_48 Depth=1
	s_andn2_saveexec_b64 s[0:1], s[0:1]
; %bb.472:                              ;   in Loop: Header=BB151_48 Depth=1
	v_or_b32_e32 v7, 0x10000, v59
	v_cmp_eq_u32_sdwa vcc, v59, v21 src0_sel:WORD_0 src1_sel:DWORD
	s_nop 1
	v_cndmask_b32_e32 v7, v7, v59, vcc
; %bb.473:                              ;   in Loop: Header=BB151_48 Depth=1
	s_or_b64 exec, exec, s[0:1]
	v_lshlrev_b32_e32 v4, 16, v4
	v_mul_f32_e32 v59, v73, v4
	v_and_b32_e32 v4, 0x7f800000, v59
	v_cmp_ne_u32_e32 vcc, s24, v4
                                        ; implicit-def: $vgpr4
	s_and_saveexec_b64 s[0:1], vcc
	s_xor_b64 s[0:1], exec, s[0:1]
; %bb.474:                              ;   in Loop: Header=BB151_48 Depth=1
	v_bfe_u32 v4, v59, 16, 1
	v_add3_u32 v4, v59, v4, s25
                                        ; implicit-def: $vgpr59
; %bb.475:                              ;   in Loop: Header=BB151_48 Depth=1
	s_andn2_saveexec_b64 s[0:1], s[0:1]
; %bb.476:                              ;   in Loop: Header=BB151_48 Depth=1
	v_or_b32_e32 v4, 0x10000, v59
	v_cmp_eq_u32_sdwa vcc, v59, v21 src0_sel:WORD_0 src1_sel:DWORD
	s_nop 1
	v_cndmask_b32_e32 v4, v4, v59, vcc
; %bb.477:                              ;   in Loop: Header=BB151_48 Depth=1
	s_or_b64 exec, exec, s[0:1]
	v_lshlrev_b32_e32 v59, 16, v72
	v_mul_f32_e32 v61, v74, v59
	v_and_b32_e32 v59, 0x7f800000, v61
	v_cmp_ne_u32_e32 vcc, s24, v59
                                        ; implicit-def: $vgpr59
	s_and_saveexec_b64 s[0:1], vcc
	s_xor_b64 s[0:1], exec, s[0:1]
; %bb.478:                              ;   in Loop: Header=BB151_48 Depth=1
	v_bfe_u32 v59, v61, 16, 1
	v_add3_u32 v59, v61, v59, s25
                                        ; implicit-def: $vgpr61
; %bb.479:                              ;   in Loop: Header=BB151_48 Depth=1
	s_andn2_saveexec_b64 s[0:1], s[0:1]
; %bb.480:                              ;   in Loop: Header=BB151_48 Depth=1
	v_or_b32_e32 v59, 0x10000, v61
	v_cmp_eq_u32_sdwa vcc, v61, v21 src0_sel:WORD_0 src1_sel:DWORD
	s_nop 1
	v_cndmask_b32_e32 v59, v59, v61, vcc
; %bb.481:                              ;   in Loop: Header=BB151_48 Depth=1
	s_or_b64 exec, exec, s[0:1]
	v_lshlrev_b32_e32 v5, 16, v5
	v_mul_f32_e32 v61, v75, v5
	v_and_b32_e32 v5, 0x7f800000, v61
	v_cmp_ne_u32_e32 vcc, s24, v5
                                        ; implicit-def: $vgpr5
	s_and_saveexec_b64 s[0:1], vcc
	s_xor_b64 s[0:1], exec, s[0:1]
; %bb.482:                              ;   in Loop: Header=BB151_48 Depth=1
	v_bfe_u32 v5, v61, 16, 1
	v_add3_u32 v5, v61, v5, s25
                                        ; implicit-def: $vgpr61
; %bb.483:                              ;   in Loop: Header=BB151_48 Depth=1
	s_andn2_saveexec_b64 s[0:1], s[0:1]
; %bb.484:                              ;   in Loop: Header=BB151_48 Depth=1
	v_or_b32_e32 v5, 0x10000, v61
	v_cmp_eq_u32_sdwa vcc, v61, v21 src0_sel:WORD_0 src1_sel:DWORD
	s_nop 1
	v_cndmask_b32_e32 v5, v5, v61, vcc
; %bb.485:                              ;   in Loop: Header=BB151_48 Depth=1
	s_or_b64 exec, exec, s[0:1]
	v_lshlrev_b32_e32 v41, 16, v41
	v_mul_f32_e32 v61, v76, v41
	v_and_b32_e32 v41, 0x7f800000, v61
	v_cmp_ne_u32_e32 vcc, s24, v41
                                        ; implicit-def: $vgpr41
	s_and_saveexec_b64 s[0:1], vcc
	s_xor_b64 s[0:1], exec, s[0:1]
; %bb.486:                              ;   in Loop: Header=BB151_48 Depth=1
	v_bfe_u32 v41, v61, 16, 1
	v_add3_u32 v41, v61, v41, s25
                                        ; implicit-def: $vgpr61
; %bb.487:                              ;   in Loop: Header=BB151_48 Depth=1
	s_andn2_saveexec_b64 s[0:1], s[0:1]
	s_cbranch_execz .LBB151_46
; %bb.488:                              ;   in Loop: Header=BB151_48 Depth=1
	v_or_b32_e32 v41, 0x10000, v61
	v_cmp_eq_u32_sdwa vcc, v61, v21 src0_sel:WORD_0 src1_sel:DWORD
	s_nop 1
	v_cndmask_b32_e32 v41, v41, v61, vcc
	s_branch .LBB151_46
.LBB151_489:
	s_or_b64 exec, exec, s[8:9]
	scratch_load_dword v24, off, off offset:56 ; 4-byte Folded Reload
	scratch_load_dword v26, off, off offset:60 ; 4-byte Folded Reload
	;; [unrolled: 1-line block ×4, first 2 shown]
.LBB151_490:
	s_or_b64 exec, exec, s[2:3]
	s_waitcnt vmcnt(1)
	ds_bpermute_b32 v0, v25, v22
	ds_bpermute_b32 v1, v25, v23
	;; [unrolled: 1-line block ×6, first 2 shown]
	s_waitcnt lgkmcnt(4)
	v_pk_add_f32 v[0:1], v[22:23], v[0:1]
	s_waitcnt vmcnt(0)
	ds_bpermute_b32 v4, v27, v0
	ds_bpermute_b32 v5, v27, v1
	s_waitcnt lgkmcnt(4)
	v_pk_add_f32 v[2:3], v[18:19], v[2:3]
	ds_bpermute_b32 v8, v27, v2
	ds_bpermute_b32 v9, v27, v3
	s_waitcnt lgkmcnt(0)
	v_pk_add_f32 v[18:19], v[0:1], v[4:5]
	v_pk_add_f32 v[0:1], v[16:17], v[6:7]
	ds_bpermute_b32 v6, v27, v0
	ds_bpermute_b32 v16, v25, v12
	ds_bpermute_b32 v17, v25, v13
	ds_bpermute_b32 v7, v27, v1
	s_barrier
	s_waitcnt lgkmcnt(0)
	ds_bpermute_b32 v4, v25, v14
	v_pk_add_f32 v[16:17], v[12:13], v[16:17]
	v_pk_add_f32 v[12:13], v[2:3], v[8:9]
	;; [unrolled: 1-line block ×3, first 2 shown]
	scratch_load_dword v0, off, off offset:52 ; 4-byte Folded Reload
	ds_bpermute_b32 v5, v25, v15
	ds_bpermute_b32 v22, v25, v10
	;; [unrolled: 1-line block ×5, first 2 shown]
	s_waitcnt lgkmcnt(4)
	v_pk_add_f32 v[4:5], v[14:15], v[4:5]
	ds_bpermute_b32 v14, v27, v4
	ds_bpermute_b32 v15, v27, v5
	s_waitcnt lgkmcnt(2)
	v_pk_add_f32 v[2:3], v[16:17], v[20:21]
	s_waitcnt lgkmcnt(0)
	v_pk_add_f32 v[6:7], v[4:5], v[14:15]
	v_pk_add_f32 v[4:5], v[10:11], v[22:23]
	ds_bpermute_b32 v10, v27, v4
	ds_bpermute_b32 v11, v27, v5
	s_waitcnt vmcnt(0)
	v_and_b32_e32 v0, 0x3c3, v0
	v_cmp_ne_u32_e32 vcc, 64, v0
	s_and_saveexec_b64 s[0:1], vcc
	s_xor_b64 s[0:1], exec, s[0:1]
; %bb.491:
                                        ; implicit-def: $vgpr24
; %bb.492:
	s_or_saveexec_b64 s[0:1], s[0:1]
	s_waitcnt lgkmcnt(0)
	v_pk_add_f32 v[4:5], v[4:5], v[10:11]
	s_xor_b64 exec, exec, s[0:1]
	s_cbranch_execz .LBB151_494
; %bb.493:
	v_add_u32_e32 v0, 0x190, v24
	ds_write2_b32 v0, v18, v19 offset1:16
	ds_write2_b32 v0, v12, v13 offset0:32 offset1:48
	ds_write2_b32 v0, v8, v9 offset0:64 offset1:80
	;; [unrolled: 1-line block ×5, first 2 shown]
.LBB151_494:
	s_or_b64 exec, exec, s[0:1]
	s_waitcnt lgkmcnt(0)
	s_barrier
	scratch_load_dword v0, off, off offset:52 ; 4-byte Folded Reload
	s_waitcnt vmcnt(0)
	v_cmp_gt_u32_e32 vcc, 64, v0
	v_cmp_lt_u32_e64 s[0:1], 63, v0
	s_and_saveexec_b64 s[2:3], s[0:1]
	s_xor_b64 s[0:1], exec, s[2:3]
	s_andn2_saveexec_b64 s[2:3], s[0:1]
	s_cbranch_execz .LBB151_509
; %bb.495:
	scratch_load_dword v0, off, off offset:52 ; 4-byte Folded Reload
	v_cmp_eq_u32_e64 s[0:1], 0, v26
	s_waitcnt vmcnt(0)
	v_lshrrev_b32_e32 v0, 2, v0
	s_and_saveexec_b64 s[6:7], s[0:1]
	s_cbranch_execnz .LBB151_561
; %bb.496:
	s_or_b64 exec, exec, s[6:7]
	s_and_saveexec_b64 s[6:7], s[0:1]
	s_cbranch_execnz .LBB151_562
.LBB151_497:
	s_or_b64 exec, exec, s[6:7]
	s_and_saveexec_b64 s[6:7], s[0:1]
	s_cbranch_execnz .LBB151_563
.LBB151_498:
	s_or_b64 exec, exec, s[6:7]
	s_and_saveexec_b64 s[6:7], s[0:1]
	s_cbranch_execnz .LBB151_564
.LBB151_499:
	s_or_b64 exec, exec, s[6:7]
	s_and_saveexec_b64 s[6:7], s[0:1]
	s_cbranch_execnz .LBB151_565
.LBB151_500:
	s_or_b64 exec, exec, s[6:7]
	s_and_saveexec_b64 s[6:7], s[0:1]
	s_cbranch_execnz .LBB151_566
.LBB151_501:
	s_or_b64 exec, exec, s[6:7]
	s_and_saveexec_b64 s[6:7], s[0:1]
	s_cbranch_execnz .LBB151_567
.LBB151_502:
	s_or_b64 exec, exec, s[6:7]
	s_and_saveexec_b64 s[6:7], s[0:1]
	s_cbranch_execnz .LBB151_568
.LBB151_503:
	s_or_b64 exec, exec, s[6:7]
	s_and_saveexec_b64 s[6:7], s[0:1]
	s_cbranch_execnz .LBB151_569
.LBB151_504:
	s_or_b64 exec, exec, s[6:7]
	s_and_saveexec_b64 s[6:7], s[0:1]
	s_cbranch_execnz .LBB151_570
.LBB151_505:
	s_or_b64 exec, exec, s[6:7]
	s_and_saveexec_b64 s[6:7], s[0:1]
	s_cbranch_execnz .LBB151_571
.LBB151_506:
	s_or_b64 exec, exec, s[6:7]
	s_and_saveexec_b64 s[6:7], s[0:1]
	s_cbranch_execz .LBB151_508
.LBB151_507:
	v_mov_b32_e32 v1, 0x190
	v_lshl_add_u32 v0, v0, 2, v1
	ds_read_b32 v0, v0 offset:704
	s_waitcnt lgkmcnt(0)
	v_add_f32_e32 v5, v5, v0
.LBB151_508:
	s_or_b64 exec, exec, s[6:7]
.LBB151_509:
	s_or_b64 exec, exec, s[2:3]
	s_barrier
	s_and_saveexec_b64 s[0:1], vcc
	s_cbranch_execz .LBB151_560
; %bb.510:
	v_cmp_eq_u32_e32 vcc, 0, v26
	s_and_b64 exec, exec, vcc
	s_cbranch_execz .LBB151_560
; %bb.511:
	s_mov_b32 s0, 0x7f800000
	v_and_b32_e32 v0, 0x7f800000, v18
	v_cmp_ne_u32_e32 vcc, s0, v0
                                        ; implicit-def: $vgpr10
	s_and_saveexec_b64 s[0:1], vcc
	s_xor_b64 s[0:1], exec, s[0:1]
; %bb.512:
	v_bfe_u32 v0, v18, 16, 1
	s_movk_i32 s2, 0x7fff
	v_add3_u32 v10, v18, v0, s2
; %bb.513:
	s_andn2_saveexec_b64 s[0:1], s[0:1]
; %bb.514:
	v_mov_b32_e32 v0, 0
	v_or_b32_e32 v1, 0x10000, v18
	v_cmp_eq_u32_sdwa vcc, v18, v0 src0_sel:WORD_0 src1_sel:DWORD
	s_nop 1
	v_cndmask_b32_e32 v10, v1, v18, vcc
; %bb.515:
	s_or_b64 exec, exec, s[0:1]
	scratch_load_dword v0, off, off offset:52 ; 4-byte Folded Reload
	s_mul_i32 s0, s10, s11
	s_mul_i32 s0, s0, s5
	s_mulk_i32 s0, 0xc0
	s_ashr_i32 s1, s0, 31
	s_lshl_b64 s[0:1], s[0:1], 1
	s_add_u32 s2, s22, s0
	s_mul_i32 s0, s11, s20
	s_addc_u32 s3, s23, s1
	s_ashr_i32 s1, s0, 31
	s_lshl_b64 s[0:1], s[0:1], 1
	s_add_u32 s2, s2, s0
	s_mul_i32 s0, s4, 0xc0
	s_addc_u32 s3, s3, s1
	s_ashr_i32 s1, s0, 31
	s_lshl_b64 s[0:1], s[0:1], 1
	s_add_u32 s0, s2, s0
	s_addc_u32 s1, s3, s1
	s_mov_b32 s2, 0x7f800000
	v_mov_b32_e32 v1, 0
	s_waitcnt vmcnt(0)
	v_lshrrev_b32_e32 v0, 1, v0
	v_and_b32_e32 v0, 0x1fe, v0
	global_store_short_d16_hi v0, v10, s[0:1]
	v_and_b32_e32 v10, 0x7f800000, v19
	v_cmp_ne_u32_e32 vcc, s2, v10
                                        ; implicit-def: $vgpr10
	s_and_saveexec_b64 s[2:3], vcc
	s_xor_b64 s[2:3], exec, s[2:3]
; %bb.516:
	v_bfe_u32 v10, v19, 16, 1
	s_movk_i32 s4, 0x7fff
	v_add3_u32 v10, v19, v10, s4
                                        ; implicit-def: $vgpr18_vgpr19
; %bb.517:
	s_or_saveexec_b64 s[2:3], s[2:3]
	v_lshl_add_u64 v[0:1], s[0:1], 0, v[0:1]
	s_xor_b64 exec, exec, s[2:3]
; %bb.518:
	v_mov_b32_e32 v10, 0
	v_or_b32_e32 v11, 0x10000, v19
	v_cmp_eq_u32_sdwa vcc, v19, v10 src0_sel:WORD_0 src1_sel:DWORD
	s_nop 1
	v_cndmask_b32_e32 v10, v11, v19, vcc
; %bb.519:
	s_or_b64 exec, exec, s[2:3]
	global_store_short_d16_hi v[0:1], v10, off offset:32
	s_mov_b32 s0, 0x7f800000
	v_and_b32_e32 v10, 0x7f800000, v12
	v_cmp_ne_u32_e32 vcc, s0, v10
                                        ; implicit-def: $vgpr10
	s_and_saveexec_b64 s[0:1], vcc
	s_xor_b64 s[0:1], exec, s[0:1]
; %bb.520:
	v_bfe_u32 v10, v12, 16, 1
	s_movk_i32 s2, 0x7fff
	v_add3_u32 v10, v12, v10, s2
; %bb.521:
	s_andn2_saveexec_b64 s[0:1], s[0:1]
; %bb.522:
	v_mov_b32_e32 v10, 0
	v_or_b32_e32 v11, 0x10000, v12
	v_cmp_eq_u32_sdwa vcc, v12, v10 src0_sel:WORD_0 src1_sel:DWORD
	s_nop 1
	v_cndmask_b32_e32 v10, v11, v12, vcc
; %bb.523:
	s_or_b64 exec, exec, s[0:1]
	global_store_short_d16_hi v[0:1], v10, off offset:64
	s_mov_b32 s0, 0x7f800000
	v_and_b32_e32 v10, 0x7f800000, v13
	v_cmp_ne_u32_e32 vcc, s0, v10
                                        ; implicit-def: $vgpr10
	s_and_saveexec_b64 s[0:1], vcc
	s_xor_b64 s[0:1], exec, s[0:1]
; %bb.524:
	v_bfe_u32 v10, v13, 16, 1
	s_movk_i32 s2, 0x7fff
	v_add3_u32 v10, v13, v10, s2
                                        ; implicit-def: $vgpr12_vgpr13
; %bb.525:
	s_andn2_saveexec_b64 s[0:1], s[0:1]
; %bb.526:
	v_mov_b32_e32 v10, 0
	v_or_b32_e32 v11, 0x10000, v13
	v_cmp_eq_u32_sdwa vcc, v13, v10 src0_sel:WORD_0 src1_sel:DWORD
	s_nop 1
	v_cndmask_b32_e32 v10, v11, v13, vcc
; %bb.527:
	s_or_b64 exec, exec, s[0:1]
	global_store_short_d16_hi v[0:1], v10, off offset:96
	s_mov_b32 s0, 0x7f800000
	v_and_b32_e32 v10, 0x7f800000, v8
	v_cmp_ne_u32_e32 vcc, s0, v10
                                        ; implicit-def: $vgpr10
	s_and_saveexec_b64 s[0:1], vcc
	s_xor_b64 s[0:1], exec, s[0:1]
; %bb.528:
	v_bfe_u32 v10, v8, 16, 1
	s_movk_i32 s2, 0x7fff
	v_add3_u32 v10, v8, v10, s2
; %bb.529:
	s_andn2_saveexec_b64 s[0:1], s[0:1]
; %bb.530:
	v_mov_b32_e32 v10, 0
	v_or_b32_e32 v11, 0x10000, v8
	v_cmp_eq_u32_sdwa vcc, v8, v10 src0_sel:WORD_0 src1_sel:DWORD
	s_nop 1
	v_cndmask_b32_e32 v10, v11, v8, vcc
; %bb.531:
	s_or_b64 exec, exec, s[0:1]
	s_mov_b32 s0, 0x7f800000
	v_and_b32_e32 v8, 0x7f800000, v9
	v_cmp_ne_u32_e32 vcc, s0, v8
	global_store_short_d16_hi v[0:1], v10, off offset:128
                                        ; implicit-def: $vgpr10
	s_and_saveexec_b64 s[0:1], vcc
	s_xor_b64 s[0:1], exec, s[0:1]
; %bb.532:
	v_bfe_u32 v8, v9, 16, 1
	s_movk_i32 s2, 0x7fff
	v_add3_u32 v10, v9, v8, s2
                                        ; implicit-def: $vgpr8_vgpr9
; %bb.533:
	s_andn2_saveexec_b64 s[0:1], s[0:1]
; %bb.534:
	v_mov_b32_e32 v8, 0
	v_or_b32_e32 v10, 0x10000, v9
	v_cmp_eq_u32_sdwa vcc, v9, v8 src0_sel:WORD_0 src1_sel:DWORD
	s_nop 1
	v_cndmask_b32_e32 v10, v10, v9, vcc
; %bb.535:
	s_or_b64 exec, exec, s[0:1]
	s_mov_b32 s0, 0x7f800000
	v_and_b32_e32 v8, 0x7f800000, v6
	v_cmp_ne_u32_e32 vcc, s0, v8
	global_store_short_d16_hi v[0:1], v10, off offset:160
                                        ; implicit-def: $vgpr8
	s_and_saveexec_b64 s[0:1], vcc
	s_xor_b64 s[0:1], exec, s[0:1]
; %bb.536:
	v_bfe_u32 v8, v6, 16, 1
	s_movk_i32 s2, 0x7fff
	v_add3_u32 v8, v6, v8, s2
; %bb.537:
	s_andn2_saveexec_b64 s[0:1], s[0:1]
; %bb.538:
	v_mov_b32_e32 v8, 0
	v_or_b32_e32 v9, 0x10000, v6
	v_cmp_eq_u32_sdwa vcc, v6, v8 src0_sel:WORD_0 src1_sel:DWORD
	s_nop 1
	v_cndmask_b32_e32 v8, v9, v6, vcc
; %bb.539:
	s_or_b64 exec, exec, s[0:1]
	s_mov_b32 s0, 0x7f800000
	v_and_b32_e32 v6, 0x7f800000, v7
	v_cmp_ne_u32_e32 vcc, s0, v6
	global_store_short_d16_hi v[0:1], v8, off offset:192
                                        ; implicit-def: $vgpr8
	s_and_saveexec_b64 s[0:1], vcc
	s_xor_b64 s[0:1], exec, s[0:1]
; %bb.540:
	v_bfe_u32 v6, v7, 16, 1
	s_movk_i32 s2, 0x7fff
	v_add3_u32 v8, v7, v6, s2
                                        ; implicit-def: $vgpr6_vgpr7
; %bb.541:
	s_andn2_saveexec_b64 s[0:1], s[0:1]
; %bb.542:
	v_mov_b32_e32 v6, 0
	v_or_b32_e32 v8, 0x10000, v7
	v_cmp_eq_u32_sdwa vcc, v7, v6 src0_sel:WORD_0 src1_sel:DWORD
	s_nop 1
	v_cndmask_b32_e32 v8, v8, v7, vcc
; %bb.543:
	s_or_b64 exec, exec, s[0:1]
	s_mov_b32 s0, 0x7f800000
	v_and_b32_e32 v6, 0x7f800000, v2
	v_cmp_ne_u32_e32 vcc, s0, v6
	global_store_short_d16_hi v[0:1], v8, off offset:224
                                        ; implicit-def: $vgpr6
	s_and_saveexec_b64 s[0:1], vcc
	s_xor_b64 s[0:1], exec, s[0:1]
; %bb.544:
	v_bfe_u32 v6, v2, 16, 1
	s_movk_i32 s2, 0x7fff
	v_add3_u32 v6, v2, v6, s2
; %bb.545:
	s_andn2_saveexec_b64 s[0:1], s[0:1]
; %bb.546:
	v_mov_b32_e32 v6, 0
	v_or_b32_e32 v7, 0x10000, v2
	v_cmp_eq_u32_sdwa vcc, v2, v6 src0_sel:WORD_0 src1_sel:DWORD
	s_nop 1
	v_cndmask_b32_e32 v6, v7, v2, vcc
; %bb.547:
	s_or_b64 exec, exec, s[0:1]
	s_mov_b32 s0, 0x7f800000
	v_and_b32_e32 v2, 0x7f800000, v3
	v_cmp_ne_u32_e32 vcc, s0, v2
	global_store_short_d16_hi v[0:1], v6, off offset:256
                                        ; implicit-def: $vgpr6
	s_and_saveexec_b64 s[0:1], vcc
	s_xor_b64 s[0:1], exec, s[0:1]
; %bb.548:
	v_bfe_u32 v2, v3, 16, 1
	s_movk_i32 s2, 0x7fff
	v_add3_u32 v6, v3, v2, s2
                                        ; implicit-def: $vgpr2_vgpr3
; %bb.549:
	s_andn2_saveexec_b64 s[0:1], s[0:1]
; %bb.550:
	v_mov_b32_e32 v2, 0
	v_or_b32_e32 v6, 0x10000, v3
	v_cmp_eq_u32_sdwa vcc, v3, v2 src0_sel:WORD_0 src1_sel:DWORD
	s_nop 1
	v_cndmask_b32_e32 v6, v6, v3, vcc
; %bb.551:
	s_or_b64 exec, exec, s[0:1]
	s_mov_b32 s0, 0x7f800000
	v_and_b32_e32 v2, 0x7f800000, v4
	v_cmp_ne_u32_e32 vcc, s0, v2
	global_store_short_d16_hi v[0:1], v6, off offset:288
                                        ; implicit-def: $vgpr2
	s_and_saveexec_b64 s[0:1], vcc
	s_xor_b64 s[0:1], exec, s[0:1]
; %bb.552:
	v_bfe_u32 v2, v4, 16, 1
	s_movk_i32 s2, 0x7fff
	v_add3_u32 v2, v4, v2, s2
; %bb.553:
	s_andn2_saveexec_b64 s[0:1], s[0:1]
; %bb.554:
	v_mov_b32_e32 v2, 0
	v_or_b32_e32 v3, 0x10000, v4
	v_cmp_eq_u32_sdwa vcc, v4, v2 src0_sel:WORD_0 src1_sel:DWORD
	s_nop 1
	v_cndmask_b32_e32 v2, v3, v4, vcc
; %bb.555:
	s_or_b64 exec, exec, s[0:1]
	global_store_short_d16_hi v[0:1], v2, off offset:320
	s_mov_b32 s0, 0x7f800000
	v_and_b32_e32 v2, 0x7f800000, v5
	v_cmp_ne_u32_e32 vcc, s0, v2
                                        ; implicit-def: $vgpr2
	s_and_saveexec_b64 s[0:1], vcc
	s_xor_b64 s[0:1], exec, s[0:1]
; %bb.556:
	v_bfe_u32 v2, v5, 16, 1
	s_movk_i32 s2, 0x7fff
	v_add3_u32 v2, v5, v2, s2
                                        ; implicit-def: $vgpr4_vgpr5
; %bb.557:
	s_andn2_saveexec_b64 s[0:1], s[0:1]
; %bb.558:
	v_mov_b32_e32 v2, 0
	v_or_b32_e32 v3, 0x10000, v5
	v_cmp_eq_u32_sdwa vcc, v5, v2 src0_sel:WORD_0 src1_sel:DWORD
	s_nop 1
	v_cndmask_b32_e32 v2, v3, v5, vcc
; %bb.559:
	s_or_b64 exec, exec, s[0:1]
	global_store_short_d16_hi v[0:1], v2, off offset:352
.LBB151_560:
	s_endpgm
.LBB151_561:
	v_mov_b32_e32 v1, 0x190
	v_lshl_add_u32 v1, v0, 2, v1
	ds_read_b32 v1, v1
	s_waitcnt lgkmcnt(0)
	v_add_f32_e32 v18, v18, v1
	s_or_b64 exec, exec, s[6:7]
	s_and_saveexec_b64 s[6:7], s[0:1]
	s_cbranch_execz .LBB151_497
.LBB151_562:
	v_mov_b32_e32 v1, 0x190
	v_lshl_add_u32 v1, v0, 2, v1
	ds_read_b32 v1, v1 offset:64
	s_waitcnt lgkmcnt(0)
	v_add_f32_e32 v19, v19, v1
	s_or_b64 exec, exec, s[6:7]
	s_and_saveexec_b64 s[6:7], s[0:1]
	s_cbranch_execz .LBB151_498
.LBB151_563:
	v_mov_b32_e32 v1, 0x190
	v_lshl_add_u32 v1, v0, 2, v1
	ds_read_b32 v1, v1 offset:128
	s_waitcnt lgkmcnt(0)
	v_add_f32_e32 v12, v12, v1
	s_or_b64 exec, exec, s[6:7]
	s_and_saveexec_b64 s[6:7], s[0:1]
	s_cbranch_execz .LBB151_499
.LBB151_564:
	v_mov_b32_e32 v1, 0x190
	v_lshl_add_u32 v1, v0, 2, v1
	ds_read_b32 v1, v1 offset:192
	s_waitcnt lgkmcnt(0)
	v_add_f32_e32 v13, v13, v1
	s_or_b64 exec, exec, s[6:7]
	s_and_saveexec_b64 s[6:7], s[0:1]
	s_cbranch_execz .LBB151_500
.LBB151_565:
	v_mov_b32_e32 v1, 0x190
	v_lshl_add_u32 v1, v0, 2, v1
	ds_read_b32 v1, v1 offset:256
	s_waitcnt lgkmcnt(0)
	v_add_f32_e32 v8, v8, v1
	s_or_b64 exec, exec, s[6:7]
	s_and_saveexec_b64 s[6:7], s[0:1]
	s_cbranch_execz .LBB151_501
.LBB151_566:
	v_mov_b32_e32 v1, 0x190
	v_lshl_add_u32 v1, v0, 2, v1
	ds_read_b32 v1, v1 offset:320
	s_waitcnt lgkmcnt(0)
	v_add_f32_e32 v9, v9, v1
	s_or_b64 exec, exec, s[6:7]
	s_and_saveexec_b64 s[6:7], s[0:1]
	s_cbranch_execz .LBB151_502
.LBB151_567:
	v_mov_b32_e32 v1, 0x190
	v_lshl_add_u32 v1, v0, 2, v1
	ds_read_b32 v1, v1 offset:384
	s_waitcnt lgkmcnt(0)
	v_add_f32_e32 v6, v6, v1
	s_or_b64 exec, exec, s[6:7]
	s_and_saveexec_b64 s[6:7], s[0:1]
	s_cbranch_execz .LBB151_503
.LBB151_568:
	v_mov_b32_e32 v1, 0x190
	v_lshl_add_u32 v1, v0, 2, v1
	ds_read_b32 v1, v1 offset:448
	s_waitcnt lgkmcnt(0)
	v_add_f32_e32 v7, v7, v1
	s_or_b64 exec, exec, s[6:7]
	s_and_saveexec_b64 s[6:7], s[0:1]
	s_cbranch_execz .LBB151_504
.LBB151_569:
	v_mov_b32_e32 v1, 0x190
	v_lshl_add_u32 v1, v0, 2, v1
	ds_read_b32 v1, v1 offset:512
	s_waitcnt lgkmcnt(0)
	v_add_f32_e32 v2, v2, v1
	s_or_b64 exec, exec, s[6:7]
	s_and_saveexec_b64 s[6:7], s[0:1]
	s_cbranch_execz .LBB151_505
.LBB151_570:
	v_mov_b32_e32 v1, 0x190
	v_lshl_add_u32 v1, v0, 2, v1
	ds_read_b32 v1, v1 offset:576
	s_waitcnt lgkmcnt(0)
	v_add_f32_e32 v3, v3, v1
	s_or_b64 exec, exec, s[6:7]
	s_and_saveexec_b64 s[6:7], s[0:1]
	s_cbranch_execz .LBB151_506
.LBB151_571:
	v_mov_b32_e32 v1, 0x190
	v_lshl_add_u32 v1, v0, 2, v1
	ds_read_b32 v1, v1 offset:640
	s_waitcnt lgkmcnt(0)
	v_add_f32_e32 v4, v4, v1
	s_or_b64 exec, exec, s[6:7]
	s_and_saveexec_b64 s[6:7], s[0:1]
	s_cbranch_execnz .LBB151_507
	s_branch .LBB151_508
	.section	.rodata,"a",@progbits
	.p2align	6, 0x0
	.amdhsa_kernel _ZN4vllm25paged_attention_v1_kernelI14__hip_bfloat16S1_Li192ELi32ELi128ELNS_18Fp8KVCacheDataTypeE0ELb1EEEvPT_PKS3_PKT0_S9_ifPKiSB_iPKfiiiSD_SD_iiiii
		.amdhsa_group_segment_fixed_size 400
		.amdhsa_private_segment_fixed_size 76
		.amdhsa_kernarg_size 384
		.amdhsa_user_sgpr_count 2
		.amdhsa_user_sgpr_dispatch_ptr 0
		.amdhsa_user_sgpr_queue_ptr 0
		.amdhsa_user_sgpr_kernarg_segment_ptr 1
		.amdhsa_user_sgpr_dispatch_id 0
		.amdhsa_user_sgpr_kernarg_preload_length 0
		.amdhsa_user_sgpr_kernarg_preload_offset 0
		.amdhsa_user_sgpr_private_segment_size 0
		.amdhsa_uses_dynamic_stack 0
		.amdhsa_enable_private_segment 1
		.amdhsa_system_sgpr_workgroup_id_x 1
		.amdhsa_system_sgpr_workgroup_id_y 1
		.amdhsa_system_sgpr_workgroup_id_z 1
		.amdhsa_system_sgpr_workgroup_info 0
		.amdhsa_system_vgpr_workitem_id 0
		.amdhsa_next_free_vgpr 128
		.amdhsa_next_free_sgpr 46
		.amdhsa_accum_offset 128
		.amdhsa_reserve_vcc 1
		.amdhsa_float_round_mode_32 0
		.amdhsa_float_round_mode_16_64 0
		.amdhsa_float_denorm_mode_32 3
		.amdhsa_float_denorm_mode_16_64 3
		.amdhsa_dx10_clamp 1
		.amdhsa_ieee_mode 1
		.amdhsa_fp16_overflow 0
		.amdhsa_tg_split 0
		.amdhsa_exception_fp_ieee_invalid_op 0
		.amdhsa_exception_fp_denorm_src 0
		.amdhsa_exception_fp_ieee_div_zero 0
		.amdhsa_exception_fp_ieee_overflow 0
		.amdhsa_exception_fp_ieee_underflow 0
		.amdhsa_exception_fp_ieee_inexact 0
		.amdhsa_exception_int_div_zero 0
	.end_amdhsa_kernel
	.section	.text._ZN4vllm25paged_attention_v1_kernelI14__hip_bfloat16S1_Li192ELi32ELi128ELNS_18Fp8KVCacheDataTypeE0ELb1EEEvPT_PKS3_PKT0_S9_ifPKiSB_iPKfiiiSD_SD_iiiii,"axG",@progbits,_ZN4vllm25paged_attention_v1_kernelI14__hip_bfloat16S1_Li192ELi32ELi128ELNS_18Fp8KVCacheDataTypeE0ELb1EEEvPT_PKS3_PKT0_S9_ifPKiSB_iPKfiiiSD_SD_iiiii,comdat
.Lfunc_end151:
	.size	_ZN4vllm25paged_attention_v1_kernelI14__hip_bfloat16S1_Li192ELi32ELi128ELNS_18Fp8KVCacheDataTypeE0ELb1EEEvPT_PKS3_PKT0_S9_ifPKiSB_iPKfiiiSD_SD_iiiii, .Lfunc_end151-_ZN4vllm25paged_attention_v1_kernelI14__hip_bfloat16S1_Li192ELi32ELi128ELNS_18Fp8KVCacheDataTypeE0ELb1EEEvPT_PKS3_PKT0_S9_ifPKiSB_iPKfiiiSD_SD_iiiii
                                        ; -- End function
	.section	.AMDGPU.csdata,"",@progbits
; Kernel info:
; codeLenInByte = 20696
; NumSgprs: 52
; NumVgprs: 128
; NumAgprs: 0
; TotalNumVgprs: 128
; ScratchSize: 76
; MemoryBound: 0
; FloatMode: 240
; IeeeMode: 1
; LDSByteSize: 400 bytes/workgroup (compile time only)
; SGPRBlocks: 6
; VGPRBlocks: 15
; NumSGPRsForWavesPerEU: 52
; NumVGPRsForWavesPerEU: 128
; AccumOffset: 128
; Occupancy: 4
; WaveLimiterHint : 1
; COMPUTE_PGM_RSRC2:SCRATCH_EN: 1
; COMPUTE_PGM_RSRC2:USER_SGPR: 2
; COMPUTE_PGM_RSRC2:TRAP_HANDLER: 0
; COMPUTE_PGM_RSRC2:TGID_X_EN: 1
; COMPUTE_PGM_RSRC2:TGID_Y_EN: 1
; COMPUTE_PGM_RSRC2:TGID_Z_EN: 1
; COMPUTE_PGM_RSRC2:TIDIG_COMP_CNT: 0
; COMPUTE_PGM_RSRC3_GFX90A:ACCUM_OFFSET: 31
; COMPUTE_PGM_RSRC3_GFX90A:TG_SPLIT: 0
	.text
	.p2align	2                               ; -- Begin function _ZN4vllm22paged_attention_kernelI14__hip_bfloat16S1_Li256ELi32ELi128ELNS_18Fp8KVCacheDataTypeE0ELb1ELi0EEEvPfS3_PT_PKS4_PKT0_SA_ifPKiSC_iPKfiiiSE_SE_iiiii
	.type	_ZN4vllm22paged_attention_kernelI14__hip_bfloat16S1_Li256ELi32ELi128ELNS_18Fp8KVCacheDataTypeE0ELb1ELi0EEEvPfS3_PT_PKS4_PKT0_SA_ifPKiSC_iPKfiiiSE_SE_iiiii,@function
_ZN4vllm22paged_attention_kernelI14__hip_bfloat16S1_Li256ELi32ELi128ELNS_18Fp8KVCacheDataTypeE0ELb1ELi0EEEvPfS3_PT_PKS4_PKT0_SA_ifPKiSC_iPKfiiiSE_SE_iiiii: ; @_ZN4vllm22paged_attention_kernelI14__hip_bfloat16S1_Li256ELi32ELi128ELNS_18Fp8KVCacheDataTypeE0ELb1ELi0EEEvPfS3_PT_PKS4_PKT0_SA_ifPKiSC_iPKfiiiSE_SE_iiiii
; %bb.0:
	s_waitcnt vmcnt(0) expcnt(0) lgkmcnt(0)
	scratch_store_dword off, v40, s32 offset:188 ; 4-byte Folded Spill
	scratch_store_dword off, v41, s32 offset:184 ; 4-byte Folded Spill
	;; [unrolled: 1-line block ×47, first 2 shown]
	scratch_store_dword off, a63, s32       ; 4-byte Folded Spill
	s_mov_b32 s16, s13
	s_ashr_i32 s17, s13, 31
	scratch_store_dwordx2 off, v[0:1], s32 offset:512 ; 8-byte Folded Spill
	v_lshl_add_u64 v[0:1], s[16:17], 2, v[12:13]
	flat_load_dword v48, v[0:1]
	v_sub_u32_e32 v0, 0, v8
	v_max_i32_e32 v0, v8, v0
	v_cvt_f32_u32_e32 v1, v0
	scratch_store_dwordx2 off, v[18:19], s32 offset:208 ; 8-byte Folded Spill
	s_load_dword s0, s[8:9], 0x10
	s_load_dword s2, s[8:9], 0x0
	v_mov_b32_e32 v35, v7
	v_rcp_iflag_f32_e32 v1, v1
	v_sub_u32_e32 v7, 0, v0
	s_waitcnt lgkmcnt(0)
	s_lshr_b32 s0, s0, 16
	s_cmp_lg_u32 s0, 0
	v_mul_f32_e32 v1, 0x4f7ffffe, v1
	v_cvt_u32_f32_e32 v1, v1
	s_cselect_b64 s[0:1], -1, 0
	s_cmp_lg_u64 s[0:1], 0
	s_mov_b32 s20, s15
	v_mul_lo_u32 v7, v7, v1
	s_addc_u32 s15, s2, 0
	v_mul_hi_u32 v7, v1, v7
	s_abs_i32 s0, s15
	v_add_u32_e32 v1, v1, v7
	v_mul_hi_u32 v1, s0, v1
	v_mul_lo_u32 v7, v1, v0
	v_sub_u32_e32 v7, s0, v7
	v_accvgpr_write_b32 a16, v9
	v_add_u32_e32 v9, 1, v1
	v_cmp_ge_u32_e32 vcc, v7, v0
	v_mov_b32_e32 v34, v6
	v_xor_b32_e32 v6, s15, v8
	v_cndmask_b32_e32 v1, v1, v9, vcc
	v_sub_u32_e32 v9, v7, v0
	v_cndmask_b32_e32 v7, v7, v9, vcc
	v_add_u32_e32 v9, 1, v1
	v_cmp_ge_u32_e32 vcc, v7, v0
	v_ashrrev_i32_e32 v6, 31, v6
	s_abs_i32 s6, s12
	v_cndmask_b32_e32 v0, v1, v9, vcc
	v_xor_b32_e32 v0, v0, v6
	v_sub_u32_e32 v6, v0, v6
	v_sub_u32_e32 v0, 0, v6
	v_max_i32_e32 v7, v6, v0
	v_cvt_f32_u32_e32 v0, v7
	v_sub_u32_e32 v1, 0, v7
	v_mov_b32_e32 v27, v16
	v_mov_b32_e32 v26, v15
	v_rcp_iflag_f32_e32 v0, v0
	v_mov_b32_e32 v33, v11
	v_mov_b32_e32 v32, v10
	v_cmp_ne_u64_e32 vcc, 0, v[26:27]
	v_mul_f32_e32 v0, 0x4f7ffffe, v0
	v_cvt_u32_f32_e32 v0, v0
	v_mul_lo_u32 v1, v1, v0
	v_mul_hi_u32 v1, v0, v1
	v_add_u32_e32 v0, v0, v1
	v_mad_u64_u32 v[0:1], s[0:1], s6, v0, 0
	v_mov_b32_e32 v0, 0
	scratch_store_dword off, v0, s32 offset:224 ; 4-byte Folded Spill
	s_and_saveexec_b64 s[0:1], vcc
	s_cbranch_execz .LBB152_2
; %bb.1:
	s_ashr_i32 s13, s12, 31
	v_lshl_add_u64 v[10:11], s[12:13], 2, v[26:27]
	flat_load_dword v0, v[10:11]
	s_waitcnt vmcnt(0) lgkmcnt(0)
	scratch_store_dword off, v0, s32 offset:224 ; 4-byte Folded Spill
.LBB152_2:
	s_or_b64 exec, exec, s[0:1]
	v_and_b32_e32 v9, 0x3ff, v31
	s_ashr_i32 s7, s12, 31
	v_ashrrev_i32_e32 v0, 31, v6
	v_and_b32_e32 v6, 1, v9
	s_lshl_b32 s18, s12, 8
	v_cmp_lt_u32_e64 s[2:3], 63, v9
	v_cmp_gt_u32_e64 s[0:1], 64, v9
	v_lshlrev_b32_e32 v36, 3, v9
	scratch_store_dword off, v9, s32 offset:492 ; 4-byte Folded Spill
	s_and_saveexec_b64 s[4:5], s[0:1]
	s_cbranch_execz .LBB152_4
; %bb.3:
	v_mul_lo_u32 v10, s16, v17
	v_ashrrev_i32_e32 v11, 31, v10
	v_lshl_add_u64 v[2:3], v[10:11], 1, v[2:3]
	s_ashr_i32 s19, s18, 31
	v_lshl_add_u64 v[2:3], s[18:19], 1, v[2:3]
	v_mov_b32_e32 v37, 0
	v_lshl_add_u64 v[2:3], v[2:3], 0, v[36:37]
	flat_load_dwordx2 v[2:3], v[2:3]
	s_nop 0
	scratch_load_dword v9, off, s32 offset:492 ; 4-byte Folded Reload
	s_waitcnt vmcnt(0)
	v_lshlrev_b32_e32 v9, 2, v9
	v_and_b32_e32 v9, 0xff8, v9
	v_lshl_add_u32 v9, v6, 8, v9
	s_waitcnt lgkmcnt(0)
	ds_write_b64 v9, v[2:3]
.LBB152_4:
	s_or_b64 exec, exec, s[4:5]
	v_mul_lo_u32 v2, v1, v7
	v_sub_u32_e32 v2, s6, v2
	v_add_u32_e32 v3, 1, v1
	v_cmp_ge_u32_e32 vcc, v2, v7
	v_xor_b32_e32 v0, s7, v0
	s_waitcnt lgkmcnt(0)
	v_cndmask_b32_e32 v1, v1, v3, vcc
	v_sub_u32_e32 v3, v2, v7
	v_cndmask_b32_e32 v2, v2, v3, vcc
	v_cmp_ge_u32_e32 vcc, v2, v7
	v_sub_u32_e32 v2, 0, v23
	v_max_i32_e32 v49, v23, v2
	v_cvt_f32_u32_e32 v2, v49
	v_add_u32_e32 v3, 1, v1
	v_cndmask_b32_e32 v1, v1, v3, vcc
	v_xor_b32_e32 v1, v1, v0
	v_sub_u32_e32 v0, v1, v0
	v_rcp_iflag_f32_e32 v1, v2
	v_sub_u32_e32 v3, 0, v49
	s_waitcnt vmcnt(0)
	v_add_u32_e32 v7, -1, v48
	s_barrier
	v_mul_f32_e32 v1, 0x4f7ffffe, v1
	v_cvt_u32_f32_e32 v2, v1
	v_sub_u32_e32 v1, 0, v7
	v_max_i32_e32 v1, v7, v1
	v_mul_lo_u32 v3, v3, v2
	v_mul_hi_u32 v3, v2, v3
	v_add_u32_e32 v2, v2, v3
	scratch_store_dword off, v2, s32 offset:200 ; 4-byte Folded Spill
	v_mad_u64_u32 v[2:3], s[4:5], v1, v2, 0
	v_cmp_gt_i32_e32 vcc, 0, v24
                                        ; implicit-def: $agpr6
	s_and_saveexec_b64 s[4:5], vcc
	s_xor_b64 s[4:5], exec, s[4:5]
; %bb.5:
	v_mad_u64_u32 v[8:9], s[6:7], v20, v8, v[0:1]
	v_mul_lo_u32 v2, v8, v24
	v_sub_u32_e32 v2, 1, v2
	v_accvgpr_write_b32 a6, v2
                                        ; implicit-def: $vgpr20
                                        ; implicit-def: $vgpr24
; %bb.6:
	s_or_saveexec_b64 s[4:5], s[4:5]
	v_ashrrev_i32_e32 v2, 31, v7
	v_ashrrev_i32_e32 v7, 31, v23
	scratch_store_dword off, v7, s32 offset:196 ; 4-byte Folded Spill
	s_xor_b64 exec, exec, s[4:5]
; %bb.7:
	v_mul_lo_u32 v7, s15, v20
	v_add_u32_e32 v7, s12, v7
	v_mad_u64_u32 v[8:9], s[6:7], v7, v24, 1
	v_accvgpr_write_b32 a6, v8
; %bb.8:
	s_or_b64 exec, exec, s[4:5]
	s_load_dword s19, s[8:9], 0x14
	s_load_dword s17, s[8:9], 0x8
	scratch_load_dword v7, off, s32 offset:196 ; 4-byte Folded Reload
	v_mul_lo_u32 v38, s16, v14
	v_mul_lo_u32 v50, v0, v19
	v_ashrrev_i32_e32 v39, 31, v38
	v_ashrrev_i32_e32 v51, 31, v50
	v_sub_u32_e32 v18, 0, v22
	s_waitcnt vmcnt(0)
	v_xor_b32_e32 v2, v2, v7
	v_mul_lo_u32 v7, v3, v49
	v_sub_u32_e32 v1, v1, v7
	v_add_u32_e32 v7, 1, v3
	v_cmp_ge_u32_e32 vcc, v1, v49
	s_nop 1
	v_cndmask_b32_e32 v3, v3, v7, vcc
	v_sub_u32_e32 v7, v1, v49
	v_cndmask_b32_e32 v1, v1, v7, vcc
	v_add_u32_e32 v7, 1, v3
	v_cmp_ge_u32_e32 vcc, v1, v49
	s_nop 1
	v_cndmask_b32_e32 v1, v3, v7, vcc
	v_xor_b32_e32 v1, v1, v2
	v_sub_u32_e32 v1, v1, v2
	v_add_u32_e32 v2, 31, v48
	v_ashrrev_i32_e32 v3, 31, v2
	v_lshrrev_b32_e32 v3, 27, v3
	v_add_u32_e32 v2, v2, v3
	v_ashrrev_i32_e32 v3, 5, v2
	scratch_load_dword v2, off, s32 offset:492 ; 4-byte Folded Reload
	v_sub_u32_e32 v1, v1, v21
	scratch_store_dword off, v3, s32 offset:192 ; 4-byte Folded Spill
	scratch_store_dword off, v1, s32 offset:204 ; 4-byte Folded Spill
	s_waitcnt vmcnt(2)
	v_lshrrev_b32_e32 v7, 6, v2
	v_lshlrev_b32_e32 v0, 5, v7
	v_cmp_lt_i32_e64 s[4:5], v7, v3
	v_mov_b32_e32 v3, 0xff7fffff
	v_accvgpr_write_b32 a9, v7
	v_accvgpr_write_b32 a11, v0
	v_lshrrev_b32_e32 v19, 4, v2
	v_mbcnt_lo_u32_b32 v0, -1, 0
	s_and_saveexec_b64 s[12:13], s[4:5]
	s_cbranch_execz .LBB152_18
; %bb.9:
	v_mov_b32_e32 v8, v0
	scratch_load_dword v0, off, s32 offset:492 ; 4-byte Folded Reload
	v_mov_b32_e32 v3, 0
	v_max_i32_e32 v10, v22, v18
	v_cvt_f32_u32_e32 v7, v10
	v_accvgpr_read_b32 v17, a9
	s_ashr_i32 s21, s20, 31
	s_lshl_b64 s[8:9], s[20:21], 2
	s_getpc_b64 s[10:11]
	s_add_u32 s10, s10, llvm.amdgcn.dynlds.offset.table@rel32@lo+4
	s_addc_u32 s11, s11, llvm.amdgcn.dynlds.offset.table@rel32@hi+12
	v_accvgpr_write_b32 a4, v34
	v_accvgpr_write_b32 a14, v50
	s_add_u32 s22, s8, s10
	v_accvgpr_write_b32 a12, v38
	v_accvgpr_write_b32 a0, v32
	;; [unrolled: 1-line block ×3, first 2 shown]
	v_cmp_eq_u32_e32 vcc, 0, v6
	v_accvgpr_write_b32 a2, v22
	v_accvgpr_write_b32 a10, v18
	;; [unrolled: 1-line block ×4, first 2 shown]
	v_lshlrev_b32_e32 v22, 8, v6
	s_addc_u32 s23, s9, s11
	v_lshlrev_b32_e32 v6, 5, v17
	v_accvgpr_write_b32 a7, v19
	v_accvgpr_write_b32 a13, v39
	;; [unrolled: 1-line block ×3, first 2 shown]
	s_mov_b64 s[24:25], 0
	s_movk_i32 s21, 0x1000
	s_movk_i32 s28, 0x2000
	;; [unrolled: 1-line block ×3, first 2 shown]
	v_accvgpr_write_b32 a17, v8
	s_waitcnt vmcnt(0)
	v_bfe_u32 v9, v0, 1, 5
	v_lshl_add_u64 v[0:1], v[50:51], 1, v[4:5]
	v_lshlrev_b32_e32 v2, 4, v9
	v_lshl_add_u64 v[0:1], v[0:1], 0, v[2:3]
	v_and_b32_e32 v2, 8, v36
	v_lshl_add_u64 v[0:1], v[0:1], 0, v[2:3]
	v_accvgpr_write_b32 a21, v1
	v_accvgpr_write_b32 a20, v0
	scratch_load_dword v1, off, s32 offset:224 ; 4-byte Folded Reload
	v_rcp_iflag_f32_e32 v4, v7
	v_and_b32_e32 v2, 60, v19
	v_accvgpr_write_b32 a18, v9
	v_mul_f32_e32 v0, 0x4f7ffffe, v4
	v_cvt_u32_f32_e32 v0, v0
	s_waitcnt vmcnt(0)
	v_cmp_neq_f32_e64 s[6:7], 0, v1
	v_sub_u32_e32 v1, 0, v10
	v_mul_lo_u32 v1, v1, v0
	v_mul_hi_u32 v1, v0, v1
	v_add_u32_e32 v4, v0, v1
	v_sub_u32_e32 v0, v9, v48
	v_add_u32_e32 v0, 1, v0
	v_accvgpr_write_b32 a23, v0
	v_lshlrev_b32_e32 v0, 2, v9
	v_lshl_or_b32 v7, v17, 7, v0
	v_lshl_add_u64 v[0:1], v[38:39], 2, v[2:3]
	v_lshl_add_u64 v[54:55], v[32:33], 0, v[0:1]
	v_mbcnt_hi_u32_b32 v0, -1, v8
	v_xor_b32_e32 v1, 1, v0
	v_accvgpr_write_b32 a24, v0
	v_and_b32_e32 v0, 64, v0
	v_add_u32_e32 v0, 64, v0
	v_accvgpr_write_b32 a25, v1
	v_accvgpr_write_b32 a26, v0
	v_mov_b32_e32 v0, 0xff7fffff
	scratch_store_dword off, v0, s32 offset:216 ; 4-byte Folded Spill
	s_branch .LBB152_12
.LBB152_10:                             ;   in Loop: Header=BB152_12 Depth=1
	s_or_b64 exec, exec, s[26:27]
	v_accvgpr_read_b32 v49, a3
	v_accvgpr_read_b32 v10, a19
	;; [unrolled: 1-line block ×3, first 2 shown]
.LBB152_11:                             ;   in Loop: Header=BB152_12 Depth=1
	s_or_b64 exec, exec, s[10:11]
	scratch_load_dword v0, off, s32 offset:192 ; 4-byte Folded Reload
	v_add_u32_e32 v17, 2, v17
	v_add_u32_e32 v6, 64, v6
	;; [unrolled: 1-line block ×3, first 2 shown]
	v_lshl_add_u64 v[54:55], v[54:55], 0, 8
	s_waitcnt vmcnt(0)
	v_cmp_ge_i32_e64 s[8:9], v17, v0
	s_or_b64 s[24:25], s[8:9], s[24:25]
	s_andn2_b64 exec, exec, s[24:25]
	s_cbranch_execz .LBB152_17
.LBB152_12:                             ; =>This Inner Loop Header: Depth=1
	scratch_load_dword v0, off, s32 offset:200 ; 4-byte Folded Reload
	s_waitcnt vmcnt(0)
	v_mul_hi_u32 v0, v6, v0
	s_waitcnt lgkmcnt(0)
	v_mul_lo_u32 v1, v0, v49
	v_sub_u32_e32 v1, v6, v1
	v_add_u32_e32 v2, 1, v0
	v_cmp_ge_u32_e64 s[8:9], v1, v49
	s_nop 1
	v_cndmask_b32_e64 v0, v0, v2, s[8:9]
	v_sub_u32_e32 v2, v1, v49
	v_cndmask_b32_e64 v1, v1, v2, s[8:9]
	v_cmp_ge_u32_e64 s[8:9], v1, v49
	scratch_load_dword v1, off, s32 offset:196 ; 4-byte Folded Reload
	v_add_u32_e32 v2, 1, v0
	v_cndmask_b32_e64 v0, v0, v2, s[8:9]
	v_accvgpr_read_b32 v2, a6
	s_waitcnt vmcnt(0)
	v_xor_b32_e32 v0, v0, v1
	v_sub_u32_e32 v0, v0, v1
	v_add_u32_e32 v1, v0, v2
	v_sub_u32_e32 v3, 0, v1
	v_ashrrev_i32_e32 v2, 31, v1
	v_max_i32_e32 v1, v1, v3
	v_mul_hi_u32 v3, v1, v4
	v_mul_lo_u32 v3, v3, v10
	v_sub_u32_e32 v1, v1, v3
	v_sub_u32_e32 v3, v1, v10
	v_cmp_ge_u32_e64 s[8:9], v1, v10
	s_nop 1
	v_cndmask_b32_e64 v1, v1, v3, s[8:9]
	v_sub_u32_e32 v3, v1, v10
	v_cmp_ge_u32_e64 s[8:9], v1, v10
	s_nop 1
	v_cndmask_b32_e64 v1, v1, v3, s[8:9]
	v_xor_b32_e32 v1, v1, v2
	v_sub_u32_e32 v1, v1, v2
	v_cmp_ne_u32_e64 s[8:9], 0, v1
	scratch_load_dword v1, off, s32 offset:204 ; 4-byte Folded Reload
	s_waitcnt vmcnt(0)
	v_cmp_le_i32_e64 s[10:11], v0, v1
	s_and_b64 s[8:9], s[8:9], s[10:11]
	s_and_b64 s[26:27], vcc, s[8:9]
	s_and_saveexec_b64 s[10:11], s[26:27]
	s_cbranch_execz .LBB152_14
; %bb.13:                               ;   in Loop: Header=BB152_12 Depth=1
	s_load_dword s26, s[22:23], 0x0
	v_mov_b32_e32 v1, 0xff7fffff
	s_waitcnt lgkmcnt(0)
	v_add_u32_e32 v0, s26, v7
	ds_write_b32 v0, v1
.LBB152_14:                             ;   in Loop: Header=BB152_12 Depth=1
	s_or_b64 exec, exec, s[10:11]
	s_xor_b64 s[8:9], s[8:9], -1
	s_and_saveexec_b64 s[10:11], s[8:9]
	s_cbranch_execz .LBB152_11
; %bb.15:                               ;   in Loop: Header=BB152_12 Depth=1
	v_accvgpr_write_b32 a22, v4
	ds_read_b128 v[28:31], v22
	ds_read_b128 v[24:27], v22 offset:16
	ds_read_b128 v[12:15], v22 offset:32
	;; [unrolled: 1-line block ×5, first 2 shown]
	v_accvgpr_write_b32 a3, v49
	s_waitcnt lgkmcnt(0)
	v_lshlrev_b32_e32 v53, 16, v24
	v_lshlrev_b32_e32 v62, 16, v4
	;; [unrolled: 1-line block ×3, first 2 shown]
	v_accvgpr_write_b32 a31, v0
	v_lshlrev_b32_e32 v0, 16, v35
	v_accvgpr_write_b32 a30, v0
	v_lshlrev_b32_e32 v0, 16, v36
	;; [unrolled: 2-line block ×5, first 2 shown]
	v_accvgpr_write_b32 a32, v0
	v_and_b32_e32 v0, 0xffff0000, v37
	v_accvgpr_write_b32 a35, v0
	v_and_b32_e32 v0, 0xffff0000, v38
	;; [unrolled: 2-line block ×3, first 2 shown]
	v_lshlrev_b32_e32 v61, 16, v5
	v_and_b32_e32 v20, 0xffff0000, v4
	v_and_b32_e32 v21, 0xffff0000, v5
	v_accvgpr_write_b32 a33, v0
	flat_load_dword v0, v[54:55]
	scratch_load_dwordx2 v[4:5], off, s32 offset:208 ; 8-byte Folded Reload
	v_lshlrev_b32_e32 v50, 16, v25
	v_lshlrev_b32_e32 v43, 16, v26
	;; [unrolled: 1-line block ×5, first 2 shown]
	v_and_b32_e32 v49, 0xffff0000, v24
	v_and_b32_e32 v52, 0xffff0000, v25
	;; [unrolled: 1-line block ×6, first 2 shown]
	v_lshlrev_b32_e32 v9, 16, v30
	v_lshlrev_b32_e32 v45, 16, v32
	v_and_b32_e32 v60, 0xffff0000, v32
	v_accvgpr_write_b32 a19, v10
	v_lshlrev_b32_e32 v10, 16, v28
	v_and_b32_e32 v30, 0xffff0000, v30
	v_and_b32_e32 v28, 0xffff0000, v28
	v_lshlrev_b32_e32 v11, 16, v31
	v_lshlrev_b32_e32 v16, 16, v29
	v_and_b32_e32 v31, 0xffff0000, v31
	v_and_b32_e32 v29, 0xffff0000, v29
	v_and_b32_e32 v41, 0xffff0000, v36
	v_and_b32_e32 v56, 0xffff0000, v34
	v_and_b32_e32 v40, 0xffff0000, v35
	v_lshlrev_b32_e32 v44, 16, v33
	v_and_b32_e32 v57, 0xffff0000, v33
	v_lshlrev_b32_e32 v51, 16, v12
	v_lshlrev_b32_e32 v63, 16, v13
	v_and_b32_e32 v12, 0xffff0000, v12
	v_lshlrev_b32_e32 v47, 16, v2
	v_and_b32_e32 v2, 0xffff0000, v2
	v_and_b32_e32 v13, 0xffff0000, v13
	v_lshlrev_b32_e32 v46, 16, v3
	v_and_b32_e32 v3, 0xffff0000, v3
	s_waitcnt vmcnt(0) lgkmcnt(0)
	v_mad_i64_i32 v[0:1], s[8:9], v0, v4, 0
	v_accvgpr_read_b32 v4, a20
	v_accvgpr_read_b32 v5, a21
	v_lshl_add_u64 v[0:1], v[0:1], 1, v[4:5]
	flat_load_dwordx2 v[4:5], v[0:1] offset:512
	flat_load_dwordx2 v[14:15], v[0:1] offset:1024
	flat_load_dwordx2 v[24:25], v[0:1] offset:1536
	flat_load_dwordx2 v[26:27], v[0:1]
	flat_load_dwordx2 v[38:39], v[0:1] offset:3072
	s_waitcnt vmcnt(0) lgkmcnt(0)
	v_lshlrev_b32_e32 v32, 16, v4
	v_mul_f32_e32 v9, v9, v32
	v_and_b32_e32 v4, 0xffff0000, v4
	v_lshlrev_b32_e32 v32, 16, v26
	v_fmac_f32_e32 v9, v10, v32
	v_mul_f32_e32 v10, v30, v4
	v_and_b32_e32 v4, 0xffff0000, v26
	v_fmac_f32_e32 v10, v28, v4
	v_lshlrev_b32_e32 v4, 16, v5
	v_mul_f32_e32 v11, v11, v4
	v_lshlrev_b32_e32 v4, 16, v27
	v_and_b32_e32 v5, 0xffff0000, v5
	v_fmac_f32_e32 v11, v16, v4
	v_and_b32_e32 v4, 0xffff0000, v27
	v_mul_f32_e32 v16, v31, v5
	v_fmac_f32_e32 v16, v29, v4
	v_lshlrev_b32_e32 v4, 16, v14
	v_fmac_f32_e32 v9, v53, v4
	v_and_b32_e32 v4, 0xffff0000, v14
	v_lshlrev_b32_e32 v5, 16, v15
	v_fmac_f32_e32 v10, v49, v4
	v_fmac_f32_e32 v11, v50, v5
	flat_load_dwordx2 v[4:5], v[0:1] offset:2048
	v_and_b32_e32 v14, 0xffff0000, v15
	v_fmac_f32_e32 v16, v52, v14
	flat_load_dwordx2 v[14:15], v[0:1] offset:2560
	v_add_co_u32_e64 v28, s[8:9], s21, v0
	v_lshlrev_b32_e32 v26, 16, v24
	v_and_b32_e32 v24, 0xffff0000, v24
	v_addc_co_u32_e64 v29, s[8:9], 0, v1, s[8:9]
	v_fmac_f32_e32 v10, v23, v24
	v_add_co_u32_e64 v24, s[8:9], s28, v0
	v_lshlrev_b32_e32 v27, 16, v25
	v_and_b32_e32 v30, 0xffff0000, v25
	v_addc_co_u32_e64 v25, s[8:9], 0, v1, s[8:9]
	v_fmac_f32_e32 v11, v42, v27
	v_add_co_u32_e64 v42, s[8:9], s29, v0
	v_fmac_f32_e32 v9, v43, v26
	s_nop 0
	v_addc_co_u32_e64 v43, s[8:9], 0, v1, s[8:9]
	flat_load_dwordx2 v[36:37], v[28:29]
	flat_load_dwordx2 v[34:35], v[28:29] offset:512
	flat_load_dwordx2 v[32:33], v[28:29] offset:1024
	v_fmac_f32_e32 v16, v8, v30
	flat_load_dwordx2 v[30:31], v[28:29] offset:1536
	flat_load_dwordx2 v[26:27], v[28:29] offset:2048
	s_waitcnt vmcnt(0) lgkmcnt(0)
	v_lshlrev_b32_e32 v8, 16, v4
	flat_load_dwordx2 v[0:1], v[0:1] offset:3584
	v_fmac_f32_e32 v9, v51, v8
	v_and_b32_e32 v4, 0xffff0000, v4
	v_lshlrev_b32_e32 v8, 16, v5
	v_fmac_f32_e32 v10, v12, v4
	v_lshlrev_b32_e32 v4, 16, v14
	v_and_b32_e32 v12, 0xffff0000, v14
	v_lshlrev_b32_e32 v14, 16, v15
	v_fmac_f32_e32 v11, v63, v8
	v_fmac_f32_e32 v9, v59, v4
	;; [unrolled: 1-line block ×3, first 2 shown]
	flat_load_dwordx2 v[58:59], v[28:29] offset:2560
	v_lshlrev_b32_e32 v4, 16, v38
	v_fmac_f32_e32 v10, v18, v12
	v_fmac_f32_e32 v9, v47, v4
	v_and_b32_e32 v4, 0xffff0000, v38
	v_fmac_f32_e32 v10, v2, v4
	v_accvgpr_read_b32 v4, a25
	v_accvgpr_read_b32 v2, a26
	v_and_b32_e32 v5, 0xffff0000, v5
	v_cmp_lt_i32_e64 s[8:9], v4, v2
	v_accvgpr_read_b32 v2, a24
	v_and_b32_e32 v15, 0xffff0000, v15
	v_fmac_f32_e32 v16, v13, v5
	v_cndmask_b32_e64 v8, v2, v4, s[8:9]
	v_lshlrev_b32_e32 v2, 16, v39
	v_fmac_f32_e32 v16, v19, v15
	v_fmac_f32_e32 v11, v46, v2
	flat_load_dwordx2 v[46:47], v[28:29] offset:3072
	v_and_b32_e32 v2, 0xffff0000, v39
	v_fmac_f32_e32 v16, v3, v2
	ds_read_b128 v[12:15], v22 offset:112
	v_lshlrev_b32_e32 v23, 16, v34
	s_waitcnt vmcnt(0) lgkmcnt(0)
	v_lshlrev_b32_e32 v4, 16, v0
	v_and_b32_e32 v0, 0xffff0000, v0
	v_fmac_f32_e32 v9, v62, v4
	v_fmac_f32_e32 v10, v20, v0
	v_lshlrev_b32_e32 v0, 16, v36
	v_lshlrev_b32_e32 v2, 16, v1
	v_and_b32_e32 v1, 0xffff0000, v1
	v_fmac_f32_e32 v9, v45, v0
	v_and_b32_e32 v0, 0xffff0000, v36
	v_fmac_f32_e32 v16, v21, v1
	v_fmac_f32_e32 v10, v60, v0
	flat_load_dwordx2 v[0:1], v[28:29] offset:3584
	v_fmac_f32_e32 v11, v61, v2
	v_lshlrev_b32_e32 v20, 16, v37
	v_and_b32_e32 v21, 0xffff0000, v37
	v_fmac_f32_e32 v11, v44, v20
	v_and_b32_e32 v20, 0xffff0000, v34
	ds_read_b128 v[2:5], v22 offset:96
	v_fmac_f32_e32 v16, v57, v21
	v_fmac_f32_e32 v10, v56, v20
	flat_load_dwordx2 v[50:51], v[24:25]
	flat_load_dwordx2 v[62:63], v[24:25] offset:512
	flat_load_dwordx2 v[60:61], v[24:25] offset:1024
	;; [unrolled: 1-line block ×3, first 2 shown]
	v_lshlrev_b32_e32 v28, 16, v35
	v_accvgpr_read_b32 v21, a31
	v_accvgpr_read_b32 v20, a30
	v_fmac_f32_e32 v9, v21, v23
	v_fmac_f32_e32 v11, v20, v28
	v_and_b32_e32 v20, 0xffff0000, v35
	v_and_b32_e32 v21, 0xffff0000, v32
	v_fmac_f32_e32 v16, v40, v20
	v_fmac_f32_e32 v10, v41, v21
	flat_load_dwordx2 v[44:45], v[24:25] offset:2048
	flat_load_dwordx2 v[40:41], v[24:25] offset:2560
	;; [unrolled: 1-line block ×4, first 2 shown]
	v_lshlrev_b32_e32 v20, 16, v32
	v_accvgpr_read_b32 v23, a29
	v_fmac_f32_e32 v9, v23, v20
	v_lshlrev_b32_e32 v20, 16, v33
	v_accvgpr_read_b32 v21, a28
	v_fmac_f32_e32 v11, v21, v20
	v_and_b32_e32 v20, 0xffff0000, v33
	v_accvgpr_read_b32 v21, a35
	v_fmac_f32_e32 v16, v21, v20
	v_lshlrev_b32_e32 v20, 16, v30
	v_accvgpr_read_b32 v23, a27
	v_and_b32_e32 v21, 0xffff0000, v30
	v_fmac_f32_e32 v9, v23, v20
	v_accvgpr_read_b32 v20, a34
	v_fmac_f32_e32 v10, v20, v21
	v_lshlrev_b32_e32 v20, 16, v31
	v_and_b32_e32 v21, 0xffff0000, v31
	flat_load_dwordx2 v[34:35], v[42:43]
	flat_load_dwordx2 v[32:33], v[42:43] offset:512
	flat_load_dwordx2 v[30:31], v[42:43] offset:1024
	;; [unrolled: 1-line block ×3, first 2 shown]
	v_accvgpr_read_b32 v23, a32
	v_fmac_f32_e32 v11, v23, v20
	v_accvgpr_read_b32 v20, a33
	s_waitcnt lgkmcnt(0)
	v_lshlrev_b32_e32 v18, 16, v2
	v_fmac_f32_e32 v16, v20, v21
	v_lshlrev_b32_e32 v20, 16, v26
	v_fmac_f32_e32 v9, v18, v20
	v_and_b32_e32 v2, 0xffff0000, v2
	v_and_b32_e32 v18, 0xffff0000, v26
	v_lshlrev_b32_e32 v19, 16, v3
	v_fmac_f32_e32 v10, v2, v18
	v_and_b32_e32 v2, 0xffff0000, v3
	v_lshlrev_b32_e32 v3, 16, v27
	v_and_b32_e32 v18, 0xffff0000, v27
	v_fmac_f32_e32 v11, v19, v3
	v_fmac_f32_e32 v16, v2, v18
	v_lshlrev_b32_e32 v2, 16, v4
	v_and_b32_e32 v3, 0xffff0000, v4
	v_lshlrev_b32_e32 v4, 16, v58
	v_and_b32_e32 v18, 0xffff0000, v58
	v_fmac_f32_e32 v9, v2, v4
	v_fmac_f32_e32 v10, v3, v18
	v_lshlrev_b32_e32 v18, 16, v5
	v_and_b32_e32 v19, 0xffff0000, v5
	flat_load_dwordx2 v[26:27], v[42:43] offset:2048
	flat_load_dwordx2 v[24:25], v[42:43] offset:2560
	;; [unrolled: 1-line block ×4, first 2 shown]
	v_lshlrev_b32_e32 v42, 2, v8
	v_lshlrev_b32_e32 v8, 16, v59
	v_and_b32_e32 v20, 0xffff0000, v59
	v_fmac_f32_e32 v11, v18, v8
	v_fmac_f32_e32 v16, v19, v20
	v_lshlrev_b32_e32 v8, 16, v12
	v_and_b32_e32 v12, 0xffff0000, v12
	v_lshlrev_b32_e32 v18, 16, v46
	v_and_b32_e32 v19, 0xffff0000, v46
	v_fmac_f32_e32 v9, v8, v18
	v_fmac_f32_e32 v10, v12, v19
	v_lshlrev_b32_e32 v8, 16, v13
	v_and_b32_e32 v12, 0xffff0000, v13
	;; [unrolled: 6-line block ×3, first 2 shown]
	s_waitcnt vmcnt(0)
	v_lshlrev_b32_e32 v13, 16, v0
	v_and_b32_e32 v0, 0xffff0000, v0
	v_fmac_f32_e32 v9, v8, v13
	v_fmac_f32_e32 v10, v12, v0
	v_lshlrev_b32_e32 v0, 16, v15
	v_and_b32_e32 v8, 0xffff0000, v15
	ds_read_b128 v[12:15], v22 offset:128
	v_lshlrev_b32_e32 v18, 16, v1
	v_and_b32_e32 v1, 0xffff0000, v1
	v_fmac_f32_e32 v11, v0, v18
	ds_read_b128 v[18:21], v22 offset:144
	v_fmac_f32_e32 v16, v8, v1
	s_waitcnt lgkmcnt(0)
	v_lshlrev_b32_e32 v0, 16, v12
	v_and_b32_e32 v1, 0xffff0000, v12
	v_and_b32_e32 v12, 0xffff0000, v50
	v_fmac_f32_e32 v10, v1, v12
	v_and_b32_e32 v1, 0xffff0000, v13
	v_and_b32_e32 v12, 0xffff0000, v51
	v_fmac_f32_e32 v16, v1, v12
	;; [unrolled: 3-line block ×3, first 2 shown]
	v_and_b32_e32 v1, 0xffff0000, v15
	v_and_b32_e32 v12, 0xffff0000, v63
	v_lshlrev_b32_e32 v8, 16, v50
	v_fmac_f32_e32 v16, v1, v12
	v_and_b32_e32 v1, 0xffff0000, v18
	v_and_b32_e32 v12, 0xffff0000, v60
	v_fmac_f32_e32 v9, v0, v8
	v_lshlrev_b32_e32 v0, 16, v13
	v_lshlrev_b32_e32 v8, 16, v51
	v_fmac_f32_e32 v10, v1, v12
	v_and_b32_e32 v1, 0xffff0000, v19
	v_and_b32_e32 v12, 0xffff0000, v61
	v_fmac_f32_e32 v11, v0, v8
	v_lshlrev_b32_e32 v0, 16, v14
	;; [unrolled: 6-line block ×3, first 2 shown]
	v_lshlrev_b32_e32 v8, 16, v63
	v_fmac_f32_e32 v10, v1, v12
	ds_read_b128 v[12:15], v22 offset:160
	v_fmac_f32_e32 v11, v0, v8
	v_lshlrev_b32_e32 v0, 16, v18
	v_lshlrev_b32_e32 v8, 16, v60
	v_fmac_f32_e32 v9, v0, v8
	v_lshlrev_b32_e32 v0, 16, v19
	v_lshlrev_b32_e32 v8, 16, v61
	;; [unrolled: 3-line block ×3, first 2 shown]
	v_and_b32_e32 v1, 0xffff0000, v21
	v_and_b32_e32 v18, 0xffff0000, v57
	v_fmac_f32_e32 v9, v0, v8
	v_lshlrev_b32_e32 v0, 16, v21
	v_lshlrev_b32_e32 v8, 16, v57
	v_fmac_f32_e32 v16, v1, v18
	ds_read_b128 v[18:21], v22 offset:176
	v_fmac_f32_e32 v11, v0, v8
	s_waitcnt lgkmcnt(1)
	v_lshlrev_b32_e32 v0, 16, v12
	v_and_b32_e32 v1, 0xffff0000, v12
	v_and_b32_e32 v12, 0xffff0000, v44
	v_fmac_f32_e32 v10, v1, v12
	v_and_b32_e32 v1, 0xffff0000, v13
	v_and_b32_e32 v12, 0xffff0000, v45
	v_fmac_f32_e32 v16, v1, v12
	;; [unrolled: 3-line block ×3, first 2 shown]
	v_and_b32_e32 v1, 0xffff0000, v15
	v_and_b32_e32 v12, 0xffff0000, v41
	v_lshlrev_b32_e32 v8, 16, v44
	v_fmac_f32_e32 v16, v1, v12
	s_waitcnt lgkmcnt(0)
	v_and_b32_e32 v1, 0xffff0000, v18
	v_and_b32_e32 v12, 0xffff0000, v38
	v_fmac_f32_e32 v9, v0, v8
	v_lshlrev_b32_e32 v0, 16, v13
	v_lshlrev_b32_e32 v8, 16, v45
	v_fmac_f32_e32 v10, v1, v12
	v_and_b32_e32 v1, 0xffff0000, v19
	v_and_b32_e32 v12, 0xffff0000, v39
	v_fmac_f32_e32 v11, v0, v8
	v_lshlrev_b32_e32 v0, 16, v14
	v_lshlrev_b32_e32 v8, 16, v40
	v_fmac_f32_e32 v16, v1, v12
	;; [unrolled: 6-line block ×3, first 2 shown]
	ds_read_b128 v[12:15], v22 offset:192
	v_fmac_f32_e32 v11, v0, v8
	v_lshlrev_b32_e32 v0, 16, v18
	v_lshlrev_b32_e32 v8, 16, v38
	v_fmac_f32_e32 v9, v0, v8
	v_lshlrev_b32_e32 v0, 16, v19
	v_lshlrev_b32_e32 v8, 16, v39
	;; [unrolled: 3-line block ×3, first 2 shown]
	v_and_b32_e32 v1, 0xffff0000, v21
	v_and_b32_e32 v18, 0xffff0000, v37
	v_fmac_f32_e32 v9, v0, v8
	v_lshlrev_b32_e32 v0, 16, v21
	v_lshlrev_b32_e32 v8, 16, v37
	v_fmac_f32_e32 v16, v1, v18
	ds_read_b128 v[18:21], v22 offset:208
	v_fmac_f32_e32 v11, v0, v8
	s_waitcnt lgkmcnt(1)
	v_lshlrev_b32_e32 v0, 16, v12
	v_and_b32_e32 v1, 0xffff0000, v12
	v_and_b32_e32 v12, 0xffff0000, v34
	v_fmac_f32_e32 v10, v1, v12
	v_and_b32_e32 v1, 0xffff0000, v13
	v_and_b32_e32 v12, 0xffff0000, v35
	v_fmac_f32_e32 v16, v1, v12
	;; [unrolled: 3-line block ×3, first 2 shown]
	v_and_b32_e32 v1, 0xffff0000, v15
	v_and_b32_e32 v12, 0xffff0000, v33
	v_lshlrev_b32_e32 v8, 16, v34
	v_fmac_f32_e32 v16, v1, v12
	s_waitcnt lgkmcnt(0)
	v_and_b32_e32 v1, 0xffff0000, v18
	v_and_b32_e32 v12, 0xffff0000, v30
	v_fmac_f32_e32 v9, v0, v8
	v_lshlrev_b32_e32 v0, 16, v13
	v_lshlrev_b32_e32 v8, 16, v35
	v_fmac_f32_e32 v10, v1, v12
	v_and_b32_e32 v1, 0xffff0000, v19
	v_and_b32_e32 v12, 0xffff0000, v31
	v_fmac_f32_e32 v11, v0, v8
	v_lshlrev_b32_e32 v0, 16, v14
	v_lshlrev_b32_e32 v8, 16, v32
	v_fmac_f32_e32 v16, v1, v12
	;; [unrolled: 6-line block ×3, first 2 shown]
	ds_read_b128 v[12:15], v22 offset:224
	v_fmac_f32_e32 v11, v0, v8
	v_lshlrev_b32_e32 v0, 16, v18
	v_lshlrev_b32_e32 v8, 16, v30
	v_fmac_f32_e32 v9, v0, v8
	v_lshlrev_b32_e32 v0, 16, v19
	v_lshlrev_b32_e32 v8, 16, v31
	;; [unrolled: 3-line block ×3, first 2 shown]
	v_and_b32_e32 v1, 0xffff0000, v21
	v_and_b32_e32 v18, 0xffff0000, v29
	v_fmac_f32_e32 v9, v0, v8
	v_lshlrev_b32_e32 v0, 16, v21
	v_lshlrev_b32_e32 v8, 16, v29
	v_fmac_f32_e32 v16, v1, v18
	ds_read_b128 v[18:21], v22 offset:240
	v_fmac_f32_e32 v11, v0, v8
	s_waitcnt lgkmcnt(1)
	v_lshlrev_b32_e32 v0, 16, v12
	v_and_b32_e32 v1, 0xffff0000, v12
	v_lshlrev_b32_e32 v8, 16, v26
	v_and_b32_e32 v12, 0xffff0000, v26
	v_fmac_f32_e32 v9, v0, v8
	v_fmac_f32_e32 v10, v1, v12
	v_lshlrev_b32_e32 v0, 16, v13
	v_and_b32_e32 v1, 0xffff0000, v13
	v_lshlrev_b32_e32 v8, 16, v27
	v_and_b32_e32 v12, 0xffff0000, v27
	v_fmac_f32_e32 v11, v0, v8
	v_fmac_f32_e32 v16, v1, v12
	;; [unrolled: 6-line block ×4, first 2 shown]
	s_waitcnt lgkmcnt(0)
	v_lshlrev_b32_e32 v0, 16, v18
	v_and_b32_e32 v1, 0xffff0000, v18
	v_lshlrev_b32_e32 v8, 16, v4
	v_and_b32_e32 v4, 0xffff0000, v4
	v_fmac_f32_e32 v9, v0, v8
	v_fmac_f32_e32 v10, v1, v4
	v_lshlrev_b32_e32 v0, 16, v19
	v_and_b32_e32 v1, 0xffff0000, v19
	v_lshlrev_b32_e32 v4, 16, v5
	v_and_b32_e32 v5, 0xffff0000, v5
	v_fmac_f32_e32 v11, v0, v4
	v_fmac_f32_e32 v16, v1, v5
	;; [unrolled: 6-line block ×3, first 2 shown]
	v_lshlrev_b32_e32 v0, 16, v21
	v_lshlrev_b32_e32 v2, 16, v3
	v_and_b32_e32 v1, 0xffff0000, v21
	v_and_b32_e32 v3, 0xffff0000, v3
	v_fmac_f32_e32 v11, v0, v2
	v_add_f32_e32 v0, v9, v10
	v_fmac_f32_e32 v16, v1, v3
	v_add_f32_e32 v0, v0, v11
	v_add_f32_e32 v0, v16, v0
	ds_bpermute_b32 v1, v42, v0
	s_and_saveexec_b64 s[26:27], vcc
	s_cbranch_execz .LBB152_10
; %bb.16:                               ;   in Loop: Header=BB152_12 Depth=1
	scratch_load_dword v5, off, s32 offset:224 ; 4-byte Folded Reload
	v_accvgpr_read_b32 v2, a23
	v_add_u32_e32 v2, v2, v6
	v_cvt_f32_i32_e32 v2, v2
	s_waitcnt lgkmcnt(0)
	v_add_f32_e32 v0, v0, v1
	v_accvgpr_read_b32 v1, a16
	s_load_dword s8, s[22:23], 0x0
	v_accvgpr_read_b32 v3, a18
	v_add_u32_e32 v3, v3, v6
	s_waitcnt lgkmcnt(0)
	v_add_u32_e32 v4, s8, v7
	v_cmp_lt_i32_e64 s[8:9], v3, v48
	s_waitcnt vmcnt(0)
	v_mul_f32_e32 v2, v5, v2
	v_cndmask_b32_e64 v2, 0, v2, s[6:7]
	v_fmac_f32_e32 v2, v0, v1
	scratch_load_dword v1, off, s32 offset:216 ; 4-byte Folded Reload
	v_cndmask_b32_e64 v0, 0, v2, s[8:9]
	ds_write_b32 v4, v0
	s_waitcnt vmcnt(0)
	v_max_f32_e32 v0, v1, v1
	v_max_f32_e32 v0, v0, v2
	v_cndmask_b32_e64 v1, v1, v0, s[8:9]
	scratch_store_dword off, v1, s32 offset:216 ; 4-byte Folded Spill
	s_branch .LBB152_10
.LBB152_17:
	s_or_b64 exec, exec, s[24:25]
	scratch_load_dword v3, off, s32 offset:216 ; 4-byte Folded Reload
	v_accvgpr_read_b32 v33, a1
	v_accvgpr_read_b32 v35, a5
	;; [unrolled: 1-line block ×13, first 2 shown]
.LBB152_18:
	s_or_b64 exec, exec, s[12:13]
	v_mbcnt_hi_u32_b32 v0, -1, v0
	s_waitcnt lgkmcnt(0)
	v_and_b32_e32 v1, 64, v0
	v_add_u32_e32 v7, 64, v1
	v_xor_b32_e32 v1, 32, v0
	v_cmp_lt_i32_e32 vcc, v1, v7
	v_xor_b32_e32 v4, 16, v0
	v_xor_b32_e32 v5, 8, v0
	v_cndmask_b32_e32 v1, v0, v1, vcc
	v_lshlrev_b32_e32 v1, 2, v1
	s_waitcnt vmcnt(0)
	ds_bpermute_b32 v2, v1, v3
	v_max_f32_e32 v3, v3, v3
	v_cmp_lt_i32_e32 vcc, v4, v7
	v_xor_b32_e32 v6, 4, v0
	v_xor_b32_e32 v8, 2, v0
	s_waitcnt lgkmcnt(0)
	v_max_f32_e32 v2, v2, v2
	v_max_f32_e32 v3, v3, v2
	v_cndmask_b32_e32 v2, v0, v4, vcc
	v_lshlrev_b32_e32 v2, 2, v2
	ds_bpermute_b32 v4, v2, v3
	v_cmp_lt_i32_e32 vcc, v5, v7
	s_lshr_b32 s19, s19, 16
	s_waitcnt lgkmcnt(0)
	v_max_f32_e32 v4, v4, v4
	v_max_f32_e32 v4, v3, v4
	v_cndmask_b32_e32 v3, v0, v5, vcc
	v_lshlrev_b32_e32 v3, 2, v3
	ds_bpermute_b32 v5, v3, v4
	v_cmp_lt_i32_e32 vcc, v6, v7
	s_waitcnt lgkmcnt(0)
	v_max_f32_e32 v5, v5, v5
	v_max_f32_e32 v5, v4, v5
	v_cndmask_b32_e32 v4, v0, v6, vcc
	v_lshlrev_b32_e32 v4, 2, v4
	ds_bpermute_b32 v6, v4, v5
	v_cmp_lt_i32_e32 vcc, v8, v7
	s_waitcnt lgkmcnt(0)
	v_max_f32_e32 v6, v6, v6
	v_max_f32_e32 v6, v5, v6
	v_cndmask_b32_e32 v5, v0, v8, vcc
	v_lshlrev_b32_e32 v25, 2, v5
	scratch_load_dword v5, off, s32 offset:492 ; 4-byte Folded Reload
	ds_bpermute_b32 v8, v25, v6
	s_waitcnt vmcnt(0)
	v_and_b32_e32 v26, 63, v5
	v_accvgpr_read_b32 v5, a9
	v_cmp_eq_u32_e32 vcc, 0, v26
	v_lshlrev_b32_e32 v5, 2, v5
	s_and_saveexec_b64 s[6:7], vcc
	s_cbranch_execz .LBB152_20
; %bb.19:
	s_waitcnt lgkmcnt(0)
	v_max_f32_e32 v8, v8, v8
	v_max_f32_e32 v6, v6, v6
	;; [unrolled: 1-line block ×3, first 2 shown]
	ds_write_b32 v5, v6 offset:512
.LBB152_20:
	s_or_b64 exec, exec, s[6:7]
	v_cmp_gt_u32_e64 s[6:7], 2, v26
	s_waitcnt lgkmcnt(0)
	v_mov_b32_e32 v8, 0xff7fffff
	v_lshlrev_b32_e32 v6, 2, v26
	s_barrier
	s_and_saveexec_b64 s[8:9], s[6:7]
	s_cbranch_execz .LBB152_22
; %bb.21:
	ds_read_b32 v8, v6 offset:512
.LBB152_22:
	s_or_b64 exec, exec, s[8:9]
	v_xor_b32_e32 v9, 1, v0
	v_cmp_lt_i32_e64 s[8:9], v9, v7
	s_nop 1
	v_cndmask_b32_e64 v7, v0, v9, s[8:9]
	v_lshlrev_b32_e32 v28, 2, v7
	s_waitcnt lgkmcnt(0)
	ds_bpermute_b32 v7, v28, v8
	v_max_f32_e32 v8, v8, v8
	v_lshlrev_b32_e32 v0, 2, v0
	scratch_load_dword v9, off, s32 offset:492 ; 4-byte Folded Reload
	s_waitcnt lgkmcnt(0)
	v_max_f32_e32 v7, v7, v7
	v_max_f32_e32 v8, v8, v7
	v_and_b32_e32 v7, 0x100, v0
	scratch_load_dword v0, off, s32 offset:192 ; 4-byte Folded Reload
	ds_bpermute_b32 v8, v7, v8
	s_waitcnt vmcnt(0)
	v_lshlrev_b32_e32 v0, 5, v0
	v_min_i32_e32 v0, v0, v48
	v_cmp_lt_i32_e64 s[8:9], v9, v0
	v_mov_b32_e32 v9, 0
	s_and_saveexec_b64 s[12:13], s[8:9]
	s_cbranch_execz .LBB152_26
; %bb.23:
	scratch_load_dword v11, off, s32 offset:492 ; 4-byte Folded Reload
	s_ashr_i32 s21, s20, 31
	s_lshl_b64 s[10:11], s[20:21], 2
	s_getpc_b64 s[22:23]
	s_add_u32 s22, s22, llvm.amdgcn.dynlds.offset.table@rel32@lo+4
	s_addc_u32 s23, s23, llvm.amdgcn.dynlds.offset.table@rel32@hi+12
	s_add_u32 s10, s10, s22
	s_addc_u32 s11, s11, s23
	s_load_dword s10, s[10:11], 0x0
	s_mov_b64 s[22:23], 0
	v_mov_b32_e32 v9, 0
	s_waitcnt vmcnt(0) lgkmcnt(0)
	v_lshl_add_u32 v10, v11, 2, s10
.LBB152_24:                             ; =>This Inner Loop Header: Depth=1
	ds_read_b32 v12, v10
	v_add_u32_e32 v11, 0x80, v11
	v_cmp_ge_i32_e64 s[10:11], v11, v0
	s_or_b64 s[22:23], s[10:11], s[22:23]
	s_waitcnt lgkmcnt(0)
	v_sub_f32_e32 v12, v12, v8
	v_mul_f32_e32 v12, 0x3fb8aa3b, v12
	v_exp_f32_e32 v12, v12
	ds_write_b32 v10, v12
	v_add_f32_e32 v9, v9, v12
	v_add_u32_e32 v10, 0x200, v10
	s_andn2_b64 exec, exec, s[22:23]
	s_cbranch_execnz .LBB152_24
; %bb.25:
	s_or_b64 exec, exec, s[22:23]
.LBB152_26:
	s_or_b64 exec, exec, s[12:13]
	ds_bpermute_b32 v1, v1, v9
	s_waitcnt lgkmcnt(0)
	v_add_f32_e32 v1, v9, v1
	ds_bpermute_b32 v2, v2, v1
	s_waitcnt lgkmcnt(0)
	v_add_f32_e32 v1, v1, v2
	;; [unrolled: 3-line block ×6, first 2 shown]
	s_and_saveexec_b64 s[10:11], vcc
	s_cbranch_execz .LBB152_28
; %bb.27:
	ds_write_b32 v5, v1 offset:520
.LBB152_28:
	s_or_b64 exec, exec, s[10:11]
	s_waitcnt lgkmcnt(0)
	s_barrier
	s_and_saveexec_b64 s[10:11], s[6:7]
	s_cbranch_execz .LBB152_30
; %bb.29:
	ds_read_b32 v1, v6 offset:520
.LBB152_30:
	s_or_b64 exec, exec, s[10:11]
	s_waitcnt lgkmcnt(0)
	ds_bpermute_b32 v2, v28, v1
	s_waitcnt lgkmcnt(0)
	v_add_f32_e32 v1, v1, v2
	ds_bpermute_b32 v1, v7, v1
	s_and_saveexec_b64 s[6:7], s[8:9]
	s_cbranch_execz .LBB152_43
; %bb.31:
	s_waitcnt lgkmcnt(0)
	v_add_f32_e32 v1, 0x358637bd, v1
	v_div_scale_f32 v2, s[8:9], v1, v1, 1.0
	v_rcp_f32_e32 v3, v2
	v_div_scale_f32 v4, vcc, 1.0, v1, 1.0
	s_movk_i32 s8, 0x7f
	v_fma_f32 v5, -v2, v3, 1.0
	v_fmac_f32_e32 v3, v5, v3
	v_mul_f32_e32 v5, v4, v3
	v_fma_f32 v6, -v2, v5, v4
	v_fmac_f32_e32 v5, v6, v3
	v_fma_f32 v2, -v2, v5, v4
	v_div_fmas_f32 v2, v2, v3, v5
	v_div_fixup_f32 v2, v2, v1, 1.0
	scratch_load_dword v1, off, s32 offset:492 ; 4-byte Folded Reload
	s_mov_b64 s[10:11], -1
	s_waitcnt vmcnt(0)
	v_xad_u32 v3, v1, -1, v0
	v_cmp_lt_u32_e32 vcc, s8, v3
	s_and_saveexec_b64 s[8:9], vcc
	s_cbranch_execz .LBB152_40
; %bb.32:
	v_lshrrev_b32_e32 v1, 7, v3
	v_add_u32_e32 v5, -1, v1
	v_lshrrev_b32_e32 v4, 1, v5
	v_mov_b32_e32 v3, v2
	v_add_u32_e32 v4, 1, v4
	v_cmp_lt_u32_e32 vcc, 13, v5
	v_mov_b32_e32 v7, 0
	s_and_saveexec_b64 s[10:11], vcc
	s_cbranch_execz .LBB152_36
; %bb.33:
	scratch_load_dword v6, off, s32 offset:492 ; 4-byte Folded Reload
	s_ashr_i32 s21, s20, 31
	s_lshl_b64 s[12:13], s[20:21], 2
	s_getpc_b64 s[22:23]
	s_add_u32 s22, s22, llvm.amdgcn.dynlds.offset.table@rel32@lo+4
	s_addc_u32 s23, s23, llvm.amdgcn.dynlds.offset.table@rel32@hi+12
	s_add_u32 s12, s12, s22
	s_addc_u32 s13, s13, s23
	s_load_dword s12, s[12:13], 0x0
	v_and_b32_e32 v5, -8, v4
	s_mov_b32 s21, 0
	s_waitcnt vmcnt(0) lgkmcnt(0)
	v_lshl_add_u32 v6, v6, 2, s12
	s_mov_b64 s[12:13], 0
.LBB152_34:                             ; =>This Inner Loop Header: Depth=1
	ds_read2st64_b32 v[8:9], v6 offset1:2
	ds_read2st64_b32 v[10:11], v6 offset0:4 offset1:6
	ds_read2st64_b32 v[12:13], v6 offset0:8 offset1:10
	;; [unrolled: 1-line block ×3, first 2 shown]
	v_add_u32_e32 v5, -8, v5
	s_waitcnt lgkmcnt(3)
	v_pk_mul_f32 v[8:9], v[2:3], v[8:9]
	s_waitcnt lgkmcnt(2)
	v_pk_mul_f32 v[10:11], v[2:3], v[10:11]
	ds_write2st64_b32 v6, v8, v9 offset1:2
	ds_write2st64_b32 v6, v10, v11 offset0:4 offset1:6
	ds_read2st64_b32 v[10:11], v6 offset0:16 offset1:18
	s_waitcnt lgkmcnt(4)
	v_pk_mul_f32 v[8:9], v[2:3], v[12:13]
	ds_write2st64_b32 v6, v8, v9 offset0:8 offset1:10
	s_waitcnt lgkmcnt(4)
	v_pk_mul_f32 v[8:9], v[2:3], v[14:15]
	ds_write2st64_b32 v6, v8, v9 offset0:12 offset1:14
	ds_read2st64_b32 v[8:9], v6 offset0:20 offset1:22
	s_waitcnt lgkmcnt(3)
	v_pk_mul_f32 v[10:11], v[2:3], v[10:11]
	ds_read2st64_b32 v[12:13], v6 offset0:24 offset1:26
	ds_write2st64_b32 v6, v10, v11 offset0:16 offset1:18
	ds_read2st64_b32 v[10:11], v6 offset0:28 offset1:30
	s_waitcnt lgkmcnt(3)
	v_pk_mul_f32 v[8:9], v[2:3], v[8:9]
	ds_write2st64_b32 v6, v8, v9 offset0:20 offset1:22
	s_waitcnt lgkmcnt(3)
	v_pk_mul_f32 v[8:9], v[2:3], v[12:13]
	ds_write2st64_b32 v6, v8, v9 offset0:24 offset1:26
	s_waitcnt lgkmcnt(2)
	v_pk_mul_f32 v[8:9], v[2:3], v[10:11]
	s_add_i32 s21, s21, 16
	v_cmp_eq_u32_e32 vcc, 0, v5
	ds_write2st64_b32 v6, v8, v9 offset0:28 offset1:30
	v_add_u32_e32 v6, 0x2000, v6
	s_or_b64 s[12:13], vcc, s[12:13]
	v_mov_b32_e32 v7, s21
	s_andn2_b64 exec, exec, s[12:13]
	s_cbranch_execnz .LBB152_34
; %bb.35:
	s_or_b64 exec, exec, s[12:13]
.LBB152_36:
	s_or_b64 exec, exec, s[10:11]
	v_and_b32_e32 v4, 7, v4
	v_cmp_ne_u32_e32 vcc, 0, v4
	s_and_saveexec_b64 s[10:11], vcc
	s_cbranch_execz .LBB152_39
; %bb.37:
	scratch_load_dword v6, off, s32 offset:492 ; 4-byte Folded Reload
	s_ashr_i32 s21, s20, 31
	s_lshl_b64 s[12:13], s[20:21], 2
	s_getpc_b64 s[22:23]
	s_add_u32 s22, s22, llvm.amdgcn.dynlds.offset.table@rel32@lo+4
	s_addc_u32 s23, s23, llvm.amdgcn.dynlds.offset.table@rel32@hi+12
	s_add_u32 s12, s12, s22
	s_addc_u32 s13, s13, s23
	s_load_dword s12, s[12:13], 0x0
	v_lshlrev_b32_e32 v5, 9, v7
	s_waitcnt vmcnt(0)
	v_lshlrev_b32_e32 v6, 2, v6
	s_waitcnt lgkmcnt(0)
	v_add3_u32 v5, v5, v6, s12
	s_mov_b64 s[12:13], 0
.LBB152_38:                             ; =>This Inner Loop Header: Depth=1
	ds_read2st64_b32 v[6:7], v5 offset1:2
	v_add_u32_e32 v4, -1, v4
	v_cmp_eq_u32_e32 vcc, 0, v4
	s_or_b64 s[12:13], vcc, s[12:13]
	s_waitcnt lgkmcnt(0)
	v_pk_mul_f32 v[6:7], v[2:3], v[6:7]
	ds_write2st64_b32 v5, v6, v7 offset1:2
	v_add_u32_e32 v5, 0x400, v5
	s_andn2_b64 exec, exec, s[12:13]
	s_cbranch_execnz .LBB152_38
.LBB152_39:
	s_or_b64 exec, exec, s[10:11]
	v_add_u32_e32 v3, 1, v1
	scratch_load_dword v1, off, s32 offset:492 ; 4-byte Folded Reload
	v_and_b32_e32 v4, 0x3fffffe, v3
	v_cmp_ne_u32_e32 vcc, v3, v4
	s_orn2_b64 s[10:11], vcc, exec
	s_waitcnt vmcnt(0)
	v_lshl_add_u32 v1, v4, 7, v1
.LBB152_40:
	s_or_b64 exec, exec, s[8:9]
	s_and_b64 exec, exec, s[10:11]
	s_cbranch_execz .LBB152_43
; %bb.41:
	s_ashr_i32 s21, s20, 31
	s_lshl_b64 s[8:9], s[20:21], 2
	s_getpc_b64 s[10:11]
	s_add_u32 s10, s10, llvm.amdgcn.dynlds.offset.table@rel32@lo+4
	s_addc_u32 s11, s11, llvm.amdgcn.dynlds.offset.table@rel32@hi+12
	s_add_u32 s8, s8, s10
	s_addc_u32 s9, s9, s11
	s_load_dword s8, s[8:9], 0x0
	s_waitcnt lgkmcnt(0)
	v_lshl_add_u32 v3, v1, 2, s8
	s_mov_b64 s[8:9], 0
.LBB152_42:                             ; =>This Inner Loop Header: Depth=1
	ds_read_b32 v4, v3
	v_add_u32_e32 v1, 0x80, v1
	v_cmp_ge_i32_e32 vcc, v1, v0
	s_or_b64 s[8:9], vcc, s[8:9]
	s_waitcnt lgkmcnt(0)
	v_mul_f32_e32 v4, v2, v4
	ds_write_b32 v3, v4
	v_add_u32_e32 v3, 0x200, v3
	s_andn2_b64 exec, exec, s[8:9]
	s_cbranch_execnz .LBB152_42
.LBB152_43:
	s_or_b64 exec, exec, s[6:7]
	s_waitcnt lgkmcnt(0)
	s_barrier
	scratch_load_dword v0, off, s32 offset:492 ; 4-byte Folded Reload
	v_mov_b32_e32 v4, 0
	v_mov_b32_e32 v5, 0
	;; [unrolled: 1-line block ×16, first 2 shown]
	s_waitcnt vmcnt(0)
	v_and_b32_e32 v27, 3, v0
	s_and_saveexec_b64 s[6:7], s[4:5]
	s_cbranch_execz .LBB152_625
; %bb.44:
	v_and_b32_e32 v0, 24, v36
	scratch_store_dword off, v28, s32 offset:524 ; 4-byte Folded Spill
	scratch_store_dword off, v25, s32 offset:520 ; 4-byte Folded Spill
	scratch_store_dword off, v26, s32 offset:528 ; 4-byte Folded Spill
	scratch_store_dword off, v0, s32 offset:496 ; 4-byte Folded Spill
	v_lshl_add_u64 v[0:1], v[50:51], 1, v[34:35]
	scratch_store_dwordx2 off, v[0:1], s32 offset:504 ; 8-byte Folded Spill
	scratch_load_dword v0, off, s32 offset:192 ; 4-byte Folded Reload
	v_max_i32_e32 v3, v22, v18
	v_cvt_f32_u32_e32 v1, v3
	scratch_store_dword off, v3, s32 offset:272 ; 4-byte Folded Spill
	v_sub_u32_e32 v3, 0, v3
	v_mov_b32_e32 v23, 0
	v_rcp_iflag_f32_e32 v1, v1
	v_and_b32_e32 v22, 60, v19
	s_ashr_i32 s21, s20, 31
	s_lshl_b64 s[4:5], s[20:21], 2
	v_mul_f32_e32 v1, 0x4f7ffffe, v1
	v_cvt_u32_f32_e32 v1, v1
	v_or_b32_e32 v28, 0x1e00, v36
	s_getpc_b64 s[8:9]
	s_add_u32 s8, s8, llvm.amdgcn.dynlds.offset.table@rel32@lo+4
	s_addc_u32 s9, s9, llvm.amdgcn.dynlds.offset.table@rel32@hi+12
	s_add_u32 s8, s4, s8
	v_mul_lo_u32 v3, v3, v1
	v_mul_hi_u32 v3, v1, v3
	v_add_u32_e32 v10, v1, v3
	scratch_store_dwordx2 off, v[10:11], s32 offset:276 ; 8-byte Folded Spill
	v_lshlrev_b32_e32 v1, 5, v27
	v_lshl_add_u64 v[10:11], v[38:39], 2, v[22:23]
	v_accvgpr_read_b32 v3, a9
	s_addc_u32 s9, s5, s9
	v_lshl_add_u64 v[10:11], v[32:33], 0, v[10:11]
	s_mov_b64 s[10:11], 0
	s_mov_b32 s21, 0x7f800000
	s_movk_i32 s24, 0x7fff
	v_mov_b32_e32 v21, v23
	scratch_store_dword off, v27, s32 offset:532 ; 4-byte Folded Spill
	s_waitcnt vmcnt(3)
	v_add_u32_e32 v0, -1, v0
	scratch_store_dword off, v0, s32 offset:500 ; 4-byte Folded Spill
	v_and_b32_e32 v0, 0x1f8, v36
	v_or_b32_e32 v2, 0x800, v0
	v_or_b32_e32 v4, 0xa00, v0
	;; [unrolled: 1-line block ×11, first 2 shown]
	v_lshlrev_b32_e32 v22, 1, v0
	v_lshlrev_b32_e32 v0, 1, v2
	scratch_store_dwordx2 off, v[0:1], s32 offset:284 ; 8-byte Folded Spill
	v_lshlrev_b32_e32 v0, 1, v4
	scratch_store_dwordx2 off, v[0:1], s32 offset:292 ; 8-byte Folded Spill
	v_lshlrev_b32_e32 v0, 1, v6
	scratch_store_dwordx2 off, v[0:1], s32 offset:300 ; 8-byte Folded Spill
	v_lshlrev_b32_e32 v0, 1, v8
	scratch_store_dwordx2 off, v[0:1], s32 offset:308 ; 8-byte Folded Spill
	v_lshlrev_b32_e32 v0, 1, v12
	scratch_store_dwordx2 off, v[0:1], s32 offset:316 ; 8-byte Folded Spill
	v_lshlrev_b32_e32 v0, 1, v14
	scratch_store_dwordx2 off, v[0:1], s32 offset:324 ; 8-byte Folded Spill
	v_lshlrev_b32_e32 v0, 1, v16
	scratch_store_dwordx2 off, v[0:1], s32 offset:332 ; 8-byte Folded Spill
	v_lshlrev_b32_e32 v0, 1, v18
	scratch_store_dwordx2 off, v[0:1], s32 offset:340 ; 8-byte Folded Spill
	v_lshlrev_b32_e32 v0, 1, v20
	scratch_store_dwordx2 off, v[0:1], s32 offset:348 ; 8-byte Folded Spill
	v_lshlrev_b32_e32 v0, 1, v24
	scratch_store_dwordx2 off, v[0:1], s32 offset:356 ; 8-byte Folded Spill
	v_lshlrev_b32_e32 v0, 1, v26
	scratch_store_dwordx2 off, v[0:1], s32 offset:364 ; 8-byte Folded Spill
	v_lshlrev_b32_e32 v0, 1, v28
	v_lshl_or_b32 v36, v3, 7, v1
	scratch_store_dwordx2 off, v[0:1], s32 offset:372 ; 8-byte Folded Spill
	v_mov_b32_e32 v1, v23
	v_mov_b32_e32 v0, v23
	;; [unrolled: 1-line block ×3, first 2 shown]
	v_accvgpr_read_b32 v2, a11
	scratch_store_dwordx2 off, v[0:1], s32 offset:264 ; 8-byte Folded Spill
	scratch_store_dwordx2 off, v[0:1], s32 offset:216 ; 8-byte Folded Spill
	;; [unrolled: 1-line block ×7, first 2 shown]
	s_branch .LBB152_47
.LBB152_45:                             ;   in Loop: Header=BB152_47 Depth=1
	s_or_b64 exec, exec, s[4:5]
	v_and_b32_e32 v13, 0xffff0000, v13
	v_and_b32_e32 v12, 0xffff0000, v12
	v_add_f32_e32 v12, v12, v13
	v_and_b32_e32 v13, 0xffff0000, v15
	v_and_b32_e32 v14, 0xffff0000, v14
	;; [unrolled: 1-line block ×4, first 2 shown]
	scratch_load_dwordx2 v[38:39], off, s32 offset:264 ; 8-byte Folded Reload
	v_add_f32_e32 v13, v14, v13
	v_add_f32_e32 v12, v12, v13
	v_and_b32_e32 v13, 0xffff0000, v21
	v_and_b32_e32 v14, 0xffff0000, v20
	scratch_load_dwordx2 v[20:21], off, s32 offset:380 ; 8-byte Folded Reload
	v_and_b32_e32 v19, 0xffff0000, v63
	v_add_f32_e32 v18, v19, v18
	v_and_b32_e32 v19, 0xffff0000, v46
	v_add_f32_e32 v19, v29, v19
	v_add_f32_e32 v18, v18, v19
	v_and_b32_e32 v19, 0xffff0000, v56
	v_and_b32_e32 v29, 0xffff0000, v47
	v_add_f32_e32 v19, v29, v19
	v_add_f32_e32 v18, v18, v19
	v_and_b32_e32 v19, 0xffff0000, v57
	v_and_b32_e32 v29, 0xffff0000, v58
	v_add_f32_e32 v13, v14, v13
	v_add_f32_e32 v19, v19, v29
	;; [unrolled: 1-line block ×3, first 2 shown]
	v_and_b32_e32 v13, 0xffff0000, v24
	v_and_b32_e32 v14, 0xffff0000, v25
	v_add_f32_e32 v18, v18, v19
	v_add_f32_e32 v13, v13, v14
	v_and_b32_e32 v16, 0xffff0000, v16
	v_add_f32_e32 v12, v12, v13
	v_and_b32_e32 v17, 0xffff0000, v17
	v_accvgpr_read_b32 v13, a10
	v_and_b32_e32 v13, 0xffff0000, v13
	v_and_b32_e32 v14, 0xffff0000, v59
	;; [unrolled: 1-line block ×9, first 2 shown]
	s_waitcnt vmcnt(1)
	v_add_f32_e32 v38, v38, v18
	v_and_b32_e32 v18, 0xffff0000, v62
	v_add_f32_e32 v16, v18, v16
	v_and_b32_e32 v18, 0xffff0000, v43
	v_add_f32_e32 v17, v18, v17
	s_waitcnt vmcnt(0)
	v_add_f32_e32 v21, v21, v12
	v_accvgpr_read_b32 v12, a7
	v_and_b32_e32 v12, 0xffff0000, v12
	v_add_f32_e32 v16, v16, v17
	v_and_b32_e32 v17, 0xffff0000, v45
	v_and_b32_e32 v18, 0xffff0000, v44
	v_add_f32_e32 v12, v13, v12
	v_and_b32_e32 v13, 0xffff0000, v60
	v_add_f32_e32 v17, v18, v17
	v_and_b32_e32 v18, 0xffff0000, v28
	scratch_load_dwordx2 v[28:29], off, s32 offset:216 ; 8-byte Folded Reload
	v_add_f32_e32 v13, v14, v13
	scratch_load_dwordx2 v[14:15], off, s32 offset:232 ; 8-byte Folded Reload
	v_add_f32_e32 v12, v12, v13
	v_and_b32_e32 v13, 0xffff0000, v61
	v_add_f32_e32 v9, v13, v9
	v_add_f32_e32 v9, v12, v9
	v_and_b32_e32 v12, 0xffff0000, v42
	v_add_f32_e32 v8, v8, v12
	v_add_f32_e32 v8, v9, v8
	;; [unrolled: 1-line block ×3, first 2 shown]
	v_accvgpr_read_b32 v8, a26
	v_accvgpr_read_b32 v9, a2
	v_and_b32_e32 v8, 0xffff0000, v8
	v_and_b32_e32 v9, 0xffff0000, v9
	v_add_f32_e32 v8, v9, v8
	v_accvgpr_read_b32 v9, a36
	v_accvgpr_read_b32 v12, a27
	v_and_b32_e32 v9, 0xffff0000, v9
	v_and_b32_e32 v12, 0xffff0000, v12
	v_add_f32_e32 v9, v12, v9
	v_add_f32_e32 v8, v8, v9
	v_accvgpr_read_b32 v9, a29
	v_accvgpr_read_b32 v12, a28
	v_and_b32_e32 v9, 0xffff0000, v9
	v_and_b32_e32 v12, 0xffff0000, v12
	v_add_f32_e32 v9, v12, v9
	;; [unrolled: 6-line block ×3, first 2 shown]
	v_add_f32_e32 v8, v8, v9
	v_accvgpr_read_b32 v9, a51
	v_and_b32_e32 v9, 0xffff0000, v9
	v_accvgpr_read_b32 v12, a55
	v_and_b32_e32 v12, 0xffff0000, v12
	v_add_f32_e32 v16, v16, v17
	v_and_b32_e32 v17, 0xffff0000, v37
	v_add_f32_e32 v17, v17, v18
	v_add_f32_e32 v16, v16, v17
	v_and_b32_e32 v17, 0xffff0000, v26
	v_and_b32_e32 v18, 0xffff0000, v30
	v_accvgpr_read_b32 v13, a62
	v_and_b32_e32 v13, 0xffff0000, v13
	s_waitcnt vmcnt(1)
	v_add_f32_e32 v29, v29, v16
	v_and_b32_e32 v16, 0xffff0000, v27
	s_waitcnt vmcnt(0)
	v_add_f32_e32 v15, v15, v8
	v_accvgpr_read_b32 v8, a53
	v_and_b32_e32 v8, 0xffff0000, v8
	v_add_f32_e32 v8, v9, v8
	v_accvgpr_read_b32 v9, a57
	v_and_b32_e32 v9, 0xffff0000, v9
	v_add_f32_e32 v9, v12, v9
	v_add_f32_e32 v8, v8, v9
	v_accvgpr_read_b32 v9, a61
	v_accvgpr_read_b32 v12, a59
	v_and_b32_e32 v9, 0xffff0000, v9
	v_and_b32_e32 v12, 0xffff0000, v12
	v_add_f32_e32 v9, v12, v9
	v_add_f32_e32 v8, v8, v9
	v_accvgpr_read_b32 v9, a0
	v_accvgpr_read_b32 v12, a1
	v_and_b32_e32 v9, 0xffff0000, v9
	v_and_b32_e32 v12, 0xffff0000, v12
	v_add_f32_e32 v9, v9, v12
	v_add_f32_e32 v8, v8, v9
	v_add_f32_e32 v14, v14, v8
	scratch_store_dwordx2 off, v[14:15], s32 offset:232 ; 8-byte Folded Spill
	scratch_load_dwordx2 v[14:15], off, s32 offset:248 ; 8-byte Folded Reload
	v_accvgpr_read_b32 v8, a41
	v_accvgpr_read_b32 v9, a39
	v_and_b32_e32 v8, 0xffff0000, v8
	v_and_b32_e32 v9, 0xffff0000, v9
	v_add_f32_e32 v8, v9, v8
	v_accvgpr_read_b32 v9, a17
	v_accvgpr_read_b32 v12, a16
	v_and_b32_e32 v9, 0xffff0000, v9
	v_and_b32_e32 v12, 0xffff0000, v12
	v_add_f32_e32 v9, v12, v9
	v_add_f32_e32 v8, v8, v9
	v_accvgpr_read_b32 v9, a45
	v_accvgpr_read_b32 v12, a43
	v_and_b32_e32 v9, 0xffff0000, v9
	v_and_b32_e32 v12, 0xffff0000, v12
	v_add_f32_e32 v16, v17, v16
	v_and_b32_e32 v17, 0xffff0000, v31
	v_add_f32_e32 v9, v12, v9
	v_add_f32_e32 v17, v18, v17
	;; [unrolled: 1-line block ×3, first 2 shown]
	v_accvgpr_read_b32 v9, a47
	v_accvgpr_read_b32 v12, a49
	v_add_f32_e32 v16, v16, v17
	v_and_b32_e32 v17, 0xffff0000, v33
	v_and_b32_e32 v18, 0xffff0000, v32
	;; [unrolled: 1-line block ×4, first 2 shown]
	v_add_f32_e32 v17, v18, v17
	v_add_f32_e32 v9, v9, v12
	;; [unrolled: 1-line block ×3, first 2 shown]
	v_and_b32_e32 v17, 0xffff0000, v34
	v_and_b32_e32 v18, 0xffff0000, v35
	v_add_f32_e32 v8, v8, v9
	v_add_f32_e32 v17, v17, v18
	scratch_load_dwordx2 v[18:19], off, s32 offset:224 ; 8-byte Folded Reload
	v_accvgpr_read_b32 v9, a24
	v_and_b32_e32 v9, 0xffff0000, v9
	v_accvgpr_read_b32 v12, a30
	v_and_b32_e32 v12, 0xffff0000, v12
	v_add_f32_e32 v16, v16, v17
	v_add_f32_e32 v28, v28, v16
	v_accvgpr_read_b32 v16, a44
	v_accvgpr_read_b32 v17, a46
	v_and_b32_e32 v16, 0xffff0000, v16
	v_and_b32_e32 v17, 0xffff0000, v17
	scratch_store_dwordx2 off, v[28:29], s32 offset:216 ; 8-byte Folded Spill
	s_waitcnt vmcnt(2)
	v_add_f32_e32 v15, v15, v8
	v_accvgpr_read_b32 v8, a25
	v_and_b32_e32 v8, 0xffff0000, v8
	v_add_f32_e32 v8, v9, v8
	v_accvgpr_read_b32 v9, a31
	v_and_b32_e32 v9, 0xffff0000, v9
	v_add_f32_e32 v9, v12, v9
	v_add_f32_e32 v8, v8, v9
	v_accvgpr_read_b32 v9, a21
	v_accvgpr_read_b32 v12, a20
	v_and_b32_e32 v9, 0xffff0000, v9
	v_and_b32_e32 v12, 0xffff0000, v12
	v_add_f32_e32 v9, v12, v9
	v_add_f32_e32 v8, v8, v9
	v_accvgpr_read_b32 v9, a11
	v_accvgpr_read_b32 v12, a37
	v_and_b32_e32 v9, 0xffff0000, v9
	v_and_b32_e32 v12, 0xffff0000, v12
	v_add_f32_e32 v9, v9, v12
	v_add_f32_e32 v8, v8, v9
	;; [unrolled: 1-line block ×3, first 2 shown]
	scratch_store_dwordx2 off, v[14:15], s32 offset:248 ; 8-byte Folded Spill
	scratch_load_dwordx2 v[14:15], off, s32 offset:256 ; 8-byte Folded Reload
	v_accvgpr_read_b32 v8, a19
	v_accvgpr_read_b32 v9, a18
	v_and_b32_e32 v8, 0xffff0000, v8
	v_and_b32_e32 v9, 0xffff0000, v9
	v_add_f32_e32 v8, v9, v8
	v_accvgpr_read_b32 v9, a33
	v_accvgpr_read_b32 v12, a32
	v_and_b32_e32 v9, 0xffff0000, v9
	v_and_b32_e32 v12, 0xffff0000, v12
	v_add_f32_e32 v9, v12, v9
	v_add_f32_e32 v8, v8, v9
	v_accvgpr_read_b32 v9, a23
	v_accvgpr_read_b32 v12, a22
	v_and_b32_e32 v9, 0xffff0000, v9
	v_and_b32_e32 v12, 0xffff0000, v12
	v_add_f32_e32 v9, v12, v9
	;; [unrolled: 6-line block ×3, first 2 shown]
	v_add_f32_e32 v8, v8, v9
	v_accvgpr_read_b32 v9, a48
	v_and_b32_e32 v9, 0xffff0000, v9
	v_accvgpr_read_b32 v12, a52
	v_and_b32_e32 v12, 0xffff0000, v12
	s_waitcnt vmcnt(0)
	v_add_f32_e32 v15, v15, v8
	v_accvgpr_read_b32 v8, a50
	v_and_b32_e32 v8, 0xffff0000, v8
	v_add_f32_e32 v8, v9, v8
	v_accvgpr_read_b32 v9, a54
	v_and_b32_e32 v9, 0xffff0000, v9
	v_add_f32_e32 v9, v12, v9
	v_add_f32_e32 v8, v8, v9
	v_accvgpr_read_b32 v9, a58
	v_accvgpr_read_b32 v12, a56
	v_and_b32_e32 v9, 0xffff0000, v9
	v_and_b32_e32 v12, 0xffff0000, v12
	v_add_f32_e32 v9, v12, v9
	v_accvgpr_read_b32 v12, a60
	v_and_b32_e32 v12, 0xffff0000, v12
	v_add_f32_e32 v8, v8, v9
	v_add_f32_e32 v9, v12, v13
	;; [unrolled: 1-line block ×4, first 2 shown]
	scratch_store_dwordx2 off, v[14:15], s32 offset:256 ; 8-byte Folded Spill
	scratch_load_dword v14, off, s32 offset:488 ; 4-byte Folded Reload
	v_accvgpr_read_b32 v12, a38
	scratch_load_dword v15, off, s32 offset:484 ; 4-byte Folded Reload
	v_accvgpr_read_b32 v13, a8
	v_accvgpr_read_b32 v8, a42
	;; [unrolled: 1-line block ×3, first 2 shown]
	v_and_b32_e32 v12, 0xffff0000, v12
	v_and_b32_e32 v13, 0xffff0000, v13
	;; [unrolled: 1-line block ×4, first 2 shown]
	v_add_f32_e32 v12, v13, v12
	v_add_f32_e32 v8, v9, v8
	;; [unrolled: 1-line block ×3, first 2 shown]
	scratch_load_dword v13, off, s32 offset:460 ; 4-byte Folded Reload
	scratch_load_dword v16, off, s32 offset:476 ; 4-byte Folded Reload
	;; [unrolled: 1-line block ×3, first 2 shown]
	s_waitcnt vmcnt(4)
	v_and_b32_e32 v14, 0xffff0000, v14
	s_waitcnt vmcnt(3)
	v_and_b32_e32 v15, 0xffff0000, v15
	v_add_f32_e32 v14, v15, v14
	v_add_f32_e32 v12, v14, v12
	;; [unrolled: 1-line block ×5, first 2 shown]
	scratch_load_dword v8, off, s32 offset:472 ; 4-byte Folded Reload
	scratch_load_dword v9, off, s32 offset:468 ; 4-byte Folded Reload
	scratch_load_dword v12, off, s32 offset:464 ; 4-byte Folded Reload
	scratch_load_dword v14, off, s32 offset:456 ; 4-byte Folded Reload
	scratch_load_dword v15, off, s32 offset:452 ; 4-byte Folded Reload
	s_waitcnt vmcnt(7)
	v_and_b32_e32 v13, 0xffff0000, v13
	s_waitcnt vmcnt(6)
	v_and_b32_e32 v16, 0xffff0000, v16
	;; [unrolled: 2-line block ×8, first 2 shown]
	v_add_f32_e32 v14, v15, v14
	v_add_f32_e32 v12, v13, v12
	;; [unrolled: 1-line block ×8, first 2 shown]
	scratch_load_dword v8, off, s32 offset:440 ; 4-byte Folded Reload
	scratch_load_dword v16, off, s32 offset:444 ; 4-byte Folded Reload
	;; [unrolled: 1-line block ×8, first 2 shown]
	s_waitcnt vmcnt(7)
	v_and_b32_e32 v8, 0xffff0000, v8
	scratch_store_dwordx2 off, v[18:19], s32 offset:224 ; 8-byte Folded Spill
	scratch_load_dwordx2 v[18:19], off, s32 offset:240 ; 8-byte Folded Reload
	s_waitcnt vmcnt(6)
	v_and_b32_e32 v9, 0xffff0000, v9
	s_waitcnt vmcnt(5)
	v_and_b32_e32 v12, 0xffff0000, v12
	;; [unrolled: 2-line block ×5, first 2 shown]
	v_add_f32_e32 v14, v15, v14
	scratch_load_dword v15, off, s32 offset:388 ; 4-byte Folded Reload
	v_add_f32_e32 v12, v13, v12
	v_and_b32_e32 v16, 0xffff0000, v16
	v_and_b32_e32 v17, 0xffff0000, v17
	v_add_f32_e32 v12, v14, v12
	v_add_f32_e32 v8, v9, v8
	;; [unrolled: 1-line block ×5, first 2 shown]
	scratch_load_dword v9, off, s32 offset:404 ; 4-byte Folded Reload
	scratch_load_dword v16, off, s32 offset:412 ; 4-byte Folded Reload
	;; [unrolled: 1-line block ×6, first 2 shown]
	s_waitcnt vmcnt(7)
	v_add_f32_e32 v19, v19, v8
	scratch_load_dword v8, off, s32 offset:408 ; 4-byte Folded Reload
	s_waitcnt vmcnt(7)
	v_and_b32_e32 v15, 0xffff0000, v15
	s_waitcnt vmcnt(6)
	v_and_b32_e32 v9, 0xffff0000, v9
	;; [unrolled: 2-line block ×6, first 2 shown]
	v_add_f32_e32 v14, v15, v14
	v_add_f32_e32 v12, v13, v12
	s_waitcnt vmcnt(1)
	v_and_b32_e32 v17, 0xffff0000, v17
	v_add_f32_e32 v12, v14, v12
	s_waitcnt vmcnt(0)
	v_and_b32_e32 v8, 0xffff0000, v8
	v_add_f32_e32 v8, v9, v8
	v_add_f32_e32 v8, v12, v8
	;; [unrolled: 1-line block ×5, first 2 shown]
	v_and_b32_e32 v9, 0xffff0000, v3
	v_and_b32_e32 v8, 0xffff0000, v1
	v_and_b32_e32 v1, 0xffff0000, v2
	v_pk_add_f32 v[0:1], v[0:1], v[8:9]
	v_pk_add_f32 v[2:3], v[4:5], v[6:7]
	v_add_f32_e32 v0, v0, v1
	v_add_f32_e32 v0, v0, v2
	v_add_f32_e32 v0, v0, v3
	v_add_f32_e32 v39, v39, v0
	scratch_store_dwordx2 off, v[18:19], s32 offset:240 ; 8-byte Folded Spill
	scratch_store_dwordx2 off, v[38:39], s32 offset:264 ; 8-byte Folded Spill
.LBB152_46:                             ;   in Loop: Header=BB152_47 Depth=1
	s_or_b64 exec, exec, s[12:13]
	scratch_load_dword v0, off, s32 offset:192 ; 4-byte Folded Reload
	v_accvgpr_read_b32 v1, a9
	v_add_u32_e32 v1, 2, v1
	v_accvgpr_read_b32 v2, a3
	v_add_u32_e32 v2, 64, v2
	v_add_u32_e32 v36, 0x100, v36
	v_accvgpr_write_b32 a9, v1
	v_lshl_add_u64 v[10:11], v[10:11], 0, 8
	s_waitcnt vmcnt(0)
	v_cmp_ge_i32_e32 vcc, v1, v0
	s_or_b64 s[10:11], vcc, s[10:11]
	s_andn2_b64 exec, exec, s[10:11]
	s_cbranch_execz .LBB152_624
.LBB152_47:                             ; =>This Inner Loop Header: Depth=1
	scratch_load_dword v0, off, s32 offset:200 ; 4-byte Folded Reload
	v_accvgpr_write_b32 a3, v2
	scratch_load_dwordx2 v[4:5], off, s32 offset:276 ; 8-byte Folded Reload
	s_waitcnt vmcnt(1)
	v_mul_hi_u32 v0, v2, v0
	v_mul_lo_u32 v1, v0, v49
	v_sub_u32_e32 v1, v2, v1
	v_add_u32_e32 v2, 1, v0
	v_cmp_ge_u32_e32 vcc, v1, v49
	s_nop 1
	v_cndmask_b32_e32 v0, v0, v2, vcc
	v_sub_u32_e32 v2, v1, v49
	v_cndmask_b32_e32 v1, v1, v2, vcc
	v_cmp_ge_u32_e32 vcc, v1, v49
	scratch_load_dword v1, off, s32 offset:196 ; 4-byte Folded Reload
	v_add_u32_e32 v2, 1, v0
	v_cndmask_b32_e32 v0, v0, v2, vcc
	v_accvgpr_read_b32 v2, a6
	s_waitcnt vmcnt(0)
	v_xor_b32_e32 v0, v0, v1
	v_sub_u32_e32 v0, v0, v1
	v_add_u32_e32 v1, v0, v2
	v_sub_u32_e32 v3, 0, v1
	v_ashrrev_i32_e32 v2, 31, v1
	v_max_i32_e32 v1, v1, v3
	v_mul_hi_u32 v3, v1, v4
	scratch_load_dword v4, off, s32 offset:272 ; 4-byte Folded Reload
	s_waitcnt vmcnt(0)
	v_mul_lo_u32 v3, v3, v4
	v_sub_u32_e32 v1, v1, v3
	v_sub_u32_e32 v3, v1, v4
	v_cmp_ge_u32_e32 vcc, v1, v4
	s_nop 1
	v_cndmask_b32_e32 v1, v1, v3, vcc
	v_sub_u32_e32 v3, v1, v4
	v_cmp_ge_u32_e32 vcc, v1, v4
	s_nop 1
	v_cndmask_b32_e32 v1, v1, v3, vcc
	v_xor_b32_e32 v1, v1, v2
	v_sub_u32_e32 v1, v1, v2
	v_cmp_eq_u32_e32 vcc, 0, v1
	scratch_load_dword v1, off, s32 offset:204 ; 4-byte Folded Reload
	s_waitcnt vmcnt(0)
	v_cmp_gt_i32_e64 s[4:5], v0, v1
	s_or_b64 s[4:5], vcc, s[4:5]
	s_and_saveexec_b64 s[12:13], s[4:5]
	s_cbranch_execz .LBB152_46
; %bb.48:                               ;   in Loop: Header=BB152_47 Depth=1
	flat_load_dword v0, v[10:11]
	s_load_dword s4, s[8:9], 0x0
	scratch_store_dwordx2 off, v[20:21], s32 offset:380 ; 8-byte Folded Spill
                                        ; implicit-def: $vgpr21
	s_waitcnt lgkmcnt(0)
	v_add_u32_e32 v1, s4, v36
	ds_read2_b64 v[6:9], v1 offset1:1
	ds_read2_b64 v[2:5], v1 offset0:2 offset1:3
	s_waitcnt lgkmcnt(0)
	v_and_b32_e32 v1, 0x7f800000, v6
	v_cmp_ne_u32_e32 vcc, s21, v1
	s_and_saveexec_b64 s[4:5], vcc
	s_xor_b64 s[4:5], exec, s[4:5]
; %bb.49:                               ;   in Loop: Header=BB152_47 Depth=1
	v_bfe_u32 v1, v6, 16, 1
	v_add3_u32 v21, v6, v1, s24
; %bb.50:                               ;   in Loop: Header=BB152_47 Depth=1
	s_andn2_saveexec_b64 s[4:5], s[4:5]
; %bb.51:                               ;   in Loop: Header=BB152_47 Depth=1
	v_or_b32_e32 v1, 0x10000, v6
	v_cmp_eq_u32_sdwa vcc, v6, v23 src0_sel:WORD_0 src1_sel:DWORD
	s_nop 1
	v_cndmask_b32_e32 v21, v1, v6, vcc
; %bb.52:                               ;   in Loop: Header=BB152_47 Depth=1
	s_or_b64 exec, exec, s[4:5]
	v_and_b32_e32 v1, 0x7f800000, v7
	v_cmp_ne_u32_e32 vcc, s21, v1
                                        ; implicit-def: $vgpr20
	s_and_saveexec_b64 s[4:5], vcc
	s_xor_b64 s[4:5], exec, s[4:5]
; %bb.53:                               ;   in Loop: Header=BB152_47 Depth=1
	v_bfe_u32 v1, v7, 16, 1
	v_add3_u32 v20, v7, v1, s24
; %bb.54:                               ;   in Loop: Header=BB152_47 Depth=1
	s_andn2_saveexec_b64 s[4:5], s[4:5]
; %bb.55:                               ;   in Loop: Header=BB152_47 Depth=1
	v_or_b32_e32 v1, 0x10000, v7
	v_cmp_eq_u32_sdwa vcc, v7, v23 src0_sel:WORD_0 src1_sel:DWORD
	s_nop 1
	v_cndmask_b32_e32 v20, v1, v7, vcc
; %bb.56:                               ;   in Loop: Header=BB152_47 Depth=1
	s_or_b64 exec, exec, s[4:5]
	v_and_b32_e32 v1, 0x7f800000, v8
	v_cmp_ne_u32_e32 vcc, s21, v1
                                        ; implicit-def: $vgpr17
	s_and_saveexec_b64 s[4:5], vcc
	s_xor_b64 s[4:5], exec, s[4:5]
; %bb.57:                               ;   in Loop: Header=BB152_47 Depth=1
	v_bfe_u32 v1, v8, 16, 1
	v_add3_u32 v17, v8, v1, s24
; %bb.58:                               ;   in Loop: Header=BB152_47 Depth=1
	s_andn2_saveexec_b64 s[4:5], s[4:5]
; %bb.59:                               ;   in Loop: Header=BB152_47 Depth=1
	v_or_b32_e32 v1, 0x10000, v8
	v_cmp_eq_u32_sdwa vcc, v8, v23 src0_sel:WORD_0 src1_sel:DWORD
	s_nop 1
	v_cndmask_b32_e32 v17, v1, v8, vcc
; %bb.60:                               ;   in Loop: Header=BB152_47 Depth=1
	s_or_b64 exec, exec, s[4:5]
	v_and_b32_e32 v1, 0x7f800000, v9
	v_cmp_ne_u32_e32 vcc, s21, v1
                                        ; implicit-def: $vgpr16
	s_and_saveexec_b64 s[4:5], vcc
	s_xor_b64 s[4:5], exec, s[4:5]
; %bb.61:                               ;   in Loop: Header=BB152_47 Depth=1
	v_bfe_u32 v1, v9, 16, 1
	v_add3_u32 v16, v9, v1, s24
                                        ; implicit-def: $vgpr6_vgpr7_vgpr8_vgpr9
; %bb.62:                               ;   in Loop: Header=BB152_47 Depth=1
	s_andn2_saveexec_b64 s[4:5], s[4:5]
; %bb.63:                               ;   in Loop: Header=BB152_47 Depth=1
	v_or_b32_e32 v1, 0x10000, v9
	v_cmp_eq_u32_sdwa vcc, v9, v23 src0_sel:WORD_0 src1_sel:DWORD
	s_nop 1
	v_cndmask_b32_e32 v16, v1, v9, vcc
; %bb.64:                               ;   in Loop: Header=BB152_47 Depth=1
	s_or_b64 exec, exec, s[4:5]
	v_and_b32_e32 v1, 0x7f800000, v2
	v_cmp_ne_u32_e32 vcc, s21, v1
                                        ; implicit-def: $vgpr15
	s_and_saveexec_b64 s[4:5], vcc
	s_xor_b64 s[4:5], exec, s[4:5]
; %bb.65:                               ;   in Loop: Header=BB152_47 Depth=1
	v_bfe_u32 v1, v2, 16, 1
	v_add3_u32 v15, v2, v1, s24
; %bb.66:                               ;   in Loop: Header=BB152_47 Depth=1
	s_andn2_saveexec_b64 s[4:5], s[4:5]
; %bb.67:                               ;   in Loop: Header=BB152_47 Depth=1
	v_or_b32_e32 v1, 0x10000, v2
	v_cmp_eq_u32_sdwa vcc, v2, v23 src0_sel:WORD_0 src1_sel:DWORD
	s_nop 1
	v_cndmask_b32_e32 v15, v1, v2, vcc
; %bb.68:                               ;   in Loop: Header=BB152_47 Depth=1
	s_or_b64 exec, exec, s[4:5]
	v_and_b32_e32 v1, 0x7f800000, v3
	v_cmp_ne_u32_e32 vcc, s21, v1
                                        ; implicit-def: $vgpr14
	s_and_saveexec_b64 s[4:5], vcc
	s_xor_b64 s[4:5], exec, s[4:5]
; %bb.69:                               ;   in Loop: Header=BB152_47 Depth=1
	v_bfe_u32 v1, v3, 16, 1
	v_add3_u32 v14, v3, v1, s24
; %bb.70:                               ;   in Loop: Header=BB152_47 Depth=1
	s_andn2_saveexec_b64 s[4:5], s[4:5]
; %bb.71:                               ;   in Loop: Header=BB152_47 Depth=1
	v_or_b32_e32 v1, 0x10000, v3
	v_cmp_eq_u32_sdwa vcc, v3, v23 src0_sel:WORD_0 src1_sel:DWORD
	s_nop 1
	v_cndmask_b32_e32 v14, v1, v3, vcc
; %bb.72:                               ;   in Loop: Header=BB152_47 Depth=1
	s_or_b64 exec, exec, s[4:5]
	v_and_b32_e32 v1, 0x7f800000, v4
	v_cmp_ne_u32_e32 vcc, s21, v1
                                        ; implicit-def: $vgpr13
	s_and_saveexec_b64 s[4:5], vcc
	s_xor_b64 s[4:5], exec, s[4:5]
; %bb.73:                               ;   in Loop: Header=BB152_47 Depth=1
	v_bfe_u32 v1, v4, 16, 1
	v_add3_u32 v13, v4, v1, s24
; %bb.74:                               ;   in Loop: Header=BB152_47 Depth=1
	s_andn2_saveexec_b64 s[4:5], s[4:5]
; %bb.75:                               ;   in Loop: Header=BB152_47 Depth=1
	v_or_b32_e32 v1, 0x10000, v4
	v_cmp_eq_u32_sdwa vcc, v4, v23 src0_sel:WORD_0 src1_sel:DWORD
	s_nop 1
	v_cndmask_b32_e32 v13, v1, v4, vcc
; %bb.76:                               ;   in Loop: Header=BB152_47 Depth=1
	s_or_b64 exec, exec, s[4:5]
	v_and_b32_e32 v1, 0x7f800000, v5
	v_cmp_ne_u32_e32 vcc, s21, v1
                                        ; implicit-def: $vgpr12
	s_and_saveexec_b64 s[4:5], vcc
	s_xor_b64 s[4:5], exec, s[4:5]
; %bb.77:                               ;   in Loop: Header=BB152_47 Depth=1
	v_bfe_u32 v1, v5, 16, 1
	v_add3_u32 v12, v5, v1, s24
                                        ; implicit-def: $vgpr2_vgpr3_vgpr4_vgpr5
; %bb.78:                               ;   in Loop: Header=BB152_47 Depth=1
	s_andn2_saveexec_b64 s[4:5], s[4:5]
; %bb.79:                               ;   in Loop: Header=BB152_47 Depth=1
	v_or_b32_e32 v1, 0x10000, v5
	v_cmp_eq_u32_sdwa vcc, v5, v23 src0_sel:WORD_0 src1_sel:DWORD
	s_nop 1
	v_cndmask_b32_e32 v12, v1, v5, vcc
; %bb.80:                               ;   in Loop: Header=BB152_47 Depth=1
	s_or_b64 exec, exec, s[4:5]
	scratch_load_dwordx2 v[2:3], off, s32 offset:208 ; 8-byte Folded Reload
	s_waitcnt vmcnt(0)
	v_mad_i64_i32 v[0:1], s[4:5], v0, v2, 0
	scratch_load_dwordx2 v[2:3], off, s32 offset:504 ; 8-byte Folded Reload
	s_waitcnt vmcnt(0)
	v_lshl_add_u64 v[6:7], v[0:1], 1, v[2:3]
	scratch_load_dword v1, off, s32 offset:496 ; 4-byte Folded Reload
	v_lshl_add_u64 v[8:9], v[6:7], 0, v[22:23]
	v_accvgpr_read_b32 v0, a3
	flat_load_dwordx4 v[2:5], v[8:9]
	s_waitcnt vmcnt(0)
	v_add_u32_e32 v29, v1, v0
	scratch_load_dword v1, off, s32 offset:500 ; 4-byte Folded Reload
	v_add_u32_e32 v18, 3, v29
	v_accvgpr_write_b32 a13, v18
	v_add_u32_e32 v18, 4, v29
	v_accvgpr_write_b32 a15, v18
	v_add_u32_e32 v18, 5, v29
	v_accvgpr_read_b32 v0, a9
	v_accvgpr_write_b32 a14, v18
	v_add_u32_e32 v18, 6, v29
	v_add_u32_e32 v26, 7, v29
	v_accvgpr_write_b32 a63, v18
	s_waitcnt lgkmcnt(0)
	v_lshrrev_b32_e32 v25, 16, v2
	v_lshrrev_b32_e32 v19, 16, v3
	;; [unrolled: 1-line block ×4, first 2 shown]
	v_accvgpr_write_b32 a12, v26
	s_waitcnt vmcnt(0)
	v_cmp_eq_u32_e32 vcc, v1, v0
	v_add_u32_e32 v1, 1, v29
	v_add_u32_e32 v0, 2, v29
	s_and_saveexec_b64 s[22:23], vcc
	s_cbranch_execz .LBB152_82
; %bb.81:                               ;   in Loop: Header=BB152_47 Depth=1
	v_cmp_lt_i32_e64 s[4:5], v29, v48
	v_accvgpr_read_b32 v26, a13
	s_nop 0
	v_cndmask_b32_e64 v2, 0, v2, s[4:5]
	v_cmp_lt_i32_e64 s[4:5], v1, v48
	s_nop 1
	v_cndmask_b32_e64 v25, 0, v25, s[4:5]
	v_cmp_lt_i32_e64 s[4:5], v0, v48
	;; [unrolled: 3-line block ×3, first 2 shown]
	v_accvgpr_read_b32 v26, a15
	s_nop 0
	v_cndmask_b32_e64 v19, 0, v19, s[4:5]
	v_cmp_lt_i32_e64 s[4:5], v26, v48
	v_accvgpr_read_b32 v26, a14
	s_nop 0
	v_cndmask_b32_e64 v4, 0, v4, s[4:5]
	v_cmp_lt_i32_e64 s[4:5], v26, v48
	;; [unrolled: 4-line block ×4, first 2 shown]
	s_nop 1
	v_cndmask_b32_e64 v24, 0, v24, s[4:5]
.LBB152_82:                             ;   in Loop: Header=BB152_47 Depth=1
	s_or_b64 exec, exec, s[22:23]
	v_and_b32_e32 v50, 0xffff0000, v21
	v_lshlrev_b32_e32 v2, 16, v2
	v_mul_f32_e32 v2, v50, v2
	v_and_b32_e32 v21, 0x7f800000, v2
	v_cmp_ne_u32_e64 s[4:5], s21, v21
                                        ; implicit-def: $vgpr21
                                        ; kill: killed $vgpr21
	s_and_saveexec_b64 s[22:23], s[4:5]
	s_xor_b64 s[4:5], exec, s[22:23]
	s_cbranch_execz .LBB152_84
; %bb.83:                               ;   in Loop: Header=BB152_47 Depth=1
	v_bfe_u32 v21, v2, 16, 1
	v_add3_u32 v2, v2, v21, s24
	scratch_store_dword off, v2, s32 offset:388 ; 4-byte Folded Spill
                                        ; implicit-def: $vgpr2
.LBB152_84:                             ;   in Loop: Header=BB152_47 Depth=1
	s_andn2_saveexec_b64 s[22:23], s[4:5]
	s_cbranch_execz .LBB152_86
; %bb.85:                               ;   in Loop: Header=BB152_47 Depth=1
	v_or_b32_e32 v21, 0x10000, v2
	v_cmp_eq_u32_sdwa s[4:5], v2, v23 src0_sel:WORD_0 src1_sel:DWORD
	s_nop 1
	v_cndmask_b32_e64 v2, v21, v2, s[4:5]
	scratch_store_dword off, v2, s32 offset:388 ; 4-byte Folded Spill
.LBB152_86:                             ;   in Loop: Header=BB152_47 Depth=1
	s_or_b64 exec, exec, s[22:23]
	v_and_b32_e32 v51, 0xffff0000, v20
	v_lshlrev_b32_e32 v2, 16, v25
	v_mul_f32_e32 v2, v51, v2
	v_and_b32_e32 v20, 0x7f800000, v2
	v_cmp_ne_u32_e64 s[4:5], s21, v20
                                        ; implicit-def: $vgpr20
                                        ; kill: killed $vgpr20
	s_and_saveexec_b64 s[22:23], s[4:5]
	s_xor_b64 s[4:5], exec, s[22:23]
	s_cbranch_execz .LBB152_88
; %bb.87:                               ;   in Loop: Header=BB152_47 Depth=1
	v_bfe_u32 v20, v2, 16, 1
	v_add3_u32 v2, v2, v20, s24
	scratch_store_dword off, v2, s32 offset:392 ; 4-byte Folded Spill
                                        ; implicit-def: $vgpr2
.LBB152_88:                             ;   in Loop: Header=BB152_47 Depth=1
	s_andn2_saveexec_b64 s[22:23], s[4:5]
	s_cbranch_execz .LBB152_90
; %bb.89:                               ;   in Loop: Header=BB152_47 Depth=1
	v_or_b32_e32 v20, 0x10000, v2
	v_cmp_eq_u32_sdwa s[4:5], v2, v23 src0_sel:WORD_0 src1_sel:DWORD
	s_nop 1
	v_cndmask_b32_e64 v2, v20, v2, s[4:5]
	scratch_store_dword off, v2, s32 offset:392 ; 4-byte Folded Spill
.LBB152_90:                             ;   in Loop: Header=BB152_47 Depth=1
	s_or_b64 exec, exec, s[22:23]
	v_and_b32_e32 v52, 0xffff0000, v17
	v_lshlrev_b32_e32 v2, 16, v3
	v_mul_f32_e32 v2, v52, v2
	v_and_b32_e32 v3, 0x7f800000, v2
	v_cmp_ne_u32_e64 s[4:5], s21, v3
                                        ; implicit-def: $vgpr3
                                        ; kill: killed $vgpr3
	s_and_saveexec_b64 s[22:23], s[4:5]
	s_xor_b64 s[4:5], exec, s[22:23]
	s_cbranch_execz .LBB152_92
; %bb.91:                               ;   in Loop: Header=BB152_47 Depth=1
	v_bfe_u32 v3, v2, 16, 1
	v_add3_u32 v2, v2, v3, s24
	scratch_store_dword off, v2, s32 offset:396 ; 4-byte Folded Spill
                                        ; implicit-def: $vgpr2
.LBB152_92:                             ;   in Loop: Header=BB152_47 Depth=1
	s_andn2_saveexec_b64 s[22:23], s[4:5]
	s_cbranch_execz .LBB152_94
; %bb.93:                               ;   in Loop: Header=BB152_47 Depth=1
	v_or_b32_e32 v3, 0x10000, v2
	v_cmp_eq_u32_sdwa s[4:5], v2, v23 src0_sel:WORD_0 src1_sel:DWORD
	s_nop 1
	v_cndmask_b32_e64 v2, v3, v2, s[4:5]
	scratch_store_dword off, v2, s32 offset:396 ; 4-byte Folded Spill
.LBB152_94:                             ;   in Loop: Header=BB152_47 Depth=1
	s_or_b64 exec, exec, s[22:23]
	v_and_b32_e32 v53, 0xffff0000, v16
	v_lshlrev_b32_e32 v2, 16, v19
	v_mul_f32_e32 v2, v53, v2
	v_and_b32_e32 v3, 0x7f800000, v2
	v_cmp_ne_u32_e64 s[4:5], s21, v3
                                        ; implicit-def: $vgpr3
                                        ; kill: killed $vgpr3
	;; [unrolled: 26-line block ×3, first 2 shown]
	s_and_saveexec_b64 s[22:23], s[4:5]
	s_xor_b64 s[4:5], exec, s[22:23]
	s_cbranch_execz .LBB152_100
; %bb.99:                               ;   in Loop: Header=BB152_47 Depth=1
	v_bfe_u32 v3, v2, 16, 1
	v_add3_u32 v2, v2, v3, s24
	scratch_store_dword off, v2, s32 offset:404 ; 4-byte Folded Spill
                                        ; implicit-def: $vgpr2
.LBB152_100:                            ;   in Loop: Header=BB152_47 Depth=1
	s_andn2_saveexec_b64 s[22:23], s[4:5]
	s_cbranch_execz .LBB152_102
; %bb.101:                              ;   in Loop: Header=BB152_47 Depth=1
	v_or_b32_e32 v3, 0x10000, v2
	v_cmp_eq_u32_sdwa s[4:5], v2, v23 src0_sel:WORD_0 src1_sel:DWORD
	s_nop 1
	v_cndmask_b32_e64 v2, v3, v2, s[4:5]
	scratch_store_dword off, v2, s32 offset:404 ; 4-byte Folded Spill
.LBB152_102:                            ;   in Loop: Header=BB152_47 Depth=1
	s_or_b64 exec, exec, s[22:23]
	v_and_b32_e32 v55, 0xffff0000, v14
	v_lshlrev_b32_e32 v2, 16, v18
	v_mul_f32_e32 v2, v55, v2
	v_and_b32_e32 v3, 0x7f800000, v2
	v_cmp_ne_u32_e64 s[4:5], s21, v3
                                        ; implicit-def: $vgpr3
                                        ; kill: killed $vgpr3
	s_and_saveexec_b64 s[22:23], s[4:5]
	s_xor_b64 s[4:5], exec, s[22:23]
	s_cbranch_execz .LBB152_104
; %bb.103:                              ;   in Loop: Header=BB152_47 Depth=1
	v_bfe_u32 v3, v2, 16, 1
	v_add3_u32 v2, v2, v3, s24
	scratch_store_dword off, v2, s32 offset:408 ; 4-byte Folded Spill
                                        ; implicit-def: $vgpr2
.LBB152_104:                            ;   in Loop: Header=BB152_47 Depth=1
	s_andn2_saveexec_b64 s[22:23], s[4:5]
	s_cbranch_execz .LBB152_106
; %bb.105:                              ;   in Loop: Header=BB152_47 Depth=1
	v_or_b32_e32 v3, 0x10000, v2
	v_cmp_eq_u32_sdwa s[4:5], v2, v23 src0_sel:WORD_0 src1_sel:DWORD
	s_nop 1
	v_cndmask_b32_e64 v2, v3, v2, s[4:5]
	scratch_store_dword off, v2, s32 offset:408 ; 4-byte Folded Spill
.LBB152_106:                            ;   in Loop: Header=BB152_47 Depth=1
	s_or_b64 exec, exec, s[22:23]
	v_and_b32_e32 v40, 0xffff0000, v13
	v_lshlrev_b32_e32 v2, 16, v5
	v_mul_f32_e32 v2, v40, v2
	v_and_b32_e32 v3, 0x7f800000, v2
	v_cmp_ne_u32_e64 s[4:5], s21, v3
                                        ; implicit-def: $vgpr3
                                        ; kill: killed $vgpr3
	s_and_saveexec_b64 s[22:23], s[4:5]
	s_xor_b64 s[4:5], exec, s[22:23]
	s_cbranch_execz .LBB152_108
; %bb.107:                              ;   in Loop: Header=BB152_47 Depth=1
	v_bfe_u32 v3, v2, 16, 1
	v_add3_u32 v2, v2, v3, s24
	scratch_store_dword off, v2, s32 offset:412 ; 4-byte Folded Spill
                                        ; implicit-def: $vgpr2
.LBB152_108:                            ;   in Loop: Header=BB152_47 Depth=1
	;; [unrolled: 26-line block ×3, first 2 shown]
	s_andn2_saveexec_b64 s[22:23], s[4:5]
	s_cbranch_execz .LBB152_114
; %bb.113:                              ;   in Loop: Header=BB152_47 Depth=1
	v_or_b32_e32 v3, 0x10000, v2
	v_cmp_eq_u32_sdwa s[4:5], v2, v23 src0_sel:WORD_0 src1_sel:DWORD
	s_nop 1
	v_cndmask_b32_e64 v2, v3, v2, s[4:5]
	scratch_store_dword off, v2, s32 offset:416 ; 4-byte Folded Spill
.LBB152_114:                            ;   in Loop: Header=BB152_47 Depth=1
	s_or_b64 exec, exec, s[22:23]
	flat_load_dwordx4 v[2:5], v[8:9] offset:1024
	s_waitcnt vmcnt(0) lgkmcnt(0)
	v_lshrrev_b32_e32 v15, 16, v2
	v_lshrrev_b32_e32 v14, 16, v3
	;; [unrolled: 1-line block ×4, first 2 shown]
	s_and_saveexec_b64 s[22:23], vcc
	s_cbranch_execz .LBB152_116
; %bb.115:                              ;   in Loop: Header=BB152_47 Depth=1
	v_cmp_lt_i32_e64 s[4:5], v29, v48
	v_accvgpr_read_b32 v16, a13
	s_nop 0
	v_cndmask_b32_e64 v2, 0, v2, s[4:5]
	v_cmp_lt_i32_e64 s[4:5], v1, v48
	s_nop 1
	v_cndmask_b32_e64 v15, 0, v15, s[4:5]
	v_cmp_lt_i32_e64 s[4:5], v0, v48
	;; [unrolled: 3-line block ×3, first 2 shown]
	v_accvgpr_read_b32 v16, a15
	s_nop 0
	v_cndmask_b32_e64 v14, 0, v14, s[4:5]
	v_cmp_lt_i32_e64 s[4:5], v16, v48
	v_accvgpr_read_b32 v16, a14
	s_nop 0
	v_cndmask_b32_e64 v4, 0, v4, s[4:5]
	v_cmp_lt_i32_e64 s[4:5], v16, v48
	;; [unrolled: 4-line block ×4, first 2 shown]
	s_nop 1
	v_cndmask_b32_e64 v12, 0, v12, s[4:5]
.LBB152_116:                            ;   in Loop: Header=BB152_47 Depth=1
	s_or_b64 exec, exec, s[22:23]
	v_lshlrev_b32_e32 v2, 16, v2
	v_mul_f32_e32 v2, v50, v2
	v_and_b32_e32 v16, 0x7f800000, v2
	v_cmp_ne_u32_e64 s[4:5], s21, v16
                                        ; implicit-def: $vgpr16
                                        ; kill: killed $vgpr16
	s_and_saveexec_b64 s[22:23], s[4:5]
	s_xor_b64 s[4:5], exec, s[22:23]
	s_cbranch_execz .LBB152_118
; %bb.117:                              ;   in Loop: Header=BB152_47 Depth=1
	v_bfe_u32 v16, v2, 16, 1
	v_add3_u32 v2, v2, v16, s24
	scratch_store_dword off, v2, s32 offset:420 ; 4-byte Folded Spill
                                        ; implicit-def: $vgpr2
.LBB152_118:                            ;   in Loop: Header=BB152_47 Depth=1
	s_andn2_saveexec_b64 s[22:23], s[4:5]
	s_cbranch_execz .LBB152_120
; %bb.119:                              ;   in Loop: Header=BB152_47 Depth=1
	v_or_b32_e32 v16, 0x10000, v2
	v_cmp_eq_u32_sdwa s[4:5], v2, v23 src0_sel:WORD_0 src1_sel:DWORD
	s_nop 1
	v_cndmask_b32_e64 v2, v16, v2, s[4:5]
	scratch_store_dword off, v2, s32 offset:420 ; 4-byte Folded Spill
.LBB152_120:                            ;   in Loop: Header=BB152_47 Depth=1
	s_or_b64 exec, exec, s[22:23]
	v_lshlrev_b32_e32 v2, 16, v15
	v_mul_f32_e32 v2, v51, v2
	v_and_b32_e32 v15, 0x7f800000, v2
	v_cmp_ne_u32_e64 s[4:5], s21, v15
                                        ; implicit-def: $vgpr15
                                        ; kill: killed $vgpr15
	s_and_saveexec_b64 s[22:23], s[4:5]
	s_xor_b64 s[4:5], exec, s[22:23]
	s_cbranch_execz .LBB152_122
; %bb.121:                              ;   in Loop: Header=BB152_47 Depth=1
	v_bfe_u32 v15, v2, 16, 1
	v_add3_u32 v2, v2, v15, s24
	scratch_store_dword off, v2, s32 offset:424 ; 4-byte Folded Spill
                                        ; implicit-def: $vgpr2
.LBB152_122:                            ;   in Loop: Header=BB152_47 Depth=1
	s_andn2_saveexec_b64 s[22:23], s[4:5]
	s_cbranch_execz .LBB152_124
; %bb.123:                              ;   in Loop: Header=BB152_47 Depth=1
	v_or_b32_e32 v15, 0x10000, v2
	v_cmp_eq_u32_sdwa s[4:5], v2, v23 src0_sel:WORD_0 src1_sel:DWORD
	s_nop 1
	v_cndmask_b32_e64 v2, v15, v2, s[4:5]
	scratch_store_dword off, v2, s32 offset:424 ; 4-byte Folded Spill
.LBB152_124:                            ;   in Loop: Header=BB152_47 Depth=1
	s_or_b64 exec, exec, s[22:23]
	v_lshlrev_b32_e32 v2, 16, v3
	v_mul_f32_e32 v2, v52, v2
	v_and_b32_e32 v3, 0x7f800000, v2
	v_cmp_ne_u32_e64 s[4:5], s21, v3
                                        ; implicit-def: $vgpr3
                                        ; kill: killed $vgpr3
	s_and_saveexec_b64 s[22:23], s[4:5]
	s_xor_b64 s[4:5], exec, s[22:23]
	s_cbranch_execz .LBB152_126
; %bb.125:                              ;   in Loop: Header=BB152_47 Depth=1
	v_bfe_u32 v3, v2, 16, 1
	v_add3_u32 v2, v2, v3, s24
	scratch_store_dword off, v2, s32 offset:428 ; 4-byte Folded Spill
                                        ; implicit-def: $vgpr2
.LBB152_126:                            ;   in Loop: Header=BB152_47 Depth=1
	s_andn2_saveexec_b64 s[22:23], s[4:5]
	s_cbranch_execz .LBB152_128
; %bb.127:                              ;   in Loop: Header=BB152_47 Depth=1
	v_or_b32_e32 v3, 0x10000, v2
	v_cmp_eq_u32_sdwa s[4:5], v2, v23 src0_sel:WORD_0 src1_sel:DWORD
	s_nop 1
	v_cndmask_b32_e64 v2, v3, v2, s[4:5]
	scratch_store_dword off, v2, s32 offset:428 ; 4-byte Folded Spill
.LBB152_128:                            ;   in Loop: Header=BB152_47 Depth=1
	s_or_b64 exec, exec, s[22:23]
	v_lshlrev_b32_e32 v2, 16, v14
	v_mul_f32_e32 v2, v53, v2
	v_and_b32_e32 v3, 0x7f800000, v2
	v_cmp_ne_u32_e64 s[4:5], s21, v3
                                        ; implicit-def: $vgpr3
                                        ; kill: killed $vgpr3
	;; [unrolled: 25-line block ×6, first 2 shown]
	s_and_saveexec_b64 s[22:23], s[4:5]
	s_xor_b64 s[4:5], exec, s[22:23]
	s_cbranch_execz .LBB152_146
; %bb.145:                              ;   in Loop: Header=BB152_47 Depth=1
	v_bfe_u32 v3, v2, 16, 1
	v_add3_u32 v2, v2, v3, s24
	scratch_store_dword off, v2, s32 offset:448 ; 4-byte Folded Spill
                                        ; implicit-def: $vgpr2
.LBB152_146:                            ;   in Loop: Header=BB152_47 Depth=1
	s_andn2_saveexec_b64 s[22:23], s[4:5]
	s_cbranch_execz .LBB152_148
; %bb.147:                              ;   in Loop: Header=BB152_47 Depth=1
	v_or_b32_e32 v3, 0x10000, v2
	v_cmp_eq_u32_sdwa s[4:5], v2, v23 src0_sel:WORD_0 src1_sel:DWORD
	s_nop 1
	v_cndmask_b32_e64 v2, v3, v2, s[4:5]
	scratch_store_dword off, v2, s32 offset:448 ; 4-byte Folded Spill
.LBB152_148:                            ;   in Loop: Header=BB152_47 Depth=1
	s_or_b64 exec, exec, s[22:23]
	flat_load_dwordx4 v[2:5], v[8:9] offset:2048
	s_waitcnt vmcnt(0) lgkmcnt(0)
	v_lshrrev_b32_e32 v15, 16, v2
	v_lshrrev_b32_e32 v14, 16, v3
	;; [unrolled: 1-line block ×4, first 2 shown]
	s_and_saveexec_b64 s[22:23], vcc
	s_cbranch_execz .LBB152_150
; %bb.149:                              ;   in Loop: Header=BB152_47 Depth=1
	v_cmp_lt_i32_e64 s[4:5], v29, v48
	v_accvgpr_read_b32 v16, a13
	s_nop 0
	v_cndmask_b32_e64 v2, 0, v2, s[4:5]
	v_cmp_lt_i32_e64 s[4:5], v1, v48
	s_nop 1
	v_cndmask_b32_e64 v15, 0, v15, s[4:5]
	v_cmp_lt_i32_e64 s[4:5], v0, v48
	;; [unrolled: 3-line block ×3, first 2 shown]
	v_accvgpr_read_b32 v16, a15
	s_nop 0
	v_cndmask_b32_e64 v14, 0, v14, s[4:5]
	v_cmp_lt_i32_e64 s[4:5], v16, v48
	v_accvgpr_read_b32 v16, a14
	s_nop 0
	v_cndmask_b32_e64 v4, 0, v4, s[4:5]
	v_cmp_lt_i32_e64 s[4:5], v16, v48
	;; [unrolled: 4-line block ×4, first 2 shown]
	s_nop 1
	v_cndmask_b32_e64 v12, 0, v12, s[4:5]
.LBB152_150:                            ;   in Loop: Header=BB152_47 Depth=1
	s_or_b64 exec, exec, s[22:23]
	v_lshlrev_b32_e32 v2, 16, v2
	v_mul_f32_e32 v2, v50, v2
	v_and_b32_e32 v16, 0x7f800000, v2
	v_cmp_ne_u32_e64 s[4:5], s21, v16
                                        ; implicit-def: $vgpr16
                                        ; kill: killed $vgpr16
	s_and_saveexec_b64 s[22:23], s[4:5]
	s_xor_b64 s[4:5], exec, s[22:23]
	s_cbranch_execz .LBB152_152
; %bb.151:                              ;   in Loop: Header=BB152_47 Depth=1
	v_bfe_u32 v16, v2, 16, 1
	v_add3_u32 v2, v2, v16, s24
	scratch_store_dword off, v2, s32 offset:452 ; 4-byte Folded Spill
                                        ; implicit-def: $vgpr2
.LBB152_152:                            ;   in Loop: Header=BB152_47 Depth=1
	s_andn2_saveexec_b64 s[22:23], s[4:5]
	s_cbranch_execz .LBB152_154
; %bb.153:                              ;   in Loop: Header=BB152_47 Depth=1
	v_or_b32_e32 v16, 0x10000, v2
	v_cmp_eq_u32_sdwa s[4:5], v2, v23 src0_sel:WORD_0 src1_sel:DWORD
	s_nop 1
	v_cndmask_b32_e64 v2, v16, v2, s[4:5]
	scratch_store_dword off, v2, s32 offset:452 ; 4-byte Folded Spill
.LBB152_154:                            ;   in Loop: Header=BB152_47 Depth=1
	s_or_b64 exec, exec, s[22:23]
	v_lshlrev_b32_e32 v2, 16, v15
	v_mul_f32_e32 v2, v51, v2
	v_and_b32_e32 v15, 0x7f800000, v2
	v_cmp_ne_u32_e64 s[4:5], s21, v15
                                        ; implicit-def: $vgpr15
                                        ; kill: killed $vgpr15
	s_and_saveexec_b64 s[22:23], s[4:5]
	s_xor_b64 s[4:5], exec, s[22:23]
	s_cbranch_execz .LBB152_156
; %bb.155:                              ;   in Loop: Header=BB152_47 Depth=1
	v_bfe_u32 v15, v2, 16, 1
	v_add3_u32 v2, v2, v15, s24
	scratch_store_dword off, v2, s32 offset:456 ; 4-byte Folded Spill
                                        ; implicit-def: $vgpr2
.LBB152_156:                            ;   in Loop: Header=BB152_47 Depth=1
	s_andn2_saveexec_b64 s[22:23], s[4:5]
	s_cbranch_execz .LBB152_158
; %bb.157:                              ;   in Loop: Header=BB152_47 Depth=1
	v_or_b32_e32 v15, 0x10000, v2
	v_cmp_eq_u32_sdwa s[4:5], v2, v23 src0_sel:WORD_0 src1_sel:DWORD
	s_nop 1
	v_cndmask_b32_e64 v2, v15, v2, s[4:5]
	scratch_store_dword off, v2, s32 offset:456 ; 4-byte Folded Spill
.LBB152_158:                            ;   in Loop: Header=BB152_47 Depth=1
	s_or_b64 exec, exec, s[22:23]
	v_lshlrev_b32_e32 v2, 16, v3
	v_mul_f32_e32 v2, v52, v2
	v_and_b32_e32 v3, 0x7f800000, v2
	v_cmp_ne_u32_e64 s[4:5], s21, v3
                                        ; implicit-def: $vgpr3
                                        ; kill: killed $vgpr3
	s_and_saveexec_b64 s[22:23], s[4:5]
	s_xor_b64 s[4:5], exec, s[22:23]
	s_cbranch_execz .LBB152_160
; %bb.159:                              ;   in Loop: Header=BB152_47 Depth=1
	v_bfe_u32 v3, v2, 16, 1
	v_add3_u32 v2, v2, v3, s24
	scratch_store_dword off, v2, s32 offset:460 ; 4-byte Folded Spill
                                        ; implicit-def: $vgpr2
.LBB152_160:                            ;   in Loop: Header=BB152_47 Depth=1
	s_andn2_saveexec_b64 s[22:23], s[4:5]
	s_cbranch_execz .LBB152_162
; %bb.161:                              ;   in Loop: Header=BB152_47 Depth=1
	v_or_b32_e32 v3, 0x10000, v2
	v_cmp_eq_u32_sdwa s[4:5], v2, v23 src0_sel:WORD_0 src1_sel:DWORD
	s_nop 1
	v_cndmask_b32_e64 v2, v3, v2, s[4:5]
	scratch_store_dword off, v2, s32 offset:460 ; 4-byte Folded Spill
.LBB152_162:                            ;   in Loop: Header=BB152_47 Depth=1
	s_or_b64 exec, exec, s[22:23]
	v_lshlrev_b32_e32 v2, 16, v14
	v_mul_f32_e32 v2, v53, v2
	v_and_b32_e32 v3, 0x7f800000, v2
	v_cmp_ne_u32_e64 s[4:5], s21, v3
                                        ; implicit-def: $vgpr3
                                        ; kill: killed $vgpr3
	;; [unrolled: 25-line block ×6, first 2 shown]
	s_and_saveexec_b64 s[22:23], s[4:5]
	s_xor_b64 s[4:5], exec, s[22:23]
	s_cbranch_execz .LBB152_180
; %bb.179:                              ;   in Loop: Header=BB152_47 Depth=1
	v_bfe_u32 v3, v2, 16, 1
	v_add3_u32 v2, v2, v3, s24
	scratch_store_dword off, v2, s32 offset:480 ; 4-byte Folded Spill
                                        ; implicit-def: $vgpr2
.LBB152_180:                            ;   in Loop: Header=BB152_47 Depth=1
	s_andn2_saveexec_b64 s[22:23], s[4:5]
	s_cbranch_execz .LBB152_182
; %bb.181:                              ;   in Loop: Header=BB152_47 Depth=1
	v_or_b32_e32 v3, 0x10000, v2
	v_cmp_eq_u32_sdwa s[4:5], v2, v23 src0_sel:WORD_0 src1_sel:DWORD
	s_nop 1
	v_cndmask_b32_e64 v2, v3, v2, s[4:5]
	scratch_store_dword off, v2, s32 offset:480 ; 4-byte Folded Spill
.LBB152_182:                            ;   in Loop: Header=BB152_47 Depth=1
	s_or_b64 exec, exec, s[22:23]
	flat_load_dwordx4 v[2:5], v[8:9] offset:3072
	s_waitcnt vmcnt(0) lgkmcnt(0)
	v_lshrrev_b32_e32 v13, 16, v2
	v_lshrrev_b32_e32 v12, 16, v3
	;; [unrolled: 1-line block ×4, first 2 shown]
	s_and_saveexec_b64 s[22:23], vcc
	s_cbranch_execz .LBB152_184
; %bb.183:                              ;   in Loop: Header=BB152_47 Depth=1
	v_cmp_lt_i32_e64 s[4:5], v29, v48
	v_accvgpr_read_b32 v14, a13
	s_nop 0
	v_cndmask_b32_e64 v2, 0, v2, s[4:5]
	v_cmp_lt_i32_e64 s[4:5], v1, v48
	s_nop 1
	v_cndmask_b32_e64 v13, 0, v13, s[4:5]
	v_cmp_lt_i32_e64 s[4:5], v0, v48
	;; [unrolled: 3-line block ×3, first 2 shown]
	v_accvgpr_read_b32 v14, a15
	s_nop 0
	v_cndmask_b32_e64 v12, 0, v12, s[4:5]
	v_cmp_lt_i32_e64 s[4:5], v14, v48
	v_accvgpr_read_b32 v14, a14
	s_nop 0
	v_cndmask_b32_e64 v4, 0, v4, s[4:5]
	v_cmp_lt_i32_e64 s[4:5], v14, v48
	;; [unrolled: 4-line block ×4, first 2 shown]
	s_nop 1
	v_cndmask_b32_e64 v8, 0, v8, s[4:5]
.LBB152_184:                            ;   in Loop: Header=BB152_47 Depth=1
	s_or_b64 exec, exec, s[22:23]
	v_lshlrev_b32_e32 v2, 16, v2
	v_mul_f32_e32 v2, v50, v2
	v_and_b32_e32 v14, 0x7f800000, v2
	v_cmp_ne_u32_e64 s[4:5], s21, v14
                                        ; implicit-def: $vgpr14
                                        ; kill: killed $vgpr14
	s_and_saveexec_b64 s[22:23], s[4:5]
	s_xor_b64 s[4:5], exec, s[22:23]
	s_cbranch_execz .LBB152_186
; %bb.185:                              ;   in Loop: Header=BB152_47 Depth=1
	v_bfe_u32 v14, v2, 16, 1
	v_add3_u32 v2, v2, v14, s24
	scratch_store_dword off, v2, s32 offset:484 ; 4-byte Folded Spill
                                        ; implicit-def: $vgpr2
.LBB152_186:                            ;   in Loop: Header=BB152_47 Depth=1
	s_andn2_saveexec_b64 s[22:23], s[4:5]
	s_cbranch_execz .LBB152_188
; %bb.187:                              ;   in Loop: Header=BB152_47 Depth=1
	v_or_b32_e32 v14, 0x10000, v2
	v_cmp_eq_u32_sdwa s[4:5], v2, v23 src0_sel:WORD_0 src1_sel:DWORD
	s_nop 1
	v_cndmask_b32_e64 v2, v14, v2, s[4:5]
	scratch_store_dword off, v2, s32 offset:484 ; 4-byte Folded Spill
.LBB152_188:                            ;   in Loop: Header=BB152_47 Depth=1
	s_or_b64 exec, exec, s[22:23]
	v_lshlrev_b32_e32 v2, 16, v13
	v_mul_f32_e32 v2, v51, v2
	v_and_b32_e32 v13, 0x7f800000, v2
	v_cmp_ne_u32_e64 s[4:5], s21, v13
                                        ; implicit-def: $vgpr13
                                        ; kill: killed $vgpr13
	s_and_saveexec_b64 s[22:23], s[4:5]
	s_xor_b64 s[4:5], exec, s[22:23]
	s_cbranch_execz .LBB152_190
; %bb.189:                              ;   in Loop: Header=BB152_47 Depth=1
	v_bfe_u32 v13, v2, 16, 1
	v_add3_u32 v2, v2, v13, s24
	scratch_store_dword off, v2, s32 offset:488 ; 4-byte Folded Spill
                                        ; implicit-def: $vgpr2
.LBB152_190:                            ;   in Loop: Header=BB152_47 Depth=1
	s_andn2_saveexec_b64 s[22:23], s[4:5]
	s_cbranch_execz .LBB152_192
; %bb.191:                              ;   in Loop: Header=BB152_47 Depth=1
	v_or_b32_e32 v13, 0x10000, v2
	v_cmp_eq_u32_sdwa s[4:5], v2, v23 src0_sel:WORD_0 src1_sel:DWORD
	s_nop 1
	v_cndmask_b32_e64 v2, v13, v2, s[4:5]
	scratch_store_dword off, v2, s32 offset:488 ; 4-byte Folded Spill
.LBB152_192:                            ;   in Loop: Header=BB152_47 Depth=1
	s_or_b64 exec, exec, s[22:23]
	v_lshlrev_b32_e32 v2, 16, v3
	v_mul_f32_e32 v2, v52, v2
	v_and_b32_e32 v3, 0x7f800000, v2
	v_cmp_ne_u32_e64 s[4:5], s21, v3
                                        ; implicit-def: $agpr8
	s_and_saveexec_b64 s[22:23], s[4:5]
	s_xor_b64 s[4:5], exec, s[22:23]
; %bb.193:                              ;   in Loop: Header=BB152_47 Depth=1
	v_bfe_u32 v3, v2, 16, 1
	v_add3_u32 v2, v2, v3, s24
	v_accvgpr_write_b32 a8, v2
                                        ; implicit-def: $vgpr2
; %bb.194:                              ;   in Loop: Header=BB152_47 Depth=1
	s_andn2_saveexec_b64 s[22:23], s[4:5]
; %bb.195:                              ;   in Loop: Header=BB152_47 Depth=1
	v_or_b32_e32 v3, 0x10000, v2
	v_cmp_eq_u32_sdwa s[4:5], v2, v23 src0_sel:WORD_0 src1_sel:DWORD
	s_nop 1
	v_cndmask_b32_e64 v2, v3, v2, s[4:5]
	v_accvgpr_write_b32 a8, v2
; %bb.196:                              ;   in Loop: Header=BB152_47 Depth=1
	s_or_b64 exec, exec, s[22:23]
	v_lshlrev_b32_e32 v2, 16, v12
	v_mul_f32_e32 v2, v53, v2
	v_and_b32_e32 v3, 0x7f800000, v2
	v_cmp_ne_u32_e64 s[4:5], s21, v3
                                        ; implicit-def: $agpr38
	s_and_saveexec_b64 s[22:23], s[4:5]
	s_xor_b64 s[4:5], exec, s[22:23]
; %bb.197:                              ;   in Loop: Header=BB152_47 Depth=1
	v_bfe_u32 v3, v2, 16, 1
	v_add3_u32 v2, v2, v3, s24
	v_accvgpr_write_b32 a38, v2
                                        ; implicit-def: $vgpr2
; %bb.198:                              ;   in Loop: Header=BB152_47 Depth=1
	s_andn2_saveexec_b64 s[22:23], s[4:5]
; %bb.199:                              ;   in Loop: Header=BB152_47 Depth=1
	v_or_b32_e32 v3, 0x10000, v2
	v_cmp_eq_u32_sdwa s[4:5], v2, v23 src0_sel:WORD_0 src1_sel:DWORD
	s_nop 1
	v_cndmask_b32_e64 v2, v3, v2, s[4:5]
	v_accvgpr_write_b32 a38, v2
; %bb.200:                              ;   in Loop: Header=BB152_47 Depth=1
	s_or_b64 exec, exec, s[22:23]
	v_lshlrev_b32_e32 v2, 16, v4
	v_mul_f32_e32 v2, v54, v2
	v_and_b32_e32 v3, 0x7f800000, v2
	v_cmp_ne_u32_e64 s[4:5], s21, v3
                                        ; implicit-def: $agpr40
	s_and_saveexec_b64 s[22:23], s[4:5]
	s_xor_b64 s[4:5], exec, s[22:23]
; %bb.201:                              ;   in Loop: Header=BB152_47 Depth=1
	v_bfe_u32 v3, v2, 16, 1
	v_add3_u32 v2, v2, v3, s24
	v_accvgpr_write_b32 a40, v2
                                        ; implicit-def: $vgpr2
; %bb.202:                              ;   in Loop: Header=BB152_47 Depth=1
	s_andn2_saveexec_b64 s[22:23], s[4:5]
; %bb.203:                              ;   in Loop: Header=BB152_47 Depth=1
	v_or_b32_e32 v3, 0x10000, v2
	v_cmp_eq_u32_sdwa s[4:5], v2, v23 src0_sel:WORD_0 src1_sel:DWORD
	s_nop 1
	v_cndmask_b32_e64 v2, v3, v2, s[4:5]
	v_accvgpr_write_b32 a40, v2
; %bb.204:                              ;   in Loop: Header=BB152_47 Depth=1
	s_or_b64 exec, exec, s[22:23]
	v_lshlrev_b32_e32 v2, 16, v9
	v_mul_f32_e32 v2, v55, v2
	v_and_b32_e32 v3, 0x7f800000, v2
	v_cmp_ne_u32_e64 s[4:5], s21, v3
                                        ; implicit-def: $agpr42
	s_and_saveexec_b64 s[22:23], s[4:5]
	s_xor_b64 s[4:5], exec, s[22:23]
; %bb.205:                              ;   in Loop: Header=BB152_47 Depth=1
	v_bfe_u32 v3, v2, 16, 1
	v_add3_u32 v2, v2, v3, s24
	v_accvgpr_write_b32 a42, v2
                                        ; implicit-def: $vgpr2
; %bb.206:                              ;   in Loop: Header=BB152_47 Depth=1
	s_andn2_saveexec_b64 s[22:23], s[4:5]
; %bb.207:                              ;   in Loop: Header=BB152_47 Depth=1
	v_or_b32_e32 v3, 0x10000, v2
	v_cmp_eq_u32_sdwa s[4:5], v2, v23 src0_sel:WORD_0 src1_sel:DWORD
	s_nop 1
	v_cndmask_b32_e64 v2, v3, v2, s[4:5]
	v_accvgpr_write_b32 a42, v2
; %bb.208:                              ;   in Loop: Header=BB152_47 Depth=1
	s_or_b64 exec, exec, s[22:23]
	v_lshlrev_b32_e32 v2, 16, v5
	v_mul_f32_e32 v2, v40, v2
	v_and_b32_e32 v3, 0x7f800000, v2
	v_cmp_ne_u32_e64 s[4:5], s21, v3
                                        ; implicit-def: $agpr44
	s_and_saveexec_b64 s[22:23], s[4:5]
	s_xor_b64 s[4:5], exec, s[22:23]
; %bb.209:                              ;   in Loop: Header=BB152_47 Depth=1
	v_bfe_u32 v3, v2, 16, 1
	v_add3_u32 v2, v2, v3, s24
	v_accvgpr_write_b32 a44, v2
                                        ; implicit-def: $vgpr2
; %bb.210:                              ;   in Loop: Header=BB152_47 Depth=1
	s_andn2_saveexec_b64 s[22:23], s[4:5]
; %bb.211:                              ;   in Loop: Header=BB152_47 Depth=1
	v_or_b32_e32 v3, 0x10000, v2
	v_cmp_eq_u32_sdwa s[4:5], v2, v23 src0_sel:WORD_0 src1_sel:DWORD
	s_nop 1
	v_cndmask_b32_e64 v2, v3, v2, s[4:5]
	v_accvgpr_write_b32 a44, v2
; %bb.212:                              ;   in Loop: Header=BB152_47 Depth=1
	s_or_b64 exec, exec, s[22:23]
	v_lshlrev_b32_e32 v2, 16, v8
	v_mul_f32_e32 v2, v41, v2
	v_and_b32_e32 v3, 0x7f800000, v2
	v_cmp_ne_u32_e64 s[4:5], s21, v3
                                        ; implicit-def: $agpr46
	s_and_saveexec_b64 s[22:23], s[4:5]
	s_xor_b64 s[4:5], exec, s[22:23]
; %bb.213:                              ;   in Loop: Header=BB152_47 Depth=1
	v_bfe_u32 v3, v2, 16, 1
	v_add3_u32 v2, v2, v3, s24
	v_accvgpr_write_b32 a46, v2
                                        ; implicit-def: $vgpr2
; %bb.214:                              ;   in Loop: Header=BB152_47 Depth=1
	s_andn2_saveexec_b64 s[22:23], s[4:5]
; %bb.215:                              ;   in Loop: Header=BB152_47 Depth=1
	v_or_b32_e32 v3, 0x10000, v2
	v_cmp_eq_u32_sdwa s[4:5], v2, v23 src0_sel:WORD_0 src1_sel:DWORD
	s_nop 1
	v_cndmask_b32_e64 v2, v3, v2, s[4:5]
	v_accvgpr_write_b32 a46, v2
; %bb.216:                              ;   in Loop: Header=BB152_47 Depth=1
	s_or_b64 exec, exec, s[22:23]
	scratch_load_dwordx2 v[2:3], off, s32 offset:284 ; 8-byte Folded Reload
	s_waitcnt vmcnt(0)
	v_mov_b32_e32 v3, v23
	v_mov_b32_e32 v4, v2
	v_lshl_add_u64 v[2:3], v[6:7], 0, v[2:3]
	scratch_store_dwordx2 off, v[4:5], s32 offset:284 ; 8-byte Folded Spill
	flat_load_dwordx4 v[2:5], v[2:3]
	s_waitcnt vmcnt(0) lgkmcnt(0)
	v_lshrrev_b32_e32 v13, 16, v2
	v_lshrrev_b32_e32 v12, 16, v3
	;; [unrolled: 1-line block ×4, first 2 shown]
	s_and_saveexec_b64 s[22:23], vcc
	s_cbranch_execz .LBB152_218
; %bb.217:                              ;   in Loop: Header=BB152_47 Depth=1
	v_cmp_lt_i32_e64 s[4:5], v29, v48
	v_accvgpr_read_b32 v14, a13
	s_nop 0
	v_cndmask_b32_e64 v2, 0, v2, s[4:5]
	v_cmp_lt_i32_e64 s[4:5], v1, v48
	s_nop 1
	v_cndmask_b32_e64 v13, 0, v13, s[4:5]
	v_cmp_lt_i32_e64 s[4:5], v0, v48
	;; [unrolled: 3-line block ×3, first 2 shown]
	v_accvgpr_read_b32 v14, a15
	s_nop 0
	v_cndmask_b32_e64 v12, 0, v12, s[4:5]
	v_cmp_lt_i32_e64 s[4:5], v14, v48
	v_accvgpr_read_b32 v14, a14
	s_nop 0
	v_cndmask_b32_e64 v4, 0, v4, s[4:5]
	v_cmp_lt_i32_e64 s[4:5], v14, v48
	;; [unrolled: 4-line block ×4, first 2 shown]
	s_nop 1
	v_cndmask_b32_e64 v8, 0, v8, s[4:5]
.LBB152_218:                            ;   in Loop: Header=BB152_47 Depth=1
	s_or_b64 exec, exec, s[22:23]
	v_lshlrev_b32_e32 v2, 16, v2
	v_mul_f32_e32 v2, v50, v2
	v_and_b32_e32 v14, 0x7f800000, v2
	v_cmp_ne_u32_e64 s[4:5], s21, v14
                                        ; implicit-def: $agpr48
	s_and_saveexec_b64 s[22:23], s[4:5]
	s_xor_b64 s[4:5], exec, s[22:23]
; %bb.219:                              ;   in Loop: Header=BB152_47 Depth=1
	v_bfe_u32 v14, v2, 16, 1
	v_add3_u32 v2, v2, v14, s24
	v_accvgpr_write_b32 a48, v2
                                        ; implicit-def: $vgpr2
; %bb.220:                              ;   in Loop: Header=BB152_47 Depth=1
	s_andn2_saveexec_b64 s[22:23], s[4:5]
; %bb.221:                              ;   in Loop: Header=BB152_47 Depth=1
	v_or_b32_e32 v14, 0x10000, v2
	v_cmp_eq_u32_sdwa s[4:5], v2, v23 src0_sel:WORD_0 src1_sel:DWORD
	s_nop 1
	v_cndmask_b32_e64 v2, v14, v2, s[4:5]
	v_accvgpr_write_b32 a48, v2
; %bb.222:                              ;   in Loop: Header=BB152_47 Depth=1
	s_or_b64 exec, exec, s[22:23]
	v_lshlrev_b32_e32 v2, 16, v13
	v_mul_f32_e32 v2, v51, v2
	v_and_b32_e32 v13, 0x7f800000, v2
	v_cmp_ne_u32_e64 s[4:5], s21, v13
                                        ; implicit-def: $agpr50
	s_and_saveexec_b64 s[22:23], s[4:5]
	s_xor_b64 s[4:5], exec, s[22:23]
; %bb.223:                              ;   in Loop: Header=BB152_47 Depth=1
	v_bfe_u32 v13, v2, 16, 1
	v_add3_u32 v2, v2, v13, s24
	v_accvgpr_write_b32 a50, v2
                                        ; implicit-def: $vgpr2
; %bb.224:                              ;   in Loop: Header=BB152_47 Depth=1
	s_andn2_saveexec_b64 s[22:23], s[4:5]
; %bb.225:                              ;   in Loop: Header=BB152_47 Depth=1
	v_or_b32_e32 v13, 0x10000, v2
	v_cmp_eq_u32_sdwa s[4:5], v2, v23 src0_sel:WORD_0 src1_sel:DWORD
	s_nop 1
	v_cndmask_b32_e64 v2, v13, v2, s[4:5]
	v_accvgpr_write_b32 a50, v2
; %bb.226:                              ;   in Loop: Header=BB152_47 Depth=1
	s_or_b64 exec, exec, s[22:23]
	v_lshlrev_b32_e32 v2, 16, v3
	v_mul_f32_e32 v2, v52, v2
	v_and_b32_e32 v3, 0x7f800000, v2
	v_cmp_ne_u32_e64 s[4:5], s21, v3
                                        ; implicit-def: $agpr52
	s_and_saveexec_b64 s[22:23], s[4:5]
	s_xor_b64 s[4:5], exec, s[22:23]
; %bb.227:                              ;   in Loop: Header=BB152_47 Depth=1
	v_bfe_u32 v3, v2, 16, 1
	v_add3_u32 v2, v2, v3, s24
	v_accvgpr_write_b32 a52, v2
                                        ; implicit-def: $vgpr2
; %bb.228:                              ;   in Loop: Header=BB152_47 Depth=1
	s_andn2_saveexec_b64 s[22:23], s[4:5]
; %bb.229:                              ;   in Loop: Header=BB152_47 Depth=1
	v_or_b32_e32 v3, 0x10000, v2
	v_cmp_eq_u32_sdwa s[4:5], v2, v23 src0_sel:WORD_0 src1_sel:DWORD
	s_nop 1
	v_cndmask_b32_e64 v2, v3, v2, s[4:5]
	v_accvgpr_write_b32 a52, v2
; %bb.230:                              ;   in Loop: Header=BB152_47 Depth=1
	s_or_b64 exec, exec, s[22:23]
	v_lshlrev_b32_e32 v2, 16, v12
	v_mul_f32_e32 v2, v53, v2
	v_and_b32_e32 v3, 0x7f800000, v2
	v_cmp_ne_u32_e64 s[4:5], s21, v3
                                        ; implicit-def: $agpr54
	s_and_saveexec_b64 s[22:23], s[4:5]
	s_xor_b64 s[4:5], exec, s[22:23]
; %bb.231:                              ;   in Loop: Header=BB152_47 Depth=1
	v_bfe_u32 v3, v2, 16, 1
	v_add3_u32 v2, v2, v3, s24
	v_accvgpr_write_b32 a54, v2
                                        ; implicit-def: $vgpr2
; %bb.232:                              ;   in Loop: Header=BB152_47 Depth=1
	s_andn2_saveexec_b64 s[22:23], s[4:5]
; %bb.233:                              ;   in Loop: Header=BB152_47 Depth=1
	v_or_b32_e32 v3, 0x10000, v2
	v_cmp_eq_u32_sdwa s[4:5], v2, v23 src0_sel:WORD_0 src1_sel:DWORD
	s_nop 1
	v_cndmask_b32_e64 v2, v3, v2, s[4:5]
	v_accvgpr_write_b32 a54, v2
; %bb.234:                              ;   in Loop: Header=BB152_47 Depth=1
	s_or_b64 exec, exec, s[22:23]
	v_lshlrev_b32_e32 v2, 16, v4
	v_mul_f32_e32 v2, v54, v2
	v_and_b32_e32 v3, 0x7f800000, v2
	v_cmp_ne_u32_e64 s[4:5], s21, v3
                                        ; implicit-def: $agpr56
	s_and_saveexec_b64 s[22:23], s[4:5]
	s_xor_b64 s[4:5], exec, s[22:23]
; %bb.235:                              ;   in Loop: Header=BB152_47 Depth=1
	v_bfe_u32 v3, v2, 16, 1
	v_add3_u32 v2, v2, v3, s24
	v_accvgpr_write_b32 a56, v2
                                        ; implicit-def: $vgpr2
; %bb.236:                              ;   in Loop: Header=BB152_47 Depth=1
	s_andn2_saveexec_b64 s[22:23], s[4:5]
; %bb.237:                              ;   in Loop: Header=BB152_47 Depth=1
	v_or_b32_e32 v3, 0x10000, v2
	v_cmp_eq_u32_sdwa s[4:5], v2, v23 src0_sel:WORD_0 src1_sel:DWORD
	s_nop 1
	v_cndmask_b32_e64 v2, v3, v2, s[4:5]
	v_accvgpr_write_b32 a56, v2
; %bb.238:                              ;   in Loop: Header=BB152_47 Depth=1
	s_or_b64 exec, exec, s[22:23]
	v_lshlrev_b32_e32 v2, 16, v9
	v_mul_f32_e32 v2, v55, v2
	v_and_b32_e32 v3, 0x7f800000, v2
	v_cmp_ne_u32_e64 s[4:5], s21, v3
                                        ; implicit-def: $agpr58
	s_and_saveexec_b64 s[22:23], s[4:5]
	s_xor_b64 s[4:5], exec, s[22:23]
; %bb.239:                              ;   in Loop: Header=BB152_47 Depth=1
	v_bfe_u32 v3, v2, 16, 1
	v_add3_u32 v2, v2, v3, s24
	v_accvgpr_write_b32 a58, v2
                                        ; implicit-def: $vgpr2
; %bb.240:                              ;   in Loop: Header=BB152_47 Depth=1
	s_andn2_saveexec_b64 s[22:23], s[4:5]
; %bb.241:                              ;   in Loop: Header=BB152_47 Depth=1
	v_or_b32_e32 v3, 0x10000, v2
	v_cmp_eq_u32_sdwa s[4:5], v2, v23 src0_sel:WORD_0 src1_sel:DWORD
	s_nop 1
	v_cndmask_b32_e64 v2, v3, v2, s[4:5]
	v_accvgpr_write_b32 a58, v2
; %bb.242:                              ;   in Loop: Header=BB152_47 Depth=1
	s_or_b64 exec, exec, s[22:23]
	v_lshlrev_b32_e32 v2, 16, v5
	v_mul_f32_e32 v2, v40, v2
	v_and_b32_e32 v3, 0x7f800000, v2
	v_cmp_ne_u32_e64 s[4:5], s21, v3
                                        ; implicit-def: $agpr60
	s_and_saveexec_b64 s[22:23], s[4:5]
	s_xor_b64 s[4:5], exec, s[22:23]
; %bb.243:                              ;   in Loop: Header=BB152_47 Depth=1
	v_bfe_u32 v3, v2, 16, 1
	v_add3_u32 v2, v2, v3, s24
	v_accvgpr_write_b32 a60, v2
                                        ; implicit-def: $vgpr2
; %bb.244:                              ;   in Loop: Header=BB152_47 Depth=1
	s_andn2_saveexec_b64 s[22:23], s[4:5]
; %bb.245:                              ;   in Loop: Header=BB152_47 Depth=1
	v_or_b32_e32 v3, 0x10000, v2
	v_cmp_eq_u32_sdwa s[4:5], v2, v23 src0_sel:WORD_0 src1_sel:DWORD
	s_nop 1
	v_cndmask_b32_e64 v2, v3, v2, s[4:5]
	v_accvgpr_write_b32 a60, v2
; %bb.246:                              ;   in Loop: Header=BB152_47 Depth=1
	s_or_b64 exec, exec, s[22:23]
	v_lshlrev_b32_e32 v2, 16, v8
	v_mul_f32_e32 v2, v41, v2
	v_and_b32_e32 v3, 0x7f800000, v2
	v_cmp_ne_u32_e64 s[4:5], s21, v3
                                        ; implicit-def: $agpr62
	s_and_saveexec_b64 s[22:23], s[4:5]
	s_xor_b64 s[4:5], exec, s[22:23]
; %bb.247:                              ;   in Loop: Header=BB152_47 Depth=1
	v_bfe_u32 v3, v2, 16, 1
	v_add3_u32 v2, v2, v3, s24
	v_accvgpr_write_b32 a62, v2
                                        ; implicit-def: $vgpr2
; %bb.248:                              ;   in Loop: Header=BB152_47 Depth=1
	s_andn2_saveexec_b64 s[22:23], s[4:5]
; %bb.249:                              ;   in Loop: Header=BB152_47 Depth=1
	v_or_b32_e32 v3, 0x10000, v2
	v_cmp_eq_u32_sdwa s[4:5], v2, v23 src0_sel:WORD_0 src1_sel:DWORD
	s_nop 1
	v_cndmask_b32_e64 v2, v3, v2, s[4:5]
	v_accvgpr_write_b32 a62, v2
; %bb.250:                              ;   in Loop: Header=BB152_47 Depth=1
	s_or_b64 exec, exec, s[22:23]
	scratch_load_dwordx2 v[2:3], off, s32 offset:292 ; 8-byte Folded Reload
	s_waitcnt vmcnt(0)
	v_mov_b32_e32 v3, v23
	v_mov_b32_e32 v4, v2
	v_lshl_add_u64 v[2:3], v[6:7], 0, v[2:3]
	scratch_store_dwordx2 off, v[4:5], s32 offset:292 ; 8-byte Folded Spill
	flat_load_dwordx4 v[2:5], v[2:3]
	s_waitcnt vmcnt(0) lgkmcnt(0)
	v_lshrrev_b32_e32 v13, 16, v2
	v_lshrrev_b32_e32 v12, 16, v3
	;; [unrolled: 1-line block ×4, first 2 shown]
	s_and_saveexec_b64 s[22:23], vcc
	s_cbranch_execz .LBB152_252
; %bb.251:                              ;   in Loop: Header=BB152_47 Depth=1
	v_cmp_lt_i32_e64 s[4:5], v29, v48
	v_accvgpr_read_b32 v14, a13
	s_nop 0
	v_cndmask_b32_e64 v2, 0, v2, s[4:5]
	v_cmp_lt_i32_e64 s[4:5], v1, v48
	s_nop 1
	v_cndmask_b32_e64 v13, 0, v13, s[4:5]
	v_cmp_lt_i32_e64 s[4:5], v0, v48
	;; [unrolled: 3-line block ×3, first 2 shown]
	v_accvgpr_read_b32 v14, a15
	s_nop 0
	v_cndmask_b32_e64 v12, 0, v12, s[4:5]
	v_cmp_lt_i32_e64 s[4:5], v14, v48
	v_accvgpr_read_b32 v14, a14
	s_nop 0
	v_cndmask_b32_e64 v4, 0, v4, s[4:5]
	v_cmp_lt_i32_e64 s[4:5], v14, v48
	;; [unrolled: 4-line block ×4, first 2 shown]
	s_nop 1
	v_cndmask_b32_e64 v8, 0, v8, s[4:5]
.LBB152_252:                            ;   in Loop: Header=BB152_47 Depth=1
	s_or_b64 exec, exec, s[22:23]
	v_lshlrev_b32_e32 v2, 16, v2
	v_mul_f32_e32 v2, v50, v2
	v_and_b32_e32 v14, 0x7f800000, v2
	v_cmp_ne_u32_e64 s[4:5], s21, v14
                                        ; implicit-def: $agpr18
	s_and_saveexec_b64 s[22:23], s[4:5]
	s_xor_b64 s[4:5], exec, s[22:23]
; %bb.253:                              ;   in Loop: Header=BB152_47 Depth=1
	v_bfe_u32 v14, v2, 16, 1
	v_add3_u32 v2, v2, v14, s24
	v_accvgpr_write_b32 a18, v2
                                        ; implicit-def: $vgpr2
; %bb.254:                              ;   in Loop: Header=BB152_47 Depth=1
	s_andn2_saveexec_b64 s[22:23], s[4:5]
; %bb.255:                              ;   in Loop: Header=BB152_47 Depth=1
	v_or_b32_e32 v14, 0x10000, v2
	v_cmp_eq_u32_sdwa s[4:5], v2, v23 src0_sel:WORD_0 src1_sel:DWORD
	s_nop 1
	v_cndmask_b32_e64 v2, v14, v2, s[4:5]
	v_accvgpr_write_b32 a18, v2
; %bb.256:                              ;   in Loop: Header=BB152_47 Depth=1
	s_or_b64 exec, exec, s[22:23]
	v_lshlrev_b32_e32 v2, 16, v13
	v_mul_f32_e32 v2, v51, v2
	v_and_b32_e32 v13, 0x7f800000, v2
	v_cmp_ne_u32_e64 s[4:5], s21, v13
                                        ; implicit-def: $agpr19
	s_and_saveexec_b64 s[22:23], s[4:5]
	s_xor_b64 s[4:5], exec, s[22:23]
; %bb.257:                              ;   in Loop: Header=BB152_47 Depth=1
	v_bfe_u32 v13, v2, 16, 1
	v_add3_u32 v2, v2, v13, s24
	v_accvgpr_write_b32 a19, v2
                                        ; implicit-def: $vgpr2
; %bb.258:                              ;   in Loop: Header=BB152_47 Depth=1
	s_andn2_saveexec_b64 s[22:23], s[4:5]
; %bb.259:                              ;   in Loop: Header=BB152_47 Depth=1
	v_or_b32_e32 v13, 0x10000, v2
	v_cmp_eq_u32_sdwa s[4:5], v2, v23 src0_sel:WORD_0 src1_sel:DWORD
	s_nop 1
	v_cndmask_b32_e64 v2, v13, v2, s[4:5]
	v_accvgpr_write_b32 a19, v2
; %bb.260:                              ;   in Loop: Header=BB152_47 Depth=1
	s_or_b64 exec, exec, s[22:23]
	v_lshlrev_b32_e32 v2, 16, v3
	v_mul_f32_e32 v2, v52, v2
	v_and_b32_e32 v3, 0x7f800000, v2
	v_cmp_ne_u32_e64 s[4:5], s21, v3
                                        ; implicit-def: $agpr32
	s_and_saveexec_b64 s[22:23], s[4:5]
	s_xor_b64 s[4:5], exec, s[22:23]
; %bb.261:                              ;   in Loop: Header=BB152_47 Depth=1
	v_bfe_u32 v3, v2, 16, 1
	v_add3_u32 v2, v2, v3, s24
	v_accvgpr_write_b32 a32, v2
                                        ; implicit-def: $vgpr2
; %bb.262:                              ;   in Loop: Header=BB152_47 Depth=1
	s_andn2_saveexec_b64 s[22:23], s[4:5]
; %bb.263:                              ;   in Loop: Header=BB152_47 Depth=1
	v_or_b32_e32 v3, 0x10000, v2
	v_cmp_eq_u32_sdwa s[4:5], v2, v23 src0_sel:WORD_0 src1_sel:DWORD
	s_nop 1
	v_cndmask_b32_e64 v2, v3, v2, s[4:5]
	v_accvgpr_write_b32 a32, v2
; %bb.264:                              ;   in Loop: Header=BB152_47 Depth=1
	s_or_b64 exec, exec, s[22:23]
	v_lshlrev_b32_e32 v2, 16, v12
	v_mul_f32_e32 v2, v53, v2
	v_and_b32_e32 v3, 0x7f800000, v2
	v_cmp_ne_u32_e64 s[4:5], s21, v3
                                        ; implicit-def: $agpr33
	s_and_saveexec_b64 s[22:23], s[4:5]
	s_xor_b64 s[4:5], exec, s[22:23]
; %bb.265:                              ;   in Loop: Header=BB152_47 Depth=1
	v_bfe_u32 v3, v2, 16, 1
	v_add3_u32 v2, v2, v3, s24
	v_accvgpr_write_b32 a33, v2
                                        ; implicit-def: $vgpr2
; %bb.266:                              ;   in Loop: Header=BB152_47 Depth=1
	s_andn2_saveexec_b64 s[22:23], s[4:5]
; %bb.267:                              ;   in Loop: Header=BB152_47 Depth=1
	v_or_b32_e32 v3, 0x10000, v2
	v_cmp_eq_u32_sdwa s[4:5], v2, v23 src0_sel:WORD_0 src1_sel:DWORD
	s_nop 1
	v_cndmask_b32_e64 v2, v3, v2, s[4:5]
	v_accvgpr_write_b32 a33, v2
; %bb.268:                              ;   in Loop: Header=BB152_47 Depth=1
	s_or_b64 exec, exec, s[22:23]
	v_lshlrev_b32_e32 v2, 16, v4
	v_mul_f32_e32 v2, v54, v2
	v_and_b32_e32 v3, 0x7f800000, v2
	v_cmp_ne_u32_e64 s[4:5], s21, v3
                                        ; implicit-def: $agpr22
	s_and_saveexec_b64 s[22:23], s[4:5]
	s_xor_b64 s[4:5], exec, s[22:23]
; %bb.269:                              ;   in Loop: Header=BB152_47 Depth=1
	v_bfe_u32 v3, v2, 16, 1
	v_add3_u32 v2, v2, v3, s24
	v_accvgpr_write_b32 a22, v2
                                        ; implicit-def: $vgpr2
; %bb.270:                              ;   in Loop: Header=BB152_47 Depth=1
	s_andn2_saveexec_b64 s[22:23], s[4:5]
; %bb.271:                              ;   in Loop: Header=BB152_47 Depth=1
	v_or_b32_e32 v3, 0x10000, v2
	v_cmp_eq_u32_sdwa s[4:5], v2, v23 src0_sel:WORD_0 src1_sel:DWORD
	s_nop 1
	v_cndmask_b32_e64 v2, v3, v2, s[4:5]
	v_accvgpr_write_b32 a22, v2
; %bb.272:                              ;   in Loop: Header=BB152_47 Depth=1
	s_or_b64 exec, exec, s[22:23]
	v_lshlrev_b32_e32 v2, 16, v9
	v_mul_f32_e32 v2, v55, v2
	v_and_b32_e32 v3, 0x7f800000, v2
	v_cmp_ne_u32_e64 s[4:5], s21, v3
                                        ; implicit-def: $agpr23
	s_and_saveexec_b64 s[22:23], s[4:5]
	s_xor_b64 s[4:5], exec, s[22:23]
; %bb.273:                              ;   in Loop: Header=BB152_47 Depth=1
	v_bfe_u32 v3, v2, 16, 1
	v_add3_u32 v2, v2, v3, s24
	v_accvgpr_write_b32 a23, v2
                                        ; implicit-def: $vgpr2
; %bb.274:                              ;   in Loop: Header=BB152_47 Depth=1
	s_andn2_saveexec_b64 s[22:23], s[4:5]
; %bb.275:                              ;   in Loop: Header=BB152_47 Depth=1
	v_or_b32_e32 v3, 0x10000, v2
	v_cmp_eq_u32_sdwa s[4:5], v2, v23 src0_sel:WORD_0 src1_sel:DWORD
	s_nop 1
	v_cndmask_b32_e64 v2, v3, v2, s[4:5]
	v_accvgpr_write_b32 a23, v2
; %bb.276:                              ;   in Loop: Header=BB152_47 Depth=1
	s_or_b64 exec, exec, s[22:23]
	v_lshlrev_b32_e32 v2, 16, v5
	v_mul_f32_e32 v2, v40, v2
	v_and_b32_e32 v3, 0x7f800000, v2
	v_cmp_ne_u32_e64 s[4:5], s21, v3
                                        ; implicit-def: $agpr34
	s_and_saveexec_b64 s[22:23], s[4:5]
	s_xor_b64 s[4:5], exec, s[22:23]
; %bb.277:                              ;   in Loop: Header=BB152_47 Depth=1
	v_bfe_u32 v3, v2, 16, 1
	v_add3_u32 v2, v2, v3, s24
	v_accvgpr_write_b32 a34, v2
                                        ; implicit-def: $vgpr2
; %bb.278:                              ;   in Loop: Header=BB152_47 Depth=1
	s_andn2_saveexec_b64 s[22:23], s[4:5]
; %bb.279:                              ;   in Loop: Header=BB152_47 Depth=1
	v_or_b32_e32 v3, 0x10000, v2
	v_cmp_eq_u32_sdwa s[4:5], v2, v23 src0_sel:WORD_0 src1_sel:DWORD
	s_nop 1
	v_cndmask_b32_e64 v2, v3, v2, s[4:5]
	v_accvgpr_write_b32 a34, v2
; %bb.280:                              ;   in Loop: Header=BB152_47 Depth=1
	s_or_b64 exec, exec, s[22:23]
	v_lshlrev_b32_e32 v2, 16, v8
	v_mul_f32_e32 v2, v41, v2
	v_and_b32_e32 v3, 0x7f800000, v2
	v_cmp_ne_u32_e64 s[4:5], s21, v3
                                        ; implicit-def: $agpr35
	s_and_saveexec_b64 s[22:23], s[4:5]
	s_xor_b64 s[4:5], exec, s[22:23]
; %bb.281:                              ;   in Loop: Header=BB152_47 Depth=1
	v_bfe_u32 v3, v2, 16, 1
	v_add3_u32 v2, v2, v3, s24
	v_accvgpr_write_b32 a35, v2
                                        ; implicit-def: $vgpr2
; %bb.282:                              ;   in Loop: Header=BB152_47 Depth=1
	s_andn2_saveexec_b64 s[22:23], s[4:5]
; %bb.283:                              ;   in Loop: Header=BB152_47 Depth=1
	v_or_b32_e32 v3, 0x10000, v2
	v_cmp_eq_u32_sdwa s[4:5], v2, v23 src0_sel:WORD_0 src1_sel:DWORD
	s_nop 1
	v_cndmask_b32_e64 v2, v3, v2, s[4:5]
	v_accvgpr_write_b32 a35, v2
; %bb.284:                              ;   in Loop: Header=BB152_47 Depth=1
	s_or_b64 exec, exec, s[22:23]
	scratch_load_dwordx2 v[2:3], off, s32 offset:300 ; 8-byte Folded Reload
	s_waitcnt vmcnt(0)
	v_mov_b32_e32 v3, v23
	v_mov_b32_e32 v4, v2
	v_lshl_add_u64 v[2:3], v[6:7], 0, v[2:3]
	scratch_store_dwordx2 off, v[4:5], s32 offset:300 ; 8-byte Folded Spill
	flat_load_dwordx4 v[2:5], v[2:3]
	s_waitcnt vmcnt(0) lgkmcnt(0)
	v_lshrrev_b32_e32 v13, 16, v2
	v_lshrrev_b32_e32 v12, 16, v3
	;; [unrolled: 1-line block ×4, first 2 shown]
	s_and_saveexec_b64 s[22:23], vcc
	s_cbranch_execz .LBB152_286
; %bb.285:                              ;   in Loop: Header=BB152_47 Depth=1
	v_cmp_lt_i32_e64 s[4:5], v29, v48
	v_accvgpr_read_b32 v14, a13
	s_nop 0
	v_cndmask_b32_e64 v2, 0, v2, s[4:5]
	v_cmp_lt_i32_e64 s[4:5], v1, v48
	s_nop 1
	v_cndmask_b32_e64 v13, 0, v13, s[4:5]
	v_cmp_lt_i32_e64 s[4:5], v0, v48
	;; [unrolled: 3-line block ×3, first 2 shown]
	v_accvgpr_read_b32 v14, a15
	s_nop 0
	v_cndmask_b32_e64 v12, 0, v12, s[4:5]
	v_cmp_lt_i32_e64 s[4:5], v14, v48
	v_accvgpr_read_b32 v14, a14
	s_nop 0
	v_cndmask_b32_e64 v4, 0, v4, s[4:5]
	v_cmp_lt_i32_e64 s[4:5], v14, v48
	;; [unrolled: 4-line block ×4, first 2 shown]
	s_nop 1
	v_cndmask_b32_e64 v8, 0, v8, s[4:5]
.LBB152_286:                            ;   in Loop: Header=BB152_47 Depth=1
	s_or_b64 exec, exec, s[22:23]
	v_lshlrev_b32_e32 v2, 16, v2
	v_mul_f32_e32 v2, v50, v2
	v_and_b32_e32 v14, 0x7f800000, v2
	v_cmp_ne_u32_e64 s[4:5], s21, v14
                                        ; implicit-def: $agpr24
	s_and_saveexec_b64 s[22:23], s[4:5]
	s_xor_b64 s[4:5], exec, s[22:23]
; %bb.287:                              ;   in Loop: Header=BB152_47 Depth=1
	v_bfe_u32 v14, v2, 16, 1
	v_add3_u32 v2, v2, v14, s24
	v_accvgpr_write_b32 a24, v2
                                        ; implicit-def: $vgpr2
; %bb.288:                              ;   in Loop: Header=BB152_47 Depth=1
	s_andn2_saveexec_b64 s[22:23], s[4:5]
; %bb.289:                              ;   in Loop: Header=BB152_47 Depth=1
	v_or_b32_e32 v14, 0x10000, v2
	v_cmp_eq_u32_sdwa s[4:5], v2, v23 src0_sel:WORD_0 src1_sel:DWORD
	s_nop 1
	v_cndmask_b32_e64 v2, v14, v2, s[4:5]
	v_accvgpr_write_b32 a24, v2
; %bb.290:                              ;   in Loop: Header=BB152_47 Depth=1
	s_or_b64 exec, exec, s[22:23]
	v_lshlrev_b32_e32 v2, 16, v13
	v_mul_f32_e32 v2, v51, v2
	v_and_b32_e32 v13, 0x7f800000, v2
	v_cmp_ne_u32_e64 s[4:5], s21, v13
                                        ; implicit-def: $agpr25
	s_and_saveexec_b64 s[22:23], s[4:5]
	s_xor_b64 s[4:5], exec, s[22:23]
; %bb.291:                              ;   in Loop: Header=BB152_47 Depth=1
	v_bfe_u32 v13, v2, 16, 1
	v_add3_u32 v2, v2, v13, s24
	v_accvgpr_write_b32 a25, v2
                                        ; implicit-def: $vgpr2
; %bb.292:                              ;   in Loop: Header=BB152_47 Depth=1
	s_andn2_saveexec_b64 s[22:23], s[4:5]
; %bb.293:                              ;   in Loop: Header=BB152_47 Depth=1
	v_or_b32_e32 v13, 0x10000, v2
	v_cmp_eq_u32_sdwa s[4:5], v2, v23 src0_sel:WORD_0 src1_sel:DWORD
	s_nop 1
	v_cndmask_b32_e64 v2, v13, v2, s[4:5]
	v_accvgpr_write_b32 a25, v2
; %bb.294:                              ;   in Loop: Header=BB152_47 Depth=1
	s_or_b64 exec, exec, s[22:23]
	v_lshlrev_b32_e32 v2, 16, v3
	v_mul_f32_e32 v2, v52, v2
	v_and_b32_e32 v3, 0x7f800000, v2
	v_cmp_ne_u32_e64 s[4:5], s21, v3
                                        ; implicit-def: $agpr30
	s_and_saveexec_b64 s[22:23], s[4:5]
	s_xor_b64 s[4:5], exec, s[22:23]
; %bb.295:                              ;   in Loop: Header=BB152_47 Depth=1
	v_bfe_u32 v3, v2, 16, 1
	v_add3_u32 v2, v2, v3, s24
	v_accvgpr_write_b32 a30, v2
                                        ; implicit-def: $vgpr2
; %bb.296:                              ;   in Loop: Header=BB152_47 Depth=1
	s_andn2_saveexec_b64 s[22:23], s[4:5]
; %bb.297:                              ;   in Loop: Header=BB152_47 Depth=1
	v_or_b32_e32 v3, 0x10000, v2
	v_cmp_eq_u32_sdwa s[4:5], v2, v23 src0_sel:WORD_0 src1_sel:DWORD
	s_nop 1
	v_cndmask_b32_e64 v2, v3, v2, s[4:5]
	v_accvgpr_write_b32 a30, v2
; %bb.298:                              ;   in Loop: Header=BB152_47 Depth=1
	s_or_b64 exec, exec, s[22:23]
	v_lshlrev_b32_e32 v2, 16, v12
	v_mul_f32_e32 v2, v53, v2
	v_and_b32_e32 v3, 0x7f800000, v2
	v_cmp_ne_u32_e64 s[4:5], s21, v3
                                        ; implicit-def: $agpr31
	s_and_saveexec_b64 s[22:23], s[4:5]
	s_xor_b64 s[4:5], exec, s[22:23]
; %bb.299:                              ;   in Loop: Header=BB152_47 Depth=1
	v_bfe_u32 v3, v2, 16, 1
	v_add3_u32 v2, v2, v3, s24
	v_accvgpr_write_b32 a31, v2
                                        ; implicit-def: $vgpr2
; %bb.300:                              ;   in Loop: Header=BB152_47 Depth=1
	s_andn2_saveexec_b64 s[22:23], s[4:5]
; %bb.301:                              ;   in Loop: Header=BB152_47 Depth=1
	v_or_b32_e32 v3, 0x10000, v2
	v_cmp_eq_u32_sdwa s[4:5], v2, v23 src0_sel:WORD_0 src1_sel:DWORD
	s_nop 1
	v_cndmask_b32_e64 v2, v3, v2, s[4:5]
	v_accvgpr_write_b32 a31, v2
; %bb.302:                              ;   in Loop: Header=BB152_47 Depth=1
	s_or_b64 exec, exec, s[22:23]
	v_lshlrev_b32_e32 v2, 16, v4
	v_mul_f32_e32 v2, v54, v2
	v_and_b32_e32 v3, 0x7f800000, v2
	v_cmp_ne_u32_e64 s[4:5], s21, v3
                                        ; implicit-def: $agpr20
	s_and_saveexec_b64 s[22:23], s[4:5]
	s_xor_b64 s[4:5], exec, s[22:23]
; %bb.303:                              ;   in Loop: Header=BB152_47 Depth=1
	v_bfe_u32 v3, v2, 16, 1
	v_add3_u32 v2, v2, v3, s24
	v_accvgpr_write_b32 a20, v2
                                        ; implicit-def: $vgpr2
; %bb.304:                              ;   in Loop: Header=BB152_47 Depth=1
	s_andn2_saveexec_b64 s[22:23], s[4:5]
; %bb.305:                              ;   in Loop: Header=BB152_47 Depth=1
	v_or_b32_e32 v3, 0x10000, v2
	v_cmp_eq_u32_sdwa s[4:5], v2, v23 src0_sel:WORD_0 src1_sel:DWORD
	s_nop 1
	v_cndmask_b32_e64 v2, v3, v2, s[4:5]
	v_accvgpr_write_b32 a20, v2
; %bb.306:                              ;   in Loop: Header=BB152_47 Depth=1
	s_or_b64 exec, exec, s[22:23]
	v_lshlrev_b32_e32 v2, 16, v9
	v_mul_f32_e32 v2, v55, v2
	v_and_b32_e32 v3, 0x7f800000, v2
	v_cmp_ne_u32_e64 s[4:5], s21, v3
                                        ; implicit-def: $agpr21
	s_and_saveexec_b64 s[22:23], s[4:5]
	s_xor_b64 s[4:5], exec, s[22:23]
; %bb.307:                              ;   in Loop: Header=BB152_47 Depth=1
	v_bfe_u32 v3, v2, 16, 1
	v_add3_u32 v2, v2, v3, s24
	v_accvgpr_write_b32 a21, v2
                                        ; implicit-def: $vgpr2
; %bb.308:                              ;   in Loop: Header=BB152_47 Depth=1
	s_andn2_saveexec_b64 s[22:23], s[4:5]
; %bb.309:                              ;   in Loop: Header=BB152_47 Depth=1
	v_or_b32_e32 v3, 0x10000, v2
	v_cmp_eq_u32_sdwa s[4:5], v2, v23 src0_sel:WORD_0 src1_sel:DWORD
	s_nop 1
	v_cndmask_b32_e64 v2, v3, v2, s[4:5]
	v_accvgpr_write_b32 a21, v2
; %bb.310:                              ;   in Loop: Header=BB152_47 Depth=1
	s_or_b64 exec, exec, s[22:23]
	v_lshlrev_b32_e32 v2, 16, v5
	v_mul_f32_e32 v2, v40, v2
	v_and_b32_e32 v3, 0x7f800000, v2
	v_cmp_ne_u32_e64 s[4:5], s21, v3
                                        ; implicit-def: $agpr11
	s_and_saveexec_b64 s[22:23], s[4:5]
	s_xor_b64 s[4:5], exec, s[22:23]
; %bb.311:                              ;   in Loop: Header=BB152_47 Depth=1
	v_bfe_u32 v3, v2, 16, 1
	v_add3_u32 v2, v2, v3, s24
	v_accvgpr_write_b32 a11, v2
                                        ; implicit-def: $vgpr2
; %bb.312:                              ;   in Loop: Header=BB152_47 Depth=1
	s_andn2_saveexec_b64 s[22:23], s[4:5]
; %bb.313:                              ;   in Loop: Header=BB152_47 Depth=1
	v_or_b32_e32 v3, 0x10000, v2
	v_cmp_eq_u32_sdwa s[4:5], v2, v23 src0_sel:WORD_0 src1_sel:DWORD
	s_nop 1
	v_cndmask_b32_e64 v2, v3, v2, s[4:5]
	v_accvgpr_write_b32 a11, v2
; %bb.314:                              ;   in Loop: Header=BB152_47 Depth=1
	s_or_b64 exec, exec, s[22:23]
	v_lshlrev_b32_e32 v2, 16, v8
	v_mul_f32_e32 v2, v41, v2
	v_and_b32_e32 v3, 0x7f800000, v2
	v_cmp_ne_u32_e64 s[4:5], s21, v3
                                        ; implicit-def: $agpr37
	s_and_saveexec_b64 s[22:23], s[4:5]
	s_xor_b64 s[4:5], exec, s[22:23]
; %bb.315:                              ;   in Loop: Header=BB152_47 Depth=1
	v_bfe_u32 v3, v2, 16, 1
	v_add3_u32 v2, v2, v3, s24
	v_accvgpr_write_b32 a37, v2
                                        ; implicit-def: $vgpr2
; %bb.316:                              ;   in Loop: Header=BB152_47 Depth=1
	s_andn2_saveexec_b64 s[22:23], s[4:5]
; %bb.317:                              ;   in Loop: Header=BB152_47 Depth=1
	v_or_b32_e32 v3, 0x10000, v2
	v_cmp_eq_u32_sdwa s[4:5], v2, v23 src0_sel:WORD_0 src1_sel:DWORD
	s_nop 1
	v_cndmask_b32_e64 v2, v3, v2, s[4:5]
	v_accvgpr_write_b32 a37, v2
; %bb.318:                              ;   in Loop: Header=BB152_47 Depth=1
	s_or_b64 exec, exec, s[22:23]
	scratch_load_dwordx2 v[2:3], off, s32 offset:308 ; 8-byte Folded Reload
	s_waitcnt vmcnt(0)
	v_mov_b32_e32 v3, v23
	v_mov_b32_e32 v4, v2
	v_lshl_add_u64 v[2:3], v[6:7], 0, v[2:3]
	scratch_store_dwordx2 off, v[4:5], s32 offset:308 ; 8-byte Folded Spill
	flat_load_dwordx4 v[2:5], v[2:3]
	s_waitcnt vmcnt(0) lgkmcnt(0)
	v_lshrrev_b32_e32 v13, 16, v2
	v_lshrrev_b32_e32 v12, 16, v3
	;; [unrolled: 1-line block ×4, first 2 shown]
	s_and_saveexec_b64 s[22:23], vcc
	s_cbranch_execz .LBB152_320
; %bb.319:                              ;   in Loop: Header=BB152_47 Depth=1
	v_cmp_lt_i32_e64 s[4:5], v29, v48
	v_accvgpr_read_b32 v14, a13
	s_nop 0
	v_cndmask_b32_e64 v2, 0, v2, s[4:5]
	v_cmp_lt_i32_e64 s[4:5], v1, v48
	s_nop 1
	v_cndmask_b32_e64 v13, 0, v13, s[4:5]
	v_cmp_lt_i32_e64 s[4:5], v0, v48
	;; [unrolled: 3-line block ×3, first 2 shown]
	v_accvgpr_read_b32 v14, a15
	s_nop 0
	v_cndmask_b32_e64 v12, 0, v12, s[4:5]
	v_cmp_lt_i32_e64 s[4:5], v14, v48
	v_accvgpr_read_b32 v14, a14
	s_nop 0
	v_cndmask_b32_e64 v4, 0, v4, s[4:5]
	v_cmp_lt_i32_e64 s[4:5], v14, v48
	;; [unrolled: 4-line block ×4, first 2 shown]
	s_nop 1
	v_cndmask_b32_e64 v8, 0, v8, s[4:5]
.LBB152_320:                            ;   in Loop: Header=BB152_47 Depth=1
	s_or_b64 exec, exec, s[22:23]
	v_lshlrev_b32_e32 v2, 16, v2
	v_mul_f32_e32 v2, v50, v2
	v_and_b32_e32 v14, 0x7f800000, v2
	v_cmp_ne_u32_e64 s[4:5], s21, v14
                                        ; implicit-def: $agpr39
	s_and_saveexec_b64 s[22:23], s[4:5]
	s_xor_b64 s[4:5], exec, s[22:23]
; %bb.321:                              ;   in Loop: Header=BB152_47 Depth=1
	v_bfe_u32 v14, v2, 16, 1
	v_add3_u32 v2, v2, v14, s24
	v_accvgpr_write_b32 a39, v2
                                        ; implicit-def: $vgpr2
; %bb.322:                              ;   in Loop: Header=BB152_47 Depth=1
	s_andn2_saveexec_b64 s[22:23], s[4:5]
; %bb.323:                              ;   in Loop: Header=BB152_47 Depth=1
	v_or_b32_e32 v14, 0x10000, v2
	v_cmp_eq_u32_sdwa s[4:5], v2, v23 src0_sel:WORD_0 src1_sel:DWORD
	s_nop 1
	v_cndmask_b32_e64 v2, v14, v2, s[4:5]
	v_accvgpr_write_b32 a39, v2
; %bb.324:                              ;   in Loop: Header=BB152_47 Depth=1
	s_or_b64 exec, exec, s[22:23]
	v_lshlrev_b32_e32 v2, 16, v13
	v_mul_f32_e32 v2, v51, v2
	v_and_b32_e32 v13, 0x7f800000, v2
	v_cmp_ne_u32_e64 s[4:5], s21, v13
                                        ; implicit-def: $agpr41
	s_and_saveexec_b64 s[22:23], s[4:5]
	s_xor_b64 s[4:5], exec, s[22:23]
; %bb.325:                              ;   in Loop: Header=BB152_47 Depth=1
	v_bfe_u32 v13, v2, 16, 1
	v_add3_u32 v2, v2, v13, s24
	v_accvgpr_write_b32 a41, v2
                                        ; implicit-def: $vgpr2
; %bb.326:                              ;   in Loop: Header=BB152_47 Depth=1
	s_andn2_saveexec_b64 s[22:23], s[4:5]
; %bb.327:                              ;   in Loop: Header=BB152_47 Depth=1
	v_or_b32_e32 v13, 0x10000, v2
	v_cmp_eq_u32_sdwa s[4:5], v2, v23 src0_sel:WORD_0 src1_sel:DWORD
	s_nop 1
	v_cndmask_b32_e64 v2, v13, v2, s[4:5]
	v_accvgpr_write_b32 a41, v2
; %bb.328:                              ;   in Loop: Header=BB152_47 Depth=1
	s_or_b64 exec, exec, s[22:23]
	v_lshlrev_b32_e32 v2, 16, v3
	v_mul_f32_e32 v2, v52, v2
	v_and_b32_e32 v3, 0x7f800000, v2
	v_cmp_ne_u32_e64 s[4:5], s21, v3
                                        ; implicit-def: $agpr16
	s_and_saveexec_b64 s[22:23], s[4:5]
	s_xor_b64 s[4:5], exec, s[22:23]
; %bb.329:                              ;   in Loop: Header=BB152_47 Depth=1
	v_bfe_u32 v3, v2, 16, 1
	v_add3_u32 v2, v2, v3, s24
	v_accvgpr_write_b32 a16, v2
                                        ; implicit-def: $vgpr2
; %bb.330:                              ;   in Loop: Header=BB152_47 Depth=1
	s_andn2_saveexec_b64 s[22:23], s[4:5]
; %bb.331:                              ;   in Loop: Header=BB152_47 Depth=1
	v_or_b32_e32 v3, 0x10000, v2
	v_cmp_eq_u32_sdwa s[4:5], v2, v23 src0_sel:WORD_0 src1_sel:DWORD
	s_nop 1
	v_cndmask_b32_e64 v2, v3, v2, s[4:5]
	v_accvgpr_write_b32 a16, v2
; %bb.332:                              ;   in Loop: Header=BB152_47 Depth=1
	s_or_b64 exec, exec, s[22:23]
	v_lshlrev_b32_e32 v2, 16, v12
	v_mul_f32_e32 v2, v53, v2
	v_and_b32_e32 v3, 0x7f800000, v2
	v_cmp_ne_u32_e64 s[4:5], s21, v3
                                        ; implicit-def: $agpr17
	s_and_saveexec_b64 s[22:23], s[4:5]
	s_xor_b64 s[4:5], exec, s[22:23]
; %bb.333:                              ;   in Loop: Header=BB152_47 Depth=1
	v_bfe_u32 v3, v2, 16, 1
	v_add3_u32 v2, v2, v3, s24
	v_accvgpr_write_b32 a17, v2
                                        ; implicit-def: $vgpr2
; %bb.334:                              ;   in Loop: Header=BB152_47 Depth=1
	s_andn2_saveexec_b64 s[22:23], s[4:5]
; %bb.335:                              ;   in Loop: Header=BB152_47 Depth=1
	v_or_b32_e32 v3, 0x10000, v2
	v_cmp_eq_u32_sdwa s[4:5], v2, v23 src0_sel:WORD_0 src1_sel:DWORD
	s_nop 1
	v_cndmask_b32_e64 v2, v3, v2, s[4:5]
	v_accvgpr_write_b32 a17, v2
; %bb.336:                              ;   in Loop: Header=BB152_47 Depth=1
	s_or_b64 exec, exec, s[22:23]
	v_lshlrev_b32_e32 v2, 16, v4
	v_mul_f32_e32 v2, v54, v2
	v_and_b32_e32 v3, 0x7f800000, v2
	v_cmp_ne_u32_e64 s[4:5], s21, v3
                                        ; implicit-def: $agpr43
	s_and_saveexec_b64 s[22:23], s[4:5]
	s_xor_b64 s[4:5], exec, s[22:23]
; %bb.337:                              ;   in Loop: Header=BB152_47 Depth=1
	v_bfe_u32 v3, v2, 16, 1
	v_add3_u32 v2, v2, v3, s24
	v_accvgpr_write_b32 a43, v2
                                        ; implicit-def: $vgpr2
; %bb.338:                              ;   in Loop: Header=BB152_47 Depth=1
	s_andn2_saveexec_b64 s[22:23], s[4:5]
; %bb.339:                              ;   in Loop: Header=BB152_47 Depth=1
	v_or_b32_e32 v3, 0x10000, v2
	v_cmp_eq_u32_sdwa s[4:5], v2, v23 src0_sel:WORD_0 src1_sel:DWORD
	s_nop 1
	v_cndmask_b32_e64 v2, v3, v2, s[4:5]
	v_accvgpr_write_b32 a43, v2
; %bb.340:                              ;   in Loop: Header=BB152_47 Depth=1
	s_or_b64 exec, exec, s[22:23]
	v_lshlrev_b32_e32 v2, 16, v9
	v_mul_f32_e32 v2, v55, v2
	v_and_b32_e32 v3, 0x7f800000, v2
	v_cmp_ne_u32_e64 s[4:5], s21, v3
                                        ; implicit-def: $agpr45
	s_and_saveexec_b64 s[22:23], s[4:5]
	s_xor_b64 s[4:5], exec, s[22:23]
; %bb.341:                              ;   in Loop: Header=BB152_47 Depth=1
	v_bfe_u32 v3, v2, 16, 1
	v_add3_u32 v2, v2, v3, s24
	v_accvgpr_write_b32 a45, v2
                                        ; implicit-def: $vgpr2
; %bb.342:                              ;   in Loop: Header=BB152_47 Depth=1
	s_andn2_saveexec_b64 s[22:23], s[4:5]
; %bb.343:                              ;   in Loop: Header=BB152_47 Depth=1
	v_or_b32_e32 v3, 0x10000, v2
	v_cmp_eq_u32_sdwa s[4:5], v2, v23 src0_sel:WORD_0 src1_sel:DWORD
	s_nop 1
	v_cndmask_b32_e64 v2, v3, v2, s[4:5]
	v_accvgpr_write_b32 a45, v2
; %bb.344:                              ;   in Loop: Header=BB152_47 Depth=1
	s_or_b64 exec, exec, s[22:23]
	v_lshlrev_b32_e32 v2, 16, v5
	v_mul_f32_e32 v2, v40, v2
	v_and_b32_e32 v3, 0x7f800000, v2
	v_cmp_ne_u32_e64 s[4:5], s21, v3
                                        ; implicit-def: $agpr47
	s_and_saveexec_b64 s[22:23], s[4:5]
	s_xor_b64 s[4:5], exec, s[22:23]
; %bb.345:                              ;   in Loop: Header=BB152_47 Depth=1
	v_bfe_u32 v3, v2, 16, 1
	v_add3_u32 v2, v2, v3, s24
	v_accvgpr_write_b32 a47, v2
                                        ; implicit-def: $vgpr2
; %bb.346:                              ;   in Loop: Header=BB152_47 Depth=1
	s_andn2_saveexec_b64 s[22:23], s[4:5]
; %bb.347:                              ;   in Loop: Header=BB152_47 Depth=1
	v_or_b32_e32 v3, 0x10000, v2
	v_cmp_eq_u32_sdwa s[4:5], v2, v23 src0_sel:WORD_0 src1_sel:DWORD
	s_nop 1
	v_cndmask_b32_e64 v2, v3, v2, s[4:5]
	v_accvgpr_write_b32 a47, v2
; %bb.348:                              ;   in Loop: Header=BB152_47 Depth=1
	s_or_b64 exec, exec, s[22:23]
	v_lshlrev_b32_e32 v2, 16, v8
	v_mul_f32_e32 v2, v41, v2
	v_and_b32_e32 v3, 0x7f800000, v2
	v_cmp_ne_u32_e64 s[4:5], s21, v3
                                        ; implicit-def: $agpr49
	s_and_saveexec_b64 s[22:23], s[4:5]
	s_xor_b64 s[4:5], exec, s[22:23]
; %bb.349:                              ;   in Loop: Header=BB152_47 Depth=1
	v_bfe_u32 v3, v2, 16, 1
	v_add3_u32 v2, v2, v3, s24
	v_accvgpr_write_b32 a49, v2
                                        ; implicit-def: $vgpr2
; %bb.350:                              ;   in Loop: Header=BB152_47 Depth=1
	s_andn2_saveexec_b64 s[22:23], s[4:5]
; %bb.351:                              ;   in Loop: Header=BB152_47 Depth=1
	v_or_b32_e32 v3, 0x10000, v2
	v_cmp_eq_u32_sdwa s[4:5], v2, v23 src0_sel:WORD_0 src1_sel:DWORD
	s_nop 1
	v_cndmask_b32_e64 v2, v3, v2, s[4:5]
	v_accvgpr_write_b32 a49, v2
; %bb.352:                              ;   in Loop: Header=BB152_47 Depth=1
	s_or_b64 exec, exec, s[22:23]
	scratch_load_dwordx2 v[2:3], off, s32 offset:316 ; 8-byte Folded Reload
	s_waitcnt vmcnt(0)
	v_mov_b32_e32 v3, v23
	v_mov_b32_e32 v4, v2
	v_lshl_add_u64 v[2:3], v[6:7], 0, v[2:3]
	scratch_store_dwordx2 off, v[4:5], s32 offset:316 ; 8-byte Folded Spill
	flat_load_dwordx4 v[2:5], v[2:3]
	s_waitcnt vmcnt(0) lgkmcnt(0)
	v_lshrrev_b32_e32 v13, 16, v2
	v_lshrrev_b32_e32 v12, 16, v3
	;; [unrolled: 1-line block ×4, first 2 shown]
	s_and_saveexec_b64 s[22:23], vcc
	s_cbranch_execz .LBB152_354
; %bb.353:                              ;   in Loop: Header=BB152_47 Depth=1
	v_cmp_lt_i32_e64 s[4:5], v29, v48
	v_accvgpr_read_b32 v14, a13
	s_nop 0
	v_cndmask_b32_e64 v2, 0, v2, s[4:5]
	v_cmp_lt_i32_e64 s[4:5], v1, v48
	s_nop 1
	v_cndmask_b32_e64 v13, 0, v13, s[4:5]
	v_cmp_lt_i32_e64 s[4:5], v0, v48
	s_nop 1
	v_cndmask_b32_e64 v3, 0, v3, s[4:5]
	v_cmp_lt_i32_e64 s[4:5], v14, v48
	v_accvgpr_read_b32 v14, a15
	s_nop 0
	v_cndmask_b32_e64 v12, 0, v12, s[4:5]
	v_cmp_lt_i32_e64 s[4:5], v14, v48
	v_accvgpr_read_b32 v14, a14
	s_nop 0
	v_cndmask_b32_e64 v4, 0, v4, s[4:5]
	v_cmp_lt_i32_e64 s[4:5], v14, v48
	;; [unrolled: 4-line block ×4, first 2 shown]
	s_nop 1
	v_cndmask_b32_e64 v8, 0, v8, s[4:5]
.LBB152_354:                            ;   in Loop: Header=BB152_47 Depth=1
	s_or_b64 exec, exec, s[22:23]
	v_lshlrev_b32_e32 v2, 16, v2
	v_mul_f32_e32 v2, v50, v2
	v_and_b32_e32 v14, 0x7f800000, v2
	v_cmp_ne_u32_e64 s[4:5], s21, v14
                                        ; implicit-def: $agpr51
	s_and_saveexec_b64 s[22:23], s[4:5]
	s_xor_b64 s[4:5], exec, s[22:23]
; %bb.355:                              ;   in Loop: Header=BB152_47 Depth=1
	v_bfe_u32 v14, v2, 16, 1
	v_add3_u32 v2, v2, v14, s24
	v_accvgpr_write_b32 a51, v2
                                        ; implicit-def: $vgpr2
; %bb.356:                              ;   in Loop: Header=BB152_47 Depth=1
	s_andn2_saveexec_b64 s[22:23], s[4:5]
; %bb.357:                              ;   in Loop: Header=BB152_47 Depth=1
	v_or_b32_e32 v14, 0x10000, v2
	v_cmp_eq_u32_sdwa s[4:5], v2, v23 src0_sel:WORD_0 src1_sel:DWORD
	s_nop 1
	v_cndmask_b32_e64 v2, v14, v2, s[4:5]
	v_accvgpr_write_b32 a51, v2
; %bb.358:                              ;   in Loop: Header=BB152_47 Depth=1
	s_or_b64 exec, exec, s[22:23]
	v_lshlrev_b32_e32 v2, 16, v13
	v_mul_f32_e32 v2, v51, v2
	v_and_b32_e32 v13, 0x7f800000, v2
	v_cmp_ne_u32_e64 s[4:5], s21, v13
                                        ; implicit-def: $agpr53
	s_and_saveexec_b64 s[22:23], s[4:5]
	s_xor_b64 s[4:5], exec, s[22:23]
; %bb.359:                              ;   in Loop: Header=BB152_47 Depth=1
	v_bfe_u32 v13, v2, 16, 1
	v_add3_u32 v2, v2, v13, s24
	v_accvgpr_write_b32 a53, v2
                                        ; implicit-def: $vgpr2
; %bb.360:                              ;   in Loop: Header=BB152_47 Depth=1
	s_andn2_saveexec_b64 s[22:23], s[4:5]
; %bb.361:                              ;   in Loop: Header=BB152_47 Depth=1
	v_or_b32_e32 v13, 0x10000, v2
	v_cmp_eq_u32_sdwa s[4:5], v2, v23 src0_sel:WORD_0 src1_sel:DWORD
	s_nop 1
	v_cndmask_b32_e64 v2, v13, v2, s[4:5]
	v_accvgpr_write_b32 a53, v2
; %bb.362:                              ;   in Loop: Header=BB152_47 Depth=1
	s_or_b64 exec, exec, s[22:23]
	v_lshlrev_b32_e32 v2, 16, v3
	v_mul_f32_e32 v2, v52, v2
	v_and_b32_e32 v3, 0x7f800000, v2
	v_cmp_ne_u32_e64 s[4:5], s21, v3
                                        ; implicit-def: $agpr55
	s_and_saveexec_b64 s[22:23], s[4:5]
	s_xor_b64 s[4:5], exec, s[22:23]
; %bb.363:                              ;   in Loop: Header=BB152_47 Depth=1
	v_bfe_u32 v3, v2, 16, 1
	v_add3_u32 v2, v2, v3, s24
	v_accvgpr_write_b32 a55, v2
                                        ; implicit-def: $vgpr2
; %bb.364:                              ;   in Loop: Header=BB152_47 Depth=1
	s_andn2_saveexec_b64 s[22:23], s[4:5]
; %bb.365:                              ;   in Loop: Header=BB152_47 Depth=1
	v_or_b32_e32 v3, 0x10000, v2
	v_cmp_eq_u32_sdwa s[4:5], v2, v23 src0_sel:WORD_0 src1_sel:DWORD
	s_nop 1
	v_cndmask_b32_e64 v2, v3, v2, s[4:5]
	v_accvgpr_write_b32 a55, v2
; %bb.366:                              ;   in Loop: Header=BB152_47 Depth=1
	s_or_b64 exec, exec, s[22:23]
	v_lshlrev_b32_e32 v2, 16, v12
	v_mul_f32_e32 v2, v53, v2
	v_and_b32_e32 v3, 0x7f800000, v2
	v_cmp_ne_u32_e64 s[4:5], s21, v3
                                        ; implicit-def: $agpr57
	s_and_saveexec_b64 s[22:23], s[4:5]
	s_xor_b64 s[4:5], exec, s[22:23]
; %bb.367:                              ;   in Loop: Header=BB152_47 Depth=1
	v_bfe_u32 v3, v2, 16, 1
	v_add3_u32 v2, v2, v3, s24
	v_accvgpr_write_b32 a57, v2
                                        ; implicit-def: $vgpr2
; %bb.368:                              ;   in Loop: Header=BB152_47 Depth=1
	s_andn2_saveexec_b64 s[22:23], s[4:5]
; %bb.369:                              ;   in Loop: Header=BB152_47 Depth=1
	v_or_b32_e32 v3, 0x10000, v2
	v_cmp_eq_u32_sdwa s[4:5], v2, v23 src0_sel:WORD_0 src1_sel:DWORD
	s_nop 1
	v_cndmask_b32_e64 v2, v3, v2, s[4:5]
	v_accvgpr_write_b32 a57, v2
; %bb.370:                              ;   in Loop: Header=BB152_47 Depth=1
	s_or_b64 exec, exec, s[22:23]
	v_lshlrev_b32_e32 v2, 16, v4
	v_mul_f32_e32 v2, v54, v2
	v_and_b32_e32 v3, 0x7f800000, v2
	v_cmp_ne_u32_e64 s[4:5], s21, v3
                                        ; implicit-def: $agpr59
	s_and_saveexec_b64 s[22:23], s[4:5]
	s_xor_b64 s[4:5], exec, s[22:23]
; %bb.371:                              ;   in Loop: Header=BB152_47 Depth=1
	v_bfe_u32 v3, v2, 16, 1
	v_add3_u32 v2, v2, v3, s24
	v_accvgpr_write_b32 a59, v2
                                        ; implicit-def: $vgpr2
; %bb.372:                              ;   in Loop: Header=BB152_47 Depth=1
	s_andn2_saveexec_b64 s[22:23], s[4:5]
; %bb.373:                              ;   in Loop: Header=BB152_47 Depth=1
	v_or_b32_e32 v3, 0x10000, v2
	v_cmp_eq_u32_sdwa s[4:5], v2, v23 src0_sel:WORD_0 src1_sel:DWORD
	s_nop 1
	v_cndmask_b32_e64 v2, v3, v2, s[4:5]
	v_accvgpr_write_b32 a59, v2
; %bb.374:                              ;   in Loop: Header=BB152_47 Depth=1
	s_or_b64 exec, exec, s[22:23]
	v_lshlrev_b32_e32 v2, 16, v9
	v_mul_f32_e32 v2, v55, v2
	v_and_b32_e32 v3, 0x7f800000, v2
	v_cmp_ne_u32_e64 s[4:5], s21, v3
                                        ; implicit-def: $agpr61
	s_and_saveexec_b64 s[22:23], s[4:5]
	s_xor_b64 s[4:5], exec, s[22:23]
; %bb.375:                              ;   in Loop: Header=BB152_47 Depth=1
	v_bfe_u32 v3, v2, 16, 1
	v_add3_u32 v2, v2, v3, s24
	v_accvgpr_write_b32 a61, v2
                                        ; implicit-def: $vgpr2
; %bb.376:                              ;   in Loop: Header=BB152_47 Depth=1
	s_andn2_saveexec_b64 s[22:23], s[4:5]
; %bb.377:                              ;   in Loop: Header=BB152_47 Depth=1
	v_or_b32_e32 v3, 0x10000, v2
	v_cmp_eq_u32_sdwa s[4:5], v2, v23 src0_sel:WORD_0 src1_sel:DWORD
	s_nop 1
	v_cndmask_b32_e64 v2, v3, v2, s[4:5]
	v_accvgpr_write_b32 a61, v2
; %bb.378:                              ;   in Loop: Header=BB152_47 Depth=1
	s_or_b64 exec, exec, s[22:23]
	v_lshlrev_b32_e32 v2, 16, v5
	v_mul_f32_e32 v2, v40, v2
	v_and_b32_e32 v3, 0x7f800000, v2
	v_cmp_ne_u32_e64 s[4:5], s21, v3
                                        ; implicit-def: $agpr0
	s_and_saveexec_b64 s[22:23], s[4:5]
	s_xor_b64 s[4:5], exec, s[22:23]
; %bb.379:                              ;   in Loop: Header=BB152_47 Depth=1
	v_bfe_u32 v3, v2, 16, 1
	v_add3_u32 v2, v2, v3, s24
	v_accvgpr_write_b32 a0, v2
                                        ; implicit-def: $vgpr2
; %bb.380:                              ;   in Loop: Header=BB152_47 Depth=1
	s_andn2_saveexec_b64 s[22:23], s[4:5]
; %bb.381:                              ;   in Loop: Header=BB152_47 Depth=1
	v_or_b32_e32 v3, 0x10000, v2
	v_cmp_eq_u32_sdwa s[4:5], v2, v23 src0_sel:WORD_0 src1_sel:DWORD
	s_nop 1
	v_cndmask_b32_e64 v2, v3, v2, s[4:5]
	v_accvgpr_write_b32 a0, v2
; %bb.382:                              ;   in Loop: Header=BB152_47 Depth=1
	s_or_b64 exec, exec, s[22:23]
	v_lshlrev_b32_e32 v2, 16, v8
	v_mul_f32_e32 v2, v41, v2
	v_and_b32_e32 v3, 0x7f800000, v2
	v_cmp_ne_u32_e64 s[4:5], s21, v3
                                        ; implicit-def: $agpr1
	s_and_saveexec_b64 s[22:23], s[4:5]
	s_xor_b64 s[4:5], exec, s[22:23]
; %bb.383:                              ;   in Loop: Header=BB152_47 Depth=1
	v_bfe_u32 v3, v2, 16, 1
	v_add3_u32 v2, v2, v3, s24
	v_accvgpr_write_b32 a1, v2
                                        ; implicit-def: $vgpr2
; %bb.384:                              ;   in Loop: Header=BB152_47 Depth=1
	s_andn2_saveexec_b64 s[22:23], s[4:5]
; %bb.385:                              ;   in Loop: Header=BB152_47 Depth=1
	v_or_b32_e32 v3, 0x10000, v2
	v_cmp_eq_u32_sdwa s[4:5], v2, v23 src0_sel:WORD_0 src1_sel:DWORD
	s_nop 1
	v_cndmask_b32_e64 v2, v3, v2, s[4:5]
	v_accvgpr_write_b32 a1, v2
; %bb.386:                              ;   in Loop: Header=BB152_47 Depth=1
	s_or_b64 exec, exec, s[22:23]
	scratch_load_dwordx2 v[2:3], off, s32 offset:324 ; 8-byte Folded Reload
	s_waitcnt vmcnt(0)
	v_mov_b32_e32 v3, v23
	v_mov_b32_e32 v4, v2
	v_lshl_add_u64 v[2:3], v[6:7], 0, v[2:3]
	scratch_store_dwordx2 off, v[4:5], s32 offset:324 ; 8-byte Folded Spill
	flat_load_dwordx4 v[2:5], v[2:3]
	s_waitcnt vmcnt(0) lgkmcnt(0)
	v_lshrrev_b32_e32 v13, 16, v2
	v_lshrrev_b32_e32 v12, 16, v3
	;; [unrolled: 1-line block ×4, first 2 shown]
	s_and_saveexec_b64 s[22:23], vcc
	s_cbranch_execz .LBB152_388
; %bb.387:                              ;   in Loop: Header=BB152_47 Depth=1
	v_cmp_lt_i32_e64 s[4:5], v29, v48
	v_accvgpr_read_b32 v14, a13
	s_nop 0
	v_cndmask_b32_e64 v2, 0, v2, s[4:5]
	v_cmp_lt_i32_e64 s[4:5], v1, v48
	s_nop 1
	v_cndmask_b32_e64 v13, 0, v13, s[4:5]
	v_cmp_lt_i32_e64 s[4:5], v0, v48
	;; [unrolled: 3-line block ×3, first 2 shown]
	v_accvgpr_read_b32 v14, a15
	s_nop 0
	v_cndmask_b32_e64 v12, 0, v12, s[4:5]
	v_cmp_lt_i32_e64 s[4:5], v14, v48
	v_accvgpr_read_b32 v14, a14
	s_nop 0
	v_cndmask_b32_e64 v4, 0, v4, s[4:5]
	v_cmp_lt_i32_e64 s[4:5], v14, v48
	;; [unrolled: 4-line block ×4, first 2 shown]
	s_nop 1
	v_cndmask_b32_e64 v8, 0, v8, s[4:5]
.LBB152_388:                            ;   in Loop: Header=BB152_47 Depth=1
	s_or_b64 exec, exec, s[22:23]
	v_lshlrev_b32_e32 v2, 16, v2
	v_mul_f32_e32 v2, v50, v2
	v_and_b32_e32 v14, 0x7f800000, v2
	v_cmp_ne_u32_e64 s[4:5], s21, v14
                                        ; implicit-def: $agpr2
	s_and_saveexec_b64 s[22:23], s[4:5]
	s_xor_b64 s[4:5], exec, s[22:23]
; %bb.389:                              ;   in Loop: Header=BB152_47 Depth=1
	v_bfe_u32 v14, v2, 16, 1
	v_add3_u32 v2, v2, v14, s24
	v_accvgpr_write_b32 a2, v2
                                        ; implicit-def: $vgpr2
; %bb.390:                              ;   in Loop: Header=BB152_47 Depth=1
	s_andn2_saveexec_b64 s[22:23], s[4:5]
; %bb.391:                              ;   in Loop: Header=BB152_47 Depth=1
	v_or_b32_e32 v14, 0x10000, v2
	v_cmp_eq_u32_sdwa s[4:5], v2, v23 src0_sel:WORD_0 src1_sel:DWORD
	s_nop 1
	v_cndmask_b32_e64 v2, v14, v2, s[4:5]
	v_accvgpr_write_b32 a2, v2
; %bb.392:                              ;   in Loop: Header=BB152_47 Depth=1
	s_or_b64 exec, exec, s[22:23]
	v_lshlrev_b32_e32 v2, 16, v13
	v_mul_f32_e32 v2, v51, v2
	v_and_b32_e32 v13, 0x7f800000, v2
	v_cmp_ne_u32_e64 s[4:5], s21, v13
                                        ; implicit-def: $agpr26
	s_and_saveexec_b64 s[22:23], s[4:5]
	s_xor_b64 s[4:5], exec, s[22:23]
; %bb.393:                              ;   in Loop: Header=BB152_47 Depth=1
	v_bfe_u32 v13, v2, 16, 1
	v_add3_u32 v2, v2, v13, s24
	v_accvgpr_write_b32 a26, v2
                                        ; implicit-def: $vgpr2
; %bb.394:                              ;   in Loop: Header=BB152_47 Depth=1
	s_andn2_saveexec_b64 s[22:23], s[4:5]
; %bb.395:                              ;   in Loop: Header=BB152_47 Depth=1
	v_or_b32_e32 v13, 0x10000, v2
	v_cmp_eq_u32_sdwa s[4:5], v2, v23 src0_sel:WORD_0 src1_sel:DWORD
	s_nop 1
	v_cndmask_b32_e64 v2, v13, v2, s[4:5]
	v_accvgpr_write_b32 a26, v2
; %bb.396:                              ;   in Loop: Header=BB152_47 Depth=1
	s_or_b64 exec, exec, s[22:23]
	v_lshlrev_b32_e32 v2, 16, v3
	v_mul_f32_e32 v2, v52, v2
	v_and_b32_e32 v3, 0x7f800000, v2
	v_cmp_ne_u32_e64 s[4:5], s21, v3
                                        ; implicit-def: $agpr27
	s_and_saveexec_b64 s[22:23], s[4:5]
	s_xor_b64 s[4:5], exec, s[22:23]
; %bb.397:                              ;   in Loop: Header=BB152_47 Depth=1
	v_bfe_u32 v3, v2, 16, 1
	v_add3_u32 v2, v2, v3, s24
	v_accvgpr_write_b32 a27, v2
                                        ; implicit-def: $vgpr2
; %bb.398:                              ;   in Loop: Header=BB152_47 Depth=1
	s_andn2_saveexec_b64 s[22:23], s[4:5]
; %bb.399:                              ;   in Loop: Header=BB152_47 Depth=1
	v_or_b32_e32 v3, 0x10000, v2
	v_cmp_eq_u32_sdwa s[4:5], v2, v23 src0_sel:WORD_0 src1_sel:DWORD
	s_nop 1
	v_cndmask_b32_e64 v2, v3, v2, s[4:5]
	v_accvgpr_write_b32 a27, v2
; %bb.400:                              ;   in Loop: Header=BB152_47 Depth=1
	s_or_b64 exec, exec, s[22:23]
	v_lshlrev_b32_e32 v2, 16, v12
	v_mul_f32_e32 v2, v53, v2
	v_and_b32_e32 v3, 0x7f800000, v2
	v_cmp_ne_u32_e64 s[4:5], s21, v3
                                        ; implicit-def: $agpr36
	s_and_saveexec_b64 s[22:23], s[4:5]
	s_xor_b64 s[4:5], exec, s[22:23]
; %bb.401:                              ;   in Loop: Header=BB152_47 Depth=1
	v_bfe_u32 v3, v2, 16, 1
	v_add3_u32 v2, v2, v3, s24
	v_accvgpr_write_b32 a36, v2
                                        ; implicit-def: $vgpr2
; %bb.402:                              ;   in Loop: Header=BB152_47 Depth=1
	s_andn2_saveexec_b64 s[22:23], s[4:5]
; %bb.403:                              ;   in Loop: Header=BB152_47 Depth=1
	v_or_b32_e32 v3, 0x10000, v2
	v_cmp_eq_u32_sdwa s[4:5], v2, v23 src0_sel:WORD_0 src1_sel:DWORD
	s_nop 1
	v_cndmask_b32_e64 v2, v3, v2, s[4:5]
	v_accvgpr_write_b32 a36, v2
; %bb.404:                              ;   in Loop: Header=BB152_47 Depth=1
	s_or_b64 exec, exec, s[22:23]
	v_lshlrev_b32_e32 v2, 16, v4
	v_mul_f32_e32 v2, v54, v2
	v_and_b32_e32 v3, 0x7f800000, v2
	v_cmp_ne_u32_e64 s[4:5], s21, v3
                                        ; implicit-def: $agpr28
	s_and_saveexec_b64 s[22:23], s[4:5]
	s_xor_b64 s[4:5], exec, s[22:23]
; %bb.405:                              ;   in Loop: Header=BB152_47 Depth=1
	v_bfe_u32 v3, v2, 16, 1
	v_add3_u32 v2, v2, v3, s24
	v_accvgpr_write_b32 a28, v2
                                        ; implicit-def: $vgpr2
; %bb.406:                              ;   in Loop: Header=BB152_47 Depth=1
	s_andn2_saveexec_b64 s[22:23], s[4:5]
; %bb.407:                              ;   in Loop: Header=BB152_47 Depth=1
	v_or_b32_e32 v3, 0x10000, v2
	v_cmp_eq_u32_sdwa s[4:5], v2, v23 src0_sel:WORD_0 src1_sel:DWORD
	s_nop 1
	v_cndmask_b32_e64 v2, v3, v2, s[4:5]
	v_accvgpr_write_b32 a28, v2
; %bb.408:                              ;   in Loop: Header=BB152_47 Depth=1
	s_or_b64 exec, exec, s[22:23]
	v_lshlrev_b32_e32 v2, 16, v9
	v_mul_f32_e32 v2, v55, v2
	v_and_b32_e32 v3, 0x7f800000, v2
	v_cmp_ne_u32_e64 s[4:5], s21, v3
                                        ; implicit-def: $agpr29
	s_and_saveexec_b64 s[22:23], s[4:5]
	s_xor_b64 s[4:5], exec, s[22:23]
; %bb.409:                              ;   in Loop: Header=BB152_47 Depth=1
	v_bfe_u32 v3, v2, 16, 1
	v_add3_u32 v2, v2, v3, s24
	v_accvgpr_write_b32 a29, v2
                                        ; implicit-def: $vgpr2
; %bb.410:                              ;   in Loop: Header=BB152_47 Depth=1
	s_andn2_saveexec_b64 s[22:23], s[4:5]
; %bb.411:                              ;   in Loop: Header=BB152_47 Depth=1
	v_or_b32_e32 v3, 0x10000, v2
	v_cmp_eq_u32_sdwa s[4:5], v2, v23 src0_sel:WORD_0 src1_sel:DWORD
	s_nop 1
	v_cndmask_b32_e64 v2, v3, v2, s[4:5]
	v_accvgpr_write_b32 a29, v2
; %bb.412:                              ;   in Loop: Header=BB152_47 Depth=1
	s_or_b64 exec, exec, s[22:23]
	v_lshlrev_b32_e32 v2, 16, v5
	v_mul_f32_e32 v2, v40, v2
	v_and_b32_e32 v3, 0x7f800000, v2
	v_cmp_ne_u32_e64 s[4:5], s21, v3
                                        ; implicit-def: $agpr5
	s_and_saveexec_b64 s[22:23], s[4:5]
	s_xor_b64 s[4:5], exec, s[22:23]
; %bb.413:                              ;   in Loop: Header=BB152_47 Depth=1
	v_bfe_u32 v3, v2, 16, 1
	v_add3_u32 v2, v2, v3, s24
	v_accvgpr_write_b32 a5, v2
                                        ; implicit-def: $vgpr2
; %bb.414:                              ;   in Loop: Header=BB152_47 Depth=1
	s_andn2_saveexec_b64 s[22:23], s[4:5]
; %bb.415:                              ;   in Loop: Header=BB152_47 Depth=1
	v_or_b32_e32 v3, 0x10000, v2
	v_cmp_eq_u32_sdwa s[4:5], v2, v23 src0_sel:WORD_0 src1_sel:DWORD
	s_nop 1
	v_cndmask_b32_e64 v2, v3, v2, s[4:5]
	v_accvgpr_write_b32 a5, v2
; %bb.416:                              ;   in Loop: Header=BB152_47 Depth=1
	s_or_b64 exec, exec, s[22:23]
	v_lshlrev_b32_e32 v2, 16, v8
	v_mul_f32_e32 v2, v41, v2
	v_and_b32_e32 v3, 0x7f800000, v2
	v_cmp_ne_u32_e64 s[4:5], s21, v3
                                        ; implicit-def: $agpr4
	s_and_saveexec_b64 s[22:23], s[4:5]
	s_xor_b64 s[4:5], exec, s[22:23]
; %bb.417:                              ;   in Loop: Header=BB152_47 Depth=1
	v_bfe_u32 v3, v2, 16, 1
	v_add3_u32 v2, v2, v3, s24
	v_accvgpr_write_b32 a4, v2
                                        ; implicit-def: $vgpr2
; %bb.418:                              ;   in Loop: Header=BB152_47 Depth=1
	s_andn2_saveexec_b64 s[22:23], s[4:5]
; %bb.419:                              ;   in Loop: Header=BB152_47 Depth=1
	v_or_b32_e32 v3, 0x10000, v2
	v_cmp_eq_u32_sdwa s[4:5], v2, v23 src0_sel:WORD_0 src1_sel:DWORD
	s_nop 1
	v_cndmask_b32_e64 v2, v3, v2, s[4:5]
	v_accvgpr_write_b32 a4, v2
; %bb.420:                              ;   in Loop: Header=BB152_47 Depth=1
	s_or_b64 exec, exec, s[22:23]
	scratch_load_dwordx2 v[2:3], off, s32 offset:332 ; 8-byte Folded Reload
	s_waitcnt vmcnt(0)
	v_mov_b32_e32 v3, v23
	v_mov_b32_e32 v4, v2
	v_lshl_add_u64 v[2:3], v[6:7], 0, v[2:3]
	scratch_store_dwordx2 off, v[4:5], s32 offset:332 ; 8-byte Folded Spill
	flat_load_dwordx4 v[2:5], v[2:3]
	s_waitcnt vmcnt(0) lgkmcnt(0)
	v_lshrrev_b32_e32 v13, 16, v2
	v_lshrrev_b32_e32 v9, 16, v3
	;; [unrolled: 1-line block ×4, first 2 shown]
	s_and_saveexec_b64 s[22:23], vcc
	s_cbranch_execz .LBB152_422
; %bb.421:                              ;   in Loop: Header=BB152_47 Depth=1
	v_cmp_lt_i32_e64 s[4:5], v29, v48
	v_accvgpr_read_b32 v14, a13
	s_nop 0
	v_cndmask_b32_e64 v2, 0, v2, s[4:5]
	v_cmp_lt_i32_e64 s[4:5], v1, v48
	s_nop 1
	v_cndmask_b32_e64 v13, 0, v13, s[4:5]
	v_cmp_lt_i32_e64 s[4:5], v0, v48
	;; [unrolled: 3-line block ×3, first 2 shown]
	v_accvgpr_read_b32 v14, a15
	s_nop 0
	v_cndmask_b32_e64 v9, 0, v9, s[4:5]
	v_cmp_lt_i32_e64 s[4:5], v14, v48
	v_accvgpr_read_b32 v14, a14
	s_nop 0
	v_cndmask_b32_e64 v4, 0, v4, s[4:5]
	v_cmp_lt_i32_e64 s[4:5], v14, v48
	;; [unrolled: 4-line block ×4, first 2 shown]
	s_nop 1
	v_cndmask_b32_e64 v12, 0, v12, s[4:5]
.LBB152_422:                            ;   in Loop: Header=BB152_47 Depth=1
	s_or_b64 exec, exec, s[22:23]
	v_lshlrev_b32_e32 v2, 16, v2
	v_mul_f32_e32 v2, v50, v2
	v_and_b32_e32 v14, 0x7f800000, v2
	v_cmp_ne_u32_e64 s[4:5], s21, v14
                                        ; implicit-def: $agpr10
	s_and_saveexec_b64 s[22:23], s[4:5]
	s_xor_b64 s[4:5], exec, s[22:23]
; %bb.423:                              ;   in Loop: Header=BB152_47 Depth=1
	v_bfe_u32 v14, v2, 16, 1
	v_add3_u32 v2, v2, v14, s24
	v_accvgpr_write_b32 a10, v2
                                        ; implicit-def: $vgpr2
; %bb.424:                              ;   in Loop: Header=BB152_47 Depth=1
	s_andn2_saveexec_b64 s[22:23], s[4:5]
; %bb.425:                              ;   in Loop: Header=BB152_47 Depth=1
	v_or_b32_e32 v14, 0x10000, v2
	v_cmp_eq_u32_sdwa s[4:5], v2, v23 src0_sel:WORD_0 src1_sel:DWORD
	s_nop 1
	v_cndmask_b32_e64 v2, v14, v2, s[4:5]
	v_accvgpr_write_b32 a10, v2
; %bb.426:                              ;   in Loop: Header=BB152_47 Depth=1
	s_or_b64 exec, exec, s[22:23]
	v_lshlrev_b32_e32 v2, 16, v13
	v_mul_f32_e32 v2, v51, v2
	v_and_b32_e32 v13, 0x7f800000, v2
	v_cmp_ne_u32_e64 s[4:5], s21, v13
                                        ; implicit-def: $agpr7
	s_and_saveexec_b64 s[22:23], s[4:5]
	s_xor_b64 s[4:5], exec, s[22:23]
; %bb.427:                              ;   in Loop: Header=BB152_47 Depth=1
	v_bfe_u32 v13, v2, 16, 1
	v_add3_u32 v2, v2, v13, s24
	v_accvgpr_write_b32 a7, v2
                                        ; implicit-def: $vgpr2
; %bb.428:                              ;   in Loop: Header=BB152_47 Depth=1
	s_andn2_saveexec_b64 s[22:23], s[4:5]
; %bb.429:                              ;   in Loop: Header=BB152_47 Depth=1
	v_or_b32_e32 v13, 0x10000, v2
	v_cmp_eq_u32_sdwa s[4:5], v2, v23 src0_sel:WORD_0 src1_sel:DWORD
	s_nop 1
	v_cndmask_b32_e64 v2, v13, v2, s[4:5]
	v_accvgpr_write_b32 a7, v2
; %bb.430:                              ;   in Loop: Header=BB152_47 Depth=1
	s_or_b64 exec, exec, s[22:23]
	v_lshlrev_b32_e32 v2, 16, v3
	v_mul_f32_e32 v2, v52, v2
	v_and_b32_e32 v3, 0x7f800000, v2
	v_cmp_ne_u32_e64 s[4:5], s21, v3
                                        ; implicit-def: $vgpr59
	s_and_saveexec_b64 s[22:23], s[4:5]
	s_xor_b64 s[4:5], exec, s[22:23]
; %bb.431:                              ;   in Loop: Header=BB152_47 Depth=1
	v_bfe_u32 v3, v2, 16, 1
	v_add3_u32 v59, v2, v3, s24
                                        ; implicit-def: $vgpr2
; %bb.432:                              ;   in Loop: Header=BB152_47 Depth=1
	s_andn2_saveexec_b64 s[22:23], s[4:5]
; %bb.433:                              ;   in Loop: Header=BB152_47 Depth=1
	v_or_b32_e32 v3, 0x10000, v2
	v_cmp_eq_u32_sdwa s[4:5], v2, v23 src0_sel:WORD_0 src1_sel:DWORD
	s_nop 1
	v_cndmask_b32_e64 v59, v3, v2, s[4:5]
; %bb.434:                              ;   in Loop: Header=BB152_47 Depth=1
	s_or_b64 exec, exec, s[22:23]
	v_lshlrev_b32_e32 v2, 16, v9
	v_mul_f32_e32 v2, v53, v2
	v_and_b32_e32 v3, 0x7f800000, v2
	v_cmp_ne_u32_e64 s[4:5], s21, v3
                                        ; implicit-def: $vgpr60
	s_and_saveexec_b64 s[22:23], s[4:5]
	s_xor_b64 s[4:5], exec, s[22:23]
; %bb.435:                              ;   in Loop: Header=BB152_47 Depth=1
	v_bfe_u32 v3, v2, 16, 1
	v_add3_u32 v60, v2, v3, s24
                                        ; implicit-def: $vgpr2
; %bb.436:                              ;   in Loop: Header=BB152_47 Depth=1
	s_andn2_saveexec_b64 s[22:23], s[4:5]
; %bb.437:                              ;   in Loop: Header=BB152_47 Depth=1
	v_or_b32_e32 v3, 0x10000, v2
	v_cmp_eq_u32_sdwa s[4:5], v2, v23 src0_sel:WORD_0 src1_sel:DWORD
	s_nop 1
	v_cndmask_b32_e64 v60, v3, v2, s[4:5]
; %bb.438:                              ;   in Loop: Header=BB152_47 Depth=1
	s_or_b64 exec, exec, s[22:23]
	v_lshlrev_b32_e32 v2, 16, v4
	v_mul_f32_e32 v2, v54, v2
	v_and_b32_e32 v3, 0x7f800000, v2
	v_cmp_ne_u32_e64 s[4:5], s21, v3
                                        ; implicit-def: $vgpr61
	s_and_saveexec_b64 s[22:23], s[4:5]
	s_xor_b64 s[4:5], exec, s[22:23]
; %bb.439:                              ;   in Loop: Header=BB152_47 Depth=1
	v_bfe_u32 v3, v2, 16, 1
	v_add3_u32 v61, v2, v3, s24
                                        ; implicit-def: $vgpr2
; %bb.440:                              ;   in Loop: Header=BB152_47 Depth=1
	s_andn2_saveexec_b64 s[22:23], s[4:5]
; %bb.441:                              ;   in Loop: Header=BB152_47 Depth=1
	v_or_b32_e32 v3, 0x10000, v2
	v_cmp_eq_u32_sdwa s[4:5], v2, v23 src0_sel:WORD_0 src1_sel:DWORD
	s_nop 1
	v_cndmask_b32_e64 v61, v3, v2, s[4:5]
; %bb.442:                              ;   in Loop: Header=BB152_47 Depth=1
	s_or_b64 exec, exec, s[22:23]
	v_lshlrev_b32_e32 v2, 16, v8
	v_mul_f32_e32 v2, v55, v2
	v_and_b32_e32 v3, 0x7f800000, v2
	v_cmp_ne_u32_e64 s[4:5], s21, v3
                                        ; implicit-def: $vgpr9
	s_and_saveexec_b64 s[22:23], s[4:5]
	s_xor_b64 s[4:5], exec, s[22:23]
; %bb.443:                              ;   in Loop: Header=BB152_47 Depth=1
	v_bfe_u32 v3, v2, 16, 1
	v_add3_u32 v9, v2, v3, s24
                                        ; implicit-def: $vgpr2
; %bb.444:                              ;   in Loop: Header=BB152_47 Depth=1
	s_andn2_saveexec_b64 s[22:23], s[4:5]
; %bb.445:                              ;   in Loop: Header=BB152_47 Depth=1
	v_or_b32_e32 v3, 0x10000, v2
	v_cmp_eq_u32_sdwa s[4:5], v2, v23 src0_sel:WORD_0 src1_sel:DWORD
	s_nop 1
	v_cndmask_b32_e64 v9, v3, v2, s[4:5]
; %bb.446:                              ;   in Loop: Header=BB152_47 Depth=1
	s_or_b64 exec, exec, s[22:23]
	v_lshlrev_b32_e32 v2, 16, v5
	v_mul_f32_e32 v2, v40, v2
	v_and_b32_e32 v3, 0x7f800000, v2
	v_cmp_ne_u32_e64 s[4:5], s21, v3
                                        ; implicit-def: $vgpr8
	s_and_saveexec_b64 s[22:23], s[4:5]
	s_xor_b64 s[4:5], exec, s[22:23]
; %bb.447:                              ;   in Loop: Header=BB152_47 Depth=1
	v_bfe_u32 v3, v2, 16, 1
	v_add3_u32 v8, v2, v3, s24
                                        ; implicit-def: $vgpr2
; %bb.448:                              ;   in Loop: Header=BB152_47 Depth=1
	s_andn2_saveexec_b64 s[22:23], s[4:5]
; %bb.449:                              ;   in Loop: Header=BB152_47 Depth=1
	v_or_b32_e32 v3, 0x10000, v2
	v_cmp_eq_u32_sdwa s[4:5], v2, v23 src0_sel:WORD_0 src1_sel:DWORD
	s_nop 1
	v_cndmask_b32_e64 v8, v3, v2, s[4:5]
; %bb.450:                              ;   in Loop: Header=BB152_47 Depth=1
	s_or_b64 exec, exec, s[22:23]
	v_lshlrev_b32_e32 v2, 16, v12
	v_mul_f32_e32 v2, v41, v2
	v_and_b32_e32 v3, 0x7f800000, v2
	v_cmp_ne_u32_e64 s[4:5], s21, v3
                                        ; implicit-def: $vgpr42
	s_and_saveexec_b64 s[22:23], s[4:5]
	s_xor_b64 s[4:5], exec, s[22:23]
; %bb.451:                              ;   in Loop: Header=BB152_47 Depth=1
	v_bfe_u32 v3, v2, 16, 1
	v_add3_u32 v42, v2, v3, s24
                                        ; implicit-def: $vgpr2
; %bb.452:                              ;   in Loop: Header=BB152_47 Depth=1
	s_andn2_saveexec_b64 s[22:23], s[4:5]
; %bb.453:                              ;   in Loop: Header=BB152_47 Depth=1
	v_or_b32_e32 v3, 0x10000, v2
	v_cmp_eq_u32_sdwa s[4:5], v2, v23 src0_sel:WORD_0 src1_sel:DWORD
	s_nop 1
	v_cndmask_b32_e64 v42, v3, v2, s[4:5]
; %bb.454:                              ;   in Loop: Header=BB152_47 Depth=1
	s_or_b64 exec, exec, s[22:23]
	scratch_load_dwordx2 v[2:3], off, s32 offset:340 ; 8-byte Folded Reload
	s_waitcnt vmcnt(0)
	v_mov_b32_e32 v3, v23
	v_mov_b32_e32 v4, v2
	v_lshl_add_u64 v[2:3], v[6:7], 0, v[2:3]
	scratch_store_dwordx2 off, v[4:5], s32 offset:340 ; 8-byte Folded Spill
	flat_load_dwordx4 v[2:5], v[2:3]
	s_waitcnt vmcnt(0) lgkmcnt(0)
	v_lshrrev_b32_e32 v13, 16, v2
	v_lshrrev_b32_e32 v15, 16, v3
	;; [unrolled: 1-line block ×4, first 2 shown]
	s_and_saveexec_b64 s[22:23], vcc
	s_cbranch_execz .LBB152_456
; %bb.455:                              ;   in Loop: Header=BB152_47 Depth=1
	v_cmp_lt_i32_e64 s[4:5], v29, v48
	v_accvgpr_read_b32 v12, a13
	s_nop 0
	v_cndmask_b32_e64 v2, 0, v2, s[4:5]
	v_cmp_lt_i32_e64 s[4:5], v1, v48
	s_nop 1
	v_cndmask_b32_e64 v13, 0, v13, s[4:5]
	v_cmp_lt_i32_e64 s[4:5], v0, v48
	;; [unrolled: 3-line block ×3, first 2 shown]
	v_accvgpr_read_b32 v12, a15
	s_nop 0
	v_cndmask_b32_e64 v15, 0, v15, s[4:5]
	v_cmp_lt_i32_e64 s[4:5], v12, v48
	v_accvgpr_read_b32 v12, a14
	s_nop 0
	v_cndmask_b32_e64 v4, 0, v4, s[4:5]
	v_cmp_lt_i32_e64 s[4:5], v12, v48
	;; [unrolled: 4-line block ×4, first 2 shown]
	s_nop 1
	v_cndmask_b32_e64 v16, 0, v16, s[4:5]
.LBB152_456:                            ;   in Loop: Header=BB152_47 Depth=1
	s_or_b64 exec, exec, s[22:23]
	v_lshlrev_b32_e32 v2, 16, v2
	v_mul_f32_e32 v2, v50, v2
	v_and_b32_e32 v12, 0x7f800000, v2
	v_cmp_ne_u32_e64 s[4:5], s21, v12
                                        ; implicit-def: $vgpr12
	s_and_saveexec_b64 s[22:23], s[4:5]
	s_xor_b64 s[4:5], exec, s[22:23]
; %bb.457:                              ;   in Loop: Header=BB152_47 Depth=1
	v_bfe_u32 v12, v2, 16, 1
	v_add3_u32 v12, v2, v12, s24
                                        ; implicit-def: $vgpr2
; %bb.458:                              ;   in Loop: Header=BB152_47 Depth=1
	s_andn2_saveexec_b64 s[22:23], s[4:5]
; %bb.459:                              ;   in Loop: Header=BB152_47 Depth=1
	v_or_b32_e32 v12, 0x10000, v2
	v_cmp_eq_u32_sdwa s[4:5], v2, v23 src0_sel:WORD_0 src1_sel:DWORD
	s_nop 1
	v_cndmask_b32_e64 v12, v12, v2, s[4:5]
; %bb.460:                              ;   in Loop: Header=BB152_47 Depth=1
	s_or_b64 exec, exec, s[22:23]
	v_lshlrev_b32_e32 v2, 16, v13
	v_mul_f32_e32 v2, v51, v2
	v_and_b32_e32 v13, 0x7f800000, v2
	v_cmp_ne_u32_e64 s[4:5], s21, v13
                                        ; implicit-def: $vgpr13
	s_and_saveexec_b64 s[22:23], s[4:5]
	s_xor_b64 s[4:5], exec, s[22:23]
; %bb.461:                              ;   in Loop: Header=BB152_47 Depth=1
	v_bfe_u32 v13, v2, 16, 1
	v_add3_u32 v13, v2, v13, s24
                                        ; implicit-def: $vgpr2
; %bb.462:                              ;   in Loop: Header=BB152_47 Depth=1
	s_andn2_saveexec_b64 s[22:23], s[4:5]
; %bb.463:                              ;   in Loop: Header=BB152_47 Depth=1
	v_or_b32_e32 v13, 0x10000, v2
	v_cmp_eq_u32_sdwa s[4:5], v2, v23 src0_sel:WORD_0 src1_sel:DWORD
	s_nop 1
	v_cndmask_b32_e64 v13, v13, v2, s[4:5]
; %bb.464:                              ;   in Loop: Header=BB152_47 Depth=1
	s_or_b64 exec, exec, s[22:23]
	v_lshlrev_b32_e32 v2, 16, v3
	v_mul_f32_e32 v2, v52, v2
	v_and_b32_e32 v3, 0x7f800000, v2
	v_cmp_ne_u32_e64 s[4:5], s21, v3
                                        ; implicit-def: $vgpr14
	s_and_saveexec_b64 s[22:23], s[4:5]
	s_xor_b64 s[4:5], exec, s[22:23]
; %bb.465:                              ;   in Loop: Header=BB152_47 Depth=1
	v_bfe_u32 v3, v2, 16, 1
	v_add3_u32 v14, v2, v3, s24
                                        ; implicit-def: $vgpr2
; %bb.466:                              ;   in Loop: Header=BB152_47 Depth=1
	s_andn2_saveexec_b64 s[22:23], s[4:5]
; %bb.467:                              ;   in Loop: Header=BB152_47 Depth=1
	v_or_b32_e32 v3, 0x10000, v2
	v_cmp_eq_u32_sdwa s[4:5], v2, v23 src0_sel:WORD_0 src1_sel:DWORD
	s_nop 1
	v_cndmask_b32_e64 v14, v3, v2, s[4:5]
; %bb.468:                              ;   in Loop: Header=BB152_47 Depth=1
	s_or_b64 exec, exec, s[22:23]
	v_lshlrev_b32_e32 v2, 16, v15
	v_mul_f32_e32 v2, v53, v2
	v_and_b32_e32 v3, 0x7f800000, v2
	v_cmp_ne_u32_e64 s[4:5], s21, v3
                                        ; implicit-def: $vgpr15
	s_and_saveexec_b64 s[22:23], s[4:5]
	s_xor_b64 s[4:5], exec, s[22:23]
; %bb.469:                              ;   in Loop: Header=BB152_47 Depth=1
	v_bfe_u32 v3, v2, 16, 1
	v_add3_u32 v15, v2, v3, s24
                                        ; implicit-def: $vgpr2
; %bb.470:                              ;   in Loop: Header=BB152_47 Depth=1
	s_andn2_saveexec_b64 s[22:23], s[4:5]
; %bb.471:                              ;   in Loop: Header=BB152_47 Depth=1
	v_or_b32_e32 v3, 0x10000, v2
	v_cmp_eq_u32_sdwa s[4:5], v2, v23 src0_sel:WORD_0 src1_sel:DWORD
	s_nop 1
	v_cndmask_b32_e64 v15, v3, v2, s[4:5]
; %bb.472:                              ;   in Loop: Header=BB152_47 Depth=1
	s_or_b64 exec, exec, s[22:23]
	v_lshlrev_b32_e32 v2, 16, v4
	v_mul_f32_e32 v2, v54, v2
	v_and_b32_e32 v3, 0x7f800000, v2
	v_cmp_ne_u32_e64 s[4:5], s21, v3
                                        ; implicit-def: $vgpr20
	s_and_saveexec_b64 s[22:23], s[4:5]
	s_xor_b64 s[4:5], exec, s[22:23]
; %bb.473:                              ;   in Loop: Header=BB152_47 Depth=1
	v_bfe_u32 v3, v2, 16, 1
	v_add3_u32 v20, v2, v3, s24
                                        ; implicit-def: $vgpr2
; %bb.474:                              ;   in Loop: Header=BB152_47 Depth=1
	s_andn2_saveexec_b64 s[22:23], s[4:5]
; %bb.475:                              ;   in Loop: Header=BB152_47 Depth=1
	v_or_b32_e32 v3, 0x10000, v2
	v_cmp_eq_u32_sdwa s[4:5], v2, v23 src0_sel:WORD_0 src1_sel:DWORD
	s_nop 1
	v_cndmask_b32_e64 v20, v3, v2, s[4:5]
; %bb.476:                              ;   in Loop: Header=BB152_47 Depth=1
	s_or_b64 exec, exec, s[22:23]
	v_lshlrev_b32_e32 v2, 16, v17
	v_mul_f32_e32 v2, v55, v2
	v_and_b32_e32 v3, 0x7f800000, v2
	v_cmp_ne_u32_e64 s[4:5], s21, v3
                                        ; implicit-def: $vgpr21
	s_and_saveexec_b64 s[22:23], s[4:5]
	s_xor_b64 s[4:5], exec, s[22:23]
; %bb.477:                              ;   in Loop: Header=BB152_47 Depth=1
	v_bfe_u32 v3, v2, 16, 1
	v_add3_u32 v21, v2, v3, s24
                                        ; implicit-def: $vgpr2
; %bb.478:                              ;   in Loop: Header=BB152_47 Depth=1
	s_andn2_saveexec_b64 s[22:23], s[4:5]
; %bb.479:                              ;   in Loop: Header=BB152_47 Depth=1
	v_or_b32_e32 v3, 0x10000, v2
	v_cmp_eq_u32_sdwa s[4:5], v2, v23 src0_sel:WORD_0 src1_sel:DWORD
	s_nop 1
	v_cndmask_b32_e64 v21, v3, v2, s[4:5]
; %bb.480:                              ;   in Loop: Header=BB152_47 Depth=1
	s_or_b64 exec, exec, s[22:23]
	v_lshlrev_b32_e32 v2, 16, v5
	v_mul_f32_e32 v2, v40, v2
	v_and_b32_e32 v3, 0x7f800000, v2
	v_cmp_ne_u32_e64 s[4:5], s21, v3
                                        ; implicit-def: $vgpr24
	s_and_saveexec_b64 s[22:23], s[4:5]
	s_xor_b64 s[4:5], exec, s[22:23]
; %bb.481:                              ;   in Loop: Header=BB152_47 Depth=1
	v_bfe_u32 v3, v2, 16, 1
	v_add3_u32 v24, v2, v3, s24
                                        ; implicit-def: $vgpr2
; %bb.482:                              ;   in Loop: Header=BB152_47 Depth=1
	s_andn2_saveexec_b64 s[22:23], s[4:5]
; %bb.483:                              ;   in Loop: Header=BB152_47 Depth=1
	v_or_b32_e32 v3, 0x10000, v2
	v_cmp_eq_u32_sdwa s[4:5], v2, v23 src0_sel:WORD_0 src1_sel:DWORD
	s_nop 1
	v_cndmask_b32_e64 v24, v3, v2, s[4:5]
; %bb.484:                              ;   in Loop: Header=BB152_47 Depth=1
	s_or_b64 exec, exec, s[22:23]
	v_lshlrev_b32_e32 v2, 16, v16
	v_mul_f32_e32 v2, v41, v2
	v_and_b32_e32 v3, 0x7f800000, v2
	v_cmp_ne_u32_e64 s[4:5], s21, v3
                                        ; implicit-def: $vgpr25
	s_and_saveexec_b64 s[22:23], s[4:5]
	s_xor_b64 s[4:5], exec, s[22:23]
; %bb.485:                              ;   in Loop: Header=BB152_47 Depth=1
	v_bfe_u32 v3, v2, 16, 1
	v_add3_u32 v25, v2, v3, s24
                                        ; implicit-def: $vgpr2
; %bb.486:                              ;   in Loop: Header=BB152_47 Depth=1
	s_andn2_saveexec_b64 s[22:23], s[4:5]
; %bb.487:                              ;   in Loop: Header=BB152_47 Depth=1
	v_or_b32_e32 v3, 0x10000, v2
	v_cmp_eq_u32_sdwa s[4:5], v2, v23 src0_sel:WORD_0 src1_sel:DWORD
	s_nop 1
	v_cndmask_b32_e64 v25, v3, v2, s[4:5]
; %bb.488:                              ;   in Loop: Header=BB152_47 Depth=1
	s_or_b64 exec, exec, s[22:23]
	scratch_load_dwordx2 v[2:3], off, s32 offset:348 ; 8-byte Folded Reload
	s_waitcnt vmcnt(0)
	v_mov_b32_e32 v3, v23
	v_mov_b32_e32 v4, v2
	v_lshl_add_u64 v[2:3], v[6:7], 0, v[2:3]
	scratch_store_dwordx2 off, v[4:5], s32 offset:348 ; 8-byte Folded Spill
	flat_load_dwordx4 v[2:5], v[2:3]
	s_waitcnt vmcnt(0) lgkmcnt(0)
	v_lshrrev_b32_e32 v19, 16, v2
	v_lshrrev_b32_e32 v18, 16, v3
	;; [unrolled: 1-line block ×4, first 2 shown]
	s_and_saveexec_b64 s[22:23], vcc
	s_cbranch_execz .LBB152_490
; %bb.489:                              ;   in Loop: Header=BB152_47 Depth=1
	v_cmp_lt_i32_e64 s[4:5], v29, v48
	v_accvgpr_read_b32 v26, a13
	s_nop 0
	v_cndmask_b32_e64 v2, 0, v2, s[4:5]
	v_cmp_lt_i32_e64 s[4:5], v1, v48
	s_nop 1
	v_cndmask_b32_e64 v19, 0, v19, s[4:5]
	v_cmp_lt_i32_e64 s[4:5], v0, v48
	;; [unrolled: 3-line block ×3, first 2 shown]
	v_accvgpr_read_b32 v26, a15
	s_nop 0
	v_cndmask_b32_e64 v18, 0, v18, s[4:5]
	v_cmp_lt_i32_e64 s[4:5], v26, v48
	v_accvgpr_read_b32 v26, a14
	s_nop 0
	v_cndmask_b32_e64 v4, 0, v4, s[4:5]
	v_cmp_lt_i32_e64 s[4:5], v26, v48
	v_accvgpr_read_b32 v26, a63
	s_nop 0
	v_cndmask_b32_e64 v17, 0, v17, s[4:5]
	v_cmp_lt_i32_e64 s[4:5], v26, v48
	v_accvgpr_read_b32 v26, a12
	s_nop 0
	v_cndmask_b32_e64 v5, 0, v5, s[4:5]
	v_cmp_lt_i32_e64 s[4:5], v26, v48
	s_nop 1
	v_cndmask_b32_e64 v16, 0, v16, s[4:5]
.LBB152_490:                            ;   in Loop: Header=BB152_47 Depth=1
	s_or_b64 exec, exec, s[22:23]
	v_lshlrev_b32_e32 v2, 16, v2
	v_mul_f32_e32 v2, v50, v2
	v_and_b32_e32 v26, 0x7f800000, v2
	v_cmp_ne_u32_e64 s[4:5], s21, v26
                                        ; implicit-def: $vgpr26
	s_and_saveexec_b64 s[22:23], s[4:5]
	s_xor_b64 s[4:5], exec, s[22:23]
; %bb.491:                              ;   in Loop: Header=BB152_47 Depth=1
	v_bfe_u32 v26, v2, 16, 1
	v_add3_u32 v26, v2, v26, s24
                                        ; implicit-def: $vgpr2
; %bb.492:                              ;   in Loop: Header=BB152_47 Depth=1
	s_andn2_saveexec_b64 s[22:23], s[4:5]
; %bb.493:                              ;   in Loop: Header=BB152_47 Depth=1
	v_or_b32_e32 v26, 0x10000, v2
	v_cmp_eq_u32_sdwa s[4:5], v2, v23 src0_sel:WORD_0 src1_sel:DWORD
	s_nop 1
	v_cndmask_b32_e64 v26, v26, v2, s[4:5]
; %bb.494:                              ;   in Loop: Header=BB152_47 Depth=1
	s_or_b64 exec, exec, s[22:23]
	v_lshlrev_b32_e32 v2, 16, v19
	v_mul_f32_e32 v2, v51, v2
	v_and_b32_e32 v19, 0x7f800000, v2
	v_cmp_ne_u32_e64 s[4:5], s21, v19
                                        ; implicit-def: $vgpr27
	s_and_saveexec_b64 s[22:23], s[4:5]
	s_xor_b64 s[4:5], exec, s[22:23]
; %bb.495:                              ;   in Loop: Header=BB152_47 Depth=1
	v_bfe_u32 v19, v2, 16, 1
	v_add3_u32 v27, v2, v19, s24
                                        ; implicit-def: $vgpr2
; %bb.496:                              ;   in Loop: Header=BB152_47 Depth=1
	s_andn2_saveexec_b64 s[22:23], s[4:5]
; %bb.497:                              ;   in Loop: Header=BB152_47 Depth=1
	v_or_b32_e32 v19, 0x10000, v2
	v_cmp_eq_u32_sdwa s[4:5], v2, v23 src0_sel:WORD_0 src1_sel:DWORD
	s_nop 1
	v_cndmask_b32_e64 v27, v19, v2, s[4:5]
; %bb.498:                              ;   in Loop: Header=BB152_47 Depth=1
	s_or_b64 exec, exec, s[22:23]
	v_lshlrev_b32_e32 v2, 16, v3
	v_mul_f32_e32 v2, v52, v2
	v_and_b32_e32 v3, 0x7f800000, v2
	v_cmp_ne_u32_e64 s[4:5], s21, v3
                                        ; implicit-def: $vgpr30
	s_and_saveexec_b64 s[22:23], s[4:5]
	s_xor_b64 s[4:5], exec, s[22:23]
; %bb.499:                              ;   in Loop: Header=BB152_47 Depth=1
	v_bfe_u32 v3, v2, 16, 1
	v_add3_u32 v30, v2, v3, s24
                                        ; implicit-def: $vgpr2
; %bb.500:                              ;   in Loop: Header=BB152_47 Depth=1
	s_andn2_saveexec_b64 s[22:23], s[4:5]
; %bb.501:                              ;   in Loop: Header=BB152_47 Depth=1
	v_or_b32_e32 v3, 0x10000, v2
	v_cmp_eq_u32_sdwa s[4:5], v2, v23 src0_sel:WORD_0 src1_sel:DWORD
	s_nop 1
	v_cndmask_b32_e64 v30, v3, v2, s[4:5]
; %bb.502:                              ;   in Loop: Header=BB152_47 Depth=1
	s_or_b64 exec, exec, s[22:23]
	v_lshlrev_b32_e32 v2, 16, v18
	v_mul_f32_e32 v2, v53, v2
	v_and_b32_e32 v3, 0x7f800000, v2
	v_cmp_ne_u32_e64 s[4:5], s21, v3
                                        ; implicit-def: $vgpr31
	s_and_saveexec_b64 s[22:23], s[4:5]
	s_xor_b64 s[4:5], exec, s[22:23]
; %bb.503:                              ;   in Loop: Header=BB152_47 Depth=1
	v_bfe_u32 v3, v2, 16, 1
	v_add3_u32 v31, v2, v3, s24
                                        ; implicit-def: $vgpr2
; %bb.504:                              ;   in Loop: Header=BB152_47 Depth=1
	s_andn2_saveexec_b64 s[22:23], s[4:5]
; %bb.505:                              ;   in Loop: Header=BB152_47 Depth=1
	v_or_b32_e32 v3, 0x10000, v2
	v_cmp_eq_u32_sdwa s[4:5], v2, v23 src0_sel:WORD_0 src1_sel:DWORD
	s_nop 1
	v_cndmask_b32_e64 v31, v3, v2, s[4:5]
; %bb.506:                              ;   in Loop: Header=BB152_47 Depth=1
	s_or_b64 exec, exec, s[22:23]
	v_lshlrev_b32_e32 v2, 16, v4
	v_mul_f32_e32 v2, v54, v2
	v_and_b32_e32 v3, 0x7f800000, v2
	v_cmp_ne_u32_e64 s[4:5], s21, v3
                                        ; implicit-def: $vgpr32
	s_and_saveexec_b64 s[22:23], s[4:5]
	s_xor_b64 s[4:5], exec, s[22:23]
; %bb.507:                              ;   in Loop: Header=BB152_47 Depth=1
	v_bfe_u32 v3, v2, 16, 1
	v_add3_u32 v32, v2, v3, s24
                                        ; implicit-def: $vgpr2
; %bb.508:                              ;   in Loop: Header=BB152_47 Depth=1
	s_andn2_saveexec_b64 s[22:23], s[4:5]
; %bb.509:                              ;   in Loop: Header=BB152_47 Depth=1
	v_or_b32_e32 v3, 0x10000, v2
	v_cmp_eq_u32_sdwa s[4:5], v2, v23 src0_sel:WORD_0 src1_sel:DWORD
	s_nop 1
	v_cndmask_b32_e64 v32, v3, v2, s[4:5]
; %bb.510:                              ;   in Loop: Header=BB152_47 Depth=1
	s_or_b64 exec, exec, s[22:23]
	v_lshlrev_b32_e32 v2, 16, v17
	v_mul_f32_e32 v2, v55, v2
	v_and_b32_e32 v3, 0x7f800000, v2
	v_cmp_ne_u32_e64 s[4:5], s21, v3
                                        ; implicit-def: $vgpr33
	s_and_saveexec_b64 s[22:23], s[4:5]
	s_xor_b64 s[4:5], exec, s[22:23]
; %bb.511:                              ;   in Loop: Header=BB152_47 Depth=1
	v_bfe_u32 v3, v2, 16, 1
	v_add3_u32 v33, v2, v3, s24
                                        ; implicit-def: $vgpr2
; %bb.512:                              ;   in Loop: Header=BB152_47 Depth=1
	s_andn2_saveexec_b64 s[22:23], s[4:5]
; %bb.513:                              ;   in Loop: Header=BB152_47 Depth=1
	v_or_b32_e32 v3, 0x10000, v2
	v_cmp_eq_u32_sdwa s[4:5], v2, v23 src0_sel:WORD_0 src1_sel:DWORD
	s_nop 1
	v_cndmask_b32_e64 v33, v3, v2, s[4:5]
; %bb.514:                              ;   in Loop: Header=BB152_47 Depth=1
	s_or_b64 exec, exec, s[22:23]
	v_lshlrev_b32_e32 v2, 16, v5
	v_mul_f32_e32 v2, v40, v2
	v_and_b32_e32 v3, 0x7f800000, v2
	v_cmp_ne_u32_e64 s[4:5], s21, v3
                                        ; implicit-def: $vgpr34
	s_and_saveexec_b64 s[22:23], s[4:5]
	s_xor_b64 s[4:5], exec, s[22:23]
; %bb.515:                              ;   in Loop: Header=BB152_47 Depth=1
	v_bfe_u32 v3, v2, 16, 1
	v_add3_u32 v34, v2, v3, s24
                                        ; implicit-def: $vgpr2
; %bb.516:                              ;   in Loop: Header=BB152_47 Depth=1
	s_andn2_saveexec_b64 s[22:23], s[4:5]
; %bb.517:                              ;   in Loop: Header=BB152_47 Depth=1
	v_or_b32_e32 v3, 0x10000, v2
	v_cmp_eq_u32_sdwa s[4:5], v2, v23 src0_sel:WORD_0 src1_sel:DWORD
	s_nop 1
	v_cndmask_b32_e64 v34, v3, v2, s[4:5]
; %bb.518:                              ;   in Loop: Header=BB152_47 Depth=1
	s_or_b64 exec, exec, s[22:23]
	v_lshlrev_b32_e32 v2, 16, v16
	v_mul_f32_e32 v2, v41, v2
	v_and_b32_e32 v3, 0x7f800000, v2
	v_cmp_ne_u32_e64 s[4:5], s21, v3
                                        ; implicit-def: $vgpr35
	s_and_saveexec_b64 s[22:23], s[4:5]
	s_xor_b64 s[4:5], exec, s[22:23]
; %bb.519:                              ;   in Loop: Header=BB152_47 Depth=1
	v_bfe_u32 v3, v2, 16, 1
	v_add3_u32 v35, v2, v3, s24
                                        ; implicit-def: $vgpr2
; %bb.520:                              ;   in Loop: Header=BB152_47 Depth=1
	s_andn2_saveexec_b64 s[22:23], s[4:5]
; %bb.521:                              ;   in Loop: Header=BB152_47 Depth=1
	v_or_b32_e32 v3, 0x10000, v2
	v_cmp_eq_u32_sdwa s[4:5], v2, v23 src0_sel:WORD_0 src1_sel:DWORD
	s_nop 1
	v_cndmask_b32_e64 v35, v3, v2, s[4:5]
; %bb.522:                              ;   in Loop: Header=BB152_47 Depth=1
	s_or_b64 exec, exec, s[22:23]
	scratch_load_dwordx2 v[2:3], off, s32 offset:356 ; 8-byte Folded Reload
	s_waitcnt vmcnt(0)
	v_mov_b32_e32 v3, v23
	v_mov_b32_e32 v4, v2
	v_lshl_add_u64 v[2:3], v[6:7], 0, v[2:3]
	scratch_store_dwordx2 off, v[4:5], s32 offset:356 ; 8-byte Folded Spill
	flat_load_dwordx4 v[2:5], v[2:3]
	s_waitcnt vmcnt(0) lgkmcnt(0)
	v_lshrrev_b32_e32 v16, 16, v2
	v_lshrrev_b32_e32 v17, 16, v3
	;; [unrolled: 1-line block ×4, first 2 shown]
	s_and_saveexec_b64 s[22:23], vcc
	s_cbranch_execz .LBB152_524
; %bb.523:                              ;   in Loop: Header=BB152_47 Depth=1
	v_cmp_lt_i32_e64 s[4:5], v29, v48
	v_accvgpr_read_b32 v19, a13
	s_nop 0
	v_cndmask_b32_e64 v2, 0, v2, s[4:5]
	v_cmp_lt_i32_e64 s[4:5], v1, v48
	s_nop 1
	v_cndmask_b32_e64 v16, 0, v16, s[4:5]
	v_cmp_lt_i32_e64 s[4:5], v0, v48
	;; [unrolled: 3-line block ×3, first 2 shown]
	v_accvgpr_read_b32 v19, a15
	s_nop 0
	v_cndmask_b32_e64 v17, 0, v17, s[4:5]
	v_cmp_lt_i32_e64 s[4:5], v19, v48
	v_accvgpr_read_b32 v19, a14
	s_nop 0
	v_cndmask_b32_e64 v4, 0, v4, s[4:5]
	v_cmp_lt_i32_e64 s[4:5], v19, v48
	;; [unrolled: 4-line block ×4, first 2 shown]
	s_nop 1
	v_cndmask_b32_e64 v28, 0, v28, s[4:5]
.LBB152_524:                            ;   in Loop: Header=BB152_47 Depth=1
	s_or_b64 exec, exec, s[22:23]
	v_lshlrev_b32_e32 v2, 16, v2
	v_mul_f32_e32 v2, v50, v2
	v_and_b32_e32 v19, 0x7f800000, v2
	v_cmp_ne_u32_e64 s[4:5], s21, v19
                                        ; implicit-def: $vgpr62
	s_and_saveexec_b64 s[22:23], s[4:5]
	s_xor_b64 s[4:5], exec, s[22:23]
; %bb.525:                              ;   in Loop: Header=BB152_47 Depth=1
	v_bfe_u32 v19, v2, 16, 1
	v_add3_u32 v62, v2, v19, s24
                                        ; implicit-def: $vgpr2
; %bb.526:                              ;   in Loop: Header=BB152_47 Depth=1
	s_andn2_saveexec_b64 s[22:23], s[4:5]
; %bb.527:                              ;   in Loop: Header=BB152_47 Depth=1
	v_or_b32_e32 v19, 0x10000, v2
	v_cmp_eq_u32_sdwa s[4:5], v2, v23 src0_sel:WORD_0 src1_sel:DWORD
	s_nop 1
	v_cndmask_b32_e64 v62, v19, v2, s[4:5]
; %bb.528:                              ;   in Loop: Header=BB152_47 Depth=1
	s_or_b64 exec, exec, s[22:23]
	v_lshlrev_b32_e32 v2, 16, v16
	v_mul_f32_e32 v2, v51, v2
	v_and_b32_e32 v16, 0x7f800000, v2
	v_cmp_ne_u32_e64 s[4:5], s21, v16
                                        ; implicit-def: $vgpr16
	s_and_saveexec_b64 s[22:23], s[4:5]
	s_xor_b64 s[4:5], exec, s[22:23]
; %bb.529:                              ;   in Loop: Header=BB152_47 Depth=1
	v_bfe_u32 v16, v2, 16, 1
	v_add3_u32 v16, v2, v16, s24
                                        ; implicit-def: $vgpr2
; %bb.530:                              ;   in Loop: Header=BB152_47 Depth=1
	s_andn2_saveexec_b64 s[22:23], s[4:5]
; %bb.531:                              ;   in Loop: Header=BB152_47 Depth=1
	v_or_b32_e32 v16, 0x10000, v2
	v_cmp_eq_u32_sdwa s[4:5], v2, v23 src0_sel:WORD_0 src1_sel:DWORD
	s_nop 1
	v_cndmask_b32_e64 v16, v16, v2, s[4:5]
; %bb.532:                              ;   in Loop: Header=BB152_47 Depth=1
	s_or_b64 exec, exec, s[22:23]
	v_lshlrev_b32_e32 v2, 16, v3
	v_mul_f32_e32 v2, v52, v2
	v_and_b32_e32 v3, 0x7f800000, v2
	v_cmp_ne_u32_e64 s[4:5], s21, v3
                                        ; implicit-def: $vgpr43
	s_and_saveexec_b64 s[22:23], s[4:5]
	s_xor_b64 s[4:5], exec, s[22:23]
; %bb.533:                              ;   in Loop: Header=BB152_47 Depth=1
	v_bfe_u32 v3, v2, 16, 1
	v_add3_u32 v43, v2, v3, s24
                                        ; implicit-def: $vgpr2
; %bb.534:                              ;   in Loop: Header=BB152_47 Depth=1
	s_andn2_saveexec_b64 s[22:23], s[4:5]
; %bb.535:                              ;   in Loop: Header=BB152_47 Depth=1
	v_or_b32_e32 v3, 0x10000, v2
	v_cmp_eq_u32_sdwa s[4:5], v2, v23 src0_sel:WORD_0 src1_sel:DWORD
	s_nop 1
	v_cndmask_b32_e64 v43, v3, v2, s[4:5]
; %bb.536:                              ;   in Loop: Header=BB152_47 Depth=1
	s_or_b64 exec, exec, s[22:23]
	v_lshlrev_b32_e32 v2, 16, v17
	v_mul_f32_e32 v2, v53, v2
	v_and_b32_e32 v3, 0x7f800000, v2
	v_cmp_ne_u32_e64 s[4:5], s21, v3
                                        ; implicit-def: $vgpr17
	s_and_saveexec_b64 s[22:23], s[4:5]
	s_xor_b64 s[4:5], exec, s[22:23]
; %bb.537:                              ;   in Loop: Header=BB152_47 Depth=1
	v_bfe_u32 v3, v2, 16, 1
	v_add3_u32 v17, v2, v3, s24
                                        ; implicit-def: $vgpr2
; %bb.538:                              ;   in Loop: Header=BB152_47 Depth=1
	s_andn2_saveexec_b64 s[22:23], s[4:5]
; %bb.539:                              ;   in Loop: Header=BB152_47 Depth=1
	v_or_b32_e32 v3, 0x10000, v2
	v_cmp_eq_u32_sdwa s[4:5], v2, v23 src0_sel:WORD_0 src1_sel:DWORD
	s_nop 1
	v_cndmask_b32_e64 v17, v3, v2, s[4:5]
; %bb.540:                              ;   in Loop: Header=BB152_47 Depth=1
	s_or_b64 exec, exec, s[22:23]
	v_lshlrev_b32_e32 v2, 16, v4
	v_mul_f32_e32 v2, v54, v2
	v_and_b32_e32 v3, 0x7f800000, v2
	v_cmp_ne_u32_e64 s[4:5], s21, v3
                                        ; implicit-def: $vgpr44
	s_and_saveexec_b64 s[22:23], s[4:5]
	s_xor_b64 s[4:5], exec, s[22:23]
; %bb.541:                              ;   in Loop: Header=BB152_47 Depth=1
	v_bfe_u32 v3, v2, 16, 1
	v_add3_u32 v44, v2, v3, s24
                                        ; implicit-def: $vgpr2
; %bb.542:                              ;   in Loop: Header=BB152_47 Depth=1
	s_andn2_saveexec_b64 s[22:23], s[4:5]
; %bb.543:                              ;   in Loop: Header=BB152_47 Depth=1
	v_or_b32_e32 v3, 0x10000, v2
	v_cmp_eq_u32_sdwa s[4:5], v2, v23 src0_sel:WORD_0 src1_sel:DWORD
	s_nop 1
	v_cndmask_b32_e64 v44, v3, v2, s[4:5]
; %bb.544:                              ;   in Loop: Header=BB152_47 Depth=1
	s_or_b64 exec, exec, s[22:23]
	v_lshlrev_b32_e32 v2, 16, v18
	v_mul_f32_e32 v2, v55, v2
	v_and_b32_e32 v3, 0x7f800000, v2
	v_cmp_ne_u32_e64 s[4:5], s21, v3
                                        ; implicit-def: $vgpr45
	s_and_saveexec_b64 s[22:23], s[4:5]
	s_xor_b64 s[4:5], exec, s[22:23]
; %bb.545:                              ;   in Loop: Header=BB152_47 Depth=1
	v_bfe_u32 v3, v2, 16, 1
	v_add3_u32 v45, v2, v3, s24
                                        ; implicit-def: $vgpr2
; %bb.546:                              ;   in Loop: Header=BB152_47 Depth=1
	s_andn2_saveexec_b64 s[22:23], s[4:5]
; %bb.547:                              ;   in Loop: Header=BB152_47 Depth=1
	v_or_b32_e32 v3, 0x10000, v2
	v_cmp_eq_u32_sdwa s[4:5], v2, v23 src0_sel:WORD_0 src1_sel:DWORD
	s_nop 1
	v_cndmask_b32_e64 v45, v3, v2, s[4:5]
; %bb.548:                              ;   in Loop: Header=BB152_47 Depth=1
	s_or_b64 exec, exec, s[22:23]
	v_lshlrev_b32_e32 v2, 16, v5
	v_mul_f32_e32 v2, v40, v2
	v_and_b32_e32 v3, 0x7f800000, v2
	v_cmp_ne_u32_e64 s[4:5], s21, v3
                                        ; implicit-def: $vgpr37
	s_and_saveexec_b64 s[22:23], s[4:5]
	s_xor_b64 s[4:5], exec, s[22:23]
; %bb.549:                              ;   in Loop: Header=BB152_47 Depth=1
	v_bfe_u32 v3, v2, 16, 1
	v_add3_u32 v37, v2, v3, s24
                                        ; implicit-def: $vgpr2
; %bb.550:                              ;   in Loop: Header=BB152_47 Depth=1
	s_andn2_saveexec_b64 s[22:23], s[4:5]
; %bb.551:                              ;   in Loop: Header=BB152_47 Depth=1
	v_or_b32_e32 v3, 0x10000, v2
	v_cmp_eq_u32_sdwa s[4:5], v2, v23 src0_sel:WORD_0 src1_sel:DWORD
	s_nop 1
	v_cndmask_b32_e64 v37, v3, v2, s[4:5]
; %bb.552:                              ;   in Loop: Header=BB152_47 Depth=1
	s_or_b64 exec, exec, s[22:23]
	v_lshlrev_b32_e32 v2, 16, v28
	v_mul_f32_e32 v2, v41, v2
	v_and_b32_e32 v3, 0x7f800000, v2
	v_cmp_ne_u32_e64 s[4:5], s21, v3
                                        ; implicit-def: $vgpr28
	s_and_saveexec_b64 s[22:23], s[4:5]
	s_xor_b64 s[4:5], exec, s[22:23]
; %bb.553:                              ;   in Loop: Header=BB152_47 Depth=1
	v_bfe_u32 v3, v2, 16, 1
	v_add3_u32 v28, v2, v3, s24
                                        ; implicit-def: $vgpr2
; %bb.554:                              ;   in Loop: Header=BB152_47 Depth=1
	s_andn2_saveexec_b64 s[22:23], s[4:5]
; %bb.555:                              ;   in Loop: Header=BB152_47 Depth=1
	v_or_b32_e32 v3, 0x10000, v2
	v_cmp_eq_u32_sdwa s[4:5], v2, v23 src0_sel:WORD_0 src1_sel:DWORD
	s_nop 1
	v_cndmask_b32_e64 v28, v3, v2, s[4:5]
; %bb.556:                              ;   in Loop: Header=BB152_47 Depth=1
	s_or_b64 exec, exec, s[22:23]
	scratch_load_dwordx2 v[2:3], off, s32 offset:364 ; 8-byte Folded Reload
	s_waitcnt vmcnt(0)
	v_mov_b32_e32 v3, v23
	v_mov_b32_e32 v4, v2
	v_lshl_add_u64 v[2:3], v[6:7], 0, v[2:3]
	scratch_store_dwordx2 off, v[4:5], s32 offset:364 ; 8-byte Folded Spill
	flat_load_dwordx4 v[2:5], v[2:3]
	s_waitcnt vmcnt(0) lgkmcnt(0)
	v_lshrrev_b32_e32 v38, 16, v2
	v_lshrrev_b32_e32 v19, 16, v3
	v_lshrrev_b32_e32 v18, 16, v4
	v_lshrrev_b32_e32 v58, 16, v5
	s_and_saveexec_b64 s[22:23], vcc
	s_cbranch_execz .LBB152_558
; %bb.557:                              ;   in Loop: Header=BB152_47 Depth=1
	v_cmp_lt_i32_e64 s[4:5], v29, v48
	v_accvgpr_read_b32 v39, a13
	s_nop 0
	v_cndmask_b32_e64 v2, 0, v2, s[4:5]
	v_cmp_lt_i32_e64 s[4:5], v1, v48
	s_nop 1
	v_cndmask_b32_e64 v38, 0, v38, s[4:5]
	v_cmp_lt_i32_e64 s[4:5], v0, v48
	;; [unrolled: 3-line block ×3, first 2 shown]
	v_accvgpr_read_b32 v39, a15
	s_nop 0
	v_cndmask_b32_e64 v19, 0, v19, s[4:5]
	v_cmp_lt_i32_e64 s[4:5], v39, v48
	v_accvgpr_read_b32 v39, a14
	s_nop 0
	v_cndmask_b32_e64 v4, 0, v4, s[4:5]
	v_cmp_lt_i32_e64 s[4:5], v39, v48
	;; [unrolled: 4-line block ×4, first 2 shown]
	s_nop 1
	v_cndmask_b32_e64 v58, 0, v58, s[4:5]
.LBB152_558:                            ;   in Loop: Header=BB152_47 Depth=1
	s_or_b64 exec, exec, s[22:23]
	v_lshlrev_b32_e32 v2, 16, v2
	v_mul_f32_e32 v2, v50, v2
	v_and_b32_e32 v39, 0x7f800000, v2
	v_cmp_ne_u32_e64 s[4:5], s21, v39
                                        ; implicit-def: $vgpr63
	s_and_saveexec_b64 s[22:23], s[4:5]
	s_xor_b64 s[4:5], exec, s[22:23]
; %bb.559:                              ;   in Loop: Header=BB152_47 Depth=1
	v_bfe_u32 v39, v2, 16, 1
	v_add3_u32 v63, v2, v39, s24
                                        ; implicit-def: $vgpr2
; %bb.560:                              ;   in Loop: Header=BB152_47 Depth=1
	s_andn2_saveexec_b64 s[22:23], s[4:5]
; %bb.561:                              ;   in Loop: Header=BB152_47 Depth=1
	v_or_b32_e32 v39, 0x10000, v2
	v_cmp_eq_u32_sdwa s[4:5], v2, v23 src0_sel:WORD_0 src1_sel:DWORD
	s_nop 1
	v_cndmask_b32_e64 v63, v39, v2, s[4:5]
; %bb.562:                              ;   in Loop: Header=BB152_47 Depth=1
	s_or_b64 exec, exec, s[22:23]
	v_lshlrev_b32_e32 v2, 16, v38
	v_mul_f32_e32 v2, v51, v2
	v_and_b32_e32 v38, 0x7f800000, v2
	v_cmp_ne_u32_e64 s[4:5], s21, v38
                                        ; implicit-def: $vgpr38
	s_and_saveexec_b64 s[22:23], s[4:5]
	s_xor_b64 s[4:5], exec, s[22:23]
; %bb.563:                              ;   in Loop: Header=BB152_47 Depth=1
	v_bfe_u32 v38, v2, 16, 1
	v_add3_u32 v38, v2, v38, s24
                                        ; implicit-def: $vgpr2
; %bb.564:                              ;   in Loop: Header=BB152_47 Depth=1
	s_andn2_saveexec_b64 s[22:23], s[4:5]
; %bb.565:                              ;   in Loop: Header=BB152_47 Depth=1
	v_or_b32_e32 v38, 0x10000, v2
	v_cmp_eq_u32_sdwa s[4:5], v2, v23 src0_sel:WORD_0 src1_sel:DWORD
	s_nop 1
	v_cndmask_b32_e64 v38, v38, v2, s[4:5]
; %bb.566:                              ;   in Loop: Header=BB152_47 Depth=1
	s_or_b64 exec, exec, s[22:23]
	v_lshlrev_b32_e32 v2, 16, v3
	v_mul_f32_e32 v2, v52, v2
	v_and_b32_e32 v3, 0x7f800000, v2
	v_cmp_ne_u32_e64 s[4:5], s21, v3
                                        ; implicit-def: $vgpr39
	s_and_saveexec_b64 s[22:23], s[4:5]
	s_xor_b64 s[4:5], exec, s[22:23]
; %bb.567:                              ;   in Loop: Header=BB152_47 Depth=1
	v_bfe_u32 v3, v2, 16, 1
	v_add3_u32 v39, v2, v3, s24
                                        ; implicit-def: $vgpr2
; %bb.568:                              ;   in Loop: Header=BB152_47 Depth=1
	s_andn2_saveexec_b64 s[22:23], s[4:5]
; %bb.569:                              ;   in Loop: Header=BB152_47 Depth=1
	v_or_b32_e32 v3, 0x10000, v2
	v_cmp_eq_u32_sdwa s[4:5], v2, v23 src0_sel:WORD_0 src1_sel:DWORD
	s_nop 1
	v_cndmask_b32_e64 v39, v3, v2, s[4:5]
; %bb.570:                              ;   in Loop: Header=BB152_47 Depth=1
	s_or_b64 exec, exec, s[22:23]
	v_lshlrev_b32_e32 v2, 16, v19
	v_mul_f32_e32 v2, v53, v2
	v_and_b32_e32 v3, 0x7f800000, v2
	v_cmp_ne_u32_e64 s[4:5], s21, v3
                                        ; implicit-def: $vgpr46
	s_and_saveexec_b64 s[22:23], s[4:5]
	s_xor_b64 s[4:5], exec, s[22:23]
; %bb.571:                              ;   in Loop: Header=BB152_47 Depth=1
	v_bfe_u32 v3, v2, 16, 1
	v_add3_u32 v46, v2, v3, s24
                                        ; implicit-def: $vgpr2
; %bb.572:                              ;   in Loop: Header=BB152_47 Depth=1
	s_andn2_saveexec_b64 s[22:23], s[4:5]
; %bb.573:                              ;   in Loop: Header=BB152_47 Depth=1
	v_or_b32_e32 v3, 0x10000, v2
	v_cmp_eq_u32_sdwa s[4:5], v2, v23 src0_sel:WORD_0 src1_sel:DWORD
	s_nop 1
	v_cndmask_b32_e64 v46, v3, v2, s[4:5]
; %bb.574:                              ;   in Loop: Header=BB152_47 Depth=1
	s_or_b64 exec, exec, s[22:23]
	v_lshlrev_b32_e32 v2, 16, v4
	v_mul_f32_e32 v2, v54, v2
	v_and_b32_e32 v3, 0x7f800000, v2
	v_cmp_ne_u32_e64 s[4:5], s21, v3
                                        ; implicit-def: $vgpr47
	s_and_saveexec_b64 s[22:23], s[4:5]
	s_xor_b64 s[4:5], exec, s[22:23]
; %bb.575:                              ;   in Loop: Header=BB152_47 Depth=1
	v_bfe_u32 v3, v2, 16, 1
	v_add3_u32 v47, v2, v3, s24
                                        ; implicit-def: $vgpr2
; %bb.576:                              ;   in Loop: Header=BB152_47 Depth=1
	s_andn2_saveexec_b64 s[22:23], s[4:5]
; %bb.577:                              ;   in Loop: Header=BB152_47 Depth=1
	v_or_b32_e32 v3, 0x10000, v2
	v_cmp_eq_u32_sdwa s[4:5], v2, v23 src0_sel:WORD_0 src1_sel:DWORD
	s_nop 1
	v_cndmask_b32_e64 v47, v3, v2, s[4:5]
; %bb.578:                              ;   in Loop: Header=BB152_47 Depth=1
	s_or_b64 exec, exec, s[22:23]
	v_lshlrev_b32_e32 v2, 16, v18
	v_mul_f32_e32 v2, v55, v2
	v_and_b32_e32 v3, 0x7f800000, v2
	v_cmp_ne_u32_e64 s[4:5], s21, v3
                                        ; implicit-def: $vgpr56
	s_and_saveexec_b64 s[22:23], s[4:5]
	s_xor_b64 s[4:5], exec, s[22:23]
; %bb.579:                              ;   in Loop: Header=BB152_47 Depth=1
	v_bfe_u32 v3, v2, 16, 1
	v_add3_u32 v56, v2, v3, s24
                                        ; implicit-def: $vgpr2
; %bb.580:                              ;   in Loop: Header=BB152_47 Depth=1
	s_andn2_saveexec_b64 s[22:23], s[4:5]
; %bb.581:                              ;   in Loop: Header=BB152_47 Depth=1
	v_or_b32_e32 v3, 0x10000, v2
	v_cmp_eq_u32_sdwa s[4:5], v2, v23 src0_sel:WORD_0 src1_sel:DWORD
	s_nop 1
	v_cndmask_b32_e64 v56, v3, v2, s[4:5]
; %bb.582:                              ;   in Loop: Header=BB152_47 Depth=1
	s_or_b64 exec, exec, s[22:23]
	v_lshlrev_b32_e32 v2, 16, v5
	v_mul_f32_e32 v2, v40, v2
	v_and_b32_e32 v3, 0x7f800000, v2
	v_cmp_ne_u32_e64 s[4:5], s21, v3
                                        ; implicit-def: $vgpr57
	s_and_saveexec_b64 s[22:23], s[4:5]
	s_xor_b64 s[4:5], exec, s[22:23]
; %bb.583:                              ;   in Loop: Header=BB152_47 Depth=1
	v_bfe_u32 v3, v2, 16, 1
	v_add3_u32 v57, v2, v3, s24
                                        ; implicit-def: $vgpr2
; %bb.584:                              ;   in Loop: Header=BB152_47 Depth=1
	s_andn2_saveexec_b64 s[22:23], s[4:5]
; %bb.585:                              ;   in Loop: Header=BB152_47 Depth=1
	v_or_b32_e32 v3, 0x10000, v2
	v_cmp_eq_u32_sdwa s[4:5], v2, v23 src0_sel:WORD_0 src1_sel:DWORD
	s_nop 1
	v_cndmask_b32_e64 v57, v3, v2, s[4:5]
; %bb.586:                              ;   in Loop: Header=BB152_47 Depth=1
	s_or_b64 exec, exec, s[22:23]
	v_lshlrev_b32_e32 v2, 16, v58
	v_mul_f32_e32 v2, v41, v2
	v_and_b32_e32 v3, 0x7f800000, v2
	v_cmp_ne_u32_e64 s[4:5], s21, v3
                                        ; implicit-def: $vgpr58
	s_and_saveexec_b64 s[22:23], s[4:5]
	s_xor_b64 s[4:5], exec, s[22:23]
; %bb.587:                              ;   in Loop: Header=BB152_47 Depth=1
	v_bfe_u32 v3, v2, 16, 1
	v_add3_u32 v58, v2, v3, s24
                                        ; implicit-def: $vgpr2
; %bb.588:                              ;   in Loop: Header=BB152_47 Depth=1
	s_andn2_saveexec_b64 s[22:23], s[4:5]
; %bb.589:                              ;   in Loop: Header=BB152_47 Depth=1
	v_or_b32_e32 v3, 0x10000, v2
	v_cmp_eq_u32_sdwa s[4:5], v2, v23 src0_sel:WORD_0 src1_sel:DWORD
	s_nop 1
	v_cndmask_b32_e64 v58, v3, v2, s[4:5]
; %bb.590:                              ;   in Loop: Header=BB152_47 Depth=1
	s_or_b64 exec, exec, s[22:23]
	scratch_load_dwordx2 v[2:3], off, s32 offset:372 ; 8-byte Folded Reload
	s_waitcnt vmcnt(0)
	v_mov_b32_e32 v3, v23
	v_mov_b32_e32 v4, v2
	v_lshl_add_u64 v[2:3], v[6:7], 0, v[2:3]
	scratch_store_dwordx2 off, v[4:5], s32 offset:372 ; 8-byte Folded Spill
	flat_load_dwordx4 v[2:5], v[2:3]
	s_waitcnt vmcnt(0) lgkmcnt(0)
	v_lshrrev_b32_e32 v19, 16, v2
	v_lshrrev_b32_e32 v18, 16, v3
	;; [unrolled: 1-line block ×4, first 2 shown]
	s_and_saveexec_b64 s[4:5], vcc
	s_cbranch_execz .LBB152_592
; %bb.591:                              ;   in Loop: Header=BB152_47 Depth=1
	v_cmp_lt_i32_e32 vcc, v29, v48
	s_nop 1
	v_cndmask_b32_e32 v2, 0, v2, vcc
	v_cmp_lt_i32_e32 vcc, v1, v48
	s_nop 1
	v_cndmask_b32_e32 v19, 0, v19, vcc
	v_cmp_lt_i32_e32 vcc, v0, v48
	v_accvgpr_read_b32 v0, a13
	s_nop 0
	v_cndmask_b32_e32 v3, 0, v3, vcc
	v_cmp_lt_i32_e32 vcc, v0, v48
	v_accvgpr_read_b32 v0, a15
	;; [unrolled: 4-line block ×5, first 2 shown]
	s_nop 0
	v_cndmask_b32_e32 v5, 0, v5, vcc
	v_cmp_lt_i32_e32 vcc, v0, v48
	s_nop 1
	v_cndmask_b32_e32 v7, 0, v7, vcc
.LBB152_592:                            ;   in Loop: Header=BB152_47 Depth=1
	s_or_b64 exec, exec, s[4:5]
	v_lshlrev_b32_e32 v0, 16, v2
	v_mul_f32_e32 v1, v50, v0
	v_and_b32_e32 v0, 0x7f800000, v1
	v_cmp_ne_u32_e32 vcc, s21, v0
                                        ; implicit-def: $vgpr0
	s_and_saveexec_b64 s[4:5], vcc
	s_xor_b64 s[4:5], exec, s[4:5]
; %bb.593:                              ;   in Loop: Header=BB152_47 Depth=1
	v_bfe_u32 v0, v1, 16, 1
	v_add3_u32 v0, v1, v0, s24
                                        ; implicit-def: $vgpr1
; %bb.594:                              ;   in Loop: Header=BB152_47 Depth=1
	s_andn2_saveexec_b64 s[4:5], s[4:5]
; %bb.595:                              ;   in Loop: Header=BB152_47 Depth=1
	v_or_b32_e32 v0, 0x10000, v1
	v_cmp_eq_u32_sdwa vcc, v1, v23 src0_sel:WORD_0 src1_sel:DWORD
	s_nop 1
	v_cndmask_b32_e32 v0, v0, v1, vcc
; %bb.596:                              ;   in Loop: Header=BB152_47 Depth=1
	s_or_b64 exec, exec, s[4:5]
	v_lshlrev_b32_e32 v1, 16, v19
	v_mul_f32_e32 v2, v51, v1
	v_and_b32_e32 v1, 0x7f800000, v2
	v_cmp_ne_u32_e32 vcc, s21, v1
                                        ; implicit-def: $vgpr1
	s_and_saveexec_b64 s[4:5], vcc
	s_xor_b64 s[4:5], exec, s[4:5]
; %bb.597:                              ;   in Loop: Header=BB152_47 Depth=1
	v_bfe_u32 v1, v2, 16, 1
	v_add3_u32 v1, v2, v1, s24
                                        ; implicit-def: $vgpr2
; %bb.598:                              ;   in Loop: Header=BB152_47 Depth=1
	s_andn2_saveexec_b64 s[4:5], s[4:5]
; %bb.599:                              ;   in Loop: Header=BB152_47 Depth=1
	v_or_b32_e32 v1, 0x10000, v2
	v_cmp_eq_u32_sdwa vcc, v2, v23 src0_sel:WORD_0 src1_sel:DWORD
	s_nop 1
	v_cndmask_b32_e32 v1, v1, v2, vcc
; %bb.600:                              ;   in Loop: Header=BB152_47 Depth=1
	s_or_b64 exec, exec, s[4:5]
	v_lshlrev_b32_e32 v2, 16, v3
	v_mul_f32_e32 v3, v52, v2
	v_and_b32_e32 v2, 0x7f800000, v3
	v_cmp_ne_u32_e32 vcc, s21, v2
                                        ; implicit-def: $vgpr2
	s_and_saveexec_b64 s[4:5], vcc
	s_xor_b64 s[4:5], exec, s[4:5]
; %bb.601:                              ;   in Loop: Header=BB152_47 Depth=1
	v_bfe_u32 v2, v3, 16, 1
	v_add3_u32 v2, v3, v2, s24
                                        ; implicit-def: $vgpr3
; %bb.602:                              ;   in Loop: Header=BB152_47 Depth=1
	s_andn2_saveexec_b64 s[4:5], s[4:5]
; %bb.603:                              ;   in Loop: Header=BB152_47 Depth=1
	v_or_b32_e32 v2, 0x10000, v3
	v_cmp_eq_u32_sdwa vcc, v3, v23 src0_sel:WORD_0 src1_sel:DWORD
	s_nop 1
	v_cndmask_b32_e32 v2, v2, v3, vcc
; %bb.604:                              ;   in Loop: Header=BB152_47 Depth=1
	s_or_b64 exec, exec, s[4:5]
	v_lshlrev_b32_e32 v3, 16, v18
	v_mul_f32_e32 v18, v53, v3
	v_and_b32_e32 v3, 0x7f800000, v18
	v_cmp_ne_u32_e32 vcc, s21, v3
                                        ; implicit-def: $vgpr3
	s_and_saveexec_b64 s[4:5], vcc
	s_xor_b64 s[4:5], exec, s[4:5]
; %bb.605:                              ;   in Loop: Header=BB152_47 Depth=1
	v_bfe_u32 v3, v18, 16, 1
	v_add3_u32 v3, v18, v3, s24
                                        ; implicit-def: $vgpr18
; %bb.606:                              ;   in Loop: Header=BB152_47 Depth=1
	s_andn2_saveexec_b64 s[4:5], s[4:5]
; %bb.607:                              ;   in Loop: Header=BB152_47 Depth=1
	v_or_b32_e32 v3, 0x10000, v18
	v_cmp_eq_u32_sdwa vcc, v18, v23 src0_sel:WORD_0 src1_sel:DWORD
	s_nop 1
	v_cndmask_b32_e32 v3, v3, v18, vcc
; %bb.608:                              ;   in Loop: Header=BB152_47 Depth=1
	s_or_b64 exec, exec, s[4:5]
	v_lshlrev_b32_e32 v4, 16, v4
	v_mul_f32_e32 v18, v54, v4
	v_and_b32_e32 v4, 0x7f800000, v18
	v_cmp_ne_u32_e32 vcc, s21, v4
                                        ; implicit-def: $vgpr4
	s_and_saveexec_b64 s[4:5], vcc
	s_xor_b64 s[4:5], exec, s[4:5]
; %bb.609:                              ;   in Loop: Header=BB152_47 Depth=1
	v_bfe_u32 v4, v18, 16, 1
	v_add3_u32 v4, v18, v4, s24
                                        ; implicit-def: $vgpr18
; %bb.610:                              ;   in Loop: Header=BB152_47 Depth=1
	s_andn2_saveexec_b64 s[4:5], s[4:5]
; %bb.611:                              ;   in Loop: Header=BB152_47 Depth=1
	v_or_b32_e32 v4, 0x10000, v18
	v_cmp_eq_u32_sdwa vcc, v18, v23 src0_sel:WORD_0 src1_sel:DWORD
	s_nop 1
	v_cndmask_b32_e32 v4, v4, v18, vcc
; %bb.612:                              ;   in Loop: Header=BB152_47 Depth=1
	s_or_b64 exec, exec, s[4:5]
	v_lshlrev_b32_e32 v6, 16, v6
	v_mul_f32_e32 v18, v55, v6
	v_and_b32_e32 v6, 0x7f800000, v18
	v_cmp_ne_u32_e32 vcc, s21, v6
                                        ; implicit-def: $vgpr6
	s_and_saveexec_b64 s[4:5], vcc
	s_xor_b64 s[4:5], exec, s[4:5]
; %bb.613:                              ;   in Loop: Header=BB152_47 Depth=1
	v_bfe_u32 v6, v18, 16, 1
	v_add3_u32 v6, v18, v6, s24
                                        ; implicit-def: $vgpr18
; %bb.614:                              ;   in Loop: Header=BB152_47 Depth=1
	s_andn2_saveexec_b64 s[4:5], s[4:5]
; %bb.615:                              ;   in Loop: Header=BB152_47 Depth=1
	v_or_b32_e32 v6, 0x10000, v18
	v_cmp_eq_u32_sdwa vcc, v18, v23 src0_sel:WORD_0 src1_sel:DWORD
	s_nop 1
	v_cndmask_b32_e32 v6, v6, v18, vcc
; %bb.616:                              ;   in Loop: Header=BB152_47 Depth=1
	s_or_b64 exec, exec, s[4:5]
	v_lshlrev_b32_e32 v5, 16, v5
	v_mul_f32_e32 v18, v40, v5
	v_and_b32_e32 v5, 0x7f800000, v18
	v_cmp_ne_u32_e32 vcc, s21, v5
                                        ; implicit-def: $vgpr5
	s_and_saveexec_b64 s[4:5], vcc
	s_xor_b64 s[4:5], exec, s[4:5]
; %bb.617:                              ;   in Loop: Header=BB152_47 Depth=1
	v_bfe_u32 v5, v18, 16, 1
	v_add3_u32 v5, v18, v5, s24
                                        ; implicit-def: $vgpr18
; %bb.618:                              ;   in Loop: Header=BB152_47 Depth=1
	s_andn2_saveexec_b64 s[4:5], s[4:5]
; %bb.619:                              ;   in Loop: Header=BB152_47 Depth=1
	v_or_b32_e32 v5, 0x10000, v18
	v_cmp_eq_u32_sdwa vcc, v18, v23 src0_sel:WORD_0 src1_sel:DWORD
	s_nop 1
	v_cndmask_b32_e32 v5, v5, v18, vcc
; %bb.620:                              ;   in Loop: Header=BB152_47 Depth=1
	s_or_b64 exec, exec, s[4:5]
	v_lshlrev_b32_e32 v7, 16, v7
	v_mul_f32_e32 v18, v41, v7
	v_and_b32_e32 v7, 0x7f800000, v18
	v_cmp_ne_u32_e32 vcc, s21, v7
                                        ; implicit-def: $vgpr7
	s_and_saveexec_b64 s[4:5], vcc
	s_xor_b64 s[4:5], exec, s[4:5]
; %bb.621:                              ;   in Loop: Header=BB152_47 Depth=1
	v_bfe_u32 v7, v18, 16, 1
	v_add3_u32 v7, v18, v7, s24
                                        ; implicit-def: $vgpr18
; %bb.622:                              ;   in Loop: Header=BB152_47 Depth=1
	s_andn2_saveexec_b64 s[4:5], s[4:5]
	s_cbranch_execz .LBB152_45
; %bb.623:                              ;   in Loop: Header=BB152_47 Depth=1
	v_or_b32_e32 v7, 0x10000, v18
	v_cmp_eq_u32_sdwa vcc, v18, v23 src0_sel:WORD_0 src1_sel:DWORD
	s_nop 1
	v_cndmask_b32_e32 v7, v7, v18, vcc
	s_branch .LBB152_45
.LBB152_624:
	s_or_b64 exec, exec, s[10:11]
	scratch_load_dword v27, off, s32 offset:532 ; 4-byte Folded Reload
	scratch_load_dword v26, off, s32 offset:528 ; 4-byte Folded Reload
	;; [unrolled: 1-line block ×4, first 2 shown]
	scratch_load_dwordx2 v[30:31], off, s32 offset:264 ; 8-byte Folded Reload
	scratch_load_dwordx2 v[14:15], off, s32 offset:216 ; 8-byte Folded Reload
	;; [unrolled: 1-line block ×7, first 2 shown]
.LBB152_625:
	s_or_b64 exec, exec, s[6:7]
	s_waitcnt vmcnt(0)
	ds_bpermute_b32 v0, v25, v4
	ds_bpermute_b32 v1, v25, v5
	;; [unrolled: 1-line block ×4, first 2 shown]
	s_waitcnt lgkmcnt(0)
	s_barrier
	v_pk_add_f32 v[0:1], v[4:5], v[0:1]
	ds_bpermute_b32 v4, v28, v0
	ds_bpermute_b32 v5, v28, v1
	s_waitcnt lgkmcnt(0)
	ds_bpermute_b32 v2, v25, v8
	ds_bpermute_b32 v3, v25, v9
	;; [unrolled: 1-line block ×3, first 2 shown]
	v_pk_add_f32 v[22:23], v[0:1], v[4:5]
	v_pk_add_f32 v[0:1], v[16:17], v[6:7]
	ds_bpermute_b32 v4, v28, v0
	ds_bpermute_b32 v5, v28, v1
	;; [unrolled: 1-line block ×4, first 2 shown]
	s_waitcnt lgkmcnt(5)
	v_pk_add_f32 v[2:3], v[8:9], v[2:3]
	ds_bpermute_b32 v8, v28, v2
	s_waitcnt lgkmcnt(3)
	v_pk_add_f32 v[16:17], v[0:1], v[4:5]
	ds_bpermute_b32 v9, v28, v3
	;; [unrolled: 3-line block ×3, first 2 shown]
	ds_bpermute_b32 v7, v25, v21
	ds_bpermute_b32 v4, v28, v0
	s_waitcnt lgkmcnt(3)
	v_pk_add_f32 v[18:19], v[2:3], v[8:9]
	ds_bpermute_b32 v2, v25, v10
	ds_bpermute_b32 v3, v25, v11
	s_waitcnt lgkmcnt(3)
	v_pk_add_f32 v[6:7], v[20:21], v[6:7]
	ds_bpermute_b32 v12, v28, v6
	ds_bpermute_b32 v13, v28, v7
	;; [unrolled: 1-line block ×3, first 2 shown]
	s_waitcnt lgkmcnt(3)
	v_pk_add_f32 v[2:3], v[10:11], v[2:3]
	ds_bpermute_b32 v10, v25, v14
	ds_bpermute_b32 v11, v25, v15
	s_waitcnt lgkmcnt(3)
	v_pk_add_f32 v[6:7], v[6:7], v[12:13]
	scratch_load_dword v12, off, s32 offset:492 ; 4-byte Folded Reload
	ds_bpermute_b32 v25, v25, v31
	ds_bpermute_b32 v8, v28, v2
	s_waitcnt lgkmcnt(2)
	v_pk_add_f32 v[14:15], v[14:15], v[10:11]
	ds_bpermute_b32 v9, v28, v3
	ds_bpermute_b32 v20, v28, v14
	;; [unrolled: 1-line block ×3, first 2 shown]
	v_pk_add_f32 v[10:11], v[0:1], v[4:5]
	s_waitcnt lgkmcnt(4)
	v_pk_add_f32 v[0:1], v[30:31], v[24:25]
	ds_bpermute_b32 v4, v28, v0
	ds_bpermute_b32 v5, v28, v1
	s_waitcnt lgkmcnt(4)
	v_pk_add_f32 v[8:9], v[2:3], v[8:9]
	s_waitcnt lgkmcnt(2)
	v_pk_add_f32 v[2:3], v[14:15], v[20:21]
	s_waitcnt vmcnt(0)
	v_and_b32_e32 v12, 0x3c3, v12
	v_cmp_ne_u32_e32 vcc, 64, v12
	s_and_saveexec_b64 s[4:5], vcc
	s_xor_b64 s[4:5], exec, s[4:5]
; %bb.626:
                                        ; implicit-def: $vgpr26
; %bb.627:
	s_or_saveexec_b64 s[4:5], s[4:5]
	s_waitcnt lgkmcnt(0)
	v_pk_add_f32 v[4:5], v[0:1], v[4:5]
	s_xor_b64 exec, exec, s[4:5]
	s_cbranch_execz .LBB152_629
; %bb.628:
	s_ashr_i32 s21, s20, 31
	s_lshl_b64 s[6:7], s[20:21], 2
	s_getpc_b64 s[8:9]
	s_add_u32 s8, s8, llvm.amdgcn.dynlds.offset.table@rel32@lo+4
	s_addc_u32 s9, s9, llvm.amdgcn.dynlds.offset.table@rel32@hi+12
	s_add_u32 s6, s6, s8
	s_addc_u32 s7, s7, s9
	s_load_dword s6, s[6:7], 0x0
	s_waitcnt lgkmcnt(0)
	v_add_u32_e32 v0, s6, v26
	ds_write2_b32 v0, v22, v23 offset1:16
	ds_write2_b32 v0, v18, v19 offset0:32 offset1:48
	ds_write2_b32 v0, v16, v17 offset0:64 offset1:80
	;; [unrolled: 1-line block ×7, first 2 shown]
.LBB152_629:
	s_or_b64 exec, exec, s[4:5]
	s_waitcnt lgkmcnt(0)
	s_barrier
	s_and_saveexec_b64 s[4:5], s[2:3]
	s_xor_b64 s[2:3], exec, s[4:5]
	s_andn2_saveexec_b64 s[2:3], s[2:3]
	s_cbranch_execz .LBB152_648
; %bb.630:
	scratch_load_dword v0, off, s32 offset:492 ; 4-byte Folded Reload
	v_cmp_eq_u32_e32 vcc, 0, v27
	s_waitcnt vmcnt(0)
	v_lshrrev_b32_e32 v0, 2, v0
	s_and_saveexec_b64 s[4:5], vcc
	s_cbranch_execnz .LBB152_716
; %bb.631:
	s_or_b64 exec, exec, s[4:5]
	s_and_saveexec_b64 s[4:5], vcc
	s_cbranch_execnz .LBB152_717
.LBB152_632:
	s_or_b64 exec, exec, s[4:5]
	s_and_saveexec_b64 s[4:5], vcc
	s_cbranch_execnz .LBB152_718
.LBB152_633:
	s_or_b64 exec, exec, s[4:5]
	s_and_saveexec_b64 s[4:5], vcc
	s_cbranch_execnz .LBB152_719
.LBB152_634:
	s_or_b64 exec, exec, s[4:5]
	s_and_saveexec_b64 s[4:5], vcc
	s_cbranch_execnz .LBB152_720
.LBB152_635:
	s_or_b64 exec, exec, s[4:5]
	s_and_saveexec_b64 s[4:5], vcc
	s_cbranch_execnz .LBB152_721
.LBB152_636:
	s_or_b64 exec, exec, s[4:5]
	s_and_saveexec_b64 s[4:5], vcc
	s_cbranch_execnz .LBB152_722
.LBB152_637:
	s_or_b64 exec, exec, s[4:5]
	s_and_saveexec_b64 s[4:5], vcc
	s_cbranch_execnz .LBB152_723
.LBB152_638:
	s_or_b64 exec, exec, s[4:5]
	s_and_saveexec_b64 s[4:5], vcc
	s_cbranch_execnz .LBB152_724
.LBB152_639:
	s_or_b64 exec, exec, s[4:5]
	s_and_saveexec_b64 s[4:5], vcc
	s_cbranch_execnz .LBB152_725
.LBB152_640:
	s_or_b64 exec, exec, s[4:5]
	s_and_saveexec_b64 s[4:5], vcc
	s_cbranch_execnz .LBB152_726
.LBB152_641:
	s_or_b64 exec, exec, s[4:5]
	s_and_saveexec_b64 s[4:5], vcc
	s_cbranch_execnz .LBB152_727
.LBB152_642:
	s_or_b64 exec, exec, s[4:5]
	s_and_saveexec_b64 s[4:5], vcc
	s_cbranch_execnz .LBB152_728
.LBB152_643:
	s_or_b64 exec, exec, s[4:5]
	s_and_saveexec_b64 s[4:5], vcc
	s_cbranch_execnz .LBB152_729
.LBB152_644:
	s_or_b64 exec, exec, s[4:5]
	s_and_saveexec_b64 s[4:5], vcc
	s_cbranch_execnz .LBB152_730
.LBB152_645:
	s_or_b64 exec, exec, s[4:5]
	s_and_saveexec_b64 s[4:5], vcc
	s_cbranch_execz .LBB152_647
.LBB152_646:
	s_ashr_i32 s21, s20, 31
	s_lshl_b64 s[6:7], s[20:21], 2
	s_getpc_b64 s[8:9]
	s_add_u32 s8, s8, llvm.amdgcn.dynlds.offset.table@rel32@lo+4
	s_addc_u32 s9, s9, llvm.amdgcn.dynlds.offset.table@rel32@hi+12
	s_add_u32 s6, s6, s8
	s_addc_u32 s7, s7, s9
	s_load_dword s6, s[6:7], 0x0
	s_waitcnt lgkmcnt(0)
	v_lshl_add_u32 v0, v0, 2, s6
	ds_read_b32 v0, v0 offset:960
	s_waitcnt lgkmcnt(0)
	v_add_f32_e32 v5, v0, v5
.LBB152_647:
	s_or_b64 exec, exec, s[4:5]
.LBB152_648:
	s_or_b64 exec, exec, s[2:3]
	s_barrier
	s_and_saveexec_b64 s[2:3], s[0:1]
	s_cbranch_execz .LBB152_715
; %bb.649:
	v_cmp_eq_u32_e32 vcc, 0, v27
	s_and_b64 exec, exec, vcc
	s_cbranch_execz .LBB152_715
; %bb.650:
	s_mov_b32 s0, 0x7f800000
	v_and_b32_e32 v0, 0x7f800000, v22
	v_cmp_ne_u32_e32 vcc, s0, v0
                                        ; implicit-def: $vgpr12
	s_and_saveexec_b64 s[0:1], vcc
	s_xor_b64 s[0:1], exec, s[0:1]
; %bb.651:
	v_bfe_u32 v0, v22, 16, 1
	s_movk_i32 s4, 0x7fff
	v_add3_u32 v12, v22, v0, s4
; %bb.652:
	s_andn2_saveexec_b64 s[0:1], s[0:1]
; %bb.653:
	v_mov_b32_e32 v0, 0
	v_or_b32_e32 v1, 0x10000, v22
	v_cmp_eq_u32_sdwa vcc, v22, v0 src0_sel:WORD_0 src1_sel:DWORD
	s_nop 1
	v_cndmask_b32_e32 v12, v1, v22, vcc
; %bb.654:
	s_or_b64 exec, exec, s[0:1]
	scratch_load_dwordx2 v[0:1], off, s32 offset:512 ; 8-byte Folded Reload
	scratch_load_dword v13, off, s32 offset:492 ; 4-byte Folded Reload
	v_cmp_ne_u16_e64 s[0:1], s19, 0
	s_cmp_lg_u64 s[0:1], 0
	s_addc_u32 s4, s17, 0
	s_mul_i32 s0, s16, s4
	s_mul_i32 s0, s0, s15
	s_lshl_b32 s0, s0, 8
	s_mul_i32 s4, s18, s4
	s_lshl_b32 s6, s14, 8
	s_ashr_i32 s1, s0, 31
	s_ashr_i32 s5, s4, 31
	;; [unrolled: 1-line block ×3, first 2 shown]
	s_lshl_b64 s[0:1], s[0:1], 1
	s_lshl_b64 s[4:5], s[4:5], 1
	s_lshl_b64 s[6:7], s[6:7], 1
	s_add_u32 s4, s6, s4
	s_addc_u32 s5, s7, s5
	s_add_u32 s0, s4, s0
	s_addc_u32 s1, s5, s1
	v_mov_b32_e32 v15, 0
	s_waitcnt vmcnt(1)
	v_lshl_add_u64 v[0:1], s[0:1], 0, v[0:1]
	s_waitcnt vmcnt(0)
	v_lshrrev_b32_e32 v13, 1, v13
	v_and_b32_e32 v14, 0x1fe, v13
	v_lshl_add_u64 v[0:1], v[0:1], 0, v[14:15]
	flat_store_short_d16_hi v[0:1], v12
	s_mov_b32 s0, 0x7f800000
	v_and_b32_e32 v12, 0x7f800000, v23
	v_cmp_ne_u32_e32 vcc, s0, v12
                                        ; implicit-def: $vgpr12
	s_and_saveexec_b64 s[0:1], vcc
	s_xor_b64 s[0:1], exec, s[0:1]
; %bb.655:
	v_bfe_u32 v12, v23, 16, 1
	s_movk_i32 s4, 0x7fff
	v_add3_u32 v12, v23, v12, s4
                                        ; implicit-def: $vgpr22_vgpr23
; %bb.656:
	s_andn2_saveexec_b64 s[0:1], s[0:1]
; %bb.657:
	v_mov_b32_e32 v12, 0
	v_or_b32_e32 v13, 0x10000, v23
	v_cmp_eq_u32_sdwa vcc, v23, v12 src0_sel:WORD_0 src1_sel:DWORD
	s_nop 1
	v_cndmask_b32_e32 v12, v13, v23, vcc
; %bb.658:
	s_or_b64 exec, exec, s[0:1]
	flat_store_short_d16_hi v[0:1], v12 offset:32
	s_mov_b32 s0, 0x7f800000
	v_and_b32_e32 v12, 0x7f800000, v18
	v_cmp_ne_u32_e32 vcc, s0, v12
                                        ; implicit-def: $vgpr12
	s_and_saveexec_b64 s[0:1], vcc
	s_xor_b64 s[0:1], exec, s[0:1]
; %bb.659:
	v_bfe_u32 v12, v18, 16, 1
	s_movk_i32 s4, 0x7fff
	v_add3_u32 v12, v18, v12, s4
; %bb.660:
	s_andn2_saveexec_b64 s[0:1], s[0:1]
; %bb.661:
	v_mov_b32_e32 v12, 0
	v_or_b32_e32 v13, 0x10000, v18
	v_cmp_eq_u32_sdwa vcc, v18, v12 src0_sel:WORD_0 src1_sel:DWORD
	s_nop 1
	v_cndmask_b32_e32 v12, v13, v18, vcc
; %bb.662:
	s_or_b64 exec, exec, s[0:1]
	flat_store_short_d16_hi v[0:1], v12 offset:64
	s_mov_b32 s0, 0x7f800000
	v_and_b32_e32 v12, 0x7f800000, v19
	v_cmp_ne_u32_e32 vcc, s0, v12
                                        ; implicit-def: $vgpr12
	s_and_saveexec_b64 s[0:1], vcc
	s_xor_b64 s[0:1], exec, s[0:1]
; %bb.663:
	v_bfe_u32 v12, v19, 16, 1
	s_movk_i32 s4, 0x7fff
	v_add3_u32 v12, v19, v12, s4
                                        ; implicit-def: $vgpr18_vgpr19
; %bb.664:
	s_andn2_saveexec_b64 s[0:1], s[0:1]
; %bb.665:
	v_mov_b32_e32 v12, 0
	v_or_b32_e32 v13, 0x10000, v19
	v_cmp_eq_u32_sdwa vcc, v19, v12 src0_sel:WORD_0 src1_sel:DWORD
	s_nop 1
	v_cndmask_b32_e32 v12, v13, v19, vcc
; %bb.666:
	s_or_b64 exec, exec, s[0:1]
	flat_store_short_d16_hi v[0:1], v12 offset:96
	s_mov_b32 s0, 0x7f800000
	v_and_b32_e32 v12, 0x7f800000, v16
	v_cmp_ne_u32_e32 vcc, s0, v12
                                        ; implicit-def: $vgpr12
	s_and_saveexec_b64 s[0:1], vcc
	s_xor_b64 s[0:1], exec, s[0:1]
; %bb.667:
	v_bfe_u32 v12, v16, 16, 1
	s_movk_i32 s4, 0x7fff
	v_add3_u32 v12, v16, v12, s4
; %bb.668:
	s_andn2_saveexec_b64 s[0:1], s[0:1]
; %bb.669:
	v_mov_b32_e32 v12, 0
	v_or_b32_e32 v13, 0x10000, v16
	v_cmp_eq_u32_sdwa vcc, v16, v12 src0_sel:WORD_0 src1_sel:DWORD
	s_nop 1
	v_cndmask_b32_e32 v12, v13, v16, vcc
; %bb.670:
	s_or_b64 exec, exec, s[0:1]
	flat_store_short_d16_hi v[0:1], v12 offset:128
	s_mov_b32 s0, 0x7f800000
	v_and_b32_e32 v12, 0x7f800000, v17
	v_cmp_ne_u32_e32 vcc, s0, v12
                                        ; implicit-def: $vgpr12
	s_and_saveexec_b64 s[0:1], vcc
	s_xor_b64 s[0:1], exec, s[0:1]
; %bb.671:
	v_bfe_u32 v12, v17, 16, 1
	s_movk_i32 s4, 0x7fff
	v_add3_u32 v12, v17, v12, s4
                                        ; implicit-def: $vgpr16_vgpr17
; %bb.672:
	s_andn2_saveexec_b64 s[0:1], s[0:1]
; %bb.673:
	v_mov_b32_e32 v12, 0
	v_or_b32_e32 v13, 0x10000, v17
	v_cmp_eq_u32_sdwa vcc, v17, v12 src0_sel:WORD_0 src1_sel:DWORD
	s_nop 1
	v_cndmask_b32_e32 v12, v13, v17, vcc
; %bb.674:
	s_or_b64 exec, exec, s[0:1]
	flat_store_short_d16_hi v[0:1], v12 offset:160
	s_mov_b32 s0, 0x7f800000
	v_and_b32_e32 v12, 0x7f800000, v10
	v_cmp_ne_u32_e32 vcc, s0, v12
                                        ; implicit-def: $vgpr12
	s_and_saveexec_b64 s[0:1], vcc
	s_xor_b64 s[0:1], exec, s[0:1]
; %bb.675:
	v_bfe_u32 v12, v10, 16, 1
	s_movk_i32 s4, 0x7fff
	v_add3_u32 v12, v10, v12, s4
; %bb.676:
	s_andn2_saveexec_b64 s[0:1], s[0:1]
; %bb.677:
	v_mov_b32_e32 v12, 0
	v_or_b32_e32 v13, 0x10000, v10
	v_cmp_eq_u32_sdwa vcc, v10, v12 src0_sel:WORD_0 src1_sel:DWORD
	s_nop 1
	v_cndmask_b32_e32 v12, v13, v10, vcc
; %bb.678:
	s_or_b64 exec, exec, s[0:1]
	s_mov_b32 s0, 0x7f800000
	v_and_b32_e32 v10, 0x7f800000, v11
	v_cmp_ne_u32_e32 vcc, s0, v10
	flat_store_short_d16_hi v[0:1], v12 offset:192
                                        ; implicit-def: $vgpr12
	s_and_saveexec_b64 s[0:1], vcc
	s_xor_b64 s[0:1], exec, s[0:1]
; %bb.679:
	v_bfe_u32 v10, v11, 16, 1
	s_movk_i32 s4, 0x7fff
	v_add3_u32 v12, v11, v10, s4
                                        ; implicit-def: $vgpr10_vgpr11
; %bb.680:
	s_andn2_saveexec_b64 s[0:1], s[0:1]
; %bb.681:
	v_mov_b32_e32 v10, 0
	v_or_b32_e32 v12, 0x10000, v11
	v_cmp_eq_u32_sdwa vcc, v11, v10 src0_sel:WORD_0 src1_sel:DWORD
	s_nop 1
	v_cndmask_b32_e32 v12, v12, v11, vcc
; %bb.682:
	s_or_b64 exec, exec, s[0:1]
	s_mov_b32 s0, 0x7f800000
	v_and_b32_e32 v10, 0x7f800000, v8
	v_cmp_ne_u32_e32 vcc, s0, v10
	flat_store_short_d16_hi v[0:1], v12 offset:224
                                        ; implicit-def: $vgpr10
	s_and_saveexec_b64 s[0:1], vcc
	s_xor_b64 s[0:1], exec, s[0:1]
; %bb.683:
	v_bfe_u32 v10, v8, 16, 1
	s_movk_i32 s4, 0x7fff
	v_add3_u32 v10, v8, v10, s4
; %bb.684:
	s_andn2_saveexec_b64 s[0:1], s[0:1]
; %bb.685:
	v_mov_b32_e32 v10, 0
	v_or_b32_e32 v11, 0x10000, v8
	v_cmp_eq_u32_sdwa vcc, v8, v10 src0_sel:WORD_0 src1_sel:DWORD
	s_nop 1
	v_cndmask_b32_e32 v10, v11, v8, vcc
; %bb.686:
	s_or_b64 exec, exec, s[0:1]
	s_mov_b32 s0, 0x7f800000
	v_and_b32_e32 v8, 0x7f800000, v9
	v_cmp_ne_u32_e32 vcc, s0, v8
	flat_store_short_d16_hi v[0:1], v10 offset:256
                                        ; implicit-def: $vgpr10
	s_and_saveexec_b64 s[0:1], vcc
	s_xor_b64 s[0:1], exec, s[0:1]
; %bb.687:
	v_bfe_u32 v8, v9, 16, 1
	s_movk_i32 s4, 0x7fff
	v_add3_u32 v10, v9, v8, s4
                                        ; implicit-def: $vgpr8_vgpr9
; %bb.688:
	s_andn2_saveexec_b64 s[0:1], s[0:1]
; %bb.689:
	v_mov_b32_e32 v8, 0
	v_or_b32_e32 v10, 0x10000, v9
	v_cmp_eq_u32_sdwa vcc, v9, v8 src0_sel:WORD_0 src1_sel:DWORD
	s_nop 1
	v_cndmask_b32_e32 v10, v10, v9, vcc
; %bb.690:
	s_or_b64 exec, exec, s[0:1]
	s_mov_b32 s0, 0x7f800000
	v_and_b32_e32 v8, 0x7f800000, v6
	v_cmp_ne_u32_e32 vcc, s0, v8
	flat_store_short_d16_hi v[0:1], v10 offset:288
                                        ; implicit-def: $vgpr8
	s_and_saveexec_b64 s[0:1], vcc
	s_xor_b64 s[0:1], exec, s[0:1]
; %bb.691:
	v_bfe_u32 v8, v6, 16, 1
	s_movk_i32 s4, 0x7fff
	v_add3_u32 v8, v6, v8, s4
; %bb.692:
	s_andn2_saveexec_b64 s[0:1], s[0:1]
; %bb.693:
	v_mov_b32_e32 v8, 0
	v_or_b32_e32 v9, 0x10000, v6
	v_cmp_eq_u32_sdwa vcc, v6, v8 src0_sel:WORD_0 src1_sel:DWORD
	s_nop 1
	v_cndmask_b32_e32 v8, v9, v6, vcc
; %bb.694:
	s_or_b64 exec, exec, s[0:1]
	s_mov_b32 s0, 0x7f800000
	v_and_b32_e32 v6, 0x7f800000, v7
	v_cmp_ne_u32_e32 vcc, s0, v6
	flat_store_short_d16_hi v[0:1], v8 offset:320
                                        ; implicit-def: $vgpr8
	s_and_saveexec_b64 s[0:1], vcc
	s_xor_b64 s[0:1], exec, s[0:1]
; %bb.695:
	v_bfe_u32 v6, v7, 16, 1
	s_movk_i32 s4, 0x7fff
	v_add3_u32 v8, v7, v6, s4
                                        ; implicit-def: $vgpr6_vgpr7
; %bb.696:
	s_andn2_saveexec_b64 s[0:1], s[0:1]
; %bb.697:
	v_mov_b32_e32 v6, 0
	v_or_b32_e32 v8, 0x10000, v7
	v_cmp_eq_u32_sdwa vcc, v7, v6 src0_sel:WORD_0 src1_sel:DWORD
	s_nop 1
	v_cndmask_b32_e32 v8, v8, v7, vcc
; %bb.698:
	s_or_b64 exec, exec, s[0:1]
	s_mov_b32 s0, 0x7f800000
	v_and_b32_e32 v6, 0x7f800000, v2
	v_cmp_ne_u32_e32 vcc, s0, v6
	flat_store_short_d16_hi v[0:1], v8 offset:352
                                        ; implicit-def: $vgpr6
	s_and_saveexec_b64 s[0:1], vcc
	s_xor_b64 s[0:1], exec, s[0:1]
; %bb.699:
	v_bfe_u32 v6, v2, 16, 1
	s_movk_i32 s4, 0x7fff
	v_add3_u32 v6, v2, v6, s4
; %bb.700:
	s_andn2_saveexec_b64 s[0:1], s[0:1]
; %bb.701:
	v_mov_b32_e32 v6, 0
	v_or_b32_e32 v7, 0x10000, v2
	v_cmp_eq_u32_sdwa vcc, v2, v6 src0_sel:WORD_0 src1_sel:DWORD
	s_nop 1
	v_cndmask_b32_e32 v6, v7, v2, vcc
; %bb.702:
	s_or_b64 exec, exec, s[0:1]
	s_mov_b32 s0, 0x7f800000
	v_and_b32_e32 v2, 0x7f800000, v3
	v_cmp_ne_u32_e32 vcc, s0, v2
	flat_store_short_d16_hi v[0:1], v6 offset:384
                                        ; implicit-def: $vgpr6
	s_and_saveexec_b64 s[0:1], vcc
	s_xor_b64 s[0:1], exec, s[0:1]
; %bb.703:
	v_bfe_u32 v2, v3, 16, 1
	s_movk_i32 s4, 0x7fff
	v_add3_u32 v6, v3, v2, s4
                                        ; implicit-def: $vgpr2_vgpr3
; %bb.704:
	s_andn2_saveexec_b64 s[0:1], s[0:1]
; %bb.705:
	v_mov_b32_e32 v2, 0
	v_or_b32_e32 v6, 0x10000, v3
	v_cmp_eq_u32_sdwa vcc, v3, v2 src0_sel:WORD_0 src1_sel:DWORD
	s_nop 1
	v_cndmask_b32_e32 v6, v6, v3, vcc
; %bb.706:
	s_or_b64 exec, exec, s[0:1]
	s_mov_b32 s0, 0x7f800000
	v_and_b32_e32 v2, 0x7f800000, v4
	v_cmp_ne_u32_e32 vcc, s0, v2
	flat_store_short_d16_hi v[0:1], v6 offset:416
                                        ; implicit-def: $vgpr2
	s_and_saveexec_b64 s[0:1], vcc
	s_xor_b64 s[0:1], exec, s[0:1]
; %bb.707:
	v_bfe_u32 v2, v4, 16, 1
	s_movk_i32 s4, 0x7fff
	v_add3_u32 v2, v4, v2, s4
; %bb.708:
	s_andn2_saveexec_b64 s[0:1], s[0:1]
; %bb.709:
	v_mov_b32_e32 v2, 0
	v_or_b32_e32 v3, 0x10000, v4
	v_cmp_eq_u32_sdwa vcc, v4, v2 src0_sel:WORD_0 src1_sel:DWORD
	s_nop 1
	v_cndmask_b32_e32 v2, v3, v4, vcc
; %bb.710:
	s_or_b64 exec, exec, s[0:1]
	flat_store_short_d16_hi v[0:1], v2 offset:448
	s_mov_b32 s0, 0x7f800000
	v_and_b32_e32 v2, 0x7f800000, v5
	v_cmp_ne_u32_e32 vcc, s0, v2
                                        ; implicit-def: $vgpr2
	s_and_saveexec_b64 s[0:1], vcc
	s_xor_b64 s[0:1], exec, s[0:1]
; %bb.711:
	v_bfe_u32 v2, v5, 16, 1
	s_movk_i32 s4, 0x7fff
	v_add3_u32 v2, v5, v2, s4
                                        ; implicit-def: $vgpr4_vgpr5
; %bb.712:
	s_andn2_saveexec_b64 s[0:1], s[0:1]
; %bb.713:
	v_mov_b32_e32 v2, 0
	v_or_b32_e32 v3, 0x10000, v5
	v_cmp_eq_u32_sdwa vcc, v5, v2 src0_sel:WORD_0 src1_sel:DWORD
	s_nop 1
	v_cndmask_b32_e32 v2, v3, v5, vcc
; %bb.714:
	s_or_b64 exec, exec, s[0:1]
	flat_store_short_d16_hi v[0:1], v2 offset:480
.LBB152_715:
	s_or_b64 exec, exec, s[2:3]
	scratch_load_dword a63, off, s32        ; 4-byte Folded Reload
	scratch_load_dword a62, off, s32 offset:4 ; 4-byte Folded Reload
	scratch_load_dword a61, off, s32 offset:8 ; 4-byte Folded Reload
	;; [unrolled: 1-line block ×47, first 2 shown]
	s_waitcnt vmcnt(0) lgkmcnt(0)
	s_setpc_b64 s[30:31]
.LBB152_716:
	s_ashr_i32 s21, s20, 31
	s_lshl_b64 s[6:7], s[20:21], 2
	s_getpc_b64 s[8:9]
	s_add_u32 s8, s8, llvm.amdgcn.dynlds.offset.table@rel32@lo+4
	s_addc_u32 s9, s9, llvm.amdgcn.dynlds.offset.table@rel32@hi+12
	s_add_u32 s6, s6, s8
	s_addc_u32 s7, s7, s9
	s_load_dword s6, s[6:7], 0x0
	s_waitcnt lgkmcnt(0)
	v_lshl_add_u32 v1, v0, 2, s6
	ds_read_b32 v1, v1
	s_waitcnt lgkmcnt(0)
	v_add_f32_e32 v22, v1, v22
	s_or_b64 exec, exec, s[4:5]
	s_and_saveexec_b64 s[4:5], vcc
	s_cbranch_execz .LBB152_632
.LBB152_717:
	s_ashr_i32 s21, s20, 31
	s_lshl_b64 s[6:7], s[20:21], 2
	s_getpc_b64 s[8:9]
	s_add_u32 s8, s8, llvm.amdgcn.dynlds.offset.table@rel32@lo+4
	s_addc_u32 s9, s9, llvm.amdgcn.dynlds.offset.table@rel32@hi+12
	s_add_u32 s6, s6, s8
	s_addc_u32 s7, s7, s9
	s_load_dword s6, s[6:7], 0x0
	s_waitcnt lgkmcnt(0)
	v_lshl_add_u32 v1, v0, 2, s6
	ds_read_b32 v1, v1 offset:64
	s_waitcnt lgkmcnt(0)
	v_add_f32_e32 v23, v1, v23
	s_or_b64 exec, exec, s[4:5]
	s_and_saveexec_b64 s[4:5], vcc
	s_cbranch_execz .LBB152_633
.LBB152_718:
	s_ashr_i32 s21, s20, 31
	s_lshl_b64 s[6:7], s[20:21], 2
	s_getpc_b64 s[8:9]
	s_add_u32 s8, s8, llvm.amdgcn.dynlds.offset.table@rel32@lo+4
	s_addc_u32 s9, s9, llvm.amdgcn.dynlds.offset.table@rel32@hi+12
	s_add_u32 s6, s6, s8
	s_addc_u32 s7, s7, s9
	s_load_dword s6, s[6:7], 0x0
	s_waitcnt lgkmcnt(0)
	v_lshl_add_u32 v1, v0, 2, s6
	ds_read_b32 v1, v1 offset:128
	s_waitcnt lgkmcnt(0)
	v_add_f32_e32 v18, v1, v18
	s_or_b64 exec, exec, s[4:5]
	s_and_saveexec_b64 s[4:5], vcc
	s_cbranch_execz .LBB152_634
.LBB152_719:
	s_ashr_i32 s21, s20, 31
	s_lshl_b64 s[6:7], s[20:21], 2
	s_getpc_b64 s[8:9]
	s_add_u32 s8, s8, llvm.amdgcn.dynlds.offset.table@rel32@lo+4
	s_addc_u32 s9, s9, llvm.amdgcn.dynlds.offset.table@rel32@hi+12
	s_add_u32 s6, s6, s8
	s_addc_u32 s7, s7, s9
	s_load_dword s6, s[6:7], 0x0
	s_waitcnt lgkmcnt(0)
	v_lshl_add_u32 v1, v0, 2, s6
	ds_read_b32 v1, v1 offset:192
	s_waitcnt lgkmcnt(0)
	v_add_f32_e32 v19, v1, v19
	s_or_b64 exec, exec, s[4:5]
	s_and_saveexec_b64 s[4:5], vcc
	s_cbranch_execz .LBB152_635
.LBB152_720:
	s_ashr_i32 s21, s20, 31
	s_lshl_b64 s[6:7], s[20:21], 2
	s_getpc_b64 s[8:9]
	s_add_u32 s8, s8, llvm.amdgcn.dynlds.offset.table@rel32@lo+4
	s_addc_u32 s9, s9, llvm.amdgcn.dynlds.offset.table@rel32@hi+12
	s_add_u32 s6, s6, s8
	s_addc_u32 s7, s7, s9
	s_load_dword s6, s[6:7], 0x0
	s_waitcnt lgkmcnt(0)
	v_lshl_add_u32 v1, v0, 2, s6
	ds_read_b32 v1, v1 offset:256
	s_waitcnt lgkmcnt(0)
	v_add_f32_e32 v16, v1, v16
	s_or_b64 exec, exec, s[4:5]
	s_and_saveexec_b64 s[4:5], vcc
	s_cbranch_execz .LBB152_636
.LBB152_721:
	s_ashr_i32 s21, s20, 31
	s_lshl_b64 s[6:7], s[20:21], 2
	s_getpc_b64 s[8:9]
	s_add_u32 s8, s8, llvm.amdgcn.dynlds.offset.table@rel32@lo+4
	s_addc_u32 s9, s9, llvm.amdgcn.dynlds.offset.table@rel32@hi+12
	s_add_u32 s6, s6, s8
	s_addc_u32 s7, s7, s9
	s_load_dword s6, s[6:7], 0x0
	s_waitcnt lgkmcnt(0)
	v_lshl_add_u32 v1, v0, 2, s6
	ds_read_b32 v1, v1 offset:320
	s_waitcnt lgkmcnt(0)
	v_add_f32_e32 v17, v1, v17
	s_or_b64 exec, exec, s[4:5]
	s_and_saveexec_b64 s[4:5], vcc
	s_cbranch_execz .LBB152_637
.LBB152_722:
	s_ashr_i32 s21, s20, 31
	s_lshl_b64 s[6:7], s[20:21], 2
	s_getpc_b64 s[8:9]
	s_add_u32 s8, s8, llvm.amdgcn.dynlds.offset.table@rel32@lo+4
	s_addc_u32 s9, s9, llvm.amdgcn.dynlds.offset.table@rel32@hi+12
	s_add_u32 s6, s6, s8
	s_addc_u32 s7, s7, s9
	s_load_dword s6, s[6:7], 0x0
	s_waitcnt lgkmcnt(0)
	v_lshl_add_u32 v1, v0, 2, s6
	ds_read_b32 v1, v1 offset:384
	s_waitcnt lgkmcnt(0)
	v_add_f32_e32 v10, v1, v10
	s_or_b64 exec, exec, s[4:5]
	s_and_saveexec_b64 s[4:5], vcc
	s_cbranch_execz .LBB152_638
.LBB152_723:
	s_ashr_i32 s21, s20, 31
	s_lshl_b64 s[6:7], s[20:21], 2
	s_getpc_b64 s[8:9]
	s_add_u32 s8, s8, llvm.amdgcn.dynlds.offset.table@rel32@lo+4
	s_addc_u32 s9, s9, llvm.amdgcn.dynlds.offset.table@rel32@hi+12
	s_add_u32 s6, s6, s8
	s_addc_u32 s7, s7, s9
	s_load_dword s6, s[6:7], 0x0
	s_waitcnt lgkmcnt(0)
	v_lshl_add_u32 v1, v0, 2, s6
	ds_read_b32 v1, v1 offset:448
	s_waitcnt lgkmcnt(0)
	v_add_f32_e32 v11, v1, v11
	s_or_b64 exec, exec, s[4:5]
	s_and_saveexec_b64 s[4:5], vcc
	s_cbranch_execz .LBB152_639
.LBB152_724:
	s_ashr_i32 s21, s20, 31
	s_lshl_b64 s[6:7], s[20:21], 2
	s_getpc_b64 s[8:9]
	s_add_u32 s8, s8, llvm.amdgcn.dynlds.offset.table@rel32@lo+4
	s_addc_u32 s9, s9, llvm.amdgcn.dynlds.offset.table@rel32@hi+12
	s_add_u32 s6, s6, s8
	s_addc_u32 s7, s7, s9
	s_load_dword s6, s[6:7], 0x0
	s_waitcnt lgkmcnt(0)
	v_lshl_add_u32 v1, v0, 2, s6
	ds_read_b32 v1, v1 offset:512
	s_waitcnt lgkmcnt(0)
	v_add_f32_e32 v8, v1, v8
	s_or_b64 exec, exec, s[4:5]
	s_and_saveexec_b64 s[4:5], vcc
	s_cbranch_execz .LBB152_640
.LBB152_725:
	s_ashr_i32 s21, s20, 31
	s_lshl_b64 s[6:7], s[20:21], 2
	s_getpc_b64 s[8:9]
	s_add_u32 s8, s8, llvm.amdgcn.dynlds.offset.table@rel32@lo+4
	s_addc_u32 s9, s9, llvm.amdgcn.dynlds.offset.table@rel32@hi+12
	s_add_u32 s6, s6, s8
	s_addc_u32 s7, s7, s9
	s_load_dword s6, s[6:7], 0x0
	s_waitcnt lgkmcnt(0)
	v_lshl_add_u32 v1, v0, 2, s6
	ds_read_b32 v1, v1 offset:576
	s_waitcnt lgkmcnt(0)
	v_add_f32_e32 v9, v1, v9
	s_or_b64 exec, exec, s[4:5]
	s_and_saveexec_b64 s[4:5], vcc
	s_cbranch_execz .LBB152_641
.LBB152_726:
	s_ashr_i32 s21, s20, 31
	s_lshl_b64 s[6:7], s[20:21], 2
	s_getpc_b64 s[8:9]
	s_add_u32 s8, s8, llvm.amdgcn.dynlds.offset.table@rel32@lo+4
	s_addc_u32 s9, s9, llvm.amdgcn.dynlds.offset.table@rel32@hi+12
	s_add_u32 s6, s6, s8
	s_addc_u32 s7, s7, s9
	s_load_dword s6, s[6:7], 0x0
	s_waitcnt lgkmcnt(0)
	v_lshl_add_u32 v1, v0, 2, s6
	ds_read_b32 v1, v1 offset:640
	s_waitcnt lgkmcnt(0)
	v_add_f32_e32 v6, v1, v6
	s_or_b64 exec, exec, s[4:5]
	s_and_saveexec_b64 s[4:5], vcc
	s_cbranch_execz .LBB152_642
.LBB152_727:
	s_ashr_i32 s21, s20, 31
	s_lshl_b64 s[6:7], s[20:21], 2
	s_getpc_b64 s[8:9]
	s_add_u32 s8, s8, llvm.amdgcn.dynlds.offset.table@rel32@lo+4
	s_addc_u32 s9, s9, llvm.amdgcn.dynlds.offset.table@rel32@hi+12
	s_add_u32 s6, s6, s8
	s_addc_u32 s7, s7, s9
	s_load_dword s6, s[6:7], 0x0
	s_waitcnt lgkmcnt(0)
	v_lshl_add_u32 v1, v0, 2, s6
	ds_read_b32 v1, v1 offset:704
	s_waitcnt lgkmcnt(0)
	v_add_f32_e32 v7, v1, v7
	s_or_b64 exec, exec, s[4:5]
	s_and_saveexec_b64 s[4:5], vcc
	s_cbranch_execz .LBB152_643
.LBB152_728:
	s_ashr_i32 s21, s20, 31
	s_lshl_b64 s[6:7], s[20:21], 2
	s_getpc_b64 s[8:9]
	s_add_u32 s8, s8, llvm.amdgcn.dynlds.offset.table@rel32@lo+4
	s_addc_u32 s9, s9, llvm.amdgcn.dynlds.offset.table@rel32@hi+12
	s_add_u32 s6, s6, s8
	s_addc_u32 s7, s7, s9
	s_load_dword s6, s[6:7], 0x0
	s_waitcnt lgkmcnt(0)
	v_lshl_add_u32 v1, v0, 2, s6
	ds_read_b32 v1, v1 offset:768
	s_waitcnt lgkmcnt(0)
	v_add_f32_e32 v2, v1, v2
	s_or_b64 exec, exec, s[4:5]
	s_and_saveexec_b64 s[4:5], vcc
	s_cbranch_execz .LBB152_644
.LBB152_729:
	s_ashr_i32 s21, s20, 31
	s_lshl_b64 s[6:7], s[20:21], 2
	s_getpc_b64 s[8:9]
	s_add_u32 s8, s8, llvm.amdgcn.dynlds.offset.table@rel32@lo+4
	s_addc_u32 s9, s9, llvm.amdgcn.dynlds.offset.table@rel32@hi+12
	s_add_u32 s6, s6, s8
	s_addc_u32 s7, s7, s9
	s_load_dword s6, s[6:7], 0x0
	s_waitcnt lgkmcnt(0)
	v_lshl_add_u32 v1, v0, 2, s6
	ds_read_b32 v1, v1 offset:832
	s_waitcnt lgkmcnt(0)
	v_add_f32_e32 v3, v1, v3
	s_or_b64 exec, exec, s[4:5]
	s_and_saveexec_b64 s[4:5], vcc
	s_cbranch_execz .LBB152_645
.LBB152_730:
	s_ashr_i32 s21, s20, 31
	s_lshl_b64 s[6:7], s[20:21], 2
	s_getpc_b64 s[8:9]
	s_add_u32 s8, s8, llvm.amdgcn.dynlds.offset.table@rel32@lo+4
	s_addc_u32 s9, s9, llvm.amdgcn.dynlds.offset.table@rel32@hi+12
	s_add_u32 s6, s6, s8
	s_addc_u32 s7, s7, s9
	s_load_dword s6, s[6:7], 0x0
	s_waitcnt lgkmcnt(0)
	v_lshl_add_u32 v1, v0, 2, s6
	ds_read_b32 v1, v1 offset:896
	s_waitcnt lgkmcnt(0)
	v_add_f32_e32 v4, v1, v4
	s_or_b64 exec, exec, s[4:5]
	s_and_saveexec_b64 s[4:5], vcc
	s_cbranch_execnz .LBB152_646
	s_branch .LBB152_647
.Lfunc_end152:
	.size	_ZN4vllm22paged_attention_kernelI14__hip_bfloat16S1_Li256ELi32ELi128ELNS_18Fp8KVCacheDataTypeE0ELb1ELi0EEEvPfS3_PT_PKS4_PKT0_SA_ifPKiSC_iPKfiiiSE_SE_iiiii, .Lfunc_end152-_ZN4vllm22paged_attention_kernelI14__hip_bfloat16S1_Li256ELi32ELi128ELNS_18Fp8KVCacheDataTypeE0ELb1ELi0EEEvPfS3_PT_PKS4_PKT0_SA_ifPKiSC_iPKfiiiSE_SE_iiiii
                                        ; -- End function
	.section	.AMDGPU.csdata,"",@progbits
; Function info:
; codeLenInByte = 31916
; NumSgprs: 39
; NumVgprs: 64
; NumAgprs: 64
; TotalNumVgprs: 128
; ScratchSize: 540
; MemoryBound: 0
	.section	.text._ZN4vllm25paged_attention_v1_kernelI14__hip_bfloat16S1_Li256ELi32ELi128ELNS_18Fp8KVCacheDataTypeE0ELb1EEEvPT_PKS3_PKT0_S9_ifPKiSB_iPKfiiiSD_SD_iiiii,"axG",@progbits,_ZN4vllm25paged_attention_v1_kernelI14__hip_bfloat16S1_Li256ELi32ELi128ELNS_18Fp8KVCacheDataTypeE0ELb1EEEvPT_PKS3_PKT0_S9_ifPKiSB_iPKfiiiSD_SD_iiiii,comdat
	.protected	_ZN4vllm25paged_attention_v1_kernelI14__hip_bfloat16S1_Li256ELi32ELi128ELNS_18Fp8KVCacheDataTypeE0ELb1EEEvPT_PKS3_PKT0_S9_ifPKiSB_iPKfiiiSD_SD_iiiii ; -- Begin function _ZN4vllm25paged_attention_v1_kernelI14__hip_bfloat16S1_Li256ELi32ELi128ELNS_18Fp8KVCacheDataTypeE0ELb1EEEvPT_PKS3_PKT0_S9_ifPKiSB_iPKfiiiSD_SD_iiiii
	.globl	_ZN4vllm25paged_attention_v1_kernelI14__hip_bfloat16S1_Li256ELi32ELi128ELNS_18Fp8KVCacheDataTypeE0ELb1EEEvPT_PKS3_PKT0_S9_ifPKiSB_iPKfiiiSD_SD_iiiii
	.p2align	8
	.type	_ZN4vllm25paged_attention_v1_kernelI14__hip_bfloat16S1_Li256ELi32ELi128ELNS_18Fp8KVCacheDataTypeE0ELb1EEEvPT_PKS3_PKT0_S9_ifPKiSB_iPKfiiiSD_SD_iiiii,@function
_ZN4vllm25paged_attention_v1_kernelI14__hip_bfloat16S1_Li256ELi32ELi128ELNS_18Fp8KVCacheDataTypeE0ELb1EEEvPT_PKS3_PKT0_S9_ifPKiSB_iPKfiiiSD_SD_iiiii: ; @_ZN4vllm25paged_attention_v1_kernelI14__hip_bfloat16S1_Li256ELi32ELi128ELNS_18Fp8KVCacheDataTypeE0ELb1EEEvPT_PKS3_PKT0_S9_ifPKiSB_iPKfiiiSD_SD_iiiii
; %bb.0:
	s_load_dwordx8 s[16:23], s[0:1], 0x0
	s_load_dwordx4 s[24:27], s[0:1], 0x20
	s_load_dwordx2 s[6:7], s[0:1], 0x30
	s_load_dword s5, s[0:1], 0x38
	s_load_dwordx2 s[10:11], s[0:1], 0x40
	s_load_dword s33, s[0:1], 0x78
	s_load_dwordx4 s[28:31], s[0:1], 0x48
	s_load_dwordx4 s[36:39], s[0:1], 0x68
	s_add_u32 s8, s0, 0x80
	s_addc_u32 s9, s1, 0
	s_mov_b32 s12, s2
	s_mov_b32 s13, s3
	s_mov_b32 s14, s4
	s_mov_b32 s15, 1
	v_mov_b32_e32 v31, v0
	s_waitcnt lgkmcnt(0)
	v_mov_b32_e32 v0, s16
	v_mov_b32_e32 v1, s17
	;; [unrolled: 1-line block ×25, first 2 shown]
	s_mov_b32 s32, 0
	s_getpc_b64 s[0:1]
	s_add_u32 s0, s0, _ZN4vllm22paged_attention_kernelI14__hip_bfloat16S1_Li256ELi32ELi128ELNS_18Fp8KVCacheDataTypeE0ELb1ELi0EEEvPfS3_PT_PKS4_PKT0_SA_ifPKiSC_iPKfiiiSE_SE_iiiii@rel32@lo+4
	s_addc_u32 s1, s1, _ZN4vllm22paged_attention_kernelI14__hip_bfloat16S1_Li256ELi32ELi128ELNS_18Fp8KVCacheDataTypeE0ELb1ELi0EEEvPfS3_PT_PKS4_PKT0_SA_ifPKiSC_iPKfiiiSE_SE_iiiii@rel32@hi+12
	s_swappc_b64 s[30:31], s[0:1]
	s_endpgm
	.section	.rodata,"a",@progbits
	.p2align	6, 0x0
	.amdhsa_kernel _ZN4vllm25paged_attention_v1_kernelI14__hip_bfloat16S1_Li256ELi32ELi128ELNS_18Fp8KVCacheDataTypeE0ELb1EEEvPT_PKS3_PKT0_S9_ifPKiSB_iPKfiiiSD_SD_iiiii
		.amdhsa_group_segment_fixed_size 528
		.amdhsa_private_segment_fixed_size 540
		.amdhsa_kernarg_size 384
		.amdhsa_user_sgpr_count 2
		.amdhsa_user_sgpr_dispatch_ptr 0
		.amdhsa_user_sgpr_queue_ptr 0
		.amdhsa_user_sgpr_kernarg_segment_ptr 1
		.amdhsa_user_sgpr_dispatch_id 0
		.amdhsa_user_sgpr_kernarg_preload_length 0
		.amdhsa_user_sgpr_kernarg_preload_offset 0
		.amdhsa_user_sgpr_private_segment_size 0
		.amdhsa_uses_dynamic_stack 0
		.amdhsa_enable_private_segment 1
		.amdhsa_system_sgpr_workgroup_id_x 1
		.amdhsa_system_sgpr_workgroup_id_y 1
		.amdhsa_system_sgpr_workgroup_id_z 1
		.amdhsa_system_sgpr_workgroup_info 0
		.amdhsa_system_vgpr_workitem_id 0
		.amdhsa_next_free_vgpr 128
		.amdhsa_next_free_sgpr 40
		.amdhsa_accum_offset 64
		.amdhsa_reserve_vcc 1
		.amdhsa_float_round_mode_32 0
		.amdhsa_float_round_mode_16_64 0
		.amdhsa_float_denorm_mode_32 3
		.amdhsa_float_denorm_mode_16_64 3
		.amdhsa_dx10_clamp 1
		.amdhsa_ieee_mode 1
		.amdhsa_fp16_overflow 0
		.amdhsa_tg_split 0
		.amdhsa_exception_fp_ieee_invalid_op 0
		.amdhsa_exception_fp_denorm_src 0
		.amdhsa_exception_fp_ieee_div_zero 0
		.amdhsa_exception_fp_ieee_overflow 0
		.amdhsa_exception_fp_ieee_underflow 0
		.amdhsa_exception_fp_ieee_inexact 0
		.amdhsa_exception_int_div_zero 0
	.end_amdhsa_kernel
	.section	.text._ZN4vllm25paged_attention_v1_kernelI14__hip_bfloat16S1_Li256ELi32ELi128ELNS_18Fp8KVCacheDataTypeE0ELb1EEEvPT_PKS3_PKT0_S9_ifPKiSB_iPKfiiiSD_SD_iiiii,"axG",@progbits,_ZN4vllm25paged_attention_v1_kernelI14__hip_bfloat16S1_Li256ELi32ELi128ELNS_18Fp8KVCacheDataTypeE0ELb1EEEvPT_PKS3_PKT0_S9_ifPKiSB_iPKfiiiSD_SD_iiiii,comdat
.Lfunc_end153:
	.size	_ZN4vllm25paged_attention_v1_kernelI14__hip_bfloat16S1_Li256ELi32ELi128ELNS_18Fp8KVCacheDataTypeE0ELb1EEEvPT_PKS3_PKT0_S9_ifPKiSB_iPKfiiiSD_SD_iiiii, .Lfunc_end153-_ZN4vllm25paged_attention_v1_kernelI14__hip_bfloat16S1_Li256ELi32ELi128ELNS_18Fp8KVCacheDataTypeE0ELb1EEEvPT_PKS3_PKT0_S9_ifPKiSB_iPKfiiiSD_SD_iiiii
                                        ; -- End function
	.section	.AMDGPU.csdata,"",@progbits
; Kernel info:
; codeLenInByte = 232
; NumSgprs: 46
; NumVgprs: 64
; NumAgprs: 64
; TotalNumVgprs: 128
; ScratchSize: 540
; MemoryBound: 0
; FloatMode: 240
; IeeeMode: 1
; LDSByteSize: 528 bytes/workgroup (compile time only)
; SGPRBlocks: 5
; VGPRBlocks: 15
; NumSGPRsForWavesPerEU: 46
; NumVGPRsForWavesPerEU: 128
; AccumOffset: 64
; Occupancy: 4
; WaveLimiterHint : 1
; COMPUTE_PGM_RSRC2:SCRATCH_EN: 1
; COMPUTE_PGM_RSRC2:USER_SGPR: 2
; COMPUTE_PGM_RSRC2:TRAP_HANDLER: 0
; COMPUTE_PGM_RSRC2:TGID_X_EN: 1
; COMPUTE_PGM_RSRC2:TGID_Y_EN: 1
; COMPUTE_PGM_RSRC2:TGID_Z_EN: 1
; COMPUTE_PGM_RSRC2:TIDIG_COMP_CNT: 0
; COMPUTE_PGM_RSRC3_GFX90A:ACCUM_OFFSET: 15
; COMPUTE_PGM_RSRC3_GFX90A:TG_SPLIT: 0
	.section	.text._ZN4vllm25paged_attention_v1_kernelI14__hip_bfloat16S1_Li32ELi32ELi128ELNS_18Fp8KVCacheDataTypeE0ELb0EEEvPT_PKS3_PKT0_S9_ifPKiSB_iPKfiiiSD_SD_iiiii,"axG",@progbits,_ZN4vllm25paged_attention_v1_kernelI14__hip_bfloat16S1_Li32ELi32ELi128ELNS_18Fp8KVCacheDataTypeE0ELb0EEEvPT_PKS3_PKT0_S9_ifPKiSB_iPKfiiiSD_SD_iiiii,comdat
	.protected	_ZN4vllm25paged_attention_v1_kernelI14__hip_bfloat16S1_Li32ELi32ELi128ELNS_18Fp8KVCacheDataTypeE0ELb0EEEvPT_PKS3_PKT0_S9_ifPKiSB_iPKfiiiSD_SD_iiiii ; -- Begin function _ZN4vllm25paged_attention_v1_kernelI14__hip_bfloat16S1_Li32ELi32ELi128ELNS_18Fp8KVCacheDataTypeE0ELb0EEEvPT_PKS3_PKT0_S9_ifPKiSB_iPKfiiiSD_SD_iiiii
	.globl	_ZN4vllm25paged_attention_v1_kernelI14__hip_bfloat16S1_Li32ELi32ELi128ELNS_18Fp8KVCacheDataTypeE0ELb0EEEvPT_PKS3_PKT0_S9_ifPKiSB_iPKfiiiSD_SD_iiiii
	.p2align	8
	.type	_ZN4vllm25paged_attention_v1_kernelI14__hip_bfloat16S1_Li32ELi32ELi128ELNS_18Fp8KVCacheDataTypeE0ELb0EEEvPT_PKS3_PKT0_S9_ifPKiSB_iPKfiiiSD_SD_iiiii,@function
_ZN4vllm25paged_attention_v1_kernelI14__hip_bfloat16S1_Li32ELi32ELi128ELNS_18Fp8KVCacheDataTypeE0ELb0EEEvPT_PKS3_PKT0_S9_ifPKiSB_iPKfiiiSD_SD_iiiii: ; @_ZN4vllm25paged_attention_v1_kernelI14__hip_bfloat16S1_Li32ELi32ELi128ELNS_18Fp8KVCacheDataTypeE0ELb0EEEvPT_PKS3_PKT0_S9_ifPKiSB_iPKfiiiSD_SD_iiiii
; %bb.0:
	s_load_dword s5, s[0:1], 0x80
	s_load_dwordx2 s[6:7], s[0:1], 0x30
	s_load_dwordx2 s[8:9], s[0:1], 0x20
	s_mov_b32 s10, s3
	s_ashr_i32 s11, s3, 31
	s_lshl_b64 s[12:13], s[10:11], 2
	s_waitcnt lgkmcnt(0)
	s_add_u32 s6, s6, s12
	s_addc_u32 s7, s7, s13
	s_abs_i32 s3, s8
	v_cvt_f32_u32_e32 v1, s3
	s_sub_i32 s12, 0, s3
	s_abs_i32 s11, s5
	s_xor_b32 s8, s5, s8
	v_rcp_iflag_f32_e32 v1, v1
	s_ashr_i32 s8, s8, 31
	v_mul_f32_e32 v1, 0x4f7ffffe, v1
	v_cvt_u32_f32_e32 v1, v1
	s_nop 0
	v_readfirstlane_b32 s13, v1
	s_mul_i32 s12, s12, s13
	s_mul_hi_u32 s12, s13, s12
	s_add_i32 s13, s13, s12
	s_mul_hi_u32 s12, s11, s13
	s_mul_i32 s13, s12, s3
	s_sub_i32 s11, s11, s13
	s_add_i32 s13, s12, 1
	s_sub_i32 s14, s11, s3
	s_cmp_ge_u32 s11, s3
	s_cselect_b32 s12, s13, s12
	s_cselect_b32 s11, s14, s11
	s_add_i32 s13, s12, 1
	s_cmp_ge_u32 s11, s3
	s_cselect_b32 s3, s13, s12
	s_xor_b32 s3, s3, s8
	s_sub_i32 s14, s3, s8
	s_abs_i32 s11, s14
	v_cvt_f32_u32_e32 v1, s11
	s_load_dwordx2 s[12:13], s[0:1], 0x40
	s_sub_i32 s3, 0, s11
	s_abs_i32 s18, s2
	v_rcp_iflag_f32_e32 v1, v1
	s_mov_b32 s8, 0
	v_mul_f32_e32 v1, 0x4f7ffffe, v1
	v_cvt_u32_f32_e32 v1, v1
	s_nop 0
	v_readfirstlane_b32 s15, v1
	s_mul_i32 s3, s3, s15
	s_mul_hi_u32 s3, s15, s3
	s_add_i32 s15, s15, s3
	s_waitcnt lgkmcnt(0)
	s_cmp_eq_u64 s[12:13], 0
	s_mul_hi_u32 s19, s18, s15
	s_cbranch_scc1 .LBB154_2
; %bb.1:
	s_ashr_i32 s3, s2, 31
	s_lshl_b64 s[16:17], s[2:3], 2
	s_add_u32 s12, s12, s16
	s_addc_u32 s13, s13, s17
	s_load_dword s8, s[12:13], 0x0
.LBB154_2:
	s_load_dword s33, s[6:7], 0x0
	s_ashr_i32 s7, s14, 31
	s_load_dwordx4 s[12:15], s[0:1], 0x48
	s_ashr_i32 s6, s2, 31
	v_and_b32_e32 v4, 1, v0
	s_lshl_b32 s16, s2, 5
	v_cmp_gt_u32_e32 vcc, 8, v0
	v_lshlrev_b32_e32 v6, 3, v0
	s_and_saveexec_b64 s[2:3], vcc
	s_cbranch_execz .LBB154_4
; %bb.3:
	s_load_dwordx2 s[20:21], s[0:1], 0x8
	s_waitcnt lgkmcnt(0)
	s_mul_i32 s22, s10, s12
	s_ashr_i32 s23, s22, 31
	s_lshl_b64 s[22:23], s[22:23], 1
	v_lshlrev_b32_e32 v1, 2, v0
	s_add_u32 s12, s20, s22
	s_addc_u32 s15, s21, s23
	s_ashr_i32 s17, s16, 31
	s_lshl_b64 s[20:21], s[16:17], 1
	s_add_u32 s20, s12, s20
	s_addc_u32 s21, s15, s21
	global_load_dwordx2 v[2:3], v6, s[20:21]
	v_and_b32_e32 v1, 0xff8, v1
	v_lshl_add_u32 v1, v4, 5, v1
	s_waitcnt vmcnt(0)
	ds_write_b64 v1, v[2:3]
.LBB154_4:
	s_or_b64 exec, exec, s[2:3]
	s_waitcnt lgkmcnt(0)
	s_add_i32 s3, s33, 31
	s_ashr_i32 s12, s3, 31
	s_lshr_b32 s12, s12, 27
	s_add_i32 s3, s3, s12
	s_ashr_i32 s12, s3, 5
	s_xor_b32 s3, s6, s7
	s_mul_i32 s6, s19, s11
	s_sub_i32 s6, s18, s6
	s_add_i32 s7, s19, 1
	s_sub_i32 s15, s6, s11
	s_load_dwordx2 s[20:21], s[0:1], 0x28
	s_load_dword s2, s[0:1], 0x38
	s_cmp_ge_u32 s6, s11
	s_cselect_b32 s7, s7, s19
	s_cselect_b32 s6, s15, s6
	s_add_i32 s15, s7, 1
	s_cmp_ge_u32 s6, s11
	s_cselect_b32 s6, s15, s7
	v_lshrrev_b32_e32 v1, 6, v0
	s_xor_b32 s6, s6, s3
	s_waitcnt lgkmcnt(0)
	s_mul_i32 s22, s10, s2
	s_sub_i32 s15, s6, s3
	s_ashr_i32 s23, s22, 31
	v_cmp_gt_i32_e64 s[2:3], s12, v1
	v_cmp_le_i32_e32 vcc, s12, v1
	v_mbcnt_lo_u32_b32 v5, -1, 0
	s_barrier
	s_waitcnt lgkmcnt(0)
                                        ; implicit-def: $sgpr17
                                        ; implicit-def: $vgpr8
                                        ; implicit-def: $vgpr9
	s_and_saveexec_b64 s[6:7], vcc
	s_xor_b64 s[6:7], exec, s[6:7]
; %bb.5:
	v_mbcnt_hi_u32_b32 v8, -1, v5
	v_and_b32_e32 v2, 64, v8
	v_add_u32_e32 v9, 64, v2
	s_mov_b32 s17, 0xff7fffff
                                        ; implicit-def: $vgpr4
                                        ; implicit-def: $vgpr5
; %bb.6:
	s_or_saveexec_b64 s[26:27], s[6:7]
	s_load_dwordx2 s[18:19], s[0:1], 0x0
	s_load_dwordx2 s[24:25], s[0:1], 0x18
	s_load_dword s11, s[0:1], 0x88
	v_mov_b32_e32 v19, s17
	s_mul_i32 s14, s15, s14
	v_lshrrev_b32_e32 v7, 4, v0
	s_xor_b64 exec, exec, s[26:27]
	s_cbranch_execz .LBB154_12
; %bb.7:
	s_load_dwordx2 s[0:1], s[0:1], 0x10
	v_lshlrev_b32_e32 v8, 5, v4
	s_ashr_i32 s15, s14, 31
	ds_read_b128 v[14:17], v8
	ds_read_b128 v[24:27], v8 offset:16
	v_mbcnt_hi_u32_b32 v8, -1, v5
	s_lshl_b64 s[6:7], s[14:15], 1
	v_and_b32_e32 v9, 64, v8
	v_bfe_u32 v19, v0, 1, 5
	s_waitcnt lgkmcnt(0)
	s_add_u32 s0, s0, s6
	v_xor_b32_e32 v5, 1, v8
	v_add_u32_e32 v9, 64, v9
	s_addc_u32 s1, s1, s7
	v_lshlrev_b32_e32 v30, 4, v19
	v_mov_b32_e32 v31, 0
	v_cmp_lt_i32_e32 vcc, v5, v9
	s_sub_i32 s15, 1, s33
	s_lshl_b64 s[6:7], s[22:23], 2
	v_lshl_add_u64 v[2:3], s[0:1], 0, v[30:31]
	v_and_b32_e32 v30, 8, v6
	v_cndmask_b32_e32 v5, v8, v5, vcc
	v_cmp_eq_u32_e32 vcc, 0, v4
	v_lshlrev_b32_e32 v4, 2, v19
	s_add_u32 s6, s20, s6
	v_lshl_add_u64 v[2:3], v[2:3], 0, v[30:31]
	v_lshl_or_b32 v4, v1, 7, v4
	v_and_b32_e32 v30, 60, v7
	s_addc_u32 s7, s21, s7
	s_mov_b32 s17, s13
	v_lshlrev_b32_e32 v10, 16, v14
	v_and_b32_e32 v11, 0xffff0000, v14
	v_lshlrev_b32_e32 v12, 16, v15
	v_and_b32_e32 v13, 0xffff0000, v15
	;; [unrolled: 2-line block ×8, first 2 shown]
	v_lshlrev_b32_e32 v27, 2, v5
	v_cmp_neq_f32_e64 s[0:1], s8, 0
	v_lshl_or_b32 v28, v1, 5, v19
	v_add_u32_e32 v29, 0x50, v4
	v_lshl_add_u64 v[4:5], s[6:7], 0, v[30:31]
	s_mov_b64 s[28:29], 0
	v_mov_b32_e32 v19, 0xff7fffff
	v_mov_b32_e32 v30, v1
	s_branch .LBB154_9
.LBB154_8:                              ;   in Loop: Header=BB154_9 Depth=1
	s_or_b64 exec, exec, s[30:31]
	v_add_u32_e32 v30, 2, v30
	v_cmp_le_i32_e64 s[6:7], s12, v30
	v_add_u32_e32 v28, 64, v28
	v_add_u32_e32 v29, 0x100, v29
	s_or_b64 s[28:29], s[6:7], s[28:29]
	v_lshl_add_u64 v[4:5], v[4:5], 0, 8
	s_andn2_b64 exec, exec, s[28:29]
	s_cbranch_execz .LBB154_11
.LBB154_9:                              ; =>This Inner Loop Header: Depth=1
	global_load_dword v31, v[4:5], off
	s_waitcnt vmcnt(0) lgkmcnt(0)
	v_mad_i64_i32 v[32:33], s[6:7], v31, s17, 0
	v_lshl_add_u64 v[32:33], v[32:33], 1, v[2:3]
	global_load_dwordx2 v[34:35], v[32:33], off
	global_load_dwordx2 v[36:37], v[32:33], off offset:512
	global_load_dwordx2 v[38:39], v[32:33], off offset:1024
	;; [unrolled: 1-line block ×3, first 2 shown]
	s_waitcnt vmcnt(3)
	v_lshlrev_b32_e32 v31, 16, v34
	v_and_b32_e32 v32, 0xffff0000, v34
	v_lshlrev_b32_e32 v33, 16, v35
	v_and_b32_e32 v34, 0xffff0000, v35
	s_waitcnt vmcnt(2)
	v_lshlrev_b32_e32 v35, 16, v36
	v_and_b32_e32 v36, 0xffff0000, v36
	v_lshlrev_b32_e32 v42, 16, v37
	v_mul_f32_e32 v35, v14, v35
	v_mul_f32_e32 v36, v15, v36
	v_and_b32_e32 v37, 0xffff0000, v37
	s_waitcnt vmcnt(1)
	v_lshlrev_b32_e32 v43, 16, v38
	v_and_b32_e32 v38, 0xffff0000, v38
	v_mul_f32_e32 v42, v16, v42
	v_fmac_f32_e32 v35, v10, v31
	v_fmac_f32_e32 v36, v11, v32
	v_lshlrev_b32_e32 v44, 16, v39
	s_waitcnt vmcnt(0)
	v_lshlrev_b32_e32 v45, 16, v40
	v_and_b32_e32 v40, 0xffff0000, v40
	v_mul_f32_e32 v37, v17, v37
	v_fmac_f32_e32 v42, v12, v33
	v_fmac_f32_e32 v35, v18, v43
	;; [unrolled: 1-line block ×3, first 2 shown]
	v_and_b32_e32 v39, 0xffff0000, v39
	v_lshlrev_b32_e32 v46, 16, v41
	v_fmac_f32_e32 v37, v13, v34
	v_fmac_f32_e32 v42, v21, v44
	;; [unrolled: 1-line block ×4, first 2 shown]
	v_and_b32_e32 v41, 0xffff0000, v41
	v_fmac_f32_e32 v37, v22, v39
	v_fmac_f32_e32 v42, v25, v46
	v_add_f32_e32 v31, v35, v36
	v_fmac_f32_e32 v37, v26, v41
	v_add_f32_e32 v31, v31, v42
	v_add_f32_e32 v31, v37, v31
	ds_bpermute_b32 v32, v27, v31
	s_and_saveexec_b64 s[30:31], vcc
	s_cbranch_execz .LBB154_8
; %bb.10:                               ;   in Loop: Header=BB154_9 Depth=1
	v_add_u32_e32 v33, s15, v28
	v_cvt_f32_i32_e32 v33, v33
	s_waitcnt lgkmcnt(0)
	v_add_f32_e32 v31, v31, v32
	v_cmp_gt_i32_e64 s[6:7], s33, v28
	v_max_f32_e32 v32, v19, v19
	v_mul_f32_e32 v33, s8, v33
	v_cndmask_b32_e64 v33, 0, v33, s[0:1]
	v_fmac_f32_e32 v33, s9, v31
	v_cndmask_b32_e64 v31, 0, v33, s[6:7]
	ds_write_b32 v29, v31
	v_max_f32_e32 v31, v32, v33
	v_cndmask_b32_e64 v19, v19, v31, s[6:7]
	s_branch .LBB154_8
.LBB154_11:
	s_or_b64 exec, exec, s[28:29]
.LBB154_12:
	s_or_b64 exec, exec, s[26:27]
	v_xor_b32_e32 v2, 32, v8
	v_cmp_lt_i32_e32 vcc, v2, v9
	v_xor_b32_e32 v5, 16, v8
	v_max_f32_e32 v4, v19, v19
	v_cndmask_b32_e32 v2, v8, v2, vcc
	v_lshlrev_b32_e32 v2, 2, v2
	ds_bpermute_b32 v3, v2, v19
	v_cmp_lt_i32_e32 vcc, v5, v9
	v_xor_b32_e32 v10, 8, v8
	v_xor_b32_e32 v11, 4, v8
	;; [unrolled: 1-line block ×3, first 2 shown]
	s_waitcnt lgkmcnt(0)
	v_max_f32_e32 v3, v3, v3
	v_max_f32_e32 v4, v4, v3
	v_cndmask_b32_e32 v3, v8, v5, vcc
	v_lshlrev_b32_e32 v3, 2, v3
	ds_bpermute_b32 v5, v3, v4
	v_cmp_lt_i32_e32 vcc, v10, v9
	v_and_b32_e32 v18, 63, v0
	s_waitcnt lgkmcnt(0)
	v_max_f32_e32 v5, v5, v5
	v_max_f32_e32 v5, v4, v5
	v_cndmask_b32_e32 v4, v8, v10, vcc
	v_lshlrev_b32_e32 v4, 2, v4
	ds_bpermute_b32 v10, v4, v5
	v_cmp_lt_i32_e32 vcc, v11, v9
	s_waitcnt lgkmcnt(0)
	v_max_f32_e32 v10, v10, v10
	v_max_f32_e32 v10, v5, v10
	v_cndmask_b32_e32 v5, v8, v11, vcc
	v_lshlrev_b32_e32 v5, 2, v5
	ds_bpermute_b32 v11, v5, v10
	v_cmp_lt_i32_e32 vcc, v12, v9
	s_waitcnt lgkmcnt(0)
	v_max_f32_e32 v11, v11, v11
	v_max_f32_e32 v11, v10, v11
	v_cndmask_b32_e32 v10, v8, v12, vcc
	v_lshlrev_b32_e32 v19, 2, v10
	ds_bpermute_b32 v12, v19, v11
	v_cmp_eq_u32_e32 vcc, 0, v18
	v_lshlrev_b32_e32 v10, 2, v1
	s_and_saveexec_b64 s[0:1], vcc
	s_cbranch_execz .LBB154_14
; %bb.13:
	s_waitcnt lgkmcnt(0)
	v_max_f32_e32 v12, v12, v12
	v_max_f32_e32 v11, v11, v11
	v_max_f32_e32 v11, v11, v12
	ds_write_b32 v10, v11 offset:64
.LBB154_14:
	s_or_b64 exec, exec, s[0:1]
	v_cmp_gt_u32_e64 s[0:1], 2, v18
	s_waitcnt lgkmcnt(0)
	v_mov_b32_e32 v12, 0xff7fffff
	v_lshlrev_b32_e32 v11, 2, v18
	s_barrier
	s_and_saveexec_b64 s[6:7], s[0:1]
	s_cbranch_execz .LBB154_16
; %bb.15:
	ds_read_b32 v12, v11 offset:64
.LBB154_16:
	s_or_b64 exec, exec, s[6:7]
	v_xor_b32_e32 v13, 1, v8
	v_cmp_lt_i32_e64 s[6:7], v13, v9
	s_nop 1
	v_cndmask_b32_e64 v9, v8, v13, s[6:7]
	v_lshlrev_b32_e32 v20, 2, v9
	s_waitcnt lgkmcnt(0)
	ds_bpermute_b32 v9, v20, v12
	v_max_f32_e32 v12, v12, v12
	v_lshlrev_b32_e32 v8, 2, v8
	v_and_b32_e32 v8, 0xffffff00, v8
	s_lshl_b32 s6, s12, 5
	s_waitcnt lgkmcnt(0)
	v_max_f32_e32 v9, v9, v9
	v_max_f32_e32 v9, v12, v9
	ds_bpermute_b32 v12, v8, v9
	s_min_i32 s15, s6, s33
	v_cmp_gt_i32_e64 s[6:7], s15, v0
	v_mov_b32_e32 v9, 0
	s_and_saveexec_b64 s[26:27], s[6:7]
	s_cbranch_execz .LBB154_20
; %bb.17:
	v_mov_b32_e32 v9, 0x50
	v_lshl_add_u32 v13, v0, 2, v9
	s_mov_b64 s[28:29], 0
	v_mov_b32_e32 v9, 0
	v_mov_b32_e32 v14, v0
.LBB154_18:                             ; =>This Inner Loop Header: Depth=1
	ds_read_b32 v15, v13
	v_add_u32_e32 v14, 0x80, v14
	v_cmp_le_i32_e64 s[8:9], s15, v14
	s_or_b64 s[28:29], s[8:9], s[28:29]
	s_waitcnt lgkmcnt(0)
	v_sub_f32_e32 v15, v15, v12
	v_mul_f32_e32 v15, 0x3fb8aa3b, v15
	v_exp_f32_e32 v15, v15
	ds_write_b32 v13, v15
	v_add_f32_e32 v9, v9, v15
	v_add_u32_e32 v13, 0x200, v13
	s_andn2_b64 exec, exec, s[28:29]
	s_cbranch_execnz .LBB154_18
; %bb.19:
	s_or_b64 exec, exec, s[28:29]
.LBB154_20:
	s_or_b64 exec, exec, s[26:27]
	ds_bpermute_b32 v2, v2, v9
	s_waitcnt lgkmcnt(0)
	v_add_f32_e32 v2, v9, v2
	ds_bpermute_b32 v3, v3, v2
	s_waitcnt lgkmcnt(0)
	v_add_f32_e32 v2, v2, v3
	;; [unrolled: 3-line block ×6, first 2 shown]
	s_and_saveexec_b64 s[8:9], vcc
	s_cbranch_execz .LBB154_22
; %bb.21:
	ds_write_b32 v10, v2 offset:72
.LBB154_22:
	s_or_b64 exec, exec, s[8:9]
	s_waitcnt lgkmcnt(0)
	s_barrier
	s_and_saveexec_b64 s[8:9], s[0:1]
	s_cbranch_execz .LBB154_24
; %bb.23:
	ds_read_b32 v2, v11 offset:72
.LBB154_24:
	s_or_b64 exec, exec, s[8:9]
	s_waitcnt lgkmcnt(0)
	ds_bpermute_b32 v3, v20, v2
	s_waitcnt lgkmcnt(0)
	v_add_f32_e32 v2, v2, v3
	ds_bpermute_b32 v2, v8, v2
	s_and_saveexec_b64 s[0:1], s[6:7]
	s_cbranch_execz .LBB154_37
; %bb.25:
	s_waitcnt lgkmcnt(0)
	v_add_f32_e32 v2, 0x358637bd, v2
	v_div_scale_f32 v3, s[6:7], v2, v2, 1.0
	v_rcp_f32_e32 v4, v3
	v_div_scale_f32 v5, vcc, 1.0, v2, 1.0
	s_movk_i32 s6, 0x7f
	v_fma_f32 v8, -v3, v4, 1.0
	v_fmac_f32_e32 v4, v8, v4
	v_mul_f32_e32 v8, v5, v4
	v_fma_f32 v9, -v3, v8, v5
	v_fmac_f32_e32 v8, v9, v4
	v_fma_f32 v3, -v3, v8, v5
	v_div_fmas_f32 v3, v3, v4, v8
	v_xad_u32 v4, v0, -1, s15
	v_div_fixup_f32 v2, v3, v2, 1.0
	v_cmp_lt_u32_e32 vcc, s6, v4
	s_mov_b64 s[8:9], -1
	v_mov_b32_e32 v3, v0
	s_and_saveexec_b64 s[6:7], vcc
	s_cbranch_execz .LBB154_34
; %bb.26:
	v_lshrrev_b32_e32 v4, 7, v4
	v_add_u32_e32 v8, -1, v4
	v_lshrrev_b32_e32 v5, 1, v8
	v_mov_b32_e32 v3, v2
	v_add_u32_e32 v5, 1, v5
	v_cmp_lt_u32_e32 vcc, 13, v8
	v_mov_b32_e32 v10, 0
	s_and_saveexec_b64 s[8:9], vcc
	s_cbranch_execz .LBB154_30
; %bb.27:
	v_mov_b32_e32 v9, 0x50
	v_and_b32_e32 v8, -8, v5
	v_lshl_add_u32 v9, v0, 2, v9
	s_mov_b32 s17, 0
	s_mov_b64 s[26:27], 0
.LBB154_28:                             ; =>This Inner Loop Header: Depth=1
	ds_read2st64_b32 v[10:11], v9 offset1:2
	ds_read2st64_b32 v[12:13], v9 offset0:4 offset1:6
	ds_read2st64_b32 v[14:15], v9 offset0:8 offset1:10
	;; [unrolled: 1-line block ×3, first 2 shown]
	v_add_u32_e32 v8, -8, v8
	s_waitcnt lgkmcnt(3)
	v_pk_mul_f32 v[10:11], v[2:3], v[10:11]
	s_waitcnt lgkmcnt(2)
	v_pk_mul_f32 v[12:13], v[2:3], v[12:13]
	ds_write2st64_b32 v9, v10, v11 offset1:2
	ds_write2st64_b32 v9, v12, v13 offset0:4 offset1:6
	ds_read2st64_b32 v[12:13], v9 offset0:16 offset1:18
	s_waitcnt lgkmcnt(4)
	v_pk_mul_f32 v[10:11], v[2:3], v[14:15]
	ds_write2st64_b32 v9, v10, v11 offset0:8 offset1:10
	s_waitcnt lgkmcnt(4)
	v_pk_mul_f32 v[10:11], v[2:3], v[16:17]
	ds_write2st64_b32 v9, v10, v11 offset0:12 offset1:14
	ds_read2st64_b32 v[10:11], v9 offset0:20 offset1:22
	s_waitcnt lgkmcnt(3)
	v_pk_mul_f32 v[12:13], v[2:3], v[12:13]
	ds_read2st64_b32 v[14:15], v9 offset0:24 offset1:26
	ds_write2st64_b32 v9, v12, v13 offset0:16 offset1:18
	ds_read2st64_b32 v[12:13], v9 offset0:28 offset1:30
	s_waitcnt lgkmcnt(3)
	v_pk_mul_f32 v[10:11], v[2:3], v[10:11]
	ds_write2st64_b32 v9, v10, v11 offset0:20 offset1:22
	s_waitcnt lgkmcnt(3)
	v_pk_mul_f32 v[10:11], v[2:3], v[14:15]
	ds_write2st64_b32 v9, v10, v11 offset0:24 offset1:26
	s_waitcnt lgkmcnt(2)
	v_pk_mul_f32 v[10:11], v[2:3], v[12:13]
	s_add_i32 s17, s17, 16
	v_cmp_eq_u32_e32 vcc, 0, v8
	ds_write2st64_b32 v9, v10, v11 offset0:28 offset1:30
	v_add_u32_e32 v9, 0x2000, v9
	s_or_b64 s[26:27], vcc, s[26:27]
	v_mov_b32_e32 v10, s17
	s_andn2_b64 exec, exec, s[26:27]
	s_cbranch_execnz .LBB154_28
; %bb.29:
	s_or_b64 exec, exec, s[26:27]
.LBB154_30:
	s_or_b64 exec, exec, s[8:9]
	v_and_b32_e32 v5, 7, v5
	v_cmp_ne_u32_e32 vcc, 0, v5
	s_and_saveexec_b64 s[8:9], vcc
	s_cbranch_execz .LBB154_33
; %bb.31:
	v_lshlrev_b32_e32 v8, 9, v10
	v_lshlrev_b32_e32 v9, 2, v0
	s_movk_i32 s17, 0x50
	v_add3_u32 v8, v8, v9, s17
	s_mov_b64 s[26:27], 0
.LBB154_32:                             ; =>This Inner Loop Header: Depth=1
	ds_read2st64_b32 v[10:11], v8 offset1:2
	v_add_u32_e32 v5, -1, v5
	v_cmp_eq_u32_e32 vcc, 0, v5
	s_or_b64 s[26:27], vcc, s[26:27]
	s_waitcnt lgkmcnt(0)
	v_pk_mul_f32 v[10:11], v[2:3], v[10:11]
	ds_write2st64_b32 v8, v10, v11 offset1:2
	v_add_u32_e32 v8, 0x400, v8
	s_andn2_b64 exec, exec, s[26:27]
	s_cbranch_execnz .LBB154_32
.LBB154_33:
	s_or_b64 exec, exec, s[8:9]
	v_add_u32_e32 v4, 1, v4
	v_and_b32_e32 v5, 0x3fffffe, v4
	v_cmp_ne_u32_e32 vcc, v4, v5
	v_lshl_add_u32 v3, v5, 7, v0
	s_orn2_b64 s[8:9], vcc, exec
.LBB154_34:
	s_or_b64 exec, exec, s[6:7]
	s_and_b64 exec, exec, s[8:9]
	s_cbranch_execz .LBB154_37
; %bb.35:
	v_mov_b32_e32 v4, 0x50
	v_lshl_add_u32 v4, v3, 2, v4
	s_mov_b64 s[6:7], 0
.LBB154_36:                             ; =>This Inner Loop Header: Depth=1
	ds_read_b32 v5, v4
	v_add_u32_e32 v3, 0x80, v3
	v_cmp_le_i32_e32 vcc, s15, v3
	s_or_b64 s[6:7], vcc, s[6:7]
	s_waitcnt lgkmcnt(0)
	v_mul_f32_e32 v5, v2, v5
	ds_write_b32 v4, v5
	v_add_u32_e32 v4, 0x200, v4
	s_andn2_b64 exec, exec, s[6:7]
	s_cbranch_execnz .LBB154_36
.LBB154_37:
	s_or_b64 exec, exec, s[0:1]
	v_mov_b32_e32 v13, 0
	v_and_b32_e32 v21, 3, v0
	v_mov_b32_e32 v12, v13
	s_waitcnt lgkmcnt(0)
	s_barrier
	s_and_saveexec_b64 s[6:7], s[2:3]
	s_cbranch_execz .LBB154_141
; %bb.38:
	s_ashr_i32 s15, s14, 31
	s_lshl_b64 s[0:1], s[14:15], 1
	s_add_u32 s0, s24, s0
	v_lshlrev_b32_e32 v3, 4, v0
	s_addc_u32 s1, s25, s1
	v_and_b32_e32 v10, 0x3f0, v3
	v_mov_b32_e32 v11, 0
	v_and_b32_e32 v2, 24, v6
	s_add_i32 s14, s12, -1
	v_lshl_add_u64 v[14:15], s[0:1], 0, v[10:11]
	v_lshlrev_b32_e32 v3, 5, v1
	s_lshl_b64 s[0:1], s[22:23], 2
	v_or3_b32 v22, v3, v2, 7
	v_lshlrev_b32_e32 v2, 5, v21
	s_add_u32 s0, s20, s0
	v_lshl_or_b32 v2, v1, 7, v2
	v_and_b32_e32 v10, 60, v7
	s_addc_u32 s1, s21, s1
	v_add_u32_e32 v23, 0x50, v2
	v_lshl_add_u64 v[16:17], s[0:1], 0, v[10:11]
	s_mov_b64 s[2:3], 0
	s_mov_b32 s15, 0x7f800000
	s_movk_i32 s17, 0x7fff
	v_mov_b32_e32 v12, 0
	v_mov_b32_e32 v13, v11
	s_branch .LBB154_40
.LBB154_39:                             ;   in Loop: Header=BB154_40 Depth=1
	s_or_b64 exec, exec, s[0:1]
	v_and_b32_e32 v30, 0xffff0000, v26
	v_and_b32_e32 v26, 0xffff0000, v25
	;; [unrolled: 1-line block ×8, first 2 shown]
	v_pk_add_f32 v[8:9], v[8:9], v[24:25]
	v_pk_add_f32 v[24:25], v[26:27], v[30:31]
	v_mov_b32_e32 v10, v9
	v_and_b32_e32 v27, 0xffff0000, v28
	v_and_b32_e32 v26, 0xffff0000, v7
	;; [unrolled: 1-line block ×4, first 2 shown]
	v_pk_add_f32 v[8:9], v[8:9], v[10:11]
	v_pk_add_f32 v[2:3], v[2:3], v[26:27]
	;; [unrolled: 1-line block ×3, first 2 shown]
	v_mov_b32_e32 v10, v25
	v_and_b32_e32 v25, 0xffff0000, v6
	v_and_b32_e32 v24, 0xffff0000, v29
	;; [unrolled: 1-line block ×4, first 2 shown]
	v_mov_b32_e32 v6, v3
	v_pk_add_f32 v[2:3], v[2:3], v[6:7]
	v_pk_add_f32 v[4:5], v[4:5], v[24:25]
	;; [unrolled: 1-line block ×4, first 2 shown]
	v_mov_b32_e32 v4, v5
	v_pk_add_f32 v[2:3], v[2:3], v[4:5]
	v_add_u32_e32 v1, 2, v1
	v_mov_b32_e32 v3, v2
	v_pk_add_f32 v[8:9], v[12:13], v[8:9]
	v_pk_add_f32 v[12:13], v[12:13], v[2:3]
	v_cmp_le_i32_e32 vcc, s12, v1
	v_mov_b32_e32 v12, v8
	v_add_u32_e32 v22, 64, v22
	v_add_u32_e32 v23, 0x100, v23
	s_or_b64 s[2:3], vcc, s[2:3]
	v_lshl_add_u64 v[16:17], v[16:17], 0, 8
	s_andn2_b64 exec, exec, s[2:3]
	s_cbranch_execz .LBB154_140
.LBB154_40:                             ; =>This Inner Loop Header: Depth=1
	global_load_dword v28, v[16:17], off
	ds_read2_b64 v[6:9], v23 offset1:1
	ds_read2_b64 v[2:5], v23 offset0:2 offset1:3
                                        ; implicit-def: $vgpr36
	s_waitcnt lgkmcnt(1)
	v_and_b32_e32 v10, 0x7f800000, v6
	v_cmp_ne_u32_e32 vcc, s15, v10
	s_and_saveexec_b64 s[0:1], vcc
	s_xor_b64 s[0:1], exec, s[0:1]
; %bb.41:                               ;   in Loop: Header=BB154_40 Depth=1
	v_bfe_u32 v10, v6, 16, 1
	v_add3_u32 v36, v6, v10, s17
; %bb.42:                               ;   in Loop: Header=BB154_40 Depth=1
	s_andn2_saveexec_b64 s[0:1], s[0:1]
; %bb.43:                               ;   in Loop: Header=BB154_40 Depth=1
	v_or_b32_e32 v10, 0x10000, v6
	v_cmp_eq_u32_sdwa vcc, v6, v11 src0_sel:WORD_0 src1_sel:DWORD
	s_nop 1
	v_cndmask_b32_e32 v36, v10, v6, vcc
; %bb.44:                               ;   in Loop: Header=BB154_40 Depth=1
	s_or_b64 exec, exec, s[0:1]
	v_and_b32_e32 v6, 0x7f800000, v7
	v_cmp_ne_u32_e32 vcc, s15, v6
                                        ; implicit-def: $vgpr37
	s_and_saveexec_b64 s[0:1], vcc
	s_xor_b64 s[0:1], exec, s[0:1]
; %bb.45:                               ;   in Loop: Header=BB154_40 Depth=1
	v_bfe_u32 v6, v7, 16, 1
	v_add3_u32 v37, v7, v6, s17
; %bb.46:                               ;   in Loop: Header=BB154_40 Depth=1
	s_andn2_saveexec_b64 s[0:1], s[0:1]
; %bb.47:                               ;   in Loop: Header=BB154_40 Depth=1
	v_or_b32_e32 v6, 0x10000, v7
	v_cmp_eq_u32_sdwa vcc, v7, v11 src0_sel:WORD_0 src1_sel:DWORD
	s_nop 1
	v_cndmask_b32_e32 v37, v6, v7, vcc
; %bb.48:                               ;   in Loop: Header=BB154_40 Depth=1
	s_or_b64 exec, exec, s[0:1]
	v_and_b32_e32 v6, 0x7f800000, v8
	v_cmp_ne_u32_e32 vcc, s15, v6
                                        ; implicit-def: $vgpr10
	s_and_saveexec_b64 s[0:1], vcc
	s_xor_b64 s[0:1], exec, s[0:1]
; %bb.49:                               ;   in Loop: Header=BB154_40 Depth=1
	v_bfe_u32 v6, v8, 16, 1
	v_add3_u32 v10, v8, v6, s17
; %bb.50:                               ;   in Loop: Header=BB154_40 Depth=1
	s_andn2_saveexec_b64 s[0:1], s[0:1]
; %bb.51:                               ;   in Loop: Header=BB154_40 Depth=1
	v_or_b32_e32 v6, 0x10000, v8
	v_cmp_eq_u32_sdwa vcc, v8, v11 src0_sel:WORD_0 src1_sel:DWORD
	s_nop 1
	v_cndmask_b32_e32 v10, v6, v8, vcc
; %bb.52:                               ;   in Loop: Header=BB154_40 Depth=1
	s_or_b64 exec, exec, s[0:1]
	v_and_b32_e32 v6, 0x7f800000, v9
	v_cmp_ne_u32_e32 vcc, s15, v6
                                        ; implicit-def: $vgpr24
	s_and_saveexec_b64 s[0:1], vcc
	s_xor_b64 s[0:1], exec, s[0:1]
; %bb.53:                               ;   in Loop: Header=BB154_40 Depth=1
	v_bfe_u32 v6, v9, 16, 1
	v_add3_u32 v24, v9, v6, s17
                                        ; implicit-def: $vgpr6_vgpr7_vgpr8_vgpr9
; %bb.54:                               ;   in Loop: Header=BB154_40 Depth=1
	s_andn2_saveexec_b64 s[0:1], s[0:1]
; %bb.55:                               ;   in Loop: Header=BB154_40 Depth=1
	v_or_b32_e32 v6, 0x10000, v9
	v_cmp_eq_u32_sdwa vcc, v9, v11 src0_sel:WORD_0 src1_sel:DWORD
	s_nop 1
	v_cndmask_b32_e32 v24, v6, v9, vcc
; %bb.56:                               ;   in Loop: Header=BB154_40 Depth=1
	s_or_b64 exec, exec, s[0:1]
	s_waitcnt lgkmcnt(0)
	v_and_b32_e32 v6, 0x7f800000, v2
	v_cmp_ne_u32_e32 vcc, s15, v6
                                        ; implicit-def: $vgpr25
	s_and_saveexec_b64 s[0:1], vcc
	s_xor_b64 s[0:1], exec, s[0:1]
; %bb.57:                               ;   in Loop: Header=BB154_40 Depth=1
	v_bfe_u32 v6, v2, 16, 1
	v_add3_u32 v25, v2, v6, s17
; %bb.58:                               ;   in Loop: Header=BB154_40 Depth=1
	s_andn2_saveexec_b64 s[0:1], s[0:1]
; %bb.59:                               ;   in Loop: Header=BB154_40 Depth=1
	v_or_b32_e32 v6, 0x10000, v2
	v_cmp_eq_u32_sdwa vcc, v2, v11 src0_sel:WORD_0 src1_sel:DWORD
	s_nop 1
	v_cndmask_b32_e32 v25, v6, v2, vcc
; %bb.60:                               ;   in Loop: Header=BB154_40 Depth=1
	s_or_b64 exec, exec, s[0:1]
	v_and_b32_e32 v2, 0x7f800000, v3
	v_cmp_ne_u32_e32 vcc, s15, v2
                                        ; implicit-def: $vgpr26
	s_and_saveexec_b64 s[0:1], vcc
	s_xor_b64 s[0:1], exec, s[0:1]
; %bb.61:                               ;   in Loop: Header=BB154_40 Depth=1
	v_bfe_u32 v2, v3, 16, 1
	v_add3_u32 v26, v3, v2, s17
; %bb.62:                               ;   in Loop: Header=BB154_40 Depth=1
	s_andn2_saveexec_b64 s[0:1], s[0:1]
; %bb.63:                               ;   in Loop: Header=BB154_40 Depth=1
	v_or_b32_e32 v2, 0x10000, v3
	v_cmp_eq_u32_sdwa vcc, v3, v11 src0_sel:WORD_0 src1_sel:DWORD
	s_nop 1
	v_cndmask_b32_e32 v26, v2, v3, vcc
; %bb.64:                               ;   in Loop: Header=BB154_40 Depth=1
	s_or_b64 exec, exec, s[0:1]
	v_and_b32_e32 v2, 0x7f800000, v4
	v_cmp_ne_u32_e32 vcc, s15, v2
                                        ; implicit-def: $vgpr27
	s_and_saveexec_b64 s[0:1], vcc
	s_xor_b64 s[0:1], exec, s[0:1]
; %bb.65:                               ;   in Loop: Header=BB154_40 Depth=1
	v_bfe_u32 v2, v4, 16, 1
	v_add3_u32 v27, v4, v2, s17
; %bb.66:                               ;   in Loop: Header=BB154_40 Depth=1
	s_andn2_saveexec_b64 s[0:1], s[0:1]
; %bb.67:                               ;   in Loop: Header=BB154_40 Depth=1
	v_or_b32_e32 v2, 0x10000, v4
	v_cmp_eq_u32_sdwa vcc, v4, v11 src0_sel:WORD_0 src1_sel:DWORD
	s_nop 1
	v_cndmask_b32_e32 v27, v2, v4, vcc
; %bb.68:                               ;   in Loop: Header=BB154_40 Depth=1
	s_or_b64 exec, exec, s[0:1]
	v_and_b32_e32 v2, 0x7f800000, v5
	v_cmp_ne_u32_e32 vcc, s15, v2
                                        ; implicit-def: $vgpr35
	s_and_saveexec_b64 s[0:1], vcc
	s_xor_b64 s[0:1], exec, s[0:1]
; %bb.69:                               ;   in Loop: Header=BB154_40 Depth=1
	v_bfe_u32 v2, v5, 16, 1
	v_add3_u32 v35, v5, v2, s17
                                        ; implicit-def: $vgpr2_vgpr3_vgpr4_vgpr5
; %bb.70:                               ;   in Loop: Header=BB154_40 Depth=1
	s_andn2_saveexec_b64 s[0:1], s[0:1]
; %bb.71:                               ;   in Loop: Header=BB154_40 Depth=1
	v_or_b32_e32 v2, 0x10000, v5
	v_cmp_eq_u32_sdwa vcc, v5, v11 src0_sel:WORD_0 src1_sel:DWORD
	s_nop 1
	v_cndmask_b32_e32 v35, v2, v5, vcc
; %bb.72:                               ;   in Loop: Header=BB154_40 Depth=1
	s_or_b64 exec, exec, s[0:1]
	s_waitcnt vmcnt(0)
	v_mad_i64_i32 v[2:3], s[0:1], v28, s13, 0
	v_lshl_add_u64 v[6:7], v[2:3], 1, v[14:15]
	global_load_dwordx4 v[2:5], v[6:7], off
	v_add_u32_e32 v28, -7, v22
	v_cmp_eq_u32_e32 vcc, s14, v1
	v_add_u32_e32 v34, -6, v22
	v_add_u32_e32 v32, -5, v22
	;; [unrolled: 1-line block ×6, first 2 shown]
	s_waitcnt vmcnt(0)
	v_lshrrev_b32_e32 v9, 16, v2
	v_lshrrev_b32_e32 v40, 16, v3
	;; [unrolled: 1-line block ×4, first 2 shown]
	s_and_saveexec_b64 s[8:9], vcc
	s_cbranch_execz .LBB154_74
; %bb.73:                               ;   in Loop: Header=BB154_40 Depth=1
	v_cmp_gt_i32_e64 s[0:1], s33, v28
	s_nop 1
	v_cndmask_b32_e64 v2, 0, v2, s[0:1]
	v_cmp_gt_i32_e64 s[0:1], s33, v34
	s_nop 1
	v_cndmask_b32_e64 v9, 0, v9, s[0:1]
	;; [unrolled: 3-line block ×8, first 2 shown]
.LBB154_74:                             ;   in Loop: Header=BB154_40 Depth=1
	s_or_b64 exec, exec, s[8:9]
	v_and_b32_e32 v36, 0xffff0000, v36
	v_lshlrev_b32_e32 v2, 16, v2
	v_mul_f32_e32 v2, v36, v2
	v_and_b32_e32 v8, 0x7f800000, v2
	v_cmp_ne_u32_e64 s[0:1], s15, v8
                                        ; implicit-def: $vgpr8
	s_and_saveexec_b64 s[8:9], s[0:1]
	s_xor_b64 s[0:1], exec, s[8:9]
; %bb.75:                               ;   in Loop: Header=BB154_40 Depth=1
	v_bfe_u32 v8, v2, 16, 1
	v_add3_u32 v8, v2, v8, s17
                                        ; implicit-def: $vgpr2
; %bb.76:                               ;   in Loop: Header=BB154_40 Depth=1
	s_andn2_saveexec_b64 s[8:9], s[0:1]
; %bb.77:                               ;   in Loop: Header=BB154_40 Depth=1
	v_or_b32_e32 v8, 0x10000, v2
	v_cmp_eq_u32_sdwa s[0:1], v2, v11 src0_sel:WORD_0 src1_sel:DWORD
	s_nop 1
	v_cndmask_b32_e64 v8, v8, v2, s[0:1]
; %bb.78:                               ;   in Loop: Header=BB154_40 Depth=1
	s_or_b64 exec, exec, s[8:9]
	v_and_b32_e32 v37, 0xffff0000, v37
	v_lshlrev_b32_e32 v2, 16, v9
	v_mul_f32_e32 v2, v37, v2
	v_and_b32_e32 v9, 0x7f800000, v2
	v_cmp_ne_u32_e64 s[0:1], s15, v9
                                        ; implicit-def: $vgpr9
	s_and_saveexec_b64 s[8:9], s[0:1]
	s_xor_b64 s[0:1], exec, s[8:9]
; %bb.79:                               ;   in Loop: Header=BB154_40 Depth=1
	v_bfe_u32 v9, v2, 16, 1
	v_add3_u32 v9, v2, v9, s17
                                        ; implicit-def: $vgpr2
; %bb.80:                               ;   in Loop: Header=BB154_40 Depth=1
	s_andn2_saveexec_b64 s[8:9], s[0:1]
; %bb.81:                               ;   in Loop: Header=BB154_40 Depth=1
	v_or_b32_e32 v9, 0x10000, v2
	v_cmp_eq_u32_sdwa s[0:1], v2, v11 src0_sel:WORD_0 src1_sel:DWORD
	s_nop 1
	v_cndmask_b32_e64 v9, v9, v2, s[0:1]
; %bb.82:                               ;   in Loop: Header=BB154_40 Depth=1
	s_or_b64 exec, exec, s[8:9]
	v_and_b32_e32 v38, 0xffff0000, v10
	v_lshlrev_b32_e32 v2, 16, v3
	v_mul_f32_e32 v2, v38, v2
	v_and_b32_e32 v3, 0x7f800000, v2
	v_cmp_ne_u32_e64 s[0:1], s15, v3
                                        ; implicit-def: $vgpr10
	s_and_saveexec_b64 s[8:9], s[0:1]
	s_xor_b64 s[0:1], exec, s[8:9]
; %bb.83:                               ;   in Loop: Header=BB154_40 Depth=1
	v_bfe_u32 v3, v2, 16, 1
	v_add3_u32 v10, v2, v3, s17
                                        ; implicit-def: $vgpr2
; %bb.84:                               ;   in Loop: Header=BB154_40 Depth=1
	s_andn2_saveexec_b64 s[8:9], s[0:1]
; %bb.85:                               ;   in Loop: Header=BB154_40 Depth=1
	v_or_b32_e32 v3, 0x10000, v2
	v_cmp_eq_u32_sdwa s[0:1], v2, v11 src0_sel:WORD_0 src1_sel:DWORD
	s_nop 1
	v_cndmask_b32_e64 v10, v3, v2, s[0:1]
; %bb.86:                               ;   in Loop: Header=BB154_40 Depth=1
	s_or_b64 exec, exec, s[8:9]
	v_and_b32_e32 v39, 0xffff0000, v24
	v_lshlrev_b32_e32 v2, 16, v40
	v_mul_f32_e32 v2, v39, v2
	v_and_b32_e32 v3, 0x7f800000, v2
	v_cmp_ne_u32_e64 s[0:1], s15, v3
                                        ; implicit-def: $vgpr24
	s_and_saveexec_b64 s[8:9], s[0:1]
	s_xor_b64 s[0:1], exec, s[8:9]
; %bb.87:                               ;   in Loop: Header=BB154_40 Depth=1
	v_bfe_u32 v3, v2, 16, 1
	v_add3_u32 v24, v2, v3, s17
                                        ; implicit-def: $vgpr2
; %bb.88:                               ;   in Loop: Header=BB154_40 Depth=1
	s_andn2_saveexec_b64 s[8:9], s[0:1]
; %bb.89:                               ;   in Loop: Header=BB154_40 Depth=1
	v_or_b32_e32 v3, 0x10000, v2
	v_cmp_eq_u32_sdwa s[0:1], v2, v11 src0_sel:WORD_0 src1_sel:DWORD
	s_nop 1
	v_cndmask_b32_e64 v24, v3, v2, s[0:1]
; %bb.90:                               ;   in Loop: Header=BB154_40 Depth=1
	s_or_b64 exec, exec, s[8:9]
	v_and_b32_e32 v40, 0xffff0000, v25
	v_lshlrev_b32_e32 v2, 16, v4
	v_mul_f32_e32 v2, v40, v2
	v_and_b32_e32 v3, 0x7f800000, v2
	v_cmp_ne_u32_e64 s[0:1], s15, v3
                                        ; implicit-def: $vgpr25
	s_and_saveexec_b64 s[8:9], s[0:1]
	s_xor_b64 s[0:1], exec, s[8:9]
; %bb.91:                               ;   in Loop: Header=BB154_40 Depth=1
	v_bfe_u32 v3, v2, 16, 1
	v_add3_u32 v25, v2, v3, s17
                                        ; implicit-def: $vgpr2
; %bb.92:                               ;   in Loop: Header=BB154_40 Depth=1
	s_andn2_saveexec_b64 s[8:9], s[0:1]
; %bb.93:                               ;   in Loop: Header=BB154_40 Depth=1
	v_or_b32_e32 v3, 0x10000, v2
	v_cmp_eq_u32_sdwa s[0:1], v2, v11 src0_sel:WORD_0 src1_sel:DWORD
	s_nop 1
	v_cndmask_b32_e64 v25, v3, v2, s[0:1]
; %bb.94:                               ;   in Loop: Header=BB154_40 Depth=1
	s_or_b64 exec, exec, s[8:9]
	v_and_b32_e32 v41, 0xffff0000, v26
	v_lshlrev_b32_e32 v2, 16, v42
	v_mul_f32_e32 v2, v41, v2
	v_and_b32_e32 v3, 0x7f800000, v2
	v_cmp_ne_u32_e64 s[0:1], s15, v3
                                        ; implicit-def: $vgpr26
	s_and_saveexec_b64 s[8:9], s[0:1]
	s_xor_b64 s[0:1], exec, s[8:9]
; %bb.95:                               ;   in Loop: Header=BB154_40 Depth=1
	v_bfe_u32 v3, v2, 16, 1
	v_add3_u32 v26, v2, v3, s17
                                        ; implicit-def: $vgpr2
; %bb.96:                               ;   in Loop: Header=BB154_40 Depth=1
	s_andn2_saveexec_b64 s[8:9], s[0:1]
; %bb.97:                               ;   in Loop: Header=BB154_40 Depth=1
	v_or_b32_e32 v3, 0x10000, v2
	v_cmp_eq_u32_sdwa s[0:1], v2, v11 src0_sel:WORD_0 src1_sel:DWORD
	s_nop 1
	v_cndmask_b32_e64 v26, v3, v2, s[0:1]
; %bb.98:                               ;   in Loop: Header=BB154_40 Depth=1
	s_or_b64 exec, exec, s[8:9]
	v_and_b32_e32 v42, 0xffff0000, v27
	v_lshlrev_b32_e32 v2, 16, v5
	v_mul_f32_e32 v2, v42, v2
	v_and_b32_e32 v3, 0x7f800000, v2
	v_cmp_ne_u32_e64 s[0:1], s15, v3
                                        ; implicit-def: $vgpr27
	s_and_saveexec_b64 s[8:9], s[0:1]
	s_xor_b64 s[0:1], exec, s[8:9]
; %bb.99:                               ;   in Loop: Header=BB154_40 Depth=1
	v_bfe_u32 v3, v2, 16, 1
	v_add3_u32 v27, v2, v3, s17
                                        ; implicit-def: $vgpr2
; %bb.100:                              ;   in Loop: Header=BB154_40 Depth=1
	s_andn2_saveexec_b64 s[8:9], s[0:1]
; %bb.101:                              ;   in Loop: Header=BB154_40 Depth=1
	v_or_b32_e32 v3, 0x10000, v2
	v_cmp_eq_u32_sdwa s[0:1], v2, v11 src0_sel:WORD_0 src1_sel:DWORD
	s_nop 1
	v_cndmask_b32_e64 v27, v3, v2, s[0:1]
; %bb.102:                              ;   in Loop: Header=BB154_40 Depth=1
	s_or_b64 exec, exec, s[8:9]
	v_and_b32_e32 v43, 0xffff0000, v35
	v_lshlrev_b32_e32 v2, 16, v44
	v_mul_f32_e32 v2, v43, v2
	v_and_b32_e32 v3, 0x7f800000, v2
	v_cmp_ne_u32_e64 s[0:1], s15, v3
                                        ; implicit-def: $vgpr35
	s_and_saveexec_b64 s[8:9], s[0:1]
	s_xor_b64 s[0:1], exec, s[8:9]
; %bb.103:                              ;   in Loop: Header=BB154_40 Depth=1
	v_bfe_u32 v3, v2, 16, 1
	v_add3_u32 v35, v2, v3, s17
                                        ; implicit-def: $vgpr2
; %bb.104:                              ;   in Loop: Header=BB154_40 Depth=1
	s_andn2_saveexec_b64 s[8:9], s[0:1]
; %bb.105:                              ;   in Loop: Header=BB154_40 Depth=1
	v_or_b32_e32 v3, 0x10000, v2
	v_cmp_eq_u32_sdwa s[0:1], v2, v11 src0_sel:WORD_0 src1_sel:DWORD
	s_nop 1
	v_cndmask_b32_e64 v35, v3, v2, s[0:1]
; %bb.106:                              ;   in Loop: Header=BB154_40 Depth=1
	s_or_b64 exec, exec, s[8:9]
	global_load_dwordx4 v[2:5], v[6:7], off offset:1024
	s_waitcnt vmcnt(0)
	v_lshrrev_b32_e32 v7, 16, v2
	v_lshrrev_b32_e32 v45, 16, v3
	;; [unrolled: 1-line block ×4, first 2 shown]
	s_and_saveexec_b64 s[0:1], vcc
	s_cbranch_execz .LBB154_108
; %bb.107:                              ;   in Loop: Header=BB154_40 Depth=1
	v_cmp_gt_i32_e32 vcc, s33, v28
	s_nop 1
	v_cndmask_b32_e32 v2, 0, v2, vcc
	v_cmp_gt_i32_e32 vcc, s33, v34
	s_nop 1
	v_cndmask_b32_e32 v7, 0, v7, vcc
	;; [unrolled: 3-line block ×8, first 2 shown]
.LBB154_108:                            ;   in Loop: Header=BB154_40 Depth=1
	s_or_b64 exec, exec, s[0:1]
	v_lshlrev_b32_e32 v2, 16, v2
	v_mul_f32_e32 v28, v36, v2
	v_and_b32_e32 v2, 0x7f800000, v28
	v_cmp_ne_u32_e32 vcc, s15, v2
                                        ; implicit-def: $vgpr2
	s_and_saveexec_b64 s[0:1], vcc
	s_xor_b64 s[0:1], exec, s[0:1]
; %bb.109:                              ;   in Loop: Header=BB154_40 Depth=1
	v_bfe_u32 v2, v28, 16, 1
	v_add3_u32 v2, v28, v2, s17
                                        ; implicit-def: $vgpr28
; %bb.110:                              ;   in Loop: Header=BB154_40 Depth=1
	s_andn2_saveexec_b64 s[0:1], s[0:1]
; %bb.111:                              ;   in Loop: Header=BB154_40 Depth=1
	v_or_b32_e32 v2, 0x10000, v28
	v_cmp_eq_u32_sdwa vcc, v28, v11 src0_sel:WORD_0 src1_sel:DWORD
	s_nop 1
	v_cndmask_b32_e32 v2, v2, v28, vcc
; %bb.112:                              ;   in Loop: Header=BB154_40 Depth=1
	s_or_b64 exec, exec, s[0:1]
	v_lshlrev_b32_e32 v7, 16, v7
	v_mul_f32_e32 v28, v37, v7
	v_and_b32_e32 v7, 0x7f800000, v28
	v_cmp_ne_u32_e32 vcc, s15, v7
                                        ; implicit-def: $vgpr7
	s_and_saveexec_b64 s[0:1], vcc
	s_xor_b64 s[0:1], exec, s[0:1]
; %bb.113:                              ;   in Loop: Header=BB154_40 Depth=1
	v_bfe_u32 v7, v28, 16, 1
	v_add3_u32 v7, v28, v7, s17
                                        ; implicit-def: $vgpr28
; %bb.114:                              ;   in Loop: Header=BB154_40 Depth=1
	s_andn2_saveexec_b64 s[0:1], s[0:1]
; %bb.115:                              ;   in Loop: Header=BB154_40 Depth=1
	v_or_b32_e32 v7, 0x10000, v28
	v_cmp_eq_u32_sdwa vcc, v28, v11 src0_sel:WORD_0 src1_sel:DWORD
	s_nop 1
	v_cndmask_b32_e32 v7, v7, v28, vcc
; %bb.116:                              ;   in Loop: Header=BB154_40 Depth=1
	s_or_b64 exec, exec, s[0:1]
	v_lshlrev_b32_e32 v3, 16, v3
	v_mul_f32_e32 v28, v38, v3
	v_and_b32_e32 v3, 0x7f800000, v28
	v_cmp_ne_u32_e32 vcc, s15, v3
                                        ; implicit-def: $vgpr3
	s_and_saveexec_b64 s[0:1], vcc
	s_xor_b64 s[0:1], exec, s[0:1]
; %bb.117:                              ;   in Loop: Header=BB154_40 Depth=1
	v_bfe_u32 v3, v28, 16, 1
	v_add3_u32 v3, v28, v3, s17
                                        ; implicit-def: $vgpr28
; %bb.118:                              ;   in Loop: Header=BB154_40 Depth=1
	s_andn2_saveexec_b64 s[0:1], s[0:1]
; %bb.119:                              ;   in Loop: Header=BB154_40 Depth=1
	v_or_b32_e32 v3, 0x10000, v28
	v_cmp_eq_u32_sdwa vcc, v28, v11 src0_sel:WORD_0 src1_sel:DWORD
	s_nop 1
	v_cndmask_b32_e32 v3, v3, v28, vcc
; %bb.120:                              ;   in Loop: Header=BB154_40 Depth=1
	s_or_b64 exec, exec, s[0:1]
	v_lshlrev_b32_e32 v28, 16, v45
	v_mul_f32_e32 v29, v39, v28
	v_and_b32_e32 v28, 0x7f800000, v29
	v_cmp_ne_u32_e32 vcc, s15, v28
                                        ; implicit-def: $vgpr28
	s_and_saveexec_b64 s[0:1], vcc
	s_xor_b64 s[0:1], exec, s[0:1]
; %bb.121:                              ;   in Loop: Header=BB154_40 Depth=1
	v_bfe_u32 v28, v29, 16, 1
	v_add3_u32 v28, v29, v28, s17
                                        ; implicit-def: $vgpr29
; %bb.122:                              ;   in Loop: Header=BB154_40 Depth=1
	s_andn2_saveexec_b64 s[0:1], s[0:1]
; %bb.123:                              ;   in Loop: Header=BB154_40 Depth=1
	v_or_b32_e32 v28, 0x10000, v29
	v_cmp_eq_u32_sdwa vcc, v29, v11 src0_sel:WORD_0 src1_sel:DWORD
	s_nop 1
	v_cndmask_b32_e32 v28, v28, v29, vcc
; %bb.124:                              ;   in Loop: Header=BB154_40 Depth=1
	s_or_b64 exec, exec, s[0:1]
	v_lshlrev_b32_e32 v4, 16, v4
	v_mul_f32_e32 v29, v40, v4
	v_and_b32_e32 v4, 0x7f800000, v29
	v_cmp_ne_u32_e32 vcc, s15, v4
                                        ; implicit-def: $vgpr4
	s_and_saveexec_b64 s[0:1], vcc
	s_xor_b64 s[0:1], exec, s[0:1]
; %bb.125:                              ;   in Loop: Header=BB154_40 Depth=1
	v_bfe_u32 v4, v29, 16, 1
	v_add3_u32 v4, v29, v4, s17
                                        ; implicit-def: $vgpr29
; %bb.126:                              ;   in Loop: Header=BB154_40 Depth=1
	s_andn2_saveexec_b64 s[0:1], s[0:1]
; %bb.127:                              ;   in Loop: Header=BB154_40 Depth=1
	v_or_b32_e32 v4, 0x10000, v29
	v_cmp_eq_u32_sdwa vcc, v29, v11 src0_sel:WORD_0 src1_sel:DWORD
	s_nop 1
	v_cndmask_b32_e32 v4, v4, v29, vcc
; %bb.128:                              ;   in Loop: Header=BB154_40 Depth=1
	s_or_b64 exec, exec, s[0:1]
	v_lshlrev_b32_e32 v29, 16, v44
	v_mul_f32_e32 v30, v41, v29
	v_and_b32_e32 v29, 0x7f800000, v30
	v_cmp_ne_u32_e32 vcc, s15, v29
                                        ; implicit-def: $vgpr29
	s_and_saveexec_b64 s[0:1], vcc
	s_xor_b64 s[0:1], exec, s[0:1]
; %bb.129:                              ;   in Loop: Header=BB154_40 Depth=1
	v_bfe_u32 v29, v30, 16, 1
	v_add3_u32 v29, v30, v29, s17
                                        ; implicit-def: $vgpr30
; %bb.130:                              ;   in Loop: Header=BB154_40 Depth=1
	s_andn2_saveexec_b64 s[0:1], s[0:1]
; %bb.131:                              ;   in Loop: Header=BB154_40 Depth=1
	v_or_b32_e32 v29, 0x10000, v30
	v_cmp_eq_u32_sdwa vcc, v30, v11 src0_sel:WORD_0 src1_sel:DWORD
	s_nop 1
	v_cndmask_b32_e32 v29, v29, v30, vcc
; %bb.132:                              ;   in Loop: Header=BB154_40 Depth=1
	s_or_b64 exec, exec, s[0:1]
	v_lshlrev_b32_e32 v5, 16, v5
	v_mul_f32_e32 v30, v42, v5
	v_and_b32_e32 v5, 0x7f800000, v30
	v_cmp_ne_u32_e32 vcc, s15, v5
                                        ; implicit-def: $vgpr5
	s_and_saveexec_b64 s[0:1], vcc
	s_xor_b64 s[0:1], exec, s[0:1]
; %bb.133:                              ;   in Loop: Header=BB154_40 Depth=1
	v_bfe_u32 v5, v30, 16, 1
	v_add3_u32 v5, v30, v5, s17
                                        ; implicit-def: $vgpr30
; %bb.134:                              ;   in Loop: Header=BB154_40 Depth=1
	s_andn2_saveexec_b64 s[0:1], s[0:1]
; %bb.135:                              ;   in Loop: Header=BB154_40 Depth=1
	v_or_b32_e32 v5, 0x10000, v30
	v_cmp_eq_u32_sdwa vcc, v30, v11 src0_sel:WORD_0 src1_sel:DWORD
	s_nop 1
	v_cndmask_b32_e32 v5, v5, v30, vcc
; %bb.136:                              ;   in Loop: Header=BB154_40 Depth=1
	s_or_b64 exec, exec, s[0:1]
	v_lshlrev_b32_e32 v6, 16, v6
	v_mul_f32_e32 v30, v43, v6
	v_and_b32_e32 v6, 0x7f800000, v30
	v_cmp_ne_u32_e32 vcc, s15, v6
                                        ; implicit-def: $vgpr6
	s_and_saveexec_b64 s[0:1], vcc
	s_xor_b64 s[0:1], exec, s[0:1]
; %bb.137:                              ;   in Loop: Header=BB154_40 Depth=1
	v_bfe_u32 v6, v30, 16, 1
	v_add3_u32 v6, v30, v6, s17
                                        ; implicit-def: $vgpr30
; %bb.138:                              ;   in Loop: Header=BB154_40 Depth=1
	s_andn2_saveexec_b64 s[0:1], s[0:1]
	s_cbranch_execz .LBB154_39
; %bb.139:                              ;   in Loop: Header=BB154_40 Depth=1
	v_or_b32_e32 v6, 0x10000, v30
	v_cmp_eq_u32_sdwa vcc, v30, v11 src0_sel:WORD_0 src1_sel:DWORD
	s_nop 1
	v_cndmask_b32_e32 v6, v6, v30, vcc
	s_branch .LBB154_39
.LBB154_140:
	s_or_b64 exec, exec, s[2:3]
.LBB154_141:
	s_or_b64 exec, exec, s[6:7]
	ds_bpermute_b32 v2, v19, v12
	ds_bpermute_b32 v3, v19, v13
	v_and_b32_e32 v1, 0x3c3, v0
	v_cmp_eq_u32_e32 vcc, 64, v1
	s_waitcnt lgkmcnt(0)
	s_barrier
	v_pk_add_f32 v[2:3], v[12:13], v[2:3]
	ds_bpermute_b32 v4, v20, v2
	ds_bpermute_b32 v5, v20, v3
	s_waitcnt lgkmcnt(0)
	v_pk_add_f32 v[2:3], v[2:3], v[4:5]
	s_and_saveexec_b64 s[0:1], vcc
	s_cbranch_execz .LBB154_143
; %bb.142:
	v_add_u32_e32 v4, 0x50, v18
	v_add_u32_e32 v1, 0x50, v0
	ds_write_b32 v4, v2
	ds_write_b32 v1, v3
.LBB154_143:
	s_or_b64 exec, exec, s[0:1]
	v_cmp_gt_u32_e32 vcc, 64, v0
	s_waitcnt lgkmcnt(0)
	s_barrier
	s_and_saveexec_b64 s[2:3], vcc
	s_cbranch_execz .LBB154_149
; %bb.144:
	v_cmp_eq_u32_e64 s[0:1], 0, v21
	v_lshrrev_b32_e32 v1, 2, v0
	s_and_saveexec_b64 s[6:7], s[0:1]
	s_cbranch_execz .LBB154_146
; %bb.145:
	v_mov_b32_e32 v4, 0x50
	v_lshl_add_u32 v4, v1, 2, v4
	ds_read_b32 v4, v4
	s_waitcnt lgkmcnt(0)
	v_add_f32_e32 v2, v2, v4
.LBB154_146:
	s_or_b64 exec, exec, s[6:7]
	s_and_saveexec_b64 s[6:7], s[0:1]
	s_cbranch_execz .LBB154_148
; %bb.147:
	v_mov_b32_e32 v4, 0x50
	v_lshl_add_u32 v1, v1, 2, v4
	ds_read_b32 v1, v1 offset:64
	s_waitcnt lgkmcnt(0)
	v_add_f32_e32 v3, v3, v1
.LBB154_148:
	s_or_b64 exec, exec, s[6:7]
.LBB154_149:
	s_or_b64 exec, exec, s[2:3]
	s_barrier
	s_and_saveexec_b64 s[0:1], vcc
	s_cbranch_execz .LBB154_160
; %bb.150:
	v_cmp_eq_u32_e32 vcc, 0, v21
	s_and_b64 exec, exec, vcc
	s_cbranch_execz .LBB154_160
; %bb.151:
	s_mov_b32 s0, 0x7f800000
	v_and_b32_e32 v1, 0x7f800000, v2
	v_cmp_ne_u32_e32 vcc, s0, v1
                                        ; implicit-def: $vgpr4
	s_and_saveexec_b64 s[0:1], vcc
	s_xor_b64 s[0:1], exec, s[0:1]
; %bb.152:
	v_bfe_u32 v1, v2, 16, 1
	s_movk_i32 s2, 0x7fff
	v_add3_u32 v4, v2, v1, s2
; %bb.153:
	s_andn2_saveexec_b64 s[0:1], s[0:1]
; %bb.154:
	v_mov_b32_e32 v1, 0
	v_or_b32_e32 v4, 0x10000, v2
	v_cmp_eq_u32_sdwa vcc, v2, v1 src0_sel:WORD_0 src1_sel:DWORD
	s_nop 1
	v_cndmask_b32_e32 v4, v4, v2, vcc
; %bb.155:
	s_or_b64 exec, exec, s[0:1]
	s_mul_i32 s0, s10, s11
	s_mul_i32 s0, s0, s5
	s_lshl_b32 s0, s0, 5
	s_ashr_i32 s1, s0, 31
	s_lshl_b64 s[0:1], s[0:1], 1
	s_add_u32 s2, s18, s0
	s_mul_i32 s0, s11, s16
	s_addc_u32 s3, s19, s1
	s_ashr_i32 s1, s0, 31
	s_lshl_b64 s[0:1], s[0:1], 1
	s_add_u32 s2, s2, s0
	s_addc_u32 s3, s3, s1
	s_lshl_b32 s0, s4, 5
	s_ashr_i32 s1, s0, 31
	s_lshl_b64 s[0:1], s[0:1], 1
	s_add_u32 s0, s2, s0
	v_lshrrev_b32_e32 v0, 1, v0
	s_mov_b32 s2, 0x7f800000
	v_and_b32_e32 v2, 0x7f800000, v3
	s_addc_u32 s1, s3, s1
	v_and_b32_e32 v0, 0x1fe, v0
	v_mov_b32_e32 v1, 0
	v_cmp_ne_u32_e32 vcc, s2, v2
	global_store_short_d16_hi v0, v4, s[0:1]
                                        ; implicit-def: $vgpr4
	s_and_saveexec_b64 s[2:3], vcc
	s_xor_b64 s[2:3], exec, s[2:3]
; %bb.156:
	v_bfe_u32 v2, v3, 16, 1
	s_movk_i32 s4, 0x7fff
	v_add3_u32 v4, v3, v2, s4
                                        ; implicit-def: $vgpr2_vgpr3
; %bb.157:
	s_or_saveexec_b64 s[2:3], s[2:3]
	v_lshl_add_u64 v[0:1], s[0:1], 0, v[0:1]
	s_xor_b64 exec, exec, s[2:3]
; %bb.158:
	v_mov_b32_e32 v2, 0
	v_or_b32_e32 v4, 0x10000, v3
	v_cmp_eq_u32_sdwa vcc, v3, v2 src0_sel:WORD_0 src1_sel:DWORD
	s_nop 1
	v_cndmask_b32_e32 v4, v4, v3, vcc
; %bb.159:
	s_or_b64 exec, exec, s[2:3]
	global_store_short_d16_hi v[0:1], v4, off offset:32
.LBB154_160:
	s_endpgm
	.section	.rodata,"a",@progbits
	.p2align	6, 0x0
	.amdhsa_kernel _ZN4vllm25paged_attention_v1_kernelI14__hip_bfloat16S1_Li32ELi32ELi128ELNS_18Fp8KVCacheDataTypeE0ELb0EEEvPT_PKS3_PKT0_S9_ifPKiSB_iPKfiiiSD_SD_iiiii
		.amdhsa_group_segment_fixed_size 80
		.amdhsa_private_segment_fixed_size 0
		.amdhsa_kernarg_size 384
		.amdhsa_user_sgpr_count 2
		.amdhsa_user_sgpr_dispatch_ptr 0
		.amdhsa_user_sgpr_queue_ptr 0
		.amdhsa_user_sgpr_kernarg_segment_ptr 1
		.amdhsa_user_sgpr_dispatch_id 0
		.amdhsa_user_sgpr_kernarg_preload_length 0
		.amdhsa_user_sgpr_kernarg_preload_offset 0
		.amdhsa_user_sgpr_private_segment_size 0
		.amdhsa_uses_dynamic_stack 0
		.amdhsa_enable_private_segment 0
		.amdhsa_system_sgpr_workgroup_id_x 1
		.amdhsa_system_sgpr_workgroup_id_y 1
		.amdhsa_system_sgpr_workgroup_id_z 1
		.amdhsa_system_sgpr_workgroup_info 0
		.amdhsa_system_vgpr_workitem_id 0
		.amdhsa_next_free_vgpr 47
		.amdhsa_next_free_sgpr 34
		.amdhsa_accum_offset 48
		.amdhsa_reserve_vcc 1
		.amdhsa_float_round_mode_32 0
		.amdhsa_float_round_mode_16_64 0
		.amdhsa_float_denorm_mode_32 3
		.amdhsa_float_denorm_mode_16_64 3
		.amdhsa_dx10_clamp 1
		.amdhsa_ieee_mode 1
		.amdhsa_fp16_overflow 0
		.amdhsa_tg_split 0
		.amdhsa_exception_fp_ieee_invalid_op 0
		.amdhsa_exception_fp_denorm_src 0
		.amdhsa_exception_fp_ieee_div_zero 0
		.amdhsa_exception_fp_ieee_overflow 0
		.amdhsa_exception_fp_ieee_underflow 0
		.amdhsa_exception_fp_ieee_inexact 0
		.amdhsa_exception_int_div_zero 0
	.end_amdhsa_kernel
	.section	.text._ZN4vllm25paged_attention_v1_kernelI14__hip_bfloat16S1_Li32ELi32ELi128ELNS_18Fp8KVCacheDataTypeE0ELb0EEEvPT_PKS3_PKT0_S9_ifPKiSB_iPKfiiiSD_SD_iiiii,"axG",@progbits,_ZN4vllm25paged_attention_v1_kernelI14__hip_bfloat16S1_Li32ELi32ELi128ELNS_18Fp8KVCacheDataTypeE0ELb0EEEvPT_PKS3_PKT0_S9_ifPKiSB_iPKfiiiSD_SD_iiiii,comdat
.Lfunc_end154:
	.size	_ZN4vllm25paged_attention_v1_kernelI14__hip_bfloat16S1_Li32ELi32ELi128ELNS_18Fp8KVCacheDataTypeE0ELb0EEEvPT_PKS3_PKT0_S9_ifPKiSB_iPKfiiiSD_SD_iiiii, .Lfunc_end154-_ZN4vllm25paged_attention_v1_kernelI14__hip_bfloat16S1_Li32ELi32ELi128ELNS_18Fp8KVCacheDataTypeE0ELb0EEEvPT_PKS3_PKT0_S9_ifPKiSB_iPKfiiiSD_SD_iiiii
                                        ; -- End function
	.section	.AMDGPU.csdata,"",@progbits
; Kernel info:
; codeLenInByte = 5972
; NumSgprs: 40
; NumVgprs: 47
; NumAgprs: 0
; TotalNumVgprs: 47
; ScratchSize: 0
; MemoryBound: 0
; FloatMode: 240
; IeeeMode: 1
; LDSByteSize: 80 bytes/workgroup (compile time only)
; SGPRBlocks: 4
; VGPRBlocks: 5
; NumSGPRsForWavesPerEU: 40
; NumVGPRsForWavesPerEU: 47
; AccumOffset: 48
; Occupancy: 8
; WaveLimiterHint : 1
; COMPUTE_PGM_RSRC2:SCRATCH_EN: 0
; COMPUTE_PGM_RSRC2:USER_SGPR: 2
; COMPUTE_PGM_RSRC2:TRAP_HANDLER: 0
; COMPUTE_PGM_RSRC2:TGID_X_EN: 1
; COMPUTE_PGM_RSRC2:TGID_Y_EN: 1
; COMPUTE_PGM_RSRC2:TGID_Z_EN: 1
; COMPUTE_PGM_RSRC2:TIDIG_COMP_CNT: 0
; COMPUTE_PGM_RSRC3_GFX90A:ACCUM_OFFSET: 11
; COMPUTE_PGM_RSRC3_GFX90A:TG_SPLIT: 0
	.section	.text._ZN4vllm25paged_attention_v1_kernelI14__hip_bfloat16S1_Li64ELi32ELi128ELNS_18Fp8KVCacheDataTypeE0ELb0EEEvPT_PKS3_PKT0_S9_ifPKiSB_iPKfiiiSD_SD_iiiii,"axG",@progbits,_ZN4vllm25paged_attention_v1_kernelI14__hip_bfloat16S1_Li64ELi32ELi128ELNS_18Fp8KVCacheDataTypeE0ELb0EEEvPT_PKS3_PKT0_S9_ifPKiSB_iPKfiiiSD_SD_iiiii,comdat
	.protected	_ZN4vllm25paged_attention_v1_kernelI14__hip_bfloat16S1_Li64ELi32ELi128ELNS_18Fp8KVCacheDataTypeE0ELb0EEEvPT_PKS3_PKT0_S9_ifPKiSB_iPKfiiiSD_SD_iiiii ; -- Begin function _ZN4vllm25paged_attention_v1_kernelI14__hip_bfloat16S1_Li64ELi32ELi128ELNS_18Fp8KVCacheDataTypeE0ELb0EEEvPT_PKS3_PKT0_S9_ifPKiSB_iPKfiiiSD_SD_iiiii
	.globl	_ZN4vllm25paged_attention_v1_kernelI14__hip_bfloat16S1_Li64ELi32ELi128ELNS_18Fp8KVCacheDataTypeE0ELb0EEEvPT_PKS3_PKT0_S9_ifPKiSB_iPKfiiiSD_SD_iiiii
	.p2align	8
	.type	_ZN4vllm25paged_attention_v1_kernelI14__hip_bfloat16S1_Li64ELi32ELi128ELNS_18Fp8KVCacheDataTypeE0ELb0EEEvPT_PKS3_PKT0_S9_ifPKiSB_iPKfiiiSD_SD_iiiii,@function
_ZN4vllm25paged_attention_v1_kernelI14__hip_bfloat16S1_Li64ELi32ELi128ELNS_18Fp8KVCacheDataTypeE0ELb0EEEvPT_PKS3_PKT0_S9_ifPKiSB_iPKfiiiSD_SD_iiiii: ; @_ZN4vllm25paged_attention_v1_kernelI14__hip_bfloat16S1_Li64ELi32ELi128ELNS_18Fp8KVCacheDataTypeE0ELb0EEEvPT_PKS3_PKT0_S9_ifPKiSB_iPKfiiiSD_SD_iiiii
; %bb.0:
	s_load_dword s5, s[0:1], 0x80
	s_load_dwordx2 s[6:7], s[0:1], 0x30
	s_load_dwordx2 s[8:9], s[0:1], 0x20
	s_mov_b32 s10, s3
	s_ashr_i32 s11, s3, 31
	s_lshl_b64 s[12:13], s[10:11], 2
	s_waitcnt lgkmcnt(0)
	s_add_u32 s6, s6, s12
	s_addc_u32 s7, s7, s13
	s_abs_i32 s3, s8
	v_cvt_f32_u32_e32 v1, s3
	s_sub_i32 s12, 0, s3
	s_abs_i32 s11, s5
	s_xor_b32 s8, s5, s8
	v_rcp_iflag_f32_e32 v1, v1
	s_ashr_i32 s8, s8, 31
	v_mul_f32_e32 v1, 0x4f7ffffe, v1
	v_cvt_u32_f32_e32 v1, v1
	s_nop 0
	v_readfirstlane_b32 s13, v1
	s_mul_i32 s12, s12, s13
	s_mul_hi_u32 s12, s13, s12
	s_add_i32 s13, s13, s12
	s_mul_hi_u32 s12, s11, s13
	s_mul_i32 s13, s12, s3
	s_sub_i32 s11, s11, s13
	s_add_i32 s13, s12, 1
	s_sub_i32 s14, s11, s3
	s_cmp_ge_u32 s11, s3
	s_cselect_b32 s12, s13, s12
	s_cselect_b32 s11, s14, s11
	s_add_i32 s13, s12, 1
	s_cmp_ge_u32 s11, s3
	s_cselect_b32 s3, s13, s12
	s_xor_b32 s3, s3, s8
	s_sub_i32 s14, s3, s8
	s_abs_i32 s11, s14
	v_cvt_f32_u32_e32 v1, s11
	s_load_dwordx2 s[12:13], s[0:1], 0x40
	s_sub_i32 s3, 0, s11
	s_abs_i32 s18, s2
	v_rcp_iflag_f32_e32 v1, v1
	s_mov_b32 s8, 0
	v_mul_f32_e32 v1, 0x4f7ffffe, v1
	v_cvt_u32_f32_e32 v1, v1
	s_nop 0
	v_readfirstlane_b32 s15, v1
	s_mul_i32 s3, s3, s15
	s_mul_hi_u32 s3, s15, s3
	s_add_i32 s15, s15, s3
	s_waitcnt lgkmcnt(0)
	s_cmp_eq_u64 s[12:13], 0
	s_mul_hi_u32 s19, s18, s15
	s_cbranch_scc1 .LBB155_2
; %bb.1:
	s_ashr_i32 s3, s2, 31
	s_lshl_b64 s[16:17], s[2:3], 2
	s_add_u32 s12, s12, s16
	s_addc_u32 s13, s13, s17
	s_load_dword s8, s[12:13], 0x0
.LBB155_2:
	s_load_dword s33, s[6:7], 0x0
	s_ashr_i32 s7, s14, 31
	s_load_dwordx4 s[12:15], s[0:1], 0x48
	s_ashr_i32 s6, s2, 31
	v_and_b32_e32 v4, 1, v0
	s_lshl_b32 s16, s2, 6
	v_cmp_gt_u32_e32 vcc, 16, v0
	v_lshlrev_b32_e32 v6, 3, v0
	s_and_saveexec_b64 s[2:3], vcc
	s_cbranch_execz .LBB155_4
; %bb.3:
	s_load_dwordx2 s[20:21], s[0:1], 0x8
	s_waitcnt lgkmcnt(0)
	s_mul_i32 s22, s10, s12
	s_ashr_i32 s23, s22, 31
	s_lshl_b64 s[22:23], s[22:23], 1
	v_lshlrev_b32_e32 v1, 2, v0
	s_add_u32 s12, s20, s22
	s_addc_u32 s15, s21, s23
	s_ashr_i32 s17, s16, 31
	s_lshl_b64 s[20:21], s[16:17], 1
	s_add_u32 s20, s12, s20
	s_addc_u32 s21, s15, s21
	global_load_dwordx2 v[2:3], v6, s[20:21]
	v_and_b32_e32 v1, 0xff8, v1
	v_lshl_add_u32 v1, v4, 6, v1
	s_waitcnt vmcnt(0)
	ds_write_b64 v1, v[2:3]
.LBB155_4:
	s_or_b64 exec, exec, s[2:3]
	s_waitcnt lgkmcnt(0)
	s_add_i32 s3, s33, 31
	s_ashr_i32 s12, s3, 31
	s_lshr_b32 s12, s12, 27
	s_add_i32 s3, s3, s12
	s_ashr_i32 s12, s3, 5
	s_xor_b32 s3, s6, s7
	s_mul_i32 s6, s19, s11
	s_sub_i32 s6, s18, s6
	s_add_i32 s7, s19, 1
	s_sub_i32 s15, s6, s11
	s_load_dwordx2 s[20:21], s[0:1], 0x28
	s_load_dword s2, s[0:1], 0x38
	s_cmp_ge_u32 s6, s11
	s_cselect_b32 s7, s7, s19
	s_cselect_b32 s6, s15, s6
	s_add_i32 s15, s7, 1
	s_cmp_ge_u32 s6, s11
	s_cselect_b32 s6, s15, s7
	v_lshrrev_b32_e32 v1, 6, v0
	s_xor_b32 s6, s6, s3
	s_waitcnt lgkmcnt(0)
	s_mul_i32 s22, s10, s2
	s_sub_i32 s15, s6, s3
	s_ashr_i32 s23, s22, 31
	v_cmp_gt_i32_e64 s[6:7], s12, v1
	v_cmp_le_i32_e32 vcc, s12, v1
	v_mbcnt_lo_u32_b32 v5, -1, 0
	s_barrier
	s_waitcnt lgkmcnt(0)
                                        ; implicit-def: $sgpr17
                                        ; implicit-def: $vgpr8
                                        ; implicit-def: $vgpr9
	s_and_saveexec_b64 s[2:3], vcc
	s_xor_b64 s[2:3], exec, s[2:3]
; %bb.5:
	v_mbcnt_hi_u32_b32 v8, -1, v5
	v_and_b32_e32 v2, 64, v8
	v_add_u32_e32 v9, 64, v2
	s_mov_b32 s17, 0xff7fffff
                                        ; implicit-def: $vgpr4
                                        ; implicit-def: $vgpr5
; %bb.6:
	s_or_saveexec_b64 s[26:27], s[2:3]
	s_load_dwordx2 s[18:19], s[0:1], 0x0
	s_load_dwordx2 s[24:25], s[0:1], 0x18
	s_load_dword s11, s[0:1], 0x88
	v_mov_b32_e32 v35, s17
	s_mul_i32 s14, s15, s14
	v_lshrrev_b32_e32 v7, 4, v0
	s_xor_b64 exec, exec, s[26:27]
	s_cbranch_execz .LBB155_12
; %bb.7:
	s_load_dwordx2 s[0:1], s[0:1], 0x10
	s_ashr_i32 s15, s14, 31
	v_lshlrev_b32_e32 v8, 6, v4
	s_lshl_b64 s[2:3], s[14:15], 1
	ds_read_b128 v[14:17], v8
	ds_read_b128 v[22:25], v8 offset:16
	ds_read_b128 v[30:33], v8 offset:32
	;; [unrolled: 1-line block ×3, first 2 shown]
	v_mbcnt_hi_u32_b32 v8, -1, v5
	v_bfe_u32 v35, v0, 1, 5
	s_waitcnt lgkmcnt(0)
	s_add_u32 s0, s0, s2
	v_and_b32_e32 v9, 64, v8
	s_addc_u32 s1, s1, s3
	v_lshlrev_b32_e32 v46, 4, v35
	v_mov_b32_e32 v47, 0
	v_xor_b32_e32 v5, 1, v8
	v_add_u32_e32 v9, 64, v9
	v_lshl_add_u64 v[2:3], s[0:1], 0, v[46:47]
	v_cmp_lt_i32_e32 vcc, v5, v9
	s_sub_i32 s15, 1, s33
	s_lshl_b64 s[0:1], s[22:23], 2
	v_and_b32_e32 v46, 8, v6
	v_cndmask_b32_e32 v5, v8, v5, vcc
	v_cmp_eq_u32_e32 vcc, 0, v4
	v_lshlrev_b32_e32 v4, 2, v35
	s_add_u32 s0, s20, s0
	v_lshl_add_u64 v[2:3], v[2:3], 0, v[46:47]
	v_lshl_or_b32 v4, v1, 7, v4
	v_and_b32_e32 v46, 60, v7
	s_addc_u32 s1, s21, s1
	s_mov_b32 s17, s13
	v_lshlrev_b32_e32 v10, 16, v14
	v_and_b32_e32 v11, 0xffff0000, v14
	v_lshlrev_b32_e32 v12, 16, v15
	v_and_b32_e32 v13, 0xffff0000, v15
	;; [unrolled: 2-line block ×16, first 2 shown]
	v_lshlrev_b32_e32 v43, 2, v5
	v_cmp_neq_f32_e64 s[2:3], s8, 0
	v_lshl_or_b32 v44, v1, 5, v35
	v_add_u32_e32 v45, 0x90, v4
	v_lshl_add_u64 v[4:5], s[0:1], 0, v[46:47]
	s_mov_b64 s[28:29], 0
	v_mov_b32_e32 v35, 0xff7fffff
	v_mov_b32_e32 v46, v1
	s_branch .LBB155_9
.LBB155_8:                              ;   in Loop: Header=BB155_9 Depth=1
	s_or_b64 exec, exec, s[30:31]
	v_add_u32_e32 v46, 2, v46
	v_cmp_le_i32_e64 s[0:1], s12, v46
	v_add_u32_e32 v44, 64, v44
	v_add_u32_e32 v45, 0x100, v45
	s_or_b64 s[28:29], s[0:1], s[28:29]
	v_lshl_add_u64 v[4:5], v[4:5], 0, 8
	s_andn2_b64 exec, exec, s[28:29]
	s_cbranch_execz .LBB155_11
.LBB155_9:                              ; =>This Inner Loop Header: Depth=1
	global_load_dword v47, v[4:5], off
	s_waitcnt vmcnt(0) lgkmcnt(0)
	v_mad_i64_i32 v[48:49], s[0:1], v47, s17, 0
	v_lshl_add_u64 v[48:49], v[48:49], 1, v[2:3]
	global_load_dwordx2 v[50:51], v[48:49], off
	global_load_dwordx2 v[52:53], v[48:49], off offset:512
	global_load_dwordx2 v[54:55], v[48:49], off offset:1024
	;; [unrolled: 1-line block ×6, first 2 shown]
	s_nop 0
	global_load_dwordx2 v[48:49], v[48:49], off offset:3584
	s_waitcnt vmcnt(7)
	v_lshlrev_b32_e32 v47, 16, v50
	s_waitcnt vmcnt(6)
	v_lshlrev_b32_e32 v65, 16, v52
	v_and_b32_e32 v52, 0xffff0000, v52
	v_and_b32_e32 v50, 0xffff0000, v50
	v_lshlrev_b32_e32 v66, 16, v53
	v_mul_f32_e32 v65, v14, v65
	v_mul_f32_e32 v52, v15, v52
	v_lshlrev_b32_e32 v64, 16, v51
	v_and_b32_e32 v53, 0xffff0000, v53
	s_waitcnt vmcnt(5)
	v_lshlrev_b32_e32 v67, 16, v54
	v_and_b32_e32 v54, 0xffff0000, v54
	v_mul_f32_e32 v66, v16, v66
	v_fmac_f32_e32 v65, v10, v47
	v_fmac_f32_e32 v52, v11, v50
	v_and_b32_e32 v51, 0xffff0000, v51
	v_lshlrev_b32_e32 v68, 16, v55
	s_waitcnt vmcnt(4)
	v_lshlrev_b32_e32 v69, 16, v56
	v_and_b32_e32 v56, 0xffff0000, v56
	v_mul_f32_e32 v53, v17, v53
	v_fmac_f32_e32 v66, v12, v64
	v_fmac_f32_e32 v65, v18, v67
	v_fmac_f32_e32 v52, v19, v54
	v_and_b32_e32 v55, 0xffff0000, v55
	v_lshlrev_b32_e32 v70, 16, v57
	s_waitcnt vmcnt(3)
	v_lshlrev_b32_e32 v71, 16, v58
	v_and_b32_e32 v58, 0xffff0000, v58
	v_fmac_f32_e32 v53, v13, v51
	v_fmac_f32_e32 v66, v20, v68
	v_fmac_f32_e32 v65, v22, v69
	v_fmac_f32_e32 v52, v23, v56
	v_and_b32_e32 v57, 0xffff0000, v57
	v_lshlrev_b32_e32 v72, 16, v59
	s_waitcnt vmcnt(2)
	v_lshlrev_b32_e32 v73, 16, v60
	v_and_b32_e32 v60, 0xffff0000, v60
	v_fmac_f32_e32 v53, v21, v55
	;; [unrolled: 9-line block ×4, first 2 shown]
	v_fmac_f32_e32 v66, v32, v74
	v_fmac_f32_e32 v65, v34, v75
	;; [unrolled: 1-line block ×3, first 2 shown]
	v_and_b32_e32 v63, 0xffff0000, v63
	v_lshlrev_b32_e32 v78, 16, v49
	v_fmac_f32_e32 v53, v33, v61
	v_fmac_f32_e32 v66, v37, v76
	;; [unrolled: 1-line block ×4, first 2 shown]
	v_and_b32_e32 v49, 0xffff0000, v49
	v_fmac_f32_e32 v53, v38, v63
	v_fmac_f32_e32 v66, v41, v78
	v_add_f32_e32 v47, v65, v52
	v_fmac_f32_e32 v53, v42, v49
	v_add_f32_e32 v47, v47, v66
	v_add_f32_e32 v47, v53, v47
	ds_bpermute_b32 v48, v43, v47
	s_and_saveexec_b64 s[30:31], vcc
	s_cbranch_execz .LBB155_8
; %bb.10:                               ;   in Loop: Header=BB155_9 Depth=1
	v_add_u32_e32 v49, s15, v44
	v_cvt_f32_i32_e32 v49, v49
	s_waitcnt lgkmcnt(0)
	v_add_f32_e32 v47, v47, v48
	v_cmp_gt_i32_e64 s[0:1], s33, v44
	v_max_f32_e32 v48, v35, v35
	v_mul_f32_e32 v49, s8, v49
	v_cndmask_b32_e64 v49, 0, v49, s[2:3]
	v_fmac_f32_e32 v49, s9, v47
	v_cndmask_b32_e64 v47, 0, v49, s[0:1]
	ds_write_b32 v45, v47
	v_max_f32_e32 v47, v48, v49
	v_cndmask_b32_e64 v35, v35, v47, s[0:1]
	s_branch .LBB155_8
.LBB155_11:
	s_or_b64 exec, exec, s[28:29]
.LBB155_12:
	s_or_b64 exec, exec, s[26:27]
	v_xor_b32_e32 v2, 32, v8
	v_cmp_lt_i32_e32 vcc, v2, v9
	v_xor_b32_e32 v5, 16, v8
	v_max_f32_e32 v4, v35, v35
	v_cndmask_b32_e32 v2, v8, v2, vcc
	v_lshlrev_b32_e32 v2, 2, v2
	ds_bpermute_b32 v3, v2, v35
	v_cmp_lt_i32_e32 vcc, v5, v9
	v_xor_b32_e32 v10, 8, v8
	v_xor_b32_e32 v11, 4, v8
	;; [unrolled: 1-line block ×3, first 2 shown]
	s_waitcnt lgkmcnt(0)
	v_max_f32_e32 v3, v3, v3
	v_max_f32_e32 v4, v4, v3
	v_cndmask_b32_e32 v3, v8, v5, vcc
	v_lshlrev_b32_e32 v3, 2, v3
	ds_bpermute_b32 v5, v3, v4
	v_cmp_lt_i32_e32 vcc, v10, v9
	v_and_b32_e32 v20, 63, v0
	s_waitcnt lgkmcnt(0)
	v_max_f32_e32 v5, v5, v5
	v_max_f32_e32 v5, v4, v5
	v_cndmask_b32_e32 v4, v8, v10, vcc
	v_lshlrev_b32_e32 v4, 2, v4
	ds_bpermute_b32 v10, v4, v5
	v_cmp_lt_i32_e32 vcc, v11, v9
	s_waitcnt lgkmcnt(0)
	v_max_f32_e32 v10, v10, v10
	v_max_f32_e32 v10, v5, v10
	v_cndmask_b32_e32 v5, v8, v11, vcc
	v_lshlrev_b32_e32 v5, 2, v5
	ds_bpermute_b32 v11, v5, v10
	v_cmp_lt_i32_e32 vcc, v12, v9
	s_waitcnt lgkmcnt(0)
	v_max_f32_e32 v11, v11, v11
	v_max_f32_e32 v11, v10, v11
	v_cndmask_b32_e32 v10, v8, v12, vcc
	v_lshlrev_b32_e32 v21, 2, v10
	ds_bpermute_b32 v12, v21, v11
	v_cmp_eq_u32_e32 vcc, 0, v20
	v_lshlrev_b32_e32 v10, 2, v1
	s_and_saveexec_b64 s[0:1], vcc
	s_cbranch_execz .LBB155_14
; %bb.13:
	s_waitcnt lgkmcnt(0)
	v_max_f32_e32 v12, v12, v12
	v_max_f32_e32 v11, v11, v11
	;; [unrolled: 1-line block ×3, first 2 shown]
	ds_write_b32 v10, v11 offset:128
.LBB155_14:
	s_or_b64 exec, exec, s[0:1]
	v_cmp_gt_u32_e64 s[0:1], 2, v20
	s_waitcnt lgkmcnt(0)
	v_mov_b32_e32 v12, 0xff7fffff
	v_lshlrev_b32_e32 v11, 2, v20
	s_barrier
	s_and_saveexec_b64 s[2:3], s[0:1]
	s_cbranch_execz .LBB155_16
; %bb.15:
	ds_read_b32 v12, v11 offset:128
.LBB155_16:
	s_or_b64 exec, exec, s[2:3]
	v_xor_b32_e32 v13, 1, v8
	v_cmp_lt_i32_e64 s[2:3], v13, v9
	s_nop 1
	v_cndmask_b32_e64 v9, v8, v13, s[2:3]
	v_lshlrev_b32_e32 v22, 2, v9
	s_waitcnt lgkmcnt(0)
	ds_bpermute_b32 v9, v22, v12
	v_max_f32_e32 v12, v12, v12
	v_lshlrev_b32_e32 v8, 2, v8
	v_and_b32_e32 v8, 0xffffff00, v8
	s_lshl_b32 s2, s12, 5
	s_waitcnt lgkmcnt(0)
	v_max_f32_e32 v9, v9, v9
	v_max_f32_e32 v9, v12, v9
	ds_bpermute_b32 v12, v8, v9
	s_min_i32 s15, s2, s33
	v_cmp_gt_i32_e64 s[2:3], s15, v0
	v_mov_b32_e32 v9, 0
	s_and_saveexec_b64 s[26:27], s[2:3]
	s_cbranch_execz .LBB155_20
; %bb.17:
	v_mov_b32_e32 v9, 0x90
	v_lshl_add_u32 v13, v0, 2, v9
	s_mov_b64 s[28:29], 0
	v_mov_b32_e32 v9, 0
	v_mov_b32_e32 v14, v0
.LBB155_18:                             ; =>This Inner Loop Header: Depth=1
	ds_read_b32 v15, v13
	v_add_u32_e32 v14, 0x80, v14
	v_cmp_le_i32_e64 s[8:9], s15, v14
	s_or_b64 s[28:29], s[8:9], s[28:29]
	s_waitcnt lgkmcnt(0)
	v_sub_f32_e32 v15, v15, v12
	v_mul_f32_e32 v15, 0x3fb8aa3b, v15
	v_exp_f32_e32 v15, v15
	ds_write_b32 v13, v15
	v_add_f32_e32 v9, v9, v15
	v_add_u32_e32 v13, 0x200, v13
	s_andn2_b64 exec, exec, s[28:29]
	s_cbranch_execnz .LBB155_18
; %bb.19:
	s_or_b64 exec, exec, s[28:29]
.LBB155_20:
	s_or_b64 exec, exec, s[26:27]
	ds_bpermute_b32 v2, v2, v9
	s_waitcnt lgkmcnt(0)
	v_add_f32_e32 v2, v9, v2
	ds_bpermute_b32 v3, v3, v2
	s_waitcnt lgkmcnt(0)
	v_add_f32_e32 v2, v2, v3
	;; [unrolled: 3-line block ×6, first 2 shown]
	s_and_saveexec_b64 s[8:9], vcc
	s_cbranch_execz .LBB155_22
; %bb.21:
	ds_write_b32 v10, v2 offset:136
.LBB155_22:
	s_or_b64 exec, exec, s[8:9]
	s_waitcnt lgkmcnt(0)
	s_barrier
	s_and_saveexec_b64 s[8:9], s[0:1]
	s_cbranch_execz .LBB155_24
; %bb.23:
	ds_read_b32 v2, v11 offset:136
.LBB155_24:
	s_or_b64 exec, exec, s[8:9]
	s_waitcnt lgkmcnt(0)
	ds_bpermute_b32 v3, v22, v2
	s_waitcnt lgkmcnt(0)
	v_add_f32_e32 v2, v2, v3
	ds_bpermute_b32 v2, v8, v2
	s_and_saveexec_b64 s[0:1], s[2:3]
	s_cbranch_execz .LBB155_37
; %bb.25:
	s_waitcnt lgkmcnt(0)
	v_add_f32_e32 v2, 0x358637bd, v2
	v_div_scale_f32 v3, s[2:3], v2, v2, 1.0
	v_rcp_f32_e32 v4, v3
	v_div_scale_f32 v5, vcc, 1.0, v2, 1.0
	s_movk_i32 s2, 0x7f
	v_fma_f32 v8, -v3, v4, 1.0
	v_fmac_f32_e32 v4, v8, v4
	v_mul_f32_e32 v8, v5, v4
	v_fma_f32 v9, -v3, v8, v5
	v_fmac_f32_e32 v8, v9, v4
	v_fma_f32 v3, -v3, v8, v5
	v_div_fmas_f32 v3, v3, v4, v8
	v_xad_u32 v4, v0, -1, s15
	v_div_fixup_f32 v2, v3, v2, 1.0
	v_cmp_lt_u32_e32 vcc, s2, v4
	s_mov_b64 s[8:9], -1
	v_mov_b32_e32 v3, v0
	s_and_saveexec_b64 s[2:3], vcc
	s_cbranch_execz .LBB155_34
; %bb.26:
	v_lshrrev_b32_e32 v4, 7, v4
	v_add_u32_e32 v8, -1, v4
	v_lshrrev_b32_e32 v5, 1, v8
	v_mov_b32_e32 v3, v2
	v_add_u32_e32 v5, 1, v5
	v_cmp_lt_u32_e32 vcc, 13, v8
	v_mov_b32_e32 v10, 0
	s_and_saveexec_b64 s[8:9], vcc
	s_cbranch_execz .LBB155_30
; %bb.27:
	v_mov_b32_e32 v9, 0x90
	v_and_b32_e32 v8, -8, v5
	v_lshl_add_u32 v9, v0, 2, v9
	s_mov_b32 s17, 0
	s_mov_b64 s[26:27], 0
.LBB155_28:                             ; =>This Inner Loop Header: Depth=1
	ds_read2st64_b32 v[10:11], v9 offset1:2
	ds_read2st64_b32 v[12:13], v9 offset0:4 offset1:6
	ds_read2st64_b32 v[14:15], v9 offset0:8 offset1:10
	;; [unrolled: 1-line block ×3, first 2 shown]
	v_add_u32_e32 v8, -8, v8
	s_waitcnt lgkmcnt(3)
	v_pk_mul_f32 v[10:11], v[2:3], v[10:11]
	s_waitcnt lgkmcnt(2)
	v_pk_mul_f32 v[12:13], v[2:3], v[12:13]
	ds_write2st64_b32 v9, v10, v11 offset1:2
	ds_write2st64_b32 v9, v12, v13 offset0:4 offset1:6
	ds_read2st64_b32 v[12:13], v9 offset0:16 offset1:18
	s_waitcnt lgkmcnt(4)
	v_pk_mul_f32 v[10:11], v[2:3], v[14:15]
	ds_write2st64_b32 v9, v10, v11 offset0:8 offset1:10
	s_waitcnt lgkmcnt(4)
	v_pk_mul_f32 v[10:11], v[2:3], v[16:17]
	ds_write2st64_b32 v9, v10, v11 offset0:12 offset1:14
	ds_read2st64_b32 v[10:11], v9 offset0:20 offset1:22
	s_waitcnt lgkmcnt(3)
	v_pk_mul_f32 v[12:13], v[2:3], v[12:13]
	ds_read2st64_b32 v[14:15], v9 offset0:24 offset1:26
	ds_write2st64_b32 v9, v12, v13 offset0:16 offset1:18
	ds_read2st64_b32 v[12:13], v9 offset0:28 offset1:30
	s_waitcnt lgkmcnt(3)
	v_pk_mul_f32 v[10:11], v[2:3], v[10:11]
	ds_write2st64_b32 v9, v10, v11 offset0:20 offset1:22
	s_waitcnt lgkmcnt(3)
	v_pk_mul_f32 v[10:11], v[2:3], v[14:15]
	ds_write2st64_b32 v9, v10, v11 offset0:24 offset1:26
	s_waitcnt lgkmcnt(2)
	v_pk_mul_f32 v[10:11], v[2:3], v[12:13]
	s_add_i32 s17, s17, 16
	v_cmp_eq_u32_e32 vcc, 0, v8
	ds_write2st64_b32 v9, v10, v11 offset0:28 offset1:30
	v_add_u32_e32 v9, 0x2000, v9
	s_or_b64 s[26:27], vcc, s[26:27]
	v_mov_b32_e32 v10, s17
	s_andn2_b64 exec, exec, s[26:27]
	s_cbranch_execnz .LBB155_28
; %bb.29:
	s_or_b64 exec, exec, s[26:27]
.LBB155_30:
	s_or_b64 exec, exec, s[8:9]
	v_and_b32_e32 v5, 7, v5
	v_cmp_ne_u32_e32 vcc, 0, v5
	s_and_saveexec_b64 s[8:9], vcc
	s_cbranch_execz .LBB155_33
; %bb.31:
	v_lshlrev_b32_e32 v8, 9, v10
	v_lshlrev_b32_e32 v9, 2, v0
	s_movk_i32 s17, 0x90
	v_add3_u32 v8, v8, v9, s17
	s_mov_b64 s[26:27], 0
.LBB155_32:                             ; =>This Inner Loop Header: Depth=1
	ds_read2st64_b32 v[10:11], v8 offset1:2
	v_add_u32_e32 v5, -1, v5
	v_cmp_eq_u32_e32 vcc, 0, v5
	s_or_b64 s[26:27], vcc, s[26:27]
	s_waitcnt lgkmcnt(0)
	v_pk_mul_f32 v[10:11], v[2:3], v[10:11]
	ds_write2st64_b32 v8, v10, v11 offset1:2
	v_add_u32_e32 v8, 0x400, v8
	s_andn2_b64 exec, exec, s[26:27]
	s_cbranch_execnz .LBB155_32
.LBB155_33:
	s_or_b64 exec, exec, s[8:9]
	v_add_u32_e32 v4, 1, v4
	v_and_b32_e32 v5, 0x3fffffe, v4
	v_cmp_ne_u32_e32 vcc, v4, v5
	v_lshl_add_u32 v3, v5, 7, v0
	s_orn2_b64 s[8:9], vcc, exec
.LBB155_34:
	s_or_b64 exec, exec, s[2:3]
	s_and_b64 exec, exec, s[8:9]
	s_cbranch_execz .LBB155_37
; %bb.35:
	v_mov_b32_e32 v4, 0x90
	v_lshl_add_u32 v4, v3, 2, v4
	s_mov_b64 s[2:3], 0
.LBB155_36:                             ; =>This Inner Loop Header: Depth=1
	ds_read_b32 v5, v4
	v_add_u32_e32 v3, 0x80, v3
	v_cmp_le_i32_e32 vcc, s15, v3
	s_or_b64 s[2:3], vcc, s[2:3]
	s_waitcnt lgkmcnt(0)
	v_mul_f32_e32 v5, v2, v5
	ds_write_b32 v4, v5
	v_add_u32_e32 v4, 0x200, v4
	s_andn2_b64 exec, exec, s[2:3]
	s_cbranch_execnz .LBB155_36
.LBB155_37:
	s_or_b64 exec, exec, s[0:1]
	v_mov_b32_e32 v11, 0
	v_and_b32_e32 v23, 3, v0
	v_mov_b32_e32 v10, 0
	v_mov_b32_e32 v13, 0
	;; [unrolled: 1-line block ×3, first 2 shown]
	s_waitcnt lgkmcnt(0)
	s_barrier
	s_and_saveexec_b64 s[2:3], s[6:7]
	s_cbranch_execz .LBB155_209
; %bb.38:
	s_ashr_i32 s15, s14, 31
	s_lshl_b64 s[0:1], s[14:15], 1
	s_add_u32 s0, s24, s0
	v_lshlrev_b32_e32 v3, 4, v0
	s_addc_u32 s1, s25, s1
	v_and_b32_e32 v14, 0x3f0, v3
	v_mov_b32_e32 v15, 0
	v_and_b32_e32 v2, 24, v6
	s_add_i32 s14, s12, -1
	v_lshl_add_u64 v[16:17], s[0:1], 0, v[14:15]
	v_lshlrev_b32_e32 v3, 5, v1
	s_lshl_b64 s[0:1], s[22:23], 2
	v_or3_b32 v24, v3, v2, 7
	v_lshlrev_b32_e32 v2, 5, v23
	s_add_u32 s0, s20, s0
	v_lshl_or_b32 v2, v1, 7, v2
	v_and_b32_e32 v14, 60, v7
	s_addc_u32 s1, s21, s1
	v_add_u32_e32 v25, 0x90, v2
	v_lshl_add_u64 v[18:19], s[0:1], 0, v[14:15]
	s_mov_b64 s[6:7], 0
	s_mov_b32 s15, 0x7f800000
	s_movk_i32 s17, 0x7fff
	v_mov_b32_e32 v12, 0
	v_mov_b32_e32 v13, 0
	;; [unrolled: 1-line block ×4, first 2 shown]
	s_branch .LBB155_40
.LBB155_39:                             ;   in Loop: Header=BB155_40 Depth=1
	s_or_b64 exec, exec, s[0:1]
	v_and_b32_e32 v32, 0xffff0000, v28
	v_and_b32_e32 v28, 0xffff0000, v27
	;; [unrolled: 1-line block ×8, first 2 shown]
	v_pk_add_f32 v[8:9], v[8:9], v[26:27]
	v_pk_add_f32 v[26:27], v[28:29], v[32:33]
	v_add_f32_e32 v8, v8, v9
	v_add_f32_e32 v8, v8, v26
	;; [unrolled: 1-line block ×3, first 2 shown]
	v_and_b32_e32 v29, 0xffff0000, v49
	v_and_b32_e32 v28, 0xffff0000, v47
	;; [unrolled: 1-line block ×4, first 2 shown]
	v_add_f32_e32 v12, v12, v8
	v_and_b32_e32 v9, 0xffff0000, v53
	v_and_b32_e32 v8, 0xffff0000, v51
	;; [unrolled: 1-line block ×4, first 2 shown]
	v_pk_add_f32 v[28:29], v[32:33], v[28:29]
	v_pk_add_f32 v[8:9], v[26:27], v[8:9]
	v_add_f32_e32 v14, v28, v29
	v_add_f32_e32 v8, v14, v8
	;; [unrolled: 1-line block ×3, first 2 shown]
	v_and_b32_e32 v29, 0xffff0000, v57
	v_and_b32_e32 v28, 0xffff0000, v55
	v_and_b32_e32 v33, 0xffff0000, v56
	v_and_b32_e32 v32, 0xffff0000, v54
	v_add_f32_e32 v13, v13, v8
	v_and_b32_e32 v9, 0xffff0000, v61
	v_and_b32_e32 v8, 0xffff0000, v59
	;; [unrolled: 1-line block ×4, first 2 shown]
	v_pk_add_f32 v[28:29], v[32:33], v[28:29]
	v_pk_add_f32 v[8:9], v[26:27], v[8:9]
	v_add_f32_e32 v14, v28, v29
	v_add_f32_e32 v8, v14, v8
	;; [unrolled: 1-line block ×3, first 2 shown]
	v_and_b32_e32 v9, 0xffff0000, v7
	v_and_b32_e32 v7, 0xffff0000, v30
	;; [unrolled: 1-line block ×5, first 2 shown]
	v_add_f32_e32 v10, v10, v8
	v_and_b32_e32 v8, 0xffff0000, v31
	v_and_b32_e32 v5, 0xffff0000, v5
	v_and_b32_e32 v4, 0xffff0000, v4
	v_pk_add_f32 v[2:3], v[2:3], v[6:7]
	v_pk_add_f32 v[4:5], v[4:5], v[8:9]
	v_add_f32_e32 v2, v2, v3
	v_add_f32_e32 v2, v2, v4
	v_add_u32_e32 v1, 2, v1
	v_add_f32_e32 v2, v2, v5
	v_cmp_le_i32_e32 vcc, s12, v1
	v_add_f32_e32 v11, v11, v2
	v_add_u32_e32 v24, 64, v24
	v_add_u32_e32 v25, 0x100, v25
	s_or_b64 s[6:7], vcc, s[6:7]
	v_lshl_add_u64 v[18:19], v[18:19], 0, 8
	s_andn2_b64 exec, exec, s[6:7]
	s_cbranch_execz .LBB155_208
.LBB155_40:                             ; =>This Inner Loop Header: Depth=1
	global_load_dword v30, v[18:19], off
	ds_read2_b64 v[6:9], v25 offset1:1
	ds_read2_b64 v[2:5], v25 offset0:2 offset1:3
                                        ; implicit-def: $vgpr38
	s_waitcnt lgkmcnt(1)
	v_and_b32_e32 v14, 0x7f800000, v6
	v_cmp_ne_u32_e32 vcc, s15, v14
	s_and_saveexec_b64 s[0:1], vcc
	s_xor_b64 s[0:1], exec, s[0:1]
; %bb.41:                               ;   in Loop: Header=BB155_40 Depth=1
	v_bfe_u32 v14, v6, 16, 1
	v_add3_u32 v38, v6, v14, s17
; %bb.42:                               ;   in Loop: Header=BB155_40 Depth=1
	s_andn2_saveexec_b64 s[0:1], s[0:1]
; %bb.43:                               ;   in Loop: Header=BB155_40 Depth=1
	v_or_b32_e32 v14, 0x10000, v6
	v_cmp_eq_u32_sdwa vcc, v6, v15 src0_sel:WORD_0 src1_sel:DWORD
	s_nop 1
	v_cndmask_b32_e32 v38, v14, v6, vcc
; %bb.44:                               ;   in Loop: Header=BB155_40 Depth=1
	s_or_b64 exec, exec, s[0:1]
	v_and_b32_e32 v6, 0x7f800000, v7
	v_cmp_ne_u32_e32 vcc, s15, v6
                                        ; implicit-def: $vgpr39
	s_and_saveexec_b64 s[0:1], vcc
	s_xor_b64 s[0:1], exec, s[0:1]
; %bb.45:                               ;   in Loop: Header=BB155_40 Depth=1
	v_bfe_u32 v6, v7, 16, 1
	v_add3_u32 v39, v7, v6, s17
; %bb.46:                               ;   in Loop: Header=BB155_40 Depth=1
	s_andn2_saveexec_b64 s[0:1], s[0:1]
; %bb.47:                               ;   in Loop: Header=BB155_40 Depth=1
	v_or_b32_e32 v6, 0x10000, v7
	v_cmp_eq_u32_sdwa vcc, v7, v15 src0_sel:WORD_0 src1_sel:DWORD
	s_nop 1
	v_cndmask_b32_e32 v39, v6, v7, vcc
; %bb.48:                               ;   in Loop: Header=BB155_40 Depth=1
	s_or_b64 exec, exec, s[0:1]
	v_and_b32_e32 v6, 0x7f800000, v8
	v_cmp_ne_u32_e32 vcc, s15, v6
                                        ; implicit-def: $vgpr14
	s_and_saveexec_b64 s[0:1], vcc
	s_xor_b64 s[0:1], exec, s[0:1]
; %bb.49:                               ;   in Loop: Header=BB155_40 Depth=1
	v_bfe_u32 v6, v8, 16, 1
	v_add3_u32 v14, v8, v6, s17
; %bb.50:                               ;   in Loop: Header=BB155_40 Depth=1
	s_andn2_saveexec_b64 s[0:1], s[0:1]
; %bb.51:                               ;   in Loop: Header=BB155_40 Depth=1
	v_or_b32_e32 v6, 0x10000, v8
	v_cmp_eq_u32_sdwa vcc, v8, v15 src0_sel:WORD_0 src1_sel:DWORD
	s_nop 1
	v_cndmask_b32_e32 v14, v6, v8, vcc
; %bb.52:                               ;   in Loop: Header=BB155_40 Depth=1
	s_or_b64 exec, exec, s[0:1]
	v_and_b32_e32 v6, 0x7f800000, v9
	v_cmp_ne_u32_e32 vcc, s15, v6
                                        ; implicit-def: $vgpr26
	s_and_saveexec_b64 s[0:1], vcc
	s_xor_b64 s[0:1], exec, s[0:1]
; %bb.53:                               ;   in Loop: Header=BB155_40 Depth=1
	v_bfe_u32 v6, v9, 16, 1
	v_add3_u32 v26, v9, v6, s17
                                        ; implicit-def: $vgpr6_vgpr7_vgpr8_vgpr9
; %bb.54:                               ;   in Loop: Header=BB155_40 Depth=1
	s_andn2_saveexec_b64 s[0:1], s[0:1]
; %bb.55:                               ;   in Loop: Header=BB155_40 Depth=1
	v_or_b32_e32 v6, 0x10000, v9
	v_cmp_eq_u32_sdwa vcc, v9, v15 src0_sel:WORD_0 src1_sel:DWORD
	s_nop 1
	v_cndmask_b32_e32 v26, v6, v9, vcc
; %bb.56:                               ;   in Loop: Header=BB155_40 Depth=1
	s_or_b64 exec, exec, s[0:1]
	s_waitcnt lgkmcnt(0)
	v_and_b32_e32 v6, 0x7f800000, v2
	v_cmp_ne_u32_e32 vcc, s15, v6
                                        ; implicit-def: $vgpr27
	s_and_saveexec_b64 s[0:1], vcc
	s_xor_b64 s[0:1], exec, s[0:1]
; %bb.57:                               ;   in Loop: Header=BB155_40 Depth=1
	v_bfe_u32 v6, v2, 16, 1
	v_add3_u32 v27, v2, v6, s17
; %bb.58:                               ;   in Loop: Header=BB155_40 Depth=1
	s_andn2_saveexec_b64 s[0:1], s[0:1]
; %bb.59:                               ;   in Loop: Header=BB155_40 Depth=1
	v_or_b32_e32 v6, 0x10000, v2
	v_cmp_eq_u32_sdwa vcc, v2, v15 src0_sel:WORD_0 src1_sel:DWORD
	s_nop 1
	v_cndmask_b32_e32 v27, v6, v2, vcc
; %bb.60:                               ;   in Loop: Header=BB155_40 Depth=1
	s_or_b64 exec, exec, s[0:1]
	v_and_b32_e32 v2, 0x7f800000, v3
	v_cmp_ne_u32_e32 vcc, s15, v2
                                        ; implicit-def: $vgpr28
	s_and_saveexec_b64 s[0:1], vcc
	s_xor_b64 s[0:1], exec, s[0:1]
; %bb.61:                               ;   in Loop: Header=BB155_40 Depth=1
	v_bfe_u32 v2, v3, 16, 1
	v_add3_u32 v28, v3, v2, s17
; %bb.62:                               ;   in Loop: Header=BB155_40 Depth=1
	s_andn2_saveexec_b64 s[0:1], s[0:1]
; %bb.63:                               ;   in Loop: Header=BB155_40 Depth=1
	v_or_b32_e32 v2, 0x10000, v3
	v_cmp_eq_u32_sdwa vcc, v3, v15 src0_sel:WORD_0 src1_sel:DWORD
	s_nop 1
	v_cndmask_b32_e32 v28, v2, v3, vcc
; %bb.64:                               ;   in Loop: Header=BB155_40 Depth=1
	s_or_b64 exec, exec, s[0:1]
	v_and_b32_e32 v2, 0x7f800000, v4
	v_cmp_ne_u32_e32 vcc, s15, v2
                                        ; implicit-def: $vgpr29
	s_and_saveexec_b64 s[0:1], vcc
	s_xor_b64 s[0:1], exec, s[0:1]
; %bb.65:                               ;   in Loop: Header=BB155_40 Depth=1
	v_bfe_u32 v2, v4, 16, 1
	v_add3_u32 v29, v4, v2, s17
; %bb.66:                               ;   in Loop: Header=BB155_40 Depth=1
	s_andn2_saveexec_b64 s[0:1], s[0:1]
; %bb.67:                               ;   in Loop: Header=BB155_40 Depth=1
	v_or_b32_e32 v2, 0x10000, v4
	v_cmp_eq_u32_sdwa vcc, v4, v15 src0_sel:WORD_0 src1_sel:DWORD
	s_nop 1
	v_cndmask_b32_e32 v29, v2, v4, vcc
; %bb.68:                               ;   in Loop: Header=BB155_40 Depth=1
	s_or_b64 exec, exec, s[0:1]
	v_and_b32_e32 v2, 0x7f800000, v5
	v_cmp_ne_u32_e32 vcc, s15, v2
                                        ; implicit-def: $vgpr37
	s_and_saveexec_b64 s[0:1], vcc
	s_xor_b64 s[0:1], exec, s[0:1]
; %bb.69:                               ;   in Loop: Header=BB155_40 Depth=1
	v_bfe_u32 v2, v5, 16, 1
	v_add3_u32 v37, v5, v2, s17
                                        ; implicit-def: $vgpr2_vgpr3_vgpr4_vgpr5
; %bb.70:                               ;   in Loop: Header=BB155_40 Depth=1
	s_andn2_saveexec_b64 s[0:1], s[0:1]
; %bb.71:                               ;   in Loop: Header=BB155_40 Depth=1
	v_or_b32_e32 v2, 0x10000, v5
	v_cmp_eq_u32_sdwa vcc, v5, v15 src0_sel:WORD_0 src1_sel:DWORD
	s_nop 1
	v_cndmask_b32_e32 v37, v2, v5, vcc
; %bb.72:                               ;   in Loop: Header=BB155_40 Depth=1
	s_or_b64 exec, exec, s[0:1]
	s_waitcnt vmcnt(0)
	v_mad_i64_i32 v[2:3], s[0:1], v30, s13, 0
	v_lshl_add_u64 v[6:7], v[2:3], 1, v[16:17]
	global_load_dwordx4 v[2:5], v[6:7], off
	v_add_u32_e32 v30, -7, v24
	v_cmp_eq_u32_e32 vcc, s14, v1
	v_add_u32_e32 v36, -6, v24
	v_add_u32_e32 v34, -5, v24
	;; [unrolled: 1-line block ×6, first 2 shown]
	s_waitcnt vmcnt(0)
	v_lshrrev_b32_e32 v9, 16, v2
	v_lshrrev_b32_e32 v42, 16, v3
	;; [unrolled: 1-line block ×4, first 2 shown]
	s_and_saveexec_b64 s[8:9], vcc
	s_cbranch_execz .LBB155_74
; %bb.73:                               ;   in Loop: Header=BB155_40 Depth=1
	v_cmp_gt_i32_e64 s[0:1], s33, v30
	s_nop 1
	v_cndmask_b32_e64 v2, 0, v2, s[0:1]
	v_cmp_gt_i32_e64 s[0:1], s33, v36
	s_nop 1
	v_cndmask_b32_e64 v9, 0, v9, s[0:1]
	;; [unrolled: 3-line block ×8, first 2 shown]
.LBB155_74:                             ;   in Loop: Header=BB155_40 Depth=1
	s_or_b64 exec, exec, s[8:9]
	v_and_b32_e32 v38, 0xffff0000, v38
	v_lshlrev_b32_e32 v2, 16, v2
	v_mul_f32_e32 v2, v38, v2
	v_and_b32_e32 v8, 0x7f800000, v2
	v_cmp_ne_u32_e64 s[0:1], s15, v8
                                        ; implicit-def: $vgpr8
	s_and_saveexec_b64 s[8:9], s[0:1]
	s_xor_b64 s[0:1], exec, s[8:9]
; %bb.75:                               ;   in Loop: Header=BB155_40 Depth=1
	v_bfe_u32 v8, v2, 16, 1
	v_add3_u32 v8, v2, v8, s17
                                        ; implicit-def: $vgpr2
; %bb.76:                               ;   in Loop: Header=BB155_40 Depth=1
	s_andn2_saveexec_b64 s[8:9], s[0:1]
; %bb.77:                               ;   in Loop: Header=BB155_40 Depth=1
	v_or_b32_e32 v8, 0x10000, v2
	v_cmp_eq_u32_sdwa s[0:1], v2, v15 src0_sel:WORD_0 src1_sel:DWORD
	s_nop 1
	v_cndmask_b32_e64 v8, v8, v2, s[0:1]
; %bb.78:                               ;   in Loop: Header=BB155_40 Depth=1
	s_or_b64 exec, exec, s[8:9]
	v_and_b32_e32 v39, 0xffff0000, v39
	v_lshlrev_b32_e32 v2, 16, v9
	v_mul_f32_e32 v2, v39, v2
	v_and_b32_e32 v9, 0x7f800000, v2
	v_cmp_ne_u32_e64 s[0:1], s15, v9
                                        ; implicit-def: $vgpr9
	s_and_saveexec_b64 s[8:9], s[0:1]
	s_xor_b64 s[0:1], exec, s[8:9]
; %bb.79:                               ;   in Loop: Header=BB155_40 Depth=1
	v_bfe_u32 v9, v2, 16, 1
	v_add3_u32 v9, v2, v9, s17
                                        ; implicit-def: $vgpr2
; %bb.80:                               ;   in Loop: Header=BB155_40 Depth=1
	s_andn2_saveexec_b64 s[8:9], s[0:1]
; %bb.81:                               ;   in Loop: Header=BB155_40 Depth=1
	v_or_b32_e32 v9, 0x10000, v2
	v_cmp_eq_u32_sdwa s[0:1], v2, v15 src0_sel:WORD_0 src1_sel:DWORD
	s_nop 1
	v_cndmask_b32_e64 v9, v9, v2, s[0:1]
; %bb.82:                               ;   in Loop: Header=BB155_40 Depth=1
	s_or_b64 exec, exec, s[8:9]
	v_and_b32_e32 v40, 0xffff0000, v14
	v_lshlrev_b32_e32 v2, 16, v3
	v_mul_f32_e32 v2, v40, v2
	v_and_b32_e32 v3, 0x7f800000, v2
	v_cmp_ne_u32_e64 s[0:1], s15, v3
                                        ; implicit-def: $vgpr14
	s_and_saveexec_b64 s[8:9], s[0:1]
	s_xor_b64 s[0:1], exec, s[8:9]
; %bb.83:                               ;   in Loop: Header=BB155_40 Depth=1
	v_bfe_u32 v3, v2, 16, 1
	v_add3_u32 v14, v2, v3, s17
                                        ; implicit-def: $vgpr2
; %bb.84:                               ;   in Loop: Header=BB155_40 Depth=1
	s_andn2_saveexec_b64 s[8:9], s[0:1]
; %bb.85:                               ;   in Loop: Header=BB155_40 Depth=1
	v_or_b32_e32 v3, 0x10000, v2
	v_cmp_eq_u32_sdwa s[0:1], v2, v15 src0_sel:WORD_0 src1_sel:DWORD
	s_nop 1
	v_cndmask_b32_e64 v14, v3, v2, s[0:1]
; %bb.86:                               ;   in Loop: Header=BB155_40 Depth=1
	s_or_b64 exec, exec, s[8:9]
	v_and_b32_e32 v41, 0xffff0000, v26
	v_lshlrev_b32_e32 v2, 16, v42
	v_mul_f32_e32 v2, v41, v2
	v_and_b32_e32 v3, 0x7f800000, v2
	v_cmp_ne_u32_e64 s[0:1], s15, v3
                                        ; implicit-def: $vgpr26
	s_and_saveexec_b64 s[8:9], s[0:1]
	s_xor_b64 s[0:1], exec, s[8:9]
; %bb.87:                               ;   in Loop: Header=BB155_40 Depth=1
	v_bfe_u32 v3, v2, 16, 1
	v_add3_u32 v26, v2, v3, s17
                                        ; implicit-def: $vgpr2
; %bb.88:                               ;   in Loop: Header=BB155_40 Depth=1
	s_andn2_saveexec_b64 s[8:9], s[0:1]
; %bb.89:                               ;   in Loop: Header=BB155_40 Depth=1
	v_or_b32_e32 v3, 0x10000, v2
	v_cmp_eq_u32_sdwa s[0:1], v2, v15 src0_sel:WORD_0 src1_sel:DWORD
	s_nop 1
	v_cndmask_b32_e64 v26, v3, v2, s[0:1]
; %bb.90:                               ;   in Loop: Header=BB155_40 Depth=1
	s_or_b64 exec, exec, s[8:9]
	v_and_b32_e32 v42, 0xffff0000, v27
	v_lshlrev_b32_e32 v2, 16, v4
	v_mul_f32_e32 v2, v42, v2
	v_and_b32_e32 v3, 0x7f800000, v2
	v_cmp_ne_u32_e64 s[0:1], s15, v3
                                        ; implicit-def: $vgpr27
	s_and_saveexec_b64 s[8:9], s[0:1]
	s_xor_b64 s[0:1], exec, s[8:9]
; %bb.91:                               ;   in Loop: Header=BB155_40 Depth=1
	v_bfe_u32 v3, v2, 16, 1
	v_add3_u32 v27, v2, v3, s17
                                        ; implicit-def: $vgpr2
; %bb.92:                               ;   in Loop: Header=BB155_40 Depth=1
	s_andn2_saveexec_b64 s[8:9], s[0:1]
; %bb.93:                               ;   in Loop: Header=BB155_40 Depth=1
	v_or_b32_e32 v3, 0x10000, v2
	v_cmp_eq_u32_sdwa s[0:1], v2, v15 src0_sel:WORD_0 src1_sel:DWORD
	s_nop 1
	v_cndmask_b32_e64 v27, v3, v2, s[0:1]
; %bb.94:                               ;   in Loop: Header=BB155_40 Depth=1
	s_or_b64 exec, exec, s[8:9]
	v_and_b32_e32 v43, 0xffff0000, v28
	v_lshlrev_b32_e32 v2, 16, v44
	v_mul_f32_e32 v2, v43, v2
	v_and_b32_e32 v3, 0x7f800000, v2
	v_cmp_ne_u32_e64 s[0:1], s15, v3
                                        ; implicit-def: $vgpr28
	s_and_saveexec_b64 s[8:9], s[0:1]
	s_xor_b64 s[0:1], exec, s[8:9]
; %bb.95:                               ;   in Loop: Header=BB155_40 Depth=1
	v_bfe_u32 v3, v2, 16, 1
	v_add3_u32 v28, v2, v3, s17
                                        ; implicit-def: $vgpr2
; %bb.96:                               ;   in Loop: Header=BB155_40 Depth=1
	s_andn2_saveexec_b64 s[8:9], s[0:1]
; %bb.97:                               ;   in Loop: Header=BB155_40 Depth=1
	v_or_b32_e32 v3, 0x10000, v2
	v_cmp_eq_u32_sdwa s[0:1], v2, v15 src0_sel:WORD_0 src1_sel:DWORD
	s_nop 1
	v_cndmask_b32_e64 v28, v3, v2, s[0:1]
; %bb.98:                               ;   in Loop: Header=BB155_40 Depth=1
	s_or_b64 exec, exec, s[8:9]
	v_and_b32_e32 v44, 0xffff0000, v29
	v_lshlrev_b32_e32 v2, 16, v5
	v_mul_f32_e32 v2, v44, v2
	v_and_b32_e32 v3, 0x7f800000, v2
	v_cmp_ne_u32_e64 s[0:1], s15, v3
                                        ; implicit-def: $vgpr29
	s_and_saveexec_b64 s[8:9], s[0:1]
	s_xor_b64 s[0:1], exec, s[8:9]
; %bb.99:                               ;   in Loop: Header=BB155_40 Depth=1
	v_bfe_u32 v3, v2, 16, 1
	v_add3_u32 v29, v2, v3, s17
                                        ; implicit-def: $vgpr2
; %bb.100:                              ;   in Loop: Header=BB155_40 Depth=1
	s_andn2_saveexec_b64 s[8:9], s[0:1]
; %bb.101:                              ;   in Loop: Header=BB155_40 Depth=1
	v_or_b32_e32 v3, 0x10000, v2
	v_cmp_eq_u32_sdwa s[0:1], v2, v15 src0_sel:WORD_0 src1_sel:DWORD
	s_nop 1
	v_cndmask_b32_e64 v29, v3, v2, s[0:1]
; %bb.102:                              ;   in Loop: Header=BB155_40 Depth=1
	s_or_b64 exec, exec, s[8:9]
	v_and_b32_e32 v45, 0xffff0000, v37
	v_lshlrev_b32_e32 v2, 16, v46
	v_mul_f32_e32 v2, v45, v2
	v_and_b32_e32 v3, 0x7f800000, v2
	v_cmp_ne_u32_e64 s[0:1], s15, v3
                                        ; implicit-def: $vgpr37
	s_and_saveexec_b64 s[8:9], s[0:1]
	s_xor_b64 s[0:1], exec, s[8:9]
; %bb.103:                              ;   in Loop: Header=BB155_40 Depth=1
	v_bfe_u32 v3, v2, 16, 1
	v_add3_u32 v37, v2, v3, s17
                                        ; implicit-def: $vgpr2
; %bb.104:                              ;   in Loop: Header=BB155_40 Depth=1
	s_andn2_saveexec_b64 s[8:9], s[0:1]
; %bb.105:                              ;   in Loop: Header=BB155_40 Depth=1
	v_or_b32_e32 v3, 0x10000, v2
	v_cmp_eq_u32_sdwa s[0:1], v2, v15 src0_sel:WORD_0 src1_sel:DWORD
	s_nop 1
	v_cndmask_b32_e64 v37, v3, v2, s[0:1]
; %bb.106:                              ;   in Loop: Header=BB155_40 Depth=1
	s_or_b64 exec, exec, s[8:9]
	global_load_dwordx4 v[2:5], v[6:7], off offset:1024
	s_waitcnt vmcnt(0)
	v_lshrrev_b32_e32 v47, 16, v2
	v_lshrrev_b32_e32 v49, 16, v3
	;; [unrolled: 1-line block ×4, first 2 shown]
	s_and_saveexec_b64 s[8:9], vcc
	s_cbranch_execz .LBB155_108
; %bb.107:                              ;   in Loop: Header=BB155_40 Depth=1
	v_cmp_gt_i32_e64 s[0:1], s33, v30
	s_nop 1
	v_cndmask_b32_e64 v2, 0, v2, s[0:1]
	v_cmp_gt_i32_e64 s[0:1], s33, v36
	s_nop 1
	v_cndmask_b32_e64 v47, 0, v47, s[0:1]
	;; [unrolled: 3-line block ×8, first 2 shown]
.LBB155_108:                            ;   in Loop: Header=BB155_40 Depth=1
	s_or_b64 exec, exec, s[8:9]
	v_lshlrev_b32_e32 v2, 16, v2
	v_mul_f32_e32 v2, v38, v2
	v_and_b32_e32 v46, 0x7f800000, v2
	v_cmp_ne_u32_e64 s[0:1], s15, v46
                                        ; implicit-def: $vgpr46
	s_and_saveexec_b64 s[8:9], s[0:1]
	s_xor_b64 s[0:1], exec, s[8:9]
; %bb.109:                              ;   in Loop: Header=BB155_40 Depth=1
	v_bfe_u32 v46, v2, 16, 1
	v_add3_u32 v46, v2, v46, s17
                                        ; implicit-def: $vgpr2
; %bb.110:                              ;   in Loop: Header=BB155_40 Depth=1
	s_andn2_saveexec_b64 s[8:9], s[0:1]
; %bb.111:                              ;   in Loop: Header=BB155_40 Depth=1
	v_or_b32_e32 v46, 0x10000, v2
	v_cmp_eq_u32_sdwa s[0:1], v2, v15 src0_sel:WORD_0 src1_sel:DWORD
	s_nop 1
	v_cndmask_b32_e64 v46, v46, v2, s[0:1]
; %bb.112:                              ;   in Loop: Header=BB155_40 Depth=1
	s_or_b64 exec, exec, s[8:9]
	v_lshlrev_b32_e32 v2, 16, v47
	v_mul_f32_e32 v2, v39, v2
	v_and_b32_e32 v47, 0x7f800000, v2
	v_cmp_ne_u32_e64 s[0:1], s15, v47
                                        ; implicit-def: $vgpr47
	s_and_saveexec_b64 s[8:9], s[0:1]
	s_xor_b64 s[0:1], exec, s[8:9]
; %bb.113:                              ;   in Loop: Header=BB155_40 Depth=1
	v_bfe_u32 v47, v2, 16, 1
	v_add3_u32 v47, v2, v47, s17
                                        ; implicit-def: $vgpr2
; %bb.114:                              ;   in Loop: Header=BB155_40 Depth=1
	s_andn2_saveexec_b64 s[8:9], s[0:1]
; %bb.115:                              ;   in Loop: Header=BB155_40 Depth=1
	v_or_b32_e32 v47, 0x10000, v2
	v_cmp_eq_u32_sdwa s[0:1], v2, v15 src0_sel:WORD_0 src1_sel:DWORD
	s_nop 1
	v_cndmask_b32_e64 v47, v47, v2, s[0:1]
; %bb.116:                              ;   in Loop: Header=BB155_40 Depth=1
	s_or_b64 exec, exec, s[8:9]
	v_lshlrev_b32_e32 v2, 16, v3
	v_mul_f32_e32 v2, v40, v2
	v_and_b32_e32 v3, 0x7f800000, v2
	v_cmp_ne_u32_e64 s[0:1], s15, v3
                                        ; implicit-def: $vgpr48
	s_and_saveexec_b64 s[8:9], s[0:1]
	s_xor_b64 s[0:1], exec, s[8:9]
; %bb.117:                              ;   in Loop: Header=BB155_40 Depth=1
	v_bfe_u32 v3, v2, 16, 1
	v_add3_u32 v48, v2, v3, s17
                                        ; implicit-def: $vgpr2
; %bb.118:                              ;   in Loop: Header=BB155_40 Depth=1
	s_andn2_saveexec_b64 s[8:9], s[0:1]
; %bb.119:                              ;   in Loop: Header=BB155_40 Depth=1
	v_or_b32_e32 v3, 0x10000, v2
	v_cmp_eq_u32_sdwa s[0:1], v2, v15 src0_sel:WORD_0 src1_sel:DWORD
	s_nop 1
	v_cndmask_b32_e64 v48, v3, v2, s[0:1]
; %bb.120:                              ;   in Loop: Header=BB155_40 Depth=1
	s_or_b64 exec, exec, s[8:9]
	v_lshlrev_b32_e32 v2, 16, v49
	v_mul_f32_e32 v2, v41, v2
	v_and_b32_e32 v3, 0x7f800000, v2
	v_cmp_ne_u32_e64 s[0:1], s15, v3
                                        ; implicit-def: $vgpr49
	s_and_saveexec_b64 s[8:9], s[0:1]
	s_xor_b64 s[0:1], exec, s[8:9]
; %bb.121:                              ;   in Loop: Header=BB155_40 Depth=1
	v_bfe_u32 v3, v2, 16, 1
	v_add3_u32 v49, v2, v3, s17
                                        ; implicit-def: $vgpr2
; %bb.122:                              ;   in Loop: Header=BB155_40 Depth=1
	s_andn2_saveexec_b64 s[8:9], s[0:1]
; %bb.123:                              ;   in Loop: Header=BB155_40 Depth=1
	v_or_b32_e32 v3, 0x10000, v2
	v_cmp_eq_u32_sdwa s[0:1], v2, v15 src0_sel:WORD_0 src1_sel:DWORD
	s_nop 1
	v_cndmask_b32_e64 v49, v3, v2, s[0:1]
; %bb.124:                              ;   in Loop: Header=BB155_40 Depth=1
	s_or_b64 exec, exec, s[8:9]
	v_lshlrev_b32_e32 v2, 16, v4
	v_mul_f32_e32 v2, v42, v2
	v_and_b32_e32 v3, 0x7f800000, v2
	v_cmp_ne_u32_e64 s[0:1], s15, v3
                                        ; implicit-def: $vgpr50
	s_and_saveexec_b64 s[8:9], s[0:1]
	s_xor_b64 s[0:1], exec, s[8:9]
; %bb.125:                              ;   in Loop: Header=BB155_40 Depth=1
	v_bfe_u32 v3, v2, 16, 1
	v_add3_u32 v50, v2, v3, s17
                                        ; implicit-def: $vgpr2
; %bb.126:                              ;   in Loop: Header=BB155_40 Depth=1
	s_andn2_saveexec_b64 s[8:9], s[0:1]
; %bb.127:                              ;   in Loop: Header=BB155_40 Depth=1
	v_or_b32_e32 v3, 0x10000, v2
	v_cmp_eq_u32_sdwa s[0:1], v2, v15 src0_sel:WORD_0 src1_sel:DWORD
	s_nop 1
	v_cndmask_b32_e64 v50, v3, v2, s[0:1]
; %bb.128:                              ;   in Loop: Header=BB155_40 Depth=1
	s_or_b64 exec, exec, s[8:9]
	v_lshlrev_b32_e32 v2, 16, v51
	v_mul_f32_e32 v2, v43, v2
	v_and_b32_e32 v3, 0x7f800000, v2
	v_cmp_ne_u32_e64 s[0:1], s15, v3
                                        ; implicit-def: $vgpr51
	s_and_saveexec_b64 s[8:9], s[0:1]
	s_xor_b64 s[0:1], exec, s[8:9]
; %bb.129:                              ;   in Loop: Header=BB155_40 Depth=1
	v_bfe_u32 v3, v2, 16, 1
	v_add3_u32 v51, v2, v3, s17
                                        ; implicit-def: $vgpr2
; %bb.130:                              ;   in Loop: Header=BB155_40 Depth=1
	s_andn2_saveexec_b64 s[8:9], s[0:1]
; %bb.131:                              ;   in Loop: Header=BB155_40 Depth=1
	v_or_b32_e32 v3, 0x10000, v2
	v_cmp_eq_u32_sdwa s[0:1], v2, v15 src0_sel:WORD_0 src1_sel:DWORD
	s_nop 1
	v_cndmask_b32_e64 v51, v3, v2, s[0:1]
; %bb.132:                              ;   in Loop: Header=BB155_40 Depth=1
	s_or_b64 exec, exec, s[8:9]
	v_lshlrev_b32_e32 v2, 16, v5
	v_mul_f32_e32 v2, v44, v2
	v_and_b32_e32 v3, 0x7f800000, v2
	v_cmp_ne_u32_e64 s[0:1], s15, v3
                                        ; implicit-def: $vgpr52
	s_and_saveexec_b64 s[8:9], s[0:1]
	s_xor_b64 s[0:1], exec, s[8:9]
; %bb.133:                              ;   in Loop: Header=BB155_40 Depth=1
	v_bfe_u32 v3, v2, 16, 1
	v_add3_u32 v52, v2, v3, s17
                                        ; implicit-def: $vgpr2
; %bb.134:                              ;   in Loop: Header=BB155_40 Depth=1
	s_andn2_saveexec_b64 s[8:9], s[0:1]
; %bb.135:                              ;   in Loop: Header=BB155_40 Depth=1
	v_or_b32_e32 v3, 0x10000, v2
	v_cmp_eq_u32_sdwa s[0:1], v2, v15 src0_sel:WORD_0 src1_sel:DWORD
	s_nop 1
	v_cndmask_b32_e64 v52, v3, v2, s[0:1]
; %bb.136:                              ;   in Loop: Header=BB155_40 Depth=1
	s_or_b64 exec, exec, s[8:9]
	v_lshlrev_b32_e32 v2, 16, v53
	v_mul_f32_e32 v2, v45, v2
	v_and_b32_e32 v3, 0x7f800000, v2
	v_cmp_ne_u32_e64 s[0:1], s15, v3
                                        ; implicit-def: $vgpr53
	s_and_saveexec_b64 s[8:9], s[0:1]
	s_xor_b64 s[0:1], exec, s[8:9]
; %bb.137:                              ;   in Loop: Header=BB155_40 Depth=1
	v_bfe_u32 v3, v2, 16, 1
	v_add3_u32 v53, v2, v3, s17
                                        ; implicit-def: $vgpr2
; %bb.138:                              ;   in Loop: Header=BB155_40 Depth=1
	s_andn2_saveexec_b64 s[8:9], s[0:1]
; %bb.139:                              ;   in Loop: Header=BB155_40 Depth=1
	v_or_b32_e32 v3, 0x10000, v2
	v_cmp_eq_u32_sdwa s[0:1], v2, v15 src0_sel:WORD_0 src1_sel:DWORD
	s_nop 1
	v_cndmask_b32_e64 v53, v3, v2, s[0:1]
; %bb.140:                              ;   in Loop: Header=BB155_40 Depth=1
	s_or_b64 exec, exec, s[8:9]
	global_load_dwordx4 v[2:5], v[6:7], off offset:2048
	s_waitcnt vmcnt(0)
	v_lshrrev_b32_e32 v55, 16, v2
	v_lshrrev_b32_e32 v57, 16, v3
	;; [unrolled: 1-line block ×4, first 2 shown]
	s_and_saveexec_b64 s[8:9], vcc
	s_cbranch_execz .LBB155_142
; %bb.141:                              ;   in Loop: Header=BB155_40 Depth=1
	v_cmp_gt_i32_e64 s[0:1], s33, v30
	s_nop 1
	v_cndmask_b32_e64 v2, 0, v2, s[0:1]
	v_cmp_gt_i32_e64 s[0:1], s33, v36
	s_nop 1
	v_cndmask_b32_e64 v55, 0, v55, s[0:1]
	;; [unrolled: 3-line block ×8, first 2 shown]
.LBB155_142:                            ;   in Loop: Header=BB155_40 Depth=1
	s_or_b64 exec, exec, s[8:9]
	v_lshlrev_b32_e32 v2, 16, v2
	v_mul_f32_e32 v2, v38, v2
	v_and_b32_e32 v54, 0x7f800000, v2
	v_cmp_ne_u32_e64 s[0:1], s15, v54
                                        ; implicit-def: $vgpr54
	s_and_saveexec_b64 s[8:9], s[0:1]
	s_xor_b64 s[0:1], exec, s[8:9]
; %bb.143:                              ;   in Loop: Header=BB155_40 Depth=1
	v_bfe_u32 v54, v2, 16, 1
	v_add3_u32 v54, v2, v54, s17
                                        ; implicit-def: $vgpr2
; %bb.144:                              ;   in Loop: Header=BB155_40 Depth=1
	s_andn2_saveexec_b64 s[8:9], s[0:1]
; %bb.145:                              ;   in Loop: Header=BB155_40 Depth=1
	v_or_b32_e32 v54, 0x10000, v2
	v_cmp_eq_u32_sdwa s[0:1], v2, v15 src0_sel:WORD_0 src1_sel:DWORD
	s_nop 1
	v_cndmask_b32_e64 v54, v54, v2, s[0:1]
; %bb.146:                              ;   in Loop: Header=BB155_40 Depth=1
	s_or_b64 exec, exec, s[8:9]
	v_lshlrev_b32_e32 v2, 16, v55
	v_mul_f32_e32 v2, v39, v2
	v_and_b32_e32 v55, 0x7f800000, v2
	v_cmp_ne_u32_e64 s[0:1], s15, v55
                                        ; implicit-def: $vgpr55
	s_and_saveexec_b64 s[8:9], s[0:1]
	s_xor_b64 s[0:1], exec, s[8:9]
; %bb.147:                              ;   in Loop: Header=BB155_40 Depth=1
	v_bfe_u32 v55, v2, 16, 1
	v_add3_u32 v55, v2, v55, s17
                                        ; implicit-def: $vgpr2
; %bb.148:                              ;   in Loop: Header=BB155_40 Depth=1
	s_andn2_saveexec_b64 s[8:9], s[0:1]
; %bb.149:                              ;   in Loop: Header=BB155_40 Depth=1
	v_or_b32_e32 v55, 0x10000, v2
	v_cmp_eq_u32_sdwa s[0:1], v2, v15 src0_sel:WORD_0 src1_sel:DWORD
	s_nop 1
	v_cndmask_b32_e64 v55, v55, v2, s[0:1]
; %bb.150:                              ;   in Loop: Header=BB155_40 Depth=1
	s_or_b64 exec, exec, s[8:9]
	v_lshlrev_b32_e32 v2, 16, v3
	v_mul_f32_e32 v2, v40, v2
	v_and_b32_e32 v3, 0x7f800000, v2
	v_cmp_ne_u32_e64 s[0:1], s15, v3
                                        ; implicit-def: $vgpr56
	s_and_saveexec_b64 s[8:9], s[0:1]
	s_xor_b64 s[0:1], exec, s[8:9]
; %bb.151:                              ;   in Loop: Header=BB155_40 Depth=1
	v_bfe_u32 v3, v2, 16, 1
	v_add3_u32 v56, v2, v3, s17
                                        ; implicit-def: $vgpr2
; %bb.152:                              ;   in Loop: Header=BB155_40 Depth=1
	s_andn2_saveexec_b64 s[8:9], s[0:1]
; %bb.153:                              ;   in Loop: Header=BB155_40 Depth=1
	v_or_b32_e32 v3, 0x10000, v2
	v_cmp_eq_u32_sdwa s[0:1], v2, v15 src0_sel:WORD_0 src1_sel:DWORD
	s_nop 1
	v_cndmask_b32_e64 v56, v3, v2, s[0:1]
; %bb.154:                              ;   in Loop: Header=BB155_40 Depth=1
	s_or_b64 exec, exec, s[8:9]
	v_lshlrev_b32_e32 v2, 16, v57
	v_mul_f32_e32 v2, v41, v2
	v_and_b32_e32 v3, 0x7f800000, v2
	v_cmp_ne_u32_e64 s[0:1], s15, v3
                                        ; implicit-def: $vgpr57
	s_and_saveexec_b64 s[8:9], s[0:1]
	s_xor_b64 s[0:1], exec, s[8:9]
; %bb.155:                              ;   in Loop: Header=BB155_40 Depth=1
	v_bfe_u32 v3, v2, 16, 1
	v_add3_u32 v57, v2, v3, s17
                                        ; implicit-def: $vgpr2
; %bb.156:                              ;   in Loop: Header=BB155_40 Depth=1
	s_andn2_saveexec_b64 s[8:9], s[0:1]
; %bb.157:                              ;   in Loop: Header=BB155_40 Depth=1
	v_or_b32_e32 v3, 0x10000, v2
	v_cmp_eq_u32_sdwa s[0:1], v2, v15 src0_sel:WORD_0 src1_sel:DWORD
	s_nop 1
	v_cndmask_b32_e64 v57, v3, v2, s[0:1]
; %bb.158:                              ;   in Loop: Header=BB155_40 Depth=1
	s_or_b64 exec, exec, s[8:9]
	v_lshlrev_b32_e32 v2, 16, v4
	v_mul_f32_e32 v2, v42, v2
	v_and_b32_e32 v3, 0x7f800000, v2
	v_cmp_ne_u32_e64 s[0:1], s15, v3
                                        ; implicit-def: $vgpr58
	s_and_saveexec_b64 s[8:9], s[0:1]
	s_xor_b64 s[0:1], exec, s[8:9]
; %bb.159:                              ;   in Loop: Header=BB155_40 Depth=1
	v_bfe_u32 v3, v2, 16, 1
	v_add3_u32 v58, v2, v3, s17
                                        ; implicit-def: $vgpr2
; %bb.160:                              ;   in Loop: Header=BB155_40 Depth=1
	s_andn2_saveexec_b64 s[8:9], s[0:1]
; %bb.161:                              ;   in Loop: Header=BB155_40 Depth=1
	v_or_b32_e32 v3, 0x10000, v2
	v_cmp_eq_u32_sdwa s[0:1], v2, v15 src0_sel:WORD_0 src1_sel:DWORD
	s_nop 1
	v_cndmask_b32_e64 v58, v3, v2, s[0:1]
; %bb.162:                              ;   in Loop: Header=BB155_40 Depth=1
	s_or_b64 exec, exec, s[8:9]
	v_lshlrev_b32_e32 v2, 16, v59
	v_mul_f32_e32 v2, v43, v2
	v_and_b32_e32 v3, 0x7f800000, v2
	v_cmp_ne_u32_e64 s[0:1], s15, v3
                                        ; implicit-def: $vgpr59
	s_and_saveexec_b64 s[8:9], s[0:1]
	s_xor_b64 s[0:1], exec, s[8:9]
; %bb.163:                              ;   in Loop: Header=BB155_40 Depth=1
	v_bfe_u32 v3, v2, 16, 1
	v_add3_u32 v59, v2, v3, s17
                                        ; implicit-def: $vgpr2
; %bb.164:                              ;   in Loop: Header=BB155_40 Depth=1
	s_andn2_saveexec_b64 s[8:9], s[0:1]
; %bb.165:                              ;   in Loop: Header=BB155_40 Depth=1
	v_or_b32_e32 v3, 0x10000, v2
	v_cmp_eq_u32_sdwa s[0:1], v2, v15 src0_sel:WORD_0 src1_sel:DWORD
	s_nop 1
	v_cndmask_b32_e64 v59, v3, v2, s[0:1]
; %bb.166:                              ;   in Loop: Header=BB155_40 Depth=1
	s_or_b64 exec, exec, s[8:9]
	v_lshlrev_b32_e32 v2, 16, v5
	v_mul_f32_e32 v2, v44, v2
	v_and_b32_e32 v3, 0x7f800000, v2
	v_cmp_ne_u32_e64 s[0:1], s15, v3
                                        ; implicit-def: $vgpr60
	s_and_saveexec_b64 s[8:9], s[0:1]
	s_xor_b64 s[0:1], exec, s[8:9]
; %bb.167:                              ;   in Loop: Header=BB155_40 Depth=1
	v_bfe_u32 v3, v2, 16, 1
	v_add3_u32 v60, v2, v3, s17
                                        ; implicit-def: $vgpr2
; %bb.168:                              ;   in Loop: Header=BB155_40 Depth=1
	s_andn2_saveexec_b64 s[8:9], s[0:1]
; %bb.169:                              ;   in Loop: Header=BB155_40 Depth=1
	v_or_b32_e32 v3, 0x10000, v2
	v_cmp_eq_u32_sdwa s[0:1], v2, v15 src0_sel:WORD_0 src1_sel:DWORD
	s_nop 1
	v_cndmask_b32_e64 v60, v3, v2, s[0:1]
; %bb.170:                              ;   in Loop: Header=BB155_40 Depth=1
	s_or_b64 exec, exec, s[8:9]
	v_lshlrev_b32_e32 v2, 16, v61
	v_mul_f32_e32 v2, v45, v2
	v_and_b32_e32 v3, 0x7f800000, v2
	v_cmp_ne_u32_e64 s[0:1], s15, v3
                                        ; implicit-def: $vgpr61
	s_and_saveexec_b64 s[8:9], s[0:1]
	s_xor_b64 s[0:1], exec, s[8:9]
; %bb.171:                              ;   in Loop: Header=BB155_40 Depth=1
	v_bfe_u32 v3, v2, 16, 1
	v_add3_u32 v61, v2, v3, s17
                                        ; implicit-def: $vgpr2
; %bb.172:                              ;   in Loop: Header=BB155_40 Depth=1
	s_andn2_saveexec_b64 s[8:9], s[0:1]
; %bb.173:                              ;   in Loop: Header=BB155_40 Depth=1
	v_or_b32_e32 v3, 0x10000, v2
	v_cmp_eq_u32_sdwa s[0:1], v2, v15 src0_sel:WORD_0 src1_sel:DWORD
	s_nop 1
	v_cndmask_b32_e64 v61, v3, v2, s[0:1]
; %bb.174:                              ;   in Loop: Header=BB155_40 Depth=1
	s_or_b64 exec, exec, s[8:9]
	global_load_dwordx4 v[2:5], v[6:7], off offset:3072
	s_waitcnt vmcnt(0)
	v_lshrrev_b32_e32 v6, 16, v2
	v_lshrrev_b32_e32 v63, 16, v3
	;; [unrolled: 1-line block ×4, first 2 shown]
	s_and_saveexec_b64 s[0:1], vcc
	s_cbranch_execz .LBB155_176
; %bb.175:                              ;   in Loop: Header=BB155_40 Depth=1
	v_cmp_gt_i32_e32 vcc, s33, v30
	s_nop 1
	v_cndmask_b32_e32 v2, 0, v2, vcc
	v_cmp_gt_i32_e32 vcc, s33, v36
	s_nop 1
	v_cndmask_b32_e32 v6, 0, v6, vcc
	;; [unrolled: 3-line block ×8, first 2 shown]
.LBB155_176:                            ;   in Loop: Header=BB155_40 Depth=1
	s_or_b64 exec, exec, s[0:1]
	v_lshlrev_b32_e32 v2, 16, v2
	v_mul_f32_e32 v30, v38, v2
	v_and_b32_e32 v2, 0x7f800000, v30
	v_cmp_ne_u32_e32 vcc, s15, v2
                                        ; implicit-def: $vgpr2
	s_and_saveexec_b64 s[0:1], vcc
	s_xor_b64 s[0:1], exec, s[0:1]
; %bb.177:                              ;   in Loop: Header=BB155_40 Depth=1
	v_bfe_u32 v2, v30, 16, 1
	v_add3_u32 v2, v30, v2, s17
                                        ; implicit-def: $vgpr30
; %bb.178:                              ;   in Loop: Header=BB155_40 Depth=1
	s_andn2_saveexec_b64 s[0:1], s[0:1]
; %bb.179:                              ;   in Loop: Header=BB155_40 Depth=1
	v_or_b32_e32 v2, 0x10000, v30
	v_cmp_eq_u32_sdwa vcc, v30, v15 src0_sel:WORD_0 src1_sel:DWORD
	s_nop 1
	v_cndmask_b32_e32 v2, v2, v30, vcc
; %bb.180:                              ;   in Loop: Header=BB155_40 Depth=1
	s_or_b64 exec, exec, s[0:1]
	v_lshlrev_b32_e32 v6, 16, v6
	v_mul_f32_e32 v30, v39, v6
	v_and_b32_e32 v6, 0x7f800000, v30
	v_cmp_ne_u32_e32 vcc, s15, v6
                                        ; implicit-def: $vgpr6
	s_and_saveexec_b64 s[0:1], vcc
	s_xor_b64 s[0:1], exec, s[0:1]
; %bb.181:                              ;   in Loop: Header=BB155_40 Depth=1
	v_bfe_u32 v6, v30, 16, 1
	v_add3_u32 v6, v30, v6, s17
                                        ; implicit-def: $vgpr30
; %bb.182:                              ;   in Loop: Header=BB155_40 Depth=1
	s_andn2_saveexec_b64 s[0:1], s[0:1]
; %bb.183:                              ;   in Loop: Header=BB155_40 Depth=1
	v_or_b32_e32 v6, 0x10000, v30
	v_cmp_eq_u32_sdwa vcc, v30, v15 src0_sel:WORD_0 src1_sel:DWORD
	s_nop 1
	v_cndmask_b32_e32 v6, v6, v30, vcc
; %bb.184:                              ;   in Loop: Header=BB155_40 Depth=1
	s_or_b64 exec, exec, s[0:1]
	v_lshlrev_b32_e32 v3, 16, v3
	v_mul_f32_e32 v30, v40, v3
	v_and_b32_e32 v3, 0x7f800000, v30
	v_cmp_ne_u32_e32 vcc, s15, v3
                                        ; implicit-def: $vgpr3
	s_and_saveexec_b64 s[0:1], vcc
	s_xor_b64 s[0:1], exec, s[0:1]
; %bb.185:                              ;   in Loop: Header=BB155_40 Depth=1
	v_bfe_u32 v3, v30, 16, 1
	v_add3_u32 v3, v30, v3, s17
                                        ; implicit-def: $vgpr30
; %bb.186:                              ;   in Loop: Header=BB155_40 Depth=1
	s_andn2_saveexec_b64 s[0:1], s[0:1]
; %bb.187:                              ;   in Loop: Header=BB155_40 Depth=1
	v_or_b32_e32 v3, 0x10000, v30
	v_cmp_eq_u32_sdwa vcc, v30, v15 src0_sel:WORD_0 src1_sel:DWORD
	s_nop 1
	v_cndmask_b32_e32 v3, v3, v30, vcc
; %bb.188:                              ;   in Loop: Header=BB155_40 Depth=1
	s_or_b64 exec, exec, s[0:1]
	v_lshlrev_b32_e32 v30, 16, v63
	v_mul_f32_e32 v31, v41, v30
	v_and_b32_e32 v30, 0x7f800000, v31
	v_cmp_ne_u32_e32 vcc, s15, v30
                                        ; implicit-def: $vgpr30
	s_and_saveexec_b64 s[0:1], vcc
	s_xor_b64 s[0:1], exec, s[0:1]
; %bb.189:                              ;   in Loop: Header=BB155_40 Depth=1
	v_bfe_u32 v30, v31, 16, 1
	v_add3_u32 v30, v31, v30, s17
                                        ; implicit-def: $vgpr31
; %bb.190:                              ;   in Loop: Header=BB155_40 Depth=1
	s_andn2_saveexec_b64 s[0:1], s[0:1]
; %bb.191:                              ;   in Loop: Header=BB155_40 Depth=1
	v_or_b32_e32 v30, 0x10000, v31
	v_cmp_eq_u32_sdwa vcc, v31, v15 src0_sel:WORD_0 src1_sel:DWORD
	s_nop 1
	v_cndmask_b32_e32 v30, v30, v31, vcc
; %bb.192:                              ;   in Loop: Header=BB155_40 Depth=1
	s_or_b64 exec, exec, s[0:1]
	v_lshlrev_b32_e32 v4, 16, v4
	v_mul_f32_e32 v31, v42, v4
	v_and_b32_e32 v4, 0x7f800000, v31
	v_cmp_ne_u32_e32 vcc, s15, v4
                                        ; implicit-def: $vgpr4
	s_and_saveexec_b64 s[0:1], vcc
	s_xor_b64 s[0:1], exec, s[0:1]
; %bb.193:                              ;   in Loop: Header=BB155_40 Depth=1
	v_bfe_u32 v4, v31, 16, 1
	v_add3_u32 v4, v31, v4, s17
                                        ; implicit-def: $vgpr31
; %bb.194:                              ;   in Loop: Header=BB155_40 Depth=1
	s_andn2_saveexec_b64 s[0:1], s[0:1]
; %bb.195:                              ;   in Loop: Header=BB155_40 Depth=1
	v_or_b32_e32 v4, 0x10000, v31
	v_cmp_eq_u32_sdwa vcc, v31, v15 src0_sel:WORD_0 src1_sel:DWORD
	s_nop 1
	v_cndmask_b32_e32 v4, v4, v31, vcc
; %bb.196:                              ;   in Loop: Header=BB155_40 Depth=1
	s_or_b64 exec, exec, s[0:1]
	v_lshlrev_b32_e32 v31, 16, v62
	v_mul_f32_e32 v32, v43, v31
	v_and_b32_e32 v31, 0x7f800000, v32
	v_cmp_ne_u32_e32 vcc, s15, v31
                                        ; implicit-def: $vgpr31
	s_and_saveexec_b64 s[0:1], vcc
	s_xor_b64 s[0:1], exec, s[0:1]
; %bb.197:                              ;   in Loop: Header=BB155_40 Depth=1
	v_bfe_u32 v31, v32, 16, 1
	v_add3_u32 v31, v32, v31, s17
                                        ; implicit-def: $vgpr32
; %bb.198:                              ;   in Loop: Header=BB155_40 Depth=1
	s_andn2_saveexec_b64 s[0:1], s[0:1]
; %bb.199:                              ;   in Loop: Header=BB155_40 Depth=1
	v_or_b32_e32 v31, 0x10000, v32
	v_cmp_eq_u32_sdwa vcc, v32, v15 src0_sel:WORD_0 src1_sel:DWORD
	s_nop 1
	v_cndmask_b32_e32 v31, v31, v32, vcc
; %bb.200:                              ;   in Loop: Header=BB155_40 Depth=1
	s_or_b64 exec, exec, s[0:1]
	v_lshlrev_b32_e32 v5, 16, v5
	v_mul_f32_e32 v32, v44, v5
	v_and_b32_e32 v5, 0x7f800000, v32
	v_cmp_ne_u32_e32 vcc, s15, v5
                                        ; implicit-def: $vgpr5
	s_and_saveexec_b64 s[0:1], vcc
	s_xor_b64 s[0:1], exec, s[0:1]
; %bb.201:                              ;   in Loop: Header=BB155_40 Depth=1
	v_bfe_u32 v5, v32, 16, 1
	v_add3_u32 v5, v32, v5, s17
                                        ; implicit-def: $vgpr32
; %bb.202:                              ;   in Loop: Header=BB155_40 Depth=1
	s_andn2_saveexec_b64 s[0:1], s[0:1]
; %bb.203:                              ;   in Loop: Header=BB155_40 Depth=1
	v_or_b32_e32 v5, 0x10000, v32
	v_cmp_eq_u32_sdwa vcc, v32, v15 src0_sel:WORD_0 src1_sel:DWORD
	s_nop 1
	v_cndmask_b32_e32 v5, v5, v32, vcc
; %bb.204:                              ;   in Loop: Header=BB155_40 Depth=1
	s_or_b64 exec, exec, s[0:1]
	v_lshlrev_b32_e32 v7, 16, v7
	v_mul_f32_e32 v32, v45, v7
	v_and_b32_e32 v7, 0x7f800000, v32
	v_cmp_ne_u32_e32 vcc, s15, v7
                                        ; implicit-def: $vgpr7
	s_and_saveexec_b64 s[0:1], vcc
	s_xor_b64 s[0:1], exec, s[0:1]
; %bb.205:                              ;   in Loop: Header=BB155_40 Depth=1
	v_bfe_u32 v7, v32, 16, 1
	v_add3_u32 v7, v32, v7, s17
                                        ; implicit-def: $vgpr32
; %bb.206:                              ;   in Loop: Header=BB155_40 Depth=1
	s_andn2_saveexec_b64 s[0:1], s[0:1]
	s_cbranch_execz .LBB155_39
; %bb.207:                              ;   in Loop: Header=BB155_40 Depth=1
	v_or_b32_e32 v7, 0x10000, v32
	v_cmp_eq_u32_sdwa vcc, v32, v15 src0_sel:WORD_0 src1_sel:DWORD
	s_nop 1
	v_cndmask_b32_e32 v7, v7, v32, vcc
	s_branch .LBB155_39
.LBB155_208:
	s_or_b64 exec, exec, s[6:7]
.LBB155_209:
	s_or_b64 exec, exec, s[2:3]
	ds_bpermute_b32 v2, v21, v12
	ds_bpermute_b32 v3, v21, v13
	;; [unrolled: 1-line block ×4, first 2 shown]
	v_and_b32_e32 v1, 0x3c3, v0
	v_cmp_eq_u32_e32 vcc, 64, v1
	s_waitcnt lgkmcnt(2)
	v_pk_add_f32 v[2:3], v[12:13], v[2:3]
	ds_bpermute_b32 v6, v22, v2
	s_waitcnt lgkmcnt(1)
	v_pk_add_f32 v[8:9], v[10:11], v[4:5]
	ds_bpermute_b32 v7, v22, v3
	ds_bpermute_b32 v10, v22, v8
	ds_bpermute_b32 v11, v22, v9
	s_waitcnt lgkmcnt(0)
	s_barrier
	v_pk_add_f32 v[4:5], v[2:3], v[6:7]
	v_pk_add_f32 v[2:3], v[8:9], v[10:11]
	s_and_saveexec_b64 s[0:1], vcc
	s_cbranch_execz .LBB155_211
; %bb.210:
	v_add_u32_e32 v1, 0x90, v20
	ds_write2_b32 v1, v4, v5 offset1:16
	ds_write2_b32 v1, v2, v3 offset0:32 offset1:48
.LBB155_211:
	s_or_b64 exec, exec, s[0:1]
	v_cmp_gt_u32_e32 vcc, 64, v0
	s_waitcnt lgkmcnt(0)
	s_barrier
	s_and_saveexec_b64 s[2:3], vcc
	s_cbranch_execz .LBB155_218
; %bb.212:
	v_cmp_eq_u32_e64 s[0:1], 0, v23
	v_lshrrev_b32_e32 v1, 2, v0
	s_and_saveexec_b64 s[6:7], s[0:1]
	s_cbranch_execnz .LBB155_238
; %bb.213:
	s_or_b64 exec, exec, s[6:7]
	s_and_saveexec_b64 s[6:7], s[0:1]
	s_cbranch_execnz .LBB155_239
.LBB155_214:
	s_or_b64 exec, exec, s[6:7]
	s_and_saveexec_b64 s[6:7], s[0:1]
	s_cbranch_execnz .LBB155_240
.LBB155_215:
	s_or_b64 exec, exec, s[6:7]
	s_and_saveexec_b64 s[6:7], s[0:1]
	s_cbranch_execz .LBB155_217
.LBB155_216:
	v_mov_b32_e32 v6, 0x90
	v_lshl_add_u32 v1, v1, 2, v6
	ds_read_b32 v1, v1 offset:192
	s_waitcnt lgkmcnt(0)
	v_add_f32_e32 v3, v3, v1
.LBB155_217:
	s_or_b64 exec, exec, s[6:7]
.LBB155_218:
	s_or_b64 exec, exec, s[2:3]
	s_barrier
	s_and_saveexec_b64 s[0:1], vcc
	s_cbranch_execz .LBB155_237
; %bb.219:
	v_cmp_eq_u32_e32 vcc, 0, v23
	s_and_b64 exec, exec, vcc
	s_cbranch_execz .LBB155_237
; %bb.220:
	s_mov_b32 s0, 0x7f800000
	v_and_b32_e32 v1, 0x7f800000, v4
	v_cmp_ne_u32_e32 vcc, s0, v1
                                        ; implicit-def: $vgpr6
	s_and_saveexec_b64 s[0:1], vcc
	s_xor_b64 s[0:1], exec, s[0:1]
; %bb.221:
	v_bfe_u32 v1, v4, 16, 1
	s_movk_i32 s2, 0x7fff
	v_add3_u32 v6, v4, v1, s2
; %bb.222:
	s_andn2_saveexec_b64 s[0:1], s[0:1]
; %bb.223:
	v_mov_b32_e32 v1, 0
	v_or_b32_e32 v6, 0x10000, v4
	v_cmp_eq_u32_sdwa vcc, v4, v1 src0_sel:WORD_0 src1_sel:DWORD
	s_nop 1
	v_cndmask_b32_e32 v6, v6, v4, vcc
; %bb.224:
	s_or_b64 exec, exec, s[0:1]
	s_mul_i32 s0, s10, s11
	s_mul_i32 s0, s0, s5
	s_lshl_b32 s0, s0, 6
	s_ashr_i32 s1, s0, 31
	s_lshl_b64 s[0:1], s[0:1], 1
	s_add_u32 s2, s18, s0
	s_mul_i32 s0, s11, s16
	s_addc_u32 s3, s19, s1
	s_ashr_i32 s1, s0, 31
	s_lshl_b64 s[0:1], s[0:1], 1
	s_add_u32 s2, s2, s0
	s_addc_u32 s3, s3, s1
	s_lshl_b32 s0, s4, 6
	s_ashr_i32 s1, s0, 31
	s_lshl_b64 s[0:1], s[0:1], 1
	s_add_u32 s0, s2, s0
	v_lshrrev_b32_e32 v0, 1, v0
	s_mov_b32 s2, 0x7f800000
	v_and_b32_e32 v4, 0x7f800000, v5
	s_addc_u32 s1, s3, s1
	v_and_b32_e32 v0, 0x1fe, v0
	v_mov_b32_e32 v1, 0
	v_cmp_ne_u32_e32 vcc, s2, v4
	global_store_short_d16_hi v0, v6, s[0:1]
                                        ; implicit-def: $vgpr4
	s_and_saveexec_b64 s[2:3], vcc
	s_xor_b64 s[2:3], exec, s[2:3]
; %bb.225:
	v_bfe_u32 v4, v5, 16, 1
	s_movk_i32 s4, 0x7fff
	v_add3_u32 v4, v5, v4, s4
; %bb.226:
	s_or_saveexec_b64 s[2:3], s[2:3]
	v_lshl_add_u64 v[6:7], s[0:1], 0, v[0:1]
	s_xor_b64 exec, exec, s[2:3]
; %bb.227:
	v_mov_b32_e32 v0, 0
	v_or_b32_e32 v1, 0x10000, v5
	v_cmp_eq_u32_sdwa vcc, v5, v0 src0_sel:WORD_0 src1_sel:DWORD
	s_nop 1
	v_cndmask_b32_e32 v4, v1, v5, vcc
; %bb.228:
	s_or_b64 exec, exec, s[2:3]
	s_mov_b32 s0, 0x7f800000
	v_and_b32_e32 v0, 0x7f800000, v2
	v_cmp_ne_u32_e32 vcc, s0, v0
	global_store_short_d16_hi v[6:7], v4, off offset:32
                                        ; implicit-def: $vgpr0
	s_and_saveexec_b64 s[0:1], vcc
	s_xor_b64 s[0:1], exec, s[0:1]
; %bb.229:
	v_bfe_u32 v0, v2, 16, 1
	s_movk_i32 s2, 0x7fff
	v_add3_u32 v0, v2, v0, s2
; %bb.230:
	s_andn2_saveexec_b64 s[0:1], s[0:1]
; %bb.231:
	v_mov_b32_e32 v0, 0
	v_or_b32_e32 v1, 0x10000, v2
	v_cmp_eq_u32_sdwa vcc, v2, v0 src0_sel:WORD_0 src1_sel:DWORD
	s_nop 1
	v_cndmask_b32_e32 v0, v1, v2, vcc
; %bb.232:
	s_or_b64 exec, exec, s[0:1]
	global_store_short_d16_hi v[6:7], v0, off offset:64
	s_mov_b32 s0, 0x7f800000
	v_and_b32_e32 v0, 0x7f800000, v3
	v_cmp_ne_u32_e32 vcc, s0, v0
                                        ; implicit-def: $vgpr4
	s_and_saveexec_b64 s[0:1], vcc
	s_xor_b64 s[0:1], exec, s[0:1]
; %bb.233:
	v_bfe_u32 v0, v3, 16, 1
	s_movk_i32 s2, 0x7fff
	v_add3_u32 v4, v3, v0, s2
                                        ; implicit-def: $vgpr0_vgpr1_vgpr2_vgpr3
; %bb.234:
	s_andn2_saveexec_b64 s[0:1], s[0:1]
; %bb.235:
	v_mov_b32_e32 v0, 0
	v_or_b32_e32 v1, 0x10000, v3
	v_cmp_eq_u32_sdwa vcc, v3, v0 src0_sel:WORD_0 src1_sel:DWORD
	s_nop 1
	v_cndmask_b32_e32 v4, v1, v3, vcc
; %bb.236:
	s_or_b64 exec, exec, s[0:1]
	global_store_short_d16_hi v[6:7], v4, off offset:96
.LBB155_237:
	s_endpgm
.LBB155_238:
	v_mov_b32_e32 v6, 0x90
	v_lshl_add_u32 v6, v1, 2, v6
	ds_read_b32 v6, v6
	s_waitcnt lgkmcnt(0)
	v_add_f32_e32 v4, v4, v6
	s_or_b64 exec, exec, s[6:7]
	s_and_saveexec_b64 s[6:7], s[0:1]
	s_cbranch_execz .LBB155_214
.LBB155_239:
	v_mov_b32_e32 v6, 0x90
	v_lshl_add_u32 v6, v1, 2, v6
	ds_read_b32 v6, v6 offset:64
	s_waitcnt lgkmcnt(0)
	v_add_f32_e32 v5, v5, v6
	s_or_b64 exec, exec, s[6:7]
	s_and_saveexec_b64 s[6:7], s[0:1]
	s_cbranch_execz .LBB155_215
.LBB155_240:
	v_mov_b32_e32 v6, 0x90
	v_lshl_add_u32 v6, v1, 2, v6
	ds_read_b32 v6, v6 offset:128
	s_waitcnt lgkmcnt(0)
	v_add_f32_e32 v2, v2, v6
	s_or_b64 exec, exec, s[6:7]
	s_and_saveexec_b64 s[6:7], s[0:1]
	s_cbranch_execnz .LBB155_216
	s_branch .LBB155_217
	.section	.rodata,"a",@progbits
	.p2align	6, 0x0
	.amdhsa_kernel _ZN4vllm25paged_attention_v1_kernelI14__hip_bfloat16S1_Li64ELi32ELi128ELNS_18Fp8KVCacheDataTypeE0ELb0EEEvPT_PKS3_PKT0_S9_ifPKiSB_iPKfiiiSD_SD_iiiii
		.amdhsa_group_segment_fixed_size 144
		.amdhsa_private_segment_fixed_size 0
		.amdhsa_kernarg_size 384
		.amdhsa_user_sgpr_count 2
		.amdhsa_user_sgpr_dispatch_ptr 0
		.amdhsa_user_sgpr_queue_ptr 0
		.amdhsa_user_sgpr_kernarg_segment_ptr 1
		.amdhsa_user_sgpr_dispatch_id 0
		.amdhsa_user_sgpr_kernarg_preload_length 0
		.amdhsa_user_sgpr_kernarg_preload_offset 0
		.amdhsa_user_sgpr_private_segment_size 0
		.amdhsa_uses_dynamic_stack 0
		.amdhsa_enable_private_segment 0
		.amdhsa_system_sgpr_workgroup_id_x 1
		.amdhsa_system_sgpr_workgroup_id_y 1
		.amdhsa_system_sgpr_workgroup_id_z 1
		.amdhsa_system_sgpr_workgroup_info 0
		.amdhsa_system_vgpr_workitem_id 0
		.amdhsa_next_free_vgpr 79
		.amdhsa_next_free_sgpr 34
		.amdhsa_accum_offset 80
		.amdhsa_reserve_vcc 1
		.amdhsa_float_round_mode_32 0
		.amdhsa_float_round_mode_16_64 0
		.amdhsa_float_denorm_mode_32 3
		.amdhsa_float_denorm_mode_16_64 3
		.amdhsa_dx10_clamp 1
		.amdhsa_ieee_mode 1
		.amdhsa_fp16_overflow 0
		.amdhsa_tg_split 0
		.amdhsa_exception_fp_ieee_invalid_op 0
		.amdhsa_exception_fp_denorm_src 0
		.amdhsa_exception_fp_ieee_div_zero 0
		.amdhsa_exception_fp_ieee_overflow 0
		.amdhsa_exception_fp_ieee_underflow 0
		.amdhsa_exception_fp_ieee_inexact 0
		.amdhsa_exception_int_div_zero 0
	.end_amdhsa_kernel
	.section	.text._ZN4vllm25paged_attention_v1_kernelI14__hip_bfloat16S1_Li64ELi32ELi128ELNS_18Fp8KVCacheDataTypeE0ELb0EEEvPT_PKS3_PKT0_S9_ifPKiSB_iPKfiiiSD_SD_iiiii,"axG",@progbits,_ZN4vllm25paged_attention_v1_kernelI14__hip_bfloat16S1_Li64ELi32ELi128ELNS_18Fp8KVCacheDataTypeE0ELb0EEEvPT_PKS3_PKT0_S9_ifPKiSB_iPKfiiiSD_SD_iiiii,comdat
.Lfunc_end155:
	.size	_ZN4vllm25paged_attention_v1_kernelI14__hip_bfloat16S1_Li64ELi32ELi128ELNS_18Fp8KVCacheDataTypeE0ELb0EEEvPT_PKS3_PKT0_S9_ifPKiSB_iPKfiiiSD_SD_iiiii, .Lfunc_end155-_ZN4vllm25paged_attention_v1_kernelI14__hip_bfloat16S1_Li64ELi32ELi128ELNS_18Fp8KVCacheDataTypeE0ELb0EEEvPT_PKS3_PKT0_S9_ifPKiSB_iPKfiiiSD_SD_iiiii
                                        ; -- End function
	.section	.AMDGPU.csdata,"",@progbits
; Kernel info:
; codeLenInByte = 8548
; NumSgprs: 40
; NumVgprs: 79
; NumAgprs: 0
; TotalNumVgprs: 79
; ScratchSize: 0
; MemoryBound: 0
; FloatMode: 240
; IeeeMode: 1
; LDSByteSize: 144 bytes/workgroup (compile time only)
; SGPRBlocks: 4
; VGPRBlocks: 9
; NumSGPRsForWavesPerEU: 40
; NumVGPRsForWavesPerEU: 79
; AccumOffset: 80
; Occupancy: 6
; WaveLimiterHint : 1
; COMPUTE_PGM_RSRC2:SCRATCH_EN: 0
; COMPUTE_PGM_RSRC2:USER_SGPR: 2
; COMPUTE_PGM_RSRC2:TRAP_HANDLER: 0
; COMPUTE_PGM_RSRC2:TGID_X_EN: 1
; COMPUTE_PGM_RSRC2:TGID_Y_EN: 1
; COMPUTE_PGM_RSRC2:TGID_Z_EN: 1
; COMPUTE_PGM_RSRC2:TIDIG_COMP_CNT: 0
; COMPUTE_PGM_RSRC3_GFX90A:ACCUM_OFFSET: 19
; COMPUTE_PGM_RSRC3_GFX90A:TG_SPLIT: 0
	.section	.text._ZN4vllm25paged_attention_v1_kernelI14__hip_bfloat16S1_Li80ELi32ELi128ELNS_18Fp8KVCacheDataTypeE0ELb0EEEvPT_PKS3_PKT0_S9_ifPKiSB_iPKfiiiSD_SD_iiiii,"axG",@progbits,_ZN4vllm25paged_attention_v1_kernelI14__hip_bfloat16S1_Li80ELi32ELi128ELNS_18Fp8KVCacheDataTypeE0ELb0EEEvPT_PKS3_PKT0_S9_ifPKiSB_iPKfiiiSD_SD_iiiii,comdat
	.protected	_ZN4vllm25paged_attention_v1_kernelI14__hip_bfloat16S1_Li80ELi32ELi128ELNS_18Fp8KVCacheDataTypeE0ELb0EEEvPT_PKS3_PKT0_S9_ifPKiSB_iPKfiiiSD_SD_iiiii ; -- Begin function _ZN4vllm25paged_attention_v1_kernelI14__hip_bfloat16S1_Li80ELi32ELi128ELNS_18Fp8KVCacheDataTypeE0ELb0EEEvPT_PKS3_PKT0_S9_ifPKiSB_iPKfiiiSD_SD_iiiii
	.globl	_ZN4vllm25paged_attention_v1_kernelI14__hip_bfloat16S1_Li80ELi32ELi128ELNS_18Fp8KVCacheDataTypeE0ELb0EEEvPT_PKS3_PKT0_S9_ifPKiSB_iPKfiiiSD_SD_iiiii
	.p2align	8
	.type	_ZN4vllm25paged_attention_v1_kernelI14__hip_bfloat16S1_Li80ELi32ELi128ELNS_18Fp8KVCacheDataTypeE0ELb0EEEvPT_PKS3_PKT0_S9_ifPKiSB_iPKfiiiSD_SD_iiiii,@function
_ZN4vllm25paged_attention_v1_kernelI14__hip_bfloat16S1_Li80ELi32ELi128ELNS_18Fp8KVCacheDataTypeE0ELb0EEEvPT_PKS3_PKT0_S9_ifPKiSB_iPKfiiiSD_SD_iiiii: ; @_ZN4vllm25paged_attention_v1_kernelI14__hip_bfloat16S1_Li80ELi32ELi128ELNS_18Fp8KVCacheDataTypeE0ELb0EEEvPT_PKS3_PKT0_S9_ifPKiSB_iPKfiiiSD_SD_iiiii
; %bb.0:
	s_load_dword s5, s[0:1], 0x80
	s_load_dwordx2 s[6:7], s[0:1], 0x30
	s_load_dwordx2 s[8:9], s[0:1], 0x20
	s_mov_b32 s10, s3
	s_ashr_i32 s11, s3, 31
	s_lshl_b64 s[12:13], s[10:11], 2
	s_waitcnt lgkmcnt(0)
	s_add_u32 s6, s6, s12
	s_addc_u32 s7, s7, s13
	s_abs_i32 s3, s8
	v_cvt_f32_u32_e32 v1, s3
	s_sub_i32 s12, 0, s3
	s_abs_i32 s11, s5
	s_xor_b32 s8, s5, s8
	v_rcp_iflag_f32_e32 v1, v1
	s_ashr_i32 s8, s8, 31
	v_mul_f32_e32 v1, 0x4f7ffffe, v1
	v_cvt_u32_f32_e32 v1, v1
	s_nop 0
	v_readfirstlane_b32 s13, v1
	s_mul_i32 s12, s12, s13
	s_mul_hi_u32 s12, s13, s12
	s_add_i32 s13, s13, s12
	s_mul_hi_u32 s12, s11, s13
	s_mul_i32 s13, s12, s3
	s_sub_i32 s11, s11, s13
	s_add_i32 s13, s12, 1
	s_sub_i32 s14, s11, s3
	s_cmp_ge_u32 s11, s3
	s_cselect_b32 s12, s13, s12
	s_cselect_b32 s11, s14, s11
	s_add_i32 s13, s12, 1
	s_cmp_ge_u32 s11, s3
	s_cselect_b32 s3, s13, s12
	s_xor_b32 s3, s3, s8
	s_sub_i32 s14, s3, s8
	s_abs_i32 s11, s14
	v_cvt_f32_u32_e32 v1, s11
	s_load_dwordx2 s[12:13], s[0:1], 0x40
	s_sub_i32 s3, 0, s11
	s_abs_i32 s18, s2
	v_rcp_iflag_f32_e32 v1, v1
	s_mov_b32 s8, 0
	v_mul_f32_e32 v1, 0x4f7ffffe, v1
	v_cvt_u32_f32_e32 v1, v1
	s_nop 0
	v_readfirstlane_b32 s15, v1
	s_mul_i32 s3, s3, s15
	s_mul_hi_u32 s3, s15, s3
	s_add_i32 s15, s15, s3
	s_waitcnt lgkmcnt(0)
	s_cmp_eq_u64 s[12:13], 0
	s_mul_hi_u32 s19, s18, s15
	s_cbranch_scc1 .LBB156_2
; %bb.1:
	s_ashr_i32 s3, s2, 31
	s_lshl_b64 s[16:17], s[2:3], 2
	s_add_u32 s12, s12, s16
	s_addc_u32 s13, s13, s17
	s_load_dword s8, s[12:13], 0x0
.LBB156_2:
	s_load_dword s33, s[6:7], 0x0
	s_ashr_i32 s7, s14, 31
	s_load_dwordx4 s[12:15], s[0:1], 0x48
	s_ashr_i32 s6, s2, 31
	v_and_b32_e32 v4, 1, v0
	s_waitcnt lgkmcnt(0)
	s_movk_i32 s15, 0x50
	s_mul_i32 s16, s2, 0x50
	v_cmp_gt_u32_e32 vcc, 20, v0
	v_lshlrev_b32_e32 v14, 3, v0
	s_and_saveexec_b64 s[2:3], vcc
	s_cbranch_execz .LBB156_4
; %bb.3:
	s_load_dwordx2 s[20:21], s[0:1], 0x8
	s_mul_i32 s22, s10, s12
	s_ashr_i32 s23, s22, 31
	s_lshl_b64 s[22:23], s[22:23], 1
	v_lshlrev_b32_e32 v1, 2, v0
	s_waitcnt lgkmcnt(0)
	s_add_u32 s12, s20, s22
	s_addc_u32 s22, s21, s23
	s_ashr_i32 s17, s16, 31
	s_lshl_b64 s[20:21], s[16:17], 1
	s_add_u32 s20, s12, s20
	s_addc_u32 s21, s22, s21
	global_load_dwordx2 v[2:3], v14, s[20:21]
	v_and_b32_e32 v1, 0xff8, v1
	v_mad_u32_u24 v1, v4, s15, v1
	s_waitcnt vmcnt(0)
	ds_write_b64 v1, v[2:3]
.LBB156_4:
	s_or_b64 exec, exec, s[2:3]
	s_add_i32 s3, s33, 31
	s_ashr_i32 s12, s3, 31
	s_lshr_b32 s12, s12, 27
	s_add_i32 s3, s3, s12
	s_ashr_i32 s17, s3, 5
	s_xor_b32 s3, s6, s7
	s_mul_i32 s6, s19, s11
	s_sub_i32 s6, s18, s6
	s_add_i32 s7, s19, 1
	s_sub_i32 s12, s6, s11
	s_load_dwordx2 s[20:21], s[0:1], 0x28
	s_load_dword s2, s[0:1], 0x38
	s_cmp_ge_u32 s6, s11
	s_cselect_b32 s7, s7, s19
	s_cselect_b32 s6, s12, s6
	s_add_i32 s12, s7, 1
	s_cmp_ge_u32 s6, s11
	s_cselect_b32 s6, s12, s7
	v_lshrrev_b32_e32 v1, 6, v0
	s_xor_b32 s6, s6, s3
	s_waitcnt lgkmcnt(0)
	s_mul_i32 s22, s10, s2
	s_sub_i32 s12, s6, s3
	s_ashr_i32 s23, s22, 31
	v_cmp_gt_i32_e64 s[6:7], s17, v1
	v_cmp_le_i32_e32 vcc, s17, v1
	v_mbcnt_lo_u32_b32 v5, -1, 0
	s_barrier
	s_waitcnt lgkmcnt(0)
                                        ; implicit-def: $sgpr15
                                        ; implicit-def: $vgpr15
                                        ; implicit-def: $vgpr17
	s_and_saveexec_b64 s[2:3], vcc
	s_xor_b64 s[2:3], exec, s[2:3]
; %bb.5:
	v_mbcnt_hi_u32_b32 v15, -1, v5
	v_and_b32_e32 v2, 64, v15
	v_add_u32_e32 v17, 64, v2
	s_mov_b32 s15, 0xff7fffff
                                        ; implicit-def: $vgpr4
                                        ; implicit-def: $vgpr5
; %bb.6:
	s_or_saveexec_b64 s[26:27], s[2:3]
	s_load_dwordx2 s[18:19], s[0:1], 0x0
	s_load_dwordx2 s[24:25], s[0:1], 0x18
	s_load_dword s11, s[0:1], 0x88
	v_mov_b32_e32 v51, s15
	s_mul_i32 s14, s12, s14
	v_lshrrev_b32_e32 v16, 4, v0
	s_xor_b64 exec, exec, s[26:27]
	s_cbranch_execz .LBB156_12
; %bb.7:
	v_mul_u32_u24_e32 v15, 0x50, v4
	ds_read_b128 v[6:9], v15
	s_load_dwordx2 s[0:1], s[0:1], 0x10
	ds_read_b128 v[10:13], v15 offset:16
	ds_read_b128 v[38:41], v15 offset:32
	ds_read_b128 v[46:49], v15 offset:48
	s_ashr_i32 s15, s14, 31
	s_lshl_b64 s[2:3], s[14:15], 1
	s_waitcnt lgkmcnt(0)
	v_lshlrev_b32_e32 v18, 16, v6
	v_and_b32_e32 v19, 0xffff0000, v6
	v_lshlrev_b32_e32 v20, 16, v7
	v_and_b32_e32 v21, 0xffff0000, v7
	;; [unrolled: 2-line block ×4, first 2 shown]
	ds_read_b128 v[6:9], v15 offset:64
	v_mbcnt_hi_u32_b32 v15, -1, v5
	v_bfe_u32 v51, v0, 1, 5
	s_add_u32 s0, s0, s2
	s_addc_u32 s1, s1, s3
	s_waitcnt lgkmcnt(0)
	v_lshlrev_b32_e32 v50, 16, v6
	v_and_b32_e32 v52, 0xffff0000, v6
	v_and_b32_e32 v6, 64, v15
	v_lshlrev_b32_e32 v62, 4, v51
	v_mov_b32_e32 v63, 0
	v_xor_b32_e32 v5, 1, v15
	v_add_u32_e32 v17, 64, v6
	v_lshl_add_u64 v[2:3], s[0:1], 0, v[62:63]
	v_cmp_lt_i32_e32 vcc, v5, v17
	s_sub_i32 s15, 1, s33
	s_lshl_b64 s[0:1], s[22:23], 2
	v_and_b32_e32 v62, 8, v14
	v_cndmask_b32_e32 v5, v15, v5, vcc
	v_cmp_eq_u32_e32 vcc, 0, v4
	v_lshlrev_b32_e32 v4, 2, v51
	s_add_u32 s0, s20, s0
	v_lshl_add_u64 v[2:3], v[2:3], 0, v[62:63]
	v_lshl_or_b32 v4, v1, 7, v4
	v_and_b32_e32 v62, 60, v16
	s_addc_u32 s1, s21, s1
	s_mov_b32 s12, s13
	v_lshlrev_b32_e32 v26, 16, v10
	v_and_b32_e32 v27, 0xffff0000, v10
	v_lshlrev_b32_e32 v28, 16, v11
	v_and_b32_e32 v29, 0xffff0000, v11
	;; [unrolled: 2-line block ×15, first 2 shown]
	v_lshlrev_b32_e32 v59, 2, v5
	v_cmp_neq_f32_e64 s[2:3], s8, 0
	v_lshl_or_b32 v60, v1, 5, v51
	v_add_u32_e32 v61, 0xb0, v4
	v_lshl_add_u64 v[4:5], s[0:1], 0, v[62:63]
	s_mov_b64 s[28:29], 0
	v_mov_b32_e32 v51, 0xff7fffff
	s_movk_i32 s34, 0x1000
	v_mov_b32_e32 v62, v1
	s_branch .LBB156_9
.LBB156_8:                              ;   in Loop: Header=BB156_9 Depth=1
	s_or_b64 exec, exec, s[30:31]
	v_add_u32_e32 v62, 2, v62
	v_cmp_le_i32_e64 s[0:1], s17, v62
	v_add_u32_e32 v60, 64, v60
	v_add_u32_e32 v61, 0x100, v61
	s_or_b64 s[28:29], s[0:1], s[28:29]
	v_lshl_add_u64 v[4:5], v[4:5], 0, 8
	s_andn2_b64 exec, exec, s[28:29]
	s_cbranch_execz .LBB156_11
.LBB156_9:                              ; =>This Inner Loop Header: Depth=1
	global_load_dword v6, v[4:5], off
	s_waitcnt vmcnt(0) lgkmcnt(0)
	v_mad_i64_i32 v[6:7], s[0:1], v6, s12, 0
	v_lshl_add_u64 v[64:65], v[6:7], 1, v[2:3]
	global_load_dwordx2 v[12:13], v[64:65], off
	global_load_dwordx2 v[10:11], v[64:65], off offset:512
	global_load_dwordx2 v[8:9], v[64:65], off offset:1024
	;; [unrolled: 1-line block ×7, first 2 shown]
	v_add_co_u32_e64 v64, s[0:1], s34, v64
	s_waitcnt vmcnt(7)
	v_lshlrev_b32_e32 v63, 16, v12
	v_addc_co_u32_e64 v65, s[0:1], 0, v65, s[0:1]
	global_load_dwordx2 v[74:75], v[64:65], off
	s_nop 0
	global_load_dwordx2 v[64:65], v[64:65], off offset:512
	s_waitcnt vmcnt(8)
	v_lshlrev_b32_e32 v77, 16, v10
	v_and_b32_e32 v10, 0xffff0000, v10
	v_and_b32_e32 v12, 0xffff0000, v12
	v_lshlrev_b32_e32 v78, 16, v11
	v_mul_f32_e32 v77, v22, v77
	v_mul_f32_e32 v10, v23, v10
	v_lshlrev_b32_e32 v76, 16, v13
	v_and_b32_e32 v11, 0xffff0000, v11
	s_waitcnt vmcnt(7)
	v_lshlrev_b32_e32 v79, 16, v8
	v_and_b32_e32 v8, 0xffff0000, v8
	v_mul_f32_e32 v78, v24, v78
	v_fmac_f32_e32 v77, v18, v63
	v_fmac_f32_e32 v10, v19, v12
	v_and_b32_e32 v13, 0xffff0000, v13
	v_lshlrev_b32_e32 v80, 16, v9
	s_waitcnt vmcnt(6)
	v_lshlrev_b32_e32 v81, 16, v6
	v_and_b32_e32 v6, 0xffff0000, v6
	v_mul_f32_e32 v11, v25, v11
	v_fmac_f32_e32 v78, v20, v76
	v_fmac_f32_e32 v77, v26, v79
	v_fmac_f32_e32 v10, v27, v8
	v_and_b32_e32 v9, 0xffff0000, v9
	v_lshlrev_b32_e32 v82, 16, v7
	s_waitcnt vmcnt(5)
	v_lshlrev_b32_e32 v83, 16, v66
	v_and_b32_e32 v66, 0xffff0000, v66
	v_fmac_f32_e32 v11, v21, v13
	v_fmac_f32_e32 v78, v28, v80
	v_fmac_f32_e32 v77, v30, v81
	v_fmac_f32_e32 v10, v31, v6
	v_and_b32_e32 v7, 0xffff0000, v7
	v_lshlrev_b32_e32 v84, 16, v67
	s_waitcnt vmcnt(4)
	v_lshlrev_b32_e32 v85, 16, v68
	v_and_b32_e32 v68, 0xffff0000, v68
	v_fmac_f32_e32 v11, v29, v9
	;; [unrolled: 9-line block ×4, first 2 shown]
	v_fmac_f32_e32 v78, v40, v86
	v_fmac_f32_e32 v77, v42, v87
	;; [unrolled: 1-line block ×3, first 2 shown]
	v_and_b32_e32 v71, 0xffff0000, v71
	v_lshlrev_b32_e32 v90, 16, v73
	v_fmac_f32_e32 v11, v41, v69
	v_fmac_f32_e32 v78, v44, v88
	;; [unrolled: 1-line block ×4, first 2 shown]
	v_and_b32_e32 v73, 0xffff0000, v73
	v_fmac_f32_e32 v11, v45, v71
	v_fmac_f32_e32 v78, v48, v90
	;; [unrolled: 1-line block ×3, first 2 shown]
	s_waitcnt vmcnt(1)
	v_lshlrev_b32_e32 v91, 16, v74
	v_and_b32_e32 v74, 0xffff0000, v74
	v_lshlrev_b32_e32 v92, 16, v75
	s_waitcnt vmcnt(0)
	v_lshlrev_b32_e32 v93, 16, v64
	v_and_b32_e32 v64, 0xffff0000, v64
	v_fmac_f32_e32 v77, v50, v91
	v_fmac_f32_e32 v10, v52, v74
	v_and_b32_e32 v75, 0xffff0000, v75
	v_lshlrev_b32_e32 v94, 16, v65
	v_fmac_f32_e32 v78, v53, v92
	v_fmac_f32_e32 v77, v55, v93
	;; [unrolled: 1-line block ×3, first 2 shown]
	v_and_b32_e32 v65, 0xffff0000, v65
	v_fmac_f32_e32 v11, v54, v75
	v_fmac_f32_e32 v78, v57, v94
	v_add_f32_e32 v6, v77, v10
	v_fmac_f32_e32 v11, v58, v65
	v_add_f32_e32 v6, v6, v78
	v_add_f32_e32 v6, v11, v6
	ds_bpermute_b32 v7, v59, v6
	s_and_saveexec_b64 s[30:31], vcc
	s_cbranch_execz .LBB156_8
; %bb.10:                               ;   in Loop: Header=BB156_9 Depth=1
	v_add_u32_e32 v8, s15, v60
	v_cvt_f32_i32_e32 v8, v8
	s_waitcnt lgkmcnt(0)
	v_add_f32_e32 v6, v6, v7
	v_cmp_gt_i32_e64 s[0:1], s33, v60
	v_max_f32_e32 v7, v51, v51
	v_mul_f32_e32 v8, s8, v8
	v_cndmask_b32_e64 v8, 0, v8, s[2:3]
	v_fmac_f32_e32 v8, s9, v6
	v_cndmask_b32_e64 v6, 0, v8, s[0:1]
	ds_write_b32 v61, v6
	v_max_f32_e32 v6, v7, v8
	v_cndmask_b32_e64 v51, v51, v6, s[0:1]
	s_branch .LBB156_8
.LBB156_11:
	s_or_b64 exec, exec, s[28:29]
.LBB156_12:
	s_or_b64 exec, exec, s[26:27]
	v_xor_b32_e32 v2, 32, v15
	v_cmp_lt_i32_e32 vcc, v2, v17
	v_xor_b32_e32 v5, 16, v15
	v_max_f32_e32 v4, v51, v51
	v_cndmask_b32_e32 v2, v15, v2, vcc
	v_lshlrev_b32_e32 v2, 2, v2
	ds_bpermute_b32 v3, v2, v51
	v_cmp_lt_i32_e32 vcc, v5, v17
	v_xor_b32_e32 v6, 8, v15
	s_waitcnt lgkmcnt(0)
	v_xor_b32_e32 v7, 4, v15
	v_xor_b32_e32 v8, 2, v15
	v_max_f32_e32 v3, v3, v3
	v_max_f32_e32 v4, v4, v3
	v_cndmask_b32_e32 v3, v15, v5, vcc
	v_lshlrev_b32_e32 v3, 2, v3
	ds_bpermute_b32 v5, v3, v4
	v_cmp_lt_i32_e32 vcc, v6, v17
	v_and_b32_e32 v20, 63, v0
	s_waitcnt lgkmcnt(0)
	v_max_f32_e32 v5, v5, v5
	v_max_f32_e32 v5, v4, v5
	v_cndmask_b32_e32 v4, v15, v6, vcc
	v_lshlrev_b32_e32 v4, 2, v4
	ds_bpermute_b32 v6, v4, v5
	v_cmp_lt_i32_e32 vcc, v7, v17
	s_waitcnt lgkmcnt(0)
	v_max_f32_e32 v6, v6, v6
	v_max_f32_e32 v6, v5, v6
	v_cndmask_b32_e32 v5, v15, v7, vcc
	v_lshlrev_b32_e32 v5, 2, v5
	ds_bpermute_b32 v7, v5, v6
	v_cmp_lt_i32_e32 vcc, v8, v17
	s_waitcnt lgkmcnt(0)
	v_max_f32_e32 v7, v7, v7
	v_max_f32_e32 v7, v6, v7
	v_cndmask_b32_e32 v6, v15, v8, vcc
	v_lshlrev_b32_e32 v21, 2, v6
	ds_bpermute_b32 v8, v21, v7
	v_cmp_eq_u32_e32 vcc, 0, v20
	v_lshlrev_b32_e32 v6, 2, v1
	s_and_saveexec_b64 s[0:1], vcc
	s_cbranch_execz .LBB156_14
; %bb.13:
	s_waitcnt lgkmcnt(0)
	v_max_f32_e32 v8, v8, v8
	v_max_f32_e32 v7, v7, v7
	;; [unrolled: 1-line block ×3, first 2 shown]
	ds_write_b32 v6, v7 offset:160
.LBB156_14:
	s_or_b64 exec, exec, s[0:1]
	v_cmp_gt_u32_e64 s[0:1], 2, v20
	s_waitcnt lgkmcnt(0)
	v_mov_b32_e32 v8, 0xff7fffff
	v_lshlrev_b32_e32 v7, 2, v20
	s_barrier
	s_and_saveexec_b64 s[2:3], s[0:1]
	s_cbranch_execz .LBB156_16
; %bb.15:
	ds_read_b32 v8, v7 offset:160
.LBB156_16:
	s_or_b64 exec, exec, s[2:3]
	v_xor_b32_e32 v9, 1, v15
	v_cmp_lt_i32_e64 s[2:3], v9, v17
	v_lshlrev_b32_e32 v10, 2, v15
	s_nop 0
	v_cndmask_b32_e64 v9, v15, v9, s[2:3]
	v_lshlrev_b32_e32 v22, 2, v9
	s_waitcnt lgkmcnt(0)
	ds_bpermute_b32 v9, v22, v8
	v_max_f32_e32 v8, v8, v8
	s_lshl_b32 s2, s17, 5
	s_min_i32 s12, s2, s33
	v_cmp_gt_i32_e64 s[2:3], s12, v0
	s_waitcnt lgkmcnt(0)
	v_max_f32_e32 v9, v9, v9
	v_max_f32_e32 v9, v8, v9
	v_and_b32_e32 v8, 0xffffff00, v10
	ds_bpermute_b32 v10, v8, v9
	v_mov_b32_e32 v9, 0
	s_and_saveexec_b64 s[26:27], s[2:3]
	s_cbranch_execz .LBB156_20
; %bb.17:
	v_mov_b32_e32 v9, 0xb0
	v_lshl_add_u32 v11, v0, 2, v9
	s_mov_b64 s[28:29], 0
	v_mov_b32_e32 v9, 0
	v_mov_b32_e32 v12, v0
.LBB156_18:                             ; =>This Inner Loop Header: Depth=1
	ds_read_b32 v13, v11
	v_add_u32_e32 v12, 0x80, v12
	v_cmp_le_i32_e64 s[8:9], s12, v12
	s_or_b64 s[28:29], s[8:9], s[28:29]
	s_waitcnt lgkmcnt(0)
	v_sub_f32_e32 v13, v13, v10
	v_mul_f32_e32 v13, 0x3fb8aa3b, v13
	v_exp_f32_e32 v13, v13
	ds_write_b32 v11, v13
	v_add_f32_e32 v9, v9, v13
	v_add_u32_e32 v11, 0x200, v11
	s_andn2_b64 exec, exec, s[28:29]
	s_cbranch_execnz .LBB156_18
; %bb.19:
	s_or_b64 exec, exec, s[28:29]
.LBB156_20:
	s_or_b64 exec, exec, s[26:27]
	ds_bpermute_b32 v2, v2, v9
	s_waitcnt lgkmcnt(0)
	v_add_f32_e32 v2, v9, v2
	ds_bpermute_b32 v3, v3, v2
	s_waitcnt lgkmcnt(0)
	v_add_f32_e32 v2, v2, v3
	;; [unrolled: 3-line block ×6, first 2 shown]
	s_and_saveexec_b64 s[8:9], vcc
	s_cbranch_execz .LBB156_22
; %bb.21:
	ds_write_b32 v6, v2 offset:168
.LBB156_22:
	s_or_b64 exec, exec, s[8:9]
	s_waitcnt lgkmcnt(0)
	s_barrier
	s_and_saveexec_b64 s[8:9], s[0:1]
	s_cbranch_execz .LBB156_24
; %bb.23:
	ds_read_b32 v2, v7 offset:168
.LBB156_24:
	s_or_b64 exec, exec, s[8:9]
	s_waitcnt lgkmcnt(0)
	ds_bpermute_b32 v3, v22, v2
	s_waitcnt lgkmcnt(0)
	v_add_f32_e32 v2, v2, v3
	ds_bpermute_b32 v2, v8, v2
	s_and_saveexec_b64 s[0:1], s[2:3]
	s_cbranch_execz .LBB156_37
; %bb.25:
	s_waitcnt lgkmcnt(0)
	v_add_f32_e32 v2, 0x358637bd, v2
	v_div_scale_f32 v3, s[2:3], v2, v2, 1.0
	v_rcp_f32_e32 v4, v3
	v_div_scale_f32 v5, vcc, 1.0, v2, 1.0
	s_movk_i32 s2, 0x7f
	v_fma_f32 v6, -v3, v4, 1.0
	v_fmac_f32_e32 v4, v6, v4
	v_mul_f32_e32 v6, v5, v4
	v_fma_f32 v7, -v3, v6, v5
	v_fmac_f32_e32 v6, v7, v4
	v_fma_f32 v3, -v3, v6, v5
	v_div_fmas_f32 v3, v3, v4, v6
	v_xad_u32 v4, v0, -1, s12
	v_div_fixup_f32 v2, v3, v2, 1.0
	v_cmp_lt_u32_e32 vcc, s2, v4
	s_mov_b64 s[8:9], -1
	v_mov_b32_e32 v3, v0
	s_and_saveexec_b64 s[2:3], vcc
	s_cbranch_execz .LBB156_34
; %bb.26:
	v_lshrrev_b32_e32 v4, 7, v4
	v_add_u32_e32 v6, -1, v4
	v_lshrrev_b32_e32 v5, 1, v6
	v_mov_b32_e32 v3, v2
	v_add_u32_e32 v5, 1, v5
	v_cmp_lt_u32_e32 vcc, 13, v6
	v_mov_b32_e32 v8, 0
	s_and_saveexec_b64 s[8:9], vcc
	s_cbranch_execz .LBB156_30
; %bb.27:
	v_mov_b32_e32 v7, 0xb0
	v_and_b32_e32 v6, -8, v5
	v_lshl_add_u32 v7, v0, 2, v7
	s_mov_b32 s15, 0
	s_mov_b64 s[26:27], 0
.LBB156_28:                             ; =>This Inner Loop Header: Depth=1
	ds_read2st64_b32 v[8:9], v7 offset1:2
	ds_read2st64_b32 v[10:11], v7 offset0:4 offset1:6
	ds_read2st64_b32 v[12:13], v7 offset0:8 offset1:10
	;; [unrolled: 1-line block ×3, first 2 shown]
	v_add_u32_e32 v6, -8, v6
	s_waitcnt lgkmcnt(3)
	v_pk_mul_f32 v[8:9], v[2:3], v[8:9]
	s_waitcnt lgkmcnt(2)
	v_pk_mul_f32 v[10:11], v[2:3], v[10:11]
	ds_write2st64_b32 v7, v8, v9 offset1:2
	ds_write2st64_b32 v7, v10, v11 offset0:4 offset1:6
	ds_read2st64_b32 v[10:11], v7 offset0:16 offset1:18
	s_waitcnt lgkmcnt(4)
	v_pk_mul_f32 v[8:9], v[2:3], v[12:13]
	ds_write2st64_b32 v7, v8, v9 offset0:8 offset1:10
	s_waitcnt lgkmcnt(4)
	v_pk_mul_f32 v[8:9], v[2:3], v[18:19]
	ds_write2st64_b32 v7, v8, v9 offset0:12 offset1:14
	ds_read2st64_b32 v[8:9], v7 offset0:20 offset1:22
	s_waitcnt lgkmcnt(3)
	v_pk_mul_f32 v[10:11], v[2:3], v[10:11]
	ds_read2st64_b32 v[12:13], v7 offset0:24 offset1:26
	ds_write2st64_b32 v7, v10, v11 offset0:16 offset1:18
	ds_read2st64_b32 v[10:11], v7 offset0:28 offset1:30
	s_waitcnt lgkmcnt(3)
	v_pk_mul_f32 v[8:9], v[2:3], v[8:9]
	ds_write2st64_b32 v7, v8, v9 offset0:20 offset1:22
	s_waitcnt lgkmcnt(3)
	v_pk_mul_f32 v[8:9], v[2:3], v[12:13]
	ds_write2st64_b32 v7, v8, v9 offset0:24 offset1:26
	s_waitcnt lgkmcnt(2)
	v_pk_mul_f32 v[8:9], v[2:3], v[10:11]
	s_add_i32 s15, s15, 16
	v_cmp_eq_u32_e32 vcc, 0, v6
	ds_write2st64_b32 v7, v8, v9 offset0:28 offset1:30
	v_add_u32_e32 v7, 0x2000, v7
	s_or_b64 s[26:27], vcc, s[26:27]
	v_mov_b32_e32 v8, s15
	s_andn2_b64 exec, exec, s[26:27]
	s_cbranch_execnz .LBB156_28
; %bb.29:
	s_or_b64 exec, exec, s[26:27]
.LBB156_30:
	s_or_b64 exec, exec, s[8:9]
	v_and_b32_e32 v5, 7, v5
	v_cmp_ne_u32_e32 vcc, 0, v5
	s_and_saveexec_b64 s[8:9], vcc
	s_cbranch_execz .LBB156_33
; %bb.31:
	v_lshlrev_b32_e32 v6, 9, v8
	v_lshlrev_b32_e32 v7, 2, v0
	s_movk_i32 s15, 0xb0
	v_add3_u32 v6, v6, v7, s15
	s_mov_b64 s[26:27], 0
.LBB156_32:                             ; =>This Inner Loop Header: Depth=1
	ds_read2st64_b32 v[8:9], v6 offset1:2
	v_add_u32_e32 v5, -1, v5
	v_cmp_eq_u32_e32 vcc, 0, v5
	s_or_b64 s[26:27], vcc, s[26:27]
	s_waitcnt lgkmcnt(0)
	v_pk_mul_f32 v[8:9], v[2:3], v[8:9]
	ds_write2st64_b32 v6, v8, v9 offset1:2
	v_add_u32_e32 v6, 0x400, v6
	s_andn2_b64 exec, exec, s[26:27]
	s_cbranch_execnz .LBB156_32
.LBB156_33:
	s_or_b64 exec, exec, s[8:9]
	v_add_u32_e32 v4, 1, v4
	v_and_b32_e32 v5, 0x3fffffe, v4
	v_cmp_ne_u32_e32 vcc, v4, v5
	v_lshl_add_u32 v3, v5, 7, v0
	s_orn2_b64 s[8:9], vcc, exec
.LBB156_34:
	s_or_b64 exec, exec, s[2:3]
	s_and_b64 exec, exec, s[8:9]
	s_cbranch_execz .LBB156_37
; %bb.35:
	v_mov_b32_e32 v4, 0xb0
	v_lshl_add_u32 v4, v3, 2, v4
	s_mov_b64 s[2:3], 0
.LBB156_36:                             ; =>This Inner Loop Header: Depth=1
	ds_read_b32 v5, v4
	v_add_u32_e32 v3, 0x80, v3
	v_cmp_le_i32_e32 vcc, s12, v3
	s_or_b64 s[2:3], vcc, s[2:3]
	s_waitcnt lgkmcnt(0)
	v_mul_f32_e32 v5, v2, v5
	ds_write_b32 v4, v5
	v_add_u32_e32 v4, 0x200, v4
	s_andn2_b64 exec, exec, s[2:3]
	s_cbranch_execnz .LBB156_36
.LBB156_37:
	s_or_b64 exec, exec, s[0:1]
	v_mov_b32_e32 v24, 0
	v_and_b32_e32 v23, 3, v0
	v_mov_b32_e32 v11, 0
	v_mov_b32_e32 v10, 0
	;; [unrolled: 1-line block ×4, first 2 shown]
	s_waitcnt lgkmcnt(0)
	s_barrier
	s_and_saveexec_b64 s[2:3], s[6:7]
	s_cbranch_execz .LBB156_243
; %bb.38:
	s_ashr_i32 s15, s14, 31
	s_lshl_b64 s[0:1], s[14:15], 1
	s_add_u32 s6, s24, s0
	v_and_b32_e32 v3, 24, v14
	s_addc_u32 s7, s25, s1
	s_add_i32 s14, s17, -1
	v_lshlrev_b32_e32 v5, 5, v1
	s_lshl_b64 s[0:1], s[22:23], 2
	v_and_b32_e32 v2, 0x1f8, v14
	v_or3_b32 v25, v5, v3, 7
	v_lshlrev_b32_e32 v3, 5, v23
	s_add_u32 s0, s20, s0
	v_mov_b32_e32 v15, 0
	v_or_b32_e32 v4, 0x800, v2
	v_lshl_or_b32 v3, v1, 7, v3
	v_and_b32_e32 v14, 60, v16
	s_addc_u32 s1, s21, s1
	s_mov_b32 s26, s13
	v_add_u32_e32 v26, 0xb0, v3
	v_lshl_add_u64 v[16:17], s[0:1], 0, v[14:15]
	s_mov_b64 s[8:9], 0
	s_mov_b32 s15, 0x7f800000
	s_movk_i32 s20, 0x7fff
	v_lshlrev_b32_e32 v14, 1, v2
	v_lshlrev_b32_e32 v18, 1, v4
	v_mov_b32_e32 v12, v15
	v_mov_b32_e32 v13, v15
	;; [unrolled: 1-line block ×5, first 2 shown]
	s_branch .LBB156_40
.LBB156_39:                             ;   in Loop: Header=BB156_40 Depth=1
	s_or_b64 exec, exec, s[0:1]
	v_and_b32_e32 v36, 0xffff0000, v32
	v_and_b32_e32 v32, 0xffff0000, v31
	;; [unrolled: 1-line block ×8, first 2 shown]
	v_pk_add_f32 v[28:29], v[28:29], v[30:31]
	v_pk_add_f32 v[30:31], v[32:33], v[36:37]
	v_add_f32_e32 v27, v28, v29
	v_add_f32_e32 v27, v27, v30
	v_and_b32_e32 v33, 0xffff0000, v53
	v_and_b32_e32 v32, 0xffff0000, v51
	;; [unrolled: 1-line block ×4, first 2 shown]
	v_add_f32_e32 v27, v27, v31
	v_and_b32_e32 v29, 0xffff0000, v57
	v_and_b32_e32 v28, 0xffff0000, v55
	v_and_b32_e32 v31, 0xffff0000, v56
	v_and_b32_e32 v30, 0xffff0000, v54
	v_pk_add_f32 v[32:33], v[36:37], v[32:33]
	v_add_f32_e32 v12, v12, v27
	v_pk_add_f32 v[28:29], v[30:31], v[28:29]
	v_add_f32_e32 v27, v32, v33
	v_add_f32_e32 v27, v27, v28
	v_and_b32_e32 v33, 0xffff0000, v61
	v_and_b32_e32 v32, 0xffff0000, v59
	;; [unrolled: 1-line block ×4, first 2 shown]
	v_add_f32_e32 v27, v27, v29
	v_and_b32_e32 v29, 0xffff0000, v65
	v_and_b32_e32 v28, 0xffff0000, v63
	;; [unrolled: 1-line block ×4, first 2 shown]
	v_pk_add_f32 v[32:33], v[36:37], v[32:33]
	v_add_f32_e32 v13, v13, v27
	v_pk_add_f32 v[28:29], v[30:31], v[28:29]
	v_add_f32_e32 v27, v32, v33
	v_add_f32_e32 v27, v27, v28
	v_and_b32_e32 v33, 0xffff0000, v67
	v_and_b32_e32 v32, 0xffff0000, v9
	;; [unrolled: 1-line block ×4, first 2 shown]
	v_add_f32_e32 v27, v27, v29
	v_and_b32_e32 v29, 0xffff0000, v71
	v_and_b32_e32 v28, 0xffff0000, v69
	;; [unrolled: 1-line block ×4, first 2 shown]
	v_pk_add_f32 v[8:9], v[8:9], v[32:33]
	v_pk_add_f32 v[28:29], v[30:31], v[28:29]
	v_add_f32_e32 v8, v8, v9
	v_add_f32_e32 v8, v8, v28
	;; [unrolled: 1-line block ×3, first 2 shown]
	v_and_b32_e32 v9, 0xffff0000, v7
	v_and_b32_e32 v7, 0xffff0000, v19
	v_and_b32_e32 v6, 0xffff0000, v6
	v_and_b32_e32 v3, 0xffff0000, v3
	v_and_b32_e32 v2, 0xffff0000, v2
	v_add_f32_e32 v11, v11, v8
	v_and_b32_e32 v8, 0xffff0000, v34
	v_and_b32_e32 v5, 0xffff0000, v5
	;; [unrolled: 1-line block ×3, first 2 shown]
	v_pk_add_f32 v[2:3], v[2:3], v[6:7]
	v_pk_add_f32 v[4:5], v[4:5], v[8:9]
	v_add_f32_e32 v2, v2, v3
	v_add_f32_e32 v2, v2, v4
	v_add_u32_e32 v1, 2, v1
	v_add_f32_e32 v2, v2, v5
	v_cmp_le_i32_e32 vcc, s17, v1
	v_add_f32_e32 v10, v10, v27
	v_add_f32_e32 v24, v24, v2
	v_add_u32_e32 v25, 64, v25
	v_add_u32_e32 v26, 0x100, v26
	s_or_b64 s[8:9], vcc, s[8:9]
	v_lshl_add_u64 v[16:17], v[16:17], 0, 8
	s_andn2_b64 exec, exec, s[8:9]
	s_cbranch_execz .LBB156_242
.LBB156_40:                             ; =>This Inner Loop Header: Depth=1
	global_load_dword v34, v[16:17], off
	ds_read2_b64 v[6:9], v26 offset1:1
	ds_read2_b64 v[2:5], v26 offset0:2 offset1:3
                                        ; implicit-def: $vgpr27
	s_waitcnt lgkmcnt(1)
	v_and_b32_e32 v19, 0x7f800000, v6
	v_cmp_ne_u32_e32 vcc, s15, v19
	s_and_saveexec_b64 s[0:1], vcc
	s_xor_b64 s[0:1], exec, s[0:1]
; %bb.41:                               ;   in Loop: Header=BB156_40 Depth=1
	v_bfe_u32 v19, v6, 16, 1
	v_add3_u32 v27, v6, v19, s20
; %bb.42:                               ;   in Loop: Header=BB156_40 Depth=1
	s_andn2_saveexec_b64 s[0:1], s[0:1]
; %bb.43:                               ;   in Loop: Header=BB156_40 Depth=1
	v_or_b32_e32 v19, 0x10000, v6
	v_cmp_eq_u32_sdwa vcc, v6, v15 src0_sel:WORD_0 src1_sel:DWORD
	s_nop 1
	v_cndmask_b32_e32 v27, v19, v6, vcc
; %bb.44:                               ;   in Loop: Header=BB156_40 Depth=1
	s_or_b64 exec, exec, s[0:1]
	v_and_b32_e32 v6, 0x7f800000, v7
	v_cmp_ne_u32_e32 vcc, s15, v6
                                        ; implicit-def: $vgpr28
	s_and_saveexec_b64 s[0:1], vcc
	s_xor_b64 s[0:1], exec, s[0:1]
; %bb.45:                               ;   in Loop: Header=BB156_40 Depth=1
	v_bfe_u32 v6, v7, 16, 1
	v_add3_u32 v28, v7, v6, s20
; %bb.46:                               ;   in Loop: Header=BB156_40 Depth=1
	s_andn2_saveexec_b64 s[0:1], s[0:1]
; %bb.47:                               ;   in Loop: Header=BB156_40 Depth=1
	v_or_b32_e32 v6, 0x10000, v7
	v_cmp_eq_u32_sdwa vcc, v7, v15 src0_sel:WORD_0 src1_sel:DWORD
	s_nop 1
	v_cndmask_b32_e32 v28, v6, v7, vcc
; %bb.48:                               ;   in Loop: Header=BB156_40 Depth=1
	s_or_b64 exec, exec, s[0:1]
	v_and_b32_e32 v6, 0x7f800000, v8
	v_cmp_ne_u32_e32 vcc, s15, v6
                                        ; implicit-def: $vgpr29
	s_and_saveexec_b64 s[0:1], vcc
	s_xor_b64 s[0:1], exec, s[0:1]
; %bb.49:                               ;   in Loop: Header=BB156_40 Depth=1
	v_bfe_u32 v6, v8, 16, 1
	v_add3_u32 v29, v8, v6, s20
; %bb.50:                               ;   in Loop: Header=BB156_40 Depth=1
	s_andn2_saveexec_b64 s[0:1], s[0:1]
; %bb.51:                               ;   in Loop: Header=BB156_40 Depth=1
	v_or_b32_e32 v6, 0x10000, v8
	v_cmp_eq_u32_sdwa vcc, v8, v15 src0_sel:WORD_0 src1_sel:DWORD
	s_nop 1
	v_cndmask_b32_e32 v29, v6, v8, vcc
; %bb.52:                               ;   in Loop: Header=BB156_40 Depth=1
	s_or_b64 exec, exec, s[0:1]
	v_and_b32_e32 v6, 0x7f800000, v9
	v_cmp_ne_u32_e32 vcc, s15, v6
                                        ; implicit-def: $vgpr30
	s_and_saveexec_b64 s[0:1], vcc
	s_xor_b64 s[0:1], exec, s[0:1]
; %bb.53:                               ;   in Loop: Header=BB156_40 Depth=1
	v_bfe_u32 v6, v9, 16, 1
	v_add3_u32 v30, v9, v6, s20
                                        ; implicit-def: $vgpr6_vgpr7_vgpr8_vgpr9
; %bb.54:                               ;   in Loop: Header=BB156_40 Depth=1
	s_andn2_saveexec_b64 s[0:1], s[0:1]
; %bb.55:                               ;   in Loop: Header=BB156_40 Depth=1
	v_or_b32_e32 v6, 0x10000, v9
	v_cmp_eq_u32_sdwa vcc, v9, v15 src0_sel:WORD_0 src1_sel:DWORD
	s_nop 1
	v_cndmask_b32_e32 v30, v6, v9, vcc
; %bb.56:                               ;   in Loop: Header=BB156_40 Depth=1
	s_or_b64 exec, exec, s[0:1]
	s_waitcnt lgkmcnt(0)
	v_and_b32_e32 v6, 0x7f800000, v2
	v_cmp_ne_u32_e32 vcc, s15, v6
                                        ; implicit-def: $vgpr31
	s_and_saveexec_b64 s[0:1], vcc
	s_xor_b64 s[0:1], exec, s[0:1]
; %bb.57:                               ;   in Loop: Header=BB156_40 Depth=1
	v_bfe_u32 v6, v2, 16, 1
	v_add3_u32 v31, v2, v6, s20
; %bb.58:                               ;   in Loop: Header=BB156_40 Depth=1
	s_andn2_saveexec_b64 s[0:1], s[0:1]
; %bb.59:                               ;   in Loop: Header=BB156_40 Depth=1
	v_or_b32_e32 v6, 0x10000, v2
	v_cmp_eq_u32_sdwa vcc, v2, v15 src0_sel:WORD_0 src1_sel:DWORD
	s_nop 1
	v_cndmask_b32_e32 v31, v6, v2, vcc
; %bb.60:                               ;   in Loop: Header=BB156_40 Depth=1
	s_or_b64 exec, exec, s[0:1]
	v_and_b32_e32 v2, 0x7f800000, v3
	v_cmp_ne_u32_e32 vcc, s15, v2
                                        ; implicit-def: $vgpr32
	s_and_saveexec_b64 s[0:1], vcc
	s_xor_b64 s[0:1], exec, s[0:1]
; %bb.61:                               ;   in Loop: Header=BB156_40 Depth=1
	v_bfe_u32 v2, v3, 16, 1
	v_add3_u32 v32, v3, v2, s20
; %bb.62:                               ;   in Loop: Header=BB156_40 Depth=1
	s_andn2_saveexec_b64 s[0:1], s[0:1]
; %bb.63:                               ;   in Loop: Header=BB156_40 Depth=1
	v_or_b32_e32 v2, 0x10000, v3
	v_cmp_eq_u32_sdwa vcc, v3, v15 src0_sel:WORD_0 src1_sel:DWORD
	s_nop 1
	v_cndmask_b32_e32 v32, v2, v3, vcc
; %bb.64:                               ;   in Loop: Header=BB156_40 Depth=1
	s_or_b64 exec, exec, s[0:1]
	v_and_b32_e32 v2, 0x7f800000, v4
	v_cmp_ne_u32_e32 vcc, s15, v2
                                        ; implicit-def: $vgpr33
	s_and_saveexec_b64 s[0:1], vcc
	s_xor_b64 s[0:1], exec, s[0:1]
; %bb.65:                               ;   in Loop: Header=BB156_40 Depth=1
	v_bfe_u32 v2, v4, 16, 1
	v_add3_u32 v33, v4, v2, s20
; %bb.66:                               ;   in Loop: Header=BB156_40 Depth=1
	s_andn2_saveexec_b64 s[0:1], s[0:1]
; %bb.67:                               ;   in Loop: Header=BB156_40 Depth=1
	v_or_b32_e32 v2, 0x10000, v4
	v_cmp_eq_u32_sdwa vcc, v4, v15 src0_sel:WORD_0 src1_sel:DWORD
	s_nop 1
	v_cndmask_b32_e32 v33, v2, v4, vcc
; %bb.68:                               ;   in Loop: Header=BB156_40 Depth=1
	s_or_b64 exec, exec, s[0:1]
	v_and_b32_e32 v2, 0x7f800000, v5
	v_cmp_ne_u32_e32 vcc, s15, v2
                                        ; implicit-def: $vgpr19
	s_and_saveexec_b64 s[0:1], vcc
	s_xor_b64 s[0:1], exec, s[0:1]
; %bb.69:                               ;   in Loop: Header=BB156_40 Depth=1
	v_bfe_u32 v2, v5, 16, 1
	v_add3_u32 v19, v5, v2, s20
                                        ; implicit-def: $vgpr2_vgpr3_vgpr4_vgpr5
; %bb.70:                               ;   in Loop: Header=BB156_40 Depth=1
	s_andn2_saveexec_b64 s[0:1], s[0:1]
; %bb.71:                               ;   in Loop: Header=BB156_40 Depth=1
	v_or_b32_e32 v2, 0x10000, v5
	v_cmp_eq_u32_sdwa vcc, v5, v15 src0_sel:WORD_0 src1_sel:DWORD
	s_nop 1
	v_cndmask_b32_e32 v19, v2, v5, vcc
; %bb.72:                               ;   in Loop: Header=BB156_40 Depth=1
	s_or_b64 exec, exec, s[0:1]
	s_waitcnt vmcnt(0)
	v_mad_i64_i32 v[2:3], s[0:1], v34, s26, 0
	v_lshl_add_u64 v[6:7], v[2:3], 1, s[6:7]
	v_lshl_add_u64 v[8:9], v[6:7], 0, v[14:15]
	global_load_dwordx4 v[2:5], v[8:9], off
	v_add_u32_e32 v34, -7, v25
	v_cmp_eq_u32_e32 vcc, s14, v1
	v_add_u32_e32 v40, -6, v25
	v_add_u32_e32 v38, -5, v25
	;; [unrolled: 1-line block ×6, first 2 shown]
	s_waitcnt vmcnt(0)
	v_lshrrev_b32_e32 v44, 16, v2
	v_lshrrev_b32_e32 v46, 16, v3
	;; [unrolled: 1-line block ×4, first 2 shown]
	s_and_saveexec_b64 s[12:13], vcc
	s_cbranch_execz .LBB156_74
; %bb.73:                               ;   in Loop: Header=BB156_40 Depth=1
	v_cmp_gt_i32_e64 s[0:1], s33, v34
	s_nop 1
	v_cndmask_b32_e64 v2, 0, v2, s[0:1]
	v_cmp_gt_i32_e64 s[0:1], s33, v40
	s_nop 1
	v_cndmask_b32_e64 v44, 0, v44, s[0:1]
	;; [unrolled: 3-line block ×8, first 2 shown]
.LBB156_74:                             ;   in Loop: Header=BB156_40 Depth=1
	s_or_b64 exec, exec, s[12:13]
	v_and_b32_e32 v42, 0xffff0000, v27
	v_lshlrev_b32_e32 v2, 16, v2
	v_mul_f32_e32 v2, v42, v2
	v_and_b32_e32 v27, 0x7f800000, v2
	v_cmp_ne_u32_e64 s[0:1], s15, v27
                                        ; implicit-def: $vgpr27
	s_and_saveexec_b64 s[12:13], s[0:1]
	s_xor_b64 s[0:1], exec, s[12:13]
; %bb.75:                               ;   in Loop: Header=BB156_40 Depth=1
	v_bfe_u32 v27, v2, 16, 1
	v_add3_u32 v27, v2, v27, s20
                                        ; implicit-def: $vgpr2
; %bb.76:                               ;   in Loop: Header=BB156_40 Depth=1
	s_andn2_saveexec_b64 s[12:13], s[0:1]
; %bb.77:                               ;   in Loop: Header=BB156_40 Depth=1
	v_or_b32_e32 v27, 0x10000, v2
	v_cmp_eq_u32_sdwa s[0:1], v2, v15 src0_sel:WORD_0 src1_sel:DWORD
	s_nop 1
	v_cndmask_b32_e64 v27, v27, v2, s[0:1]
; %bb.78:                               ;   in Loop: Header=BB156_40 Depth=1
	s_or_b64 exec, exec, s[12:13]
	v_and_b32_e32 v43, 0xffff0000, v28
	v_lshlrev_b32_e32 v2, 16, v44
	v_mul_f32_e32 v2, v43, v2
	v_and_b32_e32 v28, 0x7f800000, v2
	v_cmp_ne_u32_e64 s[0:1], s15, v28
                                        ; implicit-def: $vgpr28
	s_and_saveexec_b64 s[12:13], s[0:1]
	s_xor_b64 s[0:1], exec, s[12:13]
; %bb.79:                               ;   in Loop: Header=BB156_40 Depth=1
	v_bfe_u32 v28, v2, 16, 1
	v_add3_u32 v28, v2, v28, s20
                                        ; implicit-def: $vgpr2
; %bb.80:                               ;   in Loop: Header=BB156_40 Depth=1
	s_andn2_saveexec_b64 s[12:13], s[0:1]
; %bb.81:                               ;   in Loop: Header=BB156_40 Depth=1
	v_or_b32_e32 v28, 0x10000, v2
	v_cmp_eq_u32_sdwa s[0:1], v2, v15 src0_sel:WORD_0 src1_sel:DWORD
	s_nop 1
	v_cndmask_b32_e64 v28, v28, v2, s[0:1]
; %bb.82:                               ;   in Loop: Header=BB156_40 Depth=1
	s_or_b64 exec, exec, s[12:13]
	v_and_b32_e32 v44, 0xffff0000, v29
	v_lshlrev_b32_e32 v2, 16, v3
	v_mul_f32_e32 v2, v44, v2
	v_and_b32_e32 v3, 0x7f800000, v2
	v_cmp_ne_u32_e64 s[0:1], s15, v3
                                        ; implicit-def: $vgpr29
	s_and_saveexec_b64 s[12:13], s[0:1]
	s_xor_b64 s[0:1], exec, s[12:13]
; %bb.83:                               ;   in Loop: Header=BB156_40 Depth=1
	v_bfe_u32 v3, v2, 16, 1
	v_add3_u32 v29, v2, v3, s20
                                        ; implicit-def: $vgpr2
; %bb.84:                               ;   in Loop: Header=BB156_40 Depth=1
	s_andn2_saveexec_b64 s[12:13], s[0:1]
; %bb.85:                               ;   in Loop: Header=BB156_40 Depth=1
	v_or_b32_e32 v3, 0x10000, v2
	v_cmp_eq_u32_sdwa s[0:1], v2, v15 src0_sel:WORD_0 src1_sel:DWORD
	s_nop 1
	v_cndmask_b32_e64 v29, v3, v2, s[0:1]
; %bb.86:                               ;   in Loop: Header=BB156_40 Depth=1
	s_or_b64 exec, exec, s[12:13]
	v_and_b32_e32 v45, 0xffff0000, v30
	v_lshlrev_b32_e32 v2, 16, v46
	v_mul_f32_e32 v2, v45, v2
	v_and_b32_e32 v3, 0x7f800000, v2
	v_cmp_ne_u32_e64 s[0:1], s15, v3
                                        ; implicit-def: $vgpr30
	s_and_saveexec_b64 s[12:13], s[0:1]
	s_xor_b64 s[0:1], exec, s[12:13]
; %bb.87:                               ;   in Loop: Header=BB156_40 Depth=1
	v_bfe_u32 v3, v2, 16, 1
	v_add3_u32 v30, v2, v3, s20
                                        ; implicit-def: $vgpr2
; %bb.88:                               ;   in Loop: Header=BB156_40 Depth=1
	s_andn2_saveexec_b64 s[12:13], s[0:1]
; %bb.89:                               ;   in Loop: Header=BB156_40 Depth=1
	v_or_b32_e32 v3, 0x10000, v2
	v_cmp_eq_u32_sdwa s[0:1], v2, v15 src0_sel:WORD_0 src1_sel:DWORD
	s_nop 1
	v_cndmask_b32_e64 v30, v3, v2, s[0:1]
; %bb.90:                               ;   in Loop: Header=BB156_40 Depth=1
	s_or_b64 exec, exec, s[12:13]
	v_and_b32_e32 v46, 0xffff0000, v31
	v_lshlrev_b32_e32 v2, 16, v4
	v_mul_f32_e32 v2, v46, v2
	v_and_b32_e32 v3, 0x7f800000, v2
	v_cmp_ne_u32_e64 s[0:1], s15, v3
                                        ; implicit-def: $vgpr31
	s_and_saveexec_b64 s[12:13], s[0:1]
	s_xor_b64 s[0:1], exec, s[12:13]
; %bb.91:                               ;   in Loop: Header=BB156_40 Depth=1
	v_bfe_u32 v3, v2, 16, 1
	v_add3_u32 v31, v2, v3, s20
                                        ; implicit-def: $vgpr2
; %bb.92:                               ;   in Loop: Header=BB156_40 Depth=1
	s_andn2_saveexec_b64 s[12:13], s[0:1]
; %bb.93:                               ;   in Loop: Header=BB156_40 Depth=1
	v_or_b32_e32 v3, 0x10000, v2
	v_cmp_eq_u32_sdwa s[0:1], v2, v15 src0_sel:WORD_0 src1_sel:DWORD
	s_nop 1
	v_cndmask_b32_e64 v31, v3, v2, s[0:1]
; %bb.94:                               ;   in Loop: Header=BB156_40 Depth=1
	s_or_b64 exec, exec, s[12:13]
	v_and_b32_e32 v47, 0xffff0000, v32
	v_lshlrev_b32_e32 v2, 16, v48
	v_mul_f32_e32 v2, v47, v2
	v_and_b32_e32 v3, 0x7f800000, v2
	v_cmp_ne_u32_e64 s[0:1], s15, v3
                                        ; implicit-def: $vgpr32
	s_and_saveexec_b64 s[12:13], s[0:1]
	s_xor_b64 s[0:1], exec, s[12:13]
; %bb.95:                               ;   in Loop: Header=BB156_40 Depth=1
	v_bfe_u32 v3, v2, 16, 1
	v_add3_u32 v32, v2, v3, s20
                                        ; implicit-def: $vgpr2
; %bb.96:                               ;   in Loop: Header=BB156_40 Depth=1
	s_andn2_saveexec_b64 s[12:13], s[0:1]
; %bb.97:                               ;   in Loop: Header=BB156_40 Depth=1
	v_or_b32_e32 v3, 0x10000, v2
	v_cmp_eq_u32_sdwa s[0:1], v2, v15 src0_sel:WORD_0 src1_sel:DWORD
	s_nop 1
	v_cndmask_b32_e64 v32, v3, v2, s[0:1]
; %bb.98:                               ;   in Loop: Header=BB156_40 Depth=1
	s_or_b64 exec, exec, s[12:13]
	v_and_b32_e32 v48, 0xffff0000, v33
	v_lshlrev_b32_e32 v2, 16, v5
	v_mul_f32_e32 v2, v48, v2
	v_and_b32_e32 v3, 0x7f800000, v2
	v_cmp_ne_u32_e64 s[0:1], s15, v3
                                        ; implicit-def: $vgpr33
	s_and_saveexec_b64 s[12:13], s[0:1]
	s_xor_b64 s[0:1], exec, s[12:13]
; %bb.99:                               ;   in Loop: Header=BB156_40 Depth=1
	v_bfe_u32 v3, v2, 16, 1
	v_add3_u32 v33, v2, v3, s20
                                        ; implicit-def: $vgpr2
; %bb.100:                              ;   in Loop: Header=BB156_40 Depth=1
	s_andn2_saveexec_b64 s[12:13], s[0:1]
; %bb.101:                              ;   in Loop: Header=BB156_40 Depth=1
	v_or_b32_e32 v3, 0x10000, v2
	v_cmp_eq_u32_sdwa s[0:1], v2, v15 src0_sel:WORD_0 src1_sel:DWORD
	s_nop 1
	v_cndmask_b32_e64 v33, v3, v2, s[0:1]
; %bb.102:                              ;   in Loop: Header=BB156_40 Depth=1
	s_or_b64 exec, exec, s[12:13]
	v_and_b32_e32 v49, 0xffff0000, v19
	v_lshlrev_b32_e32 v2, 16, v41
	v_mul_f32_e32 v2, v49, v2
	v_and_b32_e32 v3, 0x7f800000, v2
	v_cmp_ne_u32_e64 s[0:1], s15, v3
                                        ; implicit-def: $vgpr41
	s_and_saveexec_b64 s[12:13], s[0:1]
	s_xor_b64 s[0:1], exec, s[12:13]
; %bb.103:                              ;   in Loop: Header=BB156_40 Depth=1
	v_bfe_u32 v3, v2, 16, 1
	v_add3_u32 v41, v2, v3, s20
                                        ; implicit-def: $vgpr2
; %bb.104:                              ;   in Loop: Header=BB156_40 Depth=1
	s_andn2_saveexec_b64 s[12:13], s[0:1]
; %bb.105:                              ;   in Loop: Header=BB156_40 Depth=1
	v_or_b32_e32 v3, 0x10000, v2
	v_cmp_eq_u32_sdwa s[0:1], v2, v15 src0_sel:WORD_0 src1_sel:DWORD
	s_nop 1
	v_cndmask_b32_e64 v41, v3, v2, s[0:1]
; %bb.106:                              ;   in Loop: Header=BB156_40 Depth=1
	s_or_b64 exec, exec, s[12:13]
	global_load_dwordx4 v[2:5], v[8:9], off offset:1024
	s_waitcnt vmcnt(0)
	v_lshrrev_b32_e32 v51, 16, v2
	v_lshrrev_b32_e32 v53, 16, v3
	;; [unrolled: 1-line block ×4, first 2 shown]
	s_and_saveexec_b64 s[12:13], vcc
	s_cbranch_execz .LBB156_108
; %bb.107:                              ;   in Loop: Header=BB156_40 Depth=1
	v_cmp_gt_i32_e64 s[0:1], s33, v34
	s_nop 1
	v_cndmask_b32_e64 v2, 0, v2, s[0:1]
	v_cmp_gt_i32_e64 s[0:1], s33, v40
	s_nop 1
	v_cndmask_b32_e64 v51, 0, v51, s[0:1]
	;; [unrolled: 3-line block ×8, first 2 shown]
.LBB156_108:                            ;   in Loop: Header=BB156_40 Depth=1
	s_or_b64 exec, exec, s[12:13]
	v_lshlrev_b32_e32 v2, 16, v2
	v_mul_f32_e32 v2, v42, v2
	v_and_b32_e32 v50, 0x7f800000, v2
	v_cmp_ne_u32_e64 s[0:1], s15, v50
                                        ; implicit-def: $vgpr50
	s_and_saveexec_b64 s[12:13], s[0:1]
	s_xor_b64 s[0:1], exec, s[12:13]
; %bb.109:                              ;   in Loop: Header=BB156_40 Depth=1
	v_bfe_u32 v50, v2, 16, 1
	v_add3_u32 v50, v2, v50, s20
                                        ; implicit-def: $vgpr2
; %bb.110:                              ;   in Loop: Header=BB156_40 Depth=1
	s_andn2_saveexec_b64 s[12:13], s[0:1]
; %bb.111:                              ;   in Loop: Header=BB156_40 Depth=1
	v_or_b32_e32 v50, 0x10000, v2
	v_cmp_eq_u32_sdwa s[0:1], v2, v15 src0_sel:WORD_0 src1_sel:DWORD
	s_nop 1
	v_cndmask_b32_e64 v50, v50, v2, s[0:1]
; %bb.112:                              ;   in Loop: Header=BB156_40 Depth=1
	s_or_b64 exec, exec, s[12:13]
	v_lshlrev_b32_e32 v2, 16, v51
	v_mul_f32_e32 v2, v43, v2
	v_and_b32_e32 v51, 0x7f800000, v2
	v_cmp_ne_u32_e64 s[0:1], s15, v51
                                        ; implicit-def: $vgpr51
	s_and_saveexec_b64 s[12:13], s[0:1]
	s_xor_b64 s[0:1], exec, s[12:13]
; %bb.113:                              ;   in Loop: Header=BB156_40 Depth=1
	v_bfe_u32 v51, v2, 16, 1
	v_add3_u32 v51, v2, v51, s20
                                        ; implicit-def: $vgpr2
; %bb.114:                              ;   in Loop: Header=BB156_40 Depth=1
	s_andn2_saveexec_b64 s[12:13], s[0:1]
; %bb.115:                              ;   in Loop: Header=BB156_40 Depth=1
	v_or_b32_e32 v51, 0x10000, v2
	v_cmp_eq_u32_sdwa s[0:1], v2, v15 src0_sel:WORD_0 src1_sel:DWORD
	s_nop 1
	v_cndmask_b32_e64 v51, v51, v2, s[0:1]
; %bb.116:                              ;   in Loop: Header=BB156_40 Depth=1
	s_or_b64 exec, exec, s[12:13]
	v_lshlrev_b32_e32 v2, 16, v3
	v_mul_f32_e32 v2, v44, v2
	v_and_b32_e32 v3, 0x7f800000, v2
	v_cmp_ne_u32_e64 s[0:1], s15, v3
                                        ; implicit-def: $vgpr52
	s_and_saveexec_b64 s[12:13], s[0:1]
	s_xor_b64 s[0:1], exec, s[12:13]
; %bb.117:                              ;   in Loop: Header=BB156_40 Depth=1
	v_bfe_u32 v3, v2, 16, 1
	v_add3_u32 v52, v2, v3, s20
                                        ; implicit-def: $vgpr2
; %bb.118:                              ;   in Loop: Header=BB156_40 Depth=1
	s_andn2_saveexec_b64 s[12:13], s[0:1]
; %bb.119:                              ;   in Loop: Header=BB156_40 Depth=1
	v_or_b32_e32 v3, 0x10000, v2
	v_cmp_eq_u32_sdwa s[0:1], v2, v15 src0_sel:WORD_0 src1_sel:DWORD
	s_nop 1
	v_cndmask_b32_e64 v52, v3, v2, s[0:1]
; %bb.120:                              ;   in Loop: Header=BB156_40 Depth=1
	s_or_b64 exec, exec, s[12:13]
	v_lshlrev_b32_e32 v2, 16, v53
	v_mul_f32_e32 v2, v45, v2
	v_and_b32_e32 v3, 0x7f800000, v2
	v_cmp_ne_u32_e64 s[0:1], s15, v3
                                        ; implicit-def: $vgpr53
	s_and_saveexec_b64 s[12:13], s[0:1]
	s_xor_b64 s[0:1], exec, s[12:13]
; %bb.121:                              ;   in Loop: Header=BB156_40 Depth=1
	v_bfe_u32 v3, v2, 16, 1
	v_add3_u32 v53, v2, v3, s20
                                        ; implicit-def: $vgpr2
; %bb.122:                              ;   in Loop: Header=BB156_40 Depth=1
	s_andn2_saveexec_b64 s[12:13], s[0:1]
; %bb.123:                              ;   in Loop: Header=BB156_40 Depth=1
	v_or_b32_e32 v3, 0x10000, v2
	v_cmp_eq_u32_sdwa s[0:1], v2, v15 src0_sel:WORD_0 src1_sel:DWORD
	s_nop 1
	v_cndmask_b32_e64 v53, v3, v2, s[0:1]
; %bb.124:                              ;   in Loop: Header=BB156_40 Depth=1
	s_or_b64 exec, exec, s[12:13]
	v_lshlrev_b32_e32 v2, 16, v4
	v_mul_f32_e32 v2, v46, v2
	v_and_b32_e32 v3, 0x7f800000, v2
	v_cmp_ne_u32_e64 s[0:1], s15, v3
                                        ; implicit-def: $vgpr54
	s_and_saveexec_b64 s[12:13], s[0:1]
	s_xor_b64 s[0:1], exec, s[12:13]
; %bb.125:                              ;   in Loop: Header=BB156_40 Depth=1
	v_bfe_u32 v3, v2, 16, 1
	v_add3_u32 v54, v2, v3, s20
                                        ; implicit-def: $vgpr2
; %bb.126:                              ;   in Loop: Header=BB156_40 Depth=1
	s_andn2_saveexec_b64 s[12:13], s[0:1]
; %bb.127:                              ;   in Loop: Header=BB156_40 Depth=1
	v_or_b32_e32 v3, 0x10000, v2
	v_cmp_eq_u32_sdwa s[0:1], v2, v15 src0_sel:WORD_0 src1_sel:DWORD
	s_nop 1
	v_cndmask_b32_e64 v54, v3, v2, s[0:1]
; %bb.128:                              ;   in Loop: Header=BB156_40 Depth=1
	s_or_b64 exec, exec, s[12:13]
	v_lshlrev_b32_e32 v2, 16, v55
	v_mul_f32_e32 v2, v47, v2
	v_and_b32_e32 v3, 0x7f800000, v2
	v_cmp_ne_u32_e64 s[0:1], s15, v3
                                        ; implicit-def: $vgpr55
	s_and_saveexec_b64 s[12:13], s[0:1]
	s_xor_b64 s[0:1], exec, s[12:13]
; %bb.129:                              ;   in Loop: Header=BB156_40 Depth=1
	v_bfe_u32 v3, v2, 16, 1
	v_add3_u32 v55, v2, v3, s20
                                        ; implicit-def: $vgpr2
; %bb.130:                              ;   in Loop: Header=BB156_40 Depth=1
	s_andn2_saveexec_b64 s[12:13], s[0:1]
; %bb.131:                              ;   in Loop: Header=BB156_40 Depth=1
	v_or_b32_e32 v3, 0x10000, v2
	v_cmp_eq_u32_sdwa s[0:1], v2, v15 src0_sel:WORD_0 src1_sel:DWORD
	s_nop 1
	v_cndmask_b32_e64 v55, v3, v2, s[0:1]
; %bb.132:                              ;   in Loop: Header=BB156_40 Depth=1
	s_or_b64 exec, exec, s[12:13]
	v_lshlrev_b32_e32 v2, 16, v5
	v_mul_f32_e32 v2, v48, v2
	v_and_b32_e32 v3, 0x7f800000, v2
	v_cmp_ne_u32_e64 s[0:1], s15, v3
                                        ; implicit-def: $vgpr56
	s_and_saveexec_b64 s[12:13], s[0:1]
	s_xor_b64 s[0:1], exec, s[12:13]
; %bb.133:                              ;   in Loop: Header=BB156_40 Depth=1
	v_bfe_u32 v3, v2, 16, 1
	v_add3_u32 v56, v2, v3, s20
                                        ; implicit-def: $vgpr2
; %bb.134:                              ;   in Loop: Header=BB156_40 Depth=1
	s_andn2_saveexec_b64 s[12:13], s[0:1]
; %bb.135:                              ;   in Loop: Header=BB156_40 Depth=1
	v_or_b32_e32 v3, 0x10000, v2
	v_cmp_eq_u32_sdwa s[0:1], v2, v15 src0_sel:WORD_0 src1_sel:DWORD
	s_nop 1
	v_cndmask_b32_e64 v56, v3, v2, s[0:1]
; %bb.136:                              ;   in Loop: Header=BB156_40 Depth=1
	s_or_b64 exec, exec, s[12:13]
	v_lshlrev_b32_e32 v2, 16, v19
	v_mul_f32_e32 v2, v49, v2
	v_and_b32_e32 v3, 0x7f800000, v2
	v_cmp_ne_u32_e64 s[0:1], s15, v3
                                        ; implicit-def: $vgpr57
	s_and_saveexec_b64 s[12:13], s[0:1]
	s_xor_b64 s[0:1], exec, s[12:13]
; %bb.137:                              ;   in Loop: Header=BB156_40 Depth=1
	v_bfe_u32 v3, v2, 16, 1
	v_add3_u32 v57, v2, v3, s20
                                        ; implicit-def: $vgpr2
; %bb.138:                              ;   in Loop: Header=BB156_40 Depth=1
	s_andn2_saveexec_b64 s[12:13], s[0:1]
; %bb.139:                              ;   in Loop: Header=BB156_40 Depth=1
	v_or_b32_e32 v3, 0x10000, v2
	v_cmp_eq_u32_sdwa s[0:1], v2, v15 src0_sel:WORD_0 src1_sel:DWORD
	s_nop 1
	v_cndmask_b32_e64 v57, v3, v2, s[0:1]
; %bb.140:                              ;   in Loop: Header=BB156_40 Depth=1
	s_or_b64 exec, exec, s[12:13]
	global_load_dwordx4 v[2:5], v[8:9], off offset:2048
	s_waitcnt vmcnt(0)
	v_lshrrev_b32_e32 v59, 16, v2
	v_lshrrev_b32_e32 v61, 16, v3
	;; [unrolled: 1-line block ×4, first 2 shown]
	s_and_saveexec_b64 s[12:13], vcc
	s_cbranch_execz .LBB156_142
; %bb.141:                              ;   in Loop: Header=BB156_40 Depth=1
	v_cmp_gt_i32_e64 s[0:1], s33, v34
	s_nop 1
	v_cndmask_b32_e64 v2, 0, v2, s[0:1]
	v_cmp_gt_i32_e64 s[0:1], s33, v40
	s_nop 1
	v_cndmask_b32_e64 v59, 0, v59, s[0:1]
	v_cmp_gt_i32_e64 s[0:1], s33, v38
	s_nop 1
	v_cndmask_b32_e64 v3, 0, v3, s[0:1]
	v_cmp_gt_i32_e64 s[0:1], s33, v37
	s_nop 1
	v_cndmask_b32_e64 v61, 0, v61, s[0:1]
	v_cmp_gt_i32_e64 s[0:1], s33, v36
	s_nop 1
	v_cndmask_b32_e64 v4, 0, v4, s[0:1]
	v_cmp_gt_i32_e64 s[0:1], s33, v35
	s_nop 1
	v_cndmask_b32_e64 v63, 0, v63, s[0:1]
	v_cmp_gt_i32_e64 s[0:1], s33, v39
	s_nop 1
	v_cndmask_b32_e64 v5, 0, v5, s[0:1]
	v_cmp_gt_i32_e64 s[0:1], s33, v25
	s_nop 1
	v_cndmask_b32_e64 v19, 0, v19, s[0:1]
.LBB156_142:                            ;   in Loop: Header=BB156_40 Depth=1
	s_or_b64 exec, exec, s[12:13]
	v_lshlrev_b32_e32 v2, 16, v2
	v_mul_f32_e32 v2, v42, v2
	v_and_b32_e32 v58, 0x7f800000, v2
	v_cmp_ne_u32_e64 s[0:1], s15, v58
                                        ; implicit-def: $vgpr58
	s_and_saveexec_b64 s[12:13], s[0:1]
	s_xor_b64 s[0:1], exec, s[12:13]
; %bb.143:                              ;   in Loop: Header=BB156_40 Depth=1
	v_bfe_u32 v58, v2, 16, 1
	v_add3_u32 v58, v2, v58, s20
                                        ; implicit-def: $vgpr2
; %bb.144:                              ;   in Loop: Header=BB156_40 Depth=1
	s_andn2_saveexec_b64 s[12:13], s[0:1]
; %bb.145:                              ;   in Loop: Header=BB156_40 Depth=1
	v_or_b32_e32 v58, 0x10000, v2
	v_cmp_eq_u32_sdwa s[0:1], v2, v15 src0_sel:WORD_0 src1_sel:DWORD
	s_nop 1
	v_cndmask_b32_e64 v58, v58, v2, s[0:1]
; %bb.146:                              ;   in Loop: Header=BB156_40 Depth=1
	s_or_b64 exec, exec, s[12:13]
	v_lshlrev_b32_e32 v2, 16, v59
	v_mul_f32_e32 v2, v43, v2
	v_and_b32_e32 v59, 0x7f800000, v2
	v_cmp_ne_u32_e64 s[0:1], s15, v59
                                        ; implicit-def: $vgpr59
	s_and_saveexec_b64 s[12:13], s[0:1]
	s_xor_b64 s[0:1], exec, s[12:13]
; %bb.147:                              ;   in Loop: Header=BB156_40 Depth=1
	v_bfe_u32 v59, v2, 16, 1
	v_add3_u32 v59, v2, v59, s20
                                        ; implicit-def: $vgpr2
; %bb.148:                              ;   in Loop: Header=BB156_40 Depth=1
	s_andn2_saveexec_b64 s[12:13], s[0:1]
; %bb.149:                              ;   in Loop: Header=BB156_40 Depth=1
	v_or_b32_e32 v59, 0x10000, v2
	v_cmp_eq_u32_sdwa s[0:1], v2, v15 src0_sel:WORD_0 src1_sel:DWORD
	s_nop 1
	v_cndmask_b32_e64 v59, v59, v2, s[0:1]
; %bb.150:                              ;   in Loop: Header=BB156_40 Depth=1
	s_or_b64 exec, exec, s[12:13]
	v_lshlrev_b32_e32 v2, 16, v3
	v_mul_f32_e32 v2, v44, v2
	v_and_b32_e32 v3, 0x7f800000, v2
	v_cmp_ne_u32_e64 s[0:1], s15, v3
                                        ; implicit-def: $vgpr60
	s_and_saveexec_b64 s[12:13], s[0:1]
	s_xor_b64 s[0:1], exec, s[12:13]
; %bb.151:                              ;   in Loop: Header=BB156_40 Depth=1
	v_bfe_u32 v3, v2, 16, 1
	v_add3_u32 v60, v2, v3, s20
                                        ; implicit-def: $vgpr2
; %bb.152:                              ;   in Loop: Header=BB156_40 Depth=1
	s_andn2_saveexec_b64 s[12:13], s[0:1]
; %bb.153:                              ;   in Loop: Header=BB156_40 Depth=1
	v_or_b32_e32 v3, 0x10000, v2
	v_cmp_eq_u32_sdwa s[0:1], v2, v15 src0_sel:WORD_0 src1_sel:DWORD
	s_nop 1
	v_cndmask_b32_e64 v60, v3, v2, s[0:1]
; %bb.154:                              ;   in Loop: Header=BB156_40 Depth=1
	s_or_b64 exec, exec, s[12:13]
	v_lshlrev_b32_e32 v2, 16, v61
	v_mul_f32_e32 v2, v45, v2
	v_and_b32_e32 v3, 0x7f800000, v2
	v_cmp_ne_u32_e64 s[0:1], s15, v3
                                        ; implicit-def: $vgpr61
	s_and_saveexec_b64 s[12:13], s[0:1]
	s_xor_b64 s[0:1], exec, s[12:13]
; %bb.155:                              ;   in Loop: Header=BB156_40 Depth=1
	v_bfe_u32 v3, v2, 16, 1
	v_add3_u32 v61, v2, v3, s20
                                        ; implicit-def: $vgpr2
; %bb.156:                              ;   in Loop: Header=BB156_40 Depth=1
	s_andn2_saveexec_b64 s[12:13], s[0:1]
; %bb.157:                              ;   in Loop: Header=BB156_40 Depth=1
	v_or_b32_e32 v3, 0x10000, v2
	v_cmp_eq_u32_sdwa s[0:1], v2, v15 src0_sel:WORD_0 src1_sel:DWORD
	s_nop 1
	v_cndmask_b32_e64 v61, v3, v2, s[0:1]
; %bb.158:                              ;   in Loop: Header=BB156_40 Depth=1
	s_or_b64 exec, exec, s[12:13]
	v_lshlrev_b32_e32 v2, 16, v4
	v_mul_f32_e32 v2, v46, v2
	v_and_b32_e32 v3, 0x7f800000, v2
	v_cmp_ne_u32_e64 s[0:1], s15, v3
                                        ; implicit-def: $vgpr62
	s_and_saveexec_b64 s[12:13], s[0:1]
	s_xor_b64 s[0:1], exec, s[12:13]
; %bb.159:                              ;   in Loop: Header=BB156_40 Depth=1
	v_bfe_u32 v3, v2, 16, 1
	v_add3_u32 v62, v2, v3, s20
                                        ; implicit-def: $vgpr2
; %bb.160:                              ;   in Loop: Header=BB156_40 Depth=1
	s_andn2_saveexec_b64 s[12:13], s[0:1]
; %bb.161:                              ;   in Loop: Header=BB156_40 Depth=1
	v_or_b32_e32 v3, 0x10000, v2
	v_cmp_eq_u32_sdwa s[0:1], v2, v15 src0_sel:WORD_0 src1_sel:DWORD
	s_nop 1
	v_cndmask_b32_e64 v62, v3, v2, s[0:1]
; %bb.162:                              ;   in Loop: Header=BB156_40 Depth=1
	s_or_b64 exec, exec, s[12:13]
	v_lshlrev_b32_e32 v2, 16, v63
	v_mul_f32_e32 v2, v47, v2
	v_and_b32_e32 v3, 0x7f800000, v2
	v_cmp_ne_u32_e64 s[0:1], s15, v3
                                        ; implicit-def: $vgpr63
	s_and_saveexec_b64 s[12:13], s[0:1]
	s_xor_b64 s[0:1], exec, s[12:13]
; %bb.163:                              ;   in Loop: Header=BB156_40 Depth=1
	v_bfe_u32 v3, v2, 16, 1
	v_add3_u32 v63, v2, v3, s20
                                        ; implicit-def: $vgpr2
; %bb.164:                              ;   in Loop: Header=BB156_40 Depth=1
	s_andn2_saveexec_b64 s[12:13], s[0:1]
; %bb.165:                              ;   in Loop: Header=BB156_40 Depth=1
	v_or_b32_e32 v3, 0x10000, v2
	v_cmp_eq_u32_sdwa s[0:1], v2, v15 src0_sel:WORD_0 src1_sel:DWORD
	s_nop 1
	v_cndmask_b32_e64 v63, v3, v2, s[0:1]
; %bb.166:                              ;   in Loop: Header=BB156_40 Depth=1
	s_or_b64 exec, exec, s[12:13]
	v_lshlrev_b32_e32 v2, 16, v5
	v_mul_f32_e32 v2, v48, v2
	v_and_b32_e32 v3, 0x7f800000, v2
	v_cmp_ne_u32_e64 s[0:1], s15, v3
                                        ; implicit-def: $vgpr64
	s_and_saveexec_b64 s[12:13], s[0:1]
	s_xor_b64 s[0:1], exec, s[12:13]
; %bb.167:                              ;   in Loop: Header=BB156_40 Depth=1
	v_bfe_u32 v3, v2, 16, 1
	v_add3_u32 v64, v2, v3, s20
                                        ; implicit-def: $vgpr2
; %bb.168:                              ;   in Loop: Header=BB156_40 Depth=1
	s_andn2_saveexec_b64 s[12:13], s[0:1]
; %bb.169:                              ;   in Loop: Header=BB156_40 Depth=1
	v_or_b32_e32 v3, 0x10000, v2
	v_cmp_eq_u32_sdwa s[0:1], v2, v15 src0_sel:WORD_0 src1_sel:DWORD
	s_nop 1
	v_cndmask_b32_e64 v64, v3, v2, s[0:1]
; %bb.170:                              ;   in Loop: Header=BB156_40 Depth=1
	s_or_b64 exec, exec, s[12:13]
	v_lshlrev_b32_e32 v2, 16, v19
	v_mul_f32_e32 v2, v49, v2
	v_and_b32_e32 v3, 0x7f800000, v2
	v_cmp_ne_u32_e64 s[0:1], s15, v3
                                        ; implicit-def: $vgpr65
	s_and_saveexec_b64 s[12:13], s[0:1]
	s_xor_b64 s[0:1], exec, s[12:13]
; %bb.171:                              ;   in Loop: Header=BB156_40 Depth=1
	v_bfe_u32 v3, v2, 16, 1
	v_add3_u32 v65, v2, v3, s20
                                        ; implicit-def: $vgpr2
; %bb.172:                              ;   in Loop: Header=BB156_40 Depth=1
	s_andn2_saveexec_b64 s[12:13], s[0:1]
; %bb.173:                              ;   in Loop: Header=BB156_40 Depth=1
	v_or_b32_e32 v3, 0x10000, v2
	v_cmp_eq_u32_sdwa s[0:1], v2, v15 src0_sel:WORD_0 src1_sel:DWORD
	s_nop 1
	v_cndmask_b32_e64 v65, v3, v2, s[0:1]
; %bb.174:                              ;   in Loop: Header=BB156_40 Depth=1
	s_or_b64 exec, exec, s[12:13]
	global_load_dwordx4 v[2:5], v[8:9], off offset:3072
	s_waitcnt vmcnt(0)
	v_lshrrev_b32_e32 v9, 16, v2
	v_lshrrev_b32_e32 v67, 16, v3
	;; [unrolled: 1-line block ×4, first 2 shown]
	s_and_saveexec_b64 s[12:13], vcc
	s_cbranch_execz .LBB156_176
; %bb.175:                              ;   in Loop: Header=BB156_40 Depth=1
	v_cmp_gt_i32_e64 s[0:1], s33, v34
	s_nop 1
	v_cndmask_b32_e64 v2, 0, v2, s[0:1]
	v_cmp_gt_i32_e64 s[0:1], s33, v40
	s_nop 1
	v_cndmask_b32_e64 v9, 0, v9, s[0:1]
	;; [unrolled: 3-line block ×8, first 2 shown]
.LBB156_176:                            ;   in Loop: Header=BB156_40 Depth=1
	s_or_b64 exec, exec, s[12:13]
	v_lshlrev_b32_e32 v2, 16, v2
	v_mul_f32_e32 v2, v42, v2
	v_and_b32_e32 v8, 0x7f800000, v2
	v_cmp_ne_u32_e64 s[0:1], s15, v8
                                        ; implicit-def: $vgpr8
	s_and_saveexec_b64 s[12:13], s[0:1]
	s_xor_b64 s[0:1], exec, s[12:13]
; %bb.177:                              ;   in Loop: Header=BB156_40 Depth=1
	v_bfe_u32 v8, v2, 16, 1
	v_add3_u32 v8, v2, v8, s20
                                        ; implicit-def: $vgpr2
; %bb.178:                              ;   in Loop: Header=BB156_40 Depth=1
	s_andn2_saveexec_b64 s[12:13], s[0:1]
; %bb.179:                              ;   in Loop: Header=BB156_40 Depth=1
	v_or_b32_e32 v8, 0x10000, v2
	v_cmp_eq_u32_sdwa s[0:1], v2, v15 src0_sel:WORD_0 src1_sel:DWORD
	s_nop 1
	v_cndmask_b32_e64 v8, v8, v2, s[0:1]
; %bb.180:                              ;   in Loop: Header=BB156_40 Depth=1
	s_or_b64 exec, exec, s[12:13]
	v_lshlrev_b32_e32 v2, 16, v9
	v_mul_f32_e32 v2, v43, v2
	v_and_b32_e32 v9, 0x7f800000, v2
	v_cmp_ne_u32_e64 s[0:1], s15, v9
                                        ; implicit-def: $vgpr9
	s_and_saveexec_b64 s[12:13], s[0:1]
	s_xor_b64 s[0:1], exec, s[12:13]
; %bb.181:                              ;   in Loop: Header=BB156_40 Depth=1
	v_bfe_u32 v9, v2, 16, 1
	v_add3_u32 v9, v2, v9, s20
                                        ; implicit-def: $vgpr2
; %bb.182:                              ;   in Loop: Header=BB156_40 Depth=1
	s_andn2_saveexec_b64 s[12:13], s[0:1]
; %bb.183:                              ;   in Loop: Header=BB156_40 Depth=1
	v_or_b32_e32 v9, 0x10000, v2
	v_cmp_eq_u32_sdwa s[0:1], v2, v15 src0_sel:WORD_0 src1_sel:DWORD
	s_nop 1
	v_cndmask_b32_e64 v9, v9, v2, s[0:1]
; %bb.184:                              ;   in Loop: Header=BB156_40 Depth=1
	s_or_b64 exec, exec, s[12:13]
	v_lshlrev_b32_e32 v2, 16, v3
	v_mul_f32_e32 v2, v44, v2
	v_and_b32_e32 v3, 0x7f800000, v2
	v_cmp_ne_u32_e64 s[0:1], s15, v3
                                        ; implicit-def: $vgpr66
	s_and_saveexec_b64 s[12:13], s[0:1]
	s_xor_b64 s[0:1], exec, s[12:13]
; %bb.185:                              ;   in Loop: Header=BB156_40 Depth=1
	v_bfe_u32 v3, v2, 16, 1
	v_add3_u32 v66, v2, v3, s20
                                        ; implicit-def: $vgpr2
; %bb.186:                              ;   in Loop: Header=BB156_40 Depth=1
	s_andn2_saveexec_b64 s[12:13], s[0:1]
; %bb.187:                              ;   in Loop: Header=BB156_40 Depth=1
	v_or_b32_e32 v3, 0x10000, v2
	v_cmp_eq_u32_sdwa s[0:1], v2, v15 src0_sel:WORD_0 src1_sel:DWORD
	s_nop 1
	v_cndmask_b32_e64 v66, v3, v2, s[0:1]
; %bb.188:                              ;   in Loop: Header=BB156_40 Depth=1
	s_or_b64 exec, exec, s[12:13]
	v_lshlrev_b32_e32 v2, 16, v67
	v_mul_f32_e32 v2, v45, v2
	v_and_b32_e32 v3, 0x7f800000, v2
	v_cmp_ne_u32_e64 s[0:1], s15, v3
                                        ; implicit-def: $vgpr67
	s_and_saveexec_b64 s[12:13], s[0:1]
	s_xor_b64 s[0:1], exec, s[12:13]
; %bb.189:                              ;   in Loop: Header=BB156_40 Depth=1
	v_bfe_u32 v3, v2, 16, 1
	v_add3_u32 v67, v2, v3, s20
                                        ; implicit-def: $vgpr2
; %bb.190:                              ;   in Loop: Header=BB156_40 Depth=1
	s_andn2_saveexec_b64 s[12:13], s[0:1]
; %bb.191:                              ;   in Loop: Header=BB156_40 Depth=1
	v_or_b32_e32 v3, 0x10000, v2
	v_cmp_eq_u32_sdwa s[0:1], v2, v15 src0_sel:WORD_0 src1_sel:DWORD
	s_nop 1
	v_cndmask_b32_e64 v67, v3, v2, s[0:1]
; %bb.192:                              ;   in Loop: Header=BB156_40 Depth=1
	s_or_b64 exec, exec, s[12:13]
	v_lshlrev_b32_e32 v2, 16, v4
	v_mul_f32_e32 v2, v46, v2
	v_and_b32_e32 v3, 0x7f800000, v2
	v_cmp_ne_u32_e64 s[0:1], s15, v3
                                        ; implicit-def: $vgpr68
	s_and_saveexec_b64 s[12:13], s[0:1]
	s_xor_b64 s[0:1], exec, s[12:13]
; %bb.193:                              ;   in Loop: Header=BB156_40 Depth=1
	v_bfe_u32 v3, v2, 16, 1
	v_add3_u32 v68, v2, v3, s20
                                        ; implicit-def: $vgpr2
; %bb.194:                              ;   in Loop: Header=BB156_40 Depth=1
	s_andn2_saveexec_b64 s[12:13], s[0:1]
; %bb.195:                              ;   in Loop: Header=BB156_40 Depth=1
	v_or_b32_e32 v3, 0x10000, v2
	v_cmp_eq_u32_sdwa s[0:1], v2, v15 src0_sel:WORD_0 src1_sel:DWORD
	s_nop 1
	v_cndmask_b32_e64 v68, v3, v2, s[0:1]
; %bb.196:                              ;   in Loop: Header=BB156_40 Depth=1
	s_or_b64 exec, exec, s[12:13]
	v_lshlrev_b32_e32 v2, 16, v69
	v_mul_f32_e32 v2, v47, v2
	v_and_b32_e32 v3, 0x7f800000, v2
	v_cmp_ne_u32_e64 s[0:1], s15, v3
                                        ; implicit-def: $vgpr69
	s_and_saveexec_b64 s[12:13], s[0:1]
	s_xor_b64 s[0:1], exec, s[12:13]
; %bb.197:                              ;   in Loop: Header=BB156_40 Depth=1
	v_bfe_u32 v3, v2, 16, 1
	v_add3_u32 v69, v2, v3, s20
                                        ; implicit-def: $vgpr2
; %bb.198:                              ;   in Loop: Header=BB156_40 Depth=1
	s_andn2_saveexec_b64 s[12:13], s[0:1]
; %bb.199:                              ;   in Loop: Header=BB156_40 Depth=1
	v_or_b32_e32 v3, 0x10000, v2
	v_cmp_eq_u32_sdwa s[0:1], v2, v15 src0_sel:WORD_0 src1_sel:DWORD
	s_nop 1
	v_cndmask_b32_e64 v69, v3, v2, s[0:1]
; %bb.200:                              ;   in Loop: Header=BB156_40 Depth=1
	s_or_b64 exec, exec, s[12:13]
	v_lshlrev_b32_e32 v2, 16, v5
	v_mul_f32_e32 v2, v48, v2
	v_and_b32_e32 v3, 0x7f800000, v2
	v_cmp_ne_u32_e64 s[0:1], s15, v3
                                        ; implicit-def: $vgpr70
	s_and_saveexec_b64 s[12:13], s[0:1]
	s_xor_b64 s[0:1], exec, s[12:13]
; %bb.201:                              ;   in Loop: Header=BB156_40 Depth=1
	v_bfe_u32 v3, v2, 16, 1
	v_add3_u32 v70, v2, v3, s20
                                        ; implicit-def: $vgpr2
; %bb.202:                              ;   in Loop: Header=BB156_40 Depth=1
	s_andn2_saveexec_b64 s[12:13], s[0:1]
; %bb.203:                              ;   in Loop: Header=BB156_40 Depth=1
	v_or_b32_e32 v3, 0x10000, v2
	v_cmp_eq_u32_sdwa s[0:1], v2, v15 src0_sel:WORD_0 src1_sel:DWORD
	s_nop 1
	v_cndmask_b32_e64 v70, v3, v2, s[0:1]
; %bb.204:                              ;   in Loop: Header=BB156_40 Depth=1
	s_or_b64 exec, exec, s[12:13]
	v_lshlrev_b32_e32 v2, 16, v19
	v_mul_f32_e32 v2, v49, v2
	v_and_b32_e32 v3, 0x7f800000, v2
	v_cmp_ne_u32_e64 s[0:1], s15, v3
                                        ; implicit-def: $vgpr71
	s_and_saveexec_b64 s[12:13], s[0:1]
	s_xor_b64 s[0:1], exec, s[12:13]
; %bb.205:                              ;   in Loop: Header=BB156_40 Depth=1
	v_bfe_u32 v3, v2, 16, 1
	v_add3_u32 v71, v2, v3, s20
                                        ; implicit-def: $vgpr2
; %bb.206:                              ;   in Loop: Header=BB156_40 Depth=1
	s_andn2_saveexec_b64 s[12:13], s[0:1]
; %bb.207:                              ;   in Loop: Header=BB156_40 Depth=1
	v_or_b32_e32 v3, 0x10000, v2
	v_cmp_eq_u32_sdwa s[0:1], v2, v15 src0_sel:WORD_0 src1_sel:DWORD
	s_nop 1
	v_cndmask_b32_e64 v71, v3, v2, s[0:1]
; %bb.208:                              ;   in Loop: Header=BB156_40 Depth=1
	s_or_b64 exec, exec, s[12:13]
	v_mov_b32_e32 v19, v15
	v_lshl_add_u64 v[2:3], v[6:7], 0, v[18:19]
	global_load_dwordx4 v[2:5], v[2:3], off
	s_waitcnt vmcnt(0)
	v_lshrrev_b32_e32 v6, 16, v2
	v_lshrrev_b32_e32 v19, 16, v3
	;; [unrolled: 1-line block ×4, first 2 shown]
	s_and_saveexec_b64 s[0:1], vcc
	s_cbranch_execz .LBB156_210
; %bb.209:                              ;   in Loop: Header=BB156_40 Depth=1
	v_cmp_gt_i32_e32 vcc, s33, v34
	s_nop 1
	v_cndmask_b32_e32 v2, 0, v2, vcc
	v_cmp_gt_i32_e32 vcc, s33, v40
	s_nop 1
	v_cndmask_b32_e32 v6, 0, v6, vcc
	;; [unrolled: 3-line block ×8, first 2 shown]
.LBB156_210:                            ;   in Loop: Header=BB156_40 Depth=1
	s_or_b64 exec, exec, s[0:1]
	v_lshlrev_b32_e32 v2, 16, v2
	v_mul_f32_e32 v34, v42, v2
	v_and_b32_e32 v2, 0x7f800000, v34
	v_cmp_ne_u32_e32 vcc, s15, v2
                                        ; implicit-def: $vgpr2
	s_and_saveexec_b64 s[0:1], vcc
	s_xor_b64 s[0:1], exec, s[0:1]
; %bb.211:                              ;   in Loop: Header=BB156_40 Depth=1
	v_bfe_u32 v2, v34, 16, 1
	v_add3_u32 v2, v34, v2, s20
                                        ; implicit-def: $vgpr34
; %bb.212:                              ;   in Loop: Header=BB156_40 Depth=1
	s_andn2_saveexec_b64 s[0:1], s[0:1]
; %bb.213:                              ;   in Loop: Header=BB156_40 Depth=1
	v_or_b32_e32 v2, 0x10000, v34
	v_cmp_eq_u32_sdwa vcc, v34, v15 src0_sel:WORD_0 src1_sel:DWORD
	s_nop 1
	v_cndmask_b32_e32 v2, v2, v34, vcc
; %bb.214:                              ;   in Loop: Header=BB156_40 Depth=1
	s_or_b64 exec, exec, s[0:1]
	v_lshlrev_b32_e32 v6, 16, v6
	v_mul_f32_e32 v34, v43, v6
	v_and_b32_e32 v6, 0x7f800000, v34
	v_cmp_ne_u32_e32 vcc, s15, v6
                                        ; implicit-def: $vgpr6
	s_and_saveexec_b64 s[0:1], vcc
	s_xor_b64 s[0:1], exec, s[0:1]
; %bb.215:                              ;   in Loop: Header=BB156_40 Depth=1
	v_bfe_u32 v6, v34, 16, 1
	v_add3_u32 v6, v34, v6, s20
                                        ; implicit-def: $vgpr34
; %bb.216:                              ;   in Loop: Header=BB156_40 Depth=1
	s_andn2_saveexec_b64 s[0:1], s[0:1]
; %bb.217:                              ;   in Loop: Header=BB156_40 Depth=1
	v_or_b32_e32 v6, 0x10000, v34
	v_cmp_eq_u32_sdwa vcc, v34, v15 src0_sel:WORD_0 src1_sel:DWORD
	s_nop 1
	v_cndmask_b32_e32 v6, v6, v34, vcc
; %bb.218:                              ;   in Loop: Header=BB156_40 Depth=1
	s_or_b64 exec, exec, s[0:1]
	v_lshlrev_b32_e32 v3, 16, v3
	v_mul_f32_e32 v34, v44, v3
	v_and_b32_e32 v3, 0x7f800000, v34
	v_cmp_ne_u32_e32 vcc, s15, v3
                                        ; implicit-def: $vgpr3
	s_and_saveexec_b64 s[0:1], vcc
	s_xor_b64 s[0:1], exec, s[0:1]
; %bb.219:                              ;   in Loop: Header=BB156_40 Depth=1
	v_bfe_u32 v3, v34, 16, 1
	v_add3_u32 v3, v34, v3, s20
                                        ; implicit-def: $vgpr34
; %bb.220:                              ;   in Loop: Header=BB156_40 Depth=1
	s_andn2_saveexec_b64 s[0:1], s[0:1]
; %bb.221:                              ;   in Loop: Header=BB156_40 Depth=1
	v_or_b32_e32 v3, 0x10000, v34
	v_cmp_eq_u32_sdwa vcc, v34, v15 src0_sel:WORD_0 src1_sel:DWORD
	s_nop 1
	v_cndmask_b32_e32 v3, v3, v34, vcc
; %bb.222:                              ;   in Loop: Header=BB156_40 Depth=1
	s_or_b64 exec, exec, s[0:1]
	v_lshlrev_b32_e32 v19, 16, v19
	v_mul_f32_e32 v34, v45, v19
	v_and_b32_e32 v19, 0x7f800000, v34
	v_cmp_ne_u32_e32 vcc, s15, v19
                                        ; implicit-def: $vgpr19
	s_and_saveexec_b64 s[0:1], vcc
	s_xor_b64 s[0:1], exec, s[0:1]
; %bb.223:                              ;   in Loop: Header=BB156_40 Depth=1
	v_bfe_u32 v19, v34, 16, 1
	v_add3_u32 v19, v34, v19, s20
                                        ; implicit-def: $vgpr34
; %bb.224:                              ;   in Loop: Header=BB156_40 Depth=1
	s_andn2_saveexec_b64 s[0:1], s[0:1]
; %bb.225:                              ;   in Loop: Header=BB156_40 Depth=1
	v_or_b32_e32 v19, 0x10000, v34
	v_cmp_eq_u32_sdwa vcc, v34, v15 src0_sel:WORD_0 src1_sel:DWORD
	s_nop 1
	v_cndmask_b32_e32 v19, v19, v34, vcc
; %bb.226:                              ;   in Loop: Header=BB156_40 Depth=1
	s_or_b64 exec, exec, s[0:1]
	v_lshlrev_b32_e32 v4, 16, v4
	v_mul_f32_e32 v34, v46, v4
	v_and_b32_e32 v4, 0x7f800000, v34
	v_cmp_ne_u32_e32 vcc, s15, v4
                                        ; implicit-def: $vgpr4
	s_and_saveexec_b64 s[0:1], vcc
	s_xor_b64 s[0:1], exec, s[0:1]
; %bb.227:                              ;   in Loop: Header=BB156_40 Depth=1
	v_bfe_u32 v4, v34, 16, 1
	v_add3_u32 v4, v34, v4, s20
                                        ; implicit-def: $vgpr34
; %bb.228:                              ;   in Loop: Header=BB156_40 Depth=1
	s_andn2_saveexec_b64 s[0:1], s[0:1]
; %bb.229:                              ;   in Loop: Header=BB156_40 Depth=1
	v_or_b32_e32 v4, 0x10000, v34
	v_cmp_eq_u32_sdwa vcc, v34, v15 src0_sel:WORD_0 src1_sel:DWORD
	s_nop 1
	v_cndmask_b32_e32 v4, v4, v34, vcc
; %bb.230:                              ;   in Loop: Header=BB156_40 Depth=1
	s_or_b64 exec, exec, s[0:1]
	v_lshlrev_b32_e32 v34, 16, v72
	v_mul_f32_e32 v35, v47, v34
	v_and_b32_e32 v34, 0x7f800000, v35
	v_cmp_ne_u32_e32 vcc, s15, v34
                                        ; implicit-def: $vgpr34
	s_and_saveexec_b64 s[0:1], vcc
	s_xor_b64 s[0:1], exec, s[0:1]
; %bb.231:                              ;   in Loop: Header=BB156_40 Depth=1
	v_bfe_u32 v34, v35, 16, 1
	v_add3_u32 v34, v35, v34, s20
                                        ; implicit-def: $vgpr35
; %bb.232:                              ;   in Loop: Header=BB156_40 Depth=1
	s_andn2_saveexec_b64 s[0:1], s[0:1]
; %bb.233:                              ;   in Loop: Header=BB156_40 Depth=1
	v_or_b32_e32 v34, 0x10000, v35
	v_cmp_eq_u32_sdwa vcc, v35, v15 src0_sel:WORD_0 src1_sel:DWORD
	s_nop 1
	v_cndmask_b32_e32 v34, v34, v35, vcc
; %bb.234:                              ;   in Loop: Header=BB156_40 Depth=1
	s_or_b64 exec, exec, s[0:1]
	v_lshlrev_b32_e32 v5, 16, v5
	v_mul_f32_e32 v35, v48, v5
	v_and_b32_e32 v5, 0x7f800000, v35
	v_cmp_ne_u32_e32 vcc, s15, v5
                                        ; implicit-def: $vgpr5
	s_and_saveexec_b64 s[0:1], vcc
	s_xor_b64 s[0:1], exec, s[0:1]
; %bb.235:                              ;   in Loop: Header=BB156_40 Depth=1
	v_bfe_u32 v5, v35, 16, 1
	v_add3_u32 v5, v35, v5, s20
                                        ; implicit-def: $vgpr35
; %bb.236:                              ;   in Loop: Header=BB156_40 Depth=1
	s_andn2_saveexec_b64 s[0:1], s[0:1]
; %bb.237:                              ;   in Loop: Header=BB156_40 Depth=1
	v_or_b32_e32 v5, 0x10000, v35
	v_cmp_eq_u32_sdwa vcc, v35, v15 src0_sel:WORD_0 src1_sel:DWORD
	s_nop 1
	v_cndmask_b32_e32 v5, v5, v35, vcc
; %bb.238:                              ;   in Loop: Header=BB156_40 Depth=1
	s_or_b64 exec, exec, s[0:1]
	v_lshlrev_b32_e32 v7, 16, v7
	v_mul_f32_e32 v35, v49, v7
	v_and_b32_e32 v7, 0x7f800000, v35
	v_cmp_ne_u32_e32 vcc, s15, v7
                                        ; implicit-def: $vgpr7
	s_and_saveexec_b64 s[0:1], vcc
	s_xor_b64 s[0:1], exec, s[0:1]
; %bb.239:                              ;   in Loop: Header=BB156_40 Depth=1
	v_bfe_u32 v7, v35, 16, 1
	v_add3_u32 v7, v35, v7, s20
                                        ; implicit-def: $vgpr35
; %bb.240:                              ;   in Loop: Header=BB156_40 Depth=1
	s_andn2_saveexec_b64 s[0:1], s[0:1]
	s_cbranch_execz .LBB156_39
; %bb.241:                              ;   in Loop: Header=BB156_40 Depth=1
	v_or_b32_e32 v7, 0x10000, v35
	v_cmp_eq_u32_sdwa vcc, v35, v15 src0_sel:WORD_0 src1_sel:DWORD
	s_nop 1
	v_cndmask_b32_e32 v7, v7, v35, vcc
	s_branch .LBB156_39
.LBB156_242:
	s_or_b64 exec, exec, s[8:9]
.LBB156_243:
	s_or_b64 exec, exec, s[2:3]
	ds_bpermute_b32 v2, v21, v12
	ds_bpermute_b32 v3, v21, v13
	;; [unrolled: 1-line block ×5, first 2 shown]
	s_waitcnt lgkmcnt(0)
	v_pk_add_f32 v[2:3], v[12:13], v[2:3]
	ds_bpermute_b32 v6, v22, v2
	v_pk_add_f32 v[4:5], v[10:11], v[4:5]
	v_add_f32_e32 v1, v24, v1
	ds_bpermute_b32 v7, v22, v3
	ds_bpermute_b32 v8, v22, v4
	;; [unrolled: 1-line block ×4, first 2 shown]
	s_barrier
	s_waitcnt lgkmcnt(3)
	v_pk_add_f32 v[6:7], v[2:3], v[6:7]
	s_waitcnt lgkmcnt(0)
	v_pk_add_f32 v[2:3], v[4:5], v[8:9]
	v_add_f32_e32 v4, v1, v10
	v_and_b32_e32 v1, 0x3c3, v0
	v_cmp_eq_u32_e32 vcc, 64, v1
	s_and_saveexec_b64 s[0:1], vcc
	s_cbranch_execz .LBB156_245
; %bb.244:
	v_add_u32_e32 v1, 0xb0, v20
	ds_write2_b32 v1, v6, v7 offset1:16
	ds_write2_b32 v1, v2, v3 offset0:32 offset1:48
	ds_write_b32 v1, v4 offset:256
.LBB156_245:
	s_or_b64 exec, exec, s[0:1]
	v_cmp_gt_u32_e32 vcc, 64, v0
	s_waitcnt lgkmcnt(0)
	s_barrier
	s_and_saveexec_b64 s[2:3], vcc
	s_cbranch_execz .LBB156_253
; %bb.246:
	v_cmp_eq_u32_e64 s[0:1], 0, v23
	v_lshrrev_b32_e32 v1, 2, v0
	s_and_saveexec_b64 s[6:7], s[0:1]
	s_cbranch_execnz .LBB156_277
; %bb.247:
	s_or_b64 exec, exec, s[6:7]
	s_and_saveexec_b64 s[6:7], s[0:1]
	s_cbranch_execnz .LBB156_278
.LBB156_248:
	s_or_b64 exec, exec, s[6:7]
	s_and_saveexec_b64 s[6:7], s[0:1]
	s_cbranch_execnz .LBB156_279
.LBB156_249:
	s_or_b64 exec, exec, s[6:7]
	s_and_saveexec_b64 s[6:7], s[0:1]
	s_cbranch_execnz .LBB156_280
.LBB156_250:
	s_or_b64 exec, exec, s[6:7]
	s_and_saveexec_b64 s[6:7], s[0:1]
	s_cbranch_execz .LBB156_252
.LBB156_251:
	v_mov_b32_e32 v5, 0xb0
	v_lshl_add_u32 v1, v1, 2, v5
	ds_read_b32 v1, v1 offset:256
	s_waitcnt lgkmcnt(0)
	v_add_f32_e32 v4, v4, v1
.LBB156_252:
	s_or_b64 exec, exec, s[6:7]
.LBB156_253:
	s_or_b64 exec, exec, s[2:3]
	s_barrier
	s_and_saveexec_b64 s[0:1], vcc
	s_cbranch_execz .LBB156_276
; %bb.254:
	v_cmp_eq_u32_e32 vcc, 0, v23
	s_and_b64 exec, exec, vcc
	s_cbranch_execz .LBB156_276
; %bb.255:
	s_mov_b32 s0, 0x7f800000
	v_and_b32_e32 v1, 0x7f800000, v6
	v_cmp_ne_u32_e32 vcc, s0, v1
                                        ; implicit-def: $vgpr5
	s_and_saveexec_b64 s[0:1], vcc
	s_xor_b64 s[0:1], exec, s[0:1]
; %bb.256:
	v_bfe_u32 v1, v6, 16, 1
	s_movk_i32 s2, 0x7fff
	v_add3_u32 v5, v6, v1, s2
; %bb.257:
	s_andn2_saveexec_b64 s[0:1], s[0:1]
; %bb.258:
	v_mov_b32_e32 v1, 0
	v_or_b32_e32 v5, 0x10000, v6
	v_cmp_eq_u32_sdwa vcc, v6, v1 src0_sel:WORD_0 src1_sel:DWORD
	s_nop 1
	v_cndmask_b32_e32 v5, v5, v6, vcc
; %bb.259:
	s_or_b64 exec, exec, s[0:1]
	s_mul_i32 s0, s10, s11
	s_mul_i32 s0, s0, s5
	s_mulk_i32 s0, 0x50
	s_ashr_i32 s1, s0, 31
	s_lshl_b64 s[0:1], s[0:1], 1
	s_add_u32 s2, s18, s0
	s_mul_i32 s0, s11, s16
	s_addc_u32 s3, s19, s1
	s_ashr_i32 s1, s0, 31
	s_lshl_b64 s[0:1], s[0:1], 1
	s_add_u32 s2, s2, s0
	s_mul_i32 s0, s4, 0x50
	s_addc_u32 s3, s3, s1
	s_ashr_i32 s1, s0, 31
	s_lshl_b64 s[0:1], s[0:1], 1
	s_add_u32 s0, s2, s0
	v_lshrrev_b32_e32 v0, 1, v0
	s_addc_u32 s1, s3, s1
	v_and_b32_e32 v0, 0x1fe, v0
	global_store_short_d16_hi v0, v5, s[0:1]
	s_mov_b32 s2, 0x7f800000
	v_and_b32_e32 v5, 0x7f800000, v7
	v_mov_b32_e32 v1, 0
	v_cmp_ne_u32_e32 vcc, s2, v5
                                        ; implicit-def: $vgpr5
	s_and_saveexec_b64 s[2:3], vcc
	s_xor_b64 s[2:3], exec, s[2:3]
; %bb.260:
	v_bfe_u32 v5, v7, 16, 1
	s_movk_i32 s4, 0x7fff
	v_add3_u32 v5, v7, v5, s4
; %bb.261:
	s_or_saveexec_b64 s[2:3], s[2:3]
	v_lshl_add_u64 v[8:9], s[0:1], 0, v[0:1]
	s_xor_b64 exec, exec, s[2:3]
; %bb.262:
	v_mov_b32_e32 v0, 0
	v_or_b32_e32 v1, 0x10000, v7
	v_cmp_eq_u32_sdwa vcc, v7, v0 src0_sel:WORD_0 src1_sel:DWORD
	s_nop 1
	v_cndmask_b32_e32 v5, v1, v7, vcc
; %bb.263:
	s_or_b64 exec, exec, s[2:3]
	s_mov_b32 s0, 0x7f800000
	v_and_b32_e32 v0, 0x7f800000, v2
	v_cmp_ne_u32_e32 vcc, s0, v0
	global_store_short_d16_hi v[8:9], v5, off offset:32
                                        ; implicit-def: $vgpr0
	s_and_saveexec_b64 s[0:1], vcc
	s_xor_b64 s[0:1], exec, s[0:1]
; %bb.264:
	v_bfe_u32 v0, v2, 16, 1
	s_movk_i32 s2, 0x7fff
	v_add3_u32 v0, v2, v0, s2
; %bb.265:
	s_andn2_saveexec_b64 s[0:1], s[0:1]
; %bb.266:
	v_mov_b32_e32 v0, 0
	v_or_b32_e32 v1, 0x10000, v2
	v_cmp_eq_u32_sdwa vcc, v2, v0 src0_sel:WORD_0 src1_sel:DWORD
	s_nop 1
	v_cndmask_b32_e32 v0, v1, v2, vcc
; %bb.267:
	s_or_b64 exec, exec, s[0:1]
	global_store_short_d16_hi v[8:9], v0, off offset:64
	s_mov_b32 s0, 0x7f800000
	v_and_b32_e32 v0, 0x7f800000, v3
	v_cmp_ne_u32_e32 vcc, s0, v0
                                        ; implicit-def: $vgpr0
	s_and_saveexec_b64 s[0:1], vcc
	s_xor_b64 s[0:1], exec, s[0:1]
; %bb.268:
	v_bfe_u32 v0, v3, 16, 1
	s_movk_i32 s2, 0x7fff
	v_add3_u32 v0, v3, v0, s2
; %bb.269:
	s_andn2_saveexec_b64 s[0:1], s[0:1]
; %bb.270:
	v_mov_b32_e32 v0, 0
	v_or_b32_e32 v1, 0x10000, v3
	v_cmp_eq_u32_sdwa vcc, v3, v0 src0_sel:WORD_0 src1_sel:DWORD
	s_nop 1
	v_cndmask_b32_e32 v0, v1, v3, vcc
; %bb.271:
	s_or_b64 exec, exec, s[0:1]
	global_store_short_d16_hi v[8:9], v0, off offset:96
	s_mov_b32 s0, 0x7f800000
	v_and_b32_e32 v0, 0x7f800000, v4
	v_cmp_ne_u32_e32 vcc, s0, v0
                                        ; implicit-def: $vgpr5
	s_and_saveexec_b64 s[0:1], vcc
	s_xor_b64 s[0:1], exec, s[0:1]
; %bb.272:
	v_bfe_u32 v0, v4, 16, 1
	s_movk_i32 s2, 0x7fff
	v_add3_u32 v5, v4, v0, s2
                                        ; implicit-def: $vgpr0_vgpr1_vgpr2_vgpr3_vgpr4
; %bb.273:
	s_andn2_saveexec_b64 s[0:1], s[0:1]
; %bb.274:
	v_mov_b32_e32 v0, 0
	v_or_b32_e32 v1, 0x10000, v4
	v_cmp_eq_u32_sdwa vcc, v4, v0 src0_sel:WORD_0 src1_sel:DWORD
	s_nop 1
	v_cndmask_b32_e32 v5, v1, v4, vcc
; %bb.275:
	s_or_b64 exec, exec, s[0:1]
	global_store_short_d16_hi v[8:9], v5, off offset:128
.LBB156_276:
	s_endpgm
.LBB156_277:
	v_mov_b32_e32 v5, 0xb0
	v_lshl_add_u32 v5, v1, 2, v5
	ds_read_b32 v5, v5
	s_waitcnt lgkmcnt(0)
	v_add_f32_e32 v6, v6, v5
	s_or_b64 exec, exec, s[6:7]
	s_and_saveexec_b64 s[6:7], s[0:1]
	s_cbranch_execz .LBB156_248
.LBB156_278:
	v_mov_b32_e32 v5, 0xb0
	v_lshl_add_u32 v5, v1, 2, v5
	ds_read_b32 v5, v5 offset:64
	s_waitcnt lgkmcnt(0)
	v_add_f32_e32 v7, v7, v5
	s_or_b64 exec, exec, s[6:7]
	s_and_saveexec_b64 s[6:7], s[0:1]
	s_cbranch_execz .LBB156_249
.LBB156_279:
	v_mov_b32_e32 v5, 0xb0
	v_lshl_add_u32 v5, v1, 2, v5
	ds_read_b32 v5, v5 offset:128
	s_waitcnt lgkmcnt(0)
	v_add_f32_e32 v2, v2, v5
	s_or_b64 exec, exec, s[6:7]
	s_and_saveexec_b64 s[6:7], s[0:1]
	s_cbranch_execz .LBB156_250
.LBB156_280:
	v_mov_b32_e32 v5, 0xb0
	v_lshl_add_u32 v5, v1, 2, v5
	ds_read_b32 v5, v5 offset:192
	s_waitcnt lgkmcnt(0)
	v_add_f32_e32 v3, v3, v5
	s_or_b64 exec, exec, s[6:7]
	s_and_saveexec_b64 s[6:7], s[0:1]
	s_cbranch_execnz .LBB156_251
	s_branch .LBB156_252
	.section	.rodata,"a",@progbits
	.p2align	6, 0x0
	.amdhsa_kernel _ZN4vllm25paged_attention_v1_kernelI14__hip_bfloat16S1_Li80ELi32ELi128ELNS_18Fp8KVCacheDataTypeE0ELb0EEEvPT_PKS3_PKT0_S9_ifPKiSB_iPKfiiiSD_SD_iiiii
		.amdhsa_group_segment_fixed_size 176
		.amdhsa_private_segment_fixed_size 0
		.amdhsa_kernarg_size 384
		.amdhsa_user_sgpr_count 2
		.amdhsa_user_sgpr_dispatch_ptr 0
		.amdhsa_user_sgpr_queue_ptr 0
		.amdhsa_user_sgpr_kernarg_segment_ptr 1
		.amdhsa_user_sgpr_dispatch_id 0
		.amdhsa_user_sgpr_kernarg_preload_length 0
		.amdhsa_user_sgpr_kernarg_preload_offset 0
		.amdhsa_user_sgpr_private_segment_size 0
		.amdhsa_uses_dynamic_stack 0
		.amdhsa_enable_private_segment 0
		.amdhsa_system_sgpr_workgroup_id_x 1
		.amdhsa_system_sgpr_workgroup_id_y 1
		.amdhsa_system_sgpr_workgroup_id_z 1
		.amdhsa_system_sgpr_workgroup_info 0
		.amdhsa_system_vgpr_workitem_id 0
		.amdhsa_next_free_vgpr 95
		.amdhsa_next_free_sgpr 35
		.amdhsa_accum_offset 96
		.amdhsa_reserve_vcc 1
		.amdhsa_float_round_mode_32 0
		.amdhsa_float_round_mode_16_64 0
		.amdhsa_float_denorm_mode_32 3
		.amdhsa_float_denorm_mode_16_64 3
		.amdhsa_dx10_clamp 1
		.amdhsa_ieee_mode 1
		.amdhsa_fp16_overflow 0
		.amdhsa_tg_split 0
		.amdhsa_exception_fp_ieee_invalid_op 0
		.amdhsa_exception_fp_denorm_src 0
		.amdhsa_exception_fp_ieee_div_zero 0
		.amdhsa_exception_fp_ieee_overflow 0
		.amdhsa_exception_fp_ieee_underflow 0
		.amdhsa_exception_fp_ieee_inexact 0
		.amdhsa_exception_int_div_zero 0
	.end_amdhsa_kernel
	.section	.text._ZN4vllm25paged_attention_v1_kernelI14__hip_bfloat16S1_Li80ELi32ELi128ELNS_18Fp8KVCacheDataTypeE0ELb0EEEvPT_PKS3_PKT0_S9_ifPKiSB_iPKfiiiSD_SD_iiiii,"axG",@progbits,_ZN4vllm25paged_attention_v1_kernelI14__hip_bfloat16S1_Li80ELi32ELi128ELNS_18Fp8KVCacheDataTypeE0ELb0EEEvPT_PKS3_PKT0_S9_ifPKiSB_iPKfiiiSD_SD_iiiii,comdat
.Lfunc_end156:
	.size	_ZN4vllm25paged_attention_v1_kernelI14__hip_bfloat16S1_Li80ELi32ELi128ELNS_18Fp8KVCacheDataTypeE0ELb0EEEvPT_PKS3_PKT0_S9_ifPKiSB_iPKfiiiSD_SD_iiiii, .Lfunc_end156-_ZN4vllm25paged_attention_v1_kernelI14__hip_bfloat16S1_Li80ELi32ELi128ELNS_18Fp8KVCacheDataTypeE0ELb0EEEvPT_PKS3_PKT0_S9_ifPKiSB_iPKfiiiSD_SD_iiiii
                                        ; -- End function
	.section	.AMDGPU.csdata,"",@progbits
; Kernel info:
; codeLenInByte = 9932
; NumSgprs: 41
; NumVgprs: 95
; NumAgprs: 0
; TotalNumVgprs: 95
; ScratchSize: 0
; MemoryBound: 0
; FloatMode: 240
; IeeeMode: 1
; LDSByteSize: 176 bytes/workgroup (compile time only)
; SGPRBlocks: 5
; VGPRBlocks: 11
; NumSGPRsForWavesPerEU: 41
; NumVGPRsForWavesPerEU: 95
; AccumOffset: 96
; Occupancy: 5
; WaveLimiterHint : 1
; COMPUTE_PGM_RSRC2:SCRATCH_EN: 0
; COMPUTE_PGM_RSRC2:USER_SGPR: 2
; COMPUTE_PGM_RSRC2:TRAP_HANDLER: 0
; COMPUTE_PGM_RSRC2:TGID_X_EN: 1
; COMPUTE_PGM_RSRC2:TGID_Y_EN: 1
; COMPUTE_PGM_RSRC2:TGID_Z_EN: 1
; COMPUTE_PGM_RSRC2:TIDIG_COMP_CNT: 0
; COMPUTE_PGM_RSRC3_GFX90A:ACCUM_OFFSET: 23
; COMPUTE_PGM_RSRC3_GFX90A:TG_SPLIT: 0
	.section	.text._ZN4vllm25paged_attention_v1_kernelI14__hip_bfloat16S1_Li96ELi32ELi128ELNS_18Fp8KVCacheDataTypeE0ELb0EEEvPT_PKS3_PKT0_S9_ifPKiSB_iPKfiiiSD_SD_iiiii,"axG",@progbits,_ZN4vllm25paged_attention_v1_kernelI14__hip_bfloat16S1_Li96ELi32ELi128ELNS_18Fp8KVCacheDataTypeE0ELb0EEEvPT_PKS3_PKT0_S9_ifPKiSB_iPKfiiiSD_SD_iiiii,comdat
	.protected	_ZN4vllm25paged_attention_v1_kernelI14__hip_bfloat16S1_Li96ELi32ELi128ELNS_18Fp8KVCacheDataTypeE0ELb0EEEvPT_PKS3_PKT0_S9_ifPKiSB_iPKfiiiSD_SD_iiiii ; -- Begin function _ZN4vllm25paged_attention_v1_kernelI14__hip_bfloat16S1_Li96ELi32ELi128ELNS_18Fp8KVCacheDataTypeE0ELb0EEEvPT_PKS3_PKT0_S9_ifPKiSB_iPKfiiiSD_SD_iiiii
	.globl	_ZN4vllm25paged_attention_v1_kernelI14__hip_bfloat16S1_Li96ELi32ELi128ELNS_18Fp8KVCacheDataTypeE0ELb0EEEvPT_PKS3_PKT0_S9_ifPKiSB_iPKfiiiSD_SD_iiiii
	.p2align	8
	.type	_ZN4vllm25paged_attention_v1_kernelI14__hip_bfloat16S1_Li96ELi32ELi128ELNS_18Fp8KVCacheDataTypeE0ELb0EEEvPT_PKS3_PKT0_S9_ifPKiSB_iPKfiiiSD_SD_iiiii,@function
_ZN4vllm25paged_attention_v1_kernelI14__hip_bfloat16S1_Li96ELi32ELi128ELNS_18Fp8KVCacheDataTypeE0ELb0EEEvPT_PKS3_PKT0_S9_ifPKiSB_iPKfiiiSD_SD_iiiii: ; @_ZN4vllm25paged_attention_v1_kernelI14__hip_bfloat16S1_Li96ELi32ELi128ELNS_18Fp8KVCacheDataTypeE0ELb0EEEvPT_PKS3_PKT0_S9_ifPKiSB_iPKfiiiSD_SD_iiiii
; %bb.0:
	s_load_dword s5, s[0:1], 0x80
	s_load_dwordx2 s[6:7], s[0:1], 0x30
	s_load_dwordx2 s[8:9], s[0:1], 0x20
	s_mov_b32 s10, s3
	s_ashr_i32 s11, s3, 31
	s_lshl_b64 s[12:13], s[10:11], 2
	s_waitcnt lgkmcnt(0)
	s_add_u32 s6, s6, s12
	s_addc_u32 s7, s7, s13
	s_abs_i32 s3, s8
	v_cvt_f32_u32_e32 v1, s3
	s_sub_i32 s12, 0, s3
	s_abs_i32 s11, s5
	s_xor_b32 s8, s5, s8
	v_rcp_iflag_f32_e32 v1, v1
	s_ashr_i32 s8, s8, 31
	v_mul_f32_e32 v1, 0x4f7ffffe, v1
	v_cvt_u32_f32_e32 v1, v1
	s_nop 0
	v_readfirstlane_b32 s13, v1
	s_mul_i32 s12, s12, s13
	s_mul_hi_u32 s12, s13, s12
	s_add_i32 s13, s13, s12
	s_mul_hi_u32 s12, s11, s13
	s_mul_i32 s13, s12, s3
	s_sub_i32 s11, s11, s13
	s_add_i32 s13, s12, 1
	s_sub_i32 s14, s11, s3
	s_cmp_ge_u32 s11, s3
	s_cselect_b32 s12, s13, s12
	s_cselect_b32 s11, s14, s11
	s_add_i32 s13, s12, 1
	s_cmp_ge_u32 s11, s3
	s_cselect_b32 s3, s13, s12
	s_xor_b32 s3, s3, s8
	s_sub_i32 s14, s3, s8
	s_abs_i32 s11, s14
	v_cvt_f32_u32_e32 v1, s11
	s_load_dwordx2 s[12:13], s[0:1], 0x40
	s_sub_i32 s3, 0, s11
	s_abs_i32 s18, s2
	v_rcp_iflag_f32_e32 v1, v1
	s_mov_b32 s8, 0
	v_mul_f32_e32 v1, 0x4f7ffffe, v1
	v_cvt_u32_f32_e32 v1, v1
	s_nop 0
	v_readfirstlane_b32 s15, v1
	s_mul_i32 s3, s3, s15
	s_mul_hi_u32 s3, s15, s3
	s_add_i32 s15, s15, s3
	s_waitcnt lgkmcnt(0)
	s_cmp_eq_u64 s[12:13], 0
	s_mul_hi_u32 s19, s18, s15
	s_cbranch_scc1 .LBB157_2
; %bb.1:
	s_ashr_i32 s3, s2, 31
	s_lshl_b64 s[16:17], s[2:3], 2
	s_add_u32 s12, s12, s16
	s_addc_u32 s13, s13, s17
	s_load_dword s8, s[12:13], 0x0
.LBB157_2:
	s_load_dword s33, s[6:7], 0x0
	s_ashr_i32 s7, s14, 31
	s_load_dwordx4 s[12:15], s[0:1], 0x48
	s_ashr_i32 s6, s2, 31
	v_and_b32_e32 v4, 1, v0
	s_waitcnt lgkmcnt(0)
	s_movk_i32 s15, 0x60
	s_mul_i32 s16, s2, 0x60
	v_cmp_gt_u32_e32 vcc, 24, v0
	v_lshlrev_b32_e32 v20, 3, v0
	s_and_saveexec_b64 s[2:3], vcc
	s_cbranch_execz .LBB157_4
; %bb.3:
	s_load_dwordx2 s[20:21], s[0:1], 0x8
	s_mul_i32 s22, s10, s12
	s_ashr_i32 s23, s22, 31
	s_lshl_b64 s[22:23], s[22:23], 1
	v_lshlrev_b32_e32 v1, 2, v0
	s_waitcnt lgkmcnt(0)
	s_add_u32 s12, s20, s22
	s_addc_u32 s22, s21, s23
	s_ashr_i32 s17, s16, 31
	s_lshl_b64 s[20:21], s[16:17], 1
	s_add_u32 s20, s12, s20
	s_addc_u32 s21, s22, s21
	global_load_dwordx2 v[2:3], v20, s[20:21]
	v_and_b32_e32 v1, 0xff8, v1
	v_mad_u32_u24 v1, v4, s15, v1
	s_waitcnt vmcnt(0)
	ds_write_b64 v1, v[2:3]
.LBB157_4:
	s_or_b64 exec, exec, s[2:3]
	s_add_i32 s3, s33, 31
	s_ashr_i32 s12, s3, 31
	s_lshr_b32 s12, s12, 27
	s_add_i32 s3, s3, s12
	s_ashr_i32 s17, s3, 5
	s_xor_b32 s3, s6, s7
	s_mul_i32 s6, s19, s11
	s_sub_i32 s6, s18, s6
	s_add_i32 s7, s19, 1
	s_sub_i32 s12, s6, s11
	s_load_dwordx2 s[20:21], s[0:1], 0x28
	s_load_dword s2, s[0:1], 0x38
	s_cmp_ge_u32 s6, s11
	s_cselect_b32 s7, s7, s19
	s_cselect_b32 s6, s12, s6
	s_add_i32 s12, s7, 1
	s_cmp_ge_u32 s6, s11
	s_cselect_b32 s6, s12, s7
	v_lshrrev_b32_e32 v1, 6, v0
	s_xor_b32 s6, s6, s3
	s_waitcnt lgkmcnt(0)
	s_mul_i32 s22, s10, s2
	s_sub_i32 s12, s6, s3
	s_ashr_i32 s23, s22, 31
	v_cmp_gt_i32_e64 s[6:7], s17, v1
	v_cmp_le_i32_e32 vcc, s17, v1
	v_mbcnt_lo_u32_b32 v5, -1, 0
	s_barrier
	s_waitcnt lgkmcnt(0)
                                        ; implicit-def: $sgpr15
                                        ; implicit-def: $vgpr22
                                        ; implicit-def: $vgpr23
	s_and_saveexec_b64 s[2:3], vcc
	s_xor_b64 s[2:3], exec, s[2:3]
; %bb.5:
	v_mbcnt_hi_u32_b32 v22, -1, v5
	v_and_b32_e32 v2, 64, v22
	v_add_u32_e32 v23, 64, v2
	s_mov_b32 s15, 0xff7fffff
                                        ; implicit-def: $vgpr4
                                        ; implicit-def: $vgpr5
; %bb.6:
	s_or_saveexec_b64 s[26:27], s[2:3]
	s_load_dwordx2 s[18:19], s[0:1], 0x0
	s_load_dwordx2 s[24:25], s[0:1], 0x18
	s_load_dword s11, s[0:1], 0x88
	v_mov_b32_e32 v72, s15
	s_mul_i32 s14, s12, s14
	v_lshrrev_b32_e32 v21, 4, v0
	s_xor_b64 exec, exec, s[26:27]
	s_cbranch_execz .LBB157_12
; %bb.7:
	s_load_dwordx2 s[0:1], s[0:1], 0x10
	v_mul_u32_u24_e32 v2, 0x60, v4
	ds_read_b128 v[6:9], v2
	s_ashr_i32 s15, s14, 31
	ds_read_b128 v[10:13], v2 offset:16
	ds_read_b128 v[14:17], v2 offset:32
	ds_read_b128 v[52:55], v2 offset:48
	s_lshl_b64 s[2:3], s[14:15], 1
	v_mbcnt_hi_u32_b32 v22, -1, v5
	v_bfe_u32 v72, v0, 1, 5
	s_waitcnt lgkmcnt(0)
	s_add_u32 s0, s0, s2
	v_cmp_eq_u32_e32 vcc, 0, v4
	v_and_b32_e32 v4, 64, v22
	s_addc_u32 s1, s1, s3
	v_lshlrev_b32_e32 v18, 4, v72
	v_mov_b32_e32 v19, 0
	v_lshlrev_b32_e32 v24, 16, v6
	v_and_b32_e32 v25, 0xffff0000, v6
	v_lshlrev_b32_e32 v26, 16, v7
	v_and_b32_e32 v27, 0xffff0000, v7
	;; [unrolled: 2-line block ×8, first 2 shown]
	ds_read_b128 v[6:9], v2 offset:64
	ds_read_b128 v[10:13], v2 offset:80
	v_xor_b32_e32 v5, 1, v22
	v_add_u32_e32 v23, 64, v4
	v_lshl_add_u64 v[2:3], s[0:1], 0, v[18:19]
	v_cmp_lt_i32_e64 s[0:1], v5, v23
	s_sub_i32 s15, 1, s33
	v_and_b32_e32 v18, 8, v20
	v_cndmask_b32_e64 v4, v22, v5, s[0:1]
	s_lshl_b64 s[0:1], s[22:23], 2
	v_lshlrev_b32_e32 v73, 2, v4
	v_lshlrev_b32_e32 v4, 2, v72
	s_add_u32 s0, s20, s0
	v_lshl_add_u64 v[2:3], v[2:3], 0, v[18:19]
	v_lshl_or_b32 v4, v1, 7, v4
	v_and_b32_e32 v18, 60, v21
	s_addc_u32 s1, s21, s1
	s_mov_b32 s12, s13
	v_lshlrev_b32_e32 v40, 16, v14
	v_and_b32_e32 v41, 0xffff0000, v14
	v_lshlrev_b32_e32 v42, 16, v15
	v_and_b32_e32 v43, 0xffff0000, v15
	;; [unrolled: 2-line block ×8, first 2 shown]
	s_waitcnt lgkmcnt(1)
	v_lshlrev_b32_e32 v56, 16, v6
	v_and_b32_e32 v57, 0xffff0000, v6
	v_lshlrev_b32_e32 v58, 16, v7
	v_and_b32_e32 v59, 0xffff0000, v7
	;; [unrolled: 2-line block ×4, first 2 shown]
	s_waitcnt lgkmcnt(0)
	v_lshlrev_b32_e32 v64, 16, v10
	v_and_b32_e32 v65, 0xffff0000, v10
	v_lshlrev_b32_e32 v66, 16, v11
	v_and_b32_e32 v67, 0xffff0000, v11
	;; [unrolled: 2-line block ×4, first 2 shown]
	v_cmp_neq_f32_e64 s[2:3], s8, 0
	v_lshl_or_b32 v74, v1, 5, v72
	v_add_u32_e32 v75, 0xd0, v4
	v_lshl_add_u64 v[4:5], s[0:1], 0, v[18:19]
	s_mov_b64 s[28:29], 0
	s_movk_i32 s34, 0x1000
	v_mov_b32_e32 v72, 0xff7fffff
	v_mov_b32_e32 v76, v1
	s_branch .LBB157_9
.LBB157_8:                              ;   in Loop: Header=BB157_9 Depth=1
	s_or_b64 exec, exec, s[30:31]
	v_add_u32_e32 v76, 2, v76
	v_cmp_le_i32_e64 s[0:1], s17, v76
	v_add_u32_e32 v74, 64, v74
	v_add_u32_e32 v75, 0x100, v75
	s_or_b64 s[28:29], s[0:1], s[28:29]
	v_lshl_add_u64 v[4:5], v[4:5], 0, 8
	s_andn2_b64 exec, exec, s[28:29]
	s_cbranch_execz .LBB157_11
.LBB157_9:                              ; =>This Inner Loop Header: Depth=1
	global_load_dword v6, v[4:5], off
	s_waitcnt vmcnt(0) lgkmcnt(0)
	v_mad_i64_i32 v[6:7], s[0:1], v6, s12, 0
	v_lshl_add_u64 v[78:79], v[6:7], 1, v[2:3]
	global_load_dwordx2 v[12:13], v[78:79], off
	global_load_dwordx2 v[10:11], v[78:79], off offset:512
	global_load_dwordx2 v[8:9], v[78:79], off offset:1024
	global_load_dwordx2 v[6:7], v[78:79], off offset:1536
	global_load_dwordx2 v[18:19], v[78:79], off offset:2048
	global_load_dwordx2 v[16:17], v[78:79], off offset:2560
	global_load_dwordx2 v[14:15], v[78:79], off offset:3072
	global_load_dwordx2 v[80:81], v[78:79], off offset:3584
	v_add_co_u32_e64 v78, s[0:1], s34, v78
	s_waitcnt vmcnt(7)
	v_lshlrev_b32_e32 v77, 16, v12
	v_addc_co_u32_e64 v79, s[0:1], 0, v79, s[0:1]
	global_load_dwordx2 v[82:83], v[78:79], off
	global_load_dwordx2 v[84:85], v[78:79], off offset:512
	global_load_dwordx2 v[86:87], v[78:79], off offset:1024
	s_nop 0
	global_load_dwordx2 v[78:79], v[78:79], off offset:1536
	s_waitcnt vmcnt(10)
	v_lshlrev_b32_e32 v89, 16, v10
	v_and_b32_e32 v10, 0xffff0000, v10
	v_and_b32_e32 v12, 0xffff0000, v12
	v_lshlrev_b32_e32 v90, 16, v11
	v_mul_f32_e32 v89, v28, v89
	v_mul_f32_e32 v10, v29, v10
	v_lshlrev_b32_e32 v88, 16, v13
	v_and_b32_e32 v11, 0xffff0000, v11
	s_waitcnt vmcnt(9)
	v_lshlrev_b32_e32 v91, 16, v8
	v_and_b32_e32 v8, 0xffff0000, v8
	v_mul_f32_e32 v90, v30, v90
	v_fmac_f32_e32 v89, v24, v77
	v_fmac_f32_e32 v10, v25, v12
	v_and_b32_e32 v13, 0xffff0000, v13
	v_lshlrev_b32_e32 v92, 16, v9
	s_waitcnt vmcnt(8)
	v_lshlrev_b32_e32 v93, 16, v6
	v_and_b32_e32 v6, 0xffff0000, v6
	v_mul_f32_e32 v11, v31, v11
	v_fmac_f32_e32 v90, v26, v88
	v_fmac_f32_e32 v89, v32, v91
	v_fmac_f32_e32 v10, v33, v8
	v_and_b32_e32 v9, 0xffff0000, v9
	v_lshlrev_b32_e32 v94, 16, v7
	s_waitcnt vmcnt(7)
	v_lshlrev_b32_e32 v95, 16, v18
	v_and_b32_e32 v18, 0xffff0000, v18
	v_fmac_f32_e32 v11, v27, v13
	v_fmac_f32_e32 v90, v34, v92
	v_fmac_f32_e32 v89, v36, v93
	v_fmac_f32_e32 v10, v37, v6
	v_and_b32_e32 v7, 0xffff0000, v7
	v_lshlrev_b32_e32 v96, 16, v19
	s_waitcnt vmcnt(6)
	v_lshlrev_b32_e32 v97, 16, v16
	v_and_b32_e32 v16, 0xffff0000, v16
	v_fmac_f32_e32 v11, v35, v9
	;; [unrolled: 9-line block ×4, first 2 shown]
	v_fmac_f32_e32 v90, v46, v98
	v_fmac_f32_e32 v89, v48, v99
	;; [unrolled: 1-line block ×3, first 2 shown]
	v_and_b32_e32 v15, 0xffff0000, v15
	v_lshlrev_b32_e32 v102, 16, v81
	v_fmac_f32_e32 v11, v47, v17
	v_fmac_f32_e32 v90, v50, v100
	;; [unrolled: 1-line block ×4, first 2 shown]
	v_and_b32_e32 v81, 0xffff0000, v81
	v_fmac_f32_e32 v11, v51, v15
	v_fmac_f32_e32 v90, v54, v102
	;; [unrolled: 1-line block ×3, first 2 shown]
	s_waitcnt vmcnt(3)
	v_lshlrev_b32_e32 v103, 16, v82
	v_and_b32_e32 v82, 0xffff0000, v82
	v_lshlrev_b32_e32 v104, 16, v83
	s_waitcnt vmcnt(2)
	v_lshlrev_b32_e32 v105, 16, v84
	v_and_b32_e32 v84, 0xffff0000, v84
	v_fmac_f32_e32 v89, v56, v103
	v_fmac_f32_e32 v10, v57, v82
	v_and_b32_e32 v83, 0xffff0000, v83
	v_lshlrev_b32_e32 v106, 16, v85
	s_waitcnt vmcnt(1)
	v_lshlrev_b32_e32 v107, 16, v86
	v_and_b32_e32 v86, 0xffff0000, v86
	v_fmac_f32_e32 v90, v58, v104
	v_fmac_f32_e32 v89, v60, v105
	;; [unrolled: 1-line block ×3, first 2 shown]
	v_and_b32_e32 v85, 0xffff0000, v85
	v_lshlrev_b32_e32 v108, 16, v87
	s_waitcnt vmcnt(0)
	v_lshlrev_b32_e32 v109, 16, v78
	v_and_b32_e32 v78, 0xffff0000, v78
	v_fmac_f32_e32 v11, v59, v83
	v_fmac_f32_e32 v90, v62, v106
	;; [unrolled: 1-line block ×4, first 2 shown]
	v_and_b32_e32 v87, 0xffff0000, v87
	v_lshlrev_b32_e32 v110, 16, v79
	v_fmac_f32_e32 v11, v63, v85
	v_fmac_f32_e32 v90, v66, v108
	;; [unrolled: 1-line block ×4, first 2 shown]
	v_and_b32_e32 v79, 0xffff0000, v79
	v_fmac_f32_e32 v11, v67, v87
	v_fmac_f32_e32 v90, v70, v110
	v_add_f32_e32 v6, v89, v10
	v_fmac_f32_e32 v11, v71, v79
	v_add_f32_e32 v6, v6, v90
	v_add_f32_e32 v6, v11, v6
	ds_bpermute_b32 v7, v73, v6
	s_and_saveexec_b64 s[30:31], vcc
	s_cbranch_execz .LBB157_8
; %bb.10:                               ;   in Loop: Header=BB157_9 Depth=1
	v_add_u32_e32 v8, s15, v74
	v_cvt_f32_i32_e32 v8, v8
	s_waitcnt lgkmcnt(0)
	v_add_f32_e32 v6, v6, v7
	v_cmp_gt_i32_e64 s[0:1], s33, v74
	v_max_f32_e32 v7, v72, v72
	v_mul_f32_e32 v8, s8, v8
	v_cndmask_b32_e64 v8, 0, v8, s[2:3]
	v_fmac_f32_e32 v8, s9, v6
	v_cndmask_b32_e64 v6, 0, v8, s[0:1]
	ds_write_b32 v75, v6
	v_max_f32_e32 v6, v7, v8
	v_cndmask_b32_e64 v72, v72, v6, s[0:1]
	s_branch .LBB157_8
.LBB157_11:
	s_or_b64 exec, exec, s[28:29]
.LBB157_12:
	s_or_b64 exec, exec, s[26:27]
	v_xor_b32_e32 v2, 32, v22
	v_cmp_lt_i32_e32 vcc, v2, v23
	v_xor_b32_e32 v5, 16, v22
	v_max_f32_e32 v4, v72, v72
	v_cndmask_b32_e32 v2, v22, v2, vcc
	v_lshlrev_b32_e32 v2, 2, v2
	ds_bpermute_b32 v3, v2, v72
	v_cmp_lt_i32_e32 vcc, v5, v23
	v_xor_b32_e32 v6, 8, v22
	s_waitcnt lgkmcnt(0)
	v_xor_b32_e32 v7, 4, v22
	v_xor_b32_e32 v8, 2, v22
	v_max_f32_e32 v3, v3, v3
	v_max_f32_e32 v4, v4, v3
	v_cndmask_b32_e32 v3, v22, v5, vcc
	v_lshlrev_b32_e32 v3, 2, v3
	ds_bpermute_b32 v5, v3, v4
	v_cmp_lt_i32_e32 vcc, v6, v23
	v_and_b32_e32 v24, 63, v0
	s_waitcnt lgkmcnt(0)
	v_max_f32_e32 v5, v5, v5
	v_max_f32_e32 v5, v4, v5
	v_cndmask_b32_e32 v4, v22, v6, vcc
	v_lshlrev_b32_e32 v4, 2, v4
	ds_bpermute_b32 v6, v4, v5
	v_cmp_lt_i32_e32 vcc, v7, v23
	s_waitcnt lgkmcnt(0)
	v_max_f32_e32 v6, v6, v6
	v_max_f32_e32 v6, v5, v6
	v_cndmask_b32_e32 v5, v22, v7, vcc
	v_lshlrev_b32_e32 v5, 2, v5
	ds_bpermute_b32 v7, v5, v6
	v_cmp_lt_i32_e32 vcc, v8, v23
	s_waitcnt lgkmcnt(0)
	v_max_f32_e32 v7, v7, v7
	v_max_f32_e32 v7, v6, v7
	v_cndmask_b32_e32 v6, v22, v8, vcc
	v_lshlrev_b32_e32 v25, 2, v6
	ds_bpermute_b32 v8, v25, v7
	v_cmp_eq_u32_e32 vcc, 0, v24
	v_lshlrev_b32_e32 v6, 2, v1
	s_and_saveexec_b64 s[0:1], vcc
	s_cbranch_execz .LBB157_14
; %bb.13:
	s_waitcnt lgkmcnt(0)
	v_max_f32_e32 v8, v8, v8
	v_max_f32_e32 v7, v7, v7
	;; [unrolled: 1-line block ×3, first 2 shown]
	ds_write_b32 v6, v7 offset:192
.LBB157_14:
	s_or_b64 exec, exec, s[0:1]
	v_cmp_gt_u32_e64 s[0:1], 2, v24
	s_waitcnt lgkmcnt(0)
	v_mov_b32_e32 v8, 0xff7fffff
	v_lshlrev_b32_e32 v7, 2, v24
	s_barrier
	s_and_saveexec_b64 s[2:3], s[0:1]
	s_cbranch_execz .LBB157_16
; %bb.15:
	ds_read_b32 v8, v7 offset:192
.LBB157_16:
	s_or_b64 exec, exec, s[2:3]
	v_xor_b32_e32 v9, 1, v22
	v_cmp_lt_i32_e64 s[2:3], v9, v23
	v_lshlrev_b32_e32 v10, 2, v22
	s_nop 0
	v_cndmask_b32_e64 v9, v22, v9, s[2:3]
	v_lshlrev_b32_e32 v26, 2, v9
	s_waitcnt lgkmcnt(0)
	ds_bpermute_b32 v9, v26, v8
	v_max_f32_e32 v8, v8, v8
	s_lshl_b32 s2, s17, 5
	s_min_i32 s12, s2, s33
	v_cmp_gt_i32_e64 s[2:3], s12, v0
	s_waitcnt lgkmcnt(0)
	v_max_f32_e32 v9, v9, v9
	v_max_f32_e32 v9, v8, v9
	v_and_b32_e32 v8, 0xffffff00, v10
	ds_bpermute_b32 v10, v8, v9
	v_mov_b32_e32 v9, 0
	s_and_saveexec_b64 s[26:27], s[2:3]
	s_cbranch_execz .LBB157_20
; %bb.17:
	v_mov_b32_e32 v9, 0xd0
	v_lshl_add_u32 v11, v0, 2, v9
	s_mov_b64 s[28:29], 0
	v_mov_b32_e32 v9, 0
	v_mov_b32_e32 v12, v0
.LBB157_18:                             ; =>This Inner Loop Header: Depth=1
	ds_read_b32 v13, v11
	v_add_u32_e32 v12, 0x80, v12
	v_cmp_le_i32_e64 s[8:9], s12, v12
	s_or_b64 s[28:29], s[8:9], s[28:29]
	s_waitcnt lgkmcnt(0)
	v_sub_f32_e32 v13, v13, v10
	v_mul_f32_e32 v13, 0x3fb8aa3b, v13
	v_exp_f32_e32 v13, v13
	ds_write_b32 v11, v13
	v_add_f32_e32 v9, v9, v13
	v_add_u32_e32 v11, 0x200, v11
	s_andn2_b64 exec, exec, s[28:29]
	s_cbranch_execnz .LBB157_18
; %bb.19:
	s_or_b64 exec, exec, s[28:29]
.LBB157_20:
	s_or_b64 exec, exec, s[26:27]
	ds_bpermute_b32 v2, v2, v9
	s_waitcnt lgkmcnt(0)
	v_add_f32_e32 v2, v9, v2
	ds_bpermute_b32 v3, v3, v2
	s_waitcnt lgkmcnt(0)
	v_add_f32_e32 v2, v2, v3
	;; [unrolled: 3-line block ×6, first 2 shown]
	s_and_saveexec_b64 s[8:9], vcc
	s_cbranch_execz .LBB157_22
; %bb.21:
	ds_write_b32 v6, v2 offset:200
.LBB157_22:
	s_or_b64 exec, exec, s[8:9]
	s_waitcnt lgkmcnt(0)
	s_barrier
	s_and_saveexec_b64 s[8:9], s[0:1]
	s_cbranch_execz .LBB157_24
; %bb.23:
	ds_read_b32 v2, v7 offset:200
.LBB157_24:
	s_or_b64 exec, exec, s[8:9]
	s_waitcnt lgkmcnt(0)
	ds_bpermute_b32 v3, v26, v2
	s_waitcnt lgkmcnt(0)
	v_add_f32_e32 v2, v2, v3
	ds_bpermute_b32 v2, v8, v2
	s_and_saveexec_b64 s[0:1], s[2:3]
	s_cbranch_execz .LBB157_37
; %bb.25:
	s_waitcnt lgkmcnt(0)
	v_add_f32_e32 v2, 0x358637bd, v2
	v_div_scale_f32 v3, s[2:3], v2, v2, 1.0
	v_rcp_f32_e32 v4, v3
	v_div_scale_f32 v5, vcc, 1.0, v2, 1.0
	s_movk_i32 s2, 0x7f
	v_fma_f32 v6, -v3, v4, 1.0
	v_fmac_f32_e32 v4, v6, v4
	v_mul_f32_e32 v6, v5, v4
	v_fma_f32 v7, -v3, v6, v5
	v_fmac_f32_e32 v6, v7, v4
	v_fma_f32 v3, -v3, v6, v5
	v_div_fmas_f32 v3, v3, v4, v6
	v_xad_u32 v4, v0, -1, s12
	v_div_fixup_f32 v2, v3, v2, 1.0
	v_cmp_lt_u32_e32 vcc, s2, v4
	s_mov_b64 s[8:9], -1
	v_mov_b32_e32 v3, v0
	s_and_saveexec_b64 s[2:3], vcc
	s_cbranch_execz .LBB157_34
; %bb.26:
	v_lshrrev_b32_e32 v4, 7, v4
	v_add_u32_e32 v6, -1, v4
	v_lshrrev_b32_e32 v5, 1, v6
	v_mov_b32_e32 v3, v2
	v_add_u32_e32 v5, 1, v5
	v_cmp_lt_u32_e32 vcc, 13, v6
	v_mov_b32_e32 v8, 0
	s_and_saveexec_b64 s[8:9], vcc
	s_cbranch_execz .LBB157_30
; %bb.27:
	v_mov_b32_e32 v7, 0xd0
	v_and_b32_e32 v6, -8, v5
	v_lshl_add_u32 v7, v0, 2, v7
	s_mov_b32 s15, 0
	s_mov_b64 s[26:27], 0
.LBB157_28:                             ; =>This Inner Loop Header: Depth=1
	ds_read2st64_b32 v[8:9], v7 offset1:2
	ds_read2st64_b32 v[10:11], v7 offset0:4 offset1:6
	ds_read2st64_b32 v[12:13], v7 offset0:8 offset1:10
	;; [unrolled: 1-line block ×3, first 2 shown]
	v_add_u32_e32 v6, -8, v6
	s_waitcnt lgkmcnt(3)
	v_pk_mul_f32 v[8:9], v[2:3], v[8:9]
	s_waitcnt lgkmcnt(2)
	v_pk_mul_f32 v[10:11], v[2:3], v[10:11]
	ds_write2st64_b32 v7, v8, v9 offset1:2
	ds_write2st64_b32 v7, v10, v11 offset0:4 offset1:6
	ds_read2st64_b32 v[10:11], v7 offset0:16 offset1:18
	s_waitcnt lgkmcnt(4)
	v_pk_mul_f32 v[8:9], v[2:3], v[12:13]
	ds_write2st64_b32 v7, v8, v9 offset0:8 offset1:10
	s_waitcnt lgkmcnt(4)
	v_pk_mul_f32 v[8:9], v[2:3], v[14:15]
	ds_write2st64_b32 v7, v8, v9 offset0:12 offset1:14
	ds_read2st64_b32 v[8:9], v7 offset0:20 offset1:22
	s_waitcnt lgkmcnt(3)
	v_pk_mul_f32 v[10:11], v[2:3], v[10:11]
	ds_read2st64_b32 v[12:13], v7 offset0:24 offset1:26
	ds_write2st64_b32 v7, v10, v11 offset0:16 offset1:18
	ds_read2st64_b32 v[10:11], v7 offset0:28 offset1:30
	s_waitcnt lgkmcnt(3)
	v_pk_mul_f32 v[8:9], v[2:3], v[8:9]
	ds_write2st64_b32 v7, v8, v9 offset0:20 offset1:22
	s_waitcnt lgkmcnt(3)
	v_pk_mul_f32 v[8:9], v[2:3], v[12:13]
	ds_write2st64_b32 v7, v8, v9 offset0:24 offset1:26
	s_waitcnt lgkmcnt(2)
	v_pk_mul_f32 v[8:9], v[2:3], v[10:11]
	s_add_i32 s15, s15, 16
	v_cmp_eq_u32_e32 vcc, 0, v6
	ds_write2st64_b32 v7, v8, v9 offset0:28 offset1:30
	v_add_u32_e32 v7, 0x2000, v7
	s_or_b64 s[26:27], vcc, s[26:27]
	v_mov_b32_e32 v8, s15
	s_andn2_b64 exec, exec, s[26:27]
	s_cbranch_execnz .LBB157_28
; %bb.29:
	s_or_b64 exec, exec, s[26:27]
.LBB157_30:
	s_or_b64 exec, exec, s[8:9]
	v_and_b32_e32 v5, 7, v5
	v_cmp_ne_u32_e32 vcc, 0, v5
	s_and_saveexec_b64 s[8:9], vcc
	s_cbranch_execz .LBB157_33
; %bb.31:
	v_lshlrev_b32_e32 v6, 9, v8
	v_lshlrev_b32_e32 v7, 2, v0
	s_movk_i32 s15, 0xd0
	v_add3_u32 v6, v6, v7, s15
	s_mov_b64 s[26:27], 0
.LBB157_32:                             ; =>This Inner Loop Header: Depth=1
	ds_read2st64_b32 v[8:9], v6 offset1:2
	v_add_u32_e32 v5, -1, v5
	v_cmp_eq_u32_e32 vcc, 0, v5
	s_or_b64 s[26:27], vcc, s[26:27]
	s_waitcnt lgkmcnt(0)
	v_pk_mul_f32 v[8:9], v[2:3], v[8:9]
	ds_write2st64_b32 v6, v8, v9 offset1:2
	v_add_u32_e32 v6, 0x400, v6
	s_andn2_b64 exec, exec, s[26:27]
	s_cbranch_execnz .LBB157_32
.LBB157_33:
	s_or_b64 exec, exec, s[8:9]
	v_add_u32_e32 v4, 1, v4
	v_and_b32_e32 v5, 0x3fffffe, v4
	v_cmp_ne_u32_e32 vcc, v4, v5
	v_lshl_add_u32 v3, v5, 7, v0
	s_orn2_b64 s[8:9], vcc, exec
.LBB157_34:
	s_or_b64 exec, exec, s[2:3]
	s_and_b64 exec, exec, s[8:9]
	s_cbranch_execz .LBB157_37
; %bb.35:
	v_mov_b32_e32 v4, 0xd0
	v_lshl_add_u32 v4, v3, 2, v4
	s_mov_b64 s[2:3], 0
.LBB157_36:                             ; =>This Inner Loop Header: Depth=1
	ds_read_b32 v5, v4
	v_add_u32_e32 v3, 0x80, v3
	v_cmp_le_i32_e32 vcc, s12, v3
	s_or_b64 s[2:3], vcc, s[2:3]
	s_waitcnt lgkmcnt(0)
	v_mul_f32_e32 v5, v2, v5
	ds_write_b32 v4, v5
	v_add_u32_e32 v4, 0x200, v4
	s_andn2_b64 exec, exec, s[2:3]
	s_cbranch_execnz .LBB157_36
.LBB157_37:
	s_or_b64 exec, exec, s[0:1]
	v_mov_b32_e32 v11, 0
	v_and_b32_e32 v27, 3, v0
	v_mov_b32_e32 v10, 0
	v_mov_b32_e32 v13, 0
	;; [unrolled: 1-line block ×5, first 2 shown]
	s_waitcnt lgkmcnt(0)
	s_barrier
	s_and_saveexec_b64 s[2:3], s[6:7]
	s_cbranch_execz .LBB157_277
; %bb.38:
	s_ashr_i32 s15, s14, 31
	s_lshl_b64 s[0:1], s[14:15], 1
	s_add_u32 s6, s24, s0
	v_and_b32_e32 v3, 24, v20
	s_addc_u32 s7, s25, s1
	s_add_i32 s14, s17, -1
	v_lshlrev_b32_e32 v5, 5, v1
	s_lshl_b64 s[0:1], s[22:23], 2
	v_and_b32_e32 v2, 0x1f8, v20
	v_or3_b32 v28, v5, v3, 7
	v_lshlrev_b32_e32 v3, 5, v27
	s_add_u32 s0, s20, s0
	v_mov_b32_e32 v17, 0
	v_or_b32_e32 v4, 0x800, v2
	v_or_b32_e32 v6, 0xa00, v2
	v_lshl_or_b32 v3, v1, 7, v3
	v_and_b32_e32 v16, 60, v21
	s_addc_u32 s1, s21, s1
	s_mov_b32 s26, s13
	v_add_u32_e32 v29, 0xd0, v3
	v_lshl_add_u64 v[18:19], s[0:1], 0, v[16:17]
	s_mov_b64 s[8:9], 0
	s_mov_b32 s15, 0x7f800000
	s_movk_i32 s20, 0x7fff
	v_lshlrev_b32_e32 v16, 1, v2
	v_lshlrev_b32_e32 v20, 1, v4
	;; [unrolled: 1-line block ×3, first 2 shown]
	v_mov_b32_e32 v14, v17
	v_mov_b32_e32 v15, v17
	;; [unrolled: 1-line block ×6, first 2 shown]
	s_branch .LBB157_40
.LBB157_39:                             ;   in Loop: Header=BB157_40 Depth=1
	s_or_b64 exec, exec, s[0:1]
	v_and_b32_e32 v41, 0xffff0000, v33
	v_and_b32_e32 v40, 0xffff0000, v31
	;; [unrolled: 1-line block ×8, first 2 shown]
	v_pk_add_f32 v[30:31], v[30:31], v[40:41]
	v_pk_add_f32 v[32:33], v[34:35], v[38:39]
	v_add_f32_e32 v30, v30, v31
	v_add_f32_e32 v30, v30, v32
	v_add_f32_e32 v30, v30, v33
	v_and_b32_e32 v35, 0xffff0000, v56
	v_and_b32_e32 v34, 0xffff0000, v54
	v_and_b32_e32 v39, 0xffff0000, v55
	v_and_b32_e32 v38, 0xffff0000, v53
	v_add_f32_e32 v14, v14, v30
	v_and_b32_e32 v31, 0xffff0000, v60
	v_and_b32_e32 v30, 0xffff0000, v58
	v_and_b32_e32 v33, 0xffff0000, v59
	v_and_b32_e32 v32, 0xffff0000, v57
	v_pk_add_f32 v[34:35], v[38:39], v[34:35]
	v_pk_add_f32 v[30:31], v[32:33], v[30:31]
	v_add_f32_e32 v32, v34, v35
	v_add_f32_e32 v30, v32, v30
	v_add_f32_e32 v30, v30, v31
	v_and_b32_e32 v35, 0xffff0000, v64
	v_and_b32_e32 v34, 0xffff0000, v62
	v_and_b32_e32 v39, 0xffff0000, v63
	v_and_b32_e32 v38, 0xffff0000, v61
	v_add_f32_e32 v15, v15, v30
	v_and_b32_e32 v31, 0xffff0000, v68
	v_and_b32_e32 v30, 0xffff0000, v66
	v_and_b32_e32 v33, 0xffff0000, v67
	v_and_b32_e32 v32, 0xffff0000, v65
	;; [unrolled: 14-line block ×4, first 2 shown]
	v_pk_add_f32 v[32:33], v[34:35], v[32:33]
	v_pk_add_f32 v[8:9], v[30:31], v[8:9]
	v_add_f32_e32 v21, v32, v33
	v_add_f32_e32 v8, v21, v8
	;; [unrolled: 1-line block ×3, first 2 shown]
	v_and_b32_e32 v9, 0xffff0000, v7
	v_and_b32_e32 v7, 0xffff0000, v23
	;; [unrolled: 1-line block ×5, first 2 shown]
	v_add_f32_e32 v10, v10, v8
	v_and_b32_e32 v8, 0xffff0000, v37
	v_and_b32_e32 v5, 0xffff0000, v5
	;; [unrolled: 1-line block ×3, first 2 shown]
	v_pk_add_f32 v[2:3], v[2:3], v[6:7]
	v_pk_add_f32 v[4:5], v[4:5], v[8:9]
	v_add_f32_e32 v2, v2, v3
	v_add_f32_e32 v2, v2, v4
	v_add_u32_e32 v1, 2, v1
	v_add_f32_e32 v2, v2, v5
	v_cmp_le_i32_e32 vcc, s17, v1
	v_add_f32_e32 v11, v11, v2
	v_add_u32_e32 v28, 64, v28
	v_add_u32_e32 v29, 0x100, v29
	s_or_b64 s[8:9], vcc, s[8:9]
	v_lshl_add_u64 v[18:19], v[18:19], 0, 8
	s_andn2_b64 exec, exec, s[8:9]
	s_cbranch_execz .LBB157_276
.LBB157_40:                             ; =>This Inner Loop Header: Depth=1
	global_load_dword v36, v[18:19], off
	ds_read2_b64 v[6:9], v29 offset1:1
	ds_read2_b64 v[2:5], v29 offset0:2 offset1:3
                                        ; implicit-def: $vgpr30
	s_waitcnt lgkmcnt(1)
	v_and_b32_e32 v21, 0x7f800000, v6
	v_cmp_ne_u32_e32 vcc, s15, v21
	s_and_saveexec_b64 s[0:1], vcc
	s_xor_b64 s[0:1], exec, s[0:1]
; %bb.41:                               ;   in Loop: Header=BB157_40 Depth=1
	v_bfe_u32 v21, v6, 16, 1
	v_add3_u32 v30, v6, v21, s20
; %bb.42:                               ;   in Loop: Header=BB157_40 Depth=1
	s_andn2_saveexec_b64 s[0:1], s[0:1]
; %bb.43:                               ;   in Loop: Header=BB157_40 Depth=1
	v_or_b32_e32 v21, 0x10000, v6
	v_cmp_eq_u32_sdwa vcc, v6, v17 src0_sel:WORD_0 src1_sel:DWORD
	s_nop 1
	v_cndmask_b32_e32 v30, v21, v6, vcc
; %bb.44:                               ;   in Loop: Header=BB157_40 Depth=1
	s_or_b64 exec, exec, s[0:1]
	v_and_b32_e32 v6, 0x7f800000, v7
	v_cmp_ne_u32_e32 vcc, s15, v6
                                        ; implicit-def: $vgpr31
	s_and_saveexec_b64 s[0:1], vcc
	s_xor_b64 s[0:1], exec, s[0:1]
; %bb.45:                               ;   in Loop: Header=BB157_40 Depth=1
	v_bfe_u32 v6, v7, 16, 1
	v_add3_u32 v31, v7, v6, s20
; %bb.46:                               ;   in Loop: Header=BB157_40 Depth=1
	s_andn2_saveexec_b64 s[0:1], s[0:1]
; %bb.47:                               ;   in Loop: Header=BB157_40 Depth=1
	v_or_b32_e32 v6, 0x10000, v7
	v_cmp_eq_u32_sdwa vcc, v7, v17 src0_sel:WORD_0 src1_sel:DWORD
	s_nop 1
	v_cndmask_b32_e32 v31, v6, v7, vcc
; %bb.48:                               ;   in Loop: Header=BB157_40 Depth=1
	s_or_b64 exec, exec, s[0:1]
	v_and_b32_e32 v6, 0x7f800000, v8
	v_cmp_ne_u32_e32 vcc, s15, v6
                                        ; implicit-def: $vgpr32
	s_and_saveexec_b64 s[0:1], vcc
	s_xor_b64 s[0:1], exec, s[0:1]
; %bb.49:                               ;   in Loop: Header=BB157_40 Depth=1
	v_bfe_u32 v6, v8, 16, 1
	v_add3_u32 v32, v8, v6, s20
; %bb.50:                               ;   in Loop: Header=BB157_40 Depth=1
	s_andn2_saveexec_b64 s[0:1], s[0:1]
; %bb.51:                               ;   in Loop: Header=BB157_40 Depth=1
	v_or_b32_e32 v6, 0x10000, v8
	v_cmp_eq_u32_sdwa vcc, v8, v17 src0_sel:WORD_0 src1_sel:DWORD
	s_nop 1
	v_cndmask_b32_e32 v32, v6, v8, vcc
; %bb.52:                               ;   in Loop: Header=BB157_40 Depth=1
	s_or_b64 exec, exec, s[0:1]
	v_and_b32_e32 v6, 0x7f800000, v9
	v_cmp_ne_u32_e32 vcc, s15, v6
                                        ; implicit-def: $vgpr33
	s_and_saveexec_b64 s[0:1], vcc
	s_xor_b64 s[0:1], exec, s[0:1]
; %bb.53:                               ;   in Loop: Header=BB157_40 Depth=1
	v_bfe_u32 v6, v9, 16, 1
	v_add3_u32 v33, v9, v6, s20
                                        ; implicit-def: $vgpr6_vgpr7_vgpr8_vgpr9
; %bb.54:                               ;   in Loop: Header=BB157_40 Depth=1
	s_andn2_saveexec_b64 s[0:1], s[0:1]
; %bb.55:                               ;   in Loop: Header=BB157_40 Depth=1
	v_or_b32_e32 v6, 0x10000, v9
	v_cmp_eq_u32_sdwa vcc, v9, v17 src0_sel:WORD_0 src1_sel:DWORD
	s_nop 1
	v_cndmask_b32_e32 v33, v6, v9, vcc
; %bb.56:                               ;   in Loop: Header=BB157_40 Depth=1
	s_or_b64 exec, exec, s[0:1]
	s_waitcnt lgkmcnt(0)
	v_and_b32_e32 v6, 0x7f800000, v2
	v_cmp_ne_u32_e32 vcc, s15, v6
                                        ; implicit-def: $vgpr34
	s_and_saveexec_b64 s[0:1], vcc
	s_xor_b64 s[0:1], exec, s[0:1]
; %bb.57:                               ;   in Loop: Header=BB157_40 Depth=1
	v_bfe_u32 v6, v2, 16, 1
	v_add3_u32 v34, v2, v6, s20
; %bb.58:                               ;   in Loop: Header=BB157_40 Depth=1
	s_andn2_saveexec_b64 s[0:1], s[0:1]
; %bb.59:                               ;   in Loop: Header=BB157_40 Depth=1
	v_or_b32_e32 v6, 0x10000, v2
	v_cmp_eq_u32_sdwa vcc, v2, v17 src0_sel:WORD_0 src1_sel:DWORD
	s_nop 1
	v_cndmask_b32_e32 v34, v6, v2, vcc
; %bb.60:                               ;   in Loop: Header=BB157_40 Depth=1
	s_or_b64 exec, exec, s[0:1]
	v_and_b32_e32 v2, 0x7f800000, v3
	v_cmp_ne_u32_e32 vcc, s15, v2
                                        ; implicit-def: $vgpr35
	s_and_saveexec_b64 s[0:1], vcc
	s_xor_b64 s[0:1], exec, s[0:1]
; %bb.61:                               ;   in Loop: Header=BB157_40 Depth=1
	v_bfe_u32 v2, v3, 16, 1
	v_add3_u32 v35, v3, v2, s20
; %bb.62:                               ;   in Loop: Header=BB157_40 Depth=1
	s_andn2_saveexec_b64 s[0:1], s[0:1]
; %bb.63:                               ;   in Loop: Header=BB157_40 Depth=1
	v_or_b32_e32 v2, 0x10000, v3
	v_cmp_eq_u32_sdwa vcc, v3, v17 src0_sel:WORD_0 src1_sel:DWORD
	s_nop 1
	v_cndmask_b32_e32 v35, v2, v3, vcc
; %bb.64:                               ;   in Loop: Header=BB157_40 Depth=1
	s_or_b64 exec, exec, s[0:1]
	v_and_b32_e32 v2, 0x7f800000, v4
	v_cmp_ne_u32_e32 vcc, s15, v2
                                        ; implicit-def: $vgpr23
	s_and_saveexec_b64 s[0:1], vcc
	s_xor_b64 s[0:1], exec, s[0:1]
; %bb.65:                               ;   in Loop: Header=BB157_40 Depth=1
	v_bfe_u32 v2, v4, 16, 1
	v_add3_u32 v23, v4, v2, s20
; %bb.66:                               ;   in Loop: Header=BB157_40 Depth=1
	s_andn2_saveexec_b64 s[0:1], s[0:1]
; %bb.67:                               ;   in Loop: Header=BB157_40 Depth=1
	v_or_b32_e32 v2, 0x10000, v4
	v_cmp_eq_u32_sdwa vcc, v4, v17 src0_sel:WORD_0 src1_sel:DWORD
	s_nop 1
	v_cndmask_b32_e32 v23, v2, v4, vcc
; %bb.68:                               ;   in Loop: Header=BB157_40 Depth=1
	s_or_b64 exec, exec, s[0:1]
	v_and_b32_e32 v2, 0x7f800000, v5
	v_cmp_ne_u32_e32 vcc, s15, v2
                                        ; implicit-def: $vgpr21
	s_and_saveexec_b64 s[0:1], vcc
	s_xor_b64 s[0:1], exec, s[0:1]
; %bb.69:                               ;   in Loop: Header=BB157_40 Depth=1
	v_bfe_u32 v2, v5, 16, 1
	v_add3_u32 v21, v5, v2, s20
                                        ; implicit-def: $vgpr2_vgpr3_vgpr4_vgpr5
; %bb.70:                               ;   in Loop: Header=BB157_40 Depth=1
	s_andn2_saveexec_b64 s[0:1], s[0:1]
; %bb.71:                               ;   in Loop: Header=BB157_40 Depth=1
	v_or_b32_e32 v2, 0x10000, v5
	v_cmp_eq_u32_sdwa vcc, v5, v17 src0_sel:WORD_0 src1_sel:DWORD
	s_nop 1
	v_cndmask_b32_e32 v21, v2, v5, vcc
; %bb.72:                               ;   in Loop: Header=BB157_40 Depth=1
	s_or_b64 exec, exec, s[0:1]
	s_waitcnt vmcnt(0)
	v_mad_i64_i32 v[2:3], s[0:1], v36, s26, 0
	v_lshl_add_u64 v[6:7], v[2:3], 1, s[6:7]
	v_lshl_add_u64 v[8:9], v[6:7], 0, v[16:17]
	global_load_dwordx4 v[2:5], v[8:9], off
	v_add_u32_e32 v37, -7, v28
	v_cmp_eq_u32_e32 vcc, s14, v1
	v_add_u32_e32 v43, -6, v28
	v_add_u32_e32 v41, -5, v28
	;; [unrolled: 1-line block ×6, first 2 shown]
	s_waitcnt vmcnt(0)
	v_lshrrev_b32_e32 v47, 16, v2
	v_lshrrev_b32_e32 v49, 16, v3
	;; [unrolled: 1-line block ×4, first 2 shown]
	s_and_saveexec_b64 s[12:13], vcc
	s_cbranch_execz .LBB157_74
; %bb.73:                               ;   in Loop: Header=BB157_40 Depth=1
	v_cmp_gt_i32_e64 s[0:1], s33, v37
	s_nop 1
	v_cndmask_b32_e64 v2, 0, v2, s[0:1]
	v_cmp_gt_i32_e64 s[0:1], s33, v43
	s_nop 1
	v_cndmask_b32_e64 v47, 0, v47, s[0:1]
	;; [unrolled: 3-line block ×8, first 2 shown]
.LBB157_74:                             ;   in Loop: Header=BB157_40 Depth=1
	s_or_b64 exec, exec, s[12:13]
	v_and_b32_e32 v45, 0xffff0000, v30
	v_lshlrev_b32_e32 v2, 16, v2
	v_mul_f32_e32 v2, v45, v2
	v_and_b32_e32 v30, 0x7f800000, v2
	v_cmp_ne_u32_e64 s[0:1], s15, v30
                                        ; implicit-def: $vgpr30
	s_and_saveexec_b64 s[12:13], s[0:1]
	s_xor_b64 s[0:1], exec, s[12:13]
; %bb.75:                               ;   in Loop: Header=BB157_40 Depth=1
	v_bfe_u32 v30, v2, 16, 1
	v_add3_u32 v30, v2, v30, s20
                                        ; implicit-def: $vgpr2
; %bb.76:                               ;   in Loop: Header=BB157_40 Depth=1
	s_andn2_saveexec_b64 s[12:13], s[0:1]
; %bb.77:                               ;   in Loop: Header=BB157_40 Depth=1
	v_or_b32_e32 v30, 0x10000, v2
	v_cmp_eq_u32_sdwa s[0:1], v2, v17 src0_sel:WORD_0 src1_sel:DWORD
	s_nop 1
	v_cndmask_b32_e64 v30, v30, v2, s[0:1]
; %bb.78:                               ;   in Loop: Header=BB157_40 Depth=1
	s_or_b64 exec, exec, s[12:13]
	v_and_b32_e32 v46, 0xffff0000, v31
	v_lshlrev_b32_e32 v2, 16, v47
	v_mul_f32_e32 v2, v46, v2
	v_and_b32_e32 v31, 0x7f800000, v2
	v_cmp_ne_u32_e64 s[0:1], s15, v31
                                        ; implicit-def: $vgpr31
	s_and_saveexec_b64 s[12:13], s[0:1]
	s_xor_b64 s[0:1], exec, s[12:13]
; %bb.79:                               ;   in Loop: Header=BB157_40 Depth=1
	v_bfe_u32 v31, v2, 16, 1
	v_add3_u32 v31, v2, v31, s20
                                        ; implicit-def: $vgpr2
; %bb.80:                               ;   in Loop: Header=BB157_40 Depth=1
	s_andn2_saveexec_b64 s[12:13], s[0:1]
; %bb.81:                               ;   in Loop: Header=BB157_40 Depth=1
	v_or_b32_e32 v31, 0x10000, v2
	v_cmp_eq_u32_sdwa s[0:1], v2, v17 src0_sel:WORD_0 src1_sel:DWORD
	s_nop 1
	v_cndmask_b32_e64 v31, v31, v2, s[0:1]
; %bb.82:                               ;   in Loop: Header=BB157_40 Depth=1
	s_or_b64 exec, exec, s[12:13]
	v_and_b32_e32 v47, 0xffff0000, v32
	v_lshlrev_b32_e32 v2, 16, v3
	v_mul_f32_e32 v2, v47, v2
	v_and_b32_e32 v3, 0x7f800000, v2
	v_cmp_ne_u32_e64 s[0:1], s15, v3
                                        ; implicit-def: $vgpr32
	s_and_saveexec_b64 s[12:13], s[0:1]
	s_xor_b64 s[0:1], exec, s[12:13]
; %bb.83:                               ;   in Loop: Header=BB157_40 Depth=1
	v_bfe_u32 v3, v2, 16, 1
	v_add3_u32 v32, v2, v3, s20
                                        ; implicit-def: $vgpr2
; %bb.84:                               ;   in Loop: Header=BB157_40 Depth=1
	s_andn2_saveexec_b64 s[12:13], s[0:1]
; %bb.85:                               ;   in Loop: Header=BB157_40 Depth=1
	v_or_b32_e32 v3, 0x10000, v2
	v_cmp_eq_u32_sdwa s[0:1], v2, v17 src0_sel:WORD_0 src1_sel:DWORD
	s_nop 1
	v_cndmask_b32_e64 v32, v3, v2, s[0:1]
; %bb.86:                               ;   in Loop: Header=BB157_40 Depth=1
	s_or_b64 exec, exec, s[12:13]
	v_and_b32_e32 v48, 0xffff0000, v33
	v_lshlrev_b32_e32 v2, 16, v49
	v_mul_f32_e32 v2, v48, v2
	v_and_b32_e32 v3, 0x7f800000, v2
	v_cmp_ne_u32_e64 s[0:1], s15, v3
                                        ; implicit-def: $vgpr33
	s_and_saveexec_b64 s[12:13], s[0:1]
	s_xor_b64 s[0:1], exec, s[12:13]
; %bb.87:                               ;   in Loop: Header=BB157_40 Depth=1
	v_bfe_u32 v3, v2, 16, 1
	v_add3_u32 v33, v2, v3, s20
                                        ; implicit-def: $vgpr2
; %bb.88:                               ;   in Loop: Header=BB157_40 Depth=1
	s_andn2_saveexec_b64 s[12:13], s[0:1]
; %bb.89:                               ;   in Loop: Header=BB157_40 Depth=1
	v_or_b32_e32 v3, 0x10000, v2
	v_cmp_eq_u32_sdwa s[0:1], v2, v17 src0_sel:WORD_0 src1_sel:DWORD
	s_nop 1
	v_cndmask_b32_e64 v33, v3, v2, s[0:1]
; %bb.90:                               ;   in Loop: Header=BB157_40 Depth=1
	s_or_b64 exec, exec, s[12:13]
	v_and_b32_e32 v49, 0xffff0000, v34
	v_lshlrev_b32_e32 v2, 16, v4
	v_mul_f32_e32 v2, v49, v2
	v_and_b32_e32 v3, 0x7f800000, v2
	v_cmp_ne_u32_e64 s[0:1], s15, v3
                                        ; implicit-def: $vgpr34
	s_and_saveexec_b64 s[12:13], s[0:1]
	s_xor_b64 s[0:1], exec, s[12:13]
; %bb.91:                               ;   in Loop: Header=BB157_40 Depth=1
	v_bfe_u32 v3, v2, 16, 1
	v_add3_u32 v34, v2, v3, s20
                                        ; implicit-def: $vgpr2
; %bb.92:                               ;   in Loop: Header=BB157_40 Depth=1
	s_andn2_saveexec_b64 s[12:13], s[0:1]
; %bb.93:                               ;   in Loop: Header=BB157_40 Depth=1
	v_or_b32_e32 v3, 0x10000, v2
	v_cmp_eq_u32_sdwa s[0:1], v2, v17 src0_sel:WORD_0 src1_sel:DWORD
	s_nop 1
	v_cndmask_b32_e64 v34, v3, v2, s[0:1]
; %bb.94:                               ;   in Loop: Header=BB157_40 Depth=1
	s_or_b64 exec, exec, s[12:13]
	v_and_b32_e32 v50, 0xffff0000, v35
	v_lshlrev_b32_e32 v2, 16, v36
	v_mul_f32_e32 v2, v50, v2
	v_and_b32_e32 v3, 0x7f800000, v2
	v_cmp_ne_u32_e64 s[0:1], s15, v3
                                        ; implicit-def: $vgpr35
	s_and_saveexec_b64 s[12:13], s[0:1]
	s_xor_b64 s[0:1], exec, s[12:13]
; %bb.95:                               ;   in Loop: Header=BB157_40 Depth=1
	v_bfe_u32 v3, v2, 16, 1
	v_add3_u32 v35, v2, v3, s20
                                        ; implicit-def: $vgpr2
; %bb.96:                               ;   in Loop: Header=BB157_40 Depth=1
	s_andn2_saveexec_b64 s[12:13], s[0:1]
; %bb.97:                               ;   in Loop: Header=BB157_40 Depth=1
	v_or_b32_e32 v3, 0x10000, v2
	v_cmp_eq_u32_sdwa s[0:1], v2, v17 src0_sel:WORD_0 src1_sel:DWORD
	s_nop 1
	v_cndmask_b32_e64 v35, v3, v2, s[0:1]
; %bb.98:                               ;   in Loop: Header=BB157_40 Depth=1
	s_or_b64 exec, exec, s[12:13]
	v_and_b32_e32 v51, 0xffff0000, v23
	v_lshlrev_b32_e32 v2, 16, v5
	v_mul_f32_e32 v2, v51, v2
	v_and_b32_e32 v3, 0x7f800000, v2
	v_cmp_ne_u32_e64 s[0:1], s15, v3
                                        ; implicit-def: $vgpr36
	s_and_saveexec_b64 s[12:13], s[0:1]
	s_xor_b64 s[0:1], exec, s[12:13]
; %bb.99:                               ;   in Loop: Header=BB157_40 Depth=1
	v_bfe_u32 v3, v2, 16, 1
	v_add3_u32 v36, v2, v3, s20
                                        ; implicit-def: $vgpr2
; %bb.100:                              ;   in Loop: Header=BB157_40 Depth=1
	s_andn2_saveexec_b64 s[12:13], s[0:1]
; %bb.101:                              ;   in Loop: Header=BB157_40 Depth=1
	v_or_b32_e32 v3, 0x10000, v2
	v_cmp_eq_u32_sdwa s[0:1], v2, v17 src0_sel:WORD_0 src1_sel:DWORD
	s_nop 1
	v_cndmask_b32_e64 v36, v3, v2, s[0:1]
; %bb.102:                              ;   in Loop: Header=BB157_40 Depth=1
	s_or_b64 exec, exec, s[12:13]
	v_and_b32_e32 v52, 0xffff0000, v21
	v_lshlrev_b32_e32 v2, 16, v44
	v_mul_f32_e32 v2, v52, v2
	v_and_b32_e32 v3, 0x7f800000, v2
	v_cmp_ne_u32_e64 s[0:1], s15, v3
                                        ; implicit-def: $vgpr44
	s_and_saveexec_b64 s[12:13], s[0:1]
	s_xor_b64 s[0:1], exec, s[12:13]
; %bb.103:                              ;   in Loop: Header=BB157_40 Depth=1
	v_bfe_u32 v3, v2, 16, 1
	v_add3_u32 v44, v2, v3, s20
                                        ; implicit-def: $vgpr2
; %bb.104:                              ;   in Loop: Header=BB157_40 Depth=1
	s_andn2_saveexec_b64 s[12:13], s[0:1]
; %bb.105:                              ;   in Loop: Header=BB157_40 Depth=1
	v_or_b32_e32 v3, 0x10000, v2
	v_cmp_eq_u32_sdwa s[0:1], v2, v17 src0_sel:WORD_0 src1_sel:DWORD
	s_nop 1
	v_cndmask_b32_e64 v44, v3, v2, s[0:1]
; %bb.106:                              ;   in Loop: Header=BB157_40 Depth=1
	s_or_b64 exec, exec, s[12:13]
	global_load_dwordx4 v[2:5], v[8:9], off offset:1024
	s_waitcnt vmcnt(0)
	v_lshrrev_b32_e32 v54, 16, v2
	v_lshrrev_b32_e32 v56, 16, v3
	;; [unrolled: 1-line block ×4, first 2 shown]
	s_and_saveexec_b64 s[12:13], vcc
	s_cbranch_execz .LBB157_108
; %bb.107:                              ;   in Loop: Header=BB157_40 Depth=1
	v_cmp_gt_i32_e64 s[0:1], s33, v37
	s_nop 1
	v_cndmask_b32_e64 v2, 0, v2, s[0:1]
	v_cmp_gt_i32_e64 s[0:1], s33, v43
	s_nop 1
	v_cndmask_b32_e64 v54, 0, v54, s[0:1]
	;; [unrolled: 3-line block ×8, first 2 shown]
.LBB157_108:                            ;   in Loop: Header=BB157_40 Depth=1
	s_or_b64 exec, exec, s[12:13]
	v_lshlrev_b32_e32 v2, 16, v2
	v_mul_f32_e32 v2, v45, v2
	v_and_b32_e32 v53, 0x7f800000, v2
	v_cmp_ne_u32_e64 s[0:1], s15, v53
                                        ; implicit-def: $vgpr53
	s_and_saveexec_b64 s[12:13], s[0:1]
	s_xor_b64 s[0:1], exec, s[12:13]
; %bb.109:                              ;   in Loop: Header=BB157_40 Depth=1
	v_bfe_u32 v53, v2, 16, 1
	v_add3_u32 v53, v2, v53, s20
                                        ; implicit-def: $vgpr2
; %bb.110:                              ;   in Loop: Header=BB157_40 Depth=1
	s_andn2_saveexec_b64 s[12:13], s[0:1]
; %bb.111:                              ;   in Loop: Header=BB157_40 Depth=1
	v_or_b32_e32 v53, 0x10000, v2
	v_cmp_eq_u32_sdwa s[0:1], v2, v17 src0_sel:WORD_0 src1_sel:DWORD
	s_nop 1
	v_cndmask_b32_e64 v53, v53, v2, s[0:1]
; %bb.112:                              ;   in Loop: Header=BB157_40 Depth=1
	s_or_b64 exec, exec, s[12:13]
	v_lshlrev_b32_e32 v2, 16, v54
	v_mul_f32_e32 v2, v46, v2
	v_and_b32_e32 v54, 0x7f800000, v2
	v_cmp_ne_u32_e64 s[0:1], s15, v54
                                        ; implicit-def: $vgpr54
	s_and_saveexec_b64 s[12:13], s[0:1]
	s_xor_b64 s[0:1], exec, s[12:13]
; %bb.113:                              ;   in Loop: Header=BB157_40 Depth=1
	v_bfe_u32 v54, v2, 16, 1
	v_add3_u32 v54, v2, v54, s20
                                        ; implicit-def: $vgpr2
; %bb.114:                              ;   in Loop: Header=BB157_40 Depth=1
	s_andn2_saveexec_b64 s[12:13], s[0:1]
; %bb.115:                              ;   in Loop: Header=BB157_40 Depth=1
	v_or_b32_e32 v54, 0x10000, v2
	v_cmp_eq_u32_sdwa s[0:1], v2, v17 src0_sel:WORD_0 src1_sel:DWORD
	s_nop 1
	v_cndmask_b32_e64 v54, v54, v2, s[0:1]
; %bb.116:                              ;   in Loop: Header=BB157_40 Depth=1
	s_or_b64 exec, exec, s[12:13]
	v_lshlrev_b32_e32 v2, 16, v3
	v_mul_f32_e32 v2, v47, v2
	v_and_b32_e32 v3, 0x7f800000, v2
	v_cmp_ne_u32_e64 s[0:1], s15, v3
                                        ; implicit-def: $vgpr55
	s_and_saveexec_b64 s[12:13], s[0:1]
	s_xor_b64 s[0:1], exec, s[12:13]
; %bb.117:                              ;   in Loop: Header=BB157_40 Depth=1
	v_bfe_u32 v3, v2, 16, 1
	v_add3_u32 v55, v2, v3, s20
                                        ; implicit-def: $vgpr2
; %bb.118:                              ;   in Loop: Header=BB157_40 Depth=1
	s_andn2_saveexec_b64 s[12:13], s[0:1]
; %bb.119:                              ;   in Loop: Header=BB157_40 Depth=1
	v_or_b32_e32 v3, 0x10000, v2
	v_cmp_eq_u32_sdwa s[0:1], v2, v17 src0_sel:WORD_0 src1_sel:DWORD
	s_nop 1
	v_cndmask_b32_e64 v55, v3, v2, s[0:1]
; %bb.120:                              ;   in Loop: Header=BB157_40 Depth=1
	s_or_b64 exec, exec, s[12:13]
	v_lshlrev_b32_e32 v2, 16, v56
	v_mul_f32_e32 v2, v48, v2
	v_and_b32_e32 v3, 0x7f800000, v2
	v_cmp_ne_u32_e64 s[0:1], s15, v3
                                        ; implicit-def: $vgpr56
	s_and_saveexec_b64 s[12:13], s[0:1]
	s_xor_b64 s[0:1], exec, s[12:13]
; %bb.121:                              ;   in Loop: Header=BB157_40 Depth=1
	v_bfe_u32 v3, v2, 16, 1
	v_add3_u32 v56, v2, v3, s20
                                        ; implicit-def: $vgpr2
; %bb.122:                              ;   in Loop: Header=BB157_40 Depth=1
	s_andn2_saveexec_b64 s[12:13], s[0:1]
; %bb.123:                              ;   in Loop: Header=BB157_40 Depth=1
	v_or_b32_e32 v3, 0x10000, v2
	v_cmp_eq_u32_sdwa s[0:1], v2, v17 src0_sel:WORD_0 src1_sel:DWORD
	s_nop 1
	v_cndmask_b32_e64 v56, v3, v2, s[0:1]
; %bb.124:                              ;   in Loop: Header=BB157_40 Depth=1
	s_or_b64 exec, exec, s[12:13]
	v_lshlrev_b32_e32 v2, 16, v4
	v_mul_f32_e32 v2, v49, v2
	v_and_b32_e32 v3, 0x7f800000, v2
	v_cmp_ne_u32_e64 s[0:1], s15, v3
                                        ; implicit-def: $vgpr57
	s_and_saveexec_b64 s[12:13], s[0:1]
	s_xor_b64 s[0:1], exec, s[12:13]
; %bb.125:                              ;   in Loop: Header=BB157_40 Depth=1
	v_bfe_u32 v3, v2, 16, 1
	v_add3_u32 v57, v2, v3, s20
                                        ; implicit-def: $vgpr2
; %bb.126:                              ;   in Loop: Header=BB157_40 Depth=1
	s_andn2_saveexec_b64 s[12:13], s[0:1]
; %bb.127:                              ;   in Loop: Header=BB157_40 Depth=1
	v_or_b32_e32 v3, 0x10000, v2
	v_cmp_eq_u32_sdwa s[0:1], v2, v17 src0_sel:WORD_0 src1_sel:DWORD
	s_nop 1
	v_cndmask_b32_e64 v57, v3, v2, s[0:1]
; %bb.128:                              ;   in Loop: Header=BB157_40 Depth=1
	s_or_b64 exec, exec, s[12:13]
	v_lshlrev_b32_e32 v2, 16, v23
	v_mul_f32_e32 v2, v50, v2
	v_and_b32_e32 v3, 0x7f800000, v2
	v_cmp_ne_u32_e64 s[0:1], s15, v3
                                        ; implicit-def: $vgpr58
	s_and_saveexec_b64 s[12:13], s[0:1]
	s_xor_b64 s[0:1], exec, s[12:13]
; %bb.129:                              ;   in Loop: Header=BB157_40 Depth=1
	v_bfe_u32 v3, v2, 16, 1
	v_add3_u32 v58, v2, v3, s20
                                        ; implicit-def: $vgpr2
; %bb.130:                              ;   in Loop: Header=BB157_40 Depth=1
	s_andn2_saveexec_b64 s[12:13], s[0:1]
; %bb.131:                              ;   in Loop: Header=BB157_40 Depth=1
	v_or_b32_e32 v3, 0x10000, v2
	v_cmp_eq_u32_sdwa s[0:1], v2, v17 src0_sel:WORD_0 src1_sel:DWORD
	s_nop 1
	v_cndmask_b32_e64 v58, v3, v2, s[0:1]
; %bb.132:                              ;   in Loop: Header=BB157_40 Depth=1
	s_or_b64 exec, exec, s[12:13]
	v_lshlrev_b32_e32 v2, 16, v5
	v_mul_f32_e32 v2, v51, v2
	v_and_b32_e32 v3, 0x7f800000, v2
	v_cmp_ne_u32_e64 s[0:1], s15, v3
                                        ; implicit-def: $vgpr59
	s_and_saveexec_b64 s[12:13], s[0:1]
	s_xor_b64 s[0:1], exec, s[12:13]
; %bb.133:                              ;   in Loop: Header=BB157_40 Depth=1
	v_bfe_u32 v3, v2, 16, 1
	v_add3_u32 v59, v2, v3, s20
                                        ; implicit-def: $vgpr2
; %bb.134:                              ;   in Loop: Header=BB157_40 Depth=1
	s_andn2_saveexec_b64 s[12:13], s[0:1]
; %bb.135:                              ;   in Loop: Header=BB157_40 Depth=1
	v_or_b32_e32 v3, 0x10000, v2
	v_cmp_eq_u32_sdwa s[0:1], v2, v17 src0_sel:WORD_0 src1_sel:DWORD
	s_nop 1
	v_cndmask_b32_e64 v59, v3, v2, s[0:1]
; %bb.136:                              ;   in Loop: Header=BB157_40 Depth=1
	s_or_b64 exec, exec, s[12:13]
	v_lshlrev_b32_e32 v2, 16, v21
	v_mul_f32_e32 v2, v52, v2
	v_and_b32_e32 v3, 0x7f800000, v2
	v_cmp_ne_u32_e64 s[0:1], s15, v3
                                        ; implicit-def: $vgpr60
	s_and_saveexec_b64 s[12:13], s[0:1]
	s_xor_b64 s[0:1], exec, s[12:13]
; %bb.137:                              ;   in Loop: Header=BB157_40 Depth=1
	v_bfe_u32 v3, v2, 16, 1
	v_add3_u32 v60, v2, v3, s20
                                        ; implicit-def: $vgpr2
; %bb.138:                              ;   in Loop: Header=BB157_40 Depth=1
	s_andn2_saveexec_b64 s[12:13], s[0:1]
; %bb.139:                              ;   in Loop: Header=BB157_40 Depth=1
	v_or_b32_e32 v3, 0x10000, v2
	v_cmp_eq_u32_sdwa s[0:1], v2, v17 src0_sel:WORD_0 src1_sel:DWORD
	s_nop 1
	v_cndmask_b32_e64 v60, v3, v2, s[0:1]
; %bb.140:                              ;   in Loop: Header=BB157_40 Depth=1
	s_or_b64 exec, exec, s[12:13]
	global_load_dwordx4 v[2:5], v[8:9], off offset:2048
	s_waitcnt vmcnt(0)
	v_lshrrev_b32_e32 v62, 16, v2
	v_lshrrev_b32_e32 v64, 16, v3
	v_lshrrev_b32_e32 v23, 16, v4
	v_lshrrev_b32_e32 v21, 16, v5
	s_and_saveexec_b64 s[12:13], vcc
	s_cbranch_execz .LBB157_142
; %bb.141:                              ;   in Loop: Header=BB157_40 Depth=1
	v_cmp_gt_i32_e64 s[0:1], s33, v37
	s_nop 1
	v_cndmask_b32_e64 v2, 0, v2, s[0:1]
	v_cmp_gt_i32_e64 s[0:1], s33, v43
	s_nop 1
	v_cndmask_b32_e64 v62, 0, v62, s[0:1]
	;; [unrolled: 3-line block ×8, first 2 shown]
.LBB157_142:                            ;   in Loop: Header=BB157_40 Depth=1
	s_or_b64 exec, exec, s[12:13]
	v_lshlrev_b32_e32 v2, 16, v2
	v_mul_f32_e32 v2, v45, v2
	v_and_b32_e32 v61, 0x7f800000, v2
	v_cmp_ne_u32_e64 s[0:1], s15, v61
                                        ; implicit-def: $vgpr61
	s_and_saveexec_b64 s[12:13], s[0:1]
	s_xor_b64 s[0:1], exec, s[12:13]
; %bb.143:                              ;   in Loop: Header=BB157_40 Depth=1
	v_bfe_u32 v61, v2, 16, 1
	v_add3_u32 v61, v2, v61, s20
                                        ; implicit-def: $vgpr2
; %bb.144:                              ;   in Loop: Header=BB157_40 Depth=1
	s_andn2_saveexec_b64 s[12:13], s[0:1]
; %bb.145:                              ;   in Loop: Header=BB157_40 Depth=1
	v_or_b32_e32 v61, 0x10000, v2
	v_cmp_eq_u32_sdwa s[0:1], v2, v17 src0_sel:WORD_0 src1_sel:DWORD
	s_nop 1
	v_cndmask_b32_e64 v61, v61, v2, s[0:1]
; %bb.146:                              ;   in Loop: Header=BB157_40 Depth=1
	s_or_b64 exec, exec, s[12:13]
	v_lshlrev_b32_e32 v2, 16, v62
	v_mul_f32_e32 v2, v46, v2
	v_and_b32_e32 v62, 0x7f800000, v2
	v_cmp_ne_u32_e64 s[0:1], s15, v62
                                        ; implicit-def: $vgpr62
	s_and_saveexec_b64 s[12:13], s[0:1]
	s_xor_b64 s[0:1], exec, s[12:13]
; %bb.147:                              ;   in Loop: Header=BB157_40 Depth=1
	v_bfe_u32 v62, v2, 16, 1
	v_add3_u32 v62, v2, v62, s20
                                        ; implicit-def: $vgpr2
; %bb.148:                              ;   in Loop: Header=BB157_40 Depth=1
	s_andn2_saveexec_b64 s[12:13], s[0:1]
; %bb.149:                              ;   in Loop: Header=BB157_40 Depth=1
	v_or_b32_e32 v62, 0x10000, v2
	v_cmp_eq_u32_sdwa s[0:1], v2, v17 src0_sel:WORD_0 src1_sel:DWORD
	s_nop 1
	v_cndmask_b32_e64 v62, v62, v2, s[0:1]
; %bb.150:                              ;   in Loop: Header=BB157_40 Depth=1
	s_or_b64 exec, exec, s[12:13]
	v_lshlrev_b32_e32 v2, 16, v3
	v_mul_f32_e32 v2, v47, v2
	v_and_b32_e32 v3, 0x7f800000, v2
	v_cmp_ne_u32_e64 s[0:1], s15, v3
                                        ; implicit-def: $vgpr63
	s_and_saveexec_b64 s[12:13], s[0:1]
	s_xor_b64 s[0:1], exec, s[12:13]
; %bb.151:                              ;   in Loop: Header=BB157_40 Depth=1
	v_bfe_u32 v3, v2, 16, 1
	v_add3_u32 v63, v2, v3, s20
                                        ; implicit-def: $vgpr2
; %bb.152:                              ;   in Loop: Header=BB157_40 Depth=1
	s_andn2_saveexec_b64 s[12:13], s[0:1]
; %bb.153:                              ;   in Loop: Header=BB157_40 Depth=1
	v_or_b32_e32 v3, 0x10000, v2
	v_cmp_eq_u32_sdwa s[0:1], v2, v17 src0_sel:WORD_0 src1_sel:DWORD
	s_nop 1
	v_cndmask_b32_e64 v63, v3, v2, s[0:1]
; %bb.154:                              ;   in Loop: Header=BB157_40 Depth=1
	s_or_b64 exec, exec, s[12:13]
	v_lshlrev_b32_e32 v2, 16, v64
	v_mul_f32_e32 v2, v48, v2
	v_and_b32_e32 v3, 0x7f800000, v2
	v_cmp_ne_u32_e64 s[0:1], s15, v3
                                        ; implicit-def: $vgpr64
	s_and_saveexec_b64 s[12:13], s[0:1]
	s_xor_b64 s[0:1], exec, s[12:13]
; %bb.155:                              ;   in Loop: Header=BB157_40 Depth=1
	v_bfe_u32 v3, v2, 16, 1
	v_add3_u32 v64, v2, v3, s20
                                        ; implicit-def: $vgpr2
; %bb.156:                              ;   in Loop: Header=BB157_40 Depth=1
	s_andn2_saveexec_b64 s[12:13], s[0:1]
; %bb.157:                              ;   in Loop: Header=BB157_40 Depth=1
	v_or_b32_e32 v3, 0x10000, v2
	v_cmp_eq_u32_sdwa s[0:1], v2, v17 src0_sel:WORD_0 src1_sel:DWORD
	s_nop 1
	v_cndmask_b32_e64 v64, v3, v2, s[0:1]
; %bb.158:                              ;   in Loop: Header=BB157_40 Depth=1
	s_or_b64 exec, exec, s[12:13]
	v_lshlrev_b32_e32 v2, 16, v4
	v_mul_f32_e32 v2, v49, v2
	v_and_b32_e32 v3, 0x7f800000, v2
	v_cmp_ne_u32_e64 s[0:1], s15, v3
                                        ; implicit-def: $vgpr65
	s_and_saveexec_b64 s[12:13], s[0:1]
	s_xor_b64 s[0:1], exec, s[12:13]
; %bb.159:                              ;   in Loop: Header=BB157_40 Depth=1
	v_bfe_u32 v3, v2, 16, 1
	v_add3_u32 v65, v2, v3, s20
                                        ; implicit-def: $vgpr2
; %bb.160:                              ;   in Loop: Header=BB157_40 Depth=1
	s_andn2_saveexec_b64 s[12:13], s[0:1]
; %bb.161:                              ;   in Loop: Header=BB157_40 Depth=1
	v_or_b32_e32 v3, 0x10000, v2
	v_cmp_eq_u32_sdwa s[0:1], v2, v17 src0_sel:WORD_0 src1_sel:DWORD
	s_nop 1
	v_cndmask_b32_e64 v65, v3, v2, s[0:1]
; %bb.162:                              ;   in Loop: Header=BB157_40 Depth=1
	s_or_b64 exec, exec, s[12:13]
	v_lshlrev_b32_e32 v2, 16, v23
	v_mul_f32_e32 v2, v50, v2
	v_and_b32_e32 v3, 0x7f800000, v2
	v_cmp_ne_u32_e64 s[0:1], s15, v3
                                        ; implicit-def: $vgpr66
	s_and_saveexec_b64 s[12:13], s[0:1]
	s_xor_b64 s[0:1], exec, s[12:13]
; %bb.163:                              ;   in Loop: Header=BB157_40 Depth=1
	v_bfe_u32 v3, v2, 16, 1
	v_add3_u32 v66, v2, v3, s20
                                        ; implicit-def: $vgpr2
; %bb.164:                              ;   in Loop: Header=BB157_40 Depth=1
	s_andn2_saveexec_b64 s[12:13], s[0:1]
; %bb.165:                              ;   in Loop: Header=BB157_40 Depth=1
	v_or_b32_e32 v3, 0x10000, v2
	v_cmp_eq_u32_sdwa s[0:1], v2, v17 src0_sel:WORD_0 src1_sel:DWORD
	s_nop 1
	v_cndmask_b32_e64 v66, v3, v2, s[0:1]
; %bb.166:                              ;   in Loop: Header=BB157_40 Depth=1
	s_or_b64 exec, exec, s[12:13]
	v_lshlrev_b32_e32 v2, 16, v5
	v_mul_f32_e32 v2, v51, v2
	v_and_b32_e32 v3, 0x7f800000, v2
	v_cmp_ne_u32_e64 s[0:1], s15, v3
                                        ; implicit-def: $vgpr67
	s_and_saveexec_b64 s[12:13], s[0:1]
	s_xor_b64 s[0:1], exec, s[12:13]
; %bb.167:                              ;   in Loop: Header=BB157_40 Depth=1
	v_bfe_u32 v3, v2, 16, 1
	v_add3_u32 v67, v2, v3, s20
                                        ; implicit-def: $vgpr2
; %bb.168:                              ;   in Loop: Header=BB157_40 Depth=1
	s_andn2_saveexec_b64 s[12:13], s[0:1]
; %bb.169:                              ;   in Loop: Header=BB157_40 Depth=1
	v_or_b32_e32 v3, 0x10000, v2
	v_cmp_eq_u32_sdwa s[0:1], v2, v17 src0_sel:WORD_0 src1_sel:DWORD
	s_nop 1
	v_cndmask_b32_e64 v67, v3, v2, s[0:1]
; %bb.170:                              ;   in Loop: Header=BB157_40 Depth=1
	s_or_b64 exec, exec, s[12:13]
	v_lshlrev_b32_e32 v2, 16, v21
	v_mul_f32_e32 v2, v52, v2
	v_and_b32_e32 v3, 0x7f800000, v2
	v_cmp_ne_u32_e64 s[0:1], s15, v3
                                        ; implicit-def: $vgpr68
	s_and_saveexec_b64 s[12:13], s[0:1]
	s_xor_b64 s[0:1], exec, s[12:13]
; %bb.171:                              ;   in Loop: Header=BB157_40 Depth=1
	v_bfe_u32 v3, v2, 16, 1
	v_add3_u32 v68, v2, v3, s20
                                        ; implicit-def: $vgpr2
; %bb.172:                              ;   in Loop: Header=BB157_40 Depth=1
	s_andn2_saveexec_b64 s[12:13], s[0:1]
; %bb.173:                              ;   in Loop: Header=BB157_40 Depth=1
	v_or_b32_e32 v3, 0x10000, v2
	v_cmp_eq_u32_sdwa s[0:1], v2, v17 src0_sel:WORD_0 src1_sel:DWORD
	s_nop 1
	v_cndmask_b32_e64 v68, v3, v2, s[0:1]
; %bb.174:                              ;   in Loop: Header=BB157_40 Depth=1
	s_or_b64 exec, exec, s[12:13]
	global_load_dwordx4 v[2:5], v[8:9], off offset:3072
	s_waitcnt vmcnt(0)
	v_lshrrev_b32_e32 v9, 16, v2
	v_lshrrev_b32_e32 v70, 16, v3
	v_lshrrev_b32_e32 v23, 16, v4
	v_lshrrev_b32_e32 v21, 16, v5
	s_and_saveexec_b64 s[12:13], vcc
	s_cbranch_execz .LBB157_176
; %bb.175:                              ;   in Loop: Header=BB157_40 Depth=1
	v_cmp_gt_i32_e64 s[0:1], s33, v37
	s_nop 1
	v_cndmask_b32_e64 v2, 0, v2, s[0:1]
	v_cmp_gt_i32_e64 s[0:1], s33, v43
	s_nop 1
	v_cndmask_b32_e64 v9, 0, v9, s[0:1]
	;; [unrolled: 3-line block ×8, first 2 shown]
.LBB157_176:                            ;   in Loop: Header=BB157_40 Depth=1
	s_or_b64 exec, exec, s[12:13]
	v_lshlrev_b32_e32 v2, 16, v2
	v_mul_f32_e32 v2, v45, v2
	v_and_b32_e32 v8, 0x7f800000, v2
	v_cmp_ne_u32_e64 s[0:1], s15, v8
                                        ; implicit-def: $vgpr8
	s_and_saveexec_b64 s[12:13], s[0:1]
	s_xor_b64 s[0:1], exec, s[12:13]
; %bb.177:                              ;   in Loop: Header=BB157_40 Depth=1
	v_bfe_u32 v8, v2, 16, 1
	v_add3_u32 v8, v2, v8, s20
                                        ; implicit-def: $vgpr2
; %bb.178:                              ;   in Loop: Header=BB157_40 Depth=1
	s_andn2_saveexec_b64 s[12:13], s[0:1]
; %bb.179:                              ;   in Loop: Header=BB157_40 Depth=1
	v_or_b32_e32 v8, 0x10000, v2
	v_cmp_eq_u32_sdwa s[0:1], v2, v17 src0_sel:WORD_0 src1_sel:DWORD
	s_nop 1
	v_cndmask_b32_e64 v8, v8, v2, s[0:1]
; %bb.180:                              ;   in Loop: Header=BB157_40 Depth=1
	s_or_b64 exec, exec, s[12:13]
	v_lshlrev_b32_e32 v2, 16, v9
	v_mul_f32_e32 v2, v46, v2
	v_and_b32_e32 v9, 0x7f800000, v2
	v_cmp_ne_u32_e64 s[0:1], s15, v9
                                        ; implicit-def: $vgpr9
	s_and_saveexec_b64 s[12:13], s[0:1]
	s_xor_b64 s[0:1], exec, s[12:13]
; %bb.181:                              ;   in Loop: Header=BB157_40 Depth=1
	v_bfe_u32 v9, v2, 16, 1
	v_add3_u32 v9, v2, v9, s20
                                        ; implicit-def: $vgpr2
; %bb.182:                              ;   in Loop: Header=BB157_40 Depth=1
	s_andn2_saveexec_b64 s[12:13], s[0:1]
; %bb.183:                              ;   in Loop: Header=BB157_40 Depth=1
	v_or_b32_e32 v9, 0x10000, v2
	v_cmp_eq_u32_sdwa s[0:1], v2, v17 src0_sel:WORD_0 src1_sel:DWORD
	s_nop 1
	v_cndmask_b32_e64 v9, v9, v2, s[0:1]
; %bb.184:                              ;   in Loop: Header=BB157_40 Depth=1
	s_or_b64 exec, exec, s[12:13]
	v_lshlrev_b32_e32 v2, 16, v3
	v_mul_f32_e32 v2, v47, v2
	v_and_b32_e32 v3, 0x7f800000, v2
	v_cmp_ne_u32_e64 s[0:1], s15, v3
                                        ; implicit-def: $vgpr69
	s_and_saveexec_b64 s[12:13], s[0:1]
	s_xor_b64 s[0:1], exec, s[12:13]
; %bb.185:                              ;   in Loop: Header=BB157_40 Depth=1
	v_bfe_u32 v3, v2, 16, 1
	v_add3_u32 v69, v2, v3, s20
                                        ; implicit-def: $vgpr2
; %bb.186:                              ;   in Loop: Header=BB157_40 Depth=1
	s_andn2_saveexec_b64 s[12:13], s[0:1]
; %bb.187:                              ;   in Loop: Header=BB157_40 Depth=1
	v_or_b32_e32 v3, 0x10000, v2
	v_cmp_eq_u32_sdwa s[0:1], v2, v17 src0_sel:WORD_0 src1_sel:DWORD
	s_nop 1
	v_cndmask_b32_e64 v69, v3, v2, s[0:1]
; %bb.188:                              ;   in Loop: Header=BB157_40 Depth=1
	s_or_b64 exec, exec, s[12:13]
	v_lshlrev_b32_e32 v2, 16, v70
	v_mul_f32_e32 v2, v48, v2
	v_and_b32_e32 v3, 0x7f800000, v2
	v_cmp_ne_u32_e64 s[0:1], s15, v3
                                        ; implicit-def: $vgpr70
	s_and_saveexec_b64 s[12:13], s[0:1]
	s_xor_b64 s[0:1], exec, s[12:13]
; %bb.189:                              ;   in Loop: Header=BB157_40 Depth=1
	v_bfe_u32 v3, v2, 16, 1
	v_add3_u32 v70, v2, v3, s20
                                        ; implicit-def: $vgpr2
; %bb.190:                              ;   in Loop: Header=BB157_40 Depth=1
	s_andn2_saveexec_b64 s[12:13], s[0:1]
; %bb.191:                              ;   in Loop: Header=BB157_40 Depth=1
	v_or_b32_e32 v3, 0x10000, v2
	v_cmp_eq_u32_sdwa s[0:1], v2, v17 src0_sel:WORD_0 src1_sel:DWORD
	s_nop 1
	v_cndmask_b32_e64 v70, v3, v2, s[0:1]
; %bb.192:                              ;   in Loop: Header=BB157_40 Depth=1
	s_or_b64 exec, exec, s[12:13]
	v_lshlrev_b32_e32 v2, 16, v4
	v_mul_f32_e32 v2, v49, v2
	v_and_b32_e32 v3, 0x7f800000, v2
	v_cmp_ne_u32_e64 s[0:1], s15, v3
                                        ; implicit-def: $vgpr71
	s_and_saveexec_b64 s[12:13], s[0:1]
	s_xor_b64 s[0:1], exec, s[12:13]
; %bb.193:                              ;   in Loop: Header=BB157_40 Depth=1
	v_bfe_u32 v3, v2, 16, 1
	v_add3_u32 v71, v2, v3, s20
                                        ; implicit-def: $vgpr2
; %bb.194:                              ;   in Loop: Header=BB157_40 Depth=1
	s_andn2_saveexec_b64 s[12:13], s[0:1]
; %bb.195:                              ;   in Loop: Header=BB157_40 Depth=1
	v_or_b32_e32 v3, 0x10000, v2
	v_cmp_eq_u32_sdwa s[0:1], v2, v17 src0_sel:WORD_0 src1_sel:DWORD
	s_nop 1
	v_cndmask_b32_e64 v71, v3, v2, s[0:1]
; %bb.196:                              ;   in Loop: Header=BB157_40 Depth=1
	s_or_b64 exec, exec, s[12:13]
	v_lshlrev_b32_e32 v2, 16, v23
	v_mul_f32_e32 v2, v50, v2
	v_and_b32_e32 v3, 0x7f800000, v2
	v_cmp_ne_u32_e64 s[0:1], s15, v3
                                        ; implicit-def: $vgpr72
	s_and_saveexec_b64 s[12:13], s[0:1]
	s_xor_b64 s[0:1], exec, s[12:13]
; %bb.197:                              ;   in Loop: Header=BB157_40 Depth=1
	v_bfe_u32 v3, v2, 16, 1
	v_add3_u32 v72, v2, v3, s20
                                        ; implicit-def: $vgpr2
; %bb.198:                              ;   in Loop: Header=BB157_40 Depth=1
	s_andn2_saveexec_b64 s[12:13], s[0:1]
; %bb.199:                              ;   in Loop: Header=BB157_40 Depth=1
	v_or_b32_e32 v3, 0x10000, v2
	v_cmp_eq_u32_sdwa s[0:1], v2, v17 src0_sel:WORD_0 src1_sel:DWORD
	s_nop 1
	v_cndmask_b32_e64 v72, v3, v2, s[0:1]
; %bb.200:                              ;   in Loop: Header=BB157_40 Depth=1
	s_or_b64 exec, exec, s[12:13]
	v_lshlrev_b32_e32 v2, 16, v5
	v_mul_f32_e32 v2, v51, v2
	v_and_b32_e32 v3, 0x7f800000, v2
	v_cmp_ne_u32_e64 s[0:1], s15, v3
                                        ; implicit-def: $vgpr73
	s_and_saveexec_b64 s[12:13], s[0:1]
	s_xor_b64 s[0:1], exec, s[12:13]
; %bb.201:                              ;   in Loop: Header=BB157_40 Depth=1
	v_bfe_u32 v3, v2, 16, 1
	v_add3_u32 v73, v2, v3, s20
                                        ; implicit-def: $vgpr2
; %bb.202:                              ;   in Loop: Header=BB157_40 Depth=1
	s_andn2_saveexec_b64 s[12:13], s[0:1]
; %bb.203:                              ;   in Loop: Header=BB157_40 Depth=1
	v_or_b32_e32 v3, 0x10000, v2
	v_cmp_eq_u32_sdwa s[0:1], v2, v17 src0_sel:WORD_0 src1_sel:DWORD
	s_nop 1
	v_cndmask_b32_e64 v73, v3, v2, s[0:1]
; %bb.204:                              ;   in Loop: Header=BB157_40 Depth=1
	s_or_b64 exec, exec, s[12:13]
	v_lshlrev_b32_e32 v2, 16, v21
	v_mul_f32_e32 v2, v52, v2
	v_and_b32_e32 v3, 0x7f800000, v2
	v_cmp_ne_u32_e64 s[0:1], s15, v3
                                        ; implicit-def: $vgpr74
	s_and_saveexec_b64 s[12:13], s[0:1]
	s_xor_b64 s[0:1], exec, s[12:13]
; %bb.205:                              ;   in Loop: Header=BB157_40 Depth=1
	v_bfe_u32 v3, v2, 16, 1
	v_add3_u32 v74, v2, v3, s20
                                        ; implicit-def: $vgpr2
; %bb.206:                              ;   in Loop: Header=BB157_40 Depth=1
	s_andn2_saveexec_b64 s[12:13], s[0:1]
; %bb.207:                              ;   in Loop: Header=BB157_40 Depth=1
	v_or_b32_e32 v3, 0x10000, v2
	v_cmp_eq_u32_sdwa s[0:1], v2, v17 src0_sel:WORD_0 src1_sel:DWORD
	s_nop 1
	v_cndmask_b32_e64 v74, v3, v2, s[0:1]
; %bb.208:                              ;   in Loop: Header=BB157_40 Depth=1
	s_or_b64 exec, exec, s[12:13]
	v_mov_b32_e32 v21, v17
	v_lshl_add_u64 v[2:3], v[6:7], 0, v[20:21]
	global_load_dwordx4 v[2:5], v[2:3], off
	s_waitcnt vmcnt(0)
	v_lshrrev_b32_e32 v75, 16, v2
	v_lshrrev_b32_e32 v77, 16, v3
	;; [unrolled: 1-line block ×4, first 2 shown]
	s_and_saveexec_b64 s[12:13], vcc
	s_cbranch_execz .LBB157_210
; %bb.209:                              ;   in Loop: Header=BB157_40 Depth=1
	v_cmp_gt_i32_e64 s[0:1], s33, v37
	s_nop 1
	v_cndmask_b32_e64 v2, 0, v2, s[0:1]
	v_cmp_gt_i32_e64 s[0:1], s33, v43
	s_nop 1
	v_cndmask_b32_e64 v75, 0, v75, s[0:1]
	;; [unrolled: 3-line block ×8, first 2 shown]
.LBB157_210:                            ;   in Loop: Header=BB157_40 Depth=1
	s_or_b64 exec, exec, s[12:13]
	v_lshlrev_b32_e32 v2, 16, v2
	v_mul_f32_e32 v2, v45, v2
	v_and_b32_e32 v21, 0x7f800000, v2
	v_cmp_ne_u32_e64 s[0:1], s15, v21
                                        ; implicit-def: $vgpr21
	s_and_saveexec_b64 s[12:13], s[0:1]
	s_xor_b64 s[0:1], exec, s[12:13]
; %bb.211:                              ;   in Loop: Header=BB157_40 Depth=1
	v_bfe_u32 v21, v2, 16, 1
	v_add3_u32 v21, v2, v21, s20
                                        ; implicit-def: $vgpr2
; %bb.212:                              ;   in Loop: Header=BB157_40 Depth=1
	s_andn2_saveexec_b64 s[12:13], s[0:1]
; %bb.213:                              ;   in Loop: Header=BB157_40 Depth=1
	v_or_b32_e32 v21, 0x10000, v2
	v_cmp_eq_u32_sdwa s[0:1], v2, v17 src0_sel:WORD_0 src1_sel:DWORD
	s_nop 1
	v_cndmask_b32_e64 v21, v21, v2, s[0:1]
; %bb.214:                              ;   in Loop: Header=BB157_40 Depth=1
	s_or_b64 exec, exec, s[12:13]
	v_lshlrev_b32_e32 v2, 16, v75
	v_mul_f32_e32 v2, v46, v2
	v_and_b32_e32 v75, 0x7f800000, v2
	v_cmp_ne_u32_e64 s[0:1], s15, v75
                                        ; implicit-def: $vgpr75
	s_and_saveexec_b64 s[12:13], s[0:1]
	s_xor_b64 s[0:1], exec, s[12:13]
; %bb.215:                              ;   in Loop: Header=BB157_40 Depth=1
	v_bfe_u32 v75, v2, 16, 1
	v_add3_u32 v75, v2, v75, s20
                                        ; implicit-def: $vgpr2
; %bb.216:                              ;   in Loop: Header=BB157_40 Depth=1
	s_andn2_saveexec_b64 s[12:13], s[0:1]
; %bb.217:                              ;   in Loop: Header=BB157_40 Depth=1
	v_or_b32_e32 v75, 0x10000, v2
	v_cmp_eq_u32_sdwa s[0:1], v2, v17 src0_sel:WORD_0 src1_sel:DWORD
	s_nop 1
	v_cndmask_b32_e64 v75, v75, v2, s[0:1]
; %bb.218:                              ;   in Loop: Header=BB157_40 Depth=1
	s_or_b64 exec, exec, s[12:13]
	v_lshlrev_b32_e32 v2, 16, v3
	v_mul_f32_e32 v2, v47, v2
	v_and_b32_e32 v3, 0x7f800000, v2
	v_cmp_ne_u32_e64 s[0:1], s15, v3
                                        ; implicit-def: $vgpr76
	s_and_saveexec_b64 s[12:13], s[0:1]
	s_xor_b64 s[0:1], exec, s[12:13]
; %bb.219:                              ;   in Loop: Header=BB157_40 Depth=1
	v_bfe_u32 v3, v2, 16, 1
	v_add3_u32 v76, v2, v3, s20
                                        ; implicit-def: $vgpr2
; %bb.220:                              ;   in Loop: Header=BB157_40 Depth=1
	s_andn2_saveexec_b64 s[12:13], s[0:1]
; %bb.221:                              ;   in Loop: Header=BB157_40 Depth=1
	v_or_b32_e32 v3, 0x10000, v2
	v_cmp_eq_u32_sdwa s[0:1], v2, v17 src0_sel:WORD_0 src1_sel:DWORD
	s_nop 1
	v_cndmask_b32_e64 v76, v3, v2, s[0:1]
; %bb.222:                              ;   in Loop: Header=BB157_40 Depth=1
	s_or_b64 exec, exec, s[12:13]
	v_lshlrev_b32_e32 v2, 16, v77
	v_mul_f32_e32 v2, v48, v2
	v_and_b32_e32 v3, 0x7f800000, v2
	v_cmp_ne_u32_e64 s[0:1], s15, v3
                                        ; implicit-def: $vgpr77
	s_and_saveexec_b64 s[12:13], s[0:1]
	s_xor_b64 s[0:1], exec, s[12:13]
; %bb.223:                              ;   in Loop: Header=BB157_40 Depth=1
	v_bfe_u32 v3, v2, 16, 1
	v_add3_u32 v77, v2, v3, s20
                                        ; implicit-def: $vgpr2
; %bb.224:                              ;   in Loop: Header=BB157_40 Depth=1
	s_andn2_saveexec_b64 s[12:13], s[0:1]
; %bb.225:                              ;   in Loop: Header=BB157_40 Depth=1
	v_or_b32_e32 v3, 0x10000, v2
	v_cmp_eq_u32_sdwa s[0:1], v2, v17 src0_sel:WORD_0 src1_sel:DWORD
	s_nop 1
	v_cndmask_b32_e64 v77, v3, v2, s[0:1]
; %bb.226:                              ;   in Loop: Header=BB157_40 Depth=1
	s_or_b64 exec, exec, s[12:13]
	v_lshlrev_b32_e32 v2, 16, v4
	v_mul_f32_e32 v2, v49, v2
	v_and_b32_e32 v3, 0x7f800000, v2
	v_cmp_ne_u32_e64 s[0:1], s15, v3
                                        ; implicit-def: $vgpr78
	s_and_saveexec_b64 s[12:13], s[0:1]
	s_xor_b64 s[0:1], exec, s[12:13]
; %bb.227:                              ;   in Loop: Header=BB157_40 Depth=1
	v_bfe_u32 v3, v2, 16, 1
	v_add3_u32 v78, v2, v3, s20
                                        ; implicit-def: $vgpr2
; %bb.228:                              ;   in Loop: Header=BB157_40 Depth=1
	s_andn2_saveexec_b64 s[12:13], s[0:1]
; %bb.229:                              ;   in Loop: Header=BB157_40 Depth=1
	v_or_b32_e32 v3, 0x10000, v2
	v_cmp_eq_u32_sdwa s[0:1], v2, v17 src0_sel:WORD_0 src1_sel:DWORD
	s_nop 1
	v_cndmask_b32_e64 v78, v3, v2, s[0:1]
; %bb.230:                              ;   in Loop: Header=BB157_40 Depth=1
	s_or_b64 exec, exec, s[12:13]
	v_lshlrev_b32_e32 v2, 16, v79
	v_mul_f32_e32 v2, v50, v2
	v_and_b32_e32 v3, 0x7f800000, v2
	v_cmp_ne_u32_e64 s[0:1], s15, v3
                                        ; implicit-def: $vgpr79
	s_and_saveexec_b64 s[12:13], s[0:1]
	s_xor_b64 s[0:1], exec, s[12:13]
; %bb.231:                              ;   in Loop: Header=BB157_40 Depth=1
	v_bfe_u32 v3, v2, 16, 1
	v_add3_u32 v79, v2, v3, s20
                                        ; implicit-def: $vgpr2
; %bb.232:                              ;   in Loop: Header=BB157_40 Depth=1
	s_andn2_saveexec_b64 s[12:13], s[0:1]
; %bb.233:                              ;   in Loop: Header=BB157_40 Depth=1
	v_or_b32_e32 v3, 0x10000, v2
	v_cmp_eq_u32_sdwa s[0:1], v2, v17 src0_sel:WORD_0 src1_sel:DWORD
	s_nop 1
	v_cndmask_b32_e64 v79, v3, v2, s[0:1]
; %bb.234:                              ;   in Loop: Header=BB157_40 Depth=1
	s_or_b64 exec, exec, s[12:13]
	v_lshlrev_b32_e32 v2, 16, v5
	v_mul_f32_e32 v2, v51, v2
	v_and_b32_e32 v3, 0x7f800000, v2
	v_cmp_ne_u32_e64 s[0:1], s15, v3
                                        ; implicit-def: $vgpr80
	s_and_saveexec_b64 s[12:13], s[0:1]
	s_xor_b64 s[0:1], exec, s[12:13]
; %bb.235:                              ;   in Loop: Header=BB157_40 Depth=1
	v_bfe_u32 v3, v2, 16, 1
	v_add3_u32 v80, v2, v3, s20
                                        ; implicit-def: $vgpr2
; %bb.236:                              ;   in Loop: Header=BB157_40 Depth=1
	s_andn2_saveexec_b64 s[12:13], s[0:1]
; %bb.237:                              ;   in Loop: Header=BB157_40 Depth=1
	v_or_b32_e32 v3, 0x10000, v2
	v_cmp_eq_u32_sdwa s[0:1], v2, v17 src0_sel:WORD_0 src1_sel:DWORD
	s_nop 1
	v_cndmask_b32_e64 v80, v3, v2, s[0:1]
; %bb.238:                              ;   in Loop: Header=BB157_40 Depth=1
	s_or_b64 exec, exec, s[12:13]
	v_lshlrev_b32_e32 v2, 16, v23
	v_mul_f32_e32 v2, v52, v2
	v_and_b32_e32 v3, 0x7f800000, v2
	v_cmp_ne_u32_e64 s[0:1], s15, v3
                                        ; implicit-def: $vgpr81
	s_and_saveexec_b64 s[12:13], s[0:1]
	s_xor_b64 s[0:1], exec, s[12:13]
; %bb.239:                              ;   in Loop: Header=BB157_40 Depth=1
	v_bfe_u32 v3, v2, 16, 1
	v_add3_u32 v81, v2, v3, s20
                                        ; implicit-def: $vgpr2
; %bb.240:                              ;   in Loop: Header=BB157_40 Depth=1
	s_andn2_saveexec_b64 s[12:13], s[0:1]
; %bb.241:                              ;   in Loop: Header=BB157_40 Depth=1
	v_or_b32_e32 v3, 0x10000, v2
	v_cmp_eq_u32_sdwa s[0:1], v2, v17 src0_sel:WORD_0 src1_sel:DWORD
	s_nop 1
	v_cndmask_b32_e64 v81, v3, v2, s[0:1]
; %bb.242:                              ;   in Loop: Header=BB157_40 Depth=1
	s_or_b64 exec, exec, s[12:13]
	v_mov_b32_e32 v23, v17
	v_lshl_add_u64 v[2:3], v[6:7], 0, v[22:23]
	global_load_dwordx4 v[2:5], v[2:3], off
	s_waitcnt vmcnt(0)
	v_lshrrev_b32_e32 v6, 16, v2
	v_lshrrev_b32_e32 v23, 16, v3
	;; [unrolled: 1-line block ×4, first 2 shown]
	s_and_saveexec_b64 s[0:1], vcc
	s_cbranch_execz .LBB157_244
; %bb.243:                              ;   in Loop: Header=BB157_40 Depth=1
	v_cmp_gt_i32_e32 vcc, s33, v37
	s_nop 1
	v_cndmask_b32_e32 v2, 0, v2, vcc
	v_cmp_gt_i32_e32 vcc, s33, v43
	s_nop 1
	v_cndmask_b32_e32 v6, 0, v6, vcc
	;; [unrolled: 3-line block ×8, first 2 shown]
.LBB157_244:                            ;   in Loop: Header=BB157_40 Depth=1
	s_or_b64 exec, exec, s[0:1]
	v_lshlrev_b32_e32 v2, 16, v2
	v_mul_f32_e32 v37, v45, v2
	v_and_b32_e32 v2, 0x7f800000, v37
	v_cmp_ne_u32_e32 vcc, s15, v2
                                        ; implicit-def: $vgpr2
	s_and_saveexec_b64 s[0:1], vcc
	s_xor_b64 s[0:1], exec, s[0:1]
; %bb.245:                              ;   in Loop: Header=BB157_40 Depth=1
	v_bfe_u32 v2, v37, 16, 1
	v_add3_u32 v2, v37, v2, s20
                                        ; implicit-def: $vgpr37
; %bb.246:                              ;   in Loop: Header=BB157_40 Depth=1
	s_andn2_saveexec_b64 s[0:1], s[0:1]
; %bb.247:                              ;   in Loop: Header=BB157_40 Depth=1
	v_or_b32_e32 v2, 0x10000, v37
	v_cmp_eq_u32_sdwa vcc, v37, v17 src0_sel:WORD_0 src1_sel:DWORD
	s_nop 1
	v_cndmask_b32_e32 v2, v2, v37, vcc
; %bb.248:                              ;   in Loop: Header=BB157_40 Depth=1
	s_or_b64 exec, exec, s[0:1]
	v_lshlrev_b32_e32 v6, 16, v6
	v_mul_f32_e32 v37, v46, v6
	v_and_b32_e32 v6, 0x7f800000, v37
	v_cmp_ne_u32_e32 vcc, s15, v6
                                        ; implicit-def: $vgpr6
	s_and_saveexec_b64 s[0:1], vcc
	s_xor_b64 s[0:1], exec, s[0:1]
; %bb.249:                              ;   in Loop: Header=BB157_40 Depth=1
	v_bfe_u32 v6, v37, 16, 1
	v_add3_u32 v6, v37, v6, s20
                                        ; implicit-def: $vgpr37
; %bb.250:                              ;   in Loop: Header=BB157_40 Depth=1
	s_andn2_saveexec_b64 s[0:1], s[0:1]
; %bb.251:                              ;   in Loop: Header=BB157_40 Depth=1
	v_or_b32_e32 v6, 0x10000, v37
	v_cmp_eq_u32_sdwa vcc, v37, v17 src0_sel:WORD_0 src1_sel:DWORD
	s_nop 1
	v_cndmask_b32_e32 v6, v6, v37, vcc
; %bb.252:                              ;   in Loop: Header=BB157_40 Depth=1
	s_or_b64 exec, exec, s[0:1]
	v_lshlrev_b32_e32 v3, 16, v3
	v_mul_f32_e32 v37, v47, v3
	v_and_b32_e32 v3, 0x7f800000, v37
	v_cmp_ne_u32_e32 vcc, s15, v3
                                        ; implicit-def: $vgpr3
	s_and_saveexec_b64 s[0:1], vcc
	s_xor_b64 s[0:1], exec, s[0:1]
; %bb.253:                              ;   in Loop: Header=BB157_40 Depth=1
	v_bfe_u32 v3, v37, 16, 1
	v_add3_u32 v3, v37, v3, s20
                                        ; implicit-def: $vgpr37
; %bb.254:                              ;   in Loop: Header=BB157_40 Depth=1
	s_andn2_saveexec_b64 s[0:1], s[0:1]
; %bb.255:                              ;   in Loop: Header=BB157_40 Depth=1
	v_or_b32_e32 v3, 0x10000, v37
	v_cmp_eq_u32_sdwa vcc, v37, v17 src0_sel:WORD_0 src1_sel:DWORD
	s_nop 1
	v_cndmask_b32_e32 v3, v3, v37, vcc
; %bb.256:                              ;   in Loop: Header=BB157_40 Depth=1
	s_or_b64 exec, exec, s[0:1]
	v_lshlrev_b32_e32 v23, 16, v23
	v_mul_f32_e32 v37, v48, v23
	v_and_b32_e32 v23, 0x7f800000, v37
	v_cmp_ne_u32_e32 vcc, s15, v23
                                        ; implicit-def: $vgpr23
	s_and_saveexec_b64 s[0:1], vcc
	s_xor_b64 s[0:1], exec, s[0:1]
; %bb.257:                              ;   in Loop: Header=BB157_40 Depth=1
	v_bfe_u32 v23, v37, 16, 1
	v_add3_u32 v23, v37, v23, s20
                                        ; implicit-def: $vgpr37
; %bb.258:                              ;   in Loop: Header=BB157_40 Depth=1
	s_andn2_saveexec_b64 s[0:1], s[0:1]
; %bb.259:                              ;   in Loop: Header=BB157_40 Depth=1
	v_or_b32_e32 v23, 0x10000, v37
	v_cmp_eq_u32_sdwa vcc, v37, v17 src0_sel:WORD_0 src1_sel:DWORD
	s_nop 1
	v_cndmask_b32_e32 v23, v23, v37, vcc
; %bb.260:                              ;   in Loop: Header=BB157_40 Depth=1
	s_or_b64 exec, exec, s[0:1]
	v_lshlrev_b32_e32 v4, 16, v4
	v_mul_f32_e32 v37, v49, v4
	v_and_b32_e32 v4, 0x7f800000, v37
	v_cmp_ne_u32_e32 vcc, s15, v4
                                        ; implicit-def: $vgpr4
	s_and_saveexec_b64 s[0:1], vcc
	s_xor_b64 s[0:1], exec, s[0:1]
; %bb.261:                              ;   in Loop: Header=BB157_40 Depth=1
	v_bfe_u32 v4, v37, 16, 1
	v_add3_u32 v4, v37, v4, s20
                                        ; implicit-def: $vgpr37
; %bb.262:                              ;   in Loop: Header=BB157_40 Depth=1
	s_andn2_saveexec_b64 s[0:1], s[0:1]
; %bb.263:                              ;   in Loop: Header=BB157_40 Depth=1
	v_or_b32_e32 v4, 0x10000, v37
	v_cmp_eq_u32_sdwa vcc, v37, v17 src0_sel:WORD_0 src1_sel:DWORD
	s_nop 1
	v_cndmask_b32_e32 v4, v4, v37, vcc
; %bb.264:                              ;   in Loop: Header=BB157_40 Depth=1
	s_or_b64 exec, exec, s[0:1]
	v_lshlrev_b32_e32 v37, 16, v82
	v_mul_f32_e32 v38, v50, v37
	v_and_b32_e32 v37, 0x7f800000, v38
	v_cmp_ne_u32_e32 vcc, s15, v37
                                        ; implicit-def: $vgpr37
	s_and_saveexec_b64 s[0:1], vcc
	s_xor_b64 s[0:1], exec, s[0:1]
; %bb.265:                              ;   in Loop: Header=BB157_40 Depth=1
	v_bfe_u32 v37, v38, 16, 1
	v_add3_u32 v37, v38, v37, s20
                                        ; implicit-def: $vgpr38
; %bb.266:                              ;   in Loop: Header=BB157_40 Depth=1
	s_andn2_saveexec_b64 s[0:1], s[0:1]
; %bb.267:                              ;   in Loop: Header=BB157_40 Depth=1
	v_or_b32_e32 v37, 0x10000, v38
	v_cmp_eq_u32_sdwa vcc, v38, v17 src0_sel:WORD_0 src1_sel:DWORD
	s_nop 1
	v_cndmask_b32_e32 v37, v37, v38, vcc
; %bb.268:                              ;   in Loop: Header=BB157_40 Depth=1
	s_or_b64 exec, exec, s[0:1]
	v_lshlrev_b32_e32 v5, 16, v5
	v_mul_f32_e32 v38, v51, v5
	v_and_b32_e32 v5, 0x7f800000, v38
	v_cmp_ne_u32_e32 vcc, s15, v5
                                        ; implicit-def: $vgpr5
	s_and_saveexec_b64 s[0:1], vcc
	s_xor_b64 s[0:1], exec, s[0:1]
; %bb.269:                              ;   in Loop: Header=BB157_40 Depth=1
	v_bfe_u32 v5, v38, 16, 1
	v_add3_u32 v5, v38, v5, s20
                                        ; implicit-def: $vgpr38
; %bb.270:                              ;   in Loop: Header=BB157_40 Depth=1
	s_andn2_saveexec_b64 s[0:1], s[0:1]
; %bb.271:                              ;   in Loop: Header=BB157_40 Depth=1
	v_or_b32_e32 v5, 0x10000, v38
	v_cmp_eq_u32_sdwa vcc, v38, v17 src0_sel:WORD_0 src1_sel:DWORD
	s_nop 1
	v_cndmask_b32_e32 v5, v5, v38, vcc
; %bb.272:                              ;   in Loop: Header=BB157_40 Depth=1
	s_or_b64 exec, exec, s[0:1]
	v_lshlrev_b32_e32 v7, 16, v7
	v_mul_f32_e32 v38, v52, v7
	v_and_b32_e32 v7, 0x7f800000, v38
	v_cmp_ne_u32_e32 vcc, s15, v7
                                        ; implicit-def: $vgpr7
	s_and_saveexec_b64 s[0:1], vcc
	s_xor_b64 s[0:1], exec, s[0:1]
; %bb.273:                              ;   in Loop: Header=BB157_40 Depth=1
	v_bfe_u32 v7, v38, 16, 1
	v_add3_u32 v7, v38, v7, s20
                                        ; implicit-def: $vgpr38
; %bb.274:                              ;   in Loop: Header=BB157_40 Depth=1
	s_andn2_saveexec_b64 s[0:1], s[0:1]
	s_cbranch_execz .LBB157_39
; %bb.275:                              ;   in Loop: Header=BB157_40 Depth=1
	v_or_b32_e32 v7, 0x10000, v38
	v_cmp_eq_u32_sdwa vcc, v38, v17 src0_sel:WORD_0 src1_sel:DWORD
	s_nop 1
	v_cndmask_b32_e32 v7, v7, v38, vcc
	s_branch .LBB157_39
.LBB157_276:
	s_or_b64 exec, exec, s[8:9]
.LBB157_277:
	s_or_b64 exec, exec, s[2:3]
	ds_bpermute_b32 v2, v25, v14
	ds_bpermute_b32 v3, v25, v15
	;; [unrolled: 1-line block ×6, first 2 shown]
	s_waitcnt lgkmcnt(4)
	v_pk_add_f32 v[2:3], v[14:15], v[2:3]
	ds_bpermute_b32 v8, v26, v2
	s_waitcnt lgkmcnt(3)
	v_pk_add_f32 v[4:5], v[12:13], v[4:5]
	ds_bpermute_b32 v9, v26, v3
	;; [unrolled: 3-line block ×3, first 2 shown]
	ds_bpermute_b32 v13, v26, v5
	ds_bpermute_b32 v14, v26, v10
	;; [unrolled: 1-line block ×3, first 2 shown]
	v_and_b32_e32 v1, 0x3c3, v0
	s_waitcnt lgkmcnt(4)
	v_pk_add_f32 v[6:7], v[2:3], v[8:9]
	s_waitcnt lgkmcnt(2)
	v_pk_add_f32 v[2:3], v[4:5], v[12:13]
	v_cmp_eq_u32_e32 vcc, 64, v1
	s_waitcnt lgkmcnt(0)
	v_pk_add_f32 v[4:5], v[10:11], v[14:15]
	s_barrier
	s_and_saveexec_b64 s[0:1], vcc
	s_cbranch_execz .LBB157_279
; %bb.278:
	v_add_u32_e32 v1, 0xd0, v24
	ds_write2_b32 v1, v6, v7 offset1:16
	ds_write2_b32 v1, v2, v3 offset0:32 offset1:48
	ds_write2_b32 v1, v4, v5 offset0:64 offset1:80
.LBB157_279:
	s_or_b64 exec, exec, s[0:1]
	v_cmp_gt_u32_e32 vcc, 64, v0
	s_waitcnt lgkmcnt(0)
	s_barrier
	s_and_saveexec_b64 s[2:3], vcc
	s_cbranch_execz .LBB157_288
; %bb.280:
	v_cmp_eq_u32_e64 s[0:1], 0, v27
	v_lshrrev_b32_e32 v1, 2, v0
	s_and_saveexec_b64 s[6:7], s[0:1]
	s_cbranch_execnz .LBB157_316
; %bb.281:
	s_or_b64 exec, exec, s[6:7]
	s_and_saveexec_b64 s[6:7], s[0:1]
	s_cbranch_execnz .LBB157_317
.LBB157_282:
	s_or_b64 exec, exec, s[6:7]
	s_and_saveexec_b64 s[6:7], s[0:1]
	s_cbranch_execnz .LBB157_318
.LBB157_283:
	s_or_b64 exec, exec, s[6:7]
	s_and_saveexec_b64 s[6:7], s[0:1]
	s_cbranch_execnz .LBB157_319
.LBB157_284:
	s_or_b64 exec, exec, s[6:7]
	s_and_saveexec_b64 s[6:7], s[0:1]
	s_cbranch_execnz .LBB157_320
.LBB157_285:
	s_or_b64 exec, exec, s[6:7]
	s_and_saveexec_b64 s[6:7], s[0:1]
	s_cbranch_execz .LBB157_287
.LBB157_286:
	v_mov_b32_e32 v8, 0xd0
	v_lshl_add_u32 v1, v1, 2, v8
	ds_read_b32 v1, v1 offset:320
	s_waitcnt lgkmcnt(0)
	v_add_f32_e32 v5, v5, v1
.LBB157_287:
	s_or_b64 exec, exec, s[6:7]
.LBB157_288:
	s_or_b64 exec, exec, s[2:3]
	s_barrier
	s_and_saveexec_b64 s[0:1], vcc
	s_cbranch_execz .LBB157_315
; %bb.289:
	v_cmp_eq_u32_e32 vcc, 0, v27
	s_and_b64 exec, exec, vcc
	s_cbranch_execz .LBB157_315
; %bb.290:
	s_mov_b32 s0, 0x7f800000
	v_and_b32_e32 v1, 0x7f800000, v6
	v_cmp_ne_u32_e32 vcc, s0, v1
                                        ; implicit-def: $vgpr8
	s_and_saveexec_b64 s[0:1], vcc
	s_xor_b64 s[0:1], exec, s[0:1]
; %bb.291:
	v_bfe_u32 v1, v6, 16, 1
	s_movk_i32 s2, 0x7fff
	v_add3_u32 v8, v6, v1, s2
; %bb.292:
	s_andn2_saveexec_b64 s[0:1], s[0:1]
; %bb.293:
	v_mov_b32_e32 v1, 0
	v_or_b32_e32 v8, 0x10000, v6
	v_cmp_eq_u32_sdwa vcc, v6, v1 src0_sel:WORD_0 src1_sel:DWORD
	s_nop 1
	v_cndmask_b32_e32 v8, v8, v6, vcc
; %bb.294:
	s_or_b64 exec, exec, s[0:1]
	s_mul_i32 s0, s10, s11
	s_mul_i32 s0, s0, s5
	s_mulk_i32 s0, 0x60
	s_ashr_i32 s1, s0, 31
	s_lshl_b64 s[0:1], s[0:1], 1
	s_add_u32 s2, s18, s0
	s_mul_i32 s0, s11, s16
	s_addc_u32 s3, s19, s1
	s_ashr_i32 s1, s0, 31
	s_lshl_b64 s[0:1], s[0:1], 1
	s_add_u32 s2, s2, s0
	s_mul_i32 s0, s4, 0x60
	s_addc_u32 s3, s3, s1
	s_ashr_i32 s1, s0, 31
	s_lshl_b64 s[0:1], s[0:1], 1
	s_add_u32 s0, s2, s0
	v_lshrrev_b32_e32 v0, 1, v0
	s_mov_b32 s2, 0x7f800000
	v_and_b32_e32 v6, 0x7f800000, v7
	s_addc_u32 s1, s3, s1
	v_and_b32_e32 v0, 0x1fe, v0
	v_mov_b32_e32 v1, 0
	v_cmp_ne_u32_e32 vcc, s2, v6
	global_store_short_d16_hi v0, v8, s[0:1]
                                        ; implicit-def: $vgpr6
	s_and_saveexec_b64 s[2:3], vcc
	s_xor_b64 s[2:3], exec, s[2:3]
; %bb.295:
	v_bfe_u32 v6, v7, 16, 1
	s_movk_i32 s4, 0x7fff
	v_add3_u32 v6, v7, v6, s4
; %bb.296:
	s_or_saveexec_b64 s[2:3], s[2:3]
	v_lshl_add_u64 v[8:9], s[0:1], 0, v[0:1]
	s_xor_b64 exec, exec, s[2:3]
; %bb.297:
	v_mov_b32_e32 v0, 0
	v_or_b32_e32 v1, 0x10000, v7
	v_cmp_eq_u32_sdwa vcc, v7, v0 src0_sel:WORD_0 src1_sel:DWORD
	s_nop 1
	v_cndmask_b32_e32 v6, v1, v7, vcc
; %bb.298:
	s_or_b64 exec, exec, s[2:3]
	s_mov_b32 s0, 0x7f800000
	v_and_b32_e32 v0, 0x7f800000, v2
	v_cmp_ne_u32_e32 vcc, s0, v0
	global_store_short_d16_hi v[8:9], v6, off offset:32
                                        ; implicit-def: $vgpr0
	s_and_saveexec_b64 s[0:1], vcc
	s_xor_b64 s[0:1], exec, s[0:1]
; %bb.299:
	v_bfe_u32 v0, v2, 16, 1
	s_movk_i32 s2, 0x7fff
	v_add3_u32 v0, v2, v0, s2
; %bb.300:
	s_andn2_saveexec_b64 s[0:1], s[0:1]
; %bb.301:
	v_mov_b32_e32 v0, 0
	v_or_b32_e32 v1, 0x10000, v2
	v_cmp_eq_u32_sdwa vcc, v2, v0 src0_sel:WORD_0 src1_sel:DWORD
	s_nop 1
	v_cndmask_b32_e32 v0, v1, v2, vcc
; %bb.302:
	s_or_b64 exec, exec, s[0:1]
	global_store_short_d16_hi v[8:9], v0, off offset:64
	s_mov_b32 s0, 0x7f800000
	v_and_b32_e32 v0, 0x7f800000, v3
	v_cmp_ne_u32_e32 vcc, s0, v0
                                        ; implicit-def: $vgpr0
	s_and_saveexec_b64 s[0:1], vcc
	s_xor_b64 s[0:1], exec, s[0:1]
; %bb.303:
	v_bfe_u32 v0, v3, 16, 1
	s_movk_i32 s2, 0x7fff
	v_add3_u32 v0, v3, v0, s2
; %bb.304:
	s_andn2_saveexec_b64 s[0:1], s[0:1]
; %bb.305:
	v_mov_b32_e32 v0, 0
	v_or_b32_e32 v1, 0x10000, v3
	v_cmp_eq_u32_sdwa vcc, v3, v0 src0_sel:WORD_0 src1_sel:DWORD
	s_nop 1
	v_cndmask_b32_e32 v0, v1, v3, vcc
; %bb.306:
	s_or_b64 exec, exec, s[0:1]
	global_store_short_d16_hi v[8:9], v0, off offset:96
	s_mov_b32 s0, 0x7f800000
	v_and_b32_e32 v0, 0x7f800000, v4
	v_cmp_ne_u32_e32 vcc, s0, v0
	;; [unrolled: 21-line block ×3, first 2 shown]
                                        ; implicit-def: $vgpr6
	s_and_saveexec_b64 s[0:1], vcc
	s_xor_b64 s[0:1], exec, s[0:1]
; %bb.311:
	v_bfe_u32 v0, v5, 16, 1
	s_movk_i32 s2, 0x7fff
	v_add3_u32 v6, v5, v0, s2
                                        ; implicit-def: $vgpr0_vgpr1_vgpr2_vgpr3_vgpr4_vgpr5
; %bb.312:
	s_andn2_saveexec_b64 s[0:1], s[0:1]
; %bb.313:
	v_mov_b32_e32 v0, 0
	v_or_b32_e32 v1, 0x10000, v5
	v_cmp_eq_u32_sdwa vcc, v5, v0 src0_sel:WORD_0 src1_sel:DWORD
	s_nop 1
	v_cndmask_b32_e32 v6, v1, v5, vcc
; %bb.314:
	s_or_b64 exec, exec, s[0:1]
	global_store_short_d16_hi v[8:9], v6, off offset:160
.LBB157_315:
	s_endpgm
.LBB157_316:
	v_mov_b32_e32 v8, 0xd0
	v_lshl_add_u32 v8, v1, 2, v8
	ds_read_b32 v8, v8
	s_waitcnt lgkmcnt(0)
	v_add_f32_e32 v6, v6, v8
	s_or_b64 exec, exec, s[6:7]
	s_and_saveexec_b64 s[6:7], s[0:1]
	s_cbranch_execz .LBB157_282
.LBB157_317:
	v_mov_b32_e32 v8, 0xd0
	v_lshl_add_u32 v8, v1, 2, v8
	ds_read_b32 v8, v8 offset:64
	s_waitcnt lgkmcnt(0)
	v_add_f32_e32 v7, v7, v8
	s_or_b64 exec, exec, s[6:7]
	s_and_saveexec_b64 s[6:7], s[0:1]
	s_cbranch_execz .LBB157_283
.LBB157_318:
	v_mov_b32_e32 v8, 0xd0
	v_lshl_add_u32 v8, v1, 2, v8
	ds_read_b32 v8, v8 offset:128
	s_waitcnt lgkmcnt(0)
	v_add_f32_e32 v2, v2, v8
	s_or_b64 exec, exec, s[6:7]
	s_and_saveexec_b64 s[6:7], s[0:1]
	s_cbranch_execz .LBB157_284
.LBB157_319:
	v_mov_b32_e32 v8, 0xd0
	v_lshl_add_u32 v8, v1, 2, v8
	ds_read_b32 v8, v8 offset:192
	s_waitcnt lgkmcnt(0)
	v_add_f32_e32 v3, v3, v8
	s_or_b64 exec, exec, s[6:7]
	s_and_saveexec_b64 s[6:7], s[0:1]
	s_cbranch_execz .LBB157_285
.LBB157_320:
	v_mov_b32_e32 v8, 0xd0
	v_lshl_add_u32 v8, v1, 2, v8
	ds_read_b32 v8, v8 offset:256
	s_waitcnt lgkmcnt(0)
	v_add_f32_e32 v4, v4, v8
	s_or_b64 exec, exec, s[6:7]
	s_and_saveexec_b64 s[6:7], s[0:1]
	s_cbranch_execnz .LBB157_286
	s_branch .LBB157_287
	.section	.rodata,"a",@progbits
	.p2align	6, 0x0
	.amdhsa_kernel _ZN4vllm25paged_attention_v1_kernelI14__hip_bfloat16S1_Li96ELi32ELi128ELNS_18Fp8KVCacheDataTypeE0ELb0EEEvPT_PKS3_PKT0_S9_ifPKiSB_iPKfiiiSD_SD_iiiii
		.amdhsa_group_segment_fixed_size 208
		.amdhsa_private_segment_fixed_size 0
		.amdhsa_kernarg_size 384
		.amdhsa_user_sgpr_count 2
		.amdhsa_user_sgpr_dispatch_ptr 0
		.amdhsa_user_sgpr_queue_ptr 0
		.amdhsa_user_sgpr_kernarg_segment_ptr 1
		.amdhsa_user_sgpr_dispatch_id 0
		.amdhsa_user_sgpr_kernarg_preload_length 0
		.amdhsa_user_sgpr_kernarg_preload_offset 0
		.amdhsa_user_sgpr_private_segment_size 0
		.amdhsa_uses_dynamic_stack 0
		.amdhsa_enable_private_segment 0
		.amdhsa_system_sgpr_workgroup_id_x 1
		.amdhsa_system_sgpr_workgroup_id_y 1
		.amdhsa_system_sgpr_workgroup_id_z 1
		.amdhsa_system_sgpr_workgroup_info 0
		.amdhsa_system_vgpr_workitem_id 0
		.amdhsa_next_free_vgpr 111
		.amdhsa_next_free_sgpr 35
		.amdhsa_accum_offset 112
		.amdhsa_reserve_vcc 1
		.amdhsa_float_round_mode_32 0
		.amdhsa_float_round_mode_16_64 0
		.amdhsa_float_denorm_mode_32 3
		.amdhsa_float_denorm_mode_16_64 3
		.amdhsa_dx10_clamp 1
		.amdhsa_ieee_mode 1
		.amdhsa_fp16_overflow 0
		.amdhsa_tg_split 0
		.amdhsa_exception_fp_ieee_invalid_op 0
		.amdhsa_exception_fp_denorm_src 0
		.amdhsa_exception_fp_ieee_div_zero 0
		.amdhsa_exception_fp_ieee_overflow 0
		.amdhsa_exception_fp_ieee_underflow 0
		.amdhsa_exception_fp_ieee_inexact 0
		.amdhsa_exception_int_div_zero 0
	.end_amdhsa_kernel
	.section	.text._ZN4vllm25paged_attention_v1_kernelI14__hip_bfloat16S1_Li96ELi32ELi128ELNS_18Fp8KVCacheDataTypeE0ELb0EEEvPT_PKS3_PKT0_S9_ifPKiSB_iPKfiiiSD_SD_iiiii,"axG",@progbits,_ZN4vllm25paged_attention_v1_kernelI14__hip_bfloat16S1_Li96ELi32ELi128ELNS_18Fp8KVCacheDataTypeE0ELb0EEEvPT_PKS3_PKT0_S9_ifPKiSB_iPKfiiiSD_SD_iiiii,comdat
.Lfunc_end157:
	.size	_ZN4vllm25paged_attention_v1_kernelI14__hip_bfloat16S1_Li96ELi32ELi128ELNS_18Fp8KVCacheDataTypeE0ELb0EEEvPT_PKS3_PKT0_S9_ifPKiSB_iPKfiiiSD_SD_iiiii, .Lfunc_end157-_ZN4vllm25paged_attention_v1_kernelI14__hip_bfloat16S1_Li96ELi32ELi128ELNS_18Fp8KVCacheDataTypeE0ELb0EEEvPT_PKS3_PKT0_S9_ifPKiSB_iPKfiiiSD_SD_iiiii
                                        ; -- End function
	.section	.AMDGPU.csdata,"",@progbits
; Kernel info:
; codeLenInByte = 11288
; NumSgprs: 41
; NumVgprs: 111
; NumAgprs: 0
; TotalNumVgprs: 111
; ScratchSize: 0
; MemoryBound: 0
; FloatMode: 240
; IeeeMode: 1
; LDSByteSize: 208 bytes/workgroup (compile time only)
; SGPRBlocks: 5
; VGPRBlocks: 13
; NumSGPRsForWavesPerEU: 41
; NumVGPRsForWavesPerEU: 111
; AccumOffset: 112
; Occupancy: 4
; WaveLimiterHint : 1
; COMPUTE_PGM_RSRC2:SCRATCH_EN: 0
; COMPUTE_PGM_RSRC2:USER_SGPR: 2
; COMPUTE_PGM_RSRC2:TRAP_HANDLER: 0
; COMPUTE_PGM_RSRC2:TGID_X_EN: 1
; COMPUTE_PGM_RSRC2:TGID_Y_EN: 1
; COMPUTE_PGM_RSRC2:TGID_Z_EN: 1
; COMPUTE_PGM_RSRC2:TIDIG_COMP_CNT: 0
; COMPUTE_PGM_RSRC3_GFX90A:ACCUM_OFFSET: 27
; COMPUTE_PGM_RSRC3_GFX90A:TG_SPLIT: 0
	.section	.text._ZN4vllm25paged_attention_v1_kernelI14__hip_bfloat16S1_Li112ELi32ELi128ELNS_18Fp8KVCacheDataTypeE0ELb0EEEvPT_PKS3_PKT0_S9_ifPKiSB_iPKfiiiSD_SD_iiiii,"axG",@progbits,_ZN4vllm25paged_attention_v1_kernelI14__hip_bfloat16S1_Li112ELi32ELi128ELNS_18Fp8KVCacheDataTypeE0ELb0EEEvPT_PKS3_PKT0_S9_ifPKiSB_iPKfiiiSD_SD_iiiii,comdat
	.protected	_ZN4vllm25paged_attention_v1_kernelI14__hip_bfloat16S1_Li112ELi32ELi128ELNS_18Fp8KVCacheDataTypeE0ELb0EEEvPT_PKS3_PKT0_S9_ifPKiSB_iPKfiiiSD_SD_iiiii ; -- Begin function _ZN4vllm25paged_attention_v1_kernelI14__hip_bfloat16S1_Li112ELi32ELi128ELNS_18Fp8KVCacheDataTypeE0ELb0EEEvPT_PKS3_PKT0_S9_ifPKiSB_iPKfiiiSD_SD_iiiii
	.globl	_ZN4vllm25paged_attention_v1_kernelI14__hip_bfloat16S1_Li112ELi32ELi128ELNS_18Fp8KVCacheDataTypeE0ELb0EEEvPT_PKS3_PKT0_S9_ifPKiSB_iPKfiiiSD_SD_iiiii
	.p2align	8
	.type	_ZN4vllm25paged_attention_v1_kernelI14__hip_bfloat16S1_Li112ELi32ELi128ELNS_18Fp8KVCacheDataTypeE0ELb0EEEvPT_PKS3_PKT0_S9_ifPKiSB_iPKfiiiSD_SD_iiiii,@function
_ZN4vllm25paged_attention_v1_kernelI14__hip_bfloat16S1_Li112ELi32ELi128ELNS_18Fp8KVCacheDataTypeE0ELb0EEEvPT_PKS3_PKT0_S9_ifPKiSB_iPKfiiiSD_SD_iiiii: ; @_ZN4vllm25paged_attention_v1_kernelI14__hip_bfloat16S1_Li112ELi32ELi128ELNS_18Fp8KVCacheDataTypeE0ELb0EEEvPT_PKS3_PKT0_S9_ifPKiSB_iPKfiiiSD_SD_iiiii
; %bb.0:
	s_load_dword s5, s[0:1], 0x80
	s_load_dwordx2 s[6:7], s[0:1], 0x30
	s_load_dwordx2 s[8:9], s[0:1], 0x20
	s_mov_b32 s10, s3
	s_ashr_i32 s11, s3, 31
	s_lshl_b64 s[12:13], s[10:11], 2
	s_waitcnt lgkmcnt(0)
	s_add_u32 s6, s6, s12
	s_addc_u32 s7, s7, s13
	s_abs_i32 s3, s8
	v_cvt_f32_u32_e32 v1, s3
	s_sub_i32 s12, 0, s3
	s_abs_i32 s11, s5
	s_xor_b32 s8, s5, s8
	v_rcp_iflag_f32_e32 v1, v1
	s_ashr_i32 s8, s8, 31
	v_mul_f32_e32 v1, 0x4f7ffffe, v1
	v_cvt_u32_f32_e32 v1, v1
	s_nop 0
	v_readfirstlane_b32 s13, v1
	s_mul_i32 s12, s12, s13
	s_mul_hi_u32 s12, s13, s12
	s_add_i32 s13, s13, s12
	s_mul_hi_u32 s12, s11, s13
	s_mul_i32 s13, s12, s3
	s_sub_i32 s11, s11, s13
	s_add_i32 s13, s12, 1
	s_sub_i32 s14, s11, s3
	s_cmp_ge_u32 s11, s3
	s_cselect_b32 s12, s13, s12
	s_cselect_b32 s11, s14, s11
	s_add_i32 s13, s12, 1
	s_cmp_ge_u32 s11, s3
	s_cselect_b32 s3, s13, s12
	s_xor_b32 s3, s3, s8
	s_sub_i32 s14, s3, s8
	s_abs_i32 s11, s14
	v_cvt_f32_u32_e32 v1, s11
	s_load_dwordx2 s[12:13], s[0:1], 0x40
	s_sub_i32 s3, 0, s11
	s_abs_i32 s18, s2
	v_rcp_iflag_f32_e32 v1, v1
	s_mov_b32 s8, 0
	v_mul_f32_e32 v1, 0x4f7ffffe, v1
	v_cvt_u32_f32_e32 v1, v1
	s_nop 0
	v_readfirstlane_b32 s15, v1
	s_mul_i32 s3, s3, s15
	s_mul_hi_u32 s3, s15, s3
	s_add_i32 s15, s15, s3
	s_waitcnt lgkmcnt(0)
	s_cmp_eq_u64 s[12:13], 0
	s_mul_hi_u32 s19, s18, s15
	s_cbranch_scc1 .LBB158_2
; %bb.1:
	s_ashr_i32 s3, s2, 31
	s_lshl_b64 s[16:17], s[2:3], 2
	s_add_u32 s12, s12, s16
	s_addc_u32 s13, s13, s17
	s_load_dword s8, s[12:13], 0x0
.LBB158_2:
	s_load_dword s33, s[6:7], 0x0
	s_ashr_i32 s7, s14, 31
	s_load_dwordx4 s[12:15], s[0:1], 0x48
	s_ashr_i32 s6, s2, 31
	v_and_b32_e32 v2, 1, v0
	s_waitcnt lgkmcnt(0)
	s_movk_i32 s15, 0x70
	s_mul_i32 s16, s2, 0x70
	v_cmp_gt_u32_e32 vcc, 28, v0
	v_lshlrev_b32_e32 v24, 3, v0
	s_and_saveexec_b64 s[2:3], vcc
	s_cbranch_execz .LBB158_4
; %bb.3:
	s_load_dwordx2 s[20:21], s[0:1], 0x8
	s_mul_i32 s22, s10, s12
	s_ashr_i32 s23, s22, 31
	s_lshl_b64 s[22:23], s[22:23], 1
	v_lshlrev_b32_e32 v1, 2, v0
	s_waitcnt lgkmcnt(0)
	s_add_u32 s12, s20, s22
	s_addc_u32 s22, s21, s23
	s_ashr_i32 s17, s16, 31
	s_lshl_b64 s[20:21], s[16:17], 1
	s_add_u32 s20, s12, s20
	s_addc_u32 s21, s22, s21
	global_load_dwordx2 v[4:5], v24, s[20:21]
	v_and_b32_e32 v1, 0xff8, v1
	v_mad_u32_u24 v1, v2, s15, v1
	s_waitcnt vmcnt(0)
	ds_write_b64 v1, v[4:5]
.LBB158_4:
	s_or_b64 exec, exec, s[2:3]
	s_add_i32 s3, s33, 31
	s_ashr_i32 s12, s3, 31
	s_lshr_b32 s12, s12, 27
	s_add_i32 s3, s3, s12
	s_ashr_i32 s17, s3, 5
	s_xor_b32 s3, s6, s7
	s_mul_i32 s6, s19, s11
	s_sub_i32 s6, s18, s6
	s_add_i32 s7, s19, 1
	s_sub_i32 s12, s6, s11
	s_load_dwordx2 s[20:21], s[0:1], 0x28
	s_load_dword s2, s[0:1], 0x38
	s_cmp_ge_u32 s6, s11
	s_cselect_b32 s7, s7, s19
	s_cselect_b32 s6, s12, s6
	s_add_i32 s12, s7, 1
	s_cmp_ge_u32 s6, s11
	s_cselect_b32 s6, s12, s7
	v_lshrrev_b32_e32 v1, 6, v0
	s_xor_b32 s6, s6, s3
	s_waitcnt lgkmcnt(0)
	s_mul_i32 s22, s10, s2
	s_sub_i32 s12, s6, s3
	s_ashr_i32 s23, s22, 31
	v_cmp_gt_i32_e64 s[6:7], s17, v1
	v_cmp_le_i32_e32 vcc, s17, v1
	v_mbcnt_lo_u32_b32 v4, -1, 0
	s_barrier
	s_waitcnt lgkmcnt(0)
                                        ; implicit-def: $sgpr15
                                        ; implicit-def: $vgpr29
                                        ; implicit-def: $vgpr28
	s_and_saveexec_b64 s[2:3], vcc
	s_xor_b64 s[2:3], exec, s[2:3]
; %bb.5:
	v_mbcnt_hi_u32_b32 v29, -1, v4
	v_and_b32_e32 v2, 64, v29
	v_add_u32_e32 v28, 64, v2
	s_mov_b32 s15, 0xff7fffff
                                        ; implicit-def: $vgpr2
                                        ; implicit-def: $vgpr4
; %bb.6:
	s_or_saveexec_b64 s[26:27], s[2:3]
	s_load_dwordx2 s[18:19], s[0:1], 0x0
	s_load_dwordx2 s[24:25], s[0:1], 0x18
	s_load_dword s11, s[0:1], 0x88
	v_mov_b32_e32 v84, s15
	s_mul_i32 s14, s12, s14
	v_lshrrev_b32_e32 v25, 4, v0
	s_xor_b64 exec, exec, s[26:27]
	s_cbranch_execz .LBB158_12
; %bb.7:
	v_mul_u32_u24_e32 v3, 0x70, v2
	ds_read_b128 v[6:9], v3
	ds_read_b128 v[10:13], v3 offset:16
	ds_read_b128 v[14:17], v3 offset:32
	;; [unrolled: 1-line block ×3, first 2 shown]
	s_load_dwordx2 s[0:1], s[0:1], 0x10
	s_waitcnt lgkmcnt(0)
	v_lshlrev_b32_e32 v26, 16, v6
	v_and_b32_e32 v27, 0xffff0000, v6
	v_lshlrev_b32_e32 v30, 16, v7
	v_and_b32_e32 v31, 0xffff0000, v7
	;; [unrolled: 2-line block ×4, first 2 shown]
	ds_read_b128 v[6:9], v3 offset:64
	v_lshlrev_b32_e32 v36, 16, v10
	v_and_b32_e32 v37, 0xffff0000, v10
	v_lshlrev_b32_e32 v38, 16, v11
	v_and_b32_e32 v39, 0xffff0000, v11
	;; [unrolled: 2-line block ×4, first 2 shown]
	ds_read_b128 v[10:13], v3 offset:80
	s_waitcnt lgkmcnt(1)
	v_lshlrev_b32_e32 v60, 16, v6
	v_and_b32_e32 v61, 0xffff0000, v6
	v_lshlrev_b32_e32 v62, 16, v7
	v_and_b32_e32 v63, 0xffff0000, v7
	;; [unrolled: 2-line block ×4, first 2 shown]
	ds_read_b128 v[6:9], v3 offset:96
	s_ashr_i32 s15, s14, 31
	s_lshl_b64 s[2:3], s[14:15], 1
	v_mbcnt_hi_u32_b32 v29, -1, v4
	s_add_u32 s0, s0, s2
	v_bfe_u32 v5, v0, 1, 5
	v_and_b32_e32 v4, 64, v29
	s_waitcnt lgkmcnt(0)
	v_lshlrev_b32_e32 v76, 16, v6
	v_and_b32_e32 v77, 0xffff0000, v6
	v_lshlrev_b32_e32 v78, 16, v7
	v_and_b32_e32 v79, 0xffff0000, v7
	s_addc_u32 s1, s1, s3
	v_lshlrev_b32_e32 v6, 4, v5
	v_mov_b32_e32 v7, 0
	v_add_u32_e32 v28, 64, v4
	v_xor_b32_e32 v4, 1, v29
	v_cmp_eq_u32_e32 vcc, 0, v2
	v_lshl_add_u64 v[2:3], s[0:1], 0, v[6:7]
	v_cmp_lt_i32_e64 s[0:1], v4, v28
	s_sub_i32 s15, 1, s33
	v_and_b32_e32 v6, 8, v24
	v_cndmask_b32_e64 v4, v29, v4, s[0:1]
	s_lshl_b64 s[0:1], s[22:23], 2
	v_lshlrev_b32_e32 v85, 2, v4
	v_lshlrev_b32_e32 v4, 2, v5
	s_add_u32 s0, s20, s0
	v_lshl_add_u64 v[2:3], v[2:3], 0, v[6:7]
	v_lshl_or_b32 v4, v1, 7, v4
	v_and_b32_e32 v6, 60, v25
	s_addc_u32 s1, s21, s1
	v_lshlrev_b32_e32 v44, 16, v14
	v_and_b32_e32 v45, 0xffff0000, v14
	v_lshlrev_b32_e32 v46, 16, v15
	v_and_b32_e32 v47, 0xffff0000, v15
	;; [unrolled: 2-line block ×14, first 2 shown]
	s_mov_b32 s12, s13
	v_cmp_neq_f32_e64 s[2:3], s8, 0
	v_lshl_or_b32 v86, v1, 5, v5
	v_add_u32_e32 v87, 0xf0, v4
	v_lshl_add_u64 v[4:5], s[0:1], 0, v[6:7]
	s_mov_b64 s[28:29], 0
	s_movk_i32 s34, 0x1000
	v_mov_b32_e32 v84, 0xff7fffff
	v_mov_b32_e32 v88, v1
	s_branch .LBB158_9
.LBB158_8:                              ;   in Loop: Header=BB158_9 Depth=1
	s_or_b64 exec, exec, s[30:31]
	v_add_u32_e32 v88, 2, v88
	v_cmp_le_i32_e64 s[0:1], s17, v88
	v_add_u32_e32 v86, 64, v86
	v_add_u32_e32 v87, 0x100, v87
	s_or_b64 s[28:29], s[0:1], s[28:29]
	v_lshl_add_u64 v[4:5], v[4:5], 0, 8
	s_andn2_b64 exec, exec, s[28:29]
	s_cbranch_execz .LBB158_11
.LBB158_9:                              ; =>This Inner Loop Header: Depth=1
	global_load_dword v6, v[4:5], off
	s_waitcnt vmcnt(0) lgkmcnt(0)
	v_mad_i64_i32 v[6:7], s[0:1], v6, s12, 0
	v_lshl_add_u64 v[22:23], v[6:7], 1, v[2:3]
	global_load_dwordx2 v[12:13], v[22:23], off
	global_load_dwordx2 v[10:11], v[22:23], off offset:512
	global_load_dwordx2 v[8:9], v[22:23], off offset:1024
	;; [unrolled: 1-line block ×7, first 2 shown]
	v_add_co_u32_e64 v22, s[0:1], s34, v22
	s_waitcnt vmcnt(7)
	v_lshlrev_b32_e32 v89, 16, v12
	v_addc_co_u32_e64 v23, s[0:1], 0, v23, s[0:1]
	global_load_dwordx2 v[90:91], v[22:23], off
	global_load_dwordx2 v[92:93], v[22:23], off offset:512
	global_load_dwordx2 v[94:95], v[22:23], off offset:1024
	;; [unrolled: 1-line block ×4, first 2 shown]
	s_nop 0
	global_load_dwordx2 v[22:23], v[22:23], off offset:2560
	s_waitcnt vmcnt(12)
	v_lshlrev_b32_e32 v101, 16, v10
	v_and_b32_e32 v10, 0xffff0000, v10
	v_and_b32_e32 v12, 0xffff0000, v12
	v_lshlrev_b32_e32 v102, 16, v11
	v_mul_f32_e32 v101, v32, v101
	v_mul_f32_e32 v10, v33, v10
	v_lshlrev_b32_e32 v100, 16, v13
	v_and_b32_e32 v11, 0xffff0000, v11
	s_waitcnt vmcnt(11)
	v_lshlrev_b32_e32 v103, 16, v8
	v_and_b32_e32 v8, 0xffff0000, v8
	v_mul_f32_e32 v102, v34, v102
	v_fmac_f32_e32 v101, v26, v89
	v_fmac_f32_e32 v10, v27, v12
	v_and_b32_e32 v13, 0xffff0000, v13
	v_lshlrev_b32_e32 v104, 16, v9
	s_waitcnt vmcnt(10)
	v_lshlrev_b32_e32 v105, 16, v6
	v_and_b32_e32 v6, 0xffff0000, v6
	v_mul_f32_e32 v11, v35, v11
	v_fmac_f32_e32 v102, v30, v100
	v_fmac_f32_e32 v101, v36, v103
	v_fmac_f32_e32 v10, v37, v8
	v_and_b32_e32 v9, 0xffff0000, v9
	v_lshlrev_b32_e32 v106, 16, v7
	s_waitcnt vmcnt(9)
	v_lshlrev_b32_e32 v107, 16, v20
	v_and_b32_e32 v20, 0xffff0000, v20
	v_fmac_f32_e32 v11, v31, v13
	v_fmac_f32_e32 v102, v38, v104
	v_fmac_f32_e32 v101, v40, v105
	v_fmac_f32_e32 v10, v41, v6
	v_and_b32_e32 v7, 0xffff0000, v7
	v_lshlrev_b32_e32 v108, 16, v21
	s_waitcnt vmcnt(8)
	v_lshlrev_b32_e32 v109, 16, v18
	v_and_b32_e32 v18, 0xffff0000, v18
	v_fmac_f32_e32 v11, v39, v9
	;; [unrolled: 9-line block ×4, first 2 shown]
	v_fmac_f32_e32 v102, v50, v110
	v_fmac_f32_e32 v101, v52, v111
	;; [unrolled: 1-line block ×3, first 2 shown]
	v_and_b32_e32 v17, 0xffff0000, v17
	v_lshlrev_b32_e32 v114, 16, v15
	v_fmac_f32_e32 v11, v51, v19
	v_fmac_f32_e32 v102, v54, v112
	v_fmac_f32_e32 v101, v56, v113
	v_fmac_f32_e32 v10, v57, v14
	v_and_b32_e32 v15, 0xffff0000, v15
	v_fmac_f32_e32 v11, v55, v17
	v_fmac_f32_e32 v102, v58, v114
	;; [unrolled: 1-line block ×3, first 2 shown]
	s_waitcnt vmcnt(5)
	v_lshlrev_b32_e32 v115, 16, v90
	v_and_b32_e32 v90, 0xffff0000, v90
	v_lshlrev_b32_e32 v116, 16, v91
	s_waitcnt vmcnt(4)
	v_lshlrev_b32_e32 v117, 16, v92
	v_and_b32_e32 v92, 0xffff0000, v92
	v_fmac_f32_e32 v101, v60, v115
	v_fmac_f32_e32 v10, v61, v90
	v_and_b32_e32 v91, 0xffff0000, v91
	v_lshlrev_b32_e32 v118, 16, v93
	s_waitcnt vmcnt(3)
	v_lshlrev_b32_e32 v119, 16, v94
	v_and_b32_e32 v94, 0xffff0000, v94
	v_fmac_f32_e32 v102, v62, v116
	v_fmac_f32_e32 v101, v64, v117
	v_fmac_f32_e32 v10, v65, v92
	v_and_b32_e32 v93, 0xffff0000, v93
	v_lshlrev_b32_e32 v120, 16, v95
	s_waitcnt vmcnt(2)
	v_lshlrev_b32_e32 v121, 16, v96
	v_and_b32_e32 v96, 0xffff0000, v96
	v_fmac_f32_e32 v11, v63, v91
	v_fmac_f32_e32 v102, v66, v118
	v_fmac_f32_e32 v101, v68, v119
	v_fmac_f32_e32 v10, v69, v94
	v_and_b32_e32 v95, 0xffff0000, v95
	v_lshlrev_b32_e32 v122, 16, v97
	s_waitcnt vmcnt(1)
	v_lshlrev_b32_e32 v123, 16, v98
	v_and_b32_e32 v98, 0xffff0000, v98
	v_fmac_f32_e32 v11, v67, v93
	;; [unrolled: 9-line block ×3, first 2 shown]
	v_fmac_f32_e32 v102, v74, v122
	v_fmac_f32_e32 v101, v76, v123
	;; [unrolled: 1-line block ×3, first 2 shown]
	v_and_b32_e32 v99, 0xffff0000, v99
	v_lshlrev_b32_e32 v126, 16, v23
	v_fmac_f32_e32 v11, v75, v97
	v_fmac_f32_e32 v102, v78, v124
	;; [unrolled: 1-line block ×4, first 2 shown]
	v_and_b32_e32 v23, 0xffff0000, v23
	v_fmac_f32_e32 v11, v79, v99
	v_fmac_f32_e32 v102, v82, v126
	v_add_f32_e32 v6, v101, v10
	v_fmac_f32_e32 v11, v83, v23
	v_add_f32_e32 v6, v6, v102
	v_add_f32_e32 v6, v11, v6
	ds_bpermute_b32 v7, v85, v6
	s_and_saveexec_b64 s[30:31], vcc
	s_cbranch_execz .LBB158_8
; %bb.10:                               ;   in Loop: Header=BB158_9 Depth=1
	v_add_u32_e32 v8, s15, v86
	v_cvt_f32_i32_e32 v8, v8
	s_waitcnt lgkmcnt(0)
	v_add_f32_e32 v6, v6, v7
	v_cmp_gt_i32_e64 s[0:1], s33, v86
	v_max_f32_e32 v7, v84, v84
	v_mul_f32_e32 v8, s8, v8
	v_cndmask_b32_e64 v8, 0, v8, s[2:3]
	v_fmac_f32_e32 v8, s9, v6
	v_cndmask_b32_e64 v6, 0, v8, s[0:1]
	ds_write_b32 v87, v6
	v_max_f32_e32 v6, v7, v8
	v_cndmask_b32_e64 v84, v84, v6, s[0:1]
	s_branch .LBB158_8
.LBB158_11:
	s_or_b64 exec, exec, s[28:29]
.LBB158_12:
	s_or_b64 exec, exec, s[26:27]
	v_xor_b32_e32 v2, 32, v29
	v_cmp_lt_i32_e32 vcc, v2, v28
	v_xor_b32_e32 v5, 16, v29
	v_max_f32_e32 v4, v84, v84
	v_cndmask_b32_e32 v2, v29, v2, vcc
	v_lshlrev_b32_e32 v2, 2, v2
	ds_bpermute_b32 v3, v2, v84
	v_cmp_lt_i32_e32 vcc, v5, v28
	v_xor_b32_e32 v6, 8, v29
	s_waitcnt lgkmcnt(0)
	v_xor_b32_e32 v7, 4, v29
	v_xor_b32_e32 v8, 2, v29
	v_max_f32_e32 v3, v3, v3
	v_max_f32_e32 v4, v4, v3
	v_cndmask_b32_e32 v3, v29, v5, vcc
	v_lshlrev_b32_e32 v3, 2, v3
	ds_bpermute_b32 v5, v3, v4
	v_cmp_lt_i32_e32 vcc, v6, v28
	v_and_b32_e32 v26, 63, v0
	s_waitcnt lgkmcnt(0)
	v_max_f32_e32 v5, v5, v5
	v_max_f32_e32 v5, v4, v5
	v_cndmask_b32_e32 v4, v29, v6, vcc
	v_lshlrev_b32_e32 v4, 2, v4
	ds_bpermute_b32 v6, v4, v5
	v_cmp_lt_i32_e32 vcc, v7, v28
	s_waitcnt lgkmcnt(0)
	v_max_f32_e32 v6, v6, v6
	v_max_f32_e32 v6, v5, v6
	v_cndmask_b32_e32 v5, v29, v7, vcc
	v_lshlrev_b32_e32 v5, 2, v5
	ds_bpermute_b32 v7, v5, v6
	v_cmp_lt_i32_e32 vcc, v8, v28
	s_waitcnt lgkmcnt(0)
	v_max_f32_e32 v7, v7, v7
	v_max_f32_e32 v7, v6, v7
	v_cndmask_b32_e32 v6, v29, v8, vcc
	v_lshlrev_b32_e32 v27, 2, v6
	ds_bpermute_b32 v8, v27, v7
	v_cmp_eq_u32_e32 vcc, 0, v26
	v_lshlrev_b32_e32 v6, 2, v1
	s_and_saveexec_b64 s[0:1], vcc
	s_cbranch_execz .LBB158_14
; %bb.13:
	s_waitcnt lgkmcnt(0)
	v_max_f32_e32 v8, v8, v8
	v_max_f32_e32 v7, v7, v7
	;; [unrolled: 1-line block ×3, first 2 shown]
	ds_write_b32 v6, v7 offset:224
.LBB158_14:
	s_or_b64 exec, exec, s[0:1]
	v_cmp_gt_u32_e64 s[0:1], 2, v26
	s_waitcnt lgkmcnt(0)
	v_mov_b32_e32 v8, 0xff7fffff
	v_lshlrev_b32_e32 v7, 2, v26
	s_barrier
	s_and_saveexec_b64 s[2:3], s[0:1]
	s_cbranch_execz .LBB158_16
; %bb.15:
	ds_read_b32 v8, v7 offset:224
.LBB158_16:
	s_or_b64 exec, exec, s[2:3]
	v_xor_b32_e32 v9, 1, v29
	v_cmp_lt_i32_e64 s[2:3], v9, v28
	v_lshlrev_b32_e32 v10, 2, v29
	s_nop 0
	v_cndmask_b32_e64 v9, v29, v9, s[2:3]
	v_lshlrev_b32_e32 v28, 2, v9
	s_waitcnt lgkmcnt(0)
	ds_bpermute_b32 v9, v28, v8
	v_max_f32_e32 v8, v8, v8
	s_lshl_b32 s2, s17, 5
	s_min_i32 s12, s2, s33
	v_cmp_gt_i32_e64 s[2:3], s12, v0
	s_waitcnt lgkmcnt(0)
	v_max_f32_e32 v9, v9, v9
	v_max_f32_e32 v9, v8, v9
	v_and_b32_e32 v8, 0xffffff00, v10
	ds_bpermute_b32 v10, v8, v9
	v_mov_b32_e32 v9, 0
	s_and_saveexec_b64 s[26:27], s[2:3]
	s_cbranch_execz .LBB158_20
; %bb.17:
	v_mov_b32_e32 v9, 0xf0
	v_lshl_add_u32 v11, v0, 2, v9
	s_mov_b64 s[28:29], 0
	v_mov_b32_e32 v9, 0
	v_mov_b32_e32 v12, v0
.LBB158_18:                             ; =>This Inner Loop Header: Depth=1
	ds_read_b32 v13, v11
	v_add_u32_e32 v12, 0x80, v12
	v_cmp_le_i32_e64 s[8:9], s12, v12
	s_or_b64 s[28:29], s[8:9], s[28:29]
	s_waitcnt lgkmcnt(0)
	v_sub_f32_e32 v13, v13, v10
	v_mul_f32_e32 v13, 0x3fb8aa3b, v13
	v_exp_f32_e32 v13, v13
	ds_write_b32 v11, v13
	v_add_f32_e32 v9, v9, v13
	v_add_u32_e32 v11, 0x200, v11
	s_andn2_b64 exec, exec, s[28:29]
	s_cbranch_execnz .LBB158_18
; %bb.19:
	s_or_b64 exec, exec, s[28:29]
.LBB158_20:
	s_or_b64 exec, exec, s[26:27]
	ds_bpermute_b32 v2, v2, v9
	s_waitcnt lgkmcnt(0)
	v_add_f32_e32 v2, v9, v2
	ds_bpermute_b32 v3, v3, v2
	s_waitcnt lgkmcnt(0)
	v_add_f32_e32 v2, v2, v3
	;; [unrolled: 3-line block ×6, first 2 shown]
	s_and_saveexec_b64 s[8:9], vcc
	s_cbranch_execz .LBB158_22
; %bb.21:
	ds_write_b32 v6, v2 offset:232
.LBB158_22:
	s_or_b64 exec, exec, s[8:9]
	s_waitcnt lgkmcnt(0)
	s_barrier
	s_and_saveexec_b64 s[8:9], s[0:1]
	s_cbranch_execz .LBB158_24
; %bb.23:
	ds_read_b32 v2, v7 offset:232
.LBB158_24:
	s_or_b64 exec, exec, s[8:9]
	s_waitcnt lgkmcnt(0)
	ds_bpermute_b32 v3, v28, v2
	s_waitcnt lgkmcnt(0)
	v_add_f32_e32 v2, v2, v3
	ds_bpermute_b32 v2, v8, v2
	s_and_saveexec_b64 s[0:1], s[2:3]
	s_cbranch_execz .LBB158_37
; %bb.25:
	s_waitcnt lgkmcnt(0)
	v_add_f32_e32 v2, 0x358637bd, v2
	v_div_scale_f32 v3, s[2:3], v2, v2, 1.0
	v_rcp_f32_e32 v4, v3
	v_div_scale_f32 v5, vcc, 1.0, v2, 1.0
	s_movk_i32 s2, 0x7f
	v_fma_f32 v6, -v3, v4, 1.0
	v_fmac_f32_e32 v4, v6, v4
	v_mul_f32_e32 v6, v5, v4
	v_fma_f32 v7, -v3, v6, v5
	v_fmac_f32_e32 v6, v7, v4
	v_fma_f32 v3, -v3, v6, v5
	v_div_fmas_f32 v3, v3, v4, v6
	v_xad_u32 v4, v0, -1, s12
	v_div_fixup_f32 v2, v3, v2, 1.0
	v_cmp_lt_u32_e32 vcc, s2, v4
	s_mov_b64 s[8:9], -1
	v_mov_b32_e32 v3, v0
	s_and_saveexec_b64 s[2:3], vcc
	s_cbranch_execz .LBB158_34
; %bb.26:
	v_lshrrev_b32_e32 v4, 7, v4
	v_add_u32_e32 v6, -1, v4
	v_lshrrev_b32_e32 v5, 1, v6
	v_mov_b32_e32 v3, v2
	v_add_u32_e32 v5, 1, v5
	v_cmp_lt_u32_e32 vcc, 13, v6
	v_mov_b32_e32 v8, 0
	s_and_saveexec_b64 s[8:9], vcc
	s_cbranch_execz .LBB158_30
; %bb.27:
	v_mov_b32_e32 v7, 0xf0
	v_and_b32_e32 v6, -8, v5
	v_lshl_add_u32 v7, v0, 2, v7
	s_mov_b32 s15, 0
	s_mov_b64 s[26:27], 0
.LBB158_28:                             ; =>This Inner Loop Header: Depth=1
	ds_read2st64_b32 v[8:9], v7 offset1:2
	ds_read2st64_b32 v[10:11], v7 offset0:4 offset1:6
	ds_read2st64_b32 v[12:13], v7 offset0:8 offset1:10
	;; [unrolled: 1-line block ×3, first 2 shown]
	v_add_u32_e32 v6, -8, v6
	s_waitcnt lgkmcnt(3)
	v_pk_mul_f32 v[8:9], v[2:3], v[8:9]
	s_waitcnt lgkmcnt(2)
	v_pk_mul_f32 v[10:11], v[2:3], v[10:11]
	ds_write2st64_b32 v7, v8, v9 offset1:2
	ds_write2st64_b32 v7, v10, v11 offset0:4 offset1:6
	ds_read2st64_b32 v[10:11], v7 offset0:16 offset1:18
	s_waitcnt lgkmcnt(4)
	v_pk_mul_f32 v[8:9], v[2:3], v[12:13]
	ds_write2st64_b32 v7, v8, v9 offset0:8 offset1:10
	s_waitcnt lgkmcnt(4)
	v_pk_mul_f32 v[8:9], v[2:3], v[14:15]
	ds_write2st64_b32 v7, v8, v9 offset0:12 offset1:14
	ds_read2st64_b32 v[8:9], v7 offset0:20 offset1:22
	s_waitcnt lgkmcnt(3)
	v_pk_mul_f32 v[10:11], v[2:3], v[10:11]
	ds_read2st64_b32 v[12:13], v7 offset0:24 offset1:26
	ds_write2st64_b32 v7, v10, v11 offset0:16 offset1:18
	ds_read2st64_b32 v[10:11], v7 offset0:28 offset1:30
	s_waitcnt lgkmcnt(3)
	v_pk_mul_f32 v[8:9], v[2:3], v[8:9]
	ds_write2st64_b32 v7, v8, v9 offset0:20 offset1:22
	s_waitcnt lgkmcnt(3)
	v_pk_mul_f32 v[8:9], v[2:3], v[12:13]
	ds_write2st64_b32 v7, v8, v9 offset0:24 offset1:26
	s_waitcnt lgkmcnt(2)
	v_pk_mul_f32 v[8:9], v[2:3], v[10:11]
	s_add_i32 s15, s15, 16
	v_cmp_eq_u32_e32 vcc, 0, v6
	ds_write2st64_b32 v7, v8, v9 offset0:28 offset1:30
	v_add_u32_e32 v7, 0x2000, v7
	s_or_b64 s[26:27], vcc, s[26:27]
	v_mov_b32_e32 v8, s15
	s_andn2_b64 exec, exec, s[26:27]
	s_cbranch_execnz .LBB158_28
; %bb.29:
	s_or_b64 exec, exec, s[26:27]
.LBB158_30:
	s_or_b64 exec, exec, s[8:9]
	v_and_b32_e32 v5, 7, v5
	v_cmp_ne_u32_e32 vcc, 0, v5
	s_and_saveexec_b64 s[8:9], vcc
	s_cbranch_execz .LBB158_33
; %bb.31:
	v_lshlrev_b32_e32 v6, 9, v8
	v_lshlrev_b32_e32 v7, 2, v0
	s_movk_i32 s15, 0xf0
	v_add3_u32 v6, v6, v7, s15
	s_mov_b64 s[26:27], 0
.LBB158_32:                             ; =>This Inner Loop Header: Depth=1
	ds_read2st64_b32 v[8:9], v6 offset1:2
	v_add_u32_e32 v5, -1, v5
	v_cmp_eq_u32_e32 vcc, 0, v5
	s_or_b64 s[26:27], vcc, s[26:27]
	s_waitcnt lgkmcnt(0)
	v_pk_mul_f32 v[8:9], v[2:3], v[8:9]
	ds_write2st64_b32 v6, v8, v9 offset1:2
	v_add_u32_e32 v6, 0x400, v6
	s_andn2_b64 exec, exec, s[26:27]
	s_cbranch_execnz .LBB158_32
.LBB158_33:
	s_or_b64 exec, exec, s[8:9]
	v_add_u32_e32 v4, 1, v4
	v_and_b32_e32 v5, 0x3fffffe, v4
	v_cmp_ne_u32_e32 vcc, v4, v5
	v_lshl_add_u32 v3, v5, 7, v0
	s_orn2_b64 s[8:9], vcc, exec
.LBB158_34:
	s_or_b64 exec, exec, s[2:3]
	s_and_b64 exec, exec, s[8:9]
	s_cbranch_execz .LBB158_37
; %bb.35:
	v_mov_b32_e32 v4, 0xf0
	v_lshl_add_u32 v4, v3, 2, v4
	s_mov_b64 s[2:3], 0
.LBB158_36:                             ; =>This Inner Loop Header: Depth=1
	ds_read_b32 v5, v4
	v_add_u32_e32 v3, 0x80, v3
	v_cmp_le_i32_e32 vcc, s12, v3
	s_or_b64 s[2:3], vcc, s[2:3]
	s_waitcnt lgkmcnt(0)
	v_mul_f32_e32 v5, v2, v5
	ds_write_b32 v4, v5
	v_add_u32_e32 v4, 0x200, v4
	s_andn2_b64 exec, exec, s[2:3]
	s_cbranch_execnz .LBB158_36
.LBB158_37:
	s_or_b64 exec, exec, s[0:1]
	v_mov_b32_e32 v30, 0
	v_and_b32_e32 v29, 3, v0
	v_mov_b32_e32 v11, 0
	v_mov_b32_e32 v10, 0
	;; [unrolled: 1-line block ×6, first 2 shown]
	s_waitcnt lgkmcnt(0)
	s_barrier
	s_and_saveexec_b64 s[2:3], s[6:7]
	s_cbranch_execz .LBB158_311
; %bb.38:
	s_ashr_i32 s15, s14, 31
	s_lshl_b64 s[0:1], s[14:15], 1
	s_add_u32 s6, s24, s0
	v_and_b32_e32 v3, 24, v24
	s_addc_u32 s7, s25, s1
	s_add_i32 s14, s17, -1
	v_lshlrev_b32_e32 v5, 5, v1
	s_lshl_b64 s[0:1], s[22:23], 2
	v_and_b32_e32 v2, 0x1f8, v24
	v_or3_b32 v31, v5, v3, 7
	v_lshlrev_b32_e32 v3, 5, v29
	s_add_u32 s0, s20, s0
	v_mov_b32_e32 v17, 0
	v_or_b32_e32 v4, 0x800, v2
	v_or_b32_e32 v6, 0xa00, v2
	;; [unrolled: 1-line block ×3, first 2 shown]
	v_lshl_or_b32 v3, v1, 7, v3
	v_and_b32_e32 v16, 60, v25
	s_addc_u32 s1, s21, s1
	s_mov_b32 s26, s13
	v_add_u32_e32 v32, 0xf0, v3
	v_lshl_add_u64 v[18:19], s[0:1], 0, v[16:17]
	s_mov_b64 s[8:9], 0
	s_mov_b32 s15, 0x7f800000
	s_movk_i32 s20, 0x7fff
	v_lshlrev_b32_e32 v16, 1, v2
	v_lshlrev_b32_e32 v20, 1, v4
	;; [unrolled: 1-line block ×4, first 2 shown]
	v_mov_b32_e32 v14, v17
	v_mov_b32_e32 v15, v17
	;; [unrolled: 1-line block ×7, first 2 shown]
	s_branch .LBB158_40
.LBB158_39:                             ;   in Loop: Header=BB158_40 Depth=1
	s_or_b64 exec, exec, s[0:1]
	v_and_b32_e32 v42, 0xffff0000, v38
	v_and_b32_e32 v38, 0xffff0000, v37
	;; [unrolled: 1-line block ×8, first 2 shown]
	v_pk_add_f32 v[34:35], v[34:35], v[36:37]
	v_pk_add_f32 v[36:37], v[38:39], v[42:43]
	v_add_f32_e32 v33, v34, v35
	v_add_f32_e32 v33, v33, v36
	v_and_b32_e32 v39, 0xffff0000, v59
	v_and_b32_e32 v38, 0xffff0000, v57
	;; [unrolled: 1-line block ×4, first 2 shown]
	v_add_f32_e32 v33, v33, v37
	v_and_b32_e32 v35, 0xffff0000, v63
	v_and_b32_e32 v34, 0xffff0000, v61
	;; [unrolled: 1-line block ×4, first 2 shown]
	v_pk_add_f32 v[38:39], v[42:43], v[38:39]
	v_add_f32_e32 v14, v14, v33
	v_pk_add_f32 v[34:35], v[36:37], v[34:35]
	v_add_f32_e32 v33, v38, v39
	v_add_f32_e32 v33, v33, v34
	v_and_b32_e32 v39, 0xffff0000, v67
	v_and_b32_e32 v38, 0xffff0000, v65
	;; [unrolled: 1-line block ×4, first 2 shown]
	v_add_f32_e32 v33, v33, v35
	v_and_b32_e32 v35, 0xffff0000, v71
	v_and_b32_e32 v34, 0xffff0000, v69
	;; [unrolled: 1-line block ×4, first 2 shown]
	v_pk_add_f32 v[38:39], v[42:43], v[38:39]
	v_add_f32_e32 v15, v15, v33
	v_pk_add_f32 v[34:35], v[36:37], v[34:35]
	v_add_f32_e32 v33, v38, v39
	v_add_f32_e32 v33, v33, v34
	v_and_b32_e32 v39, 0xffff0000, v73
	v_and_b32_e32 v38, 0xffff0000, v9
	v_and_b32_e32 v9, 0xffff0000, v72
	v_and_b32_e32 v8, 0xffff0000, v8
	v_add_f32_e32 v33, v33, v35
	v_and_b32_e32 v35, 0xffff0000, v77
	v_and_b32_e32 v34, 0xffff0000, v75
	v_and_b32_e32 v37, 0xffff0000, v76
	v_and_b32_e32 v36, 0xffff0000, v74
	v_pk_add_f32 v[8:9], v[8:9], v[38:39]
	v_pk_add_f32 v[34:35], v[36:37], v[34:35]
	v_add_f32_e32 v8, v8, v9
	v_add_f32_e32 v8, v8, v34
	v_add_f32_e32 v8, v8, v35
	v_and_b32_e32 v37, 0xffff0000, v80
	v_and_b32_e32 v36, 0xffff0000, v78
	v_and_b32_e32 v39, 0xffff0000, v79
	v_and_b32_e32 v38, 0xffff0000, v21
	v_add_f32_e32 v13, v13, v8
	v_and_b32_e32 v9, 0xffff0000, v84
	v_and_b32_e32 v8, 0xffff0000, v82
	v_and_b32_e32 v35, 0xffff0000, v83
	v_and_b32_e32 v34, 0xffff0000, v81
	v_pk_add_f32 v[36:37], v[38:39], v[36:37]
	v_pk_add_f32 v[8:9], v[34:35], v[8:9]
	v_add_f32_e32 v21, v36, v37
	;; [unrolled: 14-line block ×4, first 2 shown]
	v_add_f32_e32 v2, v2, v4
	v_add_u32_e32 v1, 2, v1
	v_add_f32_e32 v2, v2, v5
	v_cmp_le_i32_e32 vcc, s17, v1
	v_add_f32_e32 v12, v12, v33
	v_add_f32_e32 v30, v30, v2
	v_add_u32_e32 v31, 64, v31
	v_add_u32_e32 v32, 0x100, v32
	s_or_b64 s[8:9], vcc, s[8:9]
	v_lshl_add_u64 v[18:19], v[18:19], 0, 8
	s_andn2_b64 exec, exec, s[8:9]
	s_cbranch_execz .LBB158_310
.LBB158_40:                             ; =>This Inner Loop Header: Depth=1
	global_load_dword v38, v[18:19], off
	ds_read2_b64 v[6:9], v32 offset1:1
	ds_read2_b64 v[2:5], v32 offset0:2 offset1:3
                                        ; implicit-def: $vgpr33
	s_waitcnt lgkmcnt(1)
	v_and_b32_e32 v21, 0x7f800000, v6
	v_cmp_ne_u32_e32 vcc, s15, v21
	s_and_saveexec_b64 s[0:1], vcc
	s_xor_b64 s[0:1], exec, s[0:1]
; %bb.41:                               ;   in Loop: Header=BB158_40 Depth=1
	v_bfe_u32 v21, v6, 16, 1
	v_add3_u32 v33, v6, v21, s20
; %bb.42:                               ;   in Loop: Header=BB158_40 Depth=1
	s_andn2_saveexec_b64 s[0:1], s[0:1]
; %bb.43:                               ;   in Loop: Header=BB158_40 Depth=1
	v_or_b32_e32 v21, 0x10000, v6
	v_cmp_eq_u32_sdwa vcc, v6, v17 src0_sel:WORD_0 src1_sel:DWORD
	s_nop 1
	v_cndmask_b32_e32 v33, v21, v6, vcc
; %bb.44:                               ;   in Loop: Header=BB158_40 Depth=1
	s_or_b64 exec, exec, s[0:1]
	v_and_b32_e32 v6, 0x7f800000, v7
	v_cmp_ne_u32_e32 vcc, s15, v6
                                        ; implicit-def: $vgpr34
	s_and_saveexec_b64 s[0:1], vcc
	s_xor_b64 s[0:1], exec, s[0:1]
; %bb.45:                               ;   in Loop: Header=BB158_40 Depth=1
	v_bfe_u32 v6, v7, 16, 1
	v_add3_u32 v34, v7, v6, s20
; %bb.46:                               ;   in Loop: Header=BB158_40 Depth=1
	s_andn2_saveexec_b64 s[0:1], s[0:1]
; %bb.47:                               ;   in Loop: Header=BB158_40 Depth=1
	v_or_b32_e32 v6, 0x10000, v7
	v_cmp_eq_u32_sdwa vcc, v7, v17 src0_sel:WORD_0 src1_sel:DWORD
	s_nop 1
	v_cndmask_b32_e32 v34, v6, v7, vcc
; %bb.48:                               ;   in Loop: Header=BB158_40 Depth=1
	s_or_b64 exec, exec, s[0:1]
	v_and_b32_e32 v6, 0x7f800000, v8
	v_cmp_ne_u32_e32 vcc, s15, v6
                                        ; implicit-def: $vgpr35
	s_and_saveexec_b64 s[0:1], vcc
	s_xor_b64 s[0:1], exec, s[0:1]
; %bb.49:                               ;   in Loop: Header=BB158_40 Depth=1
	v_bfe_u32 v6, v8, 16, 1
	v_add3_u32 v35, v8, v6, s20
; %bb.50:                               ;   in Loop: Header=BB158_40 Depth=1
	s_andn2_saveexec_b64 s[0:1], s[0:1]
; %bb.51:                               ;   in Loop: Header=BB158_40 Depth=1
	v_or_b32_e32 v6, 0x10000, v8
	v_cmp_eq_u32_sdwa vcc, v8, v17 src0_sel:WORD_0 src1_sel:DWORD
	s_nop 1
	v_cndmask_b32_e32 v35, v6, v8, vcc
; %bb.52:                               ;   in Loop: Header=BB158_40 Depth=1
	s_or_b64 exec, exec, s[0:1]
	v_and_b32_e32 v6, 0x7f800000, v9
	v_cmp_ne_u32_e32 vcc, s15, v6
                                        ; implicit-def: $vgpr36
	s_and_saveexec_b64 s[0:1], vcc
	s_xor_b64 s[0:1], exec, s[0:1]
; %bb.53:                               ;   in Loop: Header=BB158_40 Depth=1
	v_bfe_u32 v6, v9, 16, 1
	v_add3_u32 v36, v9, v6, s20
                                        ; implicit-def: $vgpr6_vgpr7_vgpr8_vgpr9
; %bb.54:                               ;   in Loop: Header=BB158_40 Depth=1
	s_andn2_saveexec_b64 s[0:1], s[0:1]
; %bb.55:                               ;   in Loop: Header=BB158_40 Depth=1
	v_or_b32_e32 v6, 0x10000, v9
	v_cmp_eq_u32_sdwa vcc, v9, v17 src0_sel:WORD_0 src1_sel:DWORD
	s_nop 1
	v_cndmask_b32_e32 v36, v6, v9, vcc
; %bb.56:                               ;   in Loop: Header=BB158_40 Depth=1
	s_or_b64 exec, exec, s[0:1]
	s_waitcnt lgkmcnt(0)
	v_and_b32_e32 v6, 0x7f800000, v2
	v_cmp_ne_u32_e32 vcc, s15, v6
                                        ; implicit-def: $vgpr37
	s_and_saveexec_b64 s[0:1], vcc
	s_xor_b64 s[0:1], exec, s[0:1]
; %bb.57:                               ;   in Loop: Header=BB158_40 Depth=1
	v_bfe_u32 v6, v2, 16, 1
	v_add3_u32 v37, v2, v6, s20
; %bb.58:                               ;   in Loop: Header=BB158_40 Depth=1
	s_andn2_saveexec_b64 s[0:1], s[0:1]
; %bb.59:                               ;   in Loop: Header=BB158_40 Depth=1
	v_or_b32_e32 v6, 0x10000, v2
	v_cmp_eq_u32_sdwa vcc, v2, v17 src0_sel:WORD_0 src1_sel:DWORD
	s_nop 1
	v_cndmask_b32_e32 v37, v6, v2, vcc
; %bb.60:                               ;   in Loop: Header=BB158_40 Depth=1
	s_or_b64 exec, exec, s[0:1]
	v_and_b32_e32 v2, 0x7f800000, v3
	v_cmp_ne_u32_e32 vcc, s15, v2
                                        ; implicit-def: $vgpr25
	s_and_saveexec_b64 s[0:1], vcc
	s_xor_b64 s[0:1], exec, s[0:1]
; %bb.61:                               ;   in Loop: Header=BB158_40 Depth=1
	v_bfe_u32 v2, v3, 16, 1
	v_add3_u32 v25, v3, v2, s20
; %bb.62:                               ;   in Loop: Header=BB158_40 Depth=1
	s_andn2_saveexec_b64 s[0:1], s[0:1]
; %bb.63:                               ;   in Loop: Header=BB158_40 Depth=1
	v_or_b32_e32 v2, 0x10000, v3
	v_cmp_eq_u32_sdwa vcc, v3, v17 src0_sel:WORD_0 src1_sel:DWORD
	s_nop 1
	v_cndmask_b32_e32 v25, v2, v3, vcc
; %bb.64:                               ;   in Loop: Header=BB158_40 Depth=1
	s_or_b64 exec, exec, s[0:1]
	v_and_b32_e32 v2, 0x7f800000, v4
	v_cmp_ne_u32_e32 vcc, s15, v2
                                        ; implicit-def: $vgpr23
	s_and_saveexec_b64 s[0:1], vcc
	s_xor_b64 s[0:1], exec, s[0:1]
; %bb.65:                               ;   in Loop: Header=BB158_40 Depth=1
	v_bfe_u32 v2, v4, 16, 1
	v_add3_u32 v23, v4, v2, s20
; %bb.66:                               ;   in Loop: Header=BB158_40 Depth=1
	s_andn2_saveexec_b64 s[0:1], s[0:1]
; %bb.67:                               ;   in Loop: Header=BB158_40 Depth=1
	v_or_b32_e32 v2, 0x10000, v4
	v_cmp_eq_u32_sdwa vcc, v4, v17 src0_sel:WORD_0 src1_sel:DWORD
	s_nop 1
	v_cndmask_b32_e32 v23, v2, v4, vcc
; %bb.68:                               ;   in Loop: Header=BB158_40 Depth=1
	s_or_b64 exec, exec, s[0:1]
	v_and_b32_e32 v2, 0x7f800000, v5
	v_cmp_ne_u32_e32 vcc, s15, v2
                                        ; implicit-def: $vgpr21
	s_and_saveexec_b64 s[0:1], vcc
	s_xor_b64 s[0:1], exec, s[0:1]
; %bb.69:                               ;   in Loop: Header=BB158_40 Depth=1
	v_bfe_u32 v2, v5, 16, 1
	v_add3_u32 v21, v5, v2, s20
                                        ; implicit-def: $vgpr2_vgpr3_vgpr4_vgpr5
; %bb.70:                               ;   in Loop: Header=BB158_40 Depth=1
	s_andn2_saveexec_b64 s[0:1], s[0:1]
; %bb.71:                               ;   in Loop: Header=BB158_40 Depth=1
	v_or_b32_e32 v2, 0x10000, v5
	v_cmp_eq_u32_sdwa vcc, v5, v17 src0_sel:WORD_0 src1_sel:DWORD
	s_nop 1
	v_cndmask_b32_e32 v21, v2, v5, vcc
; %bb.72:                               ;   in Loop: Header=BB158_40 Depth=1
	s_or_b64 exec, exec, s[0:1]
	s_waitcnt vmcnt(0)
	v_mad_i64_i32 v[2:3], s[0:1], v38, s26, 0
	v_lshl_add_u64 v[6:7], v[2:3], 1, s[6:7]
	v_lshl_add_u64 v[8:9], v[6:7], 0, v[16:17]
	global_load_dwordx4 v[2:5], v[8:9], off
	v_add_u32_e32 v40, -7, v31
	v_cmp_eq_u32_e32 vcc, s14, v1
	v_add_u32_e32 v46, -6, v31
	v_add_u32_e32 v44, -5, v31
	;; [unrolled: 1-line block ×6, first 2 shown]
	s_waitcnt vmcnt(0)
	v_lshrrev_b32_e32 v50, 16, v2
	v_lshrrev_b32_e32 v39, 16, v3
	;; [unrolled: 1-line block ×4, first 2 shown]
	s_and_saveexec_b64 s[12:13], vcc
	s_cbranch_execz .LBB158_74
; %bb.73:                               ;   in Loop: Header=BB158_40 Depth=1
	v_cmp_gt_i32_e64 s[0:1], s33, v40
	s_nop 1
	v_cndmask_b32_e64 v2, 0, v2, s[0:1]
	v_cmp_gt_i32_e64 s[0:1], s33, v46
	s_nop 1
	v_cndmask_b32_e64 v50, 0, v50, s[0:1]
	v_cmp_gt_i32_e64 s[0:1], s33, v44
	s_nop 1
	v_cndmask_b32_e64 v3, 0, v3, s[0:1]
	v_cmp_gt_i32_e64 s[0:1], s33, v43
	s_nop 1
	v_cndmask_b32_e64 v39, 0, v39, s[0:1]
	v_cmp_gt_i32_e64 s[0:1], s33, v42
	s_nop 1
	v_cndmask_b32_e64 v4, 0, v4, s[0:1]
	v_cmp_gt_i32_e64 s[0:1], s33, v41
	s_nop 1
	v_cndmask_b32_e64 v38, 0, v38, s[0:1]
	v_cmp_gt_i32_e64 s[0:1], s33, v45
	s_nop 1
	v_cndmask_b32_e64 v5, 0, v5, s[0:1]
	v_cmp_gt_i32_e64 s[0:1], s33, v31
	s_nop 1
	v_cndmask_b32_e64 v47, 0, v47, s[0:1]
.LBB158_74:                             ;   in Loop: Header=BB158_40 Depth=1
	s_or_b64 exec, exec, s[12:13]
	v_and_b32_e32 v48, 0xffff0000, v33
	v_lshlrev_b32_e32 v2, 16, v2
	v_mul_f32_e32 v2, v48, v2
	v_and_b32_e32 v33, 0x7f800000, v2
	v_cmp_ne_u32_e64 s[0:1], s15, v33
                                        ; implicit-def: $vgpr33
	s_and_saveexec_b64 s[12:13], s[0:1]
	s_xor_b64 s[0:1], exec, s[12:13]
; %bb.75:                               ;   in Loop: Header=BB158_40 Depth=1
	v_bfe_u32 v33, v2, 16, 1
	v_add3_u32 v33, v2, v33, s20
                                        ; implicit-def: $vgpr2
; %bb.76:                               ;   in Loop: Header=BB158_40 Depth=1
	s_andn2_saveexec_b64 s[12:13], s[0:1]
; %bb.77:                               ;   in Loop: Header=BB158_40 Depth=1
	v_or_b32_e32 v33, 0x10000, v2
	v_cmp_eq_u32_sdwa s[0:1], v2, v17 src0_sel:WORD_0 src1_sel:DWORD
	s_nop 1
	v_cndmask_b32_e64 v33, v33, v2, s[0:1]
; %bb.78:                               ;   in Loop: Header=BB158_40 Depth=1
	s_or_b64 exec, exec, s[12:13]
	v_and_b32_e32 v49, 0xffff0000, v34
	v_lshlrev_b32_e32 v2, 16, v50
	v_mul_f32_e32 v2, v49, v2
	v_and_b32_e32 v34, 0x7f800000, v2
	v_cmp_ne_u32_e64 s[0:1], s15, v34
                                        ; implicit-def: $vgpr34
	s_and_saveexec_b64 s[12:13], s[0:1]
	s_xor_b64 s[0:1], exec, s[12:13]
; %bb.79:                               ;   in Loop: Header=BB158_40 Depth=1
	v_bfe_u32 v34, v2, 16, 1
	v_add3_u32 v34, v2, v34, s20
                                        ; implicit-def: $vgpr2
; %bb.80:                               ;   in Loop: Header=BB158_40 Depth=1
	s_andn2_saveexec_b64 s[12:13], s[0:1]
; %bb.81:                               ;   in Loop: Header=BB158_40 Depth=1
	v_or_b32_e32 v34, 0x10000, v2
	v_cmp_eq_u32_sdwa s[0:1], v2, v17 src0_sel:WORD_0 src1_sel:DWORD
	s_nop 1
	v_cndmask_b32_e64 v34, v34, v2, s[0:1]
; %bb.82:                               ;   in Loop: Header=BB158_40 Depth=1
	s_or_b64 exec, exec, s[12:13]
	v_and_b32_e32 v50, 0xffff0000, v35
	v_lshlrev_b32_e32 v2, 16, v3
	v_mul_f32_e32 v2, v50, v2
	v_and_b32_e32 v3, 0x7f800000, v2
	v_cmp_ne_u32_e64 s[0:1], s15, v3
                                        ; implicit-def: $vgpr35
	s_and_saveexec_b64 s[12:13], s[0:1]
	s_xor_b64 s[0:1], exec, s[12:13]
; %bb.83:                               ;   in Loop: Header=BB158_40 Depth=1
	v_bfe_u32 v3, v2, 16, 1
	v_add3_u32 v35, v2, v3, s20
                                        ; implicit-def: $vgpr2
; %bb.84:                               ;   in Loop: Header=BB158_40 Depth=1
	s_andn2_saveexec_b64 s[12:13], s[0:1]
; %bb.85:                               ;   in Loop: Header=BB158_40 Depth=1
	v_or_b32_e32 v3, 0x10000, v2
	v_cmp_eq_u32_sdwa s[0:1], v2, v17 src0_sel:WORD_0 src1_sel:DWORD
	s_nop 1
	v_cndmask_b32_e64 v35, v3, v2, s[0:1]
; %bb.86:                               ;   in Loop: Header=BB158_40 Depth=1
	s_or_b64 exec, exec, s[12:13]
	v_and_b32_e32 v51, 0xffff0000, v36
	v_lshlrev_b32_e32 v2, 16, v39
	v_mul_f32_e32 v2, v51, v2
	v_and_b32_e32 v3, 0x7f800000, v2
	v_cmp_ne_u32_e64 s[0:1], s15, v3
                                        ; implicit-def: $vgpr36
	s_and_saveexec_b64 s[12:13], s[0:1]
	s_xor_b64 s[0:1], exec, s[12:13]
; %bb.87:                               ;   in Loop: Header=BB158_40 Depth=1
	v_bfe_u32 v3, v2, 16, 1
	v_add3_u32 v36, v2, v3, s20
                                        ; implicit-def: $vgpr2
; %bb.88:                               ;   in Loop: Header=BB158_40 Depth=1
	s_andn2_saveexec_b64 s[12:13], s[0:1]
; %bb.89:                               ;   in Loop: Header=BB158_40 Depth=1
	v_or_b32_e32 v3, 0x10000, v2
	v_cmp_eq_u32_sdwa s[0:1], v2, v17 src0_sel:WORD_0 src1_sel:DWORD
	s_nop 1
	v_cndmask_b32_e64 v36, v3, v2, s[0:1]
; %bb.90:                               ;   in Loop: Header=BB158_40 Depth=1
	s_or_b64 exec, exec, s[12:13]
	v_and_b32_e32 v52, 0xffff0000, v37
	v_lshlrev_b32_e32 v2, 16, v4
	v_mul_f32_e32 v2, v52, v2
	v_and_b32_e32 v3, 0x7f800000, v2
	v_cmp_ne_u32_e64 s[0:1], s15, v3
                                        ; implicit-def: $vgpr37
	s_and_saveexec_b64 s[12:13], s[0:1]
	s_xor_b64 s[0:1], exec, s[12:13]
; %bb.91:                               ;   in Loop: Header=BB158_40 Depth=1
	v_bfe_u32 v3, v2, 16, 1
	v_add3_u32 v37, v2, v3, s20
                                        ; implicit-def: $vgpr2
; %bb.92:                               ;   in Loop: Header=BB158_40 Depth=1
	s_andn2_saveexec_b64 s[12:13], s[0:1]
; %bb.93:                               ;   in Loop: Header=BB158_40 Depth=1
	v_or_b32_e32 v3, 0x10000, v2
	v_cmp_eq_u32_sdwa s[0:1], v2, v17 src0_sel:WORD_0 src1_sel:DWORD
	s_nop 1
	v_cndmask_b32_e64 v37, v3, v2, s[0:1]
; %bb.94:                               ;   in Loop: Header=BB158_40 Depth=1
	s_or_b64 exec, exec, s[12:13]
	v_and_b32_e32 v53, 0xffff0000, v25
	v_lshlrev_b32_e32 v2, 16, v38
	v_mul_f32_e32 v2, v53, v2
	v_and_b32_e32 v3, 0x7f800000, v2
	v_cmp_ne_u32_e64 s[0:1], s15, v3
                                        ; implicit-def: $vgpr38
	s_and_saveexec_b64 s[12:13], s[0:1]
	s_xor_b64 s[0:1], exec, s[12:13]
; %bb.95:                               ;   in Loop: Header=BB158_40 Depth=1
	v_bfe_u32 v3, v2, 16, 1
	v_add3_u32 v38, v2, v3, s20
                                        ; implicit-def: $vgpr2
; %bb.96:                               ;   in Loop: Header=BB158_40 Depth=1
	s_andn2_saveexec_b64 s[12:13], s[0:1]
; %bb.97:                               ;   in Loop: Header=BB158_40 Depth=1
	v_or_b32_e32 v3, 0x10000, v2
	v_cmp_eq_u32_sdwa s[0:1], v2, v17 src0_sel:WORD_0 src1_sel:DWORD
	s_nop 1
	v_cndmask_b32_e64 v38, v3, v2, s[0:1]
; %bb.98:                               ;   in Loop: Header=BB158_40 Depth=1
	s_or_b64 exec, exec, s[12:13]
	v_and_b32_e32 v54, 0xffff0000, v23
	v_lshlrev_b32_e32 v2, 16, v5
	v_mul_f32_e32 v2, v54, v2
	v_and_b32_e32 v3, 0x7f800000, v2
	v_cmp_ne_u32_e64 s[0:1], s15, v3
                                        ; implicit-def: $vgpr39
	s_and_saveexec_b64 s[12:13], s[0:1]
	s_xor_b64 s[0:1], exec, s[12:13]
; %bb.99:                               ;   in Loop: Header=BB158_40 Depth=1
	v_bfe_u32 v3, v2, 16, 1
	v_add3_u32 v39, v2, v3, s20
                                        ; implicit-def: $vgpr2
; %bb.100:                              ;   in Loop: Header=BB158_40 Depth=1
	s_andn2_saveexec_b64 s[12:13], s[0:1]
; %bb.101:                              ;   in Loop: Header=BB158_40 Depth=1
	v_or_b32_e32 v3, 0x10000, v2
	v_cmp_eq_u32_sdwa s[0:1], v2, v17 src0_sel:WORD_0 src1_sel:DWORD
	s_nop 1
	v_cndmask_b32_e64 v39, v3, v2, s[0:1]
; %bb.102:                              ;   in Loop: Header=BB158_40 Depth=1
	s_or_b64 exec, exec, s[12:13]
	v_and_b32_e32 v55, 0xffff0000, v21
	v_lshlrev_b32_e32 v2, 16, v47
	v_mul_f32_e32 v2, v55, v2
	v_and_b32_e32 v3, 0x7f800000, v2
	v_cmp_ne_u32_e64 s[0:1], s15, v3
                                        ; implicit-def: $vgpr47
	s_and_saveexec_b64 s[12:13], s[0:1]
	s_xor_b64 s[0:1], exec, s[12:13]
; %bb.103:                              ;   in Loop: Header=BB158_40 Depth=1
	v_bfe_u32 v3, v2, 16, 1
	v_add3_u32 v47, v2, v3, s20
                                        ; implicit-def: $vgpr2
; %bb.104:                              ;   in Loop: Header=BB158_40 Depth=1
	s_andn2_saveexec_b64 s[12:13], s[0:1]
; %bb.105:                              ;   in Loop: Header=BB158_40 Depth=1
	v_or_b32_e32 v3, 0x10000, v2
	v_cmp_eq_u32_sdwa s[0:1], v2, v17 src0_sel:WORD_0 src1_sel:DWORD
	s_nop 1
	v_cndmask_b32_e64 v47, v3, v2, s[0:1]
; %bb.106:                              ;   in Loop: Header=BB158_40 Depth=1
	s_or_b64 exec, exec, s[12:13]
	global_load_dwordx4 v[2:5], v[8:9], off offset:1024
	s_waitcnt vmcnt(0)
	v_lshrrev_b32_e32 v57, 16, v2
	v_lshrrev_b32_e32 v25, 16, v3
	;; [unrolled: 1-line block ×4, first 2 shown]
	s_and_saveexec_b64 s[12:13], vcc
	s_cbranch_execz .LBB158_108
; %bb.107:                              ;   in Loop: Header=BB158_40 Depth=1
	v_cmp_gt_i32_e64 s[0:1], s33, v40
	s_nop 1
	v_cndmask_b32_e64 v2, 0, v2, s[0:1]
	v_cmp_gt_i32_e64 s[0:1], s33, v46
	s_nop 1
	v_cndmask_b32_e64 v57, 0, v57, s[0:1]
	;; [unrolled: 3-line block ×8, first 2 shown]
.LBB158_108:                            ;   in Loop: Header=BB158_40 Depth=1
	s_or_b64 exec, exec, s[12:13]
	v_lshlrev_b32_e32 v2, 16, v2
	v_mul_f32_e32 v2, v48, v2
	v_and_b32_e32 v56, 0x7f800000, v2
	v_cmp_ne_u32_e64 s[0:1], s15, v56
                                        ; implicit-def: $vgpr56
	s_and_saveexec_b64 s[12:13], s[0:1]
	s_xor_b64 s[0:1], exec, s[12:13]
; %bb.109:                              ;   in Loop: Header=BB158_40 Depth=1
	v_bfe_u32 v56, v2, 16, 1
	v_add3_u32 v56, v2, v56, s20
                                        ; implicit-def: $vgpr2
; %bb.110:                              ;   in Loop: Header=BB158_40 Depth=1
	s_andn2_saveexec_b64 s[12:13], s[0:1]
; %bb.111:                              ;   in Loop: Header=BB158_40 Depth=1
	v_or_b32_e32 v56, 0x10000, v2
	v_cmp_eq_u32_sdwa s[0:1], v2, v17 src0_sel:WORD_0 src1_sel:DWORD
	s_nop 1
	v_cndmask_b32_e64 v56, v56, v2, s[0:1]
; %bb.112:                              ;   in Loop: Header=BB158_40 Depth=1
	s_or_b64 exec, exec, s[12:13]
	v_lshlrev_b32_e32 v2, 16, v57
	v_mul_f32_e32 v2, v49, v2
	v_and_b32_e32 v57, 0x7f800000, v2
	v_cmp_ne_u32_e64 s[0:1], s15, v57
                                        ; implicit-def: $vgpr57
	s_and_saveexec_b64 s[12:13], s[0:1]
	s_xor_b64 s[0:1], exec, s[12:13]
; %bb.113:                              ;   in Loop: Header=BB158_40 Depth=1
	v_bfe_u32 v57, v2, 16, 1
	v_add3_u32 v57, v2, v57, s20
                                        ; implicit-def: $vgpr2
; %bb.114:                              ;   in Loop: Header=BB158_40 Depth=1
	s_andn2_saveexec_b64 s[12:13], s[0:1]
; %bb.115:                              ;   in Loop: Header=BB158_40 Depth=1
	v_or_b32_e32 v57, 0x10000, v2
	v_cmp_eq_u32_sdwa s[0:1], v2, v17 src0_sel:WORD_0 src1_sel:DWORD
	s_nop 1
	v_cndmask_b32_e64 v57, v57, v2, s[0:1]
; %bb.116:                              ;   in Loop: Header=BB158_40 Depth=1
	s_or_b64 exec, exec, s[12:13]
	v_lshlrev_b32_e32 v2, 16, v3
	v_mul_f32_e32 v2, v50, v2
	v_and_b32_e32 v3, 0x7f800000, v2
	v_cmp_ne_u32_e64 s[0:1], s15, v3
                                        ; implicit-def: $vgpr58
	s_and_saveexec_b64 s[12:13], s[0:1]
	s_xor_b64 s[0:1], exec, s[12:13]
; %bb.117:                              ;   in Loop: Header=BB158_40 Depth=1
	v_bfe_u32 v3, v2, 16, 1
	v_add3_u32 v58, v2, v3, s20
                                        ; implicit-def: $vgpr2
; %bb.118:                              ;   in Loop: Header=BB158_40 Depth=1
	s_andn2_saveexec_b64 s[12:13], s[0:1]
; %bb.119:                              ;   in Loop: Header=BB158_40 Depth=1
	v_or_b32_e32 v3, 0x10000, v2
	v_cmp_eq_u32_sdwa s[0:1], v2, v17 src0_sel:WORD_0 src1_sel:DWORD
	s_nop 1
	v_cndmask_b32_e64 v58, v3, v2, s[0:1]
; %bb.120:                              ;   in Loop: Header=BB158_40 Depth=1
	s_or_b64 exec, exec, s[12:13]
	v_lshlrev_b32_e32 v2, 16, v25
	v_mul_f32_e32 v2, v51, v2
	v_and_b32_e32 v3, 0x7f800000, v2
	v_cmp_ne_u32_e64 s[0:1], s15, v3
                                        ; implicit-def: $vgpr59
	s_and_saveexec_b64 s[12:13], s[0:1]
	s_xor_b64 s[0:1], exec, s[12:13]
; %bb.121:                              ;   in Loop: Header=BB158_40 Depth=1
	v_bfe_u32 v3, v2, 16, 1
	v_add3_u32 v59, v2, v3, s20
                                        ; implicit-def: $vgpr2
; %bb.122:                              ;   in Loop: Header=BB158_40 Depth=1
	s_andn2_saveexec_b64 s[12:13], s[0:1]
; %bb.123:                              ;   in Loop: Header=BB158_40 Depth=1
	v_or_b32_e32 v3, 0x10000, v2
	v_cmp_eq_u32_sdwa s[0:1], v2, v17 src0_sel:WORD_0 src1_sel:DWORD
	s_nop 1
	v_cndmask_b32_e64 v59, v3, v2, s[0:1]
; %bb.124:                              ;   in Loop: Header=BB158_40 Depth=1
	s_or_b64 exec, exec, s[12:13]
	v_lshlrev_b32_e32 v2, 16, v4
	v_mul_f32_e32 v2, v52, v2
	v_and_b32_e32 v3, 0x7f800000, v2
	v_cmp_ne_u32_e64 s[0:1], s15, v3
                                        ; implicit-def: $vgpr60
	s_and_saveexec_b64 s[12:13], s[0:1]
	s_xor_b64 s[0:1], exec, s[12:13]
; %bb.125:                              ;   in Loop: Header=BB158_40 Depth=1
	v_bfe_u32 v3, v2, 16, 1
	v_add3_u32 v60, v2, v3, s20
                                        ; implicit-def: $vgpr2
; %bb.126:                              ;   in Loop: Header=BB158_40 Depth=1
	s_andn2_saveexec_b64 s[12:13], s[0:1]
; %bb.127:                              ;   in Loop: Header=BB158_40 Depth=1
	v_or_b32_e32 v3, 0x10000, v2
	v_cmp_eq_u32_sdwa s[0:1], v2, v17 src0_sel:WORD_0 src1_sel:DWORD
	s_nop 1
	v_cndmask_b32_e64 v60, v3, v2, s[0:1]
; %bb.128:                              ;   in Loop: Header=BB158_40 Depth=1
	s_or_b64 exec, exec, s[12:13]
	v_lshlrev_b32_e32 v2, 16, v23
	v_mul_f32_e32 v2, v53, v2
	v_and_b32_e32 v3, 0x7f800000, v2
	v_cmp_ne_u32_e64 s[0:1], s15, v3
                                        ; implicit-def: $vgpr61
	s_and_saveexec_b64 s[12:13], s[0:1]
	s_xor_b64 s[0:1], exec, s[12:13]
; %bb.129:                              ;   in Loop: Header=BB158_40 Depth=1
	v_bfe_u32 v3, v2, 16, 1
	v_add3_u32 v61, v2, v3, s20
                                        ; implicit-def: $vgpr2
; %bb.130:                              ;   in Loop: Header=BB158_40 Depth=1
	s_andn2_saveexec_b64 s[12:13], s[0:1]
; %bb.131:                              ;   in Loop: Header=BB158_40 Depth=1
	v_or_b32_e32 v3, 0x10000, v2
	v_cmp_eq_u32_sdwa s[0:1], v2, v17 src0_sel:WORD_0 src1_sel:DWORD
	s_nop 1
	v_cndmask_b32_e64 v61, v3, v2, s[0:1]
; %bb.132:                              ;   in Loop: Header=BB158_40 Depth=1
	s_or_b64 exec, exec, s[12:13]
	v_lshlrev_b32_e32 v2, 16, v5
	v_mul_f32_e32 v2, v54, v2
	v_and_b32_e32 v3, 0x7f800000, v2
	v_cmp_ne_u32_e64 s[0:1], s15, v3
                                        ; implicit-def: $vgpr62
	s_and_saveexec_b64 s[12:13], s[0:1]
	s_xor_b64 s[0:1], exec, s[12:13]
; %bb.133:                              ;   in Loop: Header=BB158_40 Depth=1
	v_bfe_u32 v3, v2, 16, 1
	v_add3_u32 v62, v2, v3, s20
                                        ; implicit-def: $vgpr2
; %bb.134:                              ;   in Loop: Header=BB158_40 Depth=1
	s_andn2_saveexec_b64 s[12:13], s[0:1]
; %bb.135:                              ;   in Loop: Header=BB158_40 Depth=1
	v_or_b32_e32 v3, 0x10000, v2
	v_cmp_eq_u32_sdwa s[0:1], v2, v17 src0_sel:WORD_0 src1_sel:DWORD
	s_nop 1
	v_cndmask_b32_e64 v62, v3, v2, s[0:1]
; %bb.136:                              ;   in Loop: Header=BB158_40 Depth=1
	s_or_b64 exec, exec, s[12:13]
	v_lshlrev_b32_e32 v2, 16, v21
	v_mul_f32_e32 v2, v55, v2
	v_and_b32_e32 v3, 0x7f800000, v2
	v_cmp_ne_u32_e64 s[0:1], s15, v3
                                        ; implicit-def: $vgpr63
	s_and_saveexec_b64 s[12:13], s[0:1]
	s_xor_b64 s[0:1], exec, s[12:13]
; %bb.137:                              ;   in Loop: Header=BB158_40 Depth=1
	v_bfe_u32 v3, v2, 16, 1
	v_add3_u32 v63, v2, v3, s20
                                        ; implicit-def: $vgpr2
; %bb.138:                              ;   in Loop: Header=BB158_40 Depth=1
	s_andn2_saveexec_b64 s[12:13], s[0:1]
; %bb.139:                              ;   in Loop: Header=BB158_40 Depth=1
	v_or_b32_e32 v3, 0x10000, v2
	v_cmp_eq_u32_sdwa s[0:1], v2, v17 src0_sel:WORD_0 src1_sel:DWORD
	s_nop 1
	v_cndmask_b32_e64 v63, v3, v2, s[0:1]
; %bb.140:                              ;   in Loop: Header=BB158_40 Depth=1
	s_or_b64 exec, exec, s[12:13]
	global_load_dwordx4 v[2:5], v[8:9], off offset:2048
	s_waitcnt vmcnt(0)
	v_lshrrev_b32_e32 v65, 16, v2
	v_lshrrev_b32_e32 v25, 16, v3
	;; [unrolled: 1-line block ×4, first 2 shown]
	s_and_saveexec_b64 s[12:13], vcc
	s_cbranch_execz .LBB158_142
; %bb.141:                              ;   in Loop: Header=BB158_40 Depth=1
	v_cmp_gt_i32_e64 s[0:1], s33, v40
	s_nop 1
	v_cndmask_b32_e64 v2, 0, v2, s[0:1]
	v_cmp_gt_i32_e64 s[0:1], s33, v46
	s_nop 1
	v_cndmask_b32_e64 v65, 0, v65, s[0:1]
	;; [unrolled: 3-line block ×8, first 2 shown]
.LBB158_142:                            ;   in Loop: Header=BB158_40 Depth=1
	s_or_b64 exec, exec, s[12:13]
	v_lshlrev_b32_e32 v2, 16, v2
	v_mul_f32_e32 v2, v48, v2
	v_and_b32_e32 v64, 0x7f800000, v2
	v_cmp_ne_u32_e64 s[0:1], s15, v64
                                        ; implicit-def: $vgpr64
	s_and_saveexec_b64 s[12:13], s[0:1]
	s_xor_b64 s[0:1], exec, s[12:13]
; %bb.143:                              ;   in Loop: Header=BB158_40 Depth=1
	v_bfe_u32 v64, v2, 16, 1
	v_add3_u32 v64, v2, v64, s20
                                        ; implicit-def: $vgpr2
; %bb.144:                              ;   in Loop: Header=BB158_40 Depth=1
	s_andn2_saveexec_b64 s[12:13], s[0:1]
; %bb.145:                              ;   in Loop: Header=BB158_40 Depth=1
	v_or_b32_e32 v64, 0x10000, v2
	v_cmp_eq_u32_sdwa s[0:1], v2, v17 src0_sel:WORD_0 src1_sel:DWORD
	s_nop 1
	v_cndmask_b32_e64 v64, v64, v2, s[0:1]
; %bb.146:                              ;   in Loop: Header=BB158_40 Depth=1
	s_or_b64 exec, exec, s[12:13]
	v_lshlrev_b32_e32 v2, 16, v65
	v_mul_f32_e32 v2, v49, v2
	v_and_b32_e32 v65, 0x7f800000, v2
	v_cmp_ne_u32_e64 s[0:1], s15, v65
                                        ; implicit-def: $vgpr65
	s_and_saveexec_b64 s[12:13], s[0:1]
	s_xor_b64 s[0:1], exec, s[12:13]
; %bb.147:                              ;   in Loop: Header=BB158_40 Depth=1
	v_bfe_u32 v65, v2, 16, 1
	v_add3_u32 v65, v2, v65, s20
                                        ; implicit-def: $vgpr2
; %bb.148:                              ;   in Loop: Header=BB158_40 Depth=1
	s_andn2_saveexec_b64 s[12:13], s[0:1]
; %bb.149:                              ;   in Loop: Header=BB158_40 Depth=1
	v_or_b32_e32 v65, 0x10000, v2
	v_cmp_eq_u32_sdwa s[0:1], v2, v17 src0_sel:WORD_0 src1_sel:DWORD
	s_nop 1
	v_cndmask_b32_e64 v65, v65, v2, s[0:1]
; %bb.150:                              ;   in Loop: Header=BB158_40 Depth=1
	s_or_b64 exec, exec, s[12:13]
	v_lshlrev_b32_e32 v2, 16, v3
	v_mul_f32_e32 v2, v50, v2
	v_and_b32_e32 v3, 0x7f800000, v2
	v_cmp_ne_u32_e64 s[0:1], s15, v3
                                        ; implicit-def: $vgpr66
	s_and_saveexec_b64 s[12:13], s[0:1]
	s_xor_b64 s[0:1], exec, s[12:13]
; %bb.151:                              ;   in Loop: Header=BB158_40 Depth=1
	v_bfe_u32 v3, v2, 16, 1
	v_add3_u32 v66, v2, v3, s20
                                        ; implicit-def: $vgpr2
; %bb.152:                              ;   in Loop: Header=BB158_40 Depth=1
	s_andn2_saveexec_b64 s[12:13], s[0:1]
; %bb.153:                              ;   in Loop: Header=BB158_40 Depth=1
	v_or_b32_e32 v3, 0x10000, v2
	v_cmp_eq_u32_sdwa s[0:1], v2, v17 src0_sel:WORD_0 src1_sel:DWORD
	s_nop 1
	v_cndmask_b32_e64 v66, v3, v2, s[0:1]
; %bb.154:                              ;   in Loop: Header=BB158_40 Depth=1
	s_or_b64 exec, exec, s[12:13]
	v_lshlrev_b32_e32 v2, 16, v25
	v_mul_f32_e32 v2, v51, v2
	v_and_b32_e32 v3, 0x7f800000, v2
	v_cmp_ne_u32_e64 s[0:1], s15, v3
                                        ; implicit-def: $vgpr67
	s_and_saveexec_b64 s[12:13], s[0:1]
	s_xor_b64 s[0:1], exec, s[12:13]
; %bb.155:                              ;   in Loop: Header=BB158_40 Depth=1
	v_bfe_u32 v3, v2, 16, 1
	v_add3_u32 v67, v2, v3, s20
                                        ; implicit-def: $vgpr2
; %bb.156:                              ;   in Loop: Header=BB158_40 Depth=1
	s_andn2_saveexec_b64 s[12:13], s[0:1]
; %bb.157:                              ;   in Loop: Header=BB158_40 Depth=1
	v_or_b32_e32 v3, 0x10000, v2
	v_cmp_eq_u32_sdwa s[0:1], v2, v17 src0_sel:WORD_0 src1_sel:DWORD
	s_nop 1
	v_cndmask_b32_e64 v67, v3, v2, s[0:1]
; %bb.158:                              ;   in Loop: Header=BB158_40 Depth=1
	s_or_b64 exec, exec, s[12:13]
	v_lshlrev_b32_e32 v2, 16, v4
	v_mul_f32_e32 v2, v52, v2
	v_and_b32_e32 v3, 0x7f800000, v2
	v_cmp_ne_u32_e64 s[0:1], s15, v3
                                        ; implicit-def: $vgpr68
	s_and_saveexec_b64 s[12:13], s[0:1]
	s_xor_b64 s[0:1], exec, s[12:13]
; %bb.159:                              ;   in Loop: Header=BB158_40 Depth=1
	v_bfe_u32 v3, v2, 16, 1
	v_add3_u32 v68, v2, v3, s20
                                        ; implicit-def: $vgpr2
; %bb.160:                              ;   in Loop: Header=BB158_40 Depth=1
	s_andn2_saveexec_b64 s[12:13], s[0:1]
; %bb.161:                              ;   in Loop: Header=BB158_40 Depth=1
	v_or_b32_e32 v3, 0x10000, v2
	v_cmp_eq_u32_sdwa s[0:1], v2, v17 src0_sel:WORD_0 src1_sel:DWORD
	s_nop 1
	v_cndmask_b32_e64 v68, v3, v2, s[0:1]
; %bb.162:                              ;   in Loop: Header=BB158_40 Depth=1
	s_or_b64 exec, exec, s[12:13]
	v_lshlrev_b32_e32 v2, 16, v23
	v_mul_f32_e32 v2, v53, v2
	v_and_b32_e32 v3, 0x7f800000, v2
	v_cmp_ne_u32_e64 s[0:1], s15, v3
                                        ; implicit-def: $vgpr69
	s_and_saveexec_b64 s[12:13], s[0:1]
	s_xor_b64 s[0:1], exec, s[12:13]
; %bb.163:                              ;   in Loop: Header=BB158_40 Depth=1
	v_bfe_u32 v3, v2, 16, 1
	v_add3_u32 v69, v2, v3, s20
                                        ; implicit-def: $vgpr2
; %bb.164:                              ;   in Loop: Header=BB158_40 Depth=1
	s_andn2_saveexec_b64 s[12:13], s[0:1]
; %bb.165:                              ;   in Loop: Header=BB158_40 Depth=1
	v_or_b32_e32 v3, 0x10000, v2
	v_cmp_eq_u32_sdwa s[0:1], v2, v17 src0_sel:WORD_0 src1_sel:DWORD
	s_nop 1
	v_cndmask_b32_e64 v69, v3, v2, s[0:1]
; %bb.166:                              ;   in Loop: Header=BB158_40 Depth=1
	s_or_b64 exec, exec, s[12:13]
	v_lshlrev_b32_e32 v2, 16, v5
	v_mul_f32_e32 v2, v54, v2
	v_and_b32_e32 v3, 0x7f800000, v2
	v_cmp_ne_u32_e64 s[0:1], s15, v3
                                        ; implicit-def: $vgpr70
	s_and_saveexec_b64 s[12:13], s[0:1]
	s_xor_b64 s[0:1], exec, s[12:13]
; %bb.167:                              ;   in Loop: Header=BB158_40 Depth=1
	v_bfe_u32 v3, v2, 16, 1
	v_add3_u32 v70, v2, v3, s20
                                        ; implicit-def: $vgpr2
; %bb.168:                              ;   in Loop: Header=BB158_40 Depth=1
	s_andn2_saveexec_b64 s[12:13], s[0:1]
; %bb.169:                              ;   in Loop: Header=BB158_40 Depth=1
	v_or_b32_e32 v3, 0x10000, v2
	v_cmp_eq_u32_sdwa s[0:1], v2, v17 src0_sel:WORD_0 src1_sel:DWORD
	s_nop 1
	v_cndmask_b32_e64 v70, v3, v2, s[0:1]
; %bb.170:                              ;   in Loop: Header=BB158_40 Depth=1
	s_or_b64 exec, exec, s[12:13]
	v_lshlrev_b32_e32 v2, 16, v21
	v_mul_f32_e32 v2, v55, v2
	v_and_b32_e32 v3, 0x7f800000, v2
	v_cmp_ne_u32_e64 s[0:1], s15, v3
                                        ; implicit-def: $vgpr71
	s_and_saveexec_b64 s[12:13], s[0:1]
	s_xor_b64 s[0:1], exec, s[12:13]
; %bb.171:                              ;   in Loop: Header=BB158_40 Depth=1
	v_bfe_u32 v3, v2, 16, 1
	v_add3_u32 v71, v2, v3, s20
                                        ; implicit-def: $vgpr2
; %bb.172:                              ;   in Loop: Header=BB158_40 Depth=1
	s_andn2_saveexec_b64 s[12:13], s[0:1]
; %bb.173:                              ;   in Loop: Header=BB158_40 Depth=1
	v_or_b32_e32 v3, 0x10000, v2
	v_cmp_eq_u32_sdwa s[0:1], v2, v17 src0_sel:WORD_0 src1_sel:DWORD
	s_nop 1
	v_cndmask_b32_e64 v71, v3, v2, s[0:1]
; %bb.174:                              ;   in Loop: Header=BB158_40 Depth=1
	s_or_b64 exec, exec, s[12:13]
	global_load_dwordx4 v[2:5], v[8:9], off offset:3072
	s_waitcnt vmcnt(0)
	v_lshrrev_b32_e32 v9, 16, v2
	v_lshrrev_b32_e32 v25, 16, v3
	;; [unrolled: 1-line block ×4, first 2 shown]
	s_and_saveexec_b64 s[12:13], vcc
	s_cbranch_execz .LBB158_176
; %bb.175:                              ;   in Loop: Header=BB158_40 Depth=1
	v_cmp_gt_i32_e64 s[0:1], s33, v40
	s_nop 1
	v_cndmask_b32_e64 v2, 0, v2, s[0:1]
	v_cmp_gt_i32_e64 s[0:1], s33, v46
	s_nop 1
	v_cndmask_b32_e64 v9, 0, v9, s[0:1]
	;; [unrolled: 3-line block ×8, first 2 shown]
.LBB158_176:                            ;   in Loop: Header=BB158_40 Depth=1
	s_or_b64 exec, exec, s[12:13]
	v_lshlrev_b32_e32 v2, 16, v2
	v_mul_f32_e32 v2, v48, v2
	v_and_b32_e32 v8, 0x7f800000, v2
	v_cmp_ne_u32_e64 s[0:1], s15, v8
                                        ; implicit-def: $vgpr8
	s_and_saveexec_b64 s[12:13], s[0:1]
	s_xor_b64 s[0:1], exec, s[12:13]
; %bb.177:                              ;   in Loop: Header=BB158_40 Depth=1
	v_bfe_u32 v8, v2, 16, 1
	v_add3_u32 v8, v2, v8, s20
                                        ; implicit-def: $vgpr2
; %bb.178:                              ;   in Loop: Header=BB158_40 Depth=1
	s_andn2_saveexec_b64 s[12:13], s[0:1]
; %bb.179:                              ;   in Loop: Header=BB158_40 Depth=1
	v_or_b32_e32 v8, 0x10000, v2
	v_cmp_eq_u32_sdwa s[0:1], v2, v17 src0_sel:WORD_0 src1_sel:DWORD
	s_nop 1
	v_cndmask_b32_e64 v8, v8, v2, s[0:1]
; %bb.180:                              ;   in Loop: Header=BB158_40 Depth=1
	s_or_b64 exec, exec, s[12:13]
	v_lshlrev_b32_e32 v2, 16, v9
	v_mul_f32_e32 v2, v49, v2
	v_and_b32_e32 v9, 0x7f800000, v2
	v_cmp_ne_u32_e64 s[0:1], s15, v9
                                        ; implicit-def: $vgpr9
	s_and_saveexec_b64 s[12:13], s[0:1]
	s_xor_b64 s[0:1], exec, s[12:13]
; %bb.181:                              ;   in Loop: Header=BB158_40 Depth=1
	v_bfe_u32 v9, v2, 16, 1
	v_add3_u32 v9, v2, v9, s20
                                        ; implicit-def: $vgpr2
; %bb.182:                              ;   in Loop: Header=BB158_40 Depth=1
	s_andn2_saveexec_b64 s[12:13], s[0:1]
; %bb.183:                              ;   in Loop: Header=BB158_40 Depth=1
	v_or_b32_e32 v9, 0x10000, v2
	v_cmp_eq_u32_sdwa s[0:1], v2, v17 src0_sel:WORD_0 src1_sel:DWORD
	s_nop 1
	v_cndmask_b32_e64 v9, v9, v2, s[0:1]
; %bb.184:                              ;   in Loop: Header=BB158_40 Depth=1
	s_or_b64 exec, exec, s[12:13]
	v_lshlrev_b32_e32 v2, 16, v3
	v_mul_f32_e32 v2, v50, v2
	v_and_b32_e32 v3, 0x7f800000, v2
	v_cmp_ne_u32_e64 s[0:1], s15, v3
                                        ; implicit-def: $vgpr72
	s_and_saveexec_b64 s[12:13], s[0:1]
	s_xor_b64 s[0:1], exec, s[12:13]
; %bb.185:                              ;   in Loop: Header=BB158_40 Depth=1
	v_bfe_u32 v3, v2, 16, 1
	v_add3_u32 v72, v2, v3, s20
                                        ; implicit-def: $vgpr2
; %bb.186:                              ;   in Loop: Header=BB158_40 Depth=1
	s_andn2_saveexec_b64 s[12:13], s[0:1]
; %bb.187:                              ;   in Loop: Header=BB158_40 Depth=1
	v_or_b32_e32 v3, 0x10000, v2
	v_cmp_eq_u32_sdwa s[0:1], v2, v17 src0_sel:WORD_0 src1_sel:DWORD
	s_nop 1
	v_cndmask_b32_e64 v72, v3, v2, s[0:1]
; %bb.188:                              ;   in Loop: Header=BB158_40 Depth=1
	s_or_b64 exec, exec, s[12:13]
	v_lshlrev_b32_e32 v2, 16, v25
	v_mul_f32_e32 v2, v51, v2
	v_and_b32_e32 v3, 0x7f800000, v2
	v_cmp_ne_u32_e64 s[0:1], s15, v3
                                        ; implicit-def: $vgpr73
	s_and_saveexec_b64 s[12:13], s[0:1]
	s_xor_b64 s[0:1], exec, s[12:13]
; %bb.189:                              ;   in Loop: Header=BB158_40 Depth=1
	v_bfe_u32 v3, v2, 16, 1
	v_add3_u32 v73, v2, v3, s20
                                        ; implicit-def: $vgpr2
; %bb.190:                              ;   in Loop: Header=BB158_40 Depth=1
	s_andn2_saveexec_b64 s[12:13], s[0:1]
; %bb.191:                              ;   in Loop: Header=BB158_40 Depth=1
	v_or_b32_e32 v3, 0x10000, v2
	v_cmp_eq_u32_sdwa s[0:1], v2, v17 src0_sel:WORD_0 src1_sel:DWORD
	s_nop 1
	v_cndmask_b32_e64 v73, v3, v2, s[0:1]
; %bb.192:                              ;   in Loop: Header=BB158_40 Depth=1
	s_or_b64 exec, exec, s[12:13]
	v_lshlrev_b32_e32 v2, 16, v4
	v_mul_f32_e32 v2, v52, v2
	v_and_b32_e32 v3, 0x7f800000, v2
	v_cmp_ne_u32_e64 s[0:1], s15, v3
                                        ; implicit-def: $vgpr74
	s_and_saveexec_b64 s[12:13], s[0:1]
	s_xor_b64 s[0:1], exec, s[12:13]
; %bb.193:                              ;   in Loop: Header=BB158_40 Depth=1
	v_bfe_u32 v3, v2, 16, 1
	v_add3_u32 v74, v2, v3, s20
                                        ; implicit-def: $vgpr2
; %bb.194:                              ;   in Loop: Header=BB158_40 Depth=1
	s_andn2_saveexec_b64 s[12:13], s[0:1]
; %bb.195:                              ;   in Loop: Header=BB158_40 Depth=1
	v_or_b32_e32 v3, 0x10000, v2
	v_cmp_eq_u32_sdwa s[0:1], v2, v17 src0_sel:WORD_0 src1_sel:DWORD
	s_nop 1
	v_cndmask_b32_e64 v74, v3, v2, s[0:1]
; %bb.196:                              ;   in Loop: Header=BB158_40 Depth=1
	s_or_b64 exec, exec, s[12:13]
	v_lshlrev_b32_e32 v2, 16, v23
	v_mul_f32_e32 v2, v53, v2
	v_and_b32_e32 v3, 0x7f800000, v2
	v_cmp_ne_u32_e64 s[0:1], s15, v3
                                        ; implicit-def: $vgpr75
	s_and_saveexec_b64 s[12:13], s[0:1]
	s_xor_b64 s[0:1], exec, s[12:13]
; %bb.197:                              ;   in Loop: Header=BB158_40 Depth=1
	v_bfe_u32 v3, v2, 16, 1
	v_add3_u32 v75, v2, v3, s20
                                        ; implicit-def: $vgpr2
; %bb.198:                              ;   in Loop: Header=BB158_40 Depth=1
	s_andn2_saveexec_b64 s[12:13], s[0:1]
; %bb.199:                              ;   in Loop: Header=BB158_40 Depth=1
	v_or_b32_e32 v3, 0x10000, v2
	v_cmp_eq_u32_sdwa s[0:1], v2, v17 src0_sel:WORD_0 src1_sel:DWORD
	s_nop 1
	v_cndmask_b32_e64 v75, v3, v2, s[0:1]
; %bb.200:                              ;   in Loop: Header=BB158_40 Depth=1
	s_or_b64 exec, exec, s[12:13]
	v_lshlrev_b32_e32 v2, 16, v5
	v_mul_f32_e32 v2, v54, v2
	v_and_b32_e32 v3, 0x7f800000, v2
	v_cmp_ne_u32_e64 s[0:1], s15, v3
                                        ; implicit-def: $vgpr76
	s_and_saveexec_b64 s[12:13], s[0:1]
	s_xor_b64 s[0:1], exec, s[12:13]
; %bb.201:                              ;   in Loop: Header=BB158_40 Depth=1
	v_bfe_u32 v3, v2, 16, 1
	v_add3_u32 v76, v2, v3, s20
                                        ; implicit-def: $vgpr2
; %bb.202:                              ;   in Loop: Header=BB158_40 Depth=1
	s_andn2_saveexec_b64 s[12:13], s[0:1]
; %bb.203:                              ;   in Loop: Header=BB158_40 Depth=1
	v_or_b32_e32 v3, 0x10000, v2
	v_cmp_eq_u32_sdwa s[0:1], v2, v17 src0_sel:WORD_0 src1_sel:DWORD
	s_nop 1
	v_cndmask_b32_e64 v76, v3, v2, s[0:1]
; %bb.204:                              ;   in Loop: Header=BB158_40 Depth=1
	s_or_b64 exec, exec, s[12:13]
	v_lshlrev_b32_e32 v2, 16, v21
	v_mul_f32_e32 v2, v55, v2
	v_and_b32_e32 v3, 0x7f800000, v2
	v_cmp_ne_u32_e64 s[0:1], s15, v3
                                        ; implicit-def: $vgpr77
	s_and_saveexec_b64 s[12:13], s[0:1]
	s_xor_b64 s[0:1], exec, s[12:13]
; %bb.205:                              ;   in Loop: Header=BB158_40 Depth=1
	v_bfe_u32 v3, v2, 16, 1
	v_add3_u32 v77, v2, v3, s20
                                        ; implicit-def: $vgpr2
; %bb.206:                              ;   in Loop: Header=BB158_40 Depth=1
	s_andn2_saveexec_b64 s[12:13], s[0:1]
; %bb.207:                              ;   in Loop: Header=BB158_40 Depth=1
	v_or_b32_e32 v3, 0x10000, v2
	v_cmp_eq_u32_sdwa s[0:1], v2, v17 src0_sel:WORD_0 src1_sel:DWORD
	s_nop 1
	v_cndmask_b32_e64 v77, v3, v2, s[0:1]
; %bb.208:                              ;   in Loop: Header=BB158_40 Depth=1
	s_or_b64 exec, exec, s[12:13]
	v_mov_b32_e32 v21, v17
	v_lshl_add_u64 v[2:3], v[6:7], 0, v[20:21]
	global_load_dwordx4 v[2:5], v[2:3], off
	s_waitcnt vmcnt(0)
	v_lshrrev_b32_e32 v78, 16, v2
	v_lshrrev_b32_e32 v80, 16, v3
	;; [unrolled: 1-line block ×4, first 2 shown]
	s_and_saveexec_b64 s[12:13], vcc
	s_cbranch_execz .LBB158_210
; %bb.209:                              ;   in Loop: Header=BB158_40 Depth=1
	v_cmp_gt_i32_e64 s[0:1], s33, v40
	s_nop 1
	v_cndmask_b32_e64 v2, 0, v2, s[0:1]
	v_cmp_gt_i32_e64 s[0:1], s33, v46
	s_nop 1
	v_cndmask_b32_e64 v78, 0, v78, s[0:1]
	;; [unrolled: 3-line block ×8, first 2 shown]
.LBB158_210:                            ;   in Loop: Header=BB158_40 Depth=1
	s_or_b64 exec, exec, s[12:13]
	v_lshlrev_b32_e32 v2, 16, v2
	v_mul_f32_e32 v2, v48, v2
	v_and_b32_e32 v21, 0x7f800000, v2
	v_cmp_ne_u32_e64 s[0:1], s15, v21
                                        ; implicit-def: $vgpr21
	s_and_saveexec_b64 s[12:13], s[0:1]
	s_xor_b64 s[0:1], exec, s[12:13]
; %bb.211:                              ;   in Loop: Header=BB158_40 Depth=1
	v_bfe_u32 v21, v2, 16, 1
	v_add3_u32 v21, v2, v21, s20
                                        ; implicit-def: $vgpr2
; %bb.212:                              ;   in Loop: Header=BB158_40 Depth=1
	s_andn2_saveexec_b64 s[12:13], s[0:1]
; %bb.213:                              ;   in Loop: Header=BB158_40 Depth=1
	v_or_b32_e32 v21, 0x10000, v2
	v_cmp_eq_u32_sdwa s[0:1], v2, v17 src0_sel:WORD_0 src1_sel:DWORD
	s_nop 1
	v_cndmask_b32_e64 v21, v21, v2, s[0:1]
; %bb.214:                              ;   in Loop: Header=BB158_40 Depth=1
	s_or_b64 exec, exec, s[12:13]
	v_lshlrev_b32_e32 v2, 16, v78
	v_mul_f32_e32 v2, v49, v2
	v_and_b32_e32 v78, 0x7f800000, v2
	v_cmp_ne_u32_e64 s[0:1], s15, v78
                                        ; implicit-def: $vgpr78
	s_and_saveexec_b64 s[12:13], s[0:1]
	s_xor_b64 s[0:1], exec, s[12:13]
; %bb.215:                              ;   in Loop: Header=BB158_40 Depth=1
	v_bfe_u32 v78, v2, 16, 1
	v_add3_u32 v78, v2, v78, s20
                                        ; implicit-def: $vgpr2
; %bb.216:                              ;   in Loop: Header=BB158_40 Depth=1
	s_andn2_saveexec_b64 s[12:13], s[0:1]
; %bb.217:                              ;   in Loop: Header=BB158_40 Depth=1
	v_or_b32_e32 v78, 0x10000, v2
	v_cmp_eq_u32_sdwa s[0:1], v2, v17 src0_sel:WORD_0 src1_sel:DWORD
	s_nop 1
	v_cndmask_b32_e64 v78, v78, v2, s[0:1]
; %bb.218:                              ;   in Loop: Header=BB158_40 Depth=1
	s_or_b64 exec, exec, s[12:13]
	v_lshlrev_b32_e32 v2, 16, v3
	v_mul_f32_e32 v2, v50, v2
	v_and_b32_e32 v3, 0x7f800000, v2
	v_cmp_ne_u32_e64 s[0:1], s15, v3
                                        ; implicit-def: $vgpr79
	s_and_saveexec_b64 s[12:13], s[0:1]
	s_xor_b64 s[0:1], exec, s[12:13]
; %bb.219:                              ;   in Loop: Header=BB158_40 Depth=1
	v_bfe_u32 v3, v2, 16, 1
	v_add3_u32 v79, v2, v3, s20
                                        ; implicit-def: $vgpr2
; %bb.220:                              ;   in Loop: Header=BB158_40 Depth=1
	s_andn2_saveexec_b64 s[12:13], s[0:1]
; %bb.221:                              ;   in Loop: Header=BB158_40 Depth=1
	v_or_b32_e32 v3, 0x10000, v2
	v_cmp_eq_u32_sdwa s[0:1], v2, v17 src0_sel:WORD_0 src1_sel:DWORD
	s_nop 1
	v_cndmask_b32_e64 v79, v3, v2, s[0:1]
; %bb.222:                              ;   in Loop: Header=BB158_40 Depth=1
	s_or_b64 exec, exec, s[12:13]
	v_lshlrev_b32_e32 v2, 16, v80
	v_mul_f32_e32 v2, v51, v2
	v_and_b32_e32 v3, 0x7f800000, v2
	v_cmp_ne_u32_e64 s[0:1], s15, v3
                                        ; implicit-def: $vgpr80
	s_and_saveexec_b64 s[12:13], s[0:1]
	s_xor_b64 s[0:1], exec, s[12:13]
; %bb.223:                              ;   in Loop: Header=BB158_40 Depth=1
	v_bfe_u32 v3, v2, 16, 1
	v_add3_u32 v80, v2, v3, s20
                                        ; implicit-def: $vgpr2
; %bb.224:                              ;   in Loop: Header=BB158_40 Depth=1
	s_andn2_saveexec_b64 s[12:13], s[0:1]
; %bb.225:                              ;   in Loop: Header=BB158_40 Depth=1
	v_or_b32_e32 v3, 0x10000, v2
	v_cmp_eq_u32_sdwa s[0:1], v2, v17 src0_sel:WORD_0 src1_sel:DWORD
	s_nop 1
	v_cndmask_b32_e64 v80, v3, v2, s[0:1]
; %bb.226:                              ;   in Loop: Header=BB158_40 Depth=1
	s_or_b64 exec, exec, s[12:13]
	v_lshlrev_b32_e32 v2, 16, v4
	v_mul_f32_e32 v2, v52, v2
	v_and_b32_e32 v3, 0x7f800000, v2
	v_cmp_ne_u32_e64 s[0:1], s15, v3
                                        ; implicit-def: $vgpr81
	s_and_saveexec_b64 s[12:13], s[0:1]
	s_xor_b64 s[0:1], exec, s[12:13]
; %bb.227:                              ;   in Loop: Header=BB158_40 Depth=1
	v_bfe_u32 v3, v2, 16, 1
	v_add3_u32 v81, v2, v3, s20
                                        ; implicit-def: $vgpr2
; %bb.228:                              ;   in Loop: Header=BB158_40 Depth=1
	s_andn2_saveexec_b64 s[12:13], s[0:1]
; %bb.229:                              ;   in Loop: Header=BB158_40 Depth=1
	v_or_b32_e32 v3, 0x10000, v2
	v_cmp_eq_u32_sdwa s[0:1], v2, v17 src0_sel:WORD_0 src1_sel:DWORD
	s_nop 1
	v_cndmask_b32_e64 v81, v3, v2, s[0:1]
; %bb.230:                              ;   in Loop: Header=BB158_40 Depth=1
	s_or_b64 exec, exec, s[12:13]
	v_lshlrev_b32_e32 v2, 16, v25
	v_mul_f32_e32 v2, v53, v2
	v_and_b32_e32 v3, 0x7f800000, v2
	v_cmp_ne_u32_e64 s[0:1], s15, v3
                                        ; implicit-def: $vgpr82
	s_and_saveexec_b64 s[12:13], s[0:1]
	s_xor_b64 s[0:1], exec, s[12:13]
; %bb.231:                              ;   in Loop: Header=BB158_40 Depth=1
	v_bfe_u32 v3, v2, 16, 1
	v_add3_u32 v82, v2, v3, s20
                                        ; implicit-def: $vgpr2
; %bb.232:                              ;   in Loop: Header=BB158_40 Depth=1
	s_andn2_saveexec_b64 s[12:13], s[0:1]
; %bb.233:                              ;   in Loop: Header=BB158_40 Depth=1
	v_or_b32_e32 v3, 0x10000, v2
	v_cmp_eq_u32_sdwa s[0:1], v2, v17 src0_sel:WORD_0 src1_sel:DWORD
	s_nop 1
	v_cndmask_b32_e64 v82, v3, v2, s[0:1]
; %bb.234:                              ;   in Loop: Header=BB158_40 Depth=1
	s_or_b64 exec, exec, s[12:13]
	v_lshlrev_b32_e32 v2, 16, v5
	v_mul_f32_e32 v2, v54, v2
	v_and_b32_e32 v3, 0x7f800000, v2
	v_cmp_ne_u32_e64 s[0:1], s15, v3
                                        ; implicit-def: $vgpr83
	s_and_saveexec_b64 s[12:13], s[0:1]
	s_xor_b64 s[0:1], exec, s[12:13]
; %bb.235:                              ;   in Loop: Header=BB158_40 Depth=1
	v_bfe_u32 v3, v2, 16, 1
	v_add3_u32 v83, v2, v3, s20
                                        ; implicit-def: $vgpr2
; %bb.236:                              ;   in Loop: Header=BB158_40 Depth=1
	s_andn2_saveexec_b64 s[12:13], s[0:1]
; %bb.237:                              ;   in Loop: Header=BB158_40 Depth=1
	v_or_b32_e32 v3, 0x10000, v2
	v_cmp_eq_u32_sdwa s[0:1], v2, v17 src0_sel:WORD_0 src1_sel:DWORD
	s_nop 1
	v_cndmask_b32_e64 v83, v3, v2, s[0:1]
; %bb.238:                              ;   in Loop: Header=BB158_40 Depth=1
	s_or_b64 exec, exec, s[12:13]
	v_lshlrev_b32_e32 v2, 16, v23
	v_mul_f32_e32 v2, v55, v2
	v_and_b32_e32 v3, 0x7f800000, v2
	v_cmp_ne_u32_e64 s[0:1], s15, v3
                                        ; implicit-def: $vgpr84
	s_and_saveexec_b64 s[12:13], s[0:1]
	s_xor_b64 s[0:1], exec, s[12:13]
; %bb.239:                              ;   in Loop: Header=BB158_40 Depth=1
	v_bfe_u32 v3, v2, 16, 1
	v_add3_u32 v84, v2, v3, s20
                                        ; implicit-def: $vgpr2
; %bb.240:                              ;   in Loop: Header=BB158_40 Depth=1
	s_andn2_saveexec_b64 s[12:13], s[0:1]
; %bb.241:                              ;   in Loop: Header=BB158_40 Depth=1
	v_or_b32_e32 v3, 0x10000, v2
	v_cmp_eq_u32_sdwa s[0:1], v2, v17 src0_sel:WORD_0 src1_sel:DWORD
	s_nop 1
	v_cndmask_b32_e64 v84, v3, v2, s[0:1]
; %bb.242:                              ;   in Loop: Header=BB158_40 Depth=1
	s_or_b64 exec, exec, s[12:13]
	v_mov_b32_e32 v23, v17
	v_lshl_add_u64 v[2:3], v[6:7], 0, v[22:23]
	global_load_dwordx4 v[2:5], v[2:3], off
	s_waitcnt vmcnt(0)
	v_lshrrev_b32_e32 v85, 16, v2
	v_lshrrev_b32_e32 v87, 16, v3
	;; [unrolled: 1-line block ×4, first 2 shown]
	s_and_saveexec_b64 s[12:13], vcc
	s_cbranch_execz .LBB158_244
; %bb.243:                              ;   in Loop: Header=BB158_40 Depth=1
	v_cmp_gt_i32_e64 s[0:1], s33, v40
	s_nop 1
	v_cndmask_b32_e64 v2, 0, v2, s[0:1]
	v_cmp_gt_i32_e64 s[0:1], s33, v46
	s_nop 1
	v_cndmask_b32_e64 v85, 0, v85, s[0:1]
	;; [unrolled: 3-line block ×8, first 2 shown]
.LBB158_244:                            ;   in Loop: Header=BB158_40 Depth=1
	s_or_b64 exec, exec, s[12:13]
	v_lshlrev_b32_e32 v2, 16, v2
	v_mul_f32_e32 v2, v48, v2
	v_and_b32_e32 v23, 0x7f800000, v2
	v_cmp_ne_u32_e64 s[0:1], s15, v23
                                        ; implicit-def: $vgpr23
	s_and_saveexec_b64 s[12:13], s[0:1]
	s_xor_b64 s[0:1], exec, s[12:13]
; %bb.245:                              ;   in Loop: Header=BB158_40 Depth=1
	v_bfe_u32 v23, v2, 16, 1
	v_add3_u32 v23, v2, v23, s20
                                        ; implicit-def: $vgpr2
; %bb.246:                              ;   in Loop: Header=BB158_40 Depth=1
	s_andn2_saveexec_b64 s[12:13], s[0:1]
; %bb.247:                              ;   in Loop: Header=BB158_40 Depth=1
	v_or_b32_e32 v23, 0x10000, v2
	v_cmp_eq_u32_sdwa s[0:1], v2, v17 src0_sel:WORD_0 src1_sel:DWORD
	s_nop 1
	v_cndmask_b32_e64 v23, v23, v2, s[0:1]
; %bb.248:                              ;   in Loop: Header=BB158_40 Depth=1
	s_or_b64 exec, exec, s[12:13]
	v_lshlrev_b32_e32 v2, 16, v85
	v_mul_f32_e32 v2, v49, v2
	v_and_b32_e32 v85, 0x7f800000, v2
	v_cmp_ne_u32_e64 s[0:1], s15, v85
                                        ; implicit-def: $vgpr85
	s_and_saveexec_b64 s[12:13], s[0:1]
	s_xor_b64 s[0:1], exec, s[12:13]
; %bb.249:                              ;   in Loop: Header=BB158_40 Depth=1
	v_bfe_u32 v85, v2, 16, 1
	v_add3_u32 v85, v2, v85, s20
                                        ; implicit-def: $vgpr2
; %bb.250:                              ;   in Loop: Header=BB158_40 Depth=1
	s_andn2_saveexec_b64 s[12:13], s[0:1]
; %bb.251:                              ;   in Loop: Header=BB158_40 Depth=1
	v_or_b32_e32 v85, 0x10000, v2
	v_cmp_eq_u32_sdwa s[0:1], v2, v17 src0_sel:WORD_0 src1_sel:DWORD
	s_nop 1
	v_cndmask_b32_e64 v85, v85, v2, s[0:1]
; %bb.252:                              ;   in Loop: Header=BB158_40 Depth=1
	s_or_b64 exec, exec, s[12:13]
	v_lshlrev_b32_e32 v2, 16, v3
	v_mul_f32_e32 v2, v50, v2
	v_and_b32_e32 v3, 0x7f800000, v2
	v_cmp_ne_u32_e64 s[0:1], s15, v3
                                        ; implicit-def: $vgpr86
	s_and_saveexec_b64 s[12:13], s[0:1]
	s_xor_b64 s[0:1], exec, s[12:13]
; %bb.253:                              ;   in Loop: Header=BB158_40 Depth=1
	v_bfe_u32 v3, v2, 16, 1
	v_add3_u32 v86, v2, v3, s20
                                        ; implicit-def: $vgpr2
; %bb.254:                              ;   in Loop: Header=BB158_40 Depth=1
	s_andn2_saveexec_b64 s[12:13], s[0:1]
; %bb.255:                              ;   in Loop: Header=BB158_40 Depth=1
	v_or_b32_e32 v3, 0x10000, v2
	v_cmp_eq_u32_sdwa s[0:1], v2, v17 src0_sel:WORD_0 src1_sel:DWORD
	s_nop 1
	v_cndmask_b32_e64 v86, v3, v2, s[0:1]
; %bb.256:                              ;   in Loop: Header=BB158_40 Depth=1
	s_or_b64 exec, exec, s[12:13]
	v_lshlrev_b32_e32 v2, 16, v87
	v_mul_f32_e32 v2, v51, v2
	v_and_b32_e32 v3, 0x7f800000, v2
	v_cmp_ne_u32_e64 s[0:1], s15, v3
                                        ; implicit-def: $vgpr87
	s_and_saveexec_b64 s[12:13], s[0:1]
	s_xor_b64 s[0:1], exec, s[12:13]
; %bb.257:                              ;   in Loop: Header=BB158_40 Depth=1
	v_bfe_u32 v3, v2, 16, 1
	v_add3_u32 v87, v2, v3, s20
                                        ; implicit-def: $vgpr2
; %bb.258:                              ;   in Loop: Header=BB158_40 Depth=1
	s_andn2_saveexec_b64 s[12:13], s[0:1]
; %bb.259:                              ;   in Loop: Header=BB158_40 Depth=1
	v_or_b32_e32 v3, 0x10000, v2
	v_cmp_eq_u32_sdwa s[0:1], v2, v17 src0_sel:WORD_0 src1_sel:DWORD
	s_nop 1
	v_cndmask_b32_e64 v87, v3, v2, s[0:1]
; %bb.260:                              ;   in Loop: Header=BB158_40 Depth=1
	s_or_b64 exec, exec, s[12:13]
	v_lshlrev_b32_e32 v2, 16, v4
	v_mul_f32_e32 v2, v52, v2
	v_and_b32_e32 v3, 0x7f800000, v2
	v_cmp_ne_u32_e64 s[0:1], s15, v3
                                        ; implicit-def: $vgpr88
	s_and_saveexec_b64 s[12:13], s[0:1]
	s_xor_b64 s[0:1], exec, s[12:13]
; %bb.261:                              ;   in Loop: Header=BB158_40 Depth=1
	v_bfe_u32 v3, v2, 16, 1
	v_add3_u32 v88, v2, v3, s20
                                        ; implicit-def: $vgpr2
; %bb.262:                              ;   in Loop: Header=BB158_40 Depth=1
	s_andn2_saveexec_b64 s[12:13], s[0:1]
; %bb.263:                              ;   in Loop: Header=BB158_40 Depth=1
	v_or_b32_e32 v3, 0x10000, v2
	v_cmp_eq_u32_sdwa s[0:1], v2, v17 src0_sel:WORD_0 src1_sel:DWORD
	s_nop 1
	v_cndmask_b32_e64 v88, v3, v2, s[0:1]
; %bb.264:                              ;   in Loop: Header=BB158_40 Depth=1
	s_or_b64 exec, exec, s[12:13]
	v_lshlrev_b32_e32 v2, 16, v89
	v_mul_f32_e32 v2, v53, v2
	v_and_b32_e32 v3, 0x7f800000, v2
	v_cmp_ne_u32_e64 s[0:1], s15, v3
                                        ; implicit-def: $vgpr89
	s_and_saveexec_b64 s[12:13], s[0:1]
	s_xor_b64 s[0:1], exec, s[12:13]
; %bb.265:                              ;   in Loop: Header=BB158_40 Depth=1
	v_bfe_u32 v3, v2, 16, 1
	v_add3_u32 v89, v2, v3, s20
                                        ; implicit-def: $vgpr2
; %bb.266:                              ;   in Loop: Header=BB158_40 Depth=1
	s_andn2_saveexec_b64 s[12:13], s[0:1]
; %bb.267:                              ;   in Loop: Header=BB158_40 Depth=1
	v_or_b32_e32 v3, 0x10000, v2
	v_cmp_eq_u32_sdwa s[0:1], v2, v17 src0_sel:WORD_0 src1_sel:DWORD
	s_nop 1
	v_cndmask_b32_e64 v89, v3, v2, s[0:1]
; %bb.268:                              ;   in Loop: Header=BB158_40 Depth=1
	s_or_b64 exec, exec, s[12:13]
	v_lshlrev_b32_e32 v2, 16, v5
	v_mul_f32_e32 v2, v54, v2
	v_and_b32_e32 v3, 0x7f800000, v2
	v_cmp_ne_u32_e64 s[0:1], s15, v3
                                        ; implicit-def: $vgpr90
	s_and_saveexec_b64 s[12:13], s[0:1]
	s_xor_b64 s[0:1], exec, s[12:13]
; %bb.269:                              ;   in Loop: Header=BB158_40 Depth=1
	v_bfe_u32 v3, v2, 16, 1
	v_add3_u32 v90, v2, v3, s20
                                        ; implicit-def: $vgpr2
; %bb.270:                              ;   in Loop: Header=BB158_40 Depth=1
	s_andn2_saveexec_b64 s[12:13], s[0:1]
; %bb.271:                              ;   in Loop: Header=BB158_40 Depth=1
	v_or_b32_e32 v3, 0x10000, v2
	v_cmp_eq_u32_sdwa s[0:1], v2, v17 src0_sel:WORD_0 src1_sel:DWORD
	s_nop 1
	v_cndmask_b32_e64 v90, v3, v2, s[0:1]
; %bb.272:                              ;   in Loop: Header=BB158_40 Depth=1
	s_or_b64 exec, exec, s[12:13]
	v_lshlrev_b32_e32 v2, 16, v25
	v_mul_f32_e32 v2, v55, v2
	v_and_b32_e32 v3, 0x7f800000, v2
	v_cmp_ne_u32_e64 s[0:1], s15, v3
                                        ; implicit-def: $vgpr91
	s_and_saveexec_b64 s[12:13], s[0:1]
	s_xor_b64 s[0:1], exec, s[12:13]
; %bb.273:                              ;   in Loop: Header=BB158_40 Depth=1
	v_bfe_u32 v3, v2, 16, 1
	v_add3_u32 v91, v2, v3, s20
                                        ; implicit-def: $vgpr2
; %bb.274:                              ;   in Loop: Header=BB158_40 Depth=1
	s_andn2_saveexec_b64 s[12:13], s[0:1]
; %bb.275:                              ;   in Loop: Header=BB158_40 Depth=1
	v_or_b32_e32 v3, 0x10000, v2
	v_cmp_eq_u32_sdwa s[0:1], v2, v17 src0_sel:WORD_0 src1_sel:DWORD
	s_nop 1
	v_cndmask_b32_e64 v91, v3, v2, s[0:1]
; %bb.276:                              ;   in Loop: Header=BB158_40 Depth=1
	s_or_b64 exec, exec, s[12:13]
	v_mov_b32_e32 v25, v17
	v_lshl_add_u64 v[2:3], v[6:7], 0, v[24:25]
	global_load_dwordx4 v[2:5], v[2:3], off
	s_waitcnt vmcnt(0)
	v_lshrrev_b32_e32 v6, 16, v2
	v_lshrrev_b32_e32 v7, 16, v3
	;; [unrolled: 1-line block ×4, first 2 shown]
	s_and_saveexec_b64 s[0:1], vcc
	s_cbranch_execz .LBB158_278
; %bb.277:                              ;   in Loop: Header=BB158_40 Depth=1
	v_cmp_gt_i32_e32 vcc, s33, v40
	s_nop 1
	v_cndmask_b32_e32 v2, 0, v2, vcc
	v_cmp_gt_i32_e32 vcc, s33, v46
	s_nop 1
	v_cndmask_b32_e32 v6, 0, v6, vcc
	;; [unrolled: 3-line block ×8, first 2 shown]
.LBB158_278:                            ;   in Loop: Header=BB158_40 Depth=1
	s_or_b64 exec, exec, s[0:1]
	v_lshlrev_b32_e32 v2, 16, v2
	v_mul_f32_e32 v40, v48, v2
	v_and_b32_e32 v2, 0x7f800000, v40
	v_cmp_ne_u32_e32 vcc, s15, v2
                                        ; implicit-def: $vgpr2
	s_and_saveexec_b64 s[0:1], vcc
	s_xor_b64 s[0:1], exec, s[0:1]
; %bb.279:                              ;   in Loop: Header=BB158_40 Depth=1
	v_bfe_u32 v2, v40, 16, 1
	v_add3_u32 v2, v40, v2, s20
                                        ; implicit-def: $vgpr40
; %bb.280:                              ;   in Loop: Header=BB158_40 Depth=1
	s_andn2_saveexec_b64 s[0:1], s[0:1]
; %bb.281:                              ;   in Loop: Header=BB158_40 Depth=1
	v_or_b32_e32 v2, 0x10000, v40
	v_cmp_eq_u32_sdwa vcc, v40, v17 src0_sel:WORD_0 src1_sel:DWORD
	s_nop 1
	v_cndmask_b32_e32 v2, v2, v40, vcc
; %bb.282:                              ;   in Loop: Header=BB158_40 Depth=1
	s_or_b64 exec, exec, s[0:1]
	v_lshlrev_b32_e32 v6, 16, v6
	v_mul_f32_e32 v40, v49, v6
	v_and_b32_e32 v6, 0x7f800000, v40
	v_cmp_ne_u32_e32 vcc, s15, v6
                                        ; implicit-def: $vgpr6
	s_and_saveexec_b64 s[0:1], vcc
	s_xor_b64 s[0:1], exec, s[0:1]
; %bb.283:                              ;   in Loop: Header=BB158_40 Depth=1
	v_bfe_u32 v6, v40, 16, 1
	v_add3_u32 v6, v40, v6, s20
                                        ; implicit-def: $vgpr40
; %bb.284:                              ;   in Loop: Header=BB158_40 Depth=1
	s_andn2_saveexec_b64 s[0:1], s[0:1]
; %bb.285:                              ;   in Loop: Header=BB158_40 Depth=1
	v_or_b32_e32 v6, 0x10000, v40
	v_cmp_eq_u32_sdwa vcc, v40, v17 src0_sel:WORD_0 src1_sel:DWORD
	s_nop 1
	v_cndmask_b32_e32 v6, v6, v40, vcc
; %bb.286:                              ;   in Loop: Header=BB158_40 Depth=1
	s_or_b64 exec, exec, s[0:1]
	v_lshlrev_b32_e32 v3, 16, v3
	v_mul_f32_e32 v40, v50, v3
	v_and_b32_e32 v3, 0x7f800000, v40
	v_cmp_ne_u32_e32 vcc, s15, v3
                                        ; implicit-def: $vgpr3
	s_and_saveexec_b64 s[0:1], vcc
	s_xor_b64 s[0:1], exec, s[0:1]
; %bb.287:                              ;   in Loop: Header=BB158_40 Depth=1
	v_bfe_u32 v3, v40, 16, 1
	v_add3_u32 v3, v40, v3, s20
                                        ; implicit-def: $vgpr40
; %bb.288:                              ;   in Loop: Header=BB158_40 Depth=1
	s_andn2_saveexec_b64 s[0:1], s[0:1]
; %bb.289:                              ;   in Loop: Header=BB158_40 Depth=1
	v_or_b32_e32 v3, 0x10000, v40
	v_cmp_eq_u32_sdwa vcc, v40, v17 src0_sel:WORD_0 src1_sel:DWORD
	s_nop 1
	v_cndmask_b32_e32 v3, v3, v40, vcc
; %bb.290:                              ;   in Loop: Header=BB158_40 Depth=1
	s_or_b64 exec, exec, s[0:1]
	v_lshlrev_b32_e32 v7, 16, v7
	v_mul_f32_e32 v40, v51, v7
	v_and_b32_e32 v7, 0x7f800000, v40
	v_cmp_ne_u32_e32 vcc, s15, v7
                                        ; implicit-def: $vgpr7
	s_and_saveexec_b64 s[0:1], vcc
	s_xor_b64 s[0:1], exec, s[0:1]
; %bb.291:                              ;   in Loop: Header=BB158_40 Depth=1
	v_bfe_u32 v7, v40, 16, 1
	v_add3_u32 v7, v40, v7, s20
                                        ; implicit-def: $vgpr40
; %bb.292:                              ;   in Loop: Header=BB158_40 Depth=1
	s_andn2_saveexec_b64 s[0:1], s[0:1]
; %bb.293:                              ;   in Loop: Header=BB158_40 Depth=1
	v_or_b32_e32 v7, 0x10000, v40
	v_cmp_eq_u32_sdwa vcc, v40, v17 src0_sel:WORD_0 src1_sel:DWORD
	s_nop 1
	v_cndmask_b32_e32 v7, v7, v40, vcc
; %bb.294:                              ;   in Loop: Header=BB158_40 Depth=1
	s_or_b64 exec, exec, s[0:1]
	v_lshlrev_b32_e32 v4, 16, v4
	v_mul_f32_e32 v40, v52, v4
	v_and_b32_e32 v4, 0x7f800000, v40
	v_cmp_ne_u32_e32 vcc, s15, v4
                                        ; implicit-def: $vgpr4
	s_and_saveexec_b64 s[0:1], vcc
	s_xor_b64 s[0:1], exec, s[0:1]
; %bb.295:                              ;   in Loop: Header=BB158_40 Depth=1
	v_bfe_u32 v4, v40, 16, 1
	v_add3_u32 v4, v40, v4, s20
                                        ; implicit-def: $vgpr40
; %bb.296:                              ;   in Loop: Header=BB158_40 Depth=1
	s_andn2_saveexec_b64 s[0:1], s[0:1]
; %bb.297:                              ;   in Loop: Header=BB158_40 Depth=1
	v_or_b32_e32 v4, 0x10000, v40
	v_cmp_eq_u32_sdwa vcc, v40, v17 src0_sel:WORD_0 src1_sel:DWORD
	s_nop 1
	v_cndmask_b32_e32 v4, v4, v40, vcc
; %bb.298:                              ;   in Loop: Header=BB158_40 Depth=1
	s_or_b64 exec, exec, s[0:1]
	v_lshlrev_b32_e32 v40, 16, v92
	v_mul_f32_e32 v41, v53, v40
	v_and_b32_e32 v40, 0x7f800000, v41
	v_cmp_ne_u32_e32 vcc, s15, v40
                                        ; implicit-def: $vgpr40
	s_and_saveexec_b64 s[0:1], vcc
	s_xor_b64 s[0:1], exec, s[0:1]
; %bb.299:                              ;   in Loop: Header=BB158_40 Depth=1
	v_bfe_u32 v40, v41, 16, 1
	v_add3_u32 v40, v41, v40, s20
                                        ; implicit-def: $vgpr41
; %bb.300:                              ;   in Loop: Header=BB158_40 Depth=1
	s_andn2_saveexec_b64 s[0:1], s[0:1]
; %bb.301:                              ;   in Loop: Header=BB158_40 Depth=1
	v_or_b32_e32 v40, 0x10000, v41
	v_cmp_eq_u32_sdwa vcc, v41, v17 src0_sel:WORD_0 src1_sel:DWORD
	s_nop 1
	v_cndmask_b32_e32 v40, v40, v41, vcc
; %bb.302:                              ;   in Loop: Header=BB158_40 Depth=1
	s_or_b64 exec, exec, s[0:1]
	v_lshlrev_b32_e32 v5, 16, v5
	v_mul_f32_e32 v41, v54, v5
	v_and_b32_e32 v5, 0x7f800000, v41
	v_cmp_ne_u32_e32 vcc, s15, v5
                                        ; implicit-def: $vgpr5
	s_and_saveexec_b64 s[0:1], vcc
	s_xor_b64 s[0:1], exec, s[0:1]
; %bb.303:                              ;   in Loop: Header=BB158_40 Depth=1
	v_bfe_u32 v5, v41, 16, 1
	v_add3_u32 v5, v41, v5, s20
                                        ; implicit-def: $vgpr41
; %bb.304:                              ;   in Loop: Header=BB158_40 Depth=1
	s_andn2_saveexec_b64 s[0:1], s[0:1]
; %bb.305:                              ;   in Loop: Header=BB158_40 Depth=1
	v_or_b32_e32 v5, 0x10000, v41
	v_cmp_eq_u32_sdwa vcc, v41, v17 src0_sel:WORD_0 src1_sel:DWORD
	s_nop 1
	v_cndmask_b32_e32 v5, v5, v41, vcc
; %bb.306:                              ;   in Loop: Header=BB158_40 Depth=1
	s_or_b64 exec, exec, s[0:1]
	v_lshlrev_b32_e32 v25, 16, v25
	v_mul_f32_e32 v41, v55, v25
	v_and_b32_e32 v25, 0x7f800000, v41
	v_cmp_ne_u32_e32 vcc, s15, v25
                                        ; implicit-def: $vgpr25
	s_and_saveexec_b64 s[0:1], vcc
	s_xor_b64 s[0:1], exec, s[0:1]
; %bb.307:                              ;   in Loop: Header=BB158_40 Depth=1
	v_bfe_u32 v25, v41, 16, 1
	v_add3_u32 v25, v41, v25, s20
                                        ; implicit-def: $vgpr41
; %bb.308:                              ;   in Loop: Header=BB158_40 Depth=1
	s_andn2_saveexec_b64 s[0:1], s[0:1]
	s_cbranch_execz .LBB158_39
; %bb.309:                              ;   in Loop: Header=BB158_40 Depth=1
	v_or_b32_e32 v25, 0x10000, v41
	v_cmp_eq_u32_sdwa vcc, v41, v17 src0_sel:WORD_0 src1_sel:DWORD
	s_nop 1
	v_cndmask_b32_e32 v25, v25, v41, vcc
	s_branch .LBB158_39
.LBB158_310:
	s_or_b64 exec, exec, s[8:9]
.LBB158_311:
	s_or_b64 exec, exec, s[2:3]
	ds_bpermute_b32 v2, v27, v14
	ds_bpermute_b32 v3, v27, v15
	;; [unrolled: 1-line block ×7, first 2 shown]
	s_waitcnt lgkmcnt(5)
	v_pk_add_f32 v[2:3], v[14:15], v[2:3]
	s_waitcnt lgkmcnt(4)
	v_add_f32_e32 v1, v30, v1
	ds_bpermute_b32 v6, v28, v2
	ds_bpermute_b32 v7, v28, v3
	s_waitcnt lgkmcnt(4)
	v_pk_add_f32 v[4:5], v[12:13], v[4:5]
	s_waitcnt lgkmcnt(2)
	v_pk_add_f32 v[10:11], v[10:11], v[8:9]
	ds_bpermute_b32 v16, v28, v1
	ds_bpermute_b32 v12, v28, v4
	;; [unrolled: 1-line block ×5, first 2 shown]
	s_waitcnt lgkmcnt(5)
	v_pk_add_f32 v[8:9], v[2:3], v[6:7]
	s_waitcnt lgkmcnt(4)
	v_add_f32_e32 v6, v1, v16
	v_and_b32_e32 v1, 0x3c3, v0
	s_waitcnt lgkmcnt(2)
	v_pk_add_f32 v[4:5], v[4:5], v[12:13]
	s_waitcnt lgkmcnt(0)
	v_pk_add_f32 v[2:3], v[10:11], v[14:15]
	v_cmp_eq_u32_e32 vcc, 64, v1
	s_barrier
	s_and_saveexec_b64 s[0:1], vcc
	s_cbranch_execz .LBB158_313
; %bb.312:
	v_add_u32_e32 v1, 0xf0, v26
	ds_write2_b32 v1, v8, v9 offset1:16
	ds_write2_b32 v1, v4, v5 offset0:32 offset1:48
	ds_write2_b32 v1, v2, v3 offset0:64 offset1:80
	ds_write_b32 v1, v6 offset:384
.LBB158_313:
	s_or_b64 exec, exec, s[0:1]
	v_cmp_gt_u32_e32 vcc, 64, v0
	s_waitcnt lgkmcnt(0)
	s_barrier
	s_and_saveexec_b64 s[2:3], vcc
	s_cbranch_execz .LBB158_323
; %bb.314:
	v_cmp_eq_u32_e64 s[0:1], 0, v29
	v_lshrrev_b32_e32 v1, 2, v0
	s_and_saveexec_b64 s[6:7], s[0:1]
	s_cbranch_execnz .LBB158_355
; %bb.315:
	s_or_b64 exec, exec, s[6:7]
	s_and_saveexec_b64 s[6:7], s[0:1]
	s_cbranch_execnz .LBB158_356
.LBB158_316:
	s_or_b64 exec, exec, s[6:7]
	s_and_saveexec_b64 s[6:7], s[0:1]
	s_cbranch_execnz .LBB158_357
.LBB158_317:
	s_or_b64 exec, exec, s[6:7]
	s_and_saveexec_b64 s[6:7], s[0:1]
	s_cbranch_execnz .LBB158_358
.LBB158_318:
	s_or_b64 exec, exec, s[6:7]
	s_and_saveexec_b64 s[6:7], s[0:1]
	s_cbranch_execnz .LBB158_359
.LBB158_319:
	s_or_b64 exec, exec, s[6:7]
	s_and_saveexec_b64 s[6:7], s[0:1]
	s_cbranch_execnz .LBB158_360
.LBB158_320:
	s_or_b64 exec, exec, s[6:7]
	s_and_saveexec_b64 s[6:7], s[0:1]
	s_cbranch_execz .LBB158_322
.LBB158_321:
	v_mov_b32_e32 v7, 0xf0
	v_lshl_add_u32 v1, v1, 2, v7
	ds_read_b32 v1, v1 offset:384
	s_waitcnt lgkmcnt(0)
	v_add_f32_e32 v6, v6, v1
.LBB158_322:
	s_or_b64 exec, exec, s[6:7]
.LBB158_323:
	s_or_b64 exec, exec, s[2:3]
	s_barrier
	s_and_saveexec_b64 s[0:1], vcc
	s_cbranch_execz .LBB158_354
; %bb.324:
	v_cmp_eq_u32_e32 vcc, 0, v29
	s_and_b64 exec, exec, vcc
	s_cbranch_execz .LBB158_354
; %bb.325:
	s_mov_b32 s0, 0x7f800000
	v_and_b32_e32 v1, 0x7f800000, v8
	v_cmp_ne_u32_e32 vcc, s0, v1
                                        ; implicit-def: $vgpr7
	s_and_saveexec_b64 s[0:1], vcc
	s_xor_b64 s[0:1], exec, s[0:1]
; %bb.326:
	v_bfe_u32 v1, v8, 16, 1
	s_movk_i32 s2, 0x7fff
	v_add3_u32 v7, v8, v1, s2
; %bb.327:
	s_andn2_saveexec_b64 s[0:1], s[0:1]
; %bb.328:
	v_mov_b32_e32 v1, 0
	v_or_b32_e32 v7, 0x10000, v8
	v_cmp_eq_u32_sdwa vcc, v8, v1 src0_sel:WORD_0 src1_sel:DWORD
	s_nop 1
	v_cndmask_b32_e32 v7, v7, v8, vcc
; %bb.329:
	s_or_b64 exec, exec, s[0:1]
	s_mul_i32 s0, s10, s11
	s_mul_i32 s0, s0, s5
	s_mulk_i32 s0, 0x70
	s_ashr_i32 s1, s0, 31
	s_lshl_b64 s[0:1], s[0:1], 1
	s_add_u32 s2, s18, s0
	s_mul_i32 s0, s11, s16
	s_addc_u32 s3, s19, s1
	s_ashr_i32 s1, s0, 31
	s_lshl_b64 s[0:1], s[0:1], 1
	s_add_u32 s2, s2, s0
	s_mul_i32 s0, s4, 0x70
	s_addc_u32 s3, s3, s1
	s_ashr_i32 s1, s0, 31
	s_lshl_b64 s[0:1], s[0:1], 1
	s_add_u32 s0, s2, s0
	v_lshrrev_b32_e32 v0, 1, v0
	s_addc_u32 s1, s3, s1
	v_and_b32_e32 v0, 0x1fe, v0
	global_store_short_d16_hi v0, v7, s[0:1]
	s_mov_b32 s2, 0x7f800000
	v_and_b32_e32 v7, 0x7f800000, v9
	v_mov_b32_e32 v1, 0
	v_cmp_ne_u32_e32 vcc, s2, v7
                                        ; implicit-def: $vgpr7
	s_and_saveexec_b64 s[2:3], vcc
	s_xor_b64 s[2:3], exec, s[2:3]
; %bb.330:
	v_bfe_u32 v7, v9, 16, 1
	s_movk_i32 s4, 0x7fff
	v_add3_u32 v7, v9, v7, s4
; %bb.331:
	s_or_saveexec_b64 s[2:3], s[2:3]
	v_lshl_add_u64 v[10:11], s[0:1], 0, v[0:1]
	s_xor_b64 exec, exec, s[2:3]
; %bb.332:
	v_mov_b32_e32 v0, 0
	v_or_b32_e32 v1, 0x10000, v9
	v_cmp_eq_u32_sdwa vcc, v9, v0 src0_sel:WORD_0 src1_sel:DWORD
	s_nop 1
	v_cndmask_b32_e32 v7, v1, v9, vcc
; %bb.333:
	s_or_b64 exec, exec, s[2:3]
	s_mov_b32 s0, 0x7f800000
	v_and_b32_e32 v0, 0x7f800000, v4
	v_cmp_ne_u32_e32 vcc, s0, v0
	global_store_short_d16_hi v[10:11], v7, off offset:32
                                        ; implicit-def: $vgpr0
	s_and_saveexec_b64 s[0:1], vcc
	s_xor_b64 s[0:1], exec, s[0:1]
; %bb.334:
	v_bfe_u32 v0, v4, 16, 1
	s_movk_i32 s2, 0x7fff
	v_add3_u32 v0, v4, v0, s2
; %bb.335:
	s_andn2_saveexec_b64 s[0:1], s[0:1]
; %bb.336:
	v_mov_b32_e32 v0, 0
	v_or_b32_e32 v1, 0x10000, v4
	v_cmp_eq_u32_sdwa vcc, v4, v0 src0_sel:WORD_0 src1_sel:DWORD
	s_nop 1
	v_cndmask_b32_e32 v0, v1, v4, vcc
; %bb.337:
	s_or_b64 exec, exec, s[0:1]
	global_store_short_d16_hi v[10:11], v0, off offset:64
	s_mov_b32 s0, 0x7f800000
	v_and_b32_e32 v0, 0x7f800000, v5
	v_cmp_ne_u32_e32 vcc, s0, v0
                                        ; implicit-def: $vgpr0
	s_and_saveexec_b64 s[0:1], vcc
	s_xor_b64 s[0:1], exec, s[0:1]
; %bb.338:
	v_bfe_u32 v0, v5, 16, 1
	s_movk_i32 s2, 0x7fff
	v_add3_u32 v0, v5, v0, s2
; %bb.339:
	s_andn2_saveexec_b64 s[0:1], s[0:1]
; %bb.340:
	v_mov_b32_e32 v0, 0
	v_or_b32_e32 v1, 0x10000, v5
	v_cmp_eq_u32_sdwa vcc, v5, v0 src0_sel:WORD_0 src1_sel:DWORD
	s_nop 1
	v_cndmask_b32_e32 v0, v1, v5, vcc
; %bb.341:
	s_or_b64 exec, exec, s[0:1]
	global_store_short_d16_hi v[10:11], v0, off offset:96
	s_mov_b32 s0, 0x7f800000
	v_and_b32_e32 v0, 0x7f800000, v2
	v_cmp_ne_u32_e32 vcc, s0, v0
	;; [unrolled: 21-line block ×4, first 2 shown]
                                        ; implicit-def: $vgpr7
	s_and_saveexec_b64 s[0:1], vcc
	s_xor_b64 s[0:1], exec, s[0:1]
; %bb.350:
	v_bfe_u32 v0, v6, 16, 1
	s_movk_i32 s2, 0x7fff
	v_add3_u32 v7, v6, v0, s2
                                        ; implicit-def: $vgpr0_vgpr1_vgpr2_vgpr3_vgpr4_vgpr5_vgpr6
; %bb.351:
	s_andn2_saveexec_b64 s[0:1], s[0:1]
; %bb.352:
	v_mov_b32_e32 v0, 0
	v_or_b32_e32 v1, 0x10000, v6
	v_cmp_eq_u32_sdwa vcc, v6, v0 src0_sel:WORD_0 src1_sel:DWORD
	s_nop 1
	v_cndmask_b32_e32 v7, v1, v6, vcc
; %bb.353:
	s_or_b64 exec, exec, s[0:1]
	global_store_short_d16_hi v[10:11], v7, off offset:192
.LBB158_354:
	s_endpgm
.LBB158_355:
	v_mov_b32_e32 v7, 0xf0
	v_lshl_add_u32 v7, v1, 2, v7
	ds_read_b32 v7, v7
	s_waitcnt lgkmcnt(0)
	v_add_f32_e32 v8, v8, v7
	s_or_b64 exec, exec, s[6:7]
	s_and_saveexec_b64 s[6:7], s[0:1]
	s_cbranch_execz .LBB158_316
.LBB158_356:
	v_mov_b32_e32 v7, 0xf0
	v_lshl_add_u32 v7, v1, 2, v7
	ds_read_b32 v7, v7 offset:64
	s_waitcnt lgkmcnt(0)
	v_add_f32_e32 v9, v9, v7
	s_or_b64 exec, exec, s[6:7]
	s_and_saveexec_b64 s[6:7], s[0:1]
	s_cbranch_execz .LBB158_317
.LBB158_357:
	v_mov_b32_e32 v7, 0xf0
	v_lshl_add_u32 v7, v1, 2, v7
	ds_read_b32 v7, v7 offset:128
	s_waitcnt lgkmcnt(0)
	v_add_f32_e32 v4, v4, v7
	s_or_b64 exec, exec, s[6:7]
	s_and_saveexec_b64 s[6:7], s[0:1]
	s_cbranch_execz .LBB158_318
.LBB158_358:
	v_mov_b32_e32 v7, 0xf0
	v_lshl_add_u32 v7, v1, 2, v7
	ds_read_b32 v7, v7 offset:192
	s_waitcnt lgkmcnt(0)
	v_add_f32_e32 v5, v5, v7
	s_or_b64 exec, exec, s[6:7]
	s_and_saveexec_b64 s[6:7], s[0:1]
	s_cbranch_execz .LBB158_319
.LBB158_359:
	v_mov_b32_e32 v7, 0xf0
	v_lshl_add_u32 v7, v1, 2, v7
	ds_read_b32 v7, v7 offset:256
	s_waitcnt lgkmcnt(0)
	v_add_f32_e32 v2, v2, v7
	s_or_b64 exec, exec, s[6:7]
	s_and_saveexec_b64 s[6:7], s[0:1]
	s_cbranch_execz .LBB158_320
.LBB158_360:
	v_mov_b32_e32 v7, 0xf0
	v_lshl_add_u32 v7, v1, 2, v7
	ds_read_b32 v7, v7 offset:320
	s_waitcnt lgkmcnt(0)
	v_add_f32_e32 v3, v3, v7
	s_or_b64 exec, exec, s[6:7]
	s_and_saveexec_b64 s[6:7], s[0:1]
	s_cbranch_execnz .LBB158_321
	s_branch .LBB158_322
	.section	.rodata,"a",@progbits
	.p2align	6, 0x0
	.amdhsa_kernel _ZN4vllm25paged_attention_v1_kernelI14__hip_bfloat16S1_Li112ELi32ELi128ELNS_18Fp8KVCacheDataTypeE0ELb0EEEvPT_PKS3_PKT0_S9_ifPKiSB_iPKfiiiSD_SD_iiiii
		.amdhsa_group_segment_fixed_size 240
		.amdhsa_private_segment_fixed_size 0
		.amdhsa_kernarg_size 384
		.amdhsa_user_sgpr_count 2
		.amdhsa_user_sgpr_dispatch_ptr 0
		.amdhsa_user_sgpr_queue_ptr 0
		.amdhsa_user_sgpr_kernarg_segment_ptr 1
		.amdhsa_user_sgpr_dispatch_id 0
		.amdhsa_user_sgpr_kernarg_preload_length 0
		.amdhsa_user_sgpr_kernarg_preload_offset 0
		.amdhsa_user_sgpr_private_segment_size 0
		.amdhsa_uses_dynamic_stack 0
		.amdhsa_enable_private_segment 0
		.amdhsa_system_sgpr_workgroup_id_x 1
		.amdhsa_system_sgpr_workgroup_id_y 1
		.amdhsa_system_sgpr_workgroup_id_z 1
		.amdhsa_system_sgpr_workgroup_info 0
		.amdhsa_system_vgpr_workitem_id 0
		.amdhsa_next_free_vgpr 127
		.amdhsa_next_free_sgpr 35
		.amdhsa_accum_offset 128
		.amdhsa_reserve_vcc 1
		.amdhsa_float_round_mode_32 0
		.amdhsa_float_round_mode_16_64 0
		.amdhsa_float_denorm_mode_32 3
		.amdhsa_float_denorm_mode_16_64 3
		.amdhsa_dx10_clamp 1
		.amdhsa_ieee_mode 1
		.amdhsa_fp16_overflow 0
		.amdhsa_tg_split 0
		.amdhsa_exception_fp_ieee_invalid_op 0
		.amdhsa_exception_fp_denorm_src 0
		.amdhsa_exception_fp_ieee_div_zero 0
		.amdhsa_exception_fp_ieee_overflow 0
		.amdhsa_exception_fp_ieee_underflow 0
		.amdhsa_exception_fp_ieee_inexact 0
		.amdhsa_exception_int_div_zero 0
	.end_amdhsa_kernel
	.section	.text._ZN4vllm25paged_attention_v1_kernelI14__hip_bfloat16S1_Li112ELi32ELi128ELNS_18Fp8KVCacheDataTypeE0ELb0EEEvPT_PKS3_PKT0_S9_ifPKiSB_iPKfiiiSD_SD_iiiii,"axG",@progbits,_ZN4vllm25paged_attention_v1_kernelI14__hip_bfloat16S1_Li112ELi32ELi128ELNS_18Fp8KVCacheDataTypeE0ELb0EEEvPT_PKS3_PKT0_S9_ifPKiSB_iPKfiiiSD_SD_iiiii,comdat
.Lfunc_end158:
	.size	_ZN4vllm25paged_attention_v1_kernelI14__hip_bfloat16S1_Li112ELi32ELi128ELNS_18Fp8KVCacheDataTypeE0ELb0EEEvPT_PKS3_PKT0_S9_ifPKiSB_iPKfiiiSD_SD_iiiii, .Lfunc_end158-_ZN4vllm25paged_attention_v1_kernelI14__hip_bfloat16S1_Li112ELi32ELi128ELNS_18Fp8KVCacheDataTypeE0ELb0EEEvPT_PKS3_PKT0_S9_ifPKiSB_iPKfiiiSD_SD_iiiii
                                        ; -- End function
	.section	.AMDGPU.csdata,"",@progbits
; Kernel info:
; codeLenInByte = 12636
; NumSgprs: 41
; NumVgprs: 127
; NumAgprs: 0
; TotalNumVgprs: 127
; ScratchSize: 0
; MemoryBound: 0
; FloatMode: 240
; IeeeMode: 1
; LDSByteSize: 240 bytes/workgroup (compile time only)
; SGPRBlocks: 5
; VGPRBlocks: 15
; NumSGPRsForWavesPerEU: 41
; NumVGPRsForWavesPerEU: 127
; AccumOffset: 128
; Occupancy: 4
; WaveLimiterHint : 1
; COMPUTE_PGM_RSRC2:SCRATCH_EN: 0
; COMPUTE_PGM_RSRC2:USER_SGPR: 2
; COMPUTE_PGM_RSRC2:TRAP_HANDLER: 0
; COMPUTE_PGM_RSRC2:TGID_X_EN: 1
; COMPUTE_PGM_RSRC2:TGID_Y_EN: 1
; COMPUTE_PGM_RSRC2:TGID_Z_EN: 1
; COMPUTE_PGM_RSRC2:TIDIG_COMP_CNT: 0
; COMPUTE_PGM_RSRC3_GFX90A:ACCUM_OFFSET: 31
; COMPUTE_PGM_RSRC3_GFX90A:TG_SPLIT: 0
	.section	.text._ZN4vllm25paged_attention_v1_kernelI14__hip_bfloat16S1_Li120ELi32ELi128ELNS_18Fp8KVCacheDataTypeE0ELb0EEEvPT_PKS3_PKT0_S9_ifPKiSB_iPKfiiiSD_SD_iiiii,"axG",@progbits,_ZN4vllm25paged_attention_v1_kernelI14__hip_bfloat16S1_Li120ELi32ELi128ELNS_18Fp8KVCacheDataTypeE0ELb0EEEvPT_PKS3_PKT0_S9_ifPKiSB_iPKfiiiSD_SD_iiiii,comdat
	.protected	_ZN4vllm25paged_attention_v1_kernelI14__hip_bfloat16S1_Li120ELi32ELi128ELNS_18Fp8KVCacheDataTypeE0ELb0EEEvPT_PKS3_PKT0_S9_ifPKiSB_iPKfiiiSD_SD_iiiii ; -- Begin function _ZN4vllm25paged_attention_v1_kernelI14__hip_bfloat16S1_Li120ELi32ELi128ELNS_18Fp8KVCacheDataTypeE0ELb0EEEvPT_PKS3_PKT0_S9_ifPKiSB_iPKfiiiSD_SD_iiiii
	.globl	_ZN4vllm25paged_attention_v1_kernelI14__hip_bfloat16S1_Li120ELi32ELi128ELNS_18Fp8KVCacheDataTypeE0ELb0EEEvPT_PKS3_PKT0_S9_ifPKiSB_iPKfiiiSD_SD_iiiii
	.p2align	8
	.type	_ZN4vllm25paged_attention_v1_kernelI14__hip_bfloat16S1_Li120ELi32ELi128ELNS_18Fp8KVCacheDataTypeE0ELb0EEEvPT_PKS3_PKT0_S9_ifPKiSB_iPKfiiiSD_SD_iiiii,@function
_ZN4vllm25paged_attention_v1_kernelI14__hip_bfloat16S1_Li120ELi32ELi128ELNS_18Fp8KVCacheDataTypeE0ELb0EEEvPT_PKS3_PKT0_S9_ifPKiSB_iPKfiiiSD_SD_iiiii: ; @_ZN4vllm25paged_attention_v1_kernelI14__hip_bfloat16S1_Li120ELi32ELi128ELNS_18Fp8KVCacheDataTypeE0ELb0EEEvPT_PKS3_PKT0_S9_ifPKiSB_iPKfiiiSD_SD_iiiii
; %bb.0:
	s_load_dword s5, s[0:1], 0x80
	s_load_dwordx2 s[6:7], s[0:1], 0x30
	s_load_dwordx2 s[8:9], s[0:1], 0x20
	s_mov_b32 s10, s3
	s_ashr_i32 s11, s3, 31
	s_lshl_b64 s[12:13], s[10:11], 2
	s_waitcnt lgkmcnt(0)
	s_add_u32 s6, s6, s12
	s_addc_u32 s7, s7, s13
	s_abs_i32 s3, s8
	v_cvt_f32_u32_e32 v1, s3
	s_sub_i32 s12, 0, s3
	s_abs_i32 s11, s5
	s_xor_b32 s8, s5, s8
	v_rcp_iflag_f32_e32 v1, v1
	s_ashr_i32 s8, s8, 31
	v_mul_f32_e32 v1, 0x4f7ffffe, v1
	v_cvt_u32_f32_e32 v1, v1
	s_nop 0
	v_readfirstlane_b32 s13, v1
	s_mul_i32 s12, s12, s13
	s_mul_hi_u32 s12, s13, s12
	s_add_i32 s13, s13, s12
	s_mul_hi_u32 s12, s11, s13
	s_mul_i32 s13, s12, s3
	s_sub_i32 s11, s11, s13
	s_add_i32 s13, s12, 1
	s_sub_i32 s14, s11, s3
	s_cmp_ge_u32 s11, s3
	s_cselect_b32 s12, s13, s12
	s_cselect_b32 s11, s14, s11
	s_add_i32 s13, s12, 1
	s_cmp_ge_u32 s11, s3
	s_cselect_b32 s3, s13, s12
	s_xor_b32 s3, s3, s8
	s_sub_i32 s14, s3, s8
	s_abs_i32 s11, s14
	v_cvt_f32_u32_e32 v1, s11
	s_load_dwordx2 s[12:13], s[0:1], 0x40
	s_sub_i32 s3, 0, s11
	s_abs_i32 s18, s2
	v_rcp_iflag_f32_e32 v1, v1
	s_mov_b32 s8, 0
	v_mul_f32_e32 v1, 0x4f7ffffe, v1
	v_cvt_u32_f32_e32 v1, v1
	s_nop 0
	v_readfirstlane_b32 s15, v1
	s_mul_i32 s3, s3, s15
	s_mul_hi_u32 s3, s15, s3
	s_add_i32 s15, s15, s3
	s_waitcnt lgkmcnt(0)
	s_cmp_eq_u64 s[12:13], 0
	s_mul_hi_u32 s19, s18, s15
	s_cbranch_scc1 .LBB159_2
; %bb.1:
	s_ashr_i32 s3, s2, 31
	s_lshl_b64 s[16:17], s[2:3], 2
	s_add_u32 s12, s12, s16
	s_addc_u32 s13, s13, s17
	s_load_dword s8, s[12:13], 0x0
.LBB159_2:
	s_load_dword s33, s[6:7], 0x0
	s_ashr_i32 s7, s14, 31
	s_load_dwordx4 s[12:15], s[0:1], 0x48
	s_ashr_i32 s6, s2, 31
	v_and_b32_e32 v2, 1, v0
	s_waitcnt lgkmcnt(0)
	s_movk_i32 s15, 0x78
	s_mul_i32 s16, s2, 0x78
	v_cmp_gt_u32_e32 vcc, 30, v0
	v_lshlrev_b32_e32 v28, 3, v0
	s_and_saveexec_b64 s[2:3], vcc
	s_cbranch_execz .LBB159_4
; %bb.3:
	s_load_dwordx2 s[20:21], s[0:1], 0x8
	s_mul_i32 s22, s10, s12
	s_ashr_i32 s23, s22, 31
	s_lshl_b64 s[22:23], s[22:23], 1
	v_lshlrev_b32_e32 v1, 2, v0
	s_waitcnt lgkmcnt(0)
	s_add_u32 s12, s20, s22
	s_addc_u32 s22, s21, s23
	s_ashr_i32 s17, s16, 31
	s_lshl_b64 s[20:21], s[16:17], 1
	s_add_u32 s20, s12, s20
	s_addc_u32 s21, s22, s21
	global_load_dwordx2 v[4:5], v28, s[20:21]
	v_and_b32_e32 v1, 0xff8, v1
	v_mad_u32_u24 v1, v2, s15, v1
	s_waitcnt vmcnt(0)
	ds_write_b64 v1, v[4:5]
.LBB159_4:
	s_or_b64 exec, exec, s[2:3]
	s_add_i32 s3, s33, 31
	s_ashr_i32 s12, s3, 31
	s_lshr_b32 s12, s12, 27
	s_add_i32 s3, s3, s12
	s_ashr_i32 s17, s3, 5
	s_xor_b32 s3, s6, s7
	s_mul_i32 s6, s19, s11
	s_sub_i32 s6, s18, s6
	s_add_i32 s7, s19, 1
	s_sub_i32 s12, s6, s11
	s_load_dwordx2 s[20:21], s[0:1], 0x28
	s_load_dword s2, s[0:1], 0x38
	s_cmp_ge_u32 s6, s11
	s_cselect_b32 s7, s7, s19
	s_cselect_b32 s6, s12, s6
	s_add_i32 s12, s7, 1
	s_cmp_ge_u32 s6, s11
	s_cselect_b32 s6, s12, s7
	v_lshrrev_b32_e32 v1, 6, v0
	s_xor_b32 s6, s6, s3
	s_waitcnt lgkmcnt(0)
	s_mul_i32 s22, s10, s2
	s_sub_i32 s12, s6, s3
	s_ashr_i32 s23, s22, 31
	v_cmp_gt_i32_e64 s[6:7], s17, v1
	v_cmp_le_i32_e32 vcc, s17, v1
	v_mbcnt_lo_u32_b32 v4, -1, 0
	s_barrier
	s_waitcnt lgkmcnt(0)
                                        ; implicit-def: $sgpr15
                                        ; implicit-def: $vgpr32
                                        ; implicit-def: $vgpr31
	s_and_saveexec_b64 s[2:3], vcc
	s_xor_b64 s[2:3], exec, s[2:3]
; %bb.5:
	v_mbcnt_hi_u32_b32 v32, -1, v4
	v_and_b32_e32 v2, 64, v32
	v_add_u32_e32 v31, 64, v2
	s_mov_b32 s15, 0xff7fffff
                                        ; implicit-def: $vgpr2
                                        ; implicit-def: $vgpr4
; %bb.6:
	s_or_saveexec_b64 s[26:27], s[2:3]
	s_load_dwordx2 s[18:19], s[0:1], 0x0
	s_load_dwordx2 s[24:25], s[0:1], 0x18
	s_load_dword s11, s[0:1], 0x88
	v_mov_b32_e32 v92, s15
	s_mul_i32 s14, s12, s14
	v_lshrrev_b32_e32 v29, 4, v0
	s_xor_b64 exec, exec, s[26:27]
	s_cbranch_execz .LBB159_12
; %bb.7:
	v_mul_u32_u24_e32 v3, 0x78, v2
	ds_read2_b64 v[6:9], v3 offset1:1
	ds_read2_b64 v[10:13], v3 offset0:2 offset1:3
	s_load_dwordx2 s[0:1], s[0:1], 0x10
	s_ashr_i32 s15, s14, 31
	s_lshl_b64 s[2:3], s[14:15], 1
	s_waitcnt lgkmcnt(0)
	v_lshlrev_b32_e32 v30, 16, v6
	v_and_b32_e32 v33, 0xffff0000, v6
	v_lshlrev_b32_e32 v34, 16, v7
	v_and_b32_e32 v35, 0xffff0000, v7
	;; [unrolled: 2-line block ×4, first 2 shown]
	ds_read2_b64 v[6:9], v3 offset0:4 offset1:5
	v_lshlrev_b32_e32 v40, 16, v10
	v_and_b32_e32 v41, 0xffff0000, v10
	v_lshlrev_b32_e32 v42, 16, v11
	v_and_b32_e32 v43, 0xffff0000, v11
	v_lshlrev_b32_e32 v44, 16, v12
	v_and_b32_e32 v45, 0xffff0000, v12
	v_lshlrev_b32_e32 v46, 16, v13
	v_and_b32_e32 v47, 0xffff0000, v13
	ds_read2_b64 v[10:13], v3 offset0:6 offset1:7
	s_waitcnt lgkmcnt(1)
	v_lshlrev_b32_e32 v48, 16, v6
	v_and_b32_e32 v49, 0xffff0000, v6
	v_lshlrev_b32_e32 v50, 16, v7
	v_and_b32_e32 v51, 0xffff0000, v7
	v_lshlrev_b32_e32 v52, 16, v8
	v_and_b32_e32 v53, 0xffff0000, v8
	v_lshlrev_b32_e32 v54, 16, v9
	v_and_b32_e32 v55, 0xffff0000, v9
	ds_read2_b64 v[6:9], v3 offset0:8 offset1:9
	s_waitcnt lgkmcnt(1)
	;; [unrolled: 10-line block ×3, first 2 shown]
	v_lshlrev_b32_e32 v64, 16, v6
	v_and_b32_e32 v65, 0xffff0000, v6
	v_lshlrev_b32_e32 v66, 16, v7
	v_and_b32_e32 v67, 0xffff0000, v7
	;; [unrolled: 2-line block ×4, first 2 shown]
	ds_read2_b64 v[6:9], v3 offset0:12 offset1:13
	v_mbcnt_hi_u32_b32 v32, -1, v4
	s_add_u32 s0, s0, s2
	v_bfe_u32 v5, v0, 1, 5
	v_and_b32_e32 v4, 64, v32
	s_waitcnt lgkmcnt(1)
	v_lshlrev_b32_e32 v72, 16, v10
	v_and_b32_e32 v73, 0xffff0000, v10
	v_lshlrev_b32_e32 v74, 16, v11
	v_and_b32_e32 v75, 0xffff0000, v11
	ds_read_b64 v[10:11], v3 offset:112
	s_waitcnt lgkmcnt(1)
	v_lshlrev_b32_e32 v80, 16, v6
	v_and_b32_e32 v81, 0xffff0000, v6
	v_lshlrev_b32_e32 v82, 16, v7
	v_and_b32_e32 v83, 0xffff0000, v7
	s_addc_u32 s1, s1, s3
	v_lshlrev_b32_e32 v6, 4, v5
	v_mov_b32_e32 v7, 0
	v_add_u32_e32 v31, 64, v4
	v_xor_b32_e32 v4, 1, v32
	v_cmp_eq_u32_e32 vcc, 0, v2
	v_lshl_add_u64 v[2:3], s[0:1], 0, v[6:7]
	v_cmp_lt_i32_e64 s[0:1], v4, v31
	s_sub_i32 s15, 1, s33
	v_and_b32_e32 v6, 8, v28
	v_cndmask_b32_e64 v4, v32, v4, s[0:1]
	s_lshl_b64 s[0:1], s[22:23], 2
	v_lshlrev_b32_e32 v93, 2, v4
	v_lshlrev_b32_e32 v4, 2, v5
	s_add_u32 s0, s20, s0
	v_lshl_add_u64 v[2:3], v[2:3], 0, v[6:7]
	v_lshl_or_b32 v4, v1, 7, v4
	v_and_b32_e32 v6, 60, v29
	s_addc_u32 s1, s21, s1
	v_lshlrev_b32_e32 v76, 16, v12
	v_and_b32_e32 v77, 0xffff0000, v12
	v_lshlrev_b32_e32 v78, 16, v13
	v_and_b32_e32 v79, 0xffff0000, v13
	;; [unrolled: 2-line block ×4, first 2 shown]
	s_waitcnt lgkmcnt(0)
	v_lshlrev_b32_e32 v88, 16, v10
	v_and_b32_e32 v89, 0xffff0000, v10
	v_lshlrev_b32_e32 v90, 16, v11
	v_and_b32_e32 v91, 0xffff0000, v11
	s_mov_b32 s12, s13
	v_cmp_neq_f32_e64 s[2:3], s8, 0
	v_lshl_or_b32 v94, v1, 5, v5
	v_add_u32_e32 v95, 0x100, v4
	v_lshl_add_u64 v[4:5], s[0:1], 0, v[6:7]
	s_mov_b64 s[28:29], 0
	s_movk_i32 s34, 0x1000
	v_mov_b32_e32 v92, 0xff7fffff
	v_mov_b32_e32 v96, v1
	s_branch .LBB159_9
.LBB159_8:                              ;   in Loop: Header=BB159_9 Depth=1
	s_or_b64 exec, exec, s[30:31]
	v_add_u32_e32 v96, 2, v96
	v_cmp_le_i32_e64 s[0:1], s17, v96
	v_add_u32_e32 v94, 64, v94
	v_add_u32_e32 v95, 0x100, v95
	s_or_b64 s[28:29], s[0:1], s[28:29]
	v_lshl_add_u64 v[4:5], v[4:5], 0, 8
	s_andn2_b64 exec, exec, s[28:29]
	s_cbranch_execz .LBB159_11
.LBB159_9:                              ; =>This Inner Loop Header: Depth=1
	global_load_dword v6, v[4:5], off
	s_waitcnt vmcnt(0) lgkmcnt(0)
	v_mad_i64_i32 v[6:7], s[0:1], v6, s12, 0
	v_lshl_add_u64 v[6:7], v[6:7], 1, v[2:3]
	global_load_dwordx2 v[98:99], v[6:7], off
	global_load_dwordx2 v[100:101], v[6:7], off offset:512
	global_load_dwordx2 v[102:103], v[6:7], off offset:1024
	;; [unrolled: 1-line block ×7, first 2 shown]
	v_add_co_u32_e64 v6, s[0:1], s34, v6
	s_waitcnt vmcnt(7)
	v_lshlrev_b32_e32 v106, 16, v98
	v_addc_co_u32_e64 v7, s[0:1], 0, v7, s[0:1]
	global_load_dwordx2 v[18:19], v[6:7], off
	global_load_dwordx2 v[16:17], v[6:7], off offset:512
	global_load_dwordx2 v[14:15], v[6:7], off offset:1024
	;; [unrolled: 1-line block ×5, first 2 shown]
	s_nop 0
	global_load_dwordx2 v[6:7], v[6:7], off offset:3072
	s_waitcnt vmcnt(13)
	v_lshlrev_b32_e32 v97, 16, v100
	v_and_b32_e32 v107, 0xffff0000, v98
	v_lshlrev_b32_e32 v108, 16, v99
	v_and_b32_e32 v109, 0xffff0000, v99
	v_and_b32_e32 v98, 0xffff0000, v100
	v_mul_f32_e32 v97, v36, v97
	v_lshlrev_b32_e32 v99, 16, v101
	v_fmac_f32_e32 v97, v30, v106
	v_mul_f32_e32 v98, v37, v98
	v_and_b32_e32 v100, 0xffff0000, v101
	v_mul_f32_e32 v99, v38, v99
	s_waitcnt vmcnt(12)
	v_lshlrev_b32_e32 v101, 16, v102
	v_fmac_f32_e32 v98, v33, v107
	v_fmac_f32_e32 v99, v34, v108
	v_mul_f32_e32 v100, v39, v100
	v_and_b32_e32 v102, 0xffff0000, v102
	v_fmac_f32_e32 v97, v40, v101
	v_lshlrev_b32_e32 v101, 16, v103
	v_fmac_f32_e32 v100, v35, v109
	v_fmac_f32_e32 v98, v41, v102
	v_and_b32_e32 v102, 0xffff0000, v103
	v_fmac_f32_e32 v99, v42, v101
	s_waitcnt vmcnt(11)
	v_lshlrev_b32_e32 v101, 16, v104
	v_fmac_f32_e32 v100, v43, v102
	v_and_b32_e32 v102, 0xffff0000, v104
	v_fmac_f32_e32 v97, v44, v101
	v_lshlrev_b32_e32 v101, 16, v105
	v_fmac_f32_e32 v98, v45, v102
	v_fmac_f32_e32 v99, v46, v101
	s_waitcnt vmcnt(10)
	v_lshlrev_b32_e32 v101, 16, v26
	v_and_b32_e32 v26, 0xffff0000, v26
	v_fmac_f32_e32 v98, v49, v26
	v_lshlrev_b32_e32 v26, 16, v27
	v_fmac_f32_e32 v99, v50, v26
	s_waitcnt vmcnt(9)
	v_lshlrev_b32_e32 v26, 16, v24
	v_and_b32_e32 v24, 0xffff0000, v24
	v_fmac_f32_e32 v98, v53, v24
	v_lshlrev_b32_e32 v24, 16, v25
	v_fmac_f32_e32 v99, v54, v24
	s_waitcnt vmcnt(8)
	v_lshlrev_b32_e32 v24, 16, v22
	v_and_b32_e32 v22, 0xffff0000, v22
	v_fmac_f32_e32 v98, v57, v22
	v_lshlrev_b32_e32 v22, 16, v23
	v_fmac_f32_e32 v99, v58, v22
	s_waitcnt vmcnt(7)
	v_lshlrev_b32_e32 v22, 16, v20
	v_and_b32_e32 v20, 0xffff0000, v20
	v_fmac_f32_e32 v98, v61, v20
	v_lshlrev_b32_e32 v20, 16, v21
	v_fmac_f32_e32 v99, v62, v20
	v_and_b32_e32 v102, 0xffff0000, v105
	v_fmac_f32_e32 v97, v48, v101
	v_fmac_f32_e32 v100, v47, v102
	v_and_b32_e32 v27, 0xffff0000, v27
	v_fmac_f32_e32 v97, v52, v26
	;; [unrolled: 3-line block ×5, first 2 shown]
	s_waitcnt vmcnt(6)
	v_lshlrev_b32_e32 v20, 16, v18
	v_and_b32_e32 v18, 0xffff0000, v18
	v_fmac_f32_e32 v98, v65, v18
	v_lshlrev_b32_e32 v18, 16, v19
	v_fmac_f32_e32 v99, v66, v18
	s_waitcnt vmcnt(5)
	v_lshlrev_b32_e32 v18, 16, v16
	v_and_b32_e32 v16, 0xffff0000, v16
	v_fmac_f32_e32 v98, v69, v16
	v_lshlrev_b32_e32 v16, 16, v17
	v_fmac_f32_e32 v99, v70, v16
	;; [unrolled: 6-line block ×3, first 2 shown]
	s_waitcnt vmcnt(3)
	v_lshlrev_b32_e32 v14, 16, v12
	v_and_b32_e32 v12, 0xffff0000, v12
	v_fmac_f32_e32 v97, v64, v20
	v_fmac_f32_e32 v98, v77, v12
	v_lshlrev_b32_e32 v12, 16, v13
	v_and_b32_e32 v19, 0xffff0000, v19
	v_fmac_f32_e32 v97, v68, v18
	v_fmac_f32_e32 v99, v78, v12
	s_waitcnt vmcnt(2)
	v_lshlrev_b32_e32 v12, 16, v10
	v_and_b32_e32 v10, 0xffff0000, v10
	v_fmac_f32_e32 v100, v67, v19
	v_and_b32_e32 v17, 0xffff0000, v17
	v_fmac_f32_e32 v97, v72, v16
	v_fmac_f32_e32 v98, v81, v10
	v_lshlrev_b32_e32 v10, 16, v11
	v_fmac_f32_e32 v100, v71, v17
	v_and_b32_e32 v15, 0xffff0000, v15
	v_fmac_f32_e32 v97, v76, v14
	v_fmac_f32_e32 v99, v82, v10
	s_waitcnt vmcnt(1)
	v_lshlrev_b32_e32 v10, 16, v8
	v_and_b32_e32 v8, 0xffff0000, v8
	v_fmac_f32_e32 v100, v75, v15
	v_and_b32_e32 v13, 0xffff0000, v13
	v_fmac_f32_e32 v97, v80, v12
	v_fmac_f32_e32 v98, v85, v8
	v_lshlrev_b32_e32 v8, 16, v9
	v_fmac_f32_e32 v100, v79, v13
	;; [unrolled: 12-line block ×3, first 2 shown]
	v_and_b32_e32 v7, 0xffff0000, v7
	v_fmac_f32_e32 v99, v90, v6
	v_add_f32_e32 v6, v97, v98
	v_fmac_f32_e32 v100, v91, v7
	v_add_f32_e32 v6, v6, v99
	v_add_f32_e32 v6, v100, v6
	ds_bpermute_b32 v7, v93, v6
	s_and_saveexec_b64 s[30:31], vcc
	s_cbranch_execz .LBB159_8
; %bb.10:                               ;   in Loop: Header=BB159_9 Depth=1
	v_add_u32_e32 v8, s15, v94
	v_cvt_f32_i32_e32 v8, v8
	s_waitcnt lgkmcnt(0)
	v_add_f32_e32 v6, v6, v7
	v_cmp_gt_i32_e64 s[0:1], s33, v94
	v_max_f32_e32 v7, v92, v92
	v_mul_f32_e32 v8, s8, v8
	v_cndmask_b32_e64 v8, 0, v8, s[2:3]
	v_fmac_f32_e32 v8, s9, v6
	v_cndmask_b32_e64 v6, 0, v8, s[0:1]
	ds_write_b32 v95, v6
	v_max_f32_e32 v6, v7, v8
	v_cndmask_b32_e64 v92, v92, v6, s[0:1]
	s_branch .LBB159_8
.LBB159_11:
	s_or_b64 exec, exec, s[28:29]
.LBB159_12:
	s_or_b64 exec, exec, s[26:27]
	v_xor_b32_e32 v2, 32, v32
	v_cmp_lt_i32_e32 vcc, v2, v31
	v_xor_b32_e32 v5, 16, v32
	v_max_f32_e32 v4, v92, v92
	v_cndmask_b32_e32 v2, v32, v2, vcc
	v_lshlrev_b32_e32 v2, 2, v2
	ds_bpermute_b32 v3, v2, v92
	v_cmp_lt_i32_e32 vcc, v5, v31
	v_xor_b32_e32 v6, 8, v32
	s_waitcnt lgkmcnt(0)
	v_xor_b32_e32 v7, 4, v32
	v_xor_b32_e32 v9, 2, v32
	v_max_f32_e32 v3, v3, v3
	v_max_f32_e32 v4, v4, v3
	v_cndmask_b32_e32 v3, v32, v5, vcc
	v_lshlrev_b32_e32 v3, 2, v3
	ds_bpermute_b32 v5, v3, v4
	v_cmp_lt_i32_e32 vcc, v6, v31
	s_waitcnt lgkmcnt(0)
	v_max_f32_e32 v5, v5, v5
	v_max_f32_e32 v4, v4, v5
	v_cndmask_b32_e32 v5, v32, v6, vcc
	v_lshlrev_b32_e32 v5, 2, v5
	ds_bpermute_b32 v6, v5, v4
	v_cmp_lt_i32_e32 vcc, v7, v31
	s_waitcnt lgkmcnt(0)
	;; [unrolled: 7-line block ×3, first 2 shown]
	v_max_f32_e32 v7, v7, v7
	v_max_f32_e32 v8, v4, v7
	v_cndmask_b32_e32 v4, v32, v9, vcc
	v_lshlrev_b32_e32 v30, 2, v4
	ds_bpermute_b32 v9, v30, v8
	v_and_b32_e32 v4, 63, v0
	v_cmp_eq_u32_e32 vcc, 0, v4
	v_lshlrev_b32_e32 v7, 2, v1
	s_and_saveexec_b64 s[0:1], vcc
	s_cbranch_execz .LBB159_14
; %bb.13:
	s_waitcnt lgkmcnt(0)
	v_max_f32_e32 v9, v9, v9
	v_max_f32_e32 v8, v8, v8
	;; [unrolled: 1-line block ×3, first 2 shown]
	ds_write_b32 v7, v8 offset:240
.LBB159_14:
	s_or_b64 exec, exec, s[0:1]
	v_cmp_gt_u32_e64 s[0:1], 2, v4
	s_waitcnt lgkmcnt(0)
	v_mov_b32_e32 v9, 0xff7fffff
	v_lshlrev_b32_e32 v8, 2, v4
	s_barrier
	s_and_saveexec_b64 s[2:3], s[0:1]
	s_cbranch_execz .LBB159_16
; %bb.15:
	ds_read_b32 v9, v8 offset:240
.LBB159_16:
	s_or_b64 exec, exec, s[2:3]
	v_xor_b32_e32 v10, 1, v32
	v_cmp_lt_i32_e64 s[2:3], v10, v31
	v_lshlrev_b32_e32 v11, 2, v32
	s_nop 0
	v_cndmask_b32_e64 v10, v32, v10, s[2:3]
	v_lshlrev_b32_e32 v31, 2, v10
	s_waitcnt lgkmcnt(0)
	ds_bpermute_b32 v10, v31, v9
	v_max_f32_e32 v9, v9, v9
	s_lshl_b32 s2, s17, 5
	s_min_i32 s12, s2, s33
	v_cmp_gt_i32_e64 s[2:3], s12, v0
	s_waitcnt lgkmcnt(0)
	v_max_f32_e32 v10, v10, v10
	v_max_f32_e32 v10, v9, v10
	v_and_b32_e32 v9, 0xffffff00, v11
	ds_bpermute_b32 v11, v9, v10
	v_mov_b32_e32 v10, 0
	s_and_saveexec_b64 s[26:27], s[2:3]
	s_cbranch_execz .LBB159_20
; %bb.17:
	v_mov_b32_e32 v10, 0x100
	v_lshl_add_u32 v12, v0, 2, v10
	s_mov_b64 s[28:29], 0
	v_mov_b32_e32 v10, 0
	v_mov_b32_e32 v13, v0
.LBB159_18:                             ; =>This Inner Loop Header: Depth=1
	ds_read_b32 v14, v12
	v_add_u32_e32 v13, 0x80, v13
	v_cmp_le_i32_e64 s[8:9], s12, v13
	s_or_b64 s[28:29], s[8:9], s[28:29]
	s_waitcnt lgkmcnt(0)
	v_sub_f32_e32 v14, v14, v11
	v_mul_f32_e32 v14, 0x3fb8aa3b, v14
	v_exp_f32_e32 v14, v14
	ds_write_b32 v12, v14
	v_add_f32_e32 v10, v10, v14
	v_add_u32_e32 v12, 0x200, v12
	s_andn2_b64 exec, exec, s[28:29]
	s_cbranch_execnz .LBB159_18
; %bb.19:
	s_or_b64 exec, exec, s[28:29]
.LBB159_20:
	s_or_b64 exec, exec, s[26:27]
	ds_bpermute_b32 v2, v2, v10
	s_waitcnt lgkmcnt(0)
	v_add_f32_e32 v2, v10, v2
	ds_bpermute_b32 v3, v3, v2
	s_waitcnt lgkmcnt(0)
	v_add_f32_e32 v2, v2, v3
	;; [unrolled: 3-line block ×6, first 2 shown]
	s_and_saveexec_b64 s[8:9], vcc
	s_cbranch_execz .LBB159_22
; %bb.21:
	ds_write_b32 v7, v2 offset:248
.LBB159_22:
	s_or_b64 exec, exec, s[8:9]
	s_waitcnt lgkmcnt(0)
	s_barrier
	s_and_saveexec_b64 s[8:9], s[0:1]
	s_cbranch_execz .LBB159_24
; %bb.23:
	ds_read_b32 v2, v8 offset:248
.LBB159_24:
	s_or_b64 exec, exec, s[8:9]
	s_waitcnt lgkmcnt(0)
	ds_bpermute_b32 v3, v31, v2
	s_waitcnt lgkmcnt(0)
	v_add_f32_e32 v2, v2, v3
	ds_bpermute_b32 v2, v9, v2
	s_and_saveexec_b64 s[0:1], s[2:3]
	s_cbranch_execz .LBB159_37
; %bb.25:
	s_waitcnt lgkmcnt(0)
	v_add_f32_e32 v2, 0x358637bd, v2
	v_div_scale_f32 v3, s[2:3], v2, v2, 1.0
	v_rcp_f32_e32 v5, v3
	v_div_scale_f32 v6, vcc, 1.0, v2, 1.0
	s_movk_i32 s2, 0x7f
	v_fma_f32 v7, -v3, v5, 1.0
	v_fmac_f32_e32 v5, v7, v5
	v_mul_f32_e32 v7, v6, v5
	v_fma_f32 v8, -v3, v7, v6
	v_fmac_f32_e32 v7, v8, v5
	v_fma_f32 v3, -v3, v7, v6
	v_div_fmas_f32 v3, v3, v5, v7
	v_xad_u32 v5, v0, -1, s12
	v_div_fixup_f32 v2, v3, v2, 1.0
	v_cmp_lt_u32_e32 vcc, s2, v5
	s_mov_b64 s[8:9], -1
	v_mov_b32_e32 v3, v0
	s_and_saveexec_b64 s[2:3], vcc
	s_cbranch_execz .LBB159_34
; %bb.26:
	v_lshrrev_b32_e32 v5, 7, v5
	v_add_u32_e32 v7, -1, v5
	v_lshrrev_b32_e32 v6, 1, v7
	v_mov_b32_e32 v3, v2
	v_add_u32_e32 v6, 1, v6
	v_cmp_lt_u32_e32 vcc, 13, v7
	v_mov_b32_e32 v9, 0
	s_and_saveexec_b64 s[8:9], vcc
	s_cbranch_execz .LBB159_30
; %bb.27:
	v_mov_b32_e32 v8, 0x100
	v_and_b32_e32 v7, -8, v6
	v_lshl_add_u32 v8, v0, 2, v8
	s_mov_b32 s15, 0
	s_mov_b64 s[26:27], 0
.LBB159_28:                             ; =>This Inner Loop Header: Depth=1
	ds_read2st64_b32 v[10:11], v8 offset1:2
	ds_read2st64_b32 v[12:13], v8 offset0:4 offset1:6
	ds_read2st64_b32 v[14:15], v8 offset0:8 offset1:10
	;; [unrolled: 1-line block ×3, first 2 shown]
	v_add_u32_e32 v7, -8, v7
	s_waitcnt lgkmcnt(3)
	v_pk_mul_f32 v[10:11], v[2:3], v[10:11]
	s_waitcnt lgkmcnt(2)
	v_pk_mul_f32 v[12:13], v[2:3], v[12:13]
	ds_write2st64_b32 v8, v10, v11 offset1:2
	ds_write2st64_b32 v8, v12, v13 offset0:4 offset1:6
	ds_read2st64_b32 v[12:13], v8 offset0:16 offset1:18
	s_waitcnt lgkmcnt(4)
	v_pk_mul_f32 v[10:11], v[2:3], v[14:15]
	ds_write2st64_b32 v8, v10, v11 offset0:8 offset1:10
	s_waitcnt lgkmcnt(4)
	v_pk_mul_f32 v[10:11], v[2:3], v[16:17]
	ds_write2st64_b32 v8, v10, v11 offset0:12 offset1:14
	ds_read2st64_b32 v[10:11], v8 offset0:20 offset1:22
	s_waitcnt lgkmcnt(3)
	v_pk_mul_f32 v[12:13], v[2:3], v[12:13]
	ds_read2st64_b32 v[14:15], v8 offset0:24 offset1:26
	ds_write2st64_b32 v8, v12, v13 offset0:16 offset1:18
	ds_read2st64_b32 v[12:13], v8 offset0:28 offset1:30
	s_waitcnt lgkmcnt(3)
	v_pk_mul_f32 v[10:11], v[2:3], v[10:11]
	ds_write2st64_b32 v8, v10, v11 offset0:20 offset1:22
	s_waitcnt lgkmcnt(3)
	v_pk_mul_f32 v[10:11], v[2:3], v[14:15]
	ds_write2st64_b32 v8, v10, v11 offset0:24 offset1:26
	s_waitcnt lgkmcnt(2)
	v_pk_mul_f32 v[10:11], v[2:3], v[12:13]
	s_add_i32 s15, s15, 16
	v_cmp_eq_u32_e32 vcc, 0, v7
	ds_write2st64_b32 v8, v10, v11 offset0:28 offset1:30
	v_add_u32_e32 v8, 0x2000, v8
	s_or_b64 s[26:27], vcc, s[26:27]
	v_mov_b32_e32 v9, s15
	s_andn2_b64 exec, exec, s[26:27]
	s_cbranch_execnz .LBB159_28
; %bb.29:
	s_or_b64 exec, exec, s[26:27]
.LBB159_30:
	s_or_b64 exec, exec, s[8:9]
	v_and_b32_e32 v6, 7, v6
	v_cmp_ne_u32_e32 vcc, 0, v6
	s_and_saveexec_b64 s[8:9], vcc
	s_cbranch_execz .LBB159_33
; %bb.31:
	v_lshlrev_b32_e32 v7, 9, v9
	v_lshlrev_b32_e32 v8, 2, v0
	s_movk_i32 s15, 0x100
	v_add3_u32 v7, v7, v8, s15
	s_mov_b64 s[26:27], 0
.LBB159_32:                             ; =>This Inner Loop Header: Depth=1
	ds_read2st64_b32 v[8:9], v7 offset1:2
	v_add_u32_e32 v6, -1, v6
	v_cmp_eq_u32_e32 vcc, 0, v6
	s_or_b64 s[26:27], vcc, s[26:27]
	s_waitcnt lgkmcnt(0)
	v_pk_mul_f32 v[8:9], v[2:3], v[8:9]
	ds_write2st64_b32 v7, v8, v9 offset1:2
	v_add_u32_e32 v7, 0x400, v7
	s_andn2_b64 exec, exec, s[26:27]
	s_cbranch_execnz .LBB159_32
.LBB159_33:
	s_or_b64 exec, exec, s[8:9]
	v_add_u32_e32 v5, 1, v5
	v_and_b32_e32 v6, 0x3fffffe, v5
	v_cmp_ne_u32_e32 vcc, v5, v6
	v_lshl_add_u32 v3, v6, 7, v0
	s_orn2_b64 s[8:9], vcc, exec
.LBB159_34:
	s_or_b64 exec, exec, s[2:3]
	s_and_b64 exec, exec, s[8:9]
	s_cbranch_execz .LBB159_37
; %bb.35:
	v_mov_b32_e32 v5, 0x100
	v_lshl_add_u32 v5, v3, 2, v5
	s_mov_b64 s[2:3], 0
.LBB159_36:                             ; =>This Inner Loop Header: Depth=1
	ds_read_b32 v6, v5
	v_add_u32_e32 v3, 0x80, v3
	v_cmp_le_i32_e32 vcc, s12, v3
	s_or_b64 s[2:3], vcc, s[2:3]
	s_waitcnt lgkmcnt(0)
	v_mul_f32_e32 v6, v2, v6
	ds_write_b32 v5, v6
	v_add_u32_e32 v5, 0x200, v5
	s_andn2_b64 exec, exec, s[2:3]
	s_cbranch_execnz .LBB159_36
.LBB159_37:
	s_or_b64 exec, exec, s[0:1]
	v_mov_b32_e32 v11, 0
	v_lshrrev_b32_e32 v33, 2, v4
	v_and_b32_e32 v32, 3, v0
	v_mov_b32_e32 v10, 0
	v_mov_b32_e32 v13, 0
	;; [unrolled: 1-line block ×7, first 2 shown]
	s_waitcnt lgkmcnt(0)
	s_barrier
	s_and_saveexec_b64 s[8:9], s[6:7]
	s_cbranch_execz .LBB159_347
; %bb.38:
	s_ashr_i32 s15, s14, 31
	s_lshl_b64 s[0:1], s[14:15], 1
	v_and_b32_e32 v3, 24, v28
	s_add_u32 s6, s24, s0
	v_or_b32_e32 v5, 0x70, v33
	s_movk_i32 s0, 0x78
	s_addc_u32 s7, s25, s1
	s_add_i32 s24, s17, -1
	v_cmp_gt_u32_e32 vcc, s0, v5
	v_lshl_or_b32 v10, v5, 5, v3
	v_lshlrev_b32_e32 v5, 5, v1
	s_lshl_b64 s[0:1], s[22:23], 2
	v_lshl_or_b32 v2, v33, 5, v3
	v_or3_b32 v34, v5, v3, 7
	v_lshlrev_b32_e32 v3, 5, v32
	s_add_u32 s0, s20, s0
	v_mov_b32_e32 v19, 0
	v_or_b32_e32 v4, 0x800, v2
	v_or_b32_e32 v6, 0xa00, v2
	;; [unrolled: 1-line block ×3, first 2 shown]
	v_lshl_or_b32 v3, v1, 7, v3
	v_and_b32_e32 v18, 60, v29
	s_addc_u32 s1, s21, s1
	s_mov_b32 s26, s13
	v_add_u32_e32 v35, 0x100, v3
	v_lshl_add_u64 v[20:21], s[0:1], 0, v[18:19]
	s_mov_b64 s[12:13], 0
	s_mov_b32 s20, 0x7f800000
	s_movk_i32 s21, 0x7fff
	v_lshlrev_b32_e32 v18, 1, v2
	v_lshlrev_b32_e32 v22, 1, v4
	;; [unrolled: 1-line block ×5, first 2 shown]
	v_mov_b32_e32 v16, v19
	v_mov_b32_e32 v17, v19
	v_mov_b32_e32 v14, v19
	v_mov_b32_e32 v15, v19
	v_mov_b32_e32 v12, v19
	v_mov_b32_e32 v13, v19
	v_mov_b32_e32 v10, v19
	v_mov_b32_e32 v11, v19
	s_branch .LBB159_41
.LBB159_39:                             ;   in Loop: Header=BB159_41 Depth=1
	s_or_b64 exec, exec, s[14:15]
	v_and_b32_e32 v47, 0xffff0000, v45
	v_and_b32_e32 v45, 0xffff0000, v44
	;; [unrolled: 1-line block ×8, first 2 shown]
	v_pk_add_f32 v[2:3], v[2:3], v[44:45]
	v_pk_add_f32 v[4:5], v[4:5], v[46:47]
	v_add_f32_e32 v2, v2, v3
	v_add_f32_e32 v2, v2, v4
	;; [unrolled: 1-line block ×4, first 2 shown]
.LBB159_40:                             ;   in Loop: Header=BB159_41 Depth=1
	s_or_b64 exec, exec, s[2:3]
	v_and_b32_e32 v7, 0xffff0000, v39
	v_and_b32_e32 v6, 0xffff0000, v37
	;; [unrolled: 1-line block ×8, first 2 shown]
	v_pk_add_f32 v[6:7], v[36:37], v[6:7]
	v_pk_add_f32 v[2:3], v[4:5], v[2:3]
	v_add_f32_e32 v4, v6, v7
	v_add_f32_e32 v2, v4, v2
	v_add_f32_e32 v2, v2, v3
	v_and_b32_e32 v7, 0xffff0000, v56
	v_and_b32_e32 v6, 0xffff0000, v54
	v_and_b32_e32 v37, 0xffff0000, v55
	v_and_b32_e32 v36, 0xffff0000, v53
	v_add_f32_e32 v16, v16, v2
	v_and_b32_e32 v3, 0xffff0000, v60
	v_and_b32_e32 v2, 0xffff0000, v58
	v_and_b32_e32 v5, 0xffff0000, v59
	v_and_b32_e32 v4, 0xffff0000, v57
	v_pk_add_f32 v[6:7], v[36:37], v[6:7]
	v_pk_add_f32 v[2:3], v[4:5], v[2:3]
	v_add_f32_e32 v4, v6, v7
	v_add_f32_e32 v2, v4, v2
	v_add_f32_e32 v2, v2, v3
	v_and_b32_e32 v7, 0xffff0000, v64
	v_and_b32_e32 v6, 0xffff0000, v62
	v_and_b32_e32 v37, 0xffff0000, v63
	v_and_b32_e32 v36, 0xffff0000, v61
	v_add_f32_e32 v17, v17, v2
	v_and_b32_e32 v3, 0xffff0000, v68
	v_and_b32_e32 v2, 0xffff0000, v66
	v_and_b32_e32 v5, 0xffff0000, v67
	v_and_b32_e32 v4, 0xffff0000, v65
	v_pk_add_f32 v[6:7], v[36:37], v[6:7]
	v_pk_add_f32 v[2:3], v[4:5], v[2:3]
	v_add_f32_e32 v4, v6, v7
	v_add_f32_e32 v2, v4, v2
	v_add_f32_e32 v2, v2, v3
	v_and_b32_e32 v7, 0xffff0000, v70
	v_and_b32_e32 v6, 0xffff0000, v9
	v_and_b32_e32 v9, 0xffff0000, v69
	v_and_b32_e32 v8, 0xffff0000, v8
	v_add_f32_e32 v14, v14, v2
	v_and_b32_e32 v3, 0xffff0000, v74
	v_and_b32_e32 v2, 0xffff0000, v72
	v_and_b32_e32 v5, 0xffff0000, v73
	v_and_b32_e32 v4, 0xffff0000, v71
	v_pk_add_f32 v[6:7], v[8:9], v[6:7]
	v_pk_add_f32 v[2:3], v[4:5], v[2:3]
	v_add_f32_e32 v4, v6, v7
	v_add_f32_e32 v2, v4, v2
	v_add_f32_e32 v2, v2, v3
	v_and_b32_e32 v7, 0xffff0000, v77
	v_and_b32_e32 v6, 0xffff0000, v75
	v_and_b32_e32 v9, 0xffff0000, v76
	v_and_b32_e32 v8, 0xffff0000, v23
	v_add_f32_e32 v15, v15, v2
	v_and_b32_e32 v3, 0xffff0000, v81
	v_and_b32_e32 v2, 0xffff0000, v79
	v_and_b32_e32 v5, 0xffff0000, v80
	v_and_b32_e32 v4, 0xffff0000, v78
	v_pk_add_f32 v[6:7], v[8:9], v[6:7]
	v_pk_add_f32 v[2:3], v[4:5], v[2:3]
	v_add_f32_e32 v4, v6, v7
	v_add_f32_e32 v2, v4, v2
	v_add_f32_e32 v2, v2, v3
	v_and_b32_e32 v7, 0xffff0000, v84
	v_and_b32_e32 v6, 0xffff0000, v82
	v_and_b32_e32 v9, 0xffff0000, v83
	v_and_b32_e32 v8, 0xffff0000, v25
	v_add_f32_e32 v12, v12, v2
	v_and_b32_e32 v3, 0xffff0000, v88
	v_and_b32_e32 v2, 0xffff0000, v86
	v_and_b32_e32 v5, 0xffff0000, v87
	v_and_b32_e32 v4, 0xffff0000, v85
	v_pk_add_f32 v[6:7], v[8:9], v[6:7]
	v_pk_add_f32 v[2:3], v[4:5], v[2:3]
	v_add_f32_e32 v4, v6, v7
	v_add_f32_e32 v2, v4, v2
	v_add_f32_e32 v2, v2, v3
	v_and_b32_e32 v7, 0xffff0000, v91
	v_and_b32_e32 v6, 0xffff0000, v89
	v_and_b32_e32 v9, 0xffff0000, v90
	v_and_b32_e32 v8, 0xffff0000, v27
	v_add_f32_e32 v13, v13, v2
	v_and_b32_e32 v3, 0xffff0000, v95
	v_and_b32_e32 v2, 0xffff0000, v93
	v_and_b32_e32 v5, 0xffff0000, v94
	v_and_b32_e32 v4, 0xffff0000, v92
	v_pk_add_f32 v[6:7], v[8:9], v[6:7]
	v_pk_add_f32 v[2:3], v[4:5], v[2:3]
	v_add_f32_e32 v4, v6, v7
	v_add_f32_e32 v2, v4, v2
	v_add_u32_e32 v1, 2, v1
	v_add_f32_e32 v2, v2, v3
	v_cmp_le_i32_e64 s[0:1], s17, v1
	v_add_f32_e32 v10, v10, v2
	v_add_u32_e32 v34, 64, v34
	v_add_u32_e32 v35, 0x100, v35
	s_or_b64 s[12:13], s[0:1], s[12:13]
	v_lshl_add_u64 v[20:21], v[20:21], 0, 8
	s_andn2_b64 exec, exec, s[12:13]
	s_cbranch_execz .LBB159_346
.LBB159_41:                             ; =>This Inner Loop Header: Depth=1
	global_load_dword v40, v[20:21], off
	ds_read2_b64 v[6:9], v35 offset1:1
	ds_read2_b64 v[2:5], v35 offset0:2 offset1:3
                                        ; implicit-def: $vgpr36
	s_waitcnt lgkmcnt(1)
	v_and_b32_e32 v23, 0x7f800000, v6
	v_cmp_ne_u32_e64 s[0:1], s20, v23
	s_and_saveexec_b64 s[2:3], s[0:1]
	s_xor_b64 s[0:1], exec, s[2:3]
; %bb.42:                               ;   in Loop: Header=BB159_41 Depth=1
	v_bfe_u32 v23, v6, 16, 1
	v_add3_u32 v36, v6, v23, s21
; %bb.43:                               ;   in Loop: Header=BB159_41 Depth=1
	s_andn2_saveexec_b64 s[2:3], s[0:1]
; %bb.44:                               ;   in Loop: Header=BB159_41 Depth=1
	v_or_b32_e32 v23, 0x10000, v6
	v_cmp_eq_u32_sdwa s[0:1], v6, v19 src0_sel:WORD_0 src1_sel:DWORD
	s_nop 1
	v_cndmask_b32_e64 v36, v23, v6, s[0:1]
; %bb.45:                               ;   in Loop: Header=BB159_41 Depth=1
	s_or_b64 exec, exec, s[2:3]
	v_and_b32_e32 v6, 0x7f800000, v7
	v_cmp_ne_u32_e64 s[0:1], s20, v6
                                        ; implicit-def: $vgpr37
	s_and_saveexec_b64 s[2:3], s[0:1]
	s_xor_b64 s[0:1], exec, s[2:3]
; %bb.46:                               ;   in Loop: Header=BB159_41 Depth=1
	v_bfe_u32 v6, v7, 16, 1
	v_add3_u32 v37, v7, v6, s21
; %bb.47:                               ;   in Loop: Header=BB159_41 Depth=1
	s_andn2_saveexec_b64 s[2:3], s[0:1]
; %bb.48:                               ;   in Loop: Header=BB159_41 Depth=1
	v_or_b32_e32 v6, 0x10000, v7
	v_cmp_eq_u32_sdwa s[0:1], v7, v19 src0_sel:WORD_0 src1_sel:DWORD
	s_nop 1
	v_cndmask_b32_e64 v37, v6, v7, s[0:1]
; %bb.49:                               ;   in Loop: Header=BB159_41 Depth=1
	s_or_b64 exec, exec, s[2:3]
	v_and_b32_e32 v6, 0x7f800000, v8
	v_cmp_ne_u32_e64 s[0:1], s20, v6
                                        ; implicit-def: $vgpr38
	s_and_saveexec_b64 s[2:3], s[0:1]
	s_xor_b64 s[0:1], exec, s[2:3]
; %bb.50:                               ;   in Loop: Header=BB159_41 Depth=1
	v_bfe_u32 v6, v8, 16, 1
	v_add3_u32 v38, v8, v6, s21
; %bb.51:                               ;   in Loop: Header=BB159_41 Depth=1
	s_andn2_saveexec_b64 s[2:3], s[0:1]
; %bb.52:                               ;   in Loop: Header=BB159_41 Depth=1
	v_or_b32_e32 v6, 0x10000, v8
	v_cmp_eq_u32_sdwa s[0:1], v8, v19 src0_sel:WORD_0 src1_sel:DWORD
	s_nop 1
	v_cndmask_b32_e64 v38, v6, v8, s[0:1]
; %bb.53:                               ;   in Loop: Header=BB159_41 Depth=1
	s_or_b64 exec, exec, s[2:3]
	v_and_b32_e32 v6, 0x7f800000, v9
	v_cmp_ne_u32_e64 s[0:1], s20, v6
                                        ; implicit-def: $vgpr39
	s_and_saveexec_b64 s[2:3], s[0:1]
	s_xor_b64 s[0:1], exec, s[2:3]
; %bb.54:                               ;   in Loop: Header=BB159_41 Depth=1
	v_bfe_u32 v6, v9, 16, 1
	v_add3_u32 v39, v9, v6, s21
                                        ; implicit-def: $vgpr6_vgpr7_vgpr8_vgpr9
; %bb.55:                               ;   in Loop: Header=BB159_41 Depth=1
	s_andn2_saveexec_b64 s[2:3], s[0:1]
; %bb.56:                               ;   in Loop: Header=BB159_41 Depth=1
	v_or_b32_e32 v6, 0x10000, v9
	v_cmp_eq_u32_sdwa s[0:1], v9, v19 src0_sel:WORD_0 src1_sel:DWORD
	s_nop 1
	v_cndmask_b32_e64 v39, v6, v9, s[0:1]
; %bb.57:                               ;   in Loop: Header=BB159_41 Depth=1
	s_or_b64 exec, exec, s[2:3]
	s_waitcnt lgkmcnt(0)
	v_and_b32_e32 v6, 0x7f800000, v2
	v_cmp_ne_u32_e64 s[0:1], s20, v6
                                        ; implicit-def: $vgpr29
	s_and_saveexec_b64 s[2:3], s[0:1]
	s_xor_b64 s[0:1], exec, s[2:3]
; %bb.58:                               ;   in Loop: Header=BB159_41 Depth=1
	v_bfe_u32 v6, v2, 16, 1
	v_add3_u32 v29, v2, v6, s21
; %bb.59:                               ;   in Loop: Header=BB159_41 Depth=1
	s_andn2_saveexec_b64 s[2:3], s[0:1]
; %bb.60:                               ;   in Loop: Header=BB159_41 Depth=1
	v_or_b32_e32 v6, 0x10000, v2
	v_cmp_eq_u32_sdwa s[0:1], v2, v19 src0_sel:WORD_0 src1_sel:DWORD
	s_nop 1
	v_cndmask_b32_e64 v29, v6, v2, s[0:1]
; %bb.61:                               ;   in Loop: Header=BB159_41 Depth=1
	s_or_b64 exec, exec, s[2:3]
	v_and_b32_e32 v2, 0x7f800000, v3
	v_cmp_ne_u32_e64 s[0:1], s20, v2
                                        ; implicit-def: $vgpr27
	s_and_saveexec_b64 s[2:3], s[0:1]
	s_xor_b64 s[0:1], exec, s[2:3]
; %bb.62:                               ;   in Loop: Header=BB159_41 Depth=1
	v_bfe_u32 v2, v3, 16, 1
	v_add3_u32 v27, v3, v2, s21
; %bb.63:                               ;   in Loop: Header=BB159_41 Depth=1
	s_andn2_saveexec_b64 s[2:3], s[0:1]
; %bb.64:                               ;   in Loop: Header=BB159_41 Depth=1
	v_or_b32_e32 v2, 0x10000, v3
	v_cmp_eq_u32_sdwa s[0:1], v3, v19 src0_sel:WORD_0 src1_sel:DWORD
	s_nop 1
	v_cndmask_b32_e64 v27, v2, v3, s[0:1]
; %bb.65:                               ;   in Loop: Header=BB159_41 Depth=1
	s_or_b64 exec, exec, s[2:3]
	v_and_b32_e32 v2, 0x7f800000, v4
	v_cmp_ne_u32_e64 s[0:1], s20, v2
                                        ; implicit-def: $vgpr25
	s_and_saveexec_b64 s[2:3], s[0:1]
	s_xor_b64 s[0:1], exec, s[2:3]
; %bb.66:                               ;   in Loop: Header=BB159_41 Depth=1
	v_bfe_u32 v2, v4, 16, 1
	v_add3_u32 v25, v4, v2, s21
; %bb.67:                               ;   in Loop: Header=BB159_41 Depth=1
	s_andn2_saveexec_b64 s[2:3], s[0:1]
; %bb.68:                               ;   in Loop: Header=BB159_41 Depth=1
	v_or_b32_e32 v2, 0x10000, v4
	v_cmp_eq_u32_sdwa s[0:1], v4, v19 src0_sel:WORD_0 src1_sel:DWORD
	s_nop 1
	v_cndmask_b32_e64 v25, v2, v4, s[0:1]
; %bb.69:                               ;   in Loop: Header=BB159_41 Depth=1
	s_or_b64 exec, exec, s[2:3]
	v_and_b32_e32 v2, 0x7f800000, v5
	v_cmp_ne_u32_e64 s[0:1], s20, v2
                                        ; implicit-def: $vgpr23
	s_and_saveexec_b64 s[2:3], s[0:1]
	s_xor_b64 s[0:1], exec, s[2:3]
; %bb.70:                               ;   in Loop: Header=BB159_41 Depth=1
	v_bfe_u32 v2, v5, 16, 1
	v_add3_u32 v23, v5, v2, s21
                                        ; implicit-def: $vgpr2_vgpr3_vgpr4_vgpr5
; %bb.71:                               ;   in Loop: Header=BB159_41 Depth=1
	s_andn2_saveexec_b64 s[2:3], s[0:1]
; %bb.72:                               ;   in Loop: Header=BB159_41 Depth=1
	v_or_b32_e32 v2, 0x10000, v5
	v_cmp_eq_u32_sdwa s[0:1], v5, v19 src0_sel:WORD_0 src1_sel:DWORD
	s_nop 1
	v_cndmask_b32_e64 v23, v2, v5, s[0:1]
; %bb.73:                               ;   in Loop: Header=BB159_41 Depth=1
	s_or_b64 exec, exec, s[2:3]
	s_waitcnt vmcnt(0)
	v_mad_i64_i32 v[2:3], s[0:1], v40, s26, 0
	v_lshl_add_u64 v[6:7], v[2:3], 1, s[6:7]
	v_lshl_add_u64 v[8:9], v[6:7], 0, v[18:19]
	global_load_dwordx4 v[2:5], v[8:9], off
	v_add_u32_e32 v44, -7, v34
	v_cmp_eq_u32_e64 s[0:1], s24, v1
	s_waitcnt vmcnt(0)
	v_lshrrev_b32_e32 v42, 16, v2
	v_lshrrev_b32_e32 v40, 16, v3
	;; [unrolled: 1-line block ×4, first 2 shown]
	s_and_saveexec_b64 s[14:15], s[0:1]
	s_cbranch_execz .LBB159_75
; %bb.74:                               ;   in Loop: Header=BB159_41 Depth=1
	v_cmp_gt_i32_e64 s[2:3], s33, v44
	v_add_u32_e32 v45, -6, v34
	s_nop 0
	v_cndmask_b32_e64 v2, 0, v2, s[2:3]
	v_cmp_gt_i32_e64 s[2:3], s33, v45
	v_add_u32_e32 v45, -5, v34
	s_nop 0
	v_cndmask_b32_e64 v42, 0, v42, s[2:3]
	;; [unrolled: 4-line block ×6, first 2 shown]
	v_cmp_gt_i32_e64 s[2:3], s33, v45
	s_nop 1
	v_cndmask_b32_e64 v5, 0, v5, s[2:3]
	v_cmp_gt_i32_e64 s[2:3], s33, v34
	s_nop 1
	v_cndmask_b32_e64 v43, 0, v43, s[2:3]
.LBB159_75:                             ;   in Loop: Header=BB159_41 Depth=1
	s_or_b64 exec, exec, s[14:15]
	v_and_b32_e32 v45, 0xffff0000, v36
	v_lshlrev_b32_e32 v2, 16, v2
	v_mul_f32_e32 v2, v45, v2
	v_and_b32_e32 v36, 0x7f800000, v2
	v_cmp_ne_u32_e64 s[2:3], s20, v36
                                        ; implicit-def: $vgpr36
	s_and_saveexec_b64 s[14:15], s[2:3]
	s_xor_b64 s[2:3], exec, s[14:15]
; %bb.76:                               ;   in Loop: Header=BB159_41 Depth=1
	v_bfe_u32 v36, v2, 16, 1
	v_add3_u32 v36, v2, v36, s21
                                        ; implicit-def: $vgpr2
; %bb.77:                               ;   in Loop: Header=BB159_41 Depth=1
	s_andn2_saveexec_b64 s[14:15], s[2:3]
; %bb.78:                               ;   in Loop: Header=BB159_41 Depth=1
	v_or_b32_e32 v36, 0x10000, v2
	v_cmp_eq_u32_sdwa s[2:3], v2, v19 src0_sel:WORD_0 src1_sel:DWORD
	s_nop 1
	v_cndmask_b32_e64 v36, v36, v2, s[2:3]
; %bb.79:                               ;   in Loop: Header=BB159_41 Depth=1
	s_or_b64 exec, exec, s[14:15]
	v_and_b32_e32 v46, 0xffff0000, v37
	v_lshlrev_b32_e32 v2, 16, v42
	v_mul_f32_e32 v2, v46, v2
	v_and_b32_e32 v37, 0x7f800000, v2
	v_cmp_ne_u32_e64 s[2:3], s20, v37
                                        ; implicit-def: $vgpr37
	s_and_saveexec_b64 s[14:15], s[2:3]
	s_xor_b64 s[2:3], exec, s[14:15]
; %bb.80:                               ;   in Loop: Header=BB159_41 Depth=1
	v_bfe_u32 v37, v2, 16, 1
	v_add3_u32 v37, v2, v37, s21
                                        ; implicit-def: $vgpr2
; %bb.81:                               ;   in Loop: Header=BB159_41 Depth=1
	s_andn2_saveexec_b64 s[14:15], s[2:3]
; %bb.82:                               ;   in Loop: Header=BB159_41 Depth=1
	v_or_b32_e32 v37, 0x10000, v2
	v_cmp_eq_u32_sdwa s[2:3], v2, v19 src0_sel:WORD_0 src1_sel:DWORD
	s_nop 1
	v_cndmask_b32_e64 v37, v37, v2, s[2:3]
; %bb.83:                               ;   in Loop: Header=BB159_41 Depth=1
	s_or_b64 exec, exec, s[14:15]
	v_and_b32_e32 v47, 0xffff0000, v38
	v_lshlrev_b32_e32 v2, 16, v3
	v_mul_f32_e32 v2, v47, v2
	v_and_b32_e32 v3, 0x7f800000, v2
	v_cmp_ne_u32_e64 s[2:3], s20, v3
                                        ; implicit-def: $vgpr38
	s_and_saveexec_b64 s[14:15], s[2:3]
	s_xor_b64 s[2:3], exec, s[14:15]
; %bb.84:                               ;   in Loop: Header=BB159_41 Depth=1
	v_bfe_u32 v3, v2, 16, 1
	v_add3_u32 v38, v2, v3, s21
                                        ; implicit-def: $vgpr2
; %bb.85:                               ;   in Loop: Header=BB159_41 Depth=1
	s_andn2_saveexec_b64 s[14:15], s[2:3]
; %bb.86:                               ;   in Loop: Header=BB159_41 Depth=1
	v_or_b32_e32 v3, 0x10000, v2
	v_cmp_eq_u32_sdwa s[2:3], v2, v19 src0_sel:WORD_0 src1_sel:DWORD
	s_nop 1
	v_cndmask_b32_e64 v38, v3, v2, s[2:3]
; %bb.87:                               ;   in Loop: Header=BB159_41 Depth=1
	s_or_b64 exec, exec, s[14:15]
	v_and_b32_e32 v48, 0xffff0000, v39
	v_lshlrev_b32_e32 v2, 16, v40
	v_mul_f32_e32 v2, v48, v2
	v_and_b32_e32 v3, 0x7f800000, v2
	v_cmp_ne_u32_e64 s[2:3], s20, v3
                                        ; implicit-def: $vgpr39
	s_and_saveexec_b64 s[14:15], s[2:3]
	s_xor_b64 s[2:3], exec, s[14:15]
; %bb.88:                               ;   in Loop: Header=BB159_41 Depth=1
	v_bfe_u32 v3, v2, 16, 1
	v_add3_u32 v39, v2, v3, s21
                                        ; implicit-def: $vgpr2
; %bb.89:                               ;   in Loop: Header=BB159_41 Depth=1
	s_andn2_saveexec_b64 s[14:15], s[2:3]
; %bb.90:                               ;   in Loop: Header=BB159_41 Depth=1
	v_or_b32_e32 v3, 0x10000, v2
	v_cmp_eq_u32_sdwa s[2:3], v2, v19 src0_sel:WORD_0 src1_sel:DWORD
	s_nop 1
	v_cndmask_b32_e64 v39, v3, v2, s[2:3]
; %bb.91:                               ;   in Loop: Header=BB159_41 Depth=1
	s_or_b64 exec, exec, s[14:15]
	v_and_b32_e32 v49, 0xffff0000, v29
	v_lshlrev_b32_e32 v2, 16, v4
	v_mul_f32_e32 v2, v49, v2
	v_and_b32_e32 v3, 0x7f800000, v2
	v_cmp_ne_u32_e64 s[2:3], s20, v3
                                        ; implicit-def: $vgpr40
	s_and_saveexec_b64 s[14:15], s[2:3]
	s_xor_b64 s[2:3], exec, s[14:15]
; %bb.92:                               ;   in Loop: Header=BB159_41 Depth=1
	v_bfe_u32 v3, v2, 16, 1
	v_add3_u32 v40, v2, v3, s21
                                        ; implicit-def: $vgpr2
; %bb.93:                               ;   in Loop: Header=BB159_41 Depth=1
	s_andn2_saveexec_b64 s[14:15], s[2:3]
; %bb.94:                               ;   in Loop: Header=BB159_41 Depth=1
	v_or_b32_e32 v3, 0x10000, v2
	v_cmp_eq_u32_sdwa s[2:3], v2, v19 src0_sel:WORD_0 src1_sel:DWORD
	s_nop 1
	v_cndmask_b32_e64 v40, v3, v2, s[2:3]
; %bb.95:                               ;   in Loop: Header=BB159_41 Depth=1
	s_or_b64 exec, exec, s[14:15]
	v_and_b32_e32 v50, 0xffff0000, v27
	v_lshlrev_b32_e32 v2, 16, v41
	v_mul_f32_e32 v2, v50, v2
	v_and_b32_e32 v3, 0x7f800000, v2
	v_cmp_ne_u32_e64 s[2:3], s20, v3
                                        ; implicit-def: $vgpr41
	s_and_saveexec_b64 s[14:15], s[2:3]
	s_xor_b64 s[2:3], exec, s[14:15]
; %bb.96:                               ;   in Loop: Header=BB159_41 Depth=1
	v_bfe_u32 v3, v2, 16, 1
	v_add3_u32 v41, v2, v3, s21
                                        ; implicit-def: $vgpr2
; %bb.97:                               ;   in Loop: Header=BB159_41 Depth=1
	s_andn2_saveexec_b64 s[14:15], s[2:3]
; %bb.98:                               ;   in Loop: Header=BB159_41 Depth=1
	v_or_b32_e32 v3, 0x10000, v2
	v_cmp_eq_u32_sdwa s[2:3], v2, v19 src0_sel:WORD_0 src1_sel:DWORD
	s_nop 1
	v_cndmask_b32_e64 v41, v3, v2, s[2:3]
; %bb.99:                               ;   in Loop: Header=BB159_41 Depth=1
	s_or_b64 exec, exec, s[14:15]
	v_and_b32_e32 v51, 0xffff0000, v25
	v_lshlrev_b32_e32 v2, 16, v5
	v_mul_f32_e32 v2, v51, v2
	v_and_b32_e32 v3, 0x7f800000, v2
	v_cmp_ne_u32_e64 s[2:3], s20, v3
                                        ; implicit-def: $vgpr42
	s_and_saveexec_b64 s[14:15], s[2:3]
	s_xor_b64 s[2:3], exec, s[14:15]
; %bb.100:                              ;   in Loop: Header=BB159_41 Depth=1
	v_bfe_u32 v3, v2, 16, 1
	v_add3_u32 v42, v2, v3, s21
                                        ; implicit-def: $vgpr2
; %bb.101:                              ;   in Loop: Header=BB159_41 Depth=1
	s_andn2_saveexec_b64 s[14:15], s[2:3]
; %bb.102:                              ;   in Loop: Header=BB159_41 Depth=1
	v_or_b32_e32 v3, 0x10000, v2
	v_cmp_eq_u32_sdwa s[2:3], v2, v19 src0_sel:WORD_0 src1_sel:DWORD
	s_nop 1
	v_cndmask_b32_e64 v42, v3, v2, s[2:3]
; %bb.103:                              ;   in Loop: Header=BB159_41 Depth=1
	s_or_b64 exec, exec, s[14:15]
	v_and_b32_e32 v52, 0xffff0000, v23
	v_lshlrev_b32_e32 v2, 16, v43
	v_mul_f32_e32 v2, v52, v2
	v_and_b32_e32 v3, 0x7f800000, v2
	v_cmp_ne_u32_e64 s[2:3], s20, v3
                                        ; implicit-def: $vgpr43
	s_and_saveexec_b64 s[14:15], s[2:3]
	s_xor_b64 s[2:3], exec, s[14:15]
; %bb.104:                              ;   in Loop: Header=BB159_41 Depth=1
	v_bfe_u32 v3, v2, 16, 1
	v_add3_u32 v43, v2, v3, s21
                                        ; implicit-def: $vgpr2
; %bb.105:                              ;   in Loop: Header=BB159_41 Depth=1
	s_andn2_saveexec_b64 s[14:15], s[2:3]
; %bb.106:                              ;   in Loop: Header=BB159_41 Depth=1
	v_or_b32_e32 v3, 0x10000, v2
	v_cmp_eq_u32_sdwa s[2:3], v2, v19 src0_sel:WORD_0 src1_sel:DWORD
	s_nop 1
	v_cndmask_b32_e64 v43, v3, v2, s[2:3]
; %bb.107:                              ;   in Loop: Header=BB159_41 Depth=1
	s_or_b64 exec, exec, s[14:15]
	global_load_dwordx4 v[2:5], v[8:9], off offset:1024
	s_waitcnt vmcnt(0)
	v_lshrrev_b32_e32 v29, 16, v2
	v_lshrrev_b32_e32 v27, 16, v3
	;; [unrolled: 1-line block ×4, first 2 shown]
	s_and_saveexec_b64 s[14:15], s[0:1]
	s_cbranch_execz .LBB159_109
; %bb.108:                              ;   in Loop: Header=BB159_41 Depth=1
	v_cmp_gt_i32_e64 s[2:3], s33, v44
	v_add_u32_e32 v53, -6, v34
	s_nop 0
	v_cndmask_b32_e64 v2, 0, v2, s[2:3]
	v_cmp_gt_i32_e64 s[2:3], s33, v53
	v_add_u32_e32 v53, -5, v34
	s_nop 0
	v_cndmask_b32_e64 v29, 0, v29, s[2:3]
	;; [unrolled: 4-line block ×6, first 2 shown]
	v_cmp_gt_i32_e64 s[2:3], s33, v53
	s_nop 1
	v_cndmask_b32_e64 v5, 0, v5, s[2:3]
	v_cmp_gt_i32_e64 s[2:3], s33, v34
	s_nop 1
	v_cndmask_b32_e64 v23, 0, v23, s[2:3]
.LBB159_109:                            ;   in Loop: Header=BB159_41 Depth=1
	s_or_b64 exec, exec, s[14:15]
	v_lshlrev_b32_e32 v2, 16, v2
	v_mul_f32_e32 v2, v45, v2
	v_and_b32_e32 v53, 0x7f800000, v2
	v_cmp_ne_u32_e64 s[2:3], s20, v53
                                        ; implicit-def: $vgpr53
	s_and_saveexec_b64 s[14:15], s[2:3]
	s_xor_b64 s[2:3], exec, s[14:15]
; %bb.110:                              ;   in Loop: Header=BB159_41 Depth=1
	v_bfe_u32 v53, v2, 16, 1
	v_add3_u32 v53, v2, v53, s21
                                        ; implicit-def: $vgpr2
; %bb.111:                              ;   in Loop: Header=BB159_41 Depth=1
	s_andn2_saveexec_b64 s[14:15], s[2:3]
; %bb.112:                              ;   in Loop: Header=BB159_41 Depth=1
	v_or_b32_e32 v53, 0x10000, v2
	v_cmp_eq_u32_sdwa s[2:3], v2, v19 src0_sel:WORD_0 src1_sel:DWORD
	s_nop 1
	v_cndmask_b32_e64 v53, v53, v2, s[2:3]
; %bb.113:                              ;   in Loop: Header=BB159_41 Depth=1
	s_or_b64 exec, exec, s[14:15]
	v_lshlrev_b32_e32 v2, 16, v29
	v_mul_f32_e32 v2, v46, v2
	v_and_b32_e32 v29, 0x7f800000, v2
	v_cmp_ne_u32_e64 s[2:3], s20, v29
                                        ; implicit-def: $vgpr54
	s_and_saveexec_b64 s[14:15], s[2:3]
	s_xor_b64 s[2:3], exec, s[14:15]
; %bb.114:                              ;   in Loop: Header=BB159_41 Depth=1
	v_bfe_u32 v29, v2, 16, 1
	v_add3_u32 v54, v2, v29, s21
                                        ; implicit-def: $vgpr2
; %bb.115:                              ;   in Loop: Header=BB159_41 Depth=1
	s_andn2_saveexec_b64 s[14:15], s[2:3]
; %bb.116:                              ;   in Loop: Header=BB159_41 Depth=1
	v_or_b32_e32 v29, 0x10000, v2
	v_cmp_eq_u32_sdwa s[2:3], v2, v19 src0_sel:WORD_0 src1_sel:DWORD
	s_nop 1
	v_cndmask_b32_e64 v54, v29, v2, s[2:3]
; %bb.117:                              ;   in Loop: Header=BB159_41 Depth=1
	s_or_b64 exec, exec, s[14:15]
	v_lshlrev_b32_e32 v2, 16, v3
	v_mul_f32_e32 v2, v47, v2
	v_and_b32_e32 v3, 0x7f800000, v2
	v_cmp_ne_u32_e64 s[2:3], s20, v3
                                        ; implicit-def: $vgpr55
	s_and_saveexec_b64 s[14:15], s[2:3]
	s_xor_b64 s[2:3], exec, s[14:15]
; %bb.118:                              ;   in Loop: Header=BB159_41 Depth=1
	v_bfe_u32 v3, v2, 16, 1
	v_add3_u32 v55, v2, v3, s21
                                        ; implicit-def: $vgpr2
; %bb.119:                              ;   in Loop: Header=BB159_41 Depth=1
	s_andn2_saveexec_b64 s[14:15], s[2:3]
; %bb.120:                              ;   in Loop: Header=BB159_41 Depth=1
	v_or_b32_e32 v3, 0x10000, v2
	v_cmp_eq_u32_sdwa s[2:3], v2, v19 src0_sel:WORD_0 src1_sel:DWORD
	s_nop 1
	v_cndmask_b32_e64 v55, v3, v2, s[2:3]
; %bb.121:                              ;   in Loop: Header=BB159_41 Depth=1
	s_or_b64 exec, exec, s[14:15]
	v_lshlrev_b32_e32 v2, 16, v27
	v_mul_f32_e32 v2, v48, v2
	v_and_b32_e32 v3, 0x7f800000, v2
	v_cmp_ne_u32_e64 s[2:3], s20, v3
                                        ; implicit-def: $vgpr56
	s_and_saveexec_b64 s[14:15], s[2:3]
	s_xor_b64 s[2:3], exec, s[14:15]
; %bb.122:                              ;   in Loop: Header=BB159_41 Depth=1
	v_bfe_u32 v3, v2, 16, 1
	v_add3_u32 v56, v2, v3, s21
                                        ; implicit-def: $vgpr2
; %bb.123:                              ;   in Loop: Header=BB159_41 Depth=1
	s_andn2_saveexec_b64 s[14:15], s[2:3]
; %bb.124:                              ;   in Loop: Header=BB159_41 Depth=1
	v_or_b32_e32 v3, 0x10000, v2
	v_cmp_eq_u32_sdwa s[2:3], v2, v19 src0_sel:WORD_0 src1_sel:DWORD
	s_nop 1
	v_cndmask_b32_e64 v56, v3, v2, s[2:3]
; %bb.125:                              ;   in Loop: Header=BB159_41 Depth=1
	s_or_b64 exec, exec, s[14:15]
	v_lshlrev_b32_e32 v2, 16, v4
	v_mul_f32_e32 v2, v49, v2
	v_and_b32_e32 v3, 0x7f800000, v2
	v_cmp_ne_u32_e64 s[2:3], s20, v3
                                        ; implicit-def: $vgpr57
	s_and_saveexec_b64 s[14:15], s[2:3]
	s_xor_b64 s[2:3], exec, s[14:15]
; %bb.126:                              ;   in Loop: Header=BB159_41 Depth=1
	v_bfe_u32 v3, v2, 16, 1
	v_add3_u32 v57, v2, v3, s21
                                        ; implicit-def: $vgpr2
; %bb.127:                              ;   in Loop: Header=BB159_41 Depth=1
	s_andn2_saveexec_b64 s[14:15], s[2:3]
; %bb.128:                              ;   in Loop: Header=BB159_41 Depth=1
	v_or_b32_e32 v3, 0x10000, v2
	v_cmp_eq_u32_sdwa s[2:3], v2, v19 src0_sel:WORD_0 src1_sel:DWORD
	s_nop 1
	v_cndmask_b32_e64 v57, v3, v2, s[2:3]
; %bb.129:                              ;   in Loop: Header=BB159_41 Depth=1
	s_or_b64 exec, exec, s[14:15]
	v_lshlrev_b32_e32 v2, 16, v25
	v_mul_f32_e32 v2, v50, v2
	v_and_b32_e32 v3, 0x7f800000, v2
	v_cmp_ne_u32_e64 s[2:3], s20, v3
                                        ; implicit-def: $vgpr58
	s_and_saveexec_b64 s[14:15], s[2:3]
	s_xor_b64 s[2:3], exec, s[14:15]
; %bb.130:                              ;   in Loop: Header=BB159_41 Depth=1
	v_bfe_u32 v3, v2, 16, 1
	v_add3_u32 v58, v2, v3, s21
                                        ; implicit-def: $vgpr2
; %bb.131:                              ;   in Loop: Header=BB159_41 Depth=1
	s_andn2_saveexec_b64 s[14:15], s[2:3]
; %bb.132:                              ;   in Loop: Header=BB159_41 Depth=1
	v_or_b32_e32 v3, 0x10000, v2
	v_cmp_eq_u32_sdwa s[2:3], v2, v19 src0_sel:WORD_0 src1_sel:DWORD
	s_nop 1
	v_cndmask_b32_e64 v58, v3, v2, s[2:3]
; %bb.133:                              ;   in Loop: Header=BB159_41 Depth=1
	s_or_b64 exec, exec, s[14:15]
	v_lshlrev_b32_e32 v2, 16, v5
	v_mul_f32_e32 v2, v51, v2
	v_and_b32_e32 v3, 0x7f800000, v2
	v_cmp_ne_u32_e64 s[2:3], s20, v3
                                        ; implicit-def: $vgpr59
	s_and_saveexec_b64 s[14:15], s[2:3]
	s_xor_b64 s[2:3], exec, s[14:15]
; %bb.134:                              ;   in Loop: Header=BB159_41 Depth=1
	v_bfe_u32 v3, v2, 16, 1
	v_add3_u32 v59, v2, v3, s21
                                        ; implicit-def: $vgpr2
; %bb.135:                              ;   in Loop: Header=BB159_41 Depth=1
	s_andn2_saveexec_b64 s[14:15], s[2:3]
; %bb.136:                              ;   in Loop: Header=BB159_41 Depth=1
	v_or_b32_e32 v3, 0x10000, v2
	v_cmp_eq_u32_sdwa s[2:3], v2, v19 src0_sel:WORD_0 src1_sel:DWORD
	s_nop 1
	v_cndmask_b32_e64 v59, v3, v2, s[2:3]
; %bb.137:                              ;   in Loop: Header=BB159_41 Depth=1
	s_or_b64 exec, exec, s[14:15]
	v_lshlrev_b32_e32 v2, 16, v23
	v_mul_f32_e32 v2, v52, v2
	v_and_b32_e32 v3, 0x7f800000, v2
	v_cmp_ne_u32_e64 s[2:3], s20, v3
                                        ; implicit-def: $vgpr60
	s_and_saveexec_b64 s[14:15], s[2:3]
	s_xor_b64 s[2:3], exec, s[14:15]
; %bb.138:                              ;   in Loop: Header=BB159_41 Depth=1
	v_bfe_u32 v3, v2, 16, 1
	v_add3_u32 v60, v2, v3, s21
                                        ; implicit-def: $vgpr2
; %bb.139:                              ;   in Loop: Header=BB159_41 Depth=1
	s_andn2_saveexec_b64 s[14:15], s[2:3]
; %bb.140:                              ;   in Loop: Header=BB159_41 Depth=1
	v_or_b32_e32 v3, 0x10000, v2
	v_cmp_eq_u32_sdwa s[2:3], v2, v19 src0_sel:WORD_0 src1_sel:DWORD
	s_nop 1
	v_cndmask_b32_e64 v60, v3, v2, s[2:3]
; %bb.141:                              ;   in Loop: Header=BB159_41 Depth=1
	s_or_b64 exec, exec, s[14:15]
	global_load_dwordx4 v[2:5], v[8:9], off offset:2048
	s_waitcnt vmcnt(0)
	v_lshrrev_b32_e32 v29, 16, v2
	v_lshrrev_b32_e32 v27, 16, v3
	;; [unrolled: 1-line block ×4, first 2 shown]
	s_and_saveexec_b64 s[14:15], s[0:1]
	s_cbranch_execz .LBB159_143
; %bb.142:                              ;   in Loop: Header=BB159_41 Depth=1
	v_cmp_gt_i32_e64 s[2:3], s33, v44
	v_add_u32_e32 v61, -6, v34
	s_nop 0
	v_cndmask_b32_e64 v2, 0, v2, s[2:3]
	v_cmp_gt_i32_e64 s[2:3], s33, v61
	v_add_u32_e32 v61, -5, v34
	s_nop 0
	v_cndmask_b32_e64 v29, 0, v29, s[2:3]
	;; [unrolled: 4-line block ×6, first 2 shown]
	v_cmp_gt_i32_e64 s[2:3], s33, v61
	s_nop 1
	v_cndmask_b32_e64 v5, 0, v5, s[2:3]
	v_cmp_gt_i32_e64 s[2:3], s33, v34
	s_nop 1
	v_cndmask_b32_e64 v23, 0, v23, s[2:3]
.LBB159_143:                            ;   in Loop: Header=BB159_41 Depth=1
	s_or_b64 exec, exec, s[14:15]
	v_lshlrev_b32_e32 v2, 16, v2
	v_mul_f32_e32 v2, v45, v2
	v_and_b32_e32 v61, 0x7f800000, v2
	v_cmp_ne_u32_e64 s[2:3], s20, v61
                                        ; implicit-def: $vgpr61
	s_and_saveexec_b64 s[14:15], s[2:3]
	s_xor_b64 s[2:3], exec, s[14:15]
; %bb.144:                              ;   in Loop: Header=BB159_41 Depth=1
	v_bfe_u32 v61, v2, 16, 1
	v_add3_u32 v61, v2, v61, s21
                                        ; implicit-def: $vgpr2
; %bb.145:                              ;   in Loop: Header=BB159_41 Depth=1
	s_andn2_saveexec_b64 s[14:15], s[2:3]
; %bb.146:                              ;   in Loop: Header=BB159_41 Depth=1
	v_or_b32_e32 v61, 0x10000, v2
	v_cmp_eq_u32_sdwa s[2:3], v2, v19 src0_sel:WORD_0 src1_sel:DWORD
	s_nop 1
	v_cndmask_b32_e64 v61, v61, v2, s[2:3]
; %bb.147:                              ;   in Loop: Header=BB159_41 Depth=1
	s_or_b64 exec, exec, s[14:15]
	v_lshlrev_b32_e32 v2, 16, v29
	v_mul_f32_e32 v2, v46, v2
	v_and_b32_e32 v29, 0x7f800000, v2
	v_cmp_ne_u32_e64 s[2:3], s20, v29
                                        ; implicit-def: $vgpr62
	s_and_saveexec_b64 s[14:15], s[2:3]
	s_xor_b64 s[2:3], exec, s[14:15]
; %bb.148:                              ;   in Loop: Header=BB159_41 Depth=1
	v_bfe_u32 v29, v2, 16, 1
	v_add3_u32 v62, v2, v29, s21
                                        ; implicit-def: $vgpr2
; %bb.149:                              ;   in Loop: Header=BB159_41 Depth=1
	s_andn2_saveexec_b64 s[14:15], s[2:3]
; %bb.150:                              ;   in Loop: Header=BB159_41 Depth=1
	v_or_b32_e32 v29, 0x10000, v2
	v_cmp_eq_u32_sdwa s[2:3], v2, v19 src0_sel:WORD_0 src1_sel:DWORD
	s_nop 1
	v_cndmask_b32_e64 v62, v29, v2, s[2:3]
; %bb.151:                              ;   in Loop: Header=BB159_41 Depth=1
	s_or_b64 exec, exec, s[14:15]
	v_lshlrev_b32_e32 v2, 16, v3
	v_mul_f32_e32 v2, v47, v2
	v_and_b32_e32 v3, 0x7f800000, v2
	v_cmp_ne_u32_e64 s[2:3], s20, v3
                                        ; implicit-def: $vgpr63
	s_and_saveexec_b64 s[14:15], s[2:3]
	s_xor_b64 s[2:3], exec, s[14:15]
; %bb.152:                              ;   in Loop: Header=BB159_41 Depth=1
	v_bfe_u32 v3, v2, 16, 1
	v_add3_u32 v63, v2, v3, s21
                                        ; implicit-def: $vgpr2
; %bb.153:                              ;   in Loop: Header=BB159_41 Depth=1
	s_andn2_saveexec_b64 s[14:15], s[2:3]
; %bb.154:                              ;   in Loop: Header=BB159_41 Depth=1
	v_or_b32_e32 v3, 0x10000, v2
	v_cmp_eq_u32_sdwa s[2:3], v2, v19 src0_sel:WORD_0 src1_sel:DWORD
	s_nop 1
	v_cndmask_b32_e64 v63, v3, v2, s[2:3]
; %bb.155:                              ;   in Loop: Header=BB159_41 Depth=1
	s_or_b64 exec, exec, s[14:15]
	v_lshlrev_b32_e32 v2, 16, v27
	v_mul_f32_e32 v2, v48, v2
	v_and_b32_e32 v3, 0x7f800000, v2
	v_cmp_ne_u32_e64 s[2:3], s20, v3
                                        ; implicit-def: $vgpr64
	s_and_saveexec_b64 s[14:15], s[2:3]
	s_xor_b64 s[2:3], exec, s[14:15]
; %bb.156:                              ;   in Loop: Header=BB159_41 Depth=1
	v_bfe_u32 v3, v2, 16, 1
	v_add3_u32 v64, v2, v3, s21
                                        ; implicit-def: $vgpr2
; %bb.157:                              ;   in Loop: Header=BB159_41 Depth=1
	s_andn2_saveexec_b64 s[14:15], s[2:3]
; %bb.158:                              ;   in Loop: Header=BB159_41 Depth=1
	v_or_b32_e32 v3, 0x10000, v2
	v_cmp_eq_u32_sdwa s[2:3], v2, v19 src0_sel:WORD_0 src1_sel:DWORD
	s_nop 1
	v_cndmask_b32_e64 v64, v3, v2, s[2:3]
; %bb.159:                              ;   in Loop: Header=BB159_41 Depth=1
	s_or_b64 exec, exec, s[14:15]
	v_lshlrev_b32_e32 v2, 16, v4
	v_mul_f32_e32 v2, v49, v2
	v_and_b32_e32 v3, 0x7f800000, v2
	v_cmp_ne_u32_e64 s[2:3], s20, v3
                                        ; implicit-def: $vgpr65
	s_and_saveexec_b64 s[14:15], s[2:3]
	s_xor_b64 s[2:3], exec, s[14:15]
; %bb.160:                              ;   in Loop: Header=BB159_41 Depth=1
	v_bfe_u32 v3, v2, 16, 1
	v_add3_u32 v65, v2, v3, s21
                                        ; implicit-def: $vgpr2
; %bb.161:                              ;   in Loop: Header=BB159_41 Depth=1
	s_andn2_saveexec_b64 s[14:15], s[2:3]
; %bb.162:                              ;   in Loop: Header=BB159_41 Depth=1
	v_or_b32_e32 v3, 0x10000, v2
	v_cmp_eq_u32_sdwa s[2:3], v2, v19 src0_sel:WORD_0 src1_sel:DWORD
	s_nop 1
	v_cndmask_b32_e64 v65, v3, v2, s[2:3]
; %bb.163:                              ;   in Loop: Header=BB159_41 Depth=1
	s_or_b64 exec, exec, s[14:15]
	v_lshlrev_b32_e32 v2, 16, v25
	v_mul_f32_e32 v2, v50, v2
	v_and_b32_e32 v3, 0x7f800000, v2
	v_cmp_ne_u32_e64 s[2:3], s20, v3
                                        ; implicit-def: $vgpr66
	s_and_saveexec_b64 s[14:15], s[2:3]
	s_xor_b64 s[2:3], exec, s[14:15]
; %bb.164:                              ;   in Loop: Header=BB159_41 Depth=1
	v_bfe_u32 v3, v2, 16, 1
	v_add3_u32 v66, v2, v3, s21
                                        ; implicit-def: $vgpr2
; %bb.165:                              ;   in Loop: Header=BB159_41 Depth=1
	s_andn2_saveexec_b64 s[14:15], s[2:3]
; %bb.166:                              ;   in Loop: Header=BB159_41 Depth=1
	v_or_b32_e32 v3, 0x10000, v2
	v_cmp_eq_u32_sdwa s[2:3], v2, v19 src0_sel:WORD_0 src1_sel:DWORD
	s_nop 1
	v_cndmask_b32_e64 v66, v3, v2, s[2:3]
; %bb.167:                              ;   in Loop: Header=BB159_41 Depth=1
	s_or_b64 exec, exec, s[14:15]
	v_lshlrev_b32_e32 v2, 16, v5
	v_mul_f32_e32 v2, v51, v2
	v_and_b32_e32 v3, 0x7f800000, v2
	v_cmp_ne_u32_e64 s[2:3], s20, v3
                                        ; implicit-def: $vgpr67
	s_and_saveexec_b64 s[14:15], s[2:3]
	s_xor_b64 s[2:3], exec, s[14:15]
; %bb.168:                              ;   in Loop: Header=BB159_41 Depth=1
	v_bfe_u32 v3, v2, 16, 1
	v_add3_u32 v67, v2, v3, s21
                                        ; implicit-def: $vgpr2
; %bb.169:                              ;   in Loop: Header=BB159_41 Depth=1
	s_andn2_saveexec_b64 s[14:15], s[2:3]
; %bb.170:                              ;   in Loop: Header=BB159_41 Depth=1
	v_or_b32_e32 v3, 0x10000, v2
	v_cmp_eq_u32_sdwa s[2:3], v2, v19 src0_sel:WORD_0 src1_sel:DWORD
	s_nop 1
	v_cndmask_b32_e64 v67, v3, v2, s[2:3]
; %bb.171:                              ;   in Loop: Header=BB159_41 Depth=1
	s_or_b64 exec, exec, s[14:15]
	v_lshlrev_b32_e32 v2, 16, v23
	v_mul_f32_e32 v2, v52, v2
	v_and_b32_e32 v3, 0x7f800000, v2
	v_cmp_ne_u32_e64 s[2:3], s20, v3
                                        ; implicit-def: $vgpr68
	s_and_saveexec_b64 s[14:15], s[2:3]
	s_xor_b64 s[2:3], exec, s[14:15]
; %bb.172:                              ;   in Loop: Header=BB159_41 Depth=1
	v_bfe_u32 v3, v2, 16, 1
	v_add3_u32 v68, v2, v3, s21
                                        ; implicit-def: $vgpr2
; %bb.173:                              ;   in Loop: Header=BB159_41 Depth=1
	s_andn2_saveexec_b64 s[14:15], s[2:3]
; %bb.174:                              ;   in Loop: Header=BB159_41 Depth=1
	v_or_b32_e32 v3, 0x10000, v2
	v_cmp_eq_u32_sdwa s[2:3], v2, v19 src0_sel:WORD_0 src1_sel:DWORD
	s_nop 1
	v_cndmask_b32_e64 v68, v3, v2, s[2:3]
; %bb.175:                              ;   in Loop: Header=BB159_41 Depth=1
	s_or_b64 exec, exec, s[14:15]
	global_load_dwordx4 v[2:5], v[8:9], off offset:3072
	s_waitcnt vmcnt(0)
	v_lshrrev_b32_e32 v9, 16, v2
	v_lshrrev_b32_e32 v27, 16, v3
	;; [unrolled: 1-line block ×4, first 2 shown]
	s_and_saveexec_b64 s[14:15], s[0:1]
	s_cbranch_execz .LBB159_177
; %bb.176:                              ;   in Loop: Header=BB159_41 Depth=1
	v_cmp_gt_i32_e64 s[2:3], s33, v44
	v_add_u32_e32 v8, -6, v34
	s_nop 0
	v_cndmask_b32_e64 v2, 0, v2, s[2:3]
	v_cmp_gt_i32_e64 s[2:3], s33, v8
	v_add_u32_e32 v8, -5, v34
	s_nop 0
	v_cndmask_b32_e64 v9, 0, v9, s[2:3]
	v_cmp_gt_i32_e64 s[2:3], s33, v8
	v_add_u32_e32 v8, -4, v34
	s_nop 0
	v_cndmask_b32_e64 v3, 0, v3, s[2:3]
	v_cmp_gt_i32_e64 s[2:3], s33, v8
	v_add_u32_e32 v8, -3, v34
	s_nop 0
	v_cndmask_b32_e64 v27, 0, v27, s[2:3]
	v_cmp_gt_i32_e64 s[2:3], s33, v8
	v_add_u32_e32 v8, -2, v34
	s_nop 0
	v_cndmask_b32_e64 v4, 0, v4, s[2:3]
	v_cmp_gt_i32_e64 s[2:3], s33, v8
	v_add_u32_e32 v8, -1, v34
	s_nop 0
	v_cndmask_b32_e64 v25, 0, v25, s[2:3]
	v_cmp_gt_i32_e64 s[2:3], s33, v8
	s_nop 1
	v_cndmask_b32_e64 v5, 0, v5, s[2:3]
	v_cmp_gt_i32_e64 s[2:3], s33, v34
	s_nop 1
	v_cndmask_b32_e64 v23, 0, v23, s[2:3]
.LBB159_177:                            ;   in Loop: Header=BB159_41 Depth=1
	s_or_b64 exec, exec, s[14:15]
	v_lshlrev_b32_e32 v2, 16, v2
	v_mul_f32_e32 v2, v45, v2
	v_and_b32_e32 v8, 0x7f800000, v2
	v_cmp_ne_u32_e64 s[2:3], s20, v8
                                        ; implicit-def: $vgpr8
	s_and_saveexec_b64 s[14:15], s[2:3]
	s_xor_b64 s[2:3], exec, s[14:15]
; %bb.178:                              ;   in Loop: Header=BB159_41 Depth=1
	v_bfe_u32 v8, v2, 16, 1
	v_add3_u32 v8, v2, v8, s21
                                        ; implicit-def: $vgpr2
; %bb.179:                              ;   in Loop: Header=BB159_41 Depth=1
	s_andn2_saveexec_b64 s[14:15], s[2:3]
; %bb.180:                              ;   in Loop: Header=BB159_41 Depth=1
	v_or_b32_e32 v8, 0x10000, v2
	v_cmp_eq_u32_sdwa s[2:3], v2, v19 src0_sel:WORD_0 src1_sel:DWORD
	s_nop 1
	v_cndmask_b32_e64 v8, v8, v2, s[2:3]
; %bb.181:                              ;   in Loop: Header=BB159_41 Depth=1
	s_or_b64 exec, exec, s[14:15]
	v_lshlrev_b32_e32 v2, 16, v9
	v_mul_f32_e32 v2, v46, v2
	v_and_b32_e32 v9, 0x7f800000, v2
	v_cmp_ne_u32_e64 s[2:3], s20, v9
                                        ; implicit-def: $vgpr9
	s_and_saveexec_b64 s[14:15], s[2:3]
	s_xor_b64 s[2:3], exec, s[14:15]
; %bb.182:                              ;   in Loop: Header=BB159_41 Depth=1
	v_bfe_u32 v9, v2, 16, 1
	v_add3_u32 v9, v2, v9, s21
                                        ; implicit-def: $vgpr2
; %bb.183:                              ;   in Loop: Header=BB159_41 Depth=1
	s_andn2_saveexec_b64 s[14:15], s[2:3]
; %bb.184:                              ;   in Loop: Header=BB159_41 Depth=1
	v_or_b32_e32 v9, 0x10000, v2
	v_cmp_eq_u32_sdwa s[2:3], v2, v19 src0_sel:WORD_0 src1_sel:DWORD
	s_nop 1
	v_cndmask_b32_e64 v9, v9, v2, s[2:3]
; %bb.185:                              ;   in Loop: Header=BB159_41 Depth=1
	s_or_b64 exec, exec, s[14:15]
	v_lshlrev_b32_e32 v2, 16, v3
	v_mul_f32_e32 v2, v47, v2
	v_and_b32_e32 v3, 0x7f800000, v2
	v_cmp_ne_u32_e64 s[2:3], s20, v3
                                        ; implicit-def: $vgpr69
	s_and_saveexec_b64 s[14:15], s[2:3]
	s_xor_b64 s[2:3], exec, s[14:15]
; %bb.186:                              ;   in Loop: Header=BB159_41 Depth=1
	v_bfe_u32 v3, v2, 16, 1
	v_add3_u32 v69, v2, v3, s21
                                        ; implicit-def: $vgpr2
; %bb.187:                              ;   in Loop: Header=BB159_41 Depth=1
	s_andn2_saveexec_b64 s[14:15], s[2:3]
; %bb.188:                              ;   in Loop: Header=BB159_41 Depth=1
	v_or_b32_e32 v3, 0x10000, v2
	v_cmp_eq_u32_sdwa s[2:3], v2, v19 src0_sel:WORD_0 src1_sel:DWORD
	s_nop 1
	v_cndmask_b32_e64 v69, v3, v2, s[2:3]
; %bb.189:                              ;   in Loop: Header=BB159_41 Depth=1
	s_or_b64 exec, exec, s[14:15]
	v_lshlrev_b32_e32 v2, 16, v27
	v_mul_f32_e32 v2, v48, v2
	v_and_b32_e32 v3, 0x7f800000, v2
	v_cmp_ne_u32_e64 s[2:3], s20, v3
                                        ; implicit-def: $vgpr70
	s_and_saveexec_b64 s[14:15], s[2:3]
	s_xor_b64 s[2:3], exec, s[14:15]
; %bb.190:                              ;   in Loop: Header=BB159_41 Depth=1
	v_bfe_u32 v3, v2, 16, 1
	v_add3_u32 v70, v2, v3, s21
                                        ; implicit-def: $vgpr2
; %bb.191:                              ;   in Loop: Header=BB159_41 Depth=1
	s_andn2_saveexec_b64 s[14:15], s[2:3]
; %bb.192:                              ;   in Loop: Header=BB159_41 Depth=1
	v_or_b32_e32 v3, 0x10000, v2
	v_cmp_eq_u32_sdwa s[2:3], v2, v19 src0_sel:WORD_0 src1_sel:DWORD
	s_nop 1
	v_cndmask_b32_e64 v70, v3, v2, s[2:3]
; %bb.193:                              ;   in Loop: Header=BB159_41 Depth=1
	s_or_b64 exec, exec, s[14:15]
	v_lshlrev_b32_e32 v2, 16, v4
	v_mul_f32_e32 v2, v49, v2
	v_and_b32_e32 v3, 0x7f800000, v2
	v_cmp_ne_u32_e64 s[2:3], s20, v3
                                        ; implicit-def: $vgpr71
	s_and_saveexec_b64 s[14:15], s[2:3]
	s_xor_b64 s[2:3], exec, s[14:15]
; %bb.194:                              ;   in Loop: Header=BB159_41 Depth=1
	v_bfe_u32 v3, v2, 16, 1
	v_add3_u32 v71, v2, v3, s21
                                        ; implicit-def: $vgpr2
; %bb.195:                              ;   in Loop: Header=BB159_41 Depth=1
	s_andn2_saveexec_b64 s[14:15], s[2:3]
; %bb.196:                              ;   in Loop: Header=BB159_41 Depth=1
	v_or_b32_e32 v3, 0x10000, v2
	v_cmp_eq_u32_sdwa s[2:3], v2, v19 src0_sel:WORD_0 src1_sel:DWORD
	s_nop 1
	v_cndmask_b32_e64 v71, v3, v2, s[2:3]
; %bb.197:                              ;   in Loop: Header=BB159_41 Depth=1
	s_or_b64 exec, exec, s[14:15]
	v_lshlrev_b32_e32 v2, 16, v25
	v_mul_f32_e32 v2, v50, v2
	v_and_b32_e32 v3, 0x7f800000, v2
	v_cmp_ne_u32_e64 s[2:3], s20, v3
                                        ; implicit-def: $vgpr72
	s_and_saveexec_b64 s[14:15], s[2:3]
	s_xor_b64 s[2:3], exec, s[14:15]
; %bb.198:                              ;   in Loop: Header=BB159_41 Depth=1
	v_bfe_u32 v3, v2, 16, 1
	v_add3_u32 v72, v2, v3, s21
                                        ; implicit-def: $vgpr2
; %bb.199:                              ;   in Loop: Header=BB159_41 Depth=1
	s_andn2_saveexec_b64 s[14:15], s[2:3]
; %bb.200:                              ;   in Loop: Header=BB159_41 Depth=1
	v_or_b32_e32 v3, 0x10000, v2
	v_cmp_eq_u32_sdwa s[2:3], v2, v19 src0_sel:WORD_0 src1_sel:DWORD
	s_nop 1
	v_cndmask_b32_e64 v72, v3, v2, s[2:3]
; %bb.201:                              ;   in Loop: Header=BB159_41 Depth=1
	s_or_b64 exec, exec, s[14:15]
	v_lshlrev_b32_e32 v2, 16, v5
	v_mul_f32_e32 v2, v51, v2
	v_and_b32_e32 v3, 0x7f800000, v2
	v_cmp_ne_u32_e64 s[2:3], s20, v3
                                        ; implicit-def: $vgpr73
	s_and_saveexec_b64 s[14:15], s[2:3]
	s_xor_b64 s[2:3], exec, s[14:15]
; %bb.202:                              ;   in Loop: Header=BB159_41 Depth=1
	v_bfe_u32 v3, v2, 16, 1
	v_add3_u32 v73, v2, v3, s21
                                        ; implicit-def: $vgpr2
; %bb.203:                              ;   in Loop: Header=BB159_41 Depth=1
	s_andn2_saveexec_b64 s[14:15], s[2:3]
; %bb.204:                              ;   in Loop: Header=BB159_41 Depth=1
	v_or_b32_e32 v3, 0x10000, v2
	v_cmp_eq_u32_sdwa s[2:3], v2, v19 src0_sel:WORD_0 src1_sel:DWORD
	s_nop 1
	v_cndmask_b32_e64 v73, v3, v2, s[2:3]
; %bb.205:                              ;   in Loop: Header=BB159_41 Depth=1
	s_or_b64 exec, exec, s[14:15]
	v_lshlrev_b32_e32 v2, 16, v23
	v_mul_f32_e32 v2, v52, v2
	v_and_b32_e32 v3, 0x7f800000, v2
	v_cmp_ne_u32_e64 s[2:3], s20, v3
                                        ; implicit-def: $vgpr74
	s_and_saveexec_b64 s[14:15], s[2:3]
	s_xor_b64 s[2:3], exec, s[14:15]
; %bb.206:                              ;   in Loop: Header=BB159_41 Depth=1
	v_bfe_u32 v3, v2, 16, 1
	v_add3_u32 v74, v2, v3, s21
                                        ; implicit-def: $vgpr2
; %bb.207:                              ;   in Loop: Header=BB159_41 Depth=1
	s_andn2_saveexec_b64 s[14:15], s[2:3]
; %bb.208:                              ;   in Loop: Header=BB159_41 Depth=1
	v_or_b32_e32 v3, 0x10000, v2
	v_cmp_eq_u32_sdwa s[2:3], v2, v19 src0_sel:WORD_0 src1_sel:DWORD
	s_nop 1
	v_cndmask_b32_e64 v74, v3, v2, s[2:3]
; %bb.209:                              ;   in Loop: Header=BB159_41 Depth=1
	s_or_b64 exec, exec, s[14:15]
	v_mov_b32_e32 v23, v19
	v_lshl_add_u64 v[2:3], v[6:7], 0, v[22:23]
	global_load_dwordx4 v[2:5], v[2:3], off
	s_waitcnt vmcnt(0)
	v_lshrrev_b32_e32 v75, 16, v2
	v_lshrrev_b32_e32 v29, 16, v3
	;; [unrolled: 1-line block ×4, first 2 shown]
	s_and_saveexec_b64 s[14:15], s[0:1]
	s_cbranch_execz .LBB159_211
; %bb.210:                              ;   in Loop: Header=BB159_41 Depth=1
	v_cmp_gt_i32_e64 s[2:3], s33, v44
	v_add_u32_e32 v23, -6, v34
	s_nop 0
	v_cndmask_b32_e64 v2, 0, v2, s[2:3]
	v_cmp_gt_i32_e64 s[2:3], s33, v23
	v_add_u32_e32 v23, -5, v34
	s_nop 0
	v_cndmask_b32_e64 v75, 0, v75, s[2:3]
	;; [unrolled: 4-line block ×6, first 2 shown]
	v_cmp_gt_i32_e64 s[2:3], s33, v23
	s_nop 1
	v_cndmask_b32_e64 v5, 0, v5, s[2:3]
	v_cmp_gt_i32_e64 s[2:3], s33, v34
	s_nop 1
	v_cndmask_b32_e64 v25, 0, v25, s[2:3]
.LBB159_211:                            ;   in Loop: Header=BB159_41 Depth=1
	s_or_b64 exec, exec, s[14:15]
	v_lshlrev_b32_e32 v2, 16, v2
	v_mul_f32_e32 v2, v45, v2
	v_and_b32_e32 v23, 0x7f800000, v2
	v_cmp_ne_u32_e64 s[2:3], s20, v23
                                        ; implicit-def: $vgpr23
	s_and_saveexec_b64 s[14:15], s[2:3]
	s_xor_b64 s[2:3], exec, s[14:15]
; %bb.212:                              ;   in Loop: Header=BB159_41 Depth=1
	v_bfe_u32 v23, v2, 16, 1
	v_add3_u32 v23, v2, v23, s21
                                        ; implicit-def: $vgpr2
; %bb.213:                              ;   in Loop: Header=BB159_41 Depth=1
	s_andn2_saveexec_b64 s[14:15], s[2:3]
; %bb.214:                              ;   in Loop: Header=BB159_41 Depth=1
	v_or_b32_e32 v23, 0x10000, v2
	v_cmp_eq_u32_sdwa s[2:3], v2, v19 src0_sel:WORD_0 src1_sel:DWORD
	s_nop 1
	v_cndmask_b32_e64 v23, v23, v2, s[2:3]
; %bb.215:                              ;   in Loop: Header=BB159_41 Depth=1
	s_or_b64 exec, exec, s[14:15]
	v_lshlrev_b32_e32 v2, 16, v75
	v_mul_f32_e32 v2, v46, v2
	v_and_b32_e32 v75, 0x7f800000, v2
	v_cmp_ne_u32_e64 s[2:3], s20, v75
                                        ; implicit-def: $vgpr75
	s_and_saveexec_b64 s[14:15], s[2:3]
	s_xor_b64 s[2:3], exec, s[14:15]
; %bb.216:                              ;   in Loop: Header=BB159_41 Depth=1
	v_bfe_u32 v75, v2, 16, 1
	v_add3_u32 v75, v2, v75, s21
                                        ; implicit-def: $vgpr2
; %bb.217:                              ;   in Loop: Header=BB159_41 Depth=1
	s_andn2_saveexec_b64 s[14:15], s[2:3]
; %bb.218:                              ;   in Loop: Header=BB159_41 Depth=1
	v_or_b32_e32 v75, 0x10000, v2
	v_cmp_eq_u32_sdwa s[2:3], v2, v19 src0_sel:WORD_0 src1_sel:DWORD
	s_nop 1
	v_cndmask_b32_e64 v75, v75, v2, s[2:3]
; %bb.219:                              ;   in Loop: Header=BB159_41 Depth=1
	s_or_b64 exec, exec, s[14:15]
	v_lshlrev_b32_e32 v2, 16, v3
	v_mul_f32_e32 v2, v47, v2
	v_and_b32_e32 v3, 0x7f800000, v2
	v_cmp_ne_u32_e64 s[2:3], s20, v3
                                        ; implicit-def: $vgpr76
	s_and_saveexec_b64 s[14:15], s[2:3]
	s_xor_b64 s[2:3], exec, s[14:15]
; %bb.220:                              ;   in Loop: Header=BB159_41 Depth=1
	v_bfe_u32 v3, v2, 16, 1
	v_add3_u32 v76, v2, v3, s21
                                        ; implicit-def: $vgpr2
; %bb.221:                              ;   in Loop: Header=BB159_41 Depth=1
	s_andn2_saveexec_b64 s[14:15], s[2:3]
; %bb.222:                              ;   in Loop: Header=BB159_41 Depth=1
	v_or_b32_e32 v3, 0x10000, v2
	v_cmp_eq_u32_sdwa s[2:3], v2, v19 src0_sel:WORD_0 src1_sel:DWORD
	s_nop 1
	v_cndmask_b32_e64 v76, v3, v2, s[2:3]
; %bb.223:                              ;   in Loop: Header=BB159_41 Depth=1
	s_or_b64 exec, exec, s[14:15]
	v_lshlrev_b32_e32 v2, 16, v29
	v_mul_f32_e32 v2, v48, v2
	v_and_b32_e32 v3, 0x7f800000, v2
	v_cmp_ne_u32_e64 s[2:3], s20, v3
                                        ; implicit-def: $vgpr77
	s_and_saveexec_b64 s[14:15], s[2:3]
	s_xor_b64 s[2:3], exec, s[14:15]
; %bb.224:                              ;   in Loop: Header=BB159_41 Depth=1
	v_bfe_u32 v3, v2, 16, 1
	v_add3_u32 v77, v2, v3, s21
                                        ; implicit-def: $vgpr2
; %bb.225:                              ;   in Loop: Header=BB159_41 Depth=1
	s_andn2_saveexec_b64 s[14:15], s[2:3]
; %bb.226:                              ;   in Loop: Header=BB159_41 Depth=1
	v_or_b32_e32 v3, 0x10000, v2
	v_cmp_eq_u32_sdwa s[2:3], v2, v19 src0_sel:WORD_0 src1_sel:DWORD
	s_nop 1
	v_cndmask_b32_e64 v77, v3, v2, s[2:3]
; %bb.227:                              ;   in Loop: Header=BB159_41 Depth=1
	s_or_b64 exec, exec, s[14:15]
	v_lshlrev_b32_e32 v2, 16, v4
	v_mul_f32_e32 v2, v49, v2
	v_and_b32_e32 v3, 0x7f800000, v2
	v_cmp_ne_u32_e64 s[2:3], s20, v3
                                        ; implicit-def: $vgpr78
	s_and_saveexec_b64 s[14:15], s[2:3]
	s_xor_b64 s[2:3], exec, s[14:15]
; %bb.228:                              ;   in Loop: Header=BB159_41 Depth=1
	v_bfe_u32 v3, v2, 16, 1
	v_add3_u32 v78, v2, v3, s21
                                        ; implicit-def: $vgpr2
; %bb.229:                              ;   in Loop: Header=BB159_41 Depth=1
	s_andn2_saveexec_b64 s[14:15], s[2:3]
; %bb.230:                              ;   in Loop: Header=BB159_41 Depth=1
	v_or_b32_e32 v3, 0x10000, v2
	v_cmp_eq_u32_sdwa s[2:3], v2, v19 src0_sel:WORD_0 src1_sel:DWORD
	s_nop 1
	v_cndmask_b32_e64 v78, v3, v2, s[2:3]
; %bb.231:                              ;   in Loop: Header=BB159_41 Depth=1
	s_or_b64 exec, exec, s[14:15]
	v_lshlrev_b32_e32 v2, 16, v27
	v_mul_f32_e32 v2, v50, v2
	v_and_b32_e32 v3, 0x7f800000, v2
	v_cmp_ne_u32_e64 s[2:3], s20, v3
                                        ; implicit-def: $vgpr79
	s_and_saveexec_b64 s[14:15], s[2:3]
	s_xor_b64 s[2:3], exec, s[14:15]
; %bb.232:                              ;   in Loop: Header=BB159_41 Depth=1
	v_bfe_u32 v3, v2, 16, 1
	v_add3_u32 v79, v2, v3, s21
                                        ; implicit-def: $vgpr2
; %bb.233:                              ;   in Loop: Header=BB159_41 Depth=1
	s_andn2_saveexec_b64 s[14:15], s[2:3]
; %bb.234:                              ;   in Loop: Header=BB159_41 Depth=1
	v_or_b32_e32 v3, 0x10000, v2
	v_cmp_eq_u32_sdwa s[2:3], v2, v19 src0_sel:WORD_0 src1_sel:DWORD
	s_nop 1
	v_cndmask_b32_e64 v79, v3, v2, s[2:3]
; %bb.235:                              ;   in Loop: Header=BB159_41 Depth=1
	s_or_b64 exec, exec, s[14:15]
	v_lshlrev_b32_e32 v2, 16, v5
	v_mul_f32_e32 v2, v51, v2
	v_and_b32_e32 v3, 0x7f800000, v2
	v_cmp_ne_u32_e64 s[2:3], s20, v3
                                        ; implicit-def: $vgpr80
	s_and_saveexec_b64 s[14:15], s[2:3]
	s_xor_b64 s[2:3], exec, s[14:15]
; %bb.236:                              ;   in Loop: Header=BB159_41 Depth=1
	v_bfe_u32 v3, v2, 16, 1
	v_add3_u32 v80, v2, v3, s21
                                        ; implicit-def: $vgpr2
; %bb.237:                              ;   in Loop: Header=BB159_41 Depth=1
	s_andn2_saveexec_b64 s[14:15], s[2:3]
; %bb.238:                              ;   in Loop: Header=BB159_41 Depth=1
	v_or_b32_e32 v3, 0x10000, v2
	v_cmp_eq_u32_sdwa s[2:3], v2, v19 src0_sel:WORD_0 src1_sel:DWORD
	s_nop 1
	v_cndmask_b32_e64 v80, v3, v2, s[2:3]
; %bb.239:                              ;   in Loop: Header=BB159_41 Depth=1
	s_or_b64 exec, exec, s[14:15]
	v_lshlrev_b32_e32 v2, 16, v25
	v_mul_f32_e32 v2, v52, v2
	v_and_b32_e32 v3, 0x7f800000, v2
	v_cmp_ne_u32_e64 s[2:3], s20, v3
                                        ; implicit-def: $vgpr81
	s_and_saveexec_b64 s[14:15], s[2:3]
	s_xor_b64 s[2:3], exec, s[14:15]
; %bb.240:                              ;   in Loop: Header=BB159_41 Depth=1
	v_bfe_u32 v3, v2, 16, 1
	v_add3_u32 v81, v2, v3, s21
                                        ; implicit-def: $vgpr2
; %bb.241:                              ;   in Loop: Header=BB159_41 Depth=1
	s_andn2_saveexec_b64 s[14:15], s[2:3]
; %bb.242:                              ;   in Loop: Header=BB159_41 Depth=1
	v_or_b32_e32 v3, 0x10000, v2
	v_cmp_eq_u32_sdwa s[2:3], v2, v19 src0_sel:WORD_0 src1_sel:DWORD
	s_nop 1
	v_cndmask_b32_e64 v81, v3, v2, s[2:3]
; %bb.243:                              ;   in Loop: Header=BB159_41 Depth=1
	s_or_b64 exec, exec, s[14:15]
	v_mov_b32_e32 v25, v19
	v_lshl_add_u64 v[2:3], v[6:7], 0, v[24:25]
	global_load_dwordx4 v[2:5], v[2:3], off
	s_waitcnt vmcnt(0)
	v_lshrrev_b32_e32 v82, 16, v2
	v_lshrrev_b32_e32 v84, 16, v3
	;; [unrolled: 1-line block ×4, first 2 shown]
	s_and_saveexec_b64 s[14:15], s[0:1]
	s_cbranch_execz .LBB159_245
; %bb.244:                              ;   in Loop: Header=BB159_41 Depth=1
	v_cmp_gt_i32_e64 s[2:3], s33, v44
	v_add_u32_e32 v25, -6, v34
	s_nop 0
	v_cndmask_b32_e64 v2, 0, v2, s[2:3]
	v_cmp_gt_i32_e64 s[2:3], s33, v25
	v_add_u32_e32 v25, -5, v34
	s_nop 0
	v_cndmask_b32_e64 v82, 0, v82, s[2:3]
	;; [unrolled: 4-line block ×6, first 2 shown]
	v_cmp_gt_i32_e64 s[2:3], s33, v25
	s_nop 1
	v_cndmask_b32_e64 v5, 0, v5, s[2:3]
	v_cmp_gt_i32_e64 s[2:3], s33, v34
	s_nop 1
	v_cndmask_b32_e64 v27, 0, v27, s[2:3]
.LBB159_245:                            ;   in Loop: Header=BB159_41 Depth=1
	s_or_b64 exec, exec, s[14:15]
	v_lshlrev_b32_e32 v2, 16, v2
	v_mul_f32_e32 v2, v45, v2
	v_and_b32_e32 v25, 0x7f800000, v2
	v_cmp_ne_u32_e64 s[2:3], s20, v25
                                        ; implicit-def: $vgpr25
	s_and_saveexec_b64 s[14:15], s[2:3]
	s_xor_b64 s[2:3], exec, s[14:15]
; %bb.246:                              ;   in Loop: Header=BB159_41 Depth=1
	v_bfe_u32 v25, v2, 16, 1
	v_add3_u32 v25, v2, v25, s21
                                        ; implicit-def: $vgpr2
; %bb.247:                              ;   in Loop: Header=BB159_41 Depth=1
	s_andn2_saveexec_b64 s[14:15], s[2:3]
; %bb.248:                              ;   in Loop: Header=BB159_41 Depth=1
	v_or_b32_e32 v25, 0x10000, v2
	v_cmp_eq_u32_sdwa s[2:3], v2, v19 src0_sel:WORD_0 src1_sel:DWORD
	s_nop 1
	v_cndmask_b32_e64 v25, v25, v2, s[2:3]
; %bb.249:                              ;   in Loop: Header=BB159_41 Depth=1
	s_or_b64 exec, exec, s[14:15]
	v_lshlrev_b32_e32 v2, 16, v82
	v_mul_f32_e32 v2, v46, v2
	v_and_b32_e32 v82, 0x7f800000, v2
	v_cmp_ne_u32_e64 s[2:3], s20, v82
                                        ; implicit-def: $vgpr82
	s_and_saveexec_b64 s[14:15], s[2:3]
	s_xor_b64 s[2:3], exec, s[14:15]
; %bb.250:                              ;   in Loop: Header=BB159_41 Depth=1
	v_bfe_u32 v82, v2, 16, 1
	v_add3_u32 v82, v2, v82, s21
                                        ; implicit-def: $vgpr2
; %bb.251:                              ;   in Loop: Header=BB159_41 Depth=1
	s_andn2_saveexec_b64 s[14:15], s[2:3]
; %bb.252:                              ;   in Loop: Header=BB159_41 Depth=1
	v_or_b32_e32 v82, 0x10000, v2
	v_cmp_eq_u32_sdwa s[2:3], v2, v19 src0_sel:WORD_0 src1_sel:DWORD
	s_nop 1
	v_cndmask_b32_e64 v82, v82, v2, s[2:3]
; %bb.253:                              ;   in Loop: Header=BB159_41 Depth=1
	s_or_b64 exec, exec, s[14:15]
	v_lshlrev_b32_e32 v2, 16, v3
	v_mul_f32_e32 v2, v47, v2
	v_and_b32_e32 v3, 0x7f800000, v2
	v_cmp_ne_u32_e64 s[2:3], s20, v3
                                        ; implicit-def: $vgpr83
	s_and_saveexec_b64 s[14:15], s[2:3]
	s_xor_b64 s[2:3], exec, s[14:15]
; %bb.254:                              ;   in Loop: Header=BB159_41 Depth=1
	v_bfe_u32 v3, v2, 16, 1
	v_add3_u32 v83, v2, v3, s21
                                        ; implicit-def: $vgpr2
; %bb.255:                              ;   in Loop: Header=BB159_41 Depth=1
	s_andn2_saveexec_b64 s[14:15], s[2:3]
; %bb.256:                              ;   in Loop: Header=BB159_41 Depth=1
	v_or_b32_e32 v3, 0x10000, v2
	v_cmp_eq_u32_sdwa s[2:3], v2, v19 src0_sel:WORD_0 src1_sel:DWORD
	s_nop 1
	v_cndmask_b32_e64 v83, v3, v2, s[2:3]
; %bb.257:                              ;   in Loop: Header=BB159_41 Depth=1
	s_or_b64 exec, exec, s[14:15]
	v_lshlrev_b32_e32 v2, 16, v84
	v_mul_f32_e32 v2, v48, v2
	v_and_b32_e32 v3, 0x7f800000, v2
	v_cmp_ne_u32_e64 s[2:3], s20, v3
                                        ; implicit-def: $vgpr84
	s_and_saveexec_b64 s[14:15], s[2:3]
	s_xor_b64 s[2:3], exec, s[14:15]
; %bb.258:                              ;   in Loop: Header=BB159_41 Depth=1
	v_bfe_u32 v3, v2, 16, 1
	v_add3_u32 v84, v2, v3, s21
                                        ; implicit-def: $vgpr2
; %bb.259:                              ;   in Loop: Header=BB159_41 Depth=1
	s_andn2_saveexec_b64 s[14:15], s[2:3]
; %bb.260:                              ;   in Loop: Header=BB159_41 Depth=1
	v_or_b32_e32 v3, 0x10000, v2
	v_cmp_eq_u32_sdwa s[2:3], v2, v19 src0_sel:WORD_0 src1_sel:DWORD
	s_nop 1
	v_cndmask_b32_e64 v84, v3, v2, s[2:3]
; %bb.261:                              ;   in Loop: Header=BB159_41 Depth=1
	s_or_b64 exec, exec, s[14:15]
	v_lshlrev_b32_e32 v2, 16, v4
	v_mul_f32_e32 v2, v49, v2
	v_and_b32_e32 v3, 0x7f800000, v2
	v_cmp_ne_u32_e64 s[2:3], s20, v3
                                        ; implicit-def: $vgpr85
	s_and_saveexec_b64 s[14:15], s[2:3]
	s_xor_b64 s[2:3], exec, s[14:15]
; %bb.262:                              ;   in Loop: Header=BB159_41 Depth=1
	v_bfe_u32 v3, v2, 16, 1
	v_add3_u32 v85, v2, v3, s21
                                        ; implicit-def: $vgpr2
; %bb.263:                              ;   in Loop: Header=BB159_41 Depth=1
	s_andn2_saveexec_b64 s[14:15], s[2:3]
; %bb.264:                              ;   in Loop: Header=BB159_41 Depth=1
	v_or_b32_e32 v3, 0x10000, v2
	v_cmp_eq_u32_sdwa s[2:3], v2, v19 src0_sel:WORD_0 src1_sel:DWORD
	s_nop 1
	v_cndmask_b32_e64 v85, v3, v2, s[2:3]
; %bb.265:                              ;   in Loop: Header=BB159_41 Depth=1
	s_or_b64 exec, exec, s[14:15]
	v_lshlrev_b32_e32 v2, 16, v29
	v_mul_f32_e32 v2, v50, v2
	v_and_b32_e32 v3, 0x7f800000, v2
	v_cmp_ne_u32_e64 s[2:3], s20, v3
                                        ; implicit-def: $vgpr86
	s_and_saveexec_b64 s[14:15], s[2:3]
	s_xor_b64 s[2:3], exec, s[14:15]
; %bb.266:                              ;   in Loop: Header=BB159_41 Depth=1
	v_bfe_u32 v3, v2, 16, 1
	v_add3_u32 v86, v2, v3, s21
                                        ; implicit-def: $vgpr2
; %bb.267:                              ;   in Loop: Header=BB159_41 Depth=1
	s_andn2_saveexec_b64 s[14:15], s[2:3]
; %bb.268:                              ;   in Loop: Header=BB159_41 Depth=1
	v_or_b32_e32 v3, 0x10000, v2
	v_cmp_eq_u32_sdwa s[2:3], v2, v19 src0_sel:WORD_0 src1_sel:DWORD
	s_nop 1
	v_cndmask_b32_e64 v86, v3, v2, s[2:3]
; %bb.269:                              ;   in Loop: Header=BB159_41 Depth=1
	s_or_b64 exec, exec, s[14:15]
	v_lshlrev_b32_e32 v2, 16, v5
	v_mul_f32_e32 v2, v51, v2
	v_and_b32_e32 v3, 0x7f800000, v2
	v_cmp_ne_u32_e64 s[2:3], s20, v3
                                        ; implicit-def: $vgpr87
	s_and_saveexec_b64 s[14:15], s[2:3]
	s_xor_b64 s[2:3], exec, s[14:15]
; %bb.270:                              ;   in Loop: Header=BB159_41 Depth=1
	v_bfe_u32 v3, v2, 16, 1
	v_add3_u32 v87, v2, v3, s21
                                        ; implicit-def: $vgpr2
; %bb.271:                              ;   in Loop: Header=BB159_41 Depth=1
	s_andn2_saveexec_b64 s[14:15], s[2:3]
; %bb.272:                              ;   in Loop: Header=BB159_41 Depth=1
	v_or_b32_e32 v3, 0x10000, v2
	v_cmp_eq_u32_sdwa s[2:3], v2, v19 src0_sel:WORD_0 src1_sel:DWORD
	s_nop 1
	v_cndmask_b32_e64 v87, v3, v2, s[2:3]
; %bb.273:                              ;   in Loop: Header=BB159_41 Depth=1
	s_or_b64 exec, exec, s[14:15]
	v_lshlrev_b32_e32 v2, 16, v27
	v_mul_f32_e32 v2, v52, v2
	v_and_b32_e32 v3, 0x7f800000, v2
	v_cmp_ne_u32_e64 s[2:3], s20, v3
                                        ; implicit-def: $vgpr88
	s_and_saveexec_b64 s[14:15], s[2:3]
	s_xor_b64 s[2:3], exec, s[14:15]
; %bb.274:                              ;   in Loop: Header=BB159_41 Depth=1
	v_bfe_u32 v3, v2, 16, 1
	v_add3_u32 v88, v2, v3, s21
                                        ; implicit-def: $vgpr2
; %bb.275:                              ;   in Loop: Header=BB159_41 Depth=1
	s_andn2_saveexec_b64 s[14:15], s[2:3]
; %bb.276:                              ;   in Loop: Header=BB159_41 Depth=1
	v_or_b32_e32 v3, 0x10000, v2
	v_cmp_eq_u32_sdwa s[2:3], v2, v19 src0_sel:WORD_0 src1_sel:DWORD
	s_nop 1
	v_cndmask_b32_e64 v88, v3, v2, s[2:3]
; %bb.277:                              ;   in Loop: Header=BB159_41 Depth=1
	s_or_b64 exec, exec, s[14:15]
	v_mov_b32_e32 v27, v19
	v_lshl_add_u64 v[2:3], v[6:7], 0, v[26:27]
	global_load_dwordx4 v[2:5], v[2:3], off
	s_waitcnt vmcnt(0)
	v_lshrrev_b32_e32 v89, 16, v2
	v_lshrrev_b32_e32 v91, 16, v3
	;; [unrolled: 1-line block ×4, first 2 shown]
	s_and_saveexec_b64 s[14:15], s[0:1]
	s_cbranch_execz .LBB159_279
; %bb.278:                              ;   in Loop: Header=BB159_41 Depth=1
	v_cmp_gt_i32_e64 s[2:3], s33, v44
	v_add_u32_e32 v27, -6, v34
	s_nop 0
	v_cndmask_b32_e64 v2, 0, v2, s[2:3]
	v_cmp_gt_i32_e64 s[2:3], s33, v27
	v_add_u32_e32 v27, -5, v34
	s_nop 0
	v_cndmask_b32_e64 v89, 0, v89, s[2:3]
	;; [unrolled: 4-line block ×6, first 2 shown]
	v_cmp_gt_i32_e64 s[2:3], s33, v27
	s_nop 1
	v_cndmask_b32_e64 v5, 0, v5, s[2:3]
	v_cmp_gt_i32_e64 s[2:3], s33, v34
	s_nop 1
	v_cndmask_b32_e64 v29, 0, v29, s[2:3]
.LBB159_279:                            ;   in Loop: Header=BB159_41 Depth=1
	s_or_b64 exec, exec, s[14:15]
	v_lshlrev_b32_e32 v2, 16, v2
	v_mul_f32_e32 v2, v45, v2
	v_and_b32_e32 v27, 0x7f800000, v2
	v_cmp_ne_u32_e64 s[2:3], s20, v27
                                        ; implicit-def: $vgpr27
	s_and_saveexec_b64 s[14:15], s[2:3]
	s_xor_b64 s[2:3], exec, s[14:15]
; %bb.280:                              ;   in Loop: Header=BB159_41 Depth=1
	v_bfe_u32 v27, v2, 16, 1
	v_add3_u32 v27, v2, v27, s21
                                        ; implicit-def: $vgpr2
; %bb.281:                              ;   in Loop: Header=BB159_41 Depth=1
	s_andn2_saveexec_b64 s[14:15], s[2:3]
; %bb.282:                              ;   in Loop: Header=BB159_41 Depth=1
	v_or_b32_e32 v27, 0x10000, v2
	v_cmp_eq_u32_sdwa s[2:3], v2, v19 src0_sel:WORD_0 src1_sel:DWORD
	s_nop 1
	v_cndmask_b32_e64 v27, v27, v2, s[2:3]
; %bb.283:                              ;   in Loop: Header=BB159_41 Depth=1
	s_or_b64 exec, exec, s[14:15]
	v_lshlrev_b32_e32 v2, 16, v89
	v_mul_f32_e32 v2, v46, v2
	v_and_b32_e32 v89, 0x7f800000, v2
	v_cmp_ne_u32_e64 s[2:3], s20, v89
                                        ; implicit-def: $vgpr89
	s_and_saveexec_b64 s[14:15], s[2:3]
	s_xor_b64 s[2:3], exec, s[14:15]
; %bb.284:                              ;   in Loop: Header=BB159_41 Depth=1
	v_bfe_u32 v89, v2, 16, 1
	v_add3_u32 v89, v2, v89, s21
                                        ; implicit-def: $vgpr2
; %bb.285:                              ;   in Loop: Header=BB159_41 Depth=1
	s_andn2_saveexec_b64 s[14:15], s[2:3]
; %bb.286:                              ;   in Loop: Header=BB159_41 Depth=1
	v_or_b32_e32 v89, 0x10000, v2
	v_cmp_eq_u32_sdwa s[2:3], v2, v19 src0_sel:WORD_0 src1_sel:DWORD
	s_nop 1
	v_cndmask_b32_e64 v89, v89, v2, s[2:3]
; %bb.287:                              ;   in Loop: Header=BB159_41 Depth=1
	s_or_b64 exec, exec, s[14:15]
	v_lshlrev_b32_e32 v2, 16, v3
	v_mul_f32_e32 v2, v47, v2
	v_and_b32_e32 v3, 0x7f800000, v2
	v_cmp_ne_u32_e64 s[2:3], s20, v3
                                        ; implicit-def: $vgpr90
	s_and_saveexec_b64 s[14:15], s[2:3]
	s_xor_b64 s[2:3], exec, s[14:15]
; %bb.288:                              ;   in Loop: Header=BB159_41 Depth=1
	v_bfe_u32 v3, v2, 16, 1
	v_add3_u32 v90, v2, v3, s21
                                        ; implicit-def: $vgpr2
; %bb.289:                              ;   in Loop: Header=BB159_41 Depth=1
	s_andn2_saveexec_b64 s[14:15], s[2:3]
; %bb.290:                              ;   in Loop: Header=BB159_41 Depth=1
	v_or_b32_e32 v3, 0x10000, v2
	v_cmp_eq_u32_sdwa s[2:3], v2, v19 src0_sel:WORD_0 src1_sel:DWORD
	s_nop 1
	v_cndmask_b32_e64 v90, v3, v2, s[2:3]
; %bb.291:                              ;   in Loop: Header=BB159_41 Depth=1
	s_or_b64 exec, exec, s[14:15]
	v_lshlrev_b32_e32 v2, 16, v91
	v_mul_f32_e32 v2, v48, v2
	v_and_b32_e32 v3, 0x7f800000, v2
	v_cmp_ne_u32_e64 s[2:3], s20, v3
                                        ; implicit-def: $vgpr91
	s_and_saveexec_b64 s[14:15], s[2:3]
	s_xor_b64 s[2:3], exec, s[14:15]
; %bb.292:                              ;   in Loop: Header=BB159_41 Depth=1
	v_bfe_u32 v3, v2, 16, 1
	v_add3_u32 v91, v2, v3, s21
                                        ; implicit-def: $vgpr2
; %bb.293:                              ;   in Loop: Header=BB159_41 Depth=1
	s_andn2_saveexec_b64 s[14:15], s[2:3]
; %bb.294:                              ;   in Loop: Header=BB159_41 Depth=1
	v_or_b32_e32 v3, 0x10000, v2
	v_cmp_eq_u32_sdwa s[2:3], v2, v19 src0_sel:WORD_0 src1_sel:DWORD
	s_nop 1
	v_cndmask_b32_e64 v91, v3, v2, s[2:3]
; %bb.295:                              ;   in Loop: Header=BB159_41 Depth=1
	s_or_b64 exec, exec, s[14:15]
	v_lshlrev_b32_e32 v2, 16, v4
	v_mul_f32_e32 v2, v49, v2
	v_and_b32_e32 v3, 0x7f800000, v2
	v_cmp_ne_u32_e64 s[2:3], s20, v3
                                        ; implicit-def: $vgpr92
	s_and_saveexec_b64 s[14:15], s[2:3]
	s_xor_b64 s[2:3], exec, s[14:15]
; %bb.296:                              ;   in Loop: Header=BB159_41 Depth=1
	v_bfe_u32 v3, v2, 16, 1
	v_add3_u32 v92, v2, v3, s21
                                        ; implicit-def: $vgpr2
; %bb.297:                              ;   in Loop: Header=BB159_41 Depth=1
	s_andn2_saveexec_b64 s[14:15], s[2:3]
; %bb.298:                              ;   in Loop: Header=BB159_41 Depth=1
	v_or_b32_e32 v3, 0x10000, v2
	v_cmp_eq_u32_sdwa s[2:3], v2, v19 src0_sel:WORD_0 src1_sel:DWORD
	s_nop 1
	v_cndmask_b32_e64 v92, v3, v2, s[2:3]
; %bb.299:                              ;   in Loop: Header=BB159_41 Depth=1
	s_or_b64 exec, exec, s[14:15]
	v_lshlrev_b32_e32 v2, 16, v93
	v_mul_f32_e32 v2, v50, v2
	v_and_b32_e32 v3, 0x7f800000, v2
	v_cmp_ne_u32_e64 s[2:3], s20, v3
                                        ; implicit-def: $vgpr93
	s_and_saveexec_b64 s[14:15], s[2:3]
	s_xor_b64 s[2:3], exec, s[14:15]
; %bb.300:                              ;   in Loop: Header=BB159_41 Depth=1
	v_bfe_u32 v3, v2, 16, 1
	v_add3_u32 v93, v2, v3, s21
                                        ; implicit-def: $vgpr2
; %bb.301:                              ;   in Loop: Header=BB159_41 Depth=1
	s_andn2_saveexec_b64 s[14:15], s[2:3]
; %bb.302:                              ;   in Loop: Header=BB159_41 Depth=1
	v_or_b32_e32 v3, 0x10000, v2
	v_cmp_eq_u32_sdwa s[2:3], v2, v19 src0_sel:WORD_0 src1_sel:DWORD
	s_nop 1
	v_cndmask_b32_e64 v93, v3, v2, s[2:3]
; %bb.303:                              ;   in Loop: Header=BB159_41 Depth=1
	s_or_b64 exec, exec, s[14:15]
	v_lshlrev_b32_e32 v2, 16, v5
	v_mul_f32_e32 v2, v51, v2
	v_and_b32_e32 v3, 0x7f800000, v2
	v_cmp_ne_u32_e64 s[2:3], s20, v3
                                        ; implicit-def: $vgpr94
	s_and_saveexec_b64 s[14:15], s[2:3]
	s_xor_b64 s[2:3], exec, s[14:15]
; %bb.304:                              ;   in Loop: Header=BB159_41 Depth=1
	v_bfe_u32 v3, v2, 16, 1
	v_add3_u32 v94, v2, v3, s21
                                        ; implicit-def: $vgpr2
; %bb.305:                              ;   in Loop: Header=BB159_41 Depth=1
	s_andn2_saveexec_b64 s[14:15], s[2:3]
; %bb.306:                              ;   in Loop: Header=BB159_41 Depth=1
	v_or_b32_e32 v3, 0x10000, v2
	v_cmp_eq_u32_sdwa s[2:3], v2, v19 src0_sel:WORD_0 src1_sel:DWORD
	s_nop 1
	v_cndmask_b32_e64 v94, v3, v2, s[2:3]
; %bb.307:                              ;   in Loop: Header=BB159_41 Depth=1
	s_or_b64 exec, exec, s[14:15]
	v_lshlrev_b32_e32 v2, 16, v29
	v_mul_f32_e32 v2, v52, v2
	v_and_b32_e32 v3, 0x7f800000, v2
	v_cmp_ne_u32_e64 s[2:3], s20, v3
                                        ; implicit-def: $vgpr95
	s_and_saveexec_b64 s[14:15], s[2:3]
	s_xor_b64 s[2:3], exec, s[14:15]
	s_cbranch_execnz .LBB159_310
; %bb.308:                              ;   in Loop: Header=BB159_41 Depth=1
	s_andn2_saveexec_b64 s[14:15], s[2:3]
	s_cbranch_execnz .LBB159_311
.LBB159_309:                            ;   in Loop: Header=BB159_41 Depth=1
	s_or_b64 exec, exec, s[14:15]
	s_and_saveexec_b64 s[2:3], vcc
	s_cbranch_execz .LBB159_40
	s_branch .LBB159_312
.LBB159_310:                            ;   in Loop: Header=BB159_41 Depth=1
	v_bfe_u32 v3, v2, 16, 1
	v_add3_u32 v95, v2, v3, s21
                                        ; implicit-def: $vgpr2
	s_andn2_saveexec_b64 s[14:15], s[2:3]
	s_cbranch_execz .LBB159_309
.LBB159_311:                            ;   in Loop: Header=BB159_41 Depth=1
	v_or_b32_e32 v3, 0x10000, v2
	v_cmp_eq_u32_sdwa s[2:3], v2, v19 src0_sel:WORD_0 src1_sel:DWORD
	s_nop 1
	v_cndmask_b32_e64 v95, v3, v2, s[2:3]
	s_or_b64 exec, exec, s[14:15]
	s_and_saveexec_b64 s[2:3], vcc
	s_cbranch_execz .LBB159_40
.LBB159_312:                            ;   in Loop: Header=BB159_41 Depth=1
	v_mov_b32_e32 v29, v19
	v_lshl_add_u64 v[2:3], v[6:7], 0, v[28:29]
	global_load_dwordx4 v[2:5], v[2:3], off
	s_waitcnt vmcnt(0)
	v_lshrrev_b32_e32 v7, 16, v2
	v_lshrrev_b32_e32 v96, 16, v3
	;; [unrolled: 1-line block ×4, first 2 shown]
	s_and_saveexec_b64 s[14:15], s[0:1]
	s_cbranch_execz .LBB159_314
; %bb.313:                              ;   in Loop: Header=BB159_41 Depth=1
	v_cmp_gt_i32_e64 s[0:1], s33, v44
	v_add_u32_e32 v44, -6, v34
	s_nop 0
	v_cndmask_b32_e64 v2, 0, v2, s[0:1]
	v_cmp_gt_i32_e64 s[0:1], s33, v44
	v_add_u32_e32 v44, -5, v34
	s_nop 0
	v_cndmask_b32_e64 v7, 0, v7, s[0:1]
	;; [unrolled: 4-line block ×6, first 2 shown]
	v_cmp_gt_i32_e64 s[0:1], s33, v44
	s_nop 1
	v_cndmask_b32_e64 v5, 0, v5, s[0:1]
	v_cmp_gt_i32_e64 s[0:1], s33, v34
	s_nop 1
	v_cndmask_b32_e64 v6, 0, v6, s[0:1]
.LBB159_314:                            ;   in Loop: Header=BB159_41 Depth=1
	s_or_b64 exec, exec, s[14:15]
	v_lshlrev_b32_e32 v2, 16, v2
	v_mul_f32_e32 v44, v45, v2
	v_and_b32_e32 v2, 0x7f800000, v44
	v_cmp_ne_u32_e64 s[0:1], s20, v2
                                        ; implicit-def: $vgpr2
	s_and_saveexec_b64 s[14:15], s[0:1]
	s_xor_b64 s[0:1], exec, s[14:15]
; %bb.315:                              ;   in Loop: Header=BB159_41 Depth=1
	v_bfe_u32 v2, v44, 16, 1
	v_add3_u32 v2, v44, v2, s21
                                        ; implicit-def: $vgpr44
; %bb.316:                              ;   in Loop: Header=BB159_41 Depth=1
	s_andn2_saveexec_b64 s[14:15], s[0:1]
; %bb.317:                              ;   in Loop: Header=BB159_41 Depth=1
	v_or_b32_e32 v2, 0x10000, v44
	v_cmp_eq_u32_sdwa s[0:1], v44, v19 src0_sel:WORD_0 src1_sel:DWORD
	s_nop 1
	v_cndmask_b32_e64 v2, v2, v44, s[0:1]
; %bb.318:                              ;   in Loop: Header=BB159_41 Depth=1
	s_or_b64 exec, exec, s[14:15]
	v_lshlrev_b32_e32 v7, 16, v7
	v_mul_f32_e32 v44, v46, v7
	v_and_b32_e32 v7, 0x7f800000, v44
	v_cmp_ne_u32_e64 s[0:1], s20, v7
                                        ; implicit-def: $vgpr7
	s_and_saveexec_b64 s[14:15], s[0:1]
	s_xor_b64 s[0:1], exec, s[14:15]
; %bb.319:                              ;   in Loop: Header=BB159_41 Depth=1
	v_bfe_u32 v7, v44, 16, 1
	v_add3_u32 v7, v44, v7, s21
                                        ; implicit-def: $vgpr44
; %bb.320:                              ;   in Loop: Header=BB159_41 Depth=1
	s_andn2_saveexec_b64 s[14:15], s[0:1]
; %bb.321:                              ;   in Loop: Header=BB159_41 Depth=1
	v_or_b32_e32 v7, 0x10000, v44
	v_cmp_eq_u32_sdwa s[0:1], v44, v19 src0_sel:WORD_0 src1_sel:DWORD
	s_nop 1
	v_cndmask_b32_e64 v7, v7, v44, s[0:1]
; %bb.322:                              ;   in Loop: Header=BB159_41 Depth=1
	s_or_b64 exec, exec, s[14:15]
	v_lshlrev_b32_e32 v3, 16, v3
	v_mul_f32_e32 v44, v47, v3
	v_and_b32_e32 v3, 0x7f800000, v44
	v_cmp_ne_u32_e64 s[0:1], s20, v3
                                        ; implicit-def: $vgpr3
	s_and_saveexec_b64 s[14:15], s[0:1]
	s_xor_b64 s[0:1], exec, s[14:15]
; %bb.323:                              ;   in Loop: Header=BB159_41 Depth=1
	v_bfe_u32 v3, v44, 16, 1
	v_add3_u32 v3, v44, v3, s21
                                        ; implicit-def: $vgpr44
; %bb.324:                              ;   in Loop: Header=BB159_41 Depth=1
	s_andn2_saveexec_b64 s[14:15], s[0:1]
; %bb.325:                              ;   in Loop: Header=BB159_41 Depth=1
	v_or_b32_e32 v3, 0x10000, v44
	v_cmp_eq_u32_sdwa s[0:1], v44, v19 src0_sel:WORD_0 src1_sel:DWORD
	s_nop 1
	v_cndmask_b32_e64 v3, v3, v44, s[0:1]
; %bb.326:                              ;   in Loop: Header=BB159_41 Depth=1
	s_or_b64 exec, exec, s[14:15]
	v_lshlrev_b32_e32 v44, 16, v96
	v_mul_f32_e32 v45, v48, v44
	v_and_b32_e32 v44, 0x7f800000, v45
	v_cmp_ne_u32_e64 s[0:1], s20, v44
                                        ; implicit-def: $vgpr44
	s_and_saveexec_b64 s[14:15], s[0:1]
	s_xor_b64 s[0:1], exec, s[14:15]
; %bb.327:                              ;   in Loop: Header=BB159_41 Depth=1
	v_bfe_u32 v44, v45, 16, 1
	v_add3_u32 v44, v45, v44, s21
                                        ; implicit-def: $vgpr45
; %bb.328:                              ;   in Loop: Header=BB159_41 Depth=1
	s_andn2_saveexec_b64 s[14:15], s[0:1]
; %bb.329:                              ;   in Loop: Header=BB159_41 Depth=1
	v_or_b32_e32 v44, 0x10000, v45
	v_cmp_eq_u32_sdwa s[0:1], v45, v19 src0_sel:WORD_0 src1_sel:DWORD
	s_nop 1
	v_cndmask_b32_e64 v44, v44, v45, s[0:1]
; %bb.330:                              ;   in Loop: Header=BB159_41 Depth=1
	s_or_b64 exec, exec, s[14:15]
	v_lshlrev_b32_e32 v4, 16, v4
	v_mul_f32_e32 v45, v49, v4
	v_and_b32_e32 v4, 0x7f800000, v45
	v_cmp_ne_u32_e64 s[0:1], s20, v4
                                        ; implicit-def: $vgpr4
	s_and_saveexec_b64 s[14:15], s[0:1]
	s_xor_b64 s[0:1], exec, s[14:15]
; %bb.331:                              ;   in Loop: Header=BB159_41 Depth=1
	v_bfe_u32 v4, v45, 16, 1
	v_add3_u32 v4, v45, v4, s21
                                        ; implicit-def: $vgpr45
; %bb.332:                              ;   in Loop: Header=BB159_41 Depth=1
	s_andn2_saveexec_b64 s[14:15], s[0:1]
; %bb.333:                              ;   in Loop: Header=BB159_41 Depth=1
	v_or_b32_e32 v4, 0x10000, v45
	v_cmp_eq_u32_sdwa s[0:1], v45, v19 src0_sel:WORD_0 src1_sel:DWORD
	s_nop 1
	v_cndmask_b32_e64 v4, v4, v45, s[0:1]
; %bb.334:                              ;   in Loop: Header=BB159_41 Depth=1
	s_or_b64 exec, exec, s[14:15]
	v_lshlrev_b32_e32 v29, 16, v29
	v_mul_f32_e32 v45, v50, v29
	v_and_b32_e32 v29, 0x7f800000, v45
	v_cmp_ne_u32_e64 s[0:1], s20, v29
                                        ; implicit-def: $vgpr29
	s_and_saveexec_b64 s[14:15], s[0:1]
	s_xor_b64 s[0:1], exec, s[14:15]
; %bb.335:                              ;   in Loop: Header=BB159_41 Depth=1
	v_bfe_u32 v29, v45, 16, 1
	v_add3_u32 v29, v45, v29, s21
                                        ; implicit-def: $vgpr45
; %bb.336:                              ;   in Loop: Header=BB159_41 Depth=1
	s_andn2_saveexec_b64 s[14:15], s[0:1]
; %bb.337:                              ;   in Loop: Header=BB159_41 Depth=1
	v_or_b32_e32 v29, 0x10000, v45
	v_cmp_eq_u32_sdwa s[0:1], v45, v19 src0_sel:WORD_0 src1_sel:DWORD
	s_nop 1
	v_cndmask_b32_e64 v29, v29, v45, s[0:1]
; %bb.338:                              ;   in Loop: Header=BB159_41 Depth=1
	s_or_b64 exec, exec, s[14:15]
	v_lshlrev_b32_e32 v5, 16, v5
	v_mul_f32_e32 v45, v51, v5
	v_and_b32_e32 v5, 0x7f800000, v45
	v_cmp_ne_u32_e64 s[0:1], s20, v5
                                        ; implicit-def: $vgpr5
	s_and_saveexec_b64 s[14:15], s[0:1]
	s_xor_b64 s[0:1], exec, s[14:15]
; %bb.339:                              ;   in Loop: Header=BB159_41 Depth=1
	v_bfe_u32 v5, v45, 16, 1
	v_add3_u32 v5, v45, v5, s21
                                        ; implicit-def: $vgpr45
; %bb.340:                              ;   in Loop: Header=BB159_41 Depth=1
	s_andn2_saveexec_b64 s[14:15], s[0:1]
; %bb.341:                              ;   in Loop: Header=BB159_41 Depth=1
	v_or_b32_e32 v5, 0x10000, v45
	v_cmp_eq_u32_sdwa s[0:1], v45, v19 src0_sel:WORD_0 src1_sel:DWORD
	s_nop 1
	v_cndmask_b32_e64 v5, v5, v45, s[0:1]
; %bb.342:                              ;   in Loop: Header=BB159_41 Depth=1
	s_or_b64 exec, exec, s[14:15]
	v_lshlrev_b32_e32 v6, 16, v6
	v_mul_f32_e32 v6, v52, v6
	v_and_b32_e32 v45, 0x7f800000, v6
	v_cmp_ne_u32_e64 s[0:1], s20, v45
                                        ; implicit-def: $vgpr45
	s_and_saveexec_b64 s[14:15], s[0:1]
	s_xor_b64 s[0:1], exec, s[14:15]
; %bb.343:                              ;   in Loop: Header=BB159_41 Depth=1
	v_bfe_u32 v45, v6, 16, 1
	v_add3_u32 v45, v6, v45, s21
                                        ; implicit-def: $vgpr6
; %bb.344:                              ;   in Loop: Header=BB159_41 Depth=1
	s_andn2_saveexec_b64 s[14:15], s[0:1]
	s_cbranch_execz .LBB159_39
; %bb.345:                              ;   in Loop: Header=BB159_41 Depth=1
	v_or_b32_e32 v45, 0x10000, v6
	v_cmp_eq_u32_sdwa s[0:1], v6, v19 src0_sel:WORD_0 src1_sel:DWORD
	s_nop 1
	v_cndmask_b32_e64 v45, v45, v6, s[0:1]
	s_branch .LBB159_39
.LBB159_346:
	s_or_b64 exec, exec, s[12:13]
.LBB159_347:
	s_or_b64 exec, exec, s[8:9]
	ds_bpermute_b32 v2, v30, v16
	ds_bpermute_b32 v3, v30, v17
	;; [unrolled: 1-line block ×6, first 2 shown]
	s_waitcnt lgkmcnt(4)
	v_pk_add_f32 v[2:3], v[16:17], v[2:3]
	ds_bpermute_b32 v16, v30, v10
	ds_bpermute_b32 v17, v30, v11
	s_waitcnt lgkmcnt(4)
	v_pk_add_f32 v[4:5], v[14:15], v[4:5]
	s_waitcnt lgkmcnt(2)
	v_pk_add_f32 v[12:13], v[12:13], v[8:9]
	ds_bpermute_b32 v6, v31, v2
	ds_bpermute_b32 v7, v31, v3
	s_waitcnt lgkmcnt(2)
	v_pk_add_f32 v[10:11], v[10:11], v[16:17]
	ds_bpermute_b32 v14, v31, v4
	ds_bpermute_b32 v15, v31, v5
	;; [unrolled: 1-line block ×6, first 2 shown]
	v_and_b32_e32 v1, 0x3c0, v0
	s_waitcnt lgkmcnt(6)
	v_pk_add_f32 v[8:9], v[2:3], v[6:7]
	s_waitcnt lgkmcnt(4)
	v_pk_add_f32 v[4:5], v[4:5], v[14:15]
	;; [unrolled: 2-line block ×4, first 2 shown]
	v_cmp_eq_u32_e32 vcc, 64, v1
	s_barrier
	s_and_saveexec_b64 s[2:3], vcc
	s_cbranch_execz .LBB159_352
; %bb.348:
	v_cmp_eq_u32_e32 vcc, 0, v32
	s_and_saveexec_b64 s[0:1], vcc
	s_cbranch_execz .LBB159_350
; %bb.349:
	v_mov_b32_e32 v1, 0x100
	v_lshl_add_u32 v1, v33, 2, v1
	ds_write2_b32 v1, v8, v9 offset1:16
	ds_write2_b32 v1, v4, v5 offset0:32 offset1:48
	ds_write2_b32 v1, v2, v3 offset0:64 offset1:80
	ds_write_b32 v1, v6 offset:384
.LBB159_350:
	s_or_b64 exec, exec, s[0:1]
	v_or_b32_e32 v1, 0x70, v33
	s_movk_i32 s0, 0x78
	v_cmp_gt_u32_e64 s[0:1], s0, v1
	s_and_b64 s[0:1], vcc, s[0:1]
	s_and_b64 exec, exec, s[0:1]
	s_cbranch_execz .LBB159_352
; %bb.351:
	v_mov_b32_e32 v1, 0x100
	v_lshl_add_u32 v1, v33, 2, v1
	ds_write_b32 v1, v7 offset:448
.LBB159_352:
	s_or_b64 exec, exec, s[2:3]
	v_cmp_gt_u32_e32 vcc, 64, v0
	v_lshrrev_b32_e32 v10, 2, v0
	s_waitcnt lgkmcnt(0)
	s_barrier
	s_and_saveexec_b64 s[6:7], vcc
	s_cbranch_execz .LBB159_364
; %bb.353:
	v_cmp_eq_u32_e64 s[0:1], 0, v32
	s_and_saveexec_b64 s[2:3], s[0:1]
	s_cbranch_execnz .LBB159_402
; %bb.354:
	s_or_b64 exec, exec, s[2:3]
	s_and_saveexec_b64 s[2:3], s[0:1]
	s_cbranch_execnz .LBB159_403
.LBB159_355:
	s_or_b64 exec, exec, s[2:3]
	s_and_saveexec_b64 s[2:3], s[0:1]
	s_cbranch_execnz .LBB159_404
.LBB159_356:
	s_or_b64 exec, exec, s[2:3]
	s_and_saveexec_b64 s[2:3], s[0:1]
	s_cbranch_execnz .LBB159_405
.LBB159_357:
	s_or_b64 exec, exec, s[2:3]
	s_and_saveexec_b64 s[2:3], s[0:1]
	s_cbranch_execnz .LBB159_406
.LBB159_358:
	s_or_b64 exec, exec, s[2:3]
	s_and_saveexec_b64 s[2:3], s[0:1]
	s_cbranch_execnz .LBB159_407
.LBB159_359:
	s_or_b64 exec, exec, s[2:3]
	s_and_saveexec_b64 s[2:3], s[0:1]
	s_cbranch_execz .LBB159_361
.LBB159_360:
	v_mov_b32_e32 v0, 0x100
	v_lshl_add_u32 v0, v10, 2, v0
	ds_read_b32 v0, v0 offset:384
	s_waitcnt lgkmcnt(0)
	v_add_f32_e32 v6, v6, v0
.LBB159_361:
	s_or_b64 exec, exec, s[2:3]
	v_or_b32_e32 v0, 0x70, v10
	s_movk_i32 s2, 0x78
	v_cmp_gt_u32_e64 s[2:3], s2, v0
	s_and_b64 s[2:3], s[0:1], s[2:3]
	s_and_saveexec_b64 s[0:1], s[2:3]
	s_cbranch_execz .LBB159_363
; %bb.362:
	v_mov_b32_e32 v0, 0x100
	v_lshl_add_u32 v0, v10, 2, v0
	ds_read_b32 v0, v0 offset:448
	s_waitcnt lgkmcnt(0)
	v_add_f32_e32 v7, v7, v0
.LBB159_363:
	s_or_b64 exec, exec, s[0:1]
.LBB159_364:
	s_or_b64 exec, exec, s[6:7]
	s_barrier
	s_and_saveexec_b64 s[0:1], vcc
	s_cbranch_execz .LBB159_401
; %bb.365:
	s_mul_i32 s0, s10, s11
	s_mul_i32 s0, s0, s5
	s_mulk_i32 s0, 0x78
	s_ashr_i32 s1, s0, 31
	s_lshl_b64 s[0:1], s[0:1], 1
	s_add_u32 s2, s18, s0
	s_mul_i32 s0, s11, s16
	s_addc_u32 s3, s19, s1
	s_ashr_i32 s1, s0, 31
	s_lshl_b64 s[0:1], s[0:1], 1
	s_add_u32 s2, s2, s0
	s_mul_i32 s0, s4, 0x78
	s_addc_u32 s3, s3, s1
	s_ashr_i32 s1, s0, 31
	s_lshl_b64 s[0:1], s[0:1], 1
	s_add_u32 s2, s2, s0
	s_addc_u32 s3, s3, s1
	v_cmp_eq_u32_e32 vcc, 0, v32
	s_and_saveexec_b64 s[4:5], vcc
	s_cbranch_execz .LBB159_395
; %bb.366:
	s_mov_b32 s0, 0x7f800000
	v_and_b32_e32 v0, 0x7f800000, v8
	v_cmp_ne_u32_e64 s[0:1], s0, v0
                                        ; implicit-def: $vgpr11
	s_and_saveexec_b64 s[6:7], s[0:1]
	s_xor_b64 s[0:1], exec, s[6:7]
; %bb.367:
	v_bfe_u32 v0, v8, 16, 1
	s_movk_i32 s6, 0x7fff
	v_add3_u32 v11, v8, v0, s6
; %bb.368:
	s_andn2_saveexec_b64 s[6:7], s[0:1]
; %bb.369:
	v_mov_b32_e32 v0, 0
	v_or_b32_e32 v1, 0x10000, v8
	v_cmp_eq_u32_sdwa s[0:1], v8, v0 src0_sel:WORD_0 src1_sel:DWORD
	s_nop 1
	v_cndmask_b32_e64 v11, v1, v8, s[0:1]
; %bb.370:
	s_or_b64 exec, exec, s[6:7]
	s_mov_b32 s0, 0x7f800000
	v_and_b32_e32 v8, 0x7f800000, v9
	v_lshlrev_b32_e32 v0, 1, v10
	v_mov_b32_e32 v1, 0
	v_cmp_ne_u32_e64 s[0:1], s0, v8
	global_store_short_d16_hi v0, v11, s[2:3]
                                        ; implicit-def: $vgpr8
	s_and_saveexec_b64 s[6:7], s[0:1]
	s_xor_b64 s[0:1], exec, s[6:7]
; %bb.371:
	v_bfe_u32 v8, v9, 16, 1
	s_movk_i32 s6, 0x7fff
	v_add3_u32 v8, v9, v8, s6
; %bb.372:
	s_or_saveexec_b64 s[6:7], s[0:1]
	v_lshl_add_u64 v[0:1], s[2:3], 0, v[0:1]
	s_xor_b64 exec, exec, s[6:7]
; %bb.373:
	v_mov_b32_e32 v8, 0
	v_or_b32_e32 v11, 0x10000, v9
	v_cmp_eq_u32_sdwa s[0:1], v9, v8 src0_sel:WORD_0 src1_sel:DWORD
	s_nop 1
	v_cndmask_b32_e64 v8, v11, v9, s[0:1]
; %bb.374:
	s_or_b64 exec, exec, s[6:7]
	global_store_short_d16_hi v[0:1], v8, off offset:32
	s_mov_b32 s0, 0x7f800000
	v_and_b32_e32 v8, 0x7f800000, v4
	v_cmp_ne_u32_e64 s[0:1], s0, v8
                                        ; implicit-def: $vgpr8
	s_and_saveexec_b64 s[6:7], s[0:1]
	s_xor_b64 s[0:1], exec, s[6:7]
; %bb.375:
	v_bfe_u32 v8, v4, 16, 1
	s_movk_i32 s6, 0x7fff
	v_add3_u32 v8, v4, v8, s6
; %bb.376:
	s_andn2_saveexec_b64 s[6:7], s[0:1]
; %bb.377:
	v_mov_b32_e32 v8, 0
	v_or_b32_e32 v9, 0x10000, v4
	v_cmp_eq_u32_sdwa s[0:1], v4, v8 src0_sel:WORD_0 src1_sel:DWORD
	s_nop 1
	v_cndmask_b32_e64 v8, v9, v4, s[0:1]
; %bb.378:
	s_or_b64 exec, exec, s[6:7]
	s_mov_b32 s0, 0x7f800000
	v_and_b32_e32 v4, 0x7f800000, v5
	v_cmp_ne_u32_e64 s[0:1], s0, v4
	global_store_short_d16_hi v[0:1], v8, off offset:64
                                        ; implicit-def: $vgpr4
	s_and_saveexec_b64 s[6:7], s[0:1]
	s_xor_b64 s[0:1], exec, s[6:7]
; %bb.379:
	v_bfe_u32 v4, v5, 16, 1
	s_movk_i32 s6, 0x7fff
	v_add3_u32 v4, v5, v4, s6
; %bb.380:
	s_andn2_saveexec_b64 s[6:7], s[0:1]
; %bb.381:
	v_mov_b32_e32 v4, 0
	v_or_b32_e32 v8, 0x10000, v5
	v_cmp_eq_u32_sdwa s[0:1], v5, v4 src0_sel:WORD_0 src1_sel:DWORD
	s_nop 1
	v_cndmask_b32_e64 v4, v8, v5, s[0:1]
; %bb.382:
	s_or_b64 exec, exec, s[6:7]
	global_store_short_d16_hi v[0:1], v4, off offset:96
	s_mov_b32 s0, 0x7f800000
	v_and_b32_e32 v4, 0x7f800000, v2
	v_cmp_ne_u32_e64 s[0:1], s0, v4
                                        ; implicit-def: $vgpr4
	s_and_saveexec_b64 s[6:7], s[0:1]
	s_xor_b64 s[0:1], exec, s[6:7]
; %bb.383:
	v_bfe_u32 v4, v2, 16, 1
	s_movk_i32 s6, 0x7fff
	v_add3_u32 v4, v2, v4, s6
; %bb.384:
	s_andn2_saveexec_b64 s[6:7], s[0:1]
; %bb.385:
	v_mov_b32_e32 v4, 0
	v_or_b32_e32 v5, 0x10000, v2
	v_cmp_eq_u32_sdwa s[0:1], v2, v4 src0_sel:WORD_0 src1_sel:DWORD
	s_nop 1
	v_cndmask_b32_e64 v4, v5, v2, s[0:1]
; %bb.386:
	s_or_b64 exec, exec, s[6:7]
	s_mov_b32 s0, 0x7f800000
	v_and_b32_e32 v2, 0x7f800000, v3
	v_cmp_ne_u32_e64 s[0:1], s0, v2
	global_store_short_d16_hi v[0:1], v4, off offset:128
                                        ; implicit-def: $vgpr2
	s_and_saveexec_b64 s[6:7], s[0:1]
	s_xor_b64 s[0:1], exec, s[6:7]
; %bb.387:
	v_bfe_u32 v2, v3, 16, 1
	s_movk_i32 s6, 0x7fff
	v_add3_u32 v2, v3, v2, s6
; %bb.388:
	s_andn2_saveexec_b64 s[6:7], s[0:1]
; %bb.389:
	v_mov_b32_e32 v2, 0
	v_or_b32_e32 v4, 0x10000, v3
	v_cmp_eq_u32_sdwa s[0:1], v3, v2 src0_sel:WORD_0 src1_sel:DWORD
	s_nop 1
	v_cndmask_b32_e64 v2, v4, v3, s[0:1]
; %bb.390:
	s_or_b64 exec, exec, s[6:7]
	global_store_short_d16_hi v[0:1], v2, off offset:160
	s_mov_b32 s0, 0x7f800000
	v_and_b32_e32 v2, 0x7f800000, v6
	v_cmp_ne_u32_e64 s[0:1], s0, v2
                                        ; implicit-def: $vgpr2
	s_and_saveexec_b64 s[6:7], s[0:1]
	s_xor_b64 s[0:1], exec, s[6:7]
; %bb.391:
	v_bfe_u32 v2, v6, 16, 1
	s_movk_i32 s6, 0x7fff
	v_add3_u32 v2, v6, v2, s6
; %bb.392:
	s_andn2_saveexec_b64 s[6:7], s[0:1]
; %bb.393:
	v_mov_b32_e32 v2, 0
	v_or_b32_e32 v3, 0x10000, v6
	v_cmp_eq_u32_sdwa s[0:1], v6, v2 src0_sel:WORD_0 src1_sel:DWORD
	s_nop 1
	v_cndmask_b32_e64 v2, v3, v6, s[0:1]
; %bb.394:
	s_or_b64 exec, exec, s[6:7]
	global_store_short_d16_hi v[0:1], v2, off offset:192
.LBB159_395:
	s_or_b64 exec, exec, s[4:5]
	v_or_b32_e32 v0, 0x70, v10
	s_movk_i32 s0, 0x78
	v_cmp_gt_u32_e64 s[0:1], s0, v0
	s_and_b64 s[0:1], vcc, s[0:1]
	s_and_b64 exec, exec, s[0:1]
	s_cbranch_execz .LBB159_401
; %bb.396:
	s_mov_b32 s0, 0x7f800000
	v_and_b32_e32 v0, 0x7f800000, v7
	v_cmp_ne_u32_e32 vcc, s0, v0
                                        ; implicit-def: $vgpr8
	s_and_saveexec_b64 s[0:1], vcc
	s_xor_b64 s[0:1], exec, s[0:1]
; %bb.397:
	v_bfe_u32 v0, v7, 16, 1
	s_movk_i32 s4, 0x7fff
	v_add3_u32 v8, v7, v0, s4
                                        ; implicit-def: $vgpr0_vgpr1_vgpr2_vgpr3_vgpr4_vgpr5_vgpr6_vgpr7
; %bb.398:
	s_andn2_saveexec_b64 s[0:1], s[0:1]
; %bb.399:
	v_mov_b32_e32 v0, 0
	v_or_b32_e32 v1, 0x10000, v7
	v_cmp_eq_u32_sdwa vcc, v7, v0 src0_sel:WORD_0 src1_sel:DWORD
	s_nop 1
	v_cndmask_b32_e32 v8, v1, v7, vcc
; %bb.400:
	s_or_b64 exec, exec, s[0:1]
	v_lshlrev_b32_e32 v0, 1, v10
	global_store_short_d16_hi v0, v8, s[2:3] offset:224
.LBB159_401:
	s_endpgm
.LBB159_402:
	v_mov_b32_e32 v0, 0x100
	v_lshl_add_u32 v0, v10, 2, v0
	ds_read_b32 v0, v0
	s_waitcnt lgkmcnt(0)
	v_add_f32_e32 v8, v8, v0
	s_or_b64 exec, exec, s[2:3]
	s_and_saveexec_b64 s[2:3], s[0:1]
	s_cbranch_execz .LBB159_355
.LBB159_403:
	v_mov_b32_e32 v0, 0x100
	v_lshl_add_u32 v0, v10, 2, v0
	ds_read_b32 v0, v0 offset:64
	s_waitcnt lgkmcnt(0)
	v_add_f32_e32 v9, v9, v0
	s_or_b64 exec, exec, s[2:3]
	s_and_saveexec_b64 s[2:3], s[0:1]
	s_cbranch_execz .LBB159_356
.LBB159_404:
	v_mov_b32_e32 v0, 0x100
	v_lshl_add_u32 v0, v10, 2, v0
	ds_read_b32 v0, v0 offset:128
	s_waitcnt lgkmcnt(0)
	v_add_f32_e32 v4, v4, v0
	s_or_b64 exec, exec, s[2:3]
	s_and_saveexec_b64 s[2:3], s[0:1]
	s_cbranch_execz .LBB159_357
.LBB159_405:
	v_mov_b32_e32 v0, 0x100
	v_lshl_add_u32 v0, v10, 2, v0
	ds_read_b32 v0, v0 offset:192
	s_waitcnt lgkmcnt(0)
	v_add_f32_e32 v5, v5, v0
	s_or_b64 exec, exec, s[2:3]
	s_and_saveexec_b64 s[2:3], s[0:1]
	s_cbranch_execz .LBB159_358
.LBB159_406:
	v_mov_b32_e32 v0, 0x100
	v_lshl_add_u32 v0, v10, 2, v0
	ds_read_b32 v0, v0 offset:256
	s_waitcnt lgkmcnt(0)
	v_add_f32_e32 v2, v2, v0
	s_or_b64 exec, exec, s[2:3]
	s_and_saveexec_b64 s[2:3], s[0:1]
	s_cbranch_execz .LBB159_359
.LBB159_407:
	v_mov_b32_e32 v0, 0x100
	v_lshl_add_u32 v0, v10, 2, v0
	ds_read_b32 v0, v0 offset:320
	s_waitcnt lgkmcnt(0)
	v_add_f32_e32 v3, v3, v0
	s_or_b64 exec, exec, s[2:3]
	s_and_saveexec_b64 s[2:3], s[0:1]
	s_cbranch_execnz .LBB159_360
	s_branch .LBB159_361
	.section	.rodata,"a",@progbits
	.p2align	6, 0x0
	.amdhsa_kernel _ZN4vllm25paged_attention_v1_kernelI14__hip_bfloat16S1_Li120ELi32ELi128ELNS_18Fp8KVCacheDataTypeE0ELb0EEEvPT_PKS3_PKT0_S9_ifPKiSB_iPKfiiiSD_SD_iiiii
		.amdhsa_group_segment_fixed_size 256
		.amdhsa_private_segment_fixed_size 0
		.amdhsa_kernarg_size 384
		.amdhsa_user_sgpr_count 2
		.amdhsa_user_sgpr_dispatch_ptr 0
		.amdhsa_user_sgpr_queue_ptr 0
		.amdhsa_user_sgpr_kernarg_segment_ptr 1
		.amdhsa_user_sgpr_dispatch_id 0
		.amdhsa_user_sgpr_kernarg_preload_length 0
		.amdhsa_user_sgpr_kernarg_preload_offset 0
		.amdhsa_user_sgpr_private_segment_size 0
		.amdhsa_uses_dynamic_stack 0
		.amdhsa_enable_private_segment 0
		.amdhsa_system_sgpr_workgroup_id_x 1
		.amdhsa_system_sgpr_workgroup_id_y 1
		.amdhsa_system_sgpr_workgroup_id_z 1
		.amdhsa_system_sgpr_workgroup_info 0
		.amdhsa_system_vgpr_workitem_id 0
		.amdhsa_next_free_vgpr 110
		.amdhsa_next_free_sgpr 35
		.amdhsa_accum_offset 112
		.amdhsa_reserve_vcc 1
		.amdhsa_float_round_mode_32 0
		.amdhsa_float_round_mode_16_64 0
		.amdhsa_float_denorm_mode_32 3
		.amdhsa_float_denorm_mode_16_64 3
		.amdhsa_dx10_clamp 1
		.amdhsa_ieee_mode 1
		.amdhsa_fp16_overflow 0
		.amdhsa_tg_split 0
		.amdhsa_exception_fp_ieee_invalid_op 0
		.amdhsa_exception_fp_denorm_src 0
		.amdhsa_exception_fp_ieee_div_zero 0
		.amdhsa_exception_fp_ieee_overflow 0
		.amdhsa_exception_fp_ieee_underflow 0
		.amdhsa_exception_fp_ieee_inexact 0
		.amdhsa_exception_int_div_zero 0
	.end_amdhsa_kernel
	.section	.text._ZN4vllm25paged_attention_v1_kernelI14__hip_bfloat16S1_Li120ELi32ELi128ELNS_18Fp8KVCacheDataTypeE0ELb0EEEvPT_PKS3_PKT0_S9_ifPKiSB_iPKfiiiSD_SD_iiiii,"axG",@progbits,_ZN4vllm25paged_attention_v1_kernelI14__hip_bfloat16S1_Li120ELi32ELi128ELNS_18Fp8KVCacheDataTypeE0ELb0EEEvPT_PKS3_PKT0_S9_ifPKiSB_iPKfiiiSD_SD_iiiii,comdat
.Lfunc_end159:
	.size	_ZN4vllm25paged_attention_v1_kernelI14__hip_bfloat16S1_Li120ELi32ELi128ELNS_18Fp8KVCacheDataTypeE0ELb0EEEvPT_PKS3_PKT0_S9_ifPKiSB_iPKfiiiSD_SD_iiiii, .Lfunc_end159-_ZN4vllm25paged_attention_v1_kernelI14__hip_bfloat16S1_Li120ELi32ELi128ELNS_18Fp8KVCacheDataTypeE0ELb0EEEvPT_PKS3_PKT0_S9_ifPKiSB_iPKfiiiSD_SD_iiiii
                                        ; -- End function
	.section	.AMDGPU.csdata,"",@progbits
; Kernel info:
; codeLenInByte = 14520
; NumSgprs: 41
; NumVgprs: 110
; NumAgprs: 0
; TotalNumVgprs: 110
; ScratchSize: 0
; MemoryBound: 0
; FloatMode: 240
; IeeeMode: 1
; LDSByteSize: 256 bytes/workgroup (compile time only)
; SGPRBlocks: 5
; VGPRBlocks: 13
; NumSGPRsForWavesPerEU: 41
; NumVGPRsForWavesPerEU: 110
; AccumOffset: 112
; Occupancy: 4
; WaveLimiterHint : 1
; COMPUTE_PGM_RSRC2:SCRATCH_EN: 0
; COMPUTE_PGM_RSRC2:USER_SGPR: 2
; COMPUTE_PGM_RSRC2:TRAP_HANDLER: 0
; COMPUTE_PGM_RSRC2:TGID_X_EN: 1
; COMPUTE_PGM_RSRC2:TGID_Y_EN: 1
; COMPUTE_PGM_RSRC2:TGID_Z_EN: 1
; COMPUTE_PGM_RSRC2:TIDIG_COMP_CNT: 0
; COMPUTE_PGM_RSRC3_GFX90A:ACCUM_OFFSET: 27
; COMPUTE_PGM_RSRC3_GFX90A:TG_SPLIT: 0
	.section	.text._ZN4vllm25paged_attention_v1_kernelI14__hip_bfloat16S1_Li128ELi32ELi128ELNS_18Fp8KVCacheDataTypeE0ELb0EEEvPT_PKS3_PKT0_S9_ifPKiSB_iPKfiiiSD_SD_iiiii,"axG",@progbits,_ZN4vllm25paged_attention_v1_kernelI14__hip_bfloat16S1_Li128ELi32ELi128ELNS_18Fp8KVCacheDataTypeE0ELb0EEEvPT_PKS3_PKT0_S9_ifPKiSB_iPKfiiiSD_SD_iiiii,comdat
	.protected	_ZN4vllm25paged_attention_v1_kernelI14__hip_bfloat16S1_Li128ELi32ELi128ELNS_18Fp8KVCacheDataTypeE0ELb0EEEvPT_PKS3_PKT0_S9_ifPKiSB_iPKfiiiSD_SD_iiiii ; -- Begin function _ZN4vllm25paged_attention_v1_kernelI14__hip_bfloat16S1_Li128ELi32ELi128ELNS_18Fp8KVCacheDataTypeE0ELb0EEEvPT_PKS3_PKT0_S9_ifPKiSB_iPKfiiiSD_SD_iiiii
	.globl	_ZN4vllm25paged_attention_v1_kernelI14__hip_bfloat16S1_Li128ELi32ELi128ELNS_18Fp8KVCacheDataTypeE0ELb0EEEvPT_PKS3_PKT0_S9_ifPKiSB_iPKfiiiSD_SD_iiiii
	.p2align	8
	.type	_ZN4vllm25paged_attention_v1_kernelI14__hip_bfloat16S1_Li128ELi32ELi128ELNS_18Fp8KVCacheDataTypeE0ELb0EEEvPT_PKS3_PKT0_S9_ifPKiSB_iPKfiiiSD_SD_iiiii,@function
_ZN4vllm25paged_attention_v1_kernelI14__hip_bfloat16S1_Li128ELi32ELi128ELNS_18Fp8KVCacheDataTypeE0ELb0EEEvPT_PKS3_PKT0_S9_ifPKiSB_iPKfiiiSD_SD_iiiii: ; @_ZN4vllm25paged_attention_v1_kernelI14__hip_bfloat16S1_Li128ELi32ELi128ELNS_18Fp8KVCacheDataTypeE0ELb0EEEvPT_PKS3_PKT0_S9_ifPKiSB_iPKfiiiSD_SD_iiiii
; %bb.0:
	s_load_dword s5, s[0:1], 0x80
	s_load_dwordx2 s[6:7], s[0:1], 0x30
	s_load_dwordx2 s[8:9], s[0:1], 0x20
	s_mov_b32 s10, s3
	s_ashr_i32 s11, s3, 31
	s_lshl_b64 s[12:13], s[10:11], 2
	s_waitcnt lgkmcnt(0)
	s_add_u32 s6, s6, s12
	s_addc_u32 s7, s7, s13
	s_abs_i32 s3, s8
	v_cvt_f32_u32_e32 v1, s3
	s_sub_i32 s12, 0, s3
	s_abs_i32 s11, s5
	s_xor_b32 s8, s5, s8
	v_rcp_iflag_f32_e32 v1, v1
	s_ashr_i32 s8, s8, 31
	v_mul_f32_e32 v1, 0x4f7ffffe, v1
	v_cvt_u32_f32_e32 v1, v1
	s_nop 0
	v_readfirstlane_b32 s13, v1
	s_mul_i32 s12, s12, s13
	s_mul_hi_u32 s12, s13, s12
	s_add_i32 s13, s13, s12
	s_mul_hi_u32 s12, s11, s13
	s_mul_i32 s13, s12, s3
	s_sub_i32 s11, s11, s13
	s_add_i32 s13, s12, 1
	s_sub_i32 s14, s11, s3
	s_cmp_ge_u32 s11, s3
	s_cselect_b32 s12, s13, s12
	s_cselect_b32 s11, s14, s11
	s_add_i32 s13, s12, 1
	s_cmp_ge_u32 s11, s3
	s_cselect_b32 s3, s13, s12
	s_xor_b32 s3, s3, s8
	s_sub_i32 s14, s3, s8
	s_abs_i32 s11, s14
	v_cvt_f32_u32_e32 v1, s11
	s_load_dwordx2 s[12:13], s[0:1], 0x40
	s_sub_i32 s3, 0, s11
	s_abs_i32 s18, s2
	v_rcp_iflag_f32_e32 v1, v1
	s_mov_b32 s8, 0
	v_mul_f32_e32 v1, 0x4f7ffffe, v1
	v_cvt_u32_f32_e32 v1, v1
	s_nop 0
	v_readfirstlane_b32 s15, v1
	s_mul_i32 s3, s3, s15
	s_mul_hi_u32 s3, s15, s3
	s_add_i32 s15, s15, s3
	s_waitcnt lgkmcnt(0)
	s_cmp_eq_u64 s[12:13], 0
	s_mul_hi_u32 s19, s18, s15
	s_cbranch_scc1 .LBB160_2
; %bb.1:
	s_ashr_i32 s3, s2, 31
	s_lshl_b64 s[16:17], s[2:3], 2
	s_add_u32 s12, s12, s16
	s_addc_u32 s13, s13, s17
	s_load_dword s8, s[12:13], 0x0
.LBB160_2:
	s_load_dword s33, s[6:7], 0x0
	s_ashr_i32 s7, s14, 31
	s_load_dwordx4 s[12:15], s[0:1], 0x48
	s_ashr_i32 s6, s2, 31
	v_and_b32_e32 v2, 1, v0
	s_lshl_b32 s16, s2, 7
	v_cmp_gt_u32_e32 vcc, 32, v0
	v_lshlrev_b32_e32 v34, 3, v0
	s_and_saveexec_b64 s[2:3], vcc
	s_cbranch_execz .LBB160_4
; %bb.3:
	s_load_dwordx2 s[20:21], s[0:1], 0x8
	s_waitcnt lgkmcnt(0)
	s_mul_i32 s22, s10, s12
	s_ashr_i32 s23, s22, 31
	s_lshl_b64 s[22:23], s[22:23], 1
	v_lshlrev_b32_e32 v1, 2, v0
	s_add_u32 s12, s20, s22
	s_addc_u32 s15, s21, s23
	s_ashr_i32 s17, s16, 31
	s_lshl_b64 s[20:21], s[16:17], 1
	s_add_u32 s20, s12, s20
	s_addc_u32 s21, s15, s21
	global_load_dwordx2 v[4:5], v34, s[20:21]
	v_and_b32_e32 v1, 0xff8, v1
	v_lshl_add_u32 v1, v2, 7, v1
	s_waitcnt vmcnt(0)
	ds_write_b64 v1, v[4:5]
.LBB160_4:
	s_or_b64 exec, exec, s[2:3]
	s_waitcnt lgkmcnt(0)
	s_add_i32 s3, s33, 31
	s_ashr_i32 s12, s3, 31
	s_lshr_b32 s12, s12, 27
	s_add_i32 s3, s3, s12
	s_ashr_i32 s17, s3, 5
	s_xor_b32 s3, s6, s7
	s_mul_i32 s6, s19, s11
	s_sub_i32 s6, s18, s6
	s_add_i32 s7, s19, 1
	s_sub_i32 s12, s6, s11
	s_load_dwordx2 s[20:21], s[0:1], 0x28
	s_load_dword s2, s[0:1], 0x38
	s_cmp_ge_u32 s6, s11
	s_cselect_b32 s7, s7, s19
	s_cselect_b32 s6, s12, s6
	s_add_i32 s12, s7, 1
	s_cmp_ge_u32 s6, s11
	s_cselect_b32 s6, s12, s7
	v_lshrrev_b32_e32 v1, 6, v0
	s_xor_b32 s6, s6, s3
	s_waitcnt lgkmcnt(0)
	s_mul_i32 s22, s10, s2
	s_sub_i32 s12, s6, s3
	s_ashr_i32 s23, s22, 31
	v_cmp_gt_i32_e64 s[6:7], s17, v1
	v_cmp_le_i32_e32 vcc, s17, v1
	v_mbcnt_lo_u32_b32 v4, -1, 0
	s_barrier
	s_waitcnt lgkmcnt(0)
                                        ; implicit-def: $sgpr15
                                        ; implicit-def: $vgpr33
                                        ; implicit-def: $vgpr32
	s_and_saveexec_b64 s[2:3], vcc
	s_xor_b64 s[2:3], exec, s[2:3]
; %bb.5:
	v_mbcnt_hi_u32_b32 v33, -1, v4
	v_and_b32_e32 v2, 64, v33
	v_add_u32_e32 v32, 64, v2
	s_mov_b32 s15, 0xff7fffff
                                        ; implicit-def: $vgpr2
                                        ; implicit-def: $vgpr4
; %bb.6:
	s_or_saveexec_b64 s[26:27], s[2:3]
	s_load_dwordx2 s[18:19], s[0:1], 0x0
	s_load_dwordx2 s[24:25], s[0:1], 0x18
	s_load_dword s11, s[0:1], 0x88
	v_mov_b32_e32 v100, s15
	s_mul_i32 s14, s12, s14
	v_lshrrev_b32_e32 v36, 4, v0
	s_xor_b64 exec, exec, s[26:27]
	s_cbranch_execz .LBB160_12
; %bb.7:
	v_lshlrev_b32_e32 v3, 7, v2
	ds_read_b128 v[6:9], v3
	ds_read_b128 v[10:13], v3 offset:16
	ds_read_b128 v[14:17], v3 offset:32
	;; [unrolled: 1-line block ×3, first 2 shown]
	s_load_dwordx2 s[0:1], s[0:1], 0x10
	s_waitcnt lgkmcnt(0)
	v_lshlrev_b32_e32 v35, 16, v6
	v_and_b32_e32 v37, 0xffff0000, v6
	v_lshlrev_b32_e32 v38, 16, v7
	v_and_b32_e32 v39, 0xffff0000, v7
	;; [unrolled: 2-line block ×4, first 2 shown]
	ds_read_b128 v[6:9], v3 offset:64
	v_lshlrev_b32_e32 v44, 16, v10
	v_and_b32_e32 v45, 0xffff0000, v10
	v_lshlrev_b32_e32 v46, 16, v11
	v_and_b32_e32 v47, 0xffff0000, v11
	;; [unrolled: 2-line block ×4, first 2 shown]
	ds_read_b128 v[10:13], v3 offset:80
	s_waitcnt lgkmcnt(1)
	v_lshlrev_b32_e32 v68, 16, v6
	v_and_b32_e32 v69, 0xffff0000, v6
	v_lshlrev_b32_e32 v70, 16, v7
	v_and_b32_e32 v71, 0xffff0000, v7
	;; [unrolled: 2-line block ×4, first 2 shown]
	ds_read_b128 v[6:9], v3 offset:96
	s_ashr_i32 s15, s14, 31
	s_lshl_b64 s[2:3], s[14:15], 1
	v_mbcnt_hi_u32_b32 v33, -1, v4
	s_add_u32 s0, s0, s2
	v_bfe_u32 v5, v0, 1, 5
	v_and_b32_e32 v4, 64, v33
	s_waitcnt lgkmcnt(1)
	v_lshlrev_b32_e32 v76, 16, v10
	v_and_b32_e32 v77, 0xffff0000, v10
	v_lshlrev_b32_e32 v78, 16, v11
	v_and_b32_e32 v79, 0xffff0000, v11
	;; [unrolled: 2-line block ×4, first 2 shown]
	ds_read_b128 v[10:13], v3 offset:112
	s_waitcnt lgkmcnt(1)
	v_lshlrev_b32_e32 v84, 16, v6
	v_and_b32_e32 v85, 0xffff0000, v6
	v_lshlrev_b32_e32 v86, 16, v7
	v_and_b32_e32 v87, 0xffff0000, v7
	s_addc_u32 s1, s1, s3
	v_lshlrev_b32_e32 v6, 4, v5
	v_mov_b32_e32 v7, 0
	v_add_u32_e32 v32, 64, v4
	v_xor_b32_e32 v4, 1, v33
	v_cmp_eq_u32_e32 vcc, 0, v2
	v_lshl_add_u64 v[2:3], s[0:1], 0, v[6:7]
	v_cmp_lt_i32_e64 s[0:1], v4, v32
	s_sub_i32 s15, 1, s33
	v_and_b32_e32 v6, 8, v34
	v_cndmask_b32_e64 v4, v33, v4, s[0:1]
	s_lshl_b64 s[0:1], s[22:23], 2
	v_lshlrev_b32_e32 v101, 2, v4
	v_lshlrev_b32_e32 v4, 2, v5
	s_add_u32 s0, s20, s0
	v_lshl_add_u64 v[2:3], v[2:3], 0, v[6:7]
	v_lshl_or_b32 v4, v1, 7, v4
	v_and_b32_e32 v6, 60, v36
	s_addc_u32 s1, s21, s1
	v_lshlrev_b32_e32 v52, 16, v14
	v_and_b32_e32 v53, 0xffff0000, v14
	v_lshlrev_b32_e32 v54, 16, v15
	v_and_b32_e32 v55, 0xffff0000, v15
	;; [unrolled: 2-line block ×10, first 2 shown]
	s_waitcnt lgkmcnt(0)
	v_lshlrev_b32_e32 v92, 16, v10
	v_and_b32_e32 v93, 0xffff0000, v10
	v_lshlrev_b32_e32 v94, 16, v11
	v_and_b32_e32 v95, 0xffff0000, v11
	;; [unrolled: 2-line block ×4, first 2 shown]
	s_mov_b32 s12, s13
	v_cmp_neq_f32_e64 s[2:3], s8, 0
	v_lshl_or_b32 v102, v1, 5, v5
	v_add_u32_e32 v103, 0x110, v4
	v_lshl_add_u64 v[4:5], s[0:1], 0, v[6:7]
	s_mov_b64 s[28:29], 0
	s_movk_i32 s34, 0x1000
	v_mov_b32_e32 v100, 0xff7fffff
	v_mov_b32_e32 v104, v1
	s_branch .LBB160_9
.LBB160_8:                              ;   in Loop: Header=BB160_9 Depth=1
	s_or_b64 exec, exec, s[30:31]
	v_add_u32_e32 v104, 2, v104
	v_cmp_le_i32_e64 s[0:1], s17, v104
	v_add_u32_e32 v102, 64, v102
	v_add_u32_e32 v103, 0x100, v103
	s_or_b64 s[28:29], s[0:1], s[28:29]
	v_lshl_add_u64 v[4:5], v[4:5], 0, 8
	s_andn2_b64 exec, exec, s[28:29]
	s_cbranch_execz .LBB160_11
.LBB160_9:                              ; =>This Inner Loop Header: Depth=1
	global_load_dword v6, v[4:5], off
	s_waitcnt vmcnt(0) lgkmcnt(0)
	v_mad_i64_i32 v[6:7], s[0:1], v6, s12, 0
	v_lshl_add_u64 v[6:7], v[6:7], 1, v[2:3]
	global_load_dwordx2 v[106:107], v[6:7], off
	global_load_dwordx2 v[108:109], v[6:7], off offset:512
	global_load_dwordx2 v[110:111], v[6:7], off offset:1024
	;; [unrolled: 1-line block ×7, first 2 shown]
	v_add_co_u32_e64 v6, s[0:1], s34, v6
	s_waitcnt vmcnt(7)
	v_lshlrev_b32_e32 v112, 16, v106
	v_addc_co_u32_e64 v7, s[0:1], 0, v7, s[0:1]
	global_load_dwordx2 v[20:21], v[6:7], off
	global_load_dwordx2 v[18:19], v[6:7], off offset:512
	global_load_dwordx2 v[16:17], v[6:7], off offset:1024
	;; [unrolled: 1-line block ×6, first 2 shown]
	s_nop 0
	global_load_dwordx2 v[6:7], v[6:7], off offset:3584
	s_waitcnt vmcnt(14)
	v_lshlrev_b32_e32 v105, 16, v108
	v_and_b32_e32 v113, 0xffff0000, v106
	v_lshlrev_b32_e32 v114, 16, v107
	v_and_b32_e32 v115, 0xffff0000, v107
	v_and_b32_e32 v106, 0xffff0000, v108
	v_mul_f32_e32 v105, v40, v105
	v_lshlrev_b32_e32 v107, 16, v109
	v_fmac_f32_e32 v105, v35, v112
	v_mul_f32_e32 v106, v41, v106
	v_and_b32_e32 v108, 0xffff0000, v109
	v_mul_f32_e32 v107, v42, v107
	s_waitcnt vmcnt(13)
	v_lshlrev_b32_e32 v109, 16, v110
	v_fmac_f32_e32 v106, v37, v113
	v_fmac_f32_e32 v107, v38, v114
	v_and_b32_e32 v110, 0xffff0000, v110
	v_fmac_f32_e32 v105, v44, v109
	v_lshlrev_b32_e32 v109, 16, v111
	v_fmac_f32_e32 v106, v45, v110
	v_fmac_f32_e32 v107, v46, v109
	s_waitcnt vmcnt(12)
	v_lshlrev_b32_e32 v109, 16, v30
	v_and_b32_e32 v30, 0xffff0000, v30
	v_fmac_f32_e32 v106, v49, v30
	v_lshlrev_b32_e32 v30, 16, v31
	v_fmac_f32_e32 v107, v50, v30
	s_waitcnt vmcnt(11)
	v_lshlrev_b32_e32 v30, 16, v28
	v_and_b32_e32 v28, 0xffff0000, v28
	v_fmac_f32_e32 v106, v53, v28
	v_lshlrev_b32_e32 v28, 16, v29
	;; [unrolled: 6-line block ×5, first 2 shown]
	v_fmac_f32_e32 v107, v66, v22
	v_mul_f32_e32 v108, v43, v108
	v_fmac_f32_e32 v108, v39, v115
	v_and_b32_e32 v110, 0xffff0000, v111
	v_fmac_f32_e32 v105, v48, v109
	v_fmac_f32_e32 v108, v47, v110
	v_and_b32_e32 v31, 0xffff0000, v31
	v_fmac_f32_e32 v105, v52, v30
	;; [unrolled: 3-line block ×6, first 2 shown]
	s_waitcnt vmcnt(7)
	v_lshlrev_b32_e32 v22, 16, v20
	v_and_b32_e32 v20, 0xffff0000, v20
	v_fmac_f32_e32 v106, v69, v20
	v_lshlrev_b32_e32 v20, 16, v21
	v_fmac_f32_e32 v107, v70, v20
	s_waitcnt vmcnt(6)
	v_lshlrev_b32_e32 v20, 16, v18
	v_and_b32_e32 v18, 0xffff0000, v18
	v_fmac_f32_e32 v106, v73, v18
	v_lshlrev_b32_e32 v18, 16, v19
	v_fmac_f32_e32 v107, v74, v18
	;; [unrolled: 6-line block ×4, first 2 shown]
	v_fmac_f32_e32 v107, v82, v14
	s_waitcnt vmcnt(3)
	v_lshlrev_b32_e32 v14, 16, v12
	v_and_b32_e32 v12, 0xffff0000, v12
	v_and_b32_e32 v21, 0xffff0000, v21
	v_fmac_f32_e32 v105, v72, v20
	v_fmac_f32_e32 v106, v85, v12
	v_lshlrev_b32_e32 v12, 16, v13
	v_fmac_f32_e32 v108, v71, v21
	v_and_b32_e32 v19, 0xffff0000, v19
	v_fmac_f32_e32 v105, v76, v18
	v_fmac_f32_e32 v107, v86, v12
	s_waitcnt vmcnt(2)
	v_lshlrev_b32_e32 v12, 16, v10
	v_and_b32_e32 v10, 0xffff0000, v10
	v_fmac_f32_e32 v108, v75, v19
	v_and_b32_e32 v17, 0xffff0000, v17
	v_fmac_f32_e32 v105, v80, v16
	v_fmac_f32_e32 v106, v89, v10
	v_lshlrev_b32_e32 v10, 16, v11
	v_fmac_f32_e32 v108, v79, v17
	v_and_b32_e32 v15, 0xffff0000, v15
	v_fmac_f32_e32 v105, v84, v14
	v_fmac_f32_e32 v107, v90, v10
	s_waitcnt vmcnt(1)
	v_lshlrev_b32_e32 v10, 16, v8
	v_and_b32_e32 v8, 0xffff0000, v8
	v_fmac_f32_e32 v108, v83, v15
	;; [unrolled: 12-line block ×3, first 2 shown]
	v_and_b32_e32 v9, 0xffff0000, v9
	v_fmac_f32_e32 v105, v96, v8
	v_fmac_f32_e32 v106, v97, v6
	v_lshlrev_b32_e32 v6, 16, v7
	v_fmac_f32_e32 v108, v95, v9
	v_and_b32_e32 v7, 0xffff0000, v7
	v_fmac_f32_e32 v107, v98, v6
	v_add_f32_e32 v6, v105, v106
	v_fmac_f32_e32 v108, v99, v7
	v_add_f32_e32 v6, v6, v107
	v_add_f32_e32 v6, v108, v6
	ds_bpermute_b32 v7, v101, v6
	s_and_saveexec_b64 s[30:31], vcc
	s_cbranch_execz .LBB160_8
; %bb.10:                               ;   in Loop: Header=BB160_9 Depth=1
	v_add_u32_e32 v8, s15, v102
	v_cvt_f32_i32_e32 v8, v8
	s_waitcnt lgkmcnt(0)
	v_add_f32_e32 v6, v6, v7
	v_cmp_gt_i32_e64 s[0:1], s33, v102
	v_max_f32_e32 v7, v100, v100
	v_mul_f32_e32 v8, s8, v8
	v_cndmask_b32_e64 v8, 0, v8, s[2:3]
	v_fmac_f32_e32 v8, s9, v6
	v_cndmask_b32_e64 v6, 0, v8, s[0:1]
	ds_write_b32 v103, v6
	v_max_f32_e32 v6, v7, v8
	v_cndmask_b32_e64 v100, v100, v6, s[0:1]
	s_branch .LBB160_8
.LBB160_11:
	s_or_b64 exec, exec, s[28:29]
.LBB160_12:
	s_or_b64 exec, exec, s[26:27]
	v_xor_b32_e32 v2, 32, v33
	v_cmp_lt_i32_e32 vcc, v2, v32
	v_xor_b32_e32 v5, 16, v33
	v_max_f32_e32 v4, v100, v100
	v_cndmask_b32_e32 v2, v33, v2, vcc
	v_lshlrev_b32_e32 v2, 2, v2
	ds_bpermute_b32 v3, v2, v100
	v_cmp_lt_i32_e32 vcc, v5, v32
	v_xor_b32_e32 v6, 8, v33
	s_waitcnt lgkmcnt(0)
	v_xor_b32_e32 v7, 4, v33
	v_xor_b32_e32 v8, 2, v33
	v_max_f32_e32 v3, v3, v3
	v_max_f32_e32 v4, v4, v3
	v_cndmask_b32_e32 v3, v33, v5, vcc
	v_lshlrev_b32_e32 v3, 2, v3
	ds_bpermute_b32 v5, v3, v4
	v_cmp_lt_i32_e32 vcc, v6, v32
	v_and_b32_e32 v30, 63, v0
	s_waitcnt lgkmcnt(0)
	v_max_f32_e32 v5, v5, v5
	v_max_f32_e32 v5, v4, v5
	v_cndmask_b32_e32 v4, v33, v6, vcc
	v_lshlrev_b32_e32 v4, 2, v4
	ds_bpermute_b32 v6, v4, v5
	v_cmp_lt_i32_e32 vcc, v7, v32
	s_waitcnt lgkmcnt(0)
	v_max_f32_e32 v6, v6, v6
	v_max_f32_e32 v6, v5, v6
	v_cndmask_b32_e32 v5, v33, v7, vcc
	v_lshlrev_b32_e32 v5, 2, v5
	ds_bpermute_b32 v7, v5, v6
	v_cmp_lt_i32_e32 vcc, v8, v32
	s_waitcnt lgkmcnt(0)
	v_max_f32_e32 v7, v7, v7
	v_max_f32_e32 v7, v6, v7
	v_cndmask_b32_e32 v6, v33, v8, vcc
	v_lshlrev_b32_e32 v31, 2, v6
	ds_bpermute_b32 v8, v31, v7
	v_cmp_eq_u32_e32 vcc, 0, v30
	v_lshlrev_b32_e32 v6, 2, v1
	s_and_saveexec_b64 s[0:1], vcc
	s_cbranch_execz .LBB160_14
; %bb.13:
	s_waitcnt lgkmcnt(0)
	v_max_f32_e32 v8, v8, v8
	v_max_f32_e32 v7, v7, v7
	;; [unrolled: 1-line block ×3, first 2 shown]
	ds_write_b32 v6, v7 offset:256
.LBB160_14:
	s_or_b64 exec, exec, s[0:1]
	v_cmp_gt_u32_e64 s[0:1], 2, v30
	s_waitcnt lgkmcnt(0)
	v_mov_b32_e32 v8, 0xff7fffff
	v_lshlrev_b32_e32 v7, 2, v30
	s_barrier
	s_and_saveexec_b64 s[2:3], s[0:1]
	s_cbranch_execz .LBB160_16
; %bb.15:
	ds_read_b32 v8, v7 offset:256
.LBB160_16:
	s_or_b64 exec, exec, s[2:3]
	v_xor_b32_e32 v9, 1, v33
	v_cmp_lt_i32_e64 s[2:3], v9, v32
	v_lshlrev_b32_e32 v10, 2, v33
	s_nop 0
	v_cndmask_b32_e64 v9, v33, v9, s[2:3]
	v_lshlrev_b32_e32 v32, 2, v9
	s_waitcnt lgkmcnt(0)
	ds_bpermute_b32 v9, v32, v8
	v_max_f32_e32 v8, v8, v8
	s_lshl_b32 s2, s17, 5
	s_min_i32 s12, s2, s33
	v_cmp_gt_i32_e64 s[2:3], s12, v0
	s_waitcnt lgkmcnt(0)
	v_max_f32_e32 v9, v9, v9
	v_max_f32_e32 v9, v8, v9
	v_and_b32_e32 v8, 0xffffff00, v10
	ds_bpermute_b32 v10, v8, v9
	v_mov_b32_e32 v9, 0
	s_and_saveexec_b64 s[26:27], s[2:3]
	s_cbranch_execz .LBB160_20
; %bb.17:
	v_mov_b32_e32 v9, 0x110
	v_lshl_add_u32 v11, v0, 2, v9
	s_mov_b64 s[28:29], 0
	v_mov_b32_e32 v9, 0
	v_mov_b32_e32 v12, v0
.LBB160_18:                             ; =>This Inner Loop Header: Depth=1
	ds_read_b32 v13, v11
	v_add_u32_e32 v12, 0x80, v12
	v_cmp_le_i32_e64 s[8:9], s12, v12
	s_or_b64 s[28:29], s[8:9], s[28:29]
	s_waitcnt lgkmcnt(0)
	v_sub_f32_e32 v13, v13, v10
	v_mul_f32_e32 v13, 0x3fb8aa3b, v13
	v_exp_f32_e32 v13, v13
	ds_write_b32 v11, v13
	v_add_f32_e32 v9, v9, v13
	v_add_u32_e32 v11, 0x200, v11
	s_andn2_b64 exec, exec, s[28:29]
	s_cbranch_execnz .LBB160_18
; %bb.19:
	s_or_b64 exec, exec, s[28:29]
.LBB160_20:
	s_or_b64 exec, exec, s[26:27]
	ds_bpermute_b32 v2, v2, v9
	s_waitcnt lgkmcnt(0)
	v_add_f32_e32 v2, v9, v2
	ds_bpermute_b32 v3, v3, v2
	s_waitcnt lgkmcnt(0)
	v_add_f32_e32 v2, v2, v3
	;; [unrolled: 3-line block ×6, first 2 shown]
	s_and_saveexec_b64 s[8:9], vcc
	s_cbranch_execz .LBB160_22
; %bb.21:
	ds_write_b32 v6, v2 offset:264
.LBB160_22:
	s_or_b64 exec, exec, s[8:9]
	s_waitcnt lgkmcnt(0)
	s_barrier
	s_and_saveexec_b64 s[8:9], s[0:1]
	s_cbranch_execz .LBB160_24
; %bb.23:
	ds_read_b32 v2, v7 offset:264
.LBB160_24:
	s_or_b64 exec, exec, s[8:9]
	s_waitcnt lgkmcnt(0)
	ds_bpermute_b32 v3, v32, v2
	s_waitcnt lgkmcnt(0)
	v_add_f32_e32 v2, v2, v3
	ds_bpermute_b32 v2, v8, v2
	s_and_saveexec_b64 s[0:1], s[2:3]
	s_cbranch_execz .LBB160_37
; %bb.25:
	s_waitcnt lgkmcnt(0)
	v_add_f32_e32 v2, 0x358637bd, v2
	v_div_scale_f32 v3, s[2:3], v2, v2, 1.0
	v_rcp_f32_e32 v4, v3
	v_div_scale_f32 v5, vcc, 1.0, v2, 1.0
	s_movk_i32 s2, 0x7f
	v_fma_f32 v6, -v3, v4, 1.0
	v_fmac_f32_e32 v4, v6, v4
	v_mul_f32_e32 v6, v5, v4
	v_fma_f32 v7, -v3, v6, v5
	v_fmac_f32_e32 v6, v7, v4
	v_fma_f32 v3, -v3, v6, v5
	v_div_fmas_f32 v3, v3, v4, v6
	v_xad_u32 v4, v0, -1, s12
	v_div_fixup_f32 v2, v3, v2, 1.0
	v_cmp_lt_u32_e32 vcc, s2, v4
	s_mov_b64 s[8:9], -1
	v_mov_b32_e32 v3, v0
	s_and_saveexec_b64 s[2:3], vcc
	s_cbranch_execz .LBB160_34
; %bb.26:
	v_lshrrev_b32_e32 v4, 7, v4
	v_add_u32_e32 v6, -1, v4
	v_lshrrev_b32_e32 v5, 1, v6
	v_mov_b32_e32 v3, v2
	v_add_u32_e32 v5, 1, v5
	v_cmp_lt_u32_e32 vcc, 13, v6
	v_mov_b32_e32 v8, 0
	s_and_saveexec_b64 s[8:9], vcc
	s_cbranch_execz .LBB160_30
; %bb.27:
	v_mov_b32_e32 v7, 0x110
	v_and_b32_e32 v6, -8, v5
	v_lshl_add_u32 v7, v0, 2, v7
	s_mov_b32 s15, 0
	s_mov_b64 s[26:27], 0
.LBB160_28:                             ; =>This Inner Loop Header: Depth=1
	ds_read2st64_b32 v[8:9], v7 offset1:2
	ds_read2st64_b32 v[10:11], v7 offset0:4 offset1:6
	ds_read2st64_b32 v[12:13], v7 offset0:8 offset1:10
	;; [unrolled: 1-line block ×3, first 2 shown]
	v_add_u32_e32 v6, -8, v6
	s_waitcnt lgkmcnt(3)
	v_pk_mul_f32 v[8:9], v[2:3], v[8:9]
	s_waitcnt lgkmcnt(2)
	v_pk_mul_f32 v[10:11], v[2:3], v[10:11]
	ds_write2st64_b32 v7, v8, v9 offset1:2
	ds_write2st64_b32 v7, v10, v11 offset0:4 offset1:6
	ds_read2st64_b32 v[10:11], v7 offset0:16 offset1:18
	s_waitcnt lgkmcnt(4)
	v_pk_mul_f32 v[8:9], v[2:3], v[12:13]
	ds_write2st64_b32 v7, v8, v9 offset0:8 offset1:10
	s_waitcnt lgkmcnt(4)
	v_pk_mul_f32 v[8:9], v[2:3], v[14:15]
	ds_write2st64_b32 v7, v8, v9 offset0:12 offset1:14
	ds_read2st64_b32 v[8:9], v7 offset0:20 offset1:22
	s_waitcnt lgkmcnt(3)
	v_pk_mul_f32 v[10:11], v[2:3], v[10:11]
	ds_read2st64_b32 v[12:13], v7 offset0:24 offset1:26
	ds_write2st64_b32 v7, v10, v11 offset0:16 offset1:18
	ds_read2st64_b32 v[10:11], v7 offset0:28 offset1:30
	s_waitcnt lgkmcnt(3)
	v_pk_mul_f32 v[8:9], v[2:3], v[8:9]
	ds_write2st64_b32 v7, v8, v9 offset0:20 offset1:22
	s_waitcnt lgkmcnt(3)
	v_pk_mul_f32 v[8:9], v[2:3], v[12:13]
	ds_write2st64_b32 v7, v8, v9 offset0:24 offset1:26
	s_waitcnt lgkmcnt(2)
	v_pk_mul_f32 v[8:9], v[2:3], v[10:11]
	s_add_i32 s15, s15, 16
	v_cmp_eq_u32_e32 vcc, 0, v6
	ds_write2st64_b32 v7, v8, v9 offset0:28 offset1:30
	v_add_u32_e32 v7, 0x2000, v7
	s_or_b64 s[26:27], vcc, s[26:27]
	v_mov_b32_e32 v8, s15
	s_andn2_b64 exec, exec, s[26:27]
	s_cbranch_execnz .LBB160_28
; %bb.29:
	s_or_b64 exec, exec, s[26:27]
.LBB160_30:
	s_or_b64 exec, exec, s[8:9]
	v_and_b32_e32 v5, 7, v5
	v_cmp_ne_u32_e32 vcc, 0, v5
	s_and_saveexec_b64 s[8:9], vcc
	s_cbranch_execz .LBB160_33
; %bb.31:
	v_lshlrev_b32_e32 v6, 9, v8
	v_lshlrev_b32_e32 v7, 2, v0
	s_movk_i32 s15, 0x110
	v_add3_u32 v6, v6, v7, s15
	s_mov_b64 s[26:27], 0
.LBB160_32:                             ; =>This Inner Loop Header: Depth=1
	ds_read2st64_b32 v[8:9], v6 offset1:2
	v_add_u32_e32 v5, -1, v5
	v_cmp_eq_u32_e32 vcc, 0, v5
	s_or_b64 s[26:27], vcc, s[26:27]
	s_waitcnt lgkmcnt(0)
	v_pk_mul_f32 v[8:9], v[2:3], v[8:9]
	ds_write2st64_b32 v6, v8, v9 offset1:2
	v_add_u32_e32 v6, 0x400, v6
	s_andn2_b64 exec, exec, s[26:27]
	s_cbranch_execnz .LBB160_32
.LBB160_33:
	s_or_b64 exec, exec, s[8:9]
	v_add_u32_e32 v4, 1, v4
	v_and_b32_e32 v5, 0x3fffffe, v4
	v_cmp_ne_u32_e32 vcc, v4, v5
	v_lshl_add_u32 v3, v5, 7, v0
	s_orn2_b64 s[8:9], vcc, exec
.LBB160_34:
	s_or_b64 exec, exec, s[2:3]
	s_and_b64 exec, exec, s[8:9]
	s_cbranch_execz .LBB160_37
; %bb.35:
	v_mov_b32_e32 v4, 0x110
	v_lshl_add_u32 v4, v3, 2, v4
	s_mov_b64 s[2:3], 0
.LBB160_36:                             ; =>This Inner Loop Header: Depth=1
	ds_read_b32 v5, v4
	v_add_u32_e32 v3, 0x80, v3
	v_cmp_le_i32_e32 vcc, s12, v3
	s_or_b64 s[2:3], vcc, s[2:3]
	s_waitcnt lgkmcnt(0)
	v_mul_f32_e32 v5, v2, v5
	ds_write_b32 v4, v5
	v_add_u32_e32 v4, 0x200, v4
	s_andn2_b64 exec, exec, s[2:3]
	s_cbranch_execnz .LBB160_36
.LBB160_37:
	s_or_b64 exec, exec, s[0:1]
	v_mov_b32_e32 v11, 0
	v_and_b32_e32 v33, 3, v0
	v_mov_b32_e32 v10, 0
	v_mov_b32_e32 v13, 0
	;; [unrolled: 1-line block ×7, first 2 shown]
	s_waitcnt lgkmcnt(0)
	s_barrier
	s_and_saveexec_b64 s[2:3], s[6:7]
	s_cbranch_execz .LBB160_345
; %bb.38:
	s_ashr_i32 s15, s14, 31
	s_lshl_b64 s[0:1], s[14:15], 1
	s_add_u32 s6, s24, s0
	v_and_b32_e32 v3, 24, v34
	s_addc_u32 s7, s25, s1
	s_add_i32 s14, s17, -1
	v_lshlrev_b32_e32 v5, 5, v1
	s_lshl_b64 s[0:1], s[22:23], 2
	v_and_b32_e32 v2, 0x1f8, v34
	v_or3_b32 v34, v5, v3, 7
	v_lshlrev_b32_e32 v3, 5, v33
	s_add_u32 s0, s20, s0
	v_mov_b32_e32 v19, 0
	v_or_b32_e32 v4, 0x800, v2
	v_or_b32_e32 v6, 0xa00, v2
	;; [unrolled: 1-line block ×4, first 2 shown]
	v_lshl_or_b32 v3, v1, 7, v3
	v_and_b32_e32 v18, 60, v36
	s_addc_u32 s1, s21, s1
	s_mov_b32 s26, s13
	v_add_u32_e32 v35, 0x110, v3
	v_lshl_add_u64 v[20:21], s[0:1], 0, v[18:19]
	s_mov_b64 s[8:9], 0
	s_mov_b32 s15, 0x7f800000
	s_movk_i32 s20, 0x7fff
	v_lshlrev_b32_e32 v18, 1, v2
	v_lshlrev_b32_e32 v22, 1, v4
	;; [unrolled: 1-line block ×5, first 2 shown]
	v_mov_b32_e32 v16, v19
	v_mov_b32_e32 v17, v19
	v_mov_b32_e32 v14, v19
	v_mov_b32_e32 v15, v19
	v_mov_b32_e32 v12, v19
	v_mov_b32_e32 v13, v19
	v_mov_b32_e32 v10, v19
	v_mov_b32_e32 v11, v19
	s_branch .LBB160_40
.LBB160_39:                             ;   in Loop: Header=BB160_40 Depth=1
	s_or_b64 exec, exec, s[0:1]
	v_and_b32_e32 v47, 0xffff0000, v39
	v_and_b32_e32 v46, 0xffff0000, v37
	;; [unrolled: 1-line block ×8, first 2 shown]
	v_pk_add_f32 v[36:37], v[36:37], v[46:47]
	v_pk_add_f32 v[38:39], v[40:41], v[44:45]
	v_add_f32_e32 v36, v36, v37
	v_add_f32_e32 v36, v36, v38
	v_add_f32_e32 v36, v36, v39
	v_and_b32_e32 v41, 0xffff0000, v62
	v_and_b32_e32 v40, 0xffff0000, v60
	v_and_b32_e32 v45, 0xffff0000, v61
	v_and_b32_e32 v44, 0xffff0000, v59
	v_add_f32_e32 v16, v16, v36
	v_and_b32_e32 v37, 0xffff0000, v66
	v_and_b32_e32 v36, 0xffff0000, v64
	v_and_b32_e32 v39, 0xffff0000, v65
	v_and_b32_e32 v38, 0xffff0000, v63
	v_pk_add_f32 v[40:41], v[44:45], v[40:41]
	v_pk_add_f32 v[36:37], v[38:39], v[36:37]
	v_add_f32_e32 v38, v40, v41
	v_add_f32_e32 v36, v38, v36
	v_add_f32_e32 v36, v36, v37
	v_and_b32_e32 v41, 0xffff0000, v70
	v_and_b32_e32 v40, 0xffff0000, v68
	v_and_b32_e32 v45, 0xffff0000, v69
	v_and_b32_e32 v44, 0xffff0000, v67
	v_add_f32_e32 v17, v17, v36
	v_and_b32_e32 v37, 0xffff0000, v74
	v_and_b32_e32 v36, 0xffff0000, v72
	v_and_b32_e32 v39, 0xffff0000, v73
	v_and_b32_e32 v38, 0xffff0000, v71
	;; [unrolled: 14-line block ×7, first 2 shown]
	v_pk_add_f32 v[2:3], v[2:3], v[6:7]
	v_pk_add_f32 v[4:5], v[4:5], v[8:9]
	v_add_f32_e32 v2, v2, v3
	v_add_f32_e32 v2, v2, v4
	v_add_u32_e32 v1, 2, v1
	v_add_f32_e32 v2, v2, v5
	v_cmp_le_i32_e32 vcc, s17, v1
	v_add_f32_e32 v11, v11, v2
	v_add_u32_e32 v34, 64, v34
	v_add_u32_e32 v35, 0x100, v35
	s_or_b64 s[8:9], vcc, s[8:9]
	v_lshl_add_u64 v[20:21], v[20:21], 0, 8
	s_andn2_b64 exec, exec, s[8:9]
	s_cbranch_execz .LBB160_344
.LBB160_40:                             ; =>This Inner Loop Header: Depth=1
	global_load_dword v40, v[20:21], off
	ds_read2_b64 v[6:9], v35 offset1:1
	ds_read2_b64 v[2:5], v35 offset0:2 offset1:3
                                        ; implicit-def: $vgpr36
	s_waitcnt lgkmcnt(1)
	v_and_b32_e32 v23, 0x7f800000, v6
	v_cmp_ne_u32_e32 vcc, s15, v23
	s_and_saveexec_b64 s[0:1], vcc
	s_xor_b64 s[0:1], exec, s[0:1]
; %bb.41:                               ;   in Loop: Header=BB160_40 Depth=1
	v_bfe_u32 v23, v6, 16, 1
	v_add3_u32 v36, v6, v23, s20
; %bb.42:                               ;   in Loop: Header=BB160_40 Depth=1
	s_andn2_saveexec_b64 s[0:1], s[0:1]
; %bb.43:                               ;   in Loop: Header=BB160_40 Depth=1
	v_or_b32_e32 v23, 0x10000, v6
	v_cmp_eq_u32_sdwa vcc, v6, v19 src0_sel:WORD_0 src1_sel:DWORD
	s_nop 1
	v_cndmask_b32_e32 v36, v23, v6, vcc
; %bb.44:                               ;   in Loop: Header=BB160_40 Depth=1
	s_or_b64 exec, exec, s[0:1]
	v_and_b32_e32 v6, 0x7f800000, v7
	v_cmp_ne_u32_e32 vcc, s15, v6
                                        ; implicit-def: $vgpr37
	s_and_saveexec_b64 s[0:1], vcc
	s_xor_b64 s[0:1], exec, s[0:1]
; %bb.45:                               ;   in Loop: Header=BB160_40 Depth=1
	v_bfe_u32 v6, v7, 16, 1
	v_add3_u32 v37, v7, v6, s20
; %bb.46:                               ;   in Loop: Header=BB160_40 Depth=1
	s_andn2_saveexec_b64 s[0:1], s[0:1]
; %bb.47:                               ;   in Loop: Header=BB160_40 Depth=1
	v_or_b32_e32 v6, 0x10000, v7
	v_cmp_eq_u32_sdwa vcc, v7, v19 src0_sel:WORD_0 src1_sel:DWORD
	s_nop 1
	v_cndmask_b32_e32 v37, v6, v7, vcc
; %bb.48:                               ;   in Loop: Header=BB160_40 Depth=1
	s_or_b64 exec, exec, s[0:1]
	v_and_b32_e32 v6, 0x7f800000, v8
	v_cmp_ne_u32_e32 vcc, s15, v6
                                        ; implicit-def: $vgpr38
	s_and_saveexec_b64 s[0:1], vcc
	s_xor_b64 s[0:1], exec, s[0:1]
; %bb.49:                               ;   in Loop: Header=BB160_40 Depth=1
	v_bfe_u32 v6, v8, 16, 1
	v_add3_u32 v38, v8, v6, s20
; %bb.50:                               ;   in Loop: Header=BB160_40 Depth=1
	s_andn2_saveexec_b64 s[0:1], s[0:1]
; %bb.51:                               ;   in Loop: Header=BB160_40 Depth=1
	v_or_b32_e32 v6, 0x10000, v8
	v_cmp_eq_u32_sdwa vcc, v8, v19 src0_sel:WORD_0 src1_sel:DWORD
	s_nop 1
	v_cndmask_b32_e32 v38, v6, v8, vcc
; %bb.52:                               ;   in Loop: Header=BB160_40 Depth=1
	s_or_b64 exec, exec, s[0:1]
	v_and_b32_e32 v6, 0x7f800000, v9
	v_cmp_ne_u32_e32 vcc, s15, v6
                                        ; implicit-def: $vgpr39
	s_and_saveexec_b64 s[0:1], vcc
	s_xor_b64 s[0:1], exec, s[0:1]
; %bb.53:                               ;   in Loop: Header=BB160_40 Depth=1
	v_bfe_u32 v6, v9, 16, 1
	v_add3_u32 v39, v9, v6, s20
                                        ; implicit-def: $vgpr6_vgpr7_vgpr8_vgpr9
; %bb.54:                               ;   in Loop: Header=BB160_40 Depth=1
	s_andn2_saveexec_b64 s[0:1], s[0:1]
; %bb.55:                               ;   in Loop: Header=BB160_40 Depth=1
	v_or_b32_e32 v6, 0x10000, v9
	v_cmp_eq_u32_sdwa vcc, v9, v19 src0_sel:WORD_0 src1_sel:DWORD
	s_nop 1
	v_cndmask_b32_e32 v39, v6, v9, vcc
; %bb.56:                               ;   in Loop: Header=BB160_40 Depth=1
	s_or_b64 exec, exec, s[0:1]
	s_waitcnt lgkmcnt(0)
	v_and_b32_e32 v6, 0x7f800000, v2
	v_cmp_ne_u32_e32 vcc, s15, v6
                                        ; implicit-def: $vgpr29
	s_and_saveexec_b64 s[0:1], vcc
	s_xor_b64 s[0:1], exec, s[0:1]
; %bb.57:                               ;   in Loop: Header=BB160_40 Depth=1
	v_bfe_u32 v6, v2, 16, 1
	v_add3_u32 v29, v2, v6, s20
; %bb.58:                               ;   in Loop: Header=BB160_40 Depth=1
	s_andn2_saveexec_b64 s[0:1], s[0:1]
; %bb.59:                               ;   in Loop: Header=BB160_40 Depth=1
	v_or_b32_e32 v6, 0x10000, v2
	v_cmp_eq_u32_sdwa vcc, v2, v19 src0_sel:WORD_0 src1_sel:DWORD
	s_nop 1
	v_cndmask_b32_e32 v29, v6, v2, vcc
; %bb.60:                               ;   in Loop: Header=BB160_40 Depth=1
	s_or_b64 exec, exec, s[0:1]
	v_and_b32_e32 v2, 0x7f800000, v3
	v_cmp_ne_u32_e32 vcc, s15, v2
                                        ; implicit-def: $vgpr27
	s_and_saveexec_b64 s[0:1], vcc
	s_xor_b64 s[0:1], exec, s[0:1]
; %bb.61:                               ;   in Loop: Header=BB160_40 Depth=1
	v_bfe_u32 v2, v3, 16, 1
	v_add3_u32 v27, v3, v2, s20
; %bb.62:                               ;   in Loop: Header=BB160_40 Depth=1
	s_andn2_saveexec_b64 s[0:1], s[0:1]
; %bb.63:                               ;   in Loop: Header=BB160_40 Depth=1
	v_or_b32_e32 v2, 0x10000, v3
	v_cmp_eq_u32_sdwa vcc, v3, v19 src0_sel:WORD_0 src1_sel:DWORD
	s_nop 1
	v_cndmask_b32_e32 v27, v2, v3, vcc
; %bb.64:                               ;   in Loop: Header=BB160_40 Depth=1
	s_or_b64 exec, exec, s[0:1]
	v_and_b32_e32 v2, 0x7f800000, v4
	v_cmp_ne_u32_e32 vcc, s15, v2
                                        ; implicit-def: $vgpr25
	s_and_saveexec_b64 s[0:1], vcc
	s_xor_b64 s[0:1], exec, s[0:1]
; %bb.65:                               ;   in Loop: Header=BB160_40 Depth=1
	v_bfe_u32 v2, v4, 16, 1
	v_add3_u32 v25, v4, v2, s20
; %bb.66:                               ;   in Loop: Header=BB160_40 Depth=1
	s_andn2_saveexec_b64 s[0:1], s[0:1]
; %bb.67:                               ;   in Loop: Header=BB160_40 Depth=1
	v_or_b32_e32 v2, 0x10000, v4
	v_cmp_eq_u32_sdwa vcc, v4, v19 src0_sel:WORD_0 src1_sel:DWORD
	s_nop 1
	v_cndmask_b32_e32 v25, v2, v4, vcc
; %bb.68:                               ;   in Loop: Header=BB160_40 Depth=1
	s_or_b64 exec, exec, s[0:1]
	v_and_b32_e32 v2, 0x7f800000, v5
	v_cmp_ne_u32_e32 vcc, s15, v2
                                        ; implicit-def: $vgpr23
	s_and_saveexec_b64 s[0:1], vcc
	s_xor_b64 s[0:1], exec, s[0:1]
; %bb.69:                               ;   in Loop: Header=BB160_40 Depth=1
	v_bfe_u32 v2, v5, 16, 1
	v_add3_u32 v23, v5, v2, s20
                                        ; implicit-def: $vgpr2_vgpr3_vgpr4_vgpr5
; %bb.70:                               ;   in Loop: Header=BB160_40 Depth=1
	s_andn2_saveexec_b64 s[0:1], s[0:1]
; %bb.71:                               ;   in Loop: Header=BB160_40 Depth=1
	v_or_b32_e32 v2, 0x10000, v5
	v_cmp_eq_u32_sdwa vcc, v5, v19 src0_sel:WORD_0 src1_sel:DWORD
	s_nop 1
	v_cndmask_b32_e32 v23, v2, v5, vcc
; %bb.72:                               ;   in Loop: Header=BB160_40 Depth=1
	s_or_b64 exec, exec, s[0:1]
	s_waitcnt vmcnt(0)
	v_mad_i64_i32 v[2:3], s[0:1], v40, s26, 0
	v_lshl_add_u64 v[6:7], v[2:3], 1, s[6:7]
	v_lshl_add_u64 v[8:9], v[6:7], 0, v[18:19]
	global_load_dwordx4 v[2:5], v[8:9], off
	v_add_u32_e32 v43, -7, v34
	v_cmp_eq_u32_e32 vcc, s14, v1
	v_add_u32_e32 v49, -6, v34
	v_add_u32_e32 v47, -5, v34
	;; [unrolled: 1-line block ×6, first 2 shown]
	s_waitcnt vmcnt(0)
	v_lshrrev_b32_e32 v42, 16, v2
	v_lshrrev_b32_e32 v40, 16, v3
	;; [unrolled: 1-line block ×4, first 2 shown]
	s_and_saveexec_b64 s[12:13], vcc
	s_cbranch_execz .LBB160_74
; %bb.73:                               ;   in Loop: Header=BB160_40 Depth=1
	v_cmp_gt_i32_e64 s[0:1], s33, v43
	s_nop 1
	v_cndmask_b32_e64 v2, 0, v2, s[0:1]
	v_cmp_gt_i32_e64 s[0:1], s33, v49
	s_nop 1
	v_cndmask_b32_e64 v42, 0, v42, s[0:1]
	;; [unrolled: 3-line block ×8, first 2 shown]
.LBB160_74:                             ;   in Loop: Header=BB160_40 Depth=1
	s_or_b64 exec, exec, s[12:13]
	v_and_b32_e32 v51, 0xffff0000, v36
	v_lshlrev_b32_e32 v2, 16, v2
	v_mul_f32_e32 v2, v51, v2
	v_and_b32_e32 v36, 0x7f800000, v2
	v_cmp_ne_u32_e64 s[0:1], s15, v36
                                        ; implicit-def: $vgpr36
	s_and_saveexec_b64 s[12:13], s[0:1]
	s_xor_b64 s[0:1], exec, s[12:13]
; %bb.75:                               ;   in Loop: Header=BB160_40 Depth=1
	v_bfe_u32 v36, v2, 16, 1
	v_add3_u32 v36, v2, v36, s20
                                        ; implicit-def: $vgpr2
; %bb.76:                               ;   in Loop: Header=BB160_40 Depth=1
	s_andn2_saveexec_b64 s[12:13], s[0:1]
; %bb.77:                               ;   in Loop: Header=BB160_40 Depth=1
	v_or_b32_e32 v36, 0x10000, v2
	v_cmp_eq_u32_sdwa s[0:1], v2, v19 src0_sel:WORD_0 src1_sel:DWORD
	s_nop 1
	v_cndmask_b32_e64 v36, v36, v2, s[0:1]
; %bb.78:                               ;   in Loop: Header=BB160_40 Depth=1
	s_or_b64 exec, exec, s[12:13]
	v_and_b32_e32 v52, 0xffff0000, v37
	v_lshlrev_b32_e32 v2, 16, v42
	v_mul_f32_e32 v2, v52, v2
	v_and_b32_e32 v37, 0x7f800000, v2
	v_cmp_ne_u32_e64 s[0:1], s15, v37
                                        ; implicit-def: $vgpr37
	s_and_saveexec_b64 s[12:13], s[0:1]
	s_xor_b64 s[0:1], exec, s[12:13]
; %bb.79:                               ;   in Loop: Header=BB160_40 Depth=1
	v_bfe_u32 v37, v2, 16, 1
	v_add3_u32 v37, v2, v37, s20
                                        ; implicit-def: $vgpr2
; %bb.80:                               ;   in Loop: Header=BB160_40 Depth=1
	s_andn2_saveexec_b64 s[12:13], s[0:1]
; %bb.81:                               ;   in Loop: Header=BB160_40 Depth=1
	v_or_b32_e32 v37, 0x10000, v2
	v_cmp_eq_u32_sdwa s[0:1], v2, v19 src0_sel:WORD_0 src1_sel:DWORD
	s_nop 1
	v_cndmask_b32_e64 v37, v37, v2, s[0:1]
; %bb.82:                               ;   in Loop: Header=BB160_40 Depth=1
	s_or_b64 exec, exec, s[12:13]
	v_and_b32_e32 v53, 0xffff0000, v38
	v_lshlrev_b32_e32 v2, 16, v3
	v_mul_f32_e32 v2, v53, v2
	v_and_b32_e32 v3, 0x7f800000, v2
	v_cmp_ne_u32_e64 s[0:1], s15, v3
                                        ; implicit-def: $vgpr38
	s_and_saveexec_b64 s[12:13], s[0:1]
	s_xor_b64 s[0:1], exec, s[12:13]
; %bb.83:                               ;   in Loop: Header=BB160_40 Depth=1
	v_bfe_u32 v3, v2, 16, 1
	v_add3_u32 v38, v2, v3, s20
                                        ; implicit-def: $vgpr2
; %bb.84:                               ;   in Loop: Header=BB160_40 Depth=1
	s_andn2_saveexec_b64 s[12:13], s[0:1]
; %bb.85:                               ;   in Loop: Header=BB160_40 Depth=1
	v_or_b32_e32 v3, 0x10000, v2
	v_cmp_eq_u32_sdwa s[0:1], v2, v19 src0_sel:WORD_0 src1_sel:DWORD
	s_nop 1
	v_cndmask_b32_e64 v38, v3, v2, s[0:1]
; %bb.86:                               ;   in Loop: Header=BB160_40 Depth=1
	s_or_b64 exec, exec, s[12:13]
	v_and_b32_e32 v54, 0xffff0000, v39
	v_lshlrev_b32_e32 v2, 16, v40
	v_mul_f32_e32 v2, v54, v2
	v_and_b32_e32 v3, 0x7f800000, v2
	v_cmp_ne_u32_e64 s[0:1], s15, v3
                                        ; implicit-def: $vgpr39
	s_and_saveexec_b64 s[12:13], s[0:1]
	s_xor_b64 s[0:1], exec, s[12:13]
; %bb.87:                               ;   in Loop: Header=BB160_40 Depth=1
	v_bfe_u32 v3, v2, 16, 1
	v_add3_u32 v39, v2, v3, s20
                                        ; implicit-def: $vgpr2
; %bb.88:                               ;   in Loop: Header=BB160_40 Depth=1
	s_andn2_saveexec_b64 s[12:13], s[0:1]
; %bb.89:                               ;   in Loop: Header=BB160_40 Depth=1
	v_or_b32_e32 v3, 0x10000, v2
	v_cmp_eq_u32_sdwa s[0:1], v2, v19 src0_sel:WORD_0 src1_sel:DWORD
	s_nop 1
	v_cndmask_b32_e64 v39, v3, v2, s[0:1]
; %bb.90:                               ;   in Loop: Header=BB160_40 Depth=1
	s_or_b64 exec, exec, s[12:13]
	v_and_b32_e32 v55, 0xffff0000, v29
	v_lshlrev_b32_e32 v2, 16, v4
	v_mul_f32_e32 v2, v55, v2
	v_and_b32_e32 v3, 0x7f800000, v2
	v_cmp_ne_u32_e64 s[0:1], s15, v3
                                        ; implicit-def: $vgpr40
	s_and_saveexec_b64 s[12:13], s[0:1]
	s_xor_b64 s[0:1], exec, s[12:13]
; %bb.91:                               ;   in Loop: Header=BB160_40 Depth=1
	v_bfe_u32 v3, v2, 16, 1
	v_add3_u32 v40, v2, v3, s20
                                        ; implicit-def: $vgpr2
; %bb.92:                               ;   in Loop: Header=BB160_40 Depth=1
	s_andn2_saveexec_b64 s[12:13], s[0:1]
; %bb.93:                               ;   in Loop: Header=BB160_40 Depth=1
	v_or_b32_e32 v3, 0x10000, v2
	v_cmp_eq_u32_sdwa s[0:1], v2, v19 src0_sel:WORD_0 src1_sel:DWORD
	s_nop 1
	v_cndmask_b32_e64 v40, v3, v2, s[0:1]
; %bb.94:                               ;   in Loop: Header=BB160_40 Depth=1
	s_or_b64 exec, exec, s[12:13]
	v_and_b32_e32 v56, 0xffff0000, v27
	v_lshlrev_b32_e32 v2, 16, v41
	v_mul_f32_e32 v2, v56, v2
	v_and_b32_e32 v3, 0x7f800000, v2
	v_cmp_ne_u32_e64 s[0:1], s15, v3
                                        ; implicit-def: $vgpr41
	s_and_saveexec_b64 s[12:13], s[0:1]
	s_xor_b64 s[0:1], exec, s[12:13]
; %bb.95:                               ;   in Loop: Header=BB160_40 Depth=1
	v_bfe_u32 v3, v2, 16, 1
	v_add3_u32 v41, v2, v3, s20
                                        ; implicit-def: $vgpr2
; %bb.96:                               ;   in Loop: Header=BB160_40 Depth=1
	s_andn2_saveexec_b64 s[12:13], s[0:1]
; %bb.97:                               ;   in Loop: Header=BB160_40 Depth=1
	v_or_b32_e32 v3, 0x10000, v2
	v_cmp_eq_u32_sdwa s[0:1], v2, v19 src0_sel:WORD_0 src1_sel:DWORD
	s_nop 1
	v_cndmask_b32_e64 v41, v3, v2, s[0:1]
; %bb.98:                               ;   in Loop: Header=BB160_40 Depth=1
	s_or_b64 exec, exec, s[12:13]
	v_and_b32_e32 v57, 0xffff0000, v25
	v_lshlrev_b32_e32 v2, 16, v5
	v_mul_f32_e32 v2, v57, v2
	v_and_b32_e32 v3, 0x7f800000, v2
	v_cmp_ne_u32_e64 s[0:1], s15, v3
                                        ; implicit-def: $vgpr42
	s_and_saveexec_b64 s[12:13], s[0:1]
	s_xor_b64 s[0:1], exec, s[12:13]
; %bb.99:                               ;   in Loop: Header=BB160_40 Depth=1
	v_bfe_u32 v3, v2, 16, 1
	v_add3_u32 v42, v2, v3, s20
                                        ; implicit-def: $vgpr2
; %bb.100:                              ;   in Loop: Header=BB160_40 Depth=1
	s_andn2_saveexec_b64 s[12:13], s[0:1]
; %bb.101:                              ;   in Loop: Header=BB160_40 Depth=1
	v_or_b32_e32 v3, 0x10000, v2
	v_cmp_eq_u32_sdwa s[0:1], v2, v19 src0_sel:WORD_0 src1_sel:DWORD
	s_nop 1
	v_cndmask_b32_e64 v42, v3, v2, s[0:1]
; %bb.102:                              ;   in Loop: Header=BB160_40 Depth=1
	s_or_b64 exec, exec, s[12:13]
	v_and_b32_e32 v58, 0xffff0000, v23
	v_lshlrev_b32_e32 v2, 16, v50
	v_mul_f32_e32 v2, v58, v2
	v_and_b32_e32 v3, 0x7f800000, v2
	v_cmp_ne_u32_e64 s[0:1], s15, v3
                                        ; implicit-def: $vgpr50
	s_and_saveexec_b64 s[12:13], s[0:1]
	s_xor_b64 s[0:1], exec, s[12:13]
; %bb.103:                              ;   in Loop: Header=BB160_40 Depth=1
	v_bfe_u32 v3, v2, 16, 1
	v_add3_u32 v50, v2, v3, s20
                                        ; implicit-def: $vgpr2
; %bb.104:                              ;   in Loop: Header=BB160_40 Depth=1
	s_andn2_saveexec_b64 s[12:13], s[0:1]
; %bb.105:                              ;   in Loop: Header=BB160_40 Depth=1
	v_or_b32_e32 v3, 0x10000, v2
	v_cmp_eq_u32_sdwa s[0:1], v2, v19 src0_sel:WORD_0 src1_sel:DWORD
	s_nop 1
	v_cndmask_b32_e64 v50, v3, v2, s[0:1]
; %bb.106:                              ;   in Loop: Header=BB160_40 Depth=1
	s_or_b64 exec, exec, s[12:13]
	global_load_dwordx4 v[2:5], v[8:9], off offset:1024
	s_waitcnt vmcnt(0)
	v_lshrrev_b32_e32 v29, 16, v2
	v_lshrrev_b32_e32 v27, 16, v3
	;; [unrolled: 1-line block ×4, first 2 shown]
	s_and_saveexec_b64 s[12:13], vcc
	s_cbranch_execz .LBB160_108
; %bb.107:                              ;   in Loop: Header=BB160_40 Depth=1
	v_cmp_gt_i32_e64 s[0:1], s33, v43
	s_nop 1
	v_cndmask_b32_e64 v2, 0, v2, s[0:1]
	v_cmp_gt_i32_e64 s[0:1], s33, v49
	s_nop 1
	v_cndmask_b32_e64 v29, 0, v29, s[0:1]
	;; [unrolled: 3-line block ×8, first 2 shown]
.LBB160_108:                            ;   in Loop: Header=BB160_40 Depth=1
	s_or_b64 exec, exec, s[12:13]
	v_lshlrev_b32_e32 v2, 16, v2
	v_mul_f32_e32 v2, v51, v2
	v_and_b32_e32 v59, 0x7f800000, v2
	v_cmp_ne_u32_e64 s[0:1], s15, v59
                                        ; implicit-def: $vgpr59
	s_and_saveexec_b64 s[12:13], s[0:1]
	s_xor_b64 s[0:1], exec, s[12:13]
; %bb.109:                              ;   in Loop: Header=BB160_40 Depth=1
	v_bfe_u32 v59, v2, 16, 1
	v_add3_u32 v59, v2, v59, s20
                                        ; implicit-def: $vgpr2
; %bb.110:                              ;   in Loop: Header=BB160_40 Depth=1
	s_andn2_saveexec_b64 s[12:13], s[0:1]
; %bb.111:                              ;   in Loop: Header=BB160_40 Depth=1
	v_or_b32_e32 v59, 0x10000, v2
	v_cmp_eq_u32_sdwa s[0:1], v2, v19 src0_sel:WORD_0 src1_sel:DWORD
	s_nop 1
	v_cndmask_b32_e64 v59, v59, v2, s[0:1]
; %bb.112:                              ;   in Loop: Header=BB160_40 Depth=1
	s_or_b64 exec, exec, s[12:13]
	v_lshlrev_b32_e32 v2, 16, v29
	v_mul_f32_e32 v2, v52, v2
	v_and_b32_e32 v29, 0x7f800000, v2
	v_cmp_ne_u32_e64 s[0:1], s15, v29
                                        ; implicit-def: $vgpr60
	s_and_saveexec_b64 s[12:13], s[0:1]
	s_xor_b64 s[0:1], exec, s[12:13]
; %bb.113:                              ;   in Loop: Header=BB160_40 Depth=1
	v_bfe_u32 v29, v2, 16, 1
	v_add3_u32 v60, v2, v29, s20
                                        ; implicit-def: $vgpr2
; %bb.114:                              ;   in Loop: Header=BB160_40 Depth=1
	s_andn2_saveexec_b64 s[12:13], s[0:1]
; %bb.115:                              ;   in Loop: Header=BB160_40 Depth=1
	v_or_b32_e32 v29, 0x10000, v2
	v_cmp_eq_u32_sdwa s[0:1], v2, v19 src0_sel:WORD_0 src1_sel:DWORD
	s_nop 1
	v_cndmask_b32_e64 v60, v29, v2, s[0:1]
; %bb.116:                              ;   in Loop: Header=BB160_40 Depth=1
	s_or_b64 exec, exec, s[12:13]
	v_lshlrev_b32_e32 v2, 16, v3
	v_mul_f32_e32 v2, v53, v2
	v_and_b32_e32 v3, 0x7f800000, v2
	v_cmp_ne_u32_e64 s[0:1], s15, v3
                                        ; implicit-def: $vgpr61
	s_and_saveexec_b64 s[12:13], s[0:1]
	s_xor_b64 s[0:1], exec, s[12:13]
; %bb.117:                              ;   in Loop: Header=BB160_40 Depth=1
	v_bfe_u32 v3, v2, 16, 1
	v_add3_u32 v61, v2, v3, s20
                                        ; implicit-def: $vgpr2
; %bb.118:                              ;   in Loop: Header=BB160_40 Depth=1
	s_andn2_saveexec_b64 s[12:13], s[0:1]
; %bb.119:                              ;   in Loop: Header=BB160_40 Depth=1
	v_or_b32_e32 v3, 0x10000, v2
	v_cmp_eq_u32_sdwa s[0:1], v2, v19 src0_sel:WORD_0 src1_sel:DWORD
	s_nop 1
	v_cndmask_b32_e64 v61, v3, v2, s[0:1]
; %bb.120:                              ;   in Loop: Header=BB160_40 Depth=1
	s_or_b64 exec, exec, s[12:13]
	v_lshlrev_b32_e32 v2, 16, v27
	v_mul_f32_e32 v2, v54, v2
	v_and_b32_e32 v3, 0x7f800000, v2
	v_cmp_ne_u32_e64 s[0:1], s15, v3
                                        ; implicit-def: $vgpr62
	s_and_saveexec_b64 s[12:13], s[0:1]
	s_xor_b64 s[0:1], exec, s[12:13]
; %bb.121:                              ;   in Loop: Header=BB160_40 Depth=1
	v_bfe_u32 v3, v2, 16, 1
	v_add3_u32 v62, v2, v3, s20
                                        ; implicit-def: $vgpr2
; %bb.122:                              ;   in Loop: Header=BB160_40 Depth=1
	s_andn2_saveexec_b64 s[12:13], s[0:1]
; %bb.123:                              ;   in Loop: Header=BB160_40 Depth=1
	v_or_b32_e32 v3, 0x10000, v2
	v_cmp_eq_u32_sdwa s[0:1], v2, v19 src0_sel:WORD_0 src1_sel:DWORD
	s_nop 1
	v_cndmask_b32_e64 v62, v3, v2, s[0:1]
; %bb.124:                              ;   in Loop: Header=BB160_40 Depth=1
	s_or_b64 exec, exec, s[12:13]
	v_lshlrev_b32_e32 v2, 16, v4
	v_mul_f32_e32 v2, v55, v2
	v_and_b32_e32 v3, 0x7f800000, v2
	v_cmp_ne_u32_e64 s[0:1], s15, v3
                                        ; implicit-def: $vgpr63
	s_and_saveexec_b64 s[12:13], s[0:1]
	s_xor_b64 s[0:1], exec, s[12:13]
; %bb.125:                              ;   in Loop: Header=BB160_40 Depth=1
	v_bfe_u32 v3, v2, 16, 1
	v_add3_u32 v63, v2, v3, s20
                                        ; implicit-def: $vgpr2
; %bb.126:                              ;   in Loop: Header=BB160_40 Depth=1
	s_andn2_saveexec_b64 s[12:13], s[0:1]
; %bb.127:                              ;   in Loop: Header=BB160_40 Depth=1
	v_or_b32_e32 v3, 0x10000, v2
	v_cmp_eq_u32_sdwa s[0:1], v2, v19 src0_sel:WORD_0 src1_sel:DWORD
	s_nop 1
	v_cndmask_b32_e64 v63, v3, v2, s[0:1]
; %bb.128:                              ;   in Loop: Header=BB160_40 Depth=1
	s_or_b64 exec, exec, s[12:13]
	v_lshlrev_b32_e32 v2, 16, v25
	v_mul_f32_e32 v2, v56, v2
	v_and_b32_e32 v3, 0x7f800000, v2
	v_cmp_ne_u32_e64 s[0:1], s15, v3
                                        ; implicit-def: $vgpr64
	s_and_saveexec_b64 s[12:13], s[0:1]
	s_xor_b64 s[0:1], exec, s[12:13]
; %bb.129:                              ;   in Loop: Header=BB160_40 Depth=1
	v_bfe_u32 v3, v2, 16, 1
	v_add3_u32 v64, v2, v3, s20
                                        ; implicit-def: $vgpr2
; %bb.130:                              ;   in Loop: Header=BB160_40 Depth=1
	s_andn2_saveexec_b64 s[12:13], s[0:1]
; %bb.131:                              ;   in Loop: Header=BB160_40 Depth=1
	v_or_b32_e32 v3, 0x10000, v2
	v_cmp_eq_u32_sdwa s[0:1], v2, v19 src0_sel:WORD_0 src1_sel:DWORD
	s_nop 1
	v_cndmask_b32_e64 v64, v3, v2, s[0:1]
; %bb.132:                              ;   in Loop: Header=BB160_40 Depth=1
	s_or_b64 exec, exec, s[12:13]
	v_lshlrev_b32_e32 v2, 16, v5
	v_mul_f32_e32 v2, v57, v2
	v_and_b32_e32 v3, 0x7f800000, v2
	v_cmp_ne_u32_e64 s[0:1], s15, v3
                                        ; implicit-def: $vgpr65
	s_and_saveexec_b64 s[12:13], s[0:1]
	s_xor_b64 s[0:1], exec, s[12:13]
; %bb.133:                              ;   in Loop: Header=BB160_40 Depth=1
	v_bfe_u32 v3, v2, 16, 1
	v_add3_u32 v65, v2, v3, s20
                                        ; implicit-def: $vgpr2
; %bb.134:                              ;   in Loop: Header=BB160_40 Depth=1
	s_andn2_saveexec_b64 s[12:13], s[0:1]
; %bb.135:                              ;   in Loop: Header=BB160_40 Depth=1
	v_or_b32_e32 v3, 0x10000, v2
	v_cmp_eq_u32_sdwa s[0:1], v2, v19 src0_sel:WORD_0 src1_sel:DWORD
	s_nop 1
	v_cndmask_b32_e64 v65, v3, v2, s[0:1]
; %bb.136:                              ;   in Loop: Header=BB160_40 Depth=1
	s_or_b64 exec, exec, s[12:13]
	v_lshlrev_b32_e32 v2, 16, v23
	v_mul_f32_e32 v2, v58, v2
	v_and_b32_e32 v3, 0x7f800000, v2
	v_cmp_ne_u32_e64 s[0:1], s15, v3
                                        ; implicit-def: $vgpr66
	s_and_saveexec_b64 s[12:13], s[0:1]
	s_xor_b64 s[0:1], exec, s[12:13]
; %bb.137:                              ;   in Loop: Header=BB160_40 Depth=1
	v_bfe_u32 v3, v2, 16, 1
	v_add3_u32 v66, v2, v3, s20
                                        ; implicit-def: $vgpr2
; %bb.138:                              ;   in Loop: Header=BB160_40 Depth=1
	s_andn2_saveexec_b64 s[12:13], s[0:1]
; %bb.139:                              ;   in Loop: Header=BB160_40 Depth=1
	v_or_b32_e32 v3, 0x10000, v2
	v_cmp_eq_u32_sdwa s[0:1], v2, v19 src0_sel:WORD_0 src1_sel:DWORD
	s_nop 1
	v_cndmask_b32_e64 v66, v3, v2, s[0:1]
; %bb.140:                              ;   in Loop: Header=BB160_40 Depth=1
	s_or_b64 exec, exec, s[12:13]
	global_load_dwordx4 v[2:5], v[8:9], off offset:2048
	s_waitcnt vmcnt(0)
	v_lshrrev_b32_e32 v29, 16, v2
	v_lshrrev_b32_e32 v27, 16, v3
	;; [unrolled: 1-line block ×4, first 2 shown]
	s_and_saveexec_b64 s[12:13], vcc
	s_cbranch_execz .LBB160_142
; %bb.141:                              ;   in Loop: Header=BB160_40 Depth=1
	v_cmp_gt_i32_e64 s[0:1], s33, v43
	s_nop 1
	v_cndmask_b32_e64 v2, 0, v2, s[0:1]
	v_cmp_gt_i32_e64 s[0:1], s33, v49
	s_nop 1
	v_cndmask_b32_e64 v29, 0, v29, s[0:1]
	;; [unrolled: 3-line block ×8, first 2 shown]
.LBB160_142:                            ;   in Loop: Header=BB160_40 Depth=1
	s_or_b64 exec, exec, s[12:13]
	v_lshlrev_b32_e32 v2, 16, v2
	v_mul_f32_e32 v2, v51, v2
	v_and_b32_e32 v67, 0x7f800000, v2
	v_cmp_ne_u32_e64 s[0:1], s15, v67
                                        ; implicit-def: $vgpr67
	s_and_saveexec_b64 s[12:13], s[0:1]
	s_xor_b64 s[0:1], exec, s[12:13]
; %bb.143:                              ;   in Loop: Header=BB160_40 Depth=1
	v_bfe_u32 v67, v2, 16, 1
	v_add3_u32 v67, v2, v67, s20
                                        ; implicit-def: $vgpr2
; %bb.144:                              ;   in Loop: Header=BB160_40 Depth=1
	s_andn2_saveexec_b64 s[12:13], s[0:1]
; %bb.145:                              ;   in Loop: Header=BB160_40 Depth=1
	v_or_b32_e32 v67, 0x10000, v2
	v_cmp_eq_u32_sdwa s[0:1], v2, v19 src0_sel:WORD_0 src1_sel:DWORD
	s_nop 1
	v_cndmask_b32_e64 v67, v67, v2, s[0:1]
; %bb.146:                              ;   in Loop: Header=BB160_40 Depth=1
	s_or_b64 exec, exec, s[12:13]
	v_lshlrev_b32_e32 v2, 16, v29
	v_mul_f32_e32 v2, v52, v2
	v_and_b32_e32 v29, 0x7f800000, v2
	v_cmp_ne_u32_e64 s[0:1], s15, v29
                                        ; implicit-def: $vgpr68
	s_and_saveexec_b64 s[12:13], s[0:1]
	s_xor_b64 s[0:1], exec, s[12:13]
; %bb.147:                              ;   in Loop: Header=BB160_40 Depth=1
	v_bfe_u32 v29, v2, 16, 1
	v_add3_u32 v68, v2, v29, s20
                                        ; implicit-def: $vgpr2
; %bb.148:                              ;   in Loop: Header=BB160_40 Depth=1
	s_andn2_saveexec_b64 s[12:13], s[0:1]
; %bb.149:                              ;   in Loop: Header=BB160_40 Depth=1
	v_or_b32_e32 v29, 0x10000, v2
	v_cmp_eq_u32_sdwa s[0:1], v2, v19 src0_sel:WORD_0 src1_sel:DWORD
	s_nop 1
	v_cndmask_b32_e64 v68, v29, v2, s[0:1]
; %bb.150:                              ;   in Loop: Header=BB160_40 Depth=1
	s_or_b64 exec, exec, s[12:13]
	v_lshlrev_b32_e32 v2, 16, v3
	v_mul_f32_e32 v2, v53, v2
	v_and_b32_e32 v3, 0x7f800000, v2
	v_cmp_ne_u32_e64 s[0:1], s15, v3
                                        ; implicit-def: $vgpr69
	s_and_saveexec_b64 s[12:13], s[0:1]
	s_xor_b64 s[0:1], exec, s[12:13]
; %bb.151:                              ;   in Loop: Header=BB160_40 Depth=1
	v_bfe_u32 v3, v2, 16, 1
	v_add3_u32 v69, v2, v3, s20
                                        ; implicit-def: $vgpr2
; %bb.152:                              ;   in Loop: Header=BB160_40 Depth=1
	s_andn2_saveexec_b64 s[12:13], s[0:1]
; %bb.153:                              ;   in Loop: Header=BB160_40 Depth=1
	v_or_b32_e32 v3, 0x10000, v2
	v_cmp_eq_u32_sdwa s[0:1], v2, v19 src0_sel:WORD_0 src1_sel:DWORD
	s_nop 1
	v_cndmask_b32_e64 v69, v3, v2, s[0:1]
; %bb.154:                              ;   in Loop: Header=BB160_40 Depth=1
	s_or_b64 exec, exec, s[12:13]
	v_lshlrev_b32_e32 v2, 16, v27
	v_mul_f32_e32 v2, v54, v2
	v_and_b32_e32 v3, 0x7f800000, v2
	v_cmp_ne_u32_e64 s[0:1], s15, v3
                                        ; implicit-def: $vgpr70
	s_and_saveexec_b64 s[12:13], s[0:1]
	s_xor_b64 s[0:1], exec, s[12:13]
; %bb.155:                              ;   in Loop: Header=BB160_40 Depth=1
	v_bfe_u32 v3, v2, 16, 1
	v_add3_u32 v70, v2, v3, s20
                                        ; implicit-def: $vgpr2
; %bb.156:                              ;   in Loop: Header=BB160_40 Depth=1
	s_andn2_saveexec_b64 s[12:13], s[0:1]
; %bb.157:                              ;   in Loop: Header=BB160_40 Depth=1
	v_or_b32_e32 v3, 0x10000, v2
	v_cmp_eq_u32_sdwa s[0:1], v2, v19 src0_sel:WORD_0 src1_sel:DWORD
	s_nop 1
	v_cndmask_b32_e64 v70, v3, v2, s[0:1]
; %bb.158:                              ;   in Loop: Header=BB160_40 Depth=1
	s_or_b64 exec, exec, s[12:13]
	v_lshlrev_b32_e32 v2, 16, v4
	v_mul_f32_e32 v2, v55, v2
	v_and_b32_e32 v3, 0x7f800000, v2
	v_cmp_ne_u32_e64 s[0:1], s15, v3
                                        ; implicit-def: $vgpr71
	s_and_saveexec_b64 s[12:13], s[0:1]
	s_xor_b64 s[0:1], exec, s[12:13]
; %bb.159:                              ;   in Loop: Header=BB160_40 Depth=1
	v_bfe_u32 v3, v2, 16, 1
	v_add3_u32 v71, v2, v3, s20
                                        ; implicit-def: $vgpr2
; %bb.160:                              ;   in Loop: Header=BB160_40 Depth=1
	s_andn2_saveexec_b64 s[12:13], s[0:1]
; %bb.161:                              ;   in Loop: Header=BB160_40 Depth=1
	v_or_b32_e32 v3, 0x10000, v2
	v_cmp_eq_u32_sdwa s[0:1], v2, v19 src0_sel:WORD_0 src1_sel:DWORD
	s_nop 1
	v_cndmask_b32_e64 v71, v3, v2, s[0:1]
; %bb.162:                              ;   in Loop: Header=BB160_40 Depth=1
	s_or_b64 exec, exec, s[12:13]
	v_lshlrev_b32_e32 v2, 16, v25
	v_mul_f32_e32 v2, v56, v2
	v_and_b32_e32 v3, 0x7f800000, v2
	v_cmp_ne_u32_e64 s[0:1], s15, v3
                                        ; implicit-def: $vgpr72
	s_and_saveexec_b64 s[12:13], s[0:1]
	s_xor_b64 s[0:1], exec, s[12:13]
; %bb.163:                              ;   in Loop: Header=BB160_40 Depth=1
	v_bfe_u32 v3, v2, 16, 1
	v_add3_u32 v72, v2, v3, s20
                                        ; implicit-def: $vgpr2
; %bb.164:                              ;   in Loop: Header=BB160_40 Depth=1
	s_andn2_saveexec_b64 s[12:13], s[0:1]
; %bb.165:                              ;   in Loop: Header=BB160_40 Depth=1
	v_or_b32_e32 v3, 0x10000, v2
	v_cmp_eq_u32_sdwa s[0:1], v2, v19 src0_sel:WORD_0 src1_sel:DWORD
	s_nop 1
	v_cndmask_b32_e64 v72, v3, v2, s[0:1]
; %bb.166:                              ;   in Loop: Header=BB160_40 Depth=1
	s_or_b64 exec, exec, s[12:13]
	v_lshlrev_b32_e32 v2, 16, v5
	v_mul_f32_e32 v2, v57, v2
	v_and_b32_e32 v3, 0x7f800000, v2
	v_cmp_ne_u32_e64 s[0:1], s15, v3
                                        ; implicit-def: $vgpr73
	s_and_saveexec_b64 s[12:13], s[0:1]
	s_xor_b64 s[0:1], exec, s[12:13]
; %bb.167:                              ;   in Loop: Header=BB160_40 Depth=1
	v_bfe_u32 v3, v2, 16, 1
	v_add3_u32 v73, v2, v3, s20
                                        ; implicit-def: $vgpr2
; %bb.168:                              ;   in Loop: Header=BB160_40 Depth=1
	s_andn2_saveexec_b64 s[12:13], s[0:1]
; %bb.169:                              ;   in Loop: Header=BB160_40 Depth=1
	v_or_b32_e32 v3, 0x10000, v2
	v_cmp_eq_u32_sdwa s[0:1], v2, v19 src0_sel:WORD_0 src1_sel:DWORD
	s_nop 1
	v_cndmask_b32_e64 v73, v3, v2, s[0:1]
; %bb.170:                              ;   in Loop: Header=BB160_40 Depth=1
	s_or_b64 exec, exec, s[12:13]
	v_lshlrev_b32_e32 v2, 16, v23
	v_mul_f32_e32 v2, v58, v2
	v_and_b32_e32 v3, 0x7f800000, v2
	v_cmp_ne_u32_e64 s[0:1], s15, v3
                                        ; implicit-def: $vgpr74
	s_and_saveexec_b64 s[12:13], s[0:1]
	s_xor_b64 s[0:1], exec, s[12:13]
; %bb.171:                              ;   in Loop: Header=BB160_40 Depth=1
	v_bfe_u32 v3, v2, 16, 1
	v_add3_u32 v74, v2, v3, s20
                                        ; implicit-def: $vgpr2
; %bb.172:                              ;   in Loop: Header=BB160_40 Depth=1
	s_andn2_saveexec_b64 s[12:13], s[0:1]
; %bb.173:                              ;   in Loop: Header=BB160_40 Depth=1
	v_or_b32_e32 v3, 0x10000, v2
	v_cmp_eq_u32_sdwa s[0:1], v2, v19 src0_sel:WORD_0 src1_sel:DWORD
	s_nop 1
	v_cndmask_b32_e64 v74, v3, v2, s[0:1]
; %bb.174:                              ;   in Loop: Header=BB160_40 Depth=1
	s_or_b64 exec, exec, s[12:13]
	global_load_dwordx4 v[2:5], v[8:9], off offset:3072
	s_waitcnt vmcnt(0)
	v_lshrrev_b32_e32 v9, 16, v2
	v_lshrrev_b32_e32 v27, 16, v3
	;; [unrolled: 1-line block ×4, first 2 shown]
	s_and_saveexec_b64 s[12:13], vcc
	s_cbranch_execz .LBB160_176
; %bb.175:                              ;   in Loop: Header=BB160_40 Depth=1
	v_cmp_gt_i32_e64 s[0:1], s33, v43
	s_nop 1
	v_cndmask_b32_e64 v2, 0, v2, s[0:1]
	v_cmp_gt_i32_e64 s[0:1], s33, v49
	s_nop 1
	v_cndmask_b32_e64 v9, 0, v9, s[0:1]
	v_cmp_gt_i32_e64 s[0:1], s33, v47
	s_nop 1
	v_cndmask_b32_e64 v3, 0, v3, s[0:1]
	v_cmp_gt_i32_e64 s[0:1], s33, v46
	s_nop 1
	v_cndmask_b32_e64 v27, 0, v27, s[0:1]
	v_cmp_gt_i32_e64 s[0:1], s33, v45
	s_nop 1
	v_cndmask_b32_e64 v4, 0, v4, s[0:1]
	v_cmp_gt_i32_e64 s[0:1], s33, v44
	s_nop 1
	v_cndmask_b32_e64 v25, 0, v25, s[0:1]
	v_cmp_gt_i32_e64 s[0:1], s33, v48
	s_nop 1
	v_cndmask_b32_e64 v5, 0, v5, s[0:1]
	v_cmp_gt_i32_e64 s[0:1], s33, v34
	s_nop 1
	v_cndmask_b32_e64 v23, 0, v23, s[0:1]
.LBB160_176:                            ;   in Loop: Header=BB160_40 Depth=1
	s_or_b64 exec, exec, s[12:13]
	v_lshlrev_b32_e32 v2, 16, v2
	v_mul_f32_e32 v2, v51, v2
	v_and_b32_e32 v8, 0x7f800000, v2
	v_cmp_ne_u32_e64 s[0:1], s15, v8
                                        ; implicit-def: $vgpr8
	s_and_saveexec_b64 s[12:13], s[0:1]
	s_xor_b64 s[0:1], exec, s[12:13]
; %bb.177:                              ;   in Loop: Header=BB160_40 Depth=1
	v_bfe_u32 v8, v2, 16, 1
	v_add3_u32 v8, v2, v8, s20
                                        ; implicit-def: $vgpr2
; %bb.178:                              ;   in Loop: Header=BB160_40 Depth=1
	s_andn2_saveexec_b64 s[12:13], s[0:1]
; %bb.179:                              ;   in Loop: Header=BB160_40 Depth=1
	v_or_b32_e32 v8, 0x10000, v2
	v_cmp_eq_u32_sdwa s[0:1], v2, v19 src0_sel:WORD_0 src1_sel:DWORD
	s_nop 1
	v_cndmask_b32_e64 v8, v8, v2, s[0:1]
; %bb.180:                              ;   in Loop: Header=BB160_40 Depth=1
	s_or_b64 exec, exec, s[12:13]
	v_lshlrev_b32_e32 v2, 16, v9
	v_mul_f32_e32 v2, v52, v2
	v_and_b32_e32 v9, 0x7f800000, v2
	v_cmp_ne_u32_e64 s[0:1], s15, v9
                                        ; implicit-def: $vgpr9
	s_and_saveexec_b64 s[12:13], s[0:1]
	s_xor_b64 s[0:1], exec, s[12:13]
; %bb.181:                              ;   in Loop: Header=BB160_40 Depth=1
	v_bfe_u32 v9, v2, 16, 1
	v_add3_u32 v9, v2, v9, s20
                                        ; implicit-def: $vgpr2
; %bb.182:                              ;   in Loop: Header=BB160_40 Depth=1
	s_andn2_saveexec_b64 s[12:13], s[0:1]
; %bb.183:                              ;   in Loop: Header=BB160_40 Depth=1
	v_or_b32_e32 v9, 0x10000, v2
	v_cmp_eq_u32_sdwa s[0:1], v2, v19 src0_sel:WORD_0 src1_sel:DWORD
	s_nop 1
	v_cndmask_b32_e64 v9, v9, v2, s[0:1]
; %bb.184:                              ;   in Loop: Header=BB160_40 Depth=1
	s_or_b64 exec, exec, s[12:13]
	v_lshlrev_b32_e32 v2, 16, v3
	v_mul_f32_e32 v2, v53, v2
	v_and_b32_e32 v3, 0x7f800000, v2
	v_cmp_ne_u32_e64 s[0:1], s15, v3
                                        ; implicit-def: $vgpr75
	s_and_saveexec_b64 s[12:13], s[0:1]
	s_xor_b64 s[0:1], exec, s[12:13]
; %bb.185:                              ;   in Loop: Header=BB160_40 Depth=1
	v_bfe_u32 v3, v2, 16, 1
	v_add3_u32 v75, v2, v3, s20
                                        ; implicit-def: $vgpr2
; %bb.186:                              ;   in Loop: Header=BB160_40 Depth=1
	s_andn2_saveexec_b64 s[12:13], s[0:1]
; %bb.187:                              ;   in Loop: Header=BB160_40 Depth=1
	v_or_b32_e32 v3, 0x10000, v2
	v_cmp_eq_u32_sdwa s[0:1], v2, v19 src0_sel:WORD_0 src1_sel:DWORD
	s_nop 1
	v_cndmask_b32_e64 v75, v3, v2, s[0:1]
; %bb.188:                              ;   in Loop: Header=BB160_40 Depth=1
	s_or_b64 exec, exec, s[12:13]
	v_lshlrev_b32_e32 v2, 16, v27
	v_mul_f32_e32 v2, v54, v2
	v_and_b32_e32 v3, 0x7f800000, v2
	v_cmp_ne_u32_e64 s[0:1], s15, v3
                                        ; implicit-def: $vgpr76
	s_and_saveexec_b64 s[12:13], s[0:1]
	s_xor_b64 s[0:1], exec, s[12:13]
; %bb.189:                              ;   in Loop: Header=BB160_40 Depth=1
	v_bfe_u32 v3, v2, 16, 1
	v_add3_u32 v76, v2, v3, s20
                                        ; implicit-def: $vgpr2
; %bb.190:                              ;   in Loop: Header=BB160_40 Depth=1
	s_andn2_saveexec_b64 s[12:13], s[0:1]
; %bb.191:                              ;   in Loop: Header=BB160_40 Depth=1
	v_or_b32_e32 v3, 0x10000, v2
	v_cmp_eq_u32_sdwa s[0:1], v2, v19 src0_sel:WORD_0 src1_sel:DWORD
	s_nop 1
	v_cndmask_b32_e64 v76, v3, v2, s[0:1]
; %bb.192:                              ;   in Loop: Header=BB160_40 Depth=1
	s_or_b64 exec, exec, s[12:13]
	v_lshlrev_b32_e32 v2, 16, v4
	v_mul_f32_e32 v2, v55, v2
	v_and_b32_e32 v3, 0x7f800000, v2
	v_cmp_ne_u32_e64 s[0:1], s15, v3
                                        ; implicit-def: $vgpr77
	s_and_saveexec_b64 s[12:13], s[0:1]
	s_xor_b64 s[0:1], exec, s[12:13]
; %bb.193:                              ;   in Loop: Header=BB160_40 Depth=1
	v_bfe_u32 v3, v2, 16, 1
	v_add3_u32 v77, v2, v3, s20
                                        ; implicit-def: $vgpr2
; %bb.194:                              ;   in Loop: Header=BB160_40 Depth=1
	s_andn2_saveexec_b64 s[12:13], s[0:1]
; %bb.195:                              ;   in Loop: Header=BB160_40 Depth=1
	v_or_b32_e32 v3, 0x10000, v2
	v_cmp_eq_u32_sdwa s[0:1], v2, v19 src0_sel:WORD_0 src1_sel:DWORD
	s_nop 1
	v_cndmask_b32_e64 v77, v3, v2, s[0:1]
; %bb.196:                              ;   in Loop: Header=BB160_40 Depth=1
	s_or_b64 exec, exec, s[12:13]
	v_lshlrev_b32_e32 v2, 16, v25
	v_mul_f32_e32 v2, v56, v2
	v_and_b32_e32 v3, 0x7f800000, v2
	v_cmp_ne_u32_e64 s[0:1], s15, v3
                                        ; implicit-def: $vgpr78
	s_and_saveexec_b64 s[12:13], s[0:1]
	s_xor_b64 s[0:1], exec, s[12:13]
; %bb.197:                              ;   in Loop: Header=BB160_40 Depth=1
	v_bfe_u32 v3, v2, 16, 1
	v_add3_u32 v78, v2, v3, s20
                                        ; implicit-def: $vgpr2
; %bb.198:                              ;   in Loop: Header=BB160_40 Depth=1
	s_andn2_saveexec_b64 s[12:13], s[0:1]
; %bb.199:                              ;   in Loop: Header=BB160_40 Depth=1
	v_or_b32_e32 v3, 0x10000, v2
	v_cmp_eq_u32_sdwa s[0:1], v2, v19 src0_sel:WORD_0 src1_sel:DWORD
	s_nop 1
	v_cndmask_b32_e64 v78, v3, v2, s[0:1]
; %bb.200:                              ;   in Loop: Header=BB160_40 Depth=1
	s_or_b64 exec, exec, s[12:13]
	v_lshlrev_b32_e32 v2, 16, v5
	v_mul_f32_e32 v2, v57, v2
	v_and_b32_e32 v3, 0x7f800000, v2
	v_cmp_ne_u32_e64 s[0:1], s15, v3
                                        ; implicit-def: $vgpr79
	s_and_saveexec_b64 s[12:13], s[0:1]
	s_xor_b64 s[0:1], exec, s[12:13]
; %bb.201:                              ;   in Loop: Header=BB160_40 Depth=1
	v_bfe_u32 v3, v2, 16, 1
	v_add3_u32 v79, v2, v3, s20
                                        ; implicit-def: $vgpr2
; %bb.202:                              ;   in Loop: Header=BB160_40 Depth=1
	s_andn2_saveexec_b64 s[12:13], s[0:1]
; %bb.203:                              ;   in Loop: Header=BB160_40 Depth=1
	v_or_b32_e32 v3, 0x10000, v2
	v_cmp_eq_u32_sdwa s[0:1], v2, v19 src0_sel:WORD_0 src1_sel:DWORD
	s_nop 1
	v_cndmask_b32_e64 v79, v3, v2, s[0:1]
; %bb.204:                              ;   in Loop: Header=BB160_40 Depth=1
	s_or_b64 exec, exec, s[12:13]
	v_lshlrev_b32_e32 v2, 16, v23
	v_mul_f32_e32 v2, v58, v2
	v_and_b32_e32 v3, 0x7f800000, v2
	v_cmp_ne_u32_e64 s[0:1], s15, v3
                                        ; implicit-def: $vgpr80
	s_and_saveexec_b64 s[12:13], s[0:1]
	s_xor_b64 s[0:1], exec, s[12:13]
; %bb.205:                              ;   in Loop: Header=BB160_40 Depth=1
	v_bfe_u32 v3, v2, 16, 1
	v_add3_u32 v80, v2, v3, s20
                                        ; implicit-def: $vgpr2
; %bb.206:                              ;   in Loop: Header=BB160_40 Depth=1
	s_andn2_saveexec_b64 s[12:13], s[0:1]
; %bb.207:                              ;   in Loop: Header=BB160_40 Depth=1
	v_or_b32_e32 v3, 0x10000, v2
	v_cmp_eq_u32_sdwa s[0:1], v2, v19 src0_sel:WORD_0 src1_sel:DWORD
	s_nop 1
	v_cndmask_b32_e64 v80, v3, v2, s[0:1]
; %bb.208:                              ;   in Loop: Header=BB160_40 Depth=1
	s_or_b64 exec, exec, s[12:13]
	v_mov_b32_e32 v23, v19
	v_lshl_add_u64 v[2:3], v[6:7], 0, v[22:23]
	global_load_dwordx4 v[2:5], v[2:3], off
	s_waitcnt vmcnt(0)
	v_lshrrev_b32_e32 v81, 16, v2
	v_lshrrev_b32_e32 v29, 16, v3
	;; [unrolled: 1-line block ×4, first 2 shown]
	s_and_saveexec_b64 s[12:13], vcc
	s_cbranch_execz .LBB160_210
; %bb.209:                              ;   in Loop: Header=BB160_40 Depth=1
	v_cmp_gt_i32_e64 s[0:1], s33, v43
	s_nop 1
	v_cndmask_b32_e64 v2, 0, v2, s[0:1]
	v_cmp_gt_i32_e64 s[0:1], s33, v49
	s_nop 1
	v_cndmask_b32_e64 v81, 0, v81, s[0:1]
	v_cmp_gt_i32_e64 s[0:1], s33, v47
	s_nop 1
	v_cndmask_b32_e64 v3, 0, v3, s[0:1]
	v_cmp_gt_i32_e64 s[0:1], s33, v46
	s_nop 1
	v_cndmask_b32_e64 v29, 0, v29, s[0:1]
	v_cmp_gt_i32_e64 s[0:1], s33, v45
	s_nop 1
	v_cndmask_b32_e64 v4, 0, v4, s[0:1]
	v_cmp_gt_i32_e64 s[0:1], s33, v44
	s_nop 1
	v_cndmask_b32_e64 v27, 0, v27, s[0:1]
	v_cmp_gt_i32_e64 s[0:1], s33, v48
	s_nop 1
	v_cndmask_b32_e64 v5, 0, v5, s[0:1]
	v_cmp_gt_i32_e64 s[0:1], s33, v34
	s_nop 1
	v_cndmask_b32_e64 v25, 0, v25, s[0:1]
.LBB160_210:                            ;   in Loop: Header=BB160_40 Depth=1
	s_or_b64 exec, exec, s[12:13]
	v_lshlrev_b32_e32 v2, 16, v2
	v_mul_f32_e32 v2, v51, v2
	v_and_b32_e32 v23, 0x7f800000, v2
	v_cmp_ne_u32_e64 s[0:1], s15, v23
                                        ; implicit-def: $vgpr23
	s_and_saveexec_b64 s[12:13], s[0:1]
	s_xor_b64 s[0:1], exec, s[12:13]
; %bb.211:                              ;   in Loop: Header=BB160_40 Depth=1
	v_bfe_u32 v23, v2, 16, 1
	v_add3_u32 v23, v2, v23, s20
                                        ; implicit-def: $vgpr2
; %bb.212:                              ;   in Loop: Header=BB160_40 Depth=1
	s_andn2_saveexec_b64 s[12:13], s[0:1]
; %bb.213:                              ;   in Loop: Header=BB160_40 Depth=1
	v_or_b32_e32 v23, 0x10000, v2
	v_cmp_eq_u32_sdwa s[0:1], v2, v19 src0_sel:WORD_0 src1_sel:DWORD
	s_nop 1
	v_cndmask_b32_e64 v23, v23, v2, s[0:1]
; %bb.214:                              ;   in Loop: Header=BB160_40 Depth=1
	s_or_b64 exec, exec, s[12:13]
	v_lshlrev_b32_e32 v2, 16, v81
	v_mul_f32_e32 v2, v52, v2
	v_and_b32_e32 v81, 0x7f800000, v2
	v_cmp_ne_u32_e64 s[0:1], s15, v81
                                        ; implicit-def: $vgpr81
	s_and_saveexec_b64 s[12:13], s[0:1]
	s_xor_b64 s[0:1], exec, s[12:13]
; %bb.215:                              ;   in Loop: Header=BB160_40 Depth=1
	v_bfe_u32 v81, v2, 16, 1
	v_add3_u32 v81, v2, v81, s20
                                        ; implicit-def: $vgpr2
; %bb.216:                              ;   in Loop: Header=BB160_40 Depth=1
	s_andn2_saveexec_b64 s[12:13], s[0:1]
; %bb.217:                              ;   in Loop: Header=BB160_40 Depth=1
	v_or_b32_e32 v81, 0x10000, v2
	v_cmp_eq_u32_sdwa s[0:1], v2, v19 src0_sel:WORD_0 src1_sel:DWORD
	s_nop 1
	v_cndmask_b32_e64 v81, v81, v2, s[0:1]
; %bb.218:                              ;   in Loop: Header=BB160_40 Depth=1
	s_or_b64 exec, exec, s[12:13]
	v_lshlrev_b32_e32 v2, 16, v3
	v_mul_f32_e32 v2, v53, v2
	v_and_b32_e32 v3, 0x7f800000, v2
	v_cmp_ne_u32_e64 s[0:1], s15, v3
                                        ; implicit-def: $vgpr82
	s_and_saveexec_b64 s[12:13], s[0:1]
	s_xor_b64 s[0:1], exec, s[12:13]
; %bb.219:                              ;   in Loop: Header=BB160_40 Depth=1
	v_bfe_u32 v3, v2, 16, 1
	v_add3_u32 v82, v2, v3, s20
                                        ; implicit-def: $vgpr2
; %bb.220:                              ;   in Loop: Header=BB160_40 Depth=1
	s_andn2_saveexec_b64 s[12:13], s[0:1]
; %bb.221:                              ;   in Loop: Header=BB160_40 Depth=1
	v_or_b32_e32 v3, 0x10000, v2
	v_cmp_eq_u32_sdwa s[0:1], v2, v19 src0_sel:WORD_0 src1_sel:DWORD
	s_nop 1
	v_cndmask_b32_e64 v82, v3, v2, s[0:1]
; %bb.222:                              ;   in Loop: Header=BB160_40 Depth=1
	s_or_b64 exec, exec, s[12:13]
	v_lshlrev_b32_e32 v2, 16, v29
	v_mul_f32_e32 v2, v54, v2
	v_and_b32_e32 v3, 0x7f800000, v2
	v_cmp_ne_u32_e64 s[0:1], s15, v3
                                        ; implicit-def: $vgpr83
	s_and_saveexec_b64 s[12:13], s[0:1]
	s_xor_b64 s[0:1], exec, s[12:13]
; %bb.223:                              ;   in Loop: Header=BB160_40 Depth=1
	v_bfe_u32 v3, v2, 16, 1
	v_add3_u32 v83, v2, v3, s20
                                        ; implicit-def: $vgpr2
; %bb.224:                              ;   in Loop: Header=BB160_40 Depth=1
	s_andn2_saveexec_b64 s[12:13], s[0:1]
; %bb.225:                              ;   in Loop: Header=BB160_40 Depth=1
	v_or_b32_e32 v3, 0x10000, v2
	v_cmp_eq_u32_sdwa s[0:1], v2, v19 src0_sel:WORD_0 src1_sel:DWORD
	s_nop 1
	v_cndmask_b32_e64 v83, v3, v2, s[0:1]
; %bb.226:                              ;   in Loop: Header=BB160_40 Depth=1
	s_or_b64 exec, exec, s[12:13]
	v_lshlrev_b32_e32 v2, 16, v4
	v_mul_f32_e32 v2, v55, v2
	v_and_b32_e32 v3, 0x7f800000, v2
	v_cmp_ne_u32_e64 s[0:1], s15, v3
                                        ; implicit-def: $vgpr84
	s_and_saveexec_b64 s[12:13], s[0:1]
	s_xor_b64 s[0:1], exec, s[12:13]
; %bb.227:                              ;   in Loop: Header=BB160_40 Depth=1
	v_bfe_u32 v3, v2, 16, 1
	v_add3_u32 v84, v2, v3, s20
                                        ; implicit-def: $vgpr2
; %bb.228:                              ;   in Loop: Header=BB160_40 Depth=1
	s_andn2_saveexec_b64 s[12:13], s[0:1]
; %bb.229:                              ;   in Loop: Header=BB160_40 Depth=1
	v_or_b32_e32 v3, 0x10000, v2
	v_cmp_eq_u32_sdwa s[0:1], v2, v19 src0_sel:WORD_0 src1_sel:DWORD
	s_nop 1
	v_cndmask_b32_e64 v84, v3, v2, s[0:1]
; %bb.230:                              ;   in Loop: Header=BB160_40 Depth=1
	s_or_b64 exec, exec, s[12:13]
	v_lshlrev_b32_e32 v2, 16, v27
	v_mul_f32_e32 v2, v56, v2
	v_and_b32_e32 v3, 0x7f800000, v2
	v_cmp_ne_u32_e64 s[0:1], s15, v3
                                        ; implicit-def: $vgpr85
	s_and_saveexec_b64 s[12:13], s[0:1]
	s_xor_b64 s[0:1], exec, s[12:13]
; %bb.231:                              ;   in Loop: Header=BB160_40 Depth=1
	v_bfe_u32 v3, v2, 16, 1
	v_add3_u32 v85, v2, v3, s20
                                        ; implicit-def: $vgpr2
; %bb.232:                              ;   in Loop: Header=BB160_40 Depth=1
	s_andn2_saveexec_b64 s[12:13], s[0:1]
; %bb.233:                              ;   in Loop: Header=BB160_40 Depth=1
	v_or_b32_e32 v3, 0x10000, v2
	v_cmp_eq_u32_sdwa s[0:1], v2, v19 src0_sel:WORD_0 src1_sel:DWORD
	s_nop 1
	v_cndmask_b32_e64 v85, v3, v2, s[0:1]
; %bb.234:                              ;   in Loop: Header=BB160_40 Depth=1
	s_or_b64 exec, exec, s[12:13]
	v_lshlrev_b32_e32 v2, 16, v5
	v_mul_f32_e32 v2, v57, v2
	v_and_b32_e32 v3, 0x7f800000, v2
	v_cmp_ne_u32_e64 s[0:1], s15, v3
                                        ; implicit-def: $vgpr86
	s_and_saveexec_b64 s[12:13], s[0:1]
	s_xor_b64 s[0:1], exec, s[12:13]
; %bb.235:                              ;   in Loop: Header=BB160_40 Depth=1
	v_bfe_u32 v3, v2, 16, 1
	v_add3_u32 v86, v2, v3, s20
                                        ; implicit-def: $vgpr2
; %bb.236:                              ;   in Loop: Header=BB160_40 Depth=1
	s_andn2_saveexec_b64 s[12:13], s[0:1]
; %bb.237:                              ;   in Loop: Header=BB160_40 Depth=1
	v_or_b32_e32 v3, 0x10000, v2
	v_cmp_eq_u32_sdwa s[0:1], v2, v19 src0_sel:WORD_0 src1_sel:DWORD
	s_nop 1
	v_cndmask_b32_e64 v86, v3, v2, s[0:1]
; %bb.238:                              ;   in Loop: Header=BB160_40 Depth=1
	s_or_b64 exec, exec, s[12:13]
	v_lshlrev_b32_e32 v2, 16, v25
	v_mul_f32_e32 v2, v58, v2
	v_and_b32_e32 v3, 0x7f800000, v2
	v_cmp_ne_u32_e64 s[0:1], s15, v3
                                        ; implicit-def: $vgpr87
	s_and_saveexec_b64 s[12:13], s[0:1]
	s_xor_b64 s[0:1], exec, s[12:13]
; %bb.239:                              ;   in Loop: Header=BB160_40 Depth=1
	v_bfe_u32 v3, v2, 16, 1
	v_add3_u32 v87, v2, v3, s20
                                        ; implicit-def: $vgpr2
; %bb.240:                              ;   in Loop: Header=BB160_40 Depth=1
	s_andn2_saveexec_b64 s[12:13], s[0:1]
; %bb.241:                              ;   in Loop: Header=BB160_40 Depth=1
	v_or_b32_e32 v3, 0x10000, v2
	v_cmp_eq_u32_sdwa s[0:1], v2, v19 src0_sel:WORD_0 src1_sel:DWORD
	s_nop 1
	v_cndmask_b32_e64 v87, v3, v2, s[0:1]
; %bb.242:                              ;   in Loop: Header=BB160_40 Depth=1
	s_or_b64 exec, exec, s[12:13]
	v_mov_b32_e32 v25, v19
	v_lshl_add_u64 v[2:3], v[6:7], 0, v[24:25]
	global_load_dwordx4 v[2:5], v[2:3], off
	s_waitcnt vmcnt(0)
	v_lshrrev_b32_e32 v88, 16, v2
	v_lshrrev_b32_e32 v90, 16, v3
	v_lshrrev_b32_e32 v29, 16, v4
	v_lshrrev_b32_e32 v27, 16, v5
	s_and_saveexec_b64 s[12:13], vcc
	s_cbranch_execz .LBB160_244
; %bb.243:                              ;   in Loop: Header=BB160_40 Depth=1
	v_cmp_gt_i32_e64 s[0:1], s33, v43
	s_nop 1
	v_cndmask_b32_e64 v2, 0, v2, s[0:1]
	v_cmp_gt_i32_e64 s[0:1], s33, v49
	s_nop 1
	v_cndmask_b32_e64 v88, 0, v88, s[0:1]
	v_cmp_gt_i32_e64 s[0:1], s33, v47
	s_nop 1
	v_cndmask_b32_e64 v3, 0, v3, s[0:1]
	v_cmp_gt_i32_e64 s[0:1], s33, v46
	s_nop 1
	v_cndmask_b32_e64 v90, 0, v90, s[0:1]
	v_cmp_gt_i32_e64 s[0:1], s33, v45
	s_nop 1
	v_cndmask_b32_e64 v4, 0, v4, s[0:1]
	v_cmp_gt_i32_e64 s[0:1], s33, v44
	s_nop 1
	v_cndmask_b32_e64 v29, 0, v29, s[0:1]
	v_cmp_gt_i32_e64 s[0:1], s33, v48
	s_nop 1
	v_cndmask_b32_e64 v5, 0, v5, s[0:1]
	v_cmp_gt_i32_e64 s[0:1], s33, v34
	s_nop 1
	v_cndmask_b32_e64 v27, 0, v27, s[0:1]
.LBB160_244:                            ;   in Loop: Header=BB160_40 Depth=1
	s_or_b64 exec, exec, s[12:13]
	v_lshlrev_b32_e32 v2, 16, v2
	v_mul_f32_e32 v2, v51, v2
	v_and_b32_e32 v25, 0x7f800000, v2
	v_cmp_ne_u32_e64 s[0:1], s15, v25
                                        ; implicit-def: $vgpr25
	s_and_saveexec_b64 s[12:13], s[0:1]
	s_xor_b64 s[0:1], exec, s[12:13]
; %bb.245:                              ;   in Loop: Header=BB160_40 Depth=1
	v_bfe_u32 v25, v2, 16, 1
	v_add3_u32 v25, v2, v25, s20
                                        ; implicit-def: $vgpr2
; %bb.246:                              ;   in Loop: Header=BB160_40 Depth=1
	s_andn2_saveexec_b64 s[12:13], s[0:1]
; %bb.247:                              ;   in Loop: Header=BB160_40 Depth=1
	v_or_b32_e32 v25, 0x10000, v2
	v_cmp_eq_u32_sdwa s[0:1], v2, v19 src0_sel:WORD_0 src1_sel:DWORD
	s_nop 1
	v_cndmask_b32_e64 v25, v25, v2, s[0:1]
; %bb.248:                              ;   in Loop: Header=BB160_40 Depth=1
	s_or_b64 exec, exec, s[12:13]
	v_lshlrev_b32_e32 v2, 16, v88
	v_mul_f32_e32 v2, v52, v2
	v_and_b32_e32 v88, 0x7f800000, v2
	v_cmp_ne_u32_e64 s[0:1], s15, v88
                                        ; implicit-def: $vgpr88
	s_and_saveexec_b64 s[12:13], s[0:1]
	s_xor_b64 s[0:1], exec, s[12:13]
; %bb.249:                              ;   in Loop: Header=BB160_40 Depth=1
	v_bfe_u32 v88, v2, 16, 1
	v_add3_u32 v88, v2, v88, s20
                                        ; implicit-def: $vgpr2
; %bb.250:                              ;   in Loop: Header=BB160_40 Depth=1
	s_andn2_saveexec_b64 s[12:13], s[0:1]
; %bb.251:                              ;   in Loop: Header=BB160_40 Depth=1
	v_or_b32_e32 v88, 0x10000, v2
	v_cmp_eq_u32_sdwa s[0:1], v2, v19 src0_sel:WORD_0 src1_sel:DWORD
	s_nop 1
	v_cndmask_b32_e64 v88, v88, v2, s[0:1]
; %bb.252:                              ;   in Loop: Header=BB160_40 Depth=1
	s_or_b64 exec, exec, s[12:13]
	v_lshlrev_b32_e32 v2, 16, v3
	v_mul_f32_e32 v2, v53, v2
	v_and_b32_e32 v3, 0x7f800000, v2
	v_cmp_ne_u32_e64 s[0:1], s15, v3
                                        ; implicit-def: $vgpr89
	s_and_saveexec_b64 s[12:13], s[0:1]
	s_xor_b64 s[0:1], exec, s[12:13]
; %bb.253:                              ;   in Loop: Header=BB160_40 Depth=1
	v_bfe_u32 v3, v2, 16, 1
	v_add3_u32 v89, v2, v3, s20
                                        ; implicit-def: $vgpr2
; %bb.254:                              ;   in Loop: Header=BB160_40 Depth=1
	s_andn2_saveexec_b64 s[12:13], s[0:1]
; %bb.255:                              ;   in Loop: Header=BB160_40 Depth=1
	v_or_b32_e32 v3, 0x10000, v2
	v_cmp_eq_u32_sdwa s[0:1], v2, v19 src0_sel:WORD_0 src1_sel:DWORD
	s_nop 1
	v_cndmask_b32_e64 v89, v3, v2, s[0:1]
; %bb.256:                              ;   in Loop: Header=BB160_40 Depth=1
	s_or_b64 exec, exec, s[12:13]
	v_lshlrev_b32_e32 v2, 16, v90
	v_mul_f32_e32 v2, v54, v2
	v_and_b32_e32 v3, 0x7f800000, v2
	v_cmp_ne_u32_e64 s[0:1], s15, v3
                                        ; implicit-def: $vgpr90
	s_and_saveexec_b64 s[12:13], s[0:1]
	s_xor_b64 s[0:1], exec, s[12:13]
; %bb.257:                              ;   in Loop: Header=BB160_40 Depth=1
	v_bfe_u32 v3, v2, 16, 1
	v_add3_u32 v90, v2, v3, s20
                                        ; implicit-def: $vgpr2
; %bb.258:                              ;   in Loop: Header=BB160_40 Depth=1
	s_andn2_saveexec_b64 s[12:13], s[0:1]
; %bb.259:                              ;   in Loop: Header=BB160_40 Depth=1
	v_or_b32_e32 v3, 0x10000, v2
	v_cmp_eq_u32_sdwa s[0:1], v2, v19 src0_sel:WORD_0 src1_sel:DWORD
	s_nop 1
	v_cndmask_b32_e64 v90, v3, v2, s[0:1]
; %bb.260:                              ;   in Loop: Header=BB160_40 Depth=1
	s_or_b64 exec, exec, s[12:13]
	v_lshlrev_b32_e32 v2, 16, v4
	v_mul_f32_e32 v2, v55, v2
	v_and_b32_e32 v3, 0x7f800000, v2
	v_cmp_ne_u32_e64 s[0:1], s15, v3
                                        ; implicit-def: $vgpr91
	s_and_saveexec_b64 s[12:13], s[0:1]
	s_xor_b64 s[0:1], exec, s[12:13]
; %bb.261:                              ;   in Loop: Header=BB160_40 Depth=1
	v_bfe_u32 v3, v2, 16, 1
	v_add3_u32 v91, v2, v3, s20
                                        ; implicit-def: $vgpr2
; %bb.262:                              ;   in Loop: Header=BB160_40 Depth=1
	s_andn2_saveexec_b64 s[12:13], s[0:1]
; %bb.263:                              ;   in Loop: Header=BB160_40 Depth=1
	v_or_b32_e32 v3, 0x10000, v2
	v_cmp_eq_u32_sdwa s[0:1], v2, v19 src0_sel:WORD_0 src1_sel:DWORD
	s_nop 1
	v_cndmask_b32_e64 v91, v3, v2, s[0:1]
; %bb.264:                              ;   in Loop: Header=BB160_40 Depth=1
	s_or_b64 exec, exec, s[12:13]
	v_lshlrev_b32_e32 v2, 16, v29
	v_mul_f32_e32 v2, v56, v2
	v_and_b32_e32 v3, 0x7f800000, v2
	v_cmp_ne_u32_e64 s[0:1], s15, v3
                                        ; implicit-def: $vgpr92
	s_and_saveexec_b64 s[12:13], s[0:1]
	s_xor_b64 s[0:1], exec, s[12:13]
; %bb.265:                              ;   in Loop: Header=BB160_40 Depth=1
	v_bfe_u32 v3, v2, 16, 1
	v_add3_u32 v92, v2, v3, s20
                                        ; implicit-def: $vgpr2
; %bb.266:                              ;   in Loop: Header=BB160_40 Depth=1
	s_andn2_saveexec_b64 s[12:13], s[0:1]
; %bb.267:                              ;   in Loop: Header=BB160_40 Depth=1
	v_or_b32_e32 v3, 0x10000, v2
	v_cmp_eq_u32_sdwa s[0:1], v2, v19 src0_sel:WORD_0 src1_sel:DWORD
	s_nop 1
	v_cndmask_b32_e64 v92, v3, v2, s[0:1]
; %bb.268:                              ;   in Loop: Header=BB160_40 Depth=1
	s_or_b64 exec, exec, s[12:13]
	v_lshlrev_b32_e32 v2, 16, v5
	v_mul_f32_e32 v2, v57, v2
	v_and_b32_e32 v3, 0x7f800000, v2
	v_cmp_ne_u32_e64 s[0:1], s15, v3
                                        ; implicit-def: $vgpr93
	s_and_saveexec_b64 s[12:13], s[0:1]
	s_xor_b64 s[0:1], exec, s[12:13]
; %bb.269:                              ;   in Loop: Header=BB160_40 Depth=1
	v_bfe_u32 v3, v2, 16, 1
	v_add3_u32 v93, v2, v3, s20
                                        ; implicit-def: $vgpr2
; %bb.270:                              ;   in Loop: Header=BB160_40 Depth=1
	s_andn2_saveexec_b64 s[12:13], s[0:1]
; %bb.271:                              ;   in Loop: Header=BB160_40 Depth=1
	v_or_b32_e32 v3, 0x10000, v2
	v_cmp_eq_u32_sdwa s[0:1], v2, v19 src0_sel:WORD_0 src1_sel:DWORD
	s_nop 1
	v_cndmask_b32_e64 v93, v3, v2, s[0:1]
; %bb.272:                              ;   in Loop: Header=BB160_40 Depth=1
	s_or_b64 exec, exec, s[12:13]
	v_lshlrev_b32_e32 v2, 16, v27
	v_mul_f32_e32 v2, v58, v2
	v_and_b32_e32 v3, 0x7f800000, v2
	v_cmp_ne_u32_e64 s[0:1], s15, v3
                                        ; implicit-def: $vgpr94
	s_and_saveexec_b64 s[12:13], s[0:1]
	s_xor_b64 s[0:1], exec, s[12:13]
; %bb.273:                              ;   in Loop: Header=BB160_40 Depth=1
	v_bfe_u32 v3, v2, 16, 1
	v_add3_u32 v94, v2, v3, s20
                                        ; implicit-def: $vgpr2
; %bb.274:                              ;   in Loop: Header=BB160_40 Depth=1
	s_andn2_saveexec_b64 s[12:13], s[0:1]
; %bb.275:                              ;   in Loop: Header=BB160_40 Depth=1
	v_or_b32_e32 v3, 0x10000, v2
	v_cmp_eq_u32_sdwa s[0:1], v2, v19 src0_sel:WORD_0 src1_sel:DWORD
	s_nop 1
	v_cndmask_b32_e64 v94, v3, v2, s[0:1]
; %bb.276:                              ;   in Loop: Header=BB160_40 Depth=1
	s_or_b64 exec, exec, s[12:13]
	v_mov_b32_e32 v27, v19
	v_lshl_add_u64 v[2:3], v[6:7], 0, v[26:27]
	global_load_dwordx4 v[2:5], v[2:3], off
	s_waitcnt vmcnt(0)
	v_lshrrev_b32_e32 v95, 16, v2
	v_lshrrev_b32_e32 v97, 16, v3
	;; [unrolled: 1-line block ×4, first 2 shown]
	s_and_saveexec_b64 s[12:13], vcc
	s_cbranch_execz .LBB160_278
; %bb.277:                              ;   in Loop: Header=BB160_40 Depth=1
	v_cmp_gt_i32_e64 s[0:1], s33, v43
	s_nop 1
	v_cndmask_b32_e64 v2, 0, v2, s[0:1]
	v_cmp_gt_i32_e64 s[0:1], s33, v49
	s_nop 1
	v_cndmask_b32_e64 v95, 0, v95, s[0:1]
	;; [unrolled: 3-line block ×8, first 2 shown]
.LBB160_278:                            ;   in Loop: Header=BB160_40 Depth=1
	s_or_b64 exec, exec, s[12:13]
	v_lshlrev_b32_e32 v2, 16, v2
	v_mul_f32_e32 v2, v51, v2
	v_and_b32_e32 v27, 0x7f800000, v2
	v_cmp_ne_u32_e64 s[0:1], s15, v27
                                        ; implicit-def: $vgpr27
	s_and_saveexec_b64 s[12:13], s[0:1]
	s_xor_b64 s[0:1], exec, s[12:13]
; %bb.279:                              ;   in Loop: Header=BB160_40 Depth=1
	v_bfe_u32 v27, v2, 16, 1
	v_add3_u32 v27, v2, v27, s20
                                        ; implicit-def: $vgpr2
; %bb.280:                              ;   in Loop: Header=BB160_40 Depth=1
	s_andn2_saveexec_b64 s[12:13], s[0:1]
; %bb.281:                              ;   in Loop: Header=BB160_40 Depth=1
	v_or_b32_e32 v27, 0x10000, v2
	v_cmp_eq_u32_sdwa s[0:1], v2, v19 src0_sel:WORD_0 src1_sel:DWORD
	s_nop 1
	v_cndmask_b32_e64 v27, v27, v2, s[0:1]
; %bb.282:                              ;   in Loop: Header=BB160_40 Depth=1
	s_or_b64 exec, exec, s[12:13]
	v_lshlrev_b32_e32 v2, 16, v95
	v_mul_f32_e32 v2, v52, v2
	v_and_b32_e32 v95, 0x7f800000, v2
	v_cmp_ne_u32_e64 s[0:1], s15, v95
                                        ; implicit-def: $vgpr95
	s_and_saveexec_b64 s[12:13], s[0:1]
	s_xor_b64 s[0:1], exec, s[12:13]
; %bb.283:                              ;   in Loop: Header=BB160_40 Depth=1
	v_bfe_u32 v95, v2, 16, 1
	v_add3_u32 v95, v2, v95, s20
                                        ; implicit-def: $vgpr2
; %bb.284:                              ;   in Loop: Header=BB160_40 Depth=1
	s_andn2_saveexec_b64 s[12:13], s[0:1]
; %bb.285:                              ;   in Loop: Header=BB160_40 Depth=1
	v_or_b32_e32 v95, 0x10000, v2
	v_cmp_eq_u32_sdwa s[0:1], v2, v19 src0_sel:WORD_0 src1_sel:DWORD
	s_nop 1
	v_cndmask_b32_e64 v95, v95, v2, s[0:1]
; %bb.286:                              ;   in Loop: Header=BB160_40 Depth=1
	s_or_b64 exec, exec, s[12:13]
	v_lshlrev_b32_e32 v2, 16, v3
	v_mul_f32_e32 v2, v53, v2
	v_and_b32_e32 v3, 0x7f800000, v2
	v_cmp_ne_u32_e64 s[0:1], s15, v3
                                        ; implicit-def: $vgpr96
	s_and_saveexec_b64 s[12:13], s[0:1]
	s_xor_b64 s[0:1], exec, s[12:13]
; %bb.287:                              ;   in Loop: Header=BB160_40 Depth=1
	v_bfe_u32 v3, v2, 16, 1
	v_add3_u32 v96, v2, v3, s20
                                        ; implicit-def: $vgpr2
; %bb.288:                              ;   in Loop: Header=BB160_40 Depth=1
	s_andn2_saveexec_b64 s[12:13], s[0:1]
; %bb.289:                              ;   in Loop: Header=BB160_40 Depth=1
	v_or_b32_e32 v3, 0x10000, v2
	v_cmp_eq_u32_sdwa s[0:1], v2, v19 src0_sel:WORD_0 src1_sel:DWORD
	s_nop 1
	v_cndmask_b32_e64 v96, v3, v2, s[0:1]
; %bb.290:                              ;   in Loop: Header=BB160_40 Depth=1
	s_or_b64 exec, exec, s[12:13]
	v_lshlrev_b32_e32 v2, 16, v97
	v_mul_f32_e32 v2, v54, v2
	v_and_b32_e32 v3, 0x7f800000, v2
	v_cmp_ne_u32_e64 s[0:1], s15, v3
                                        ; implicit-def: $vgpr97
	s_and_saveexec_b64 s[12:13], s[0:1]
	s_xor_b64 s[0:1], exec, s[12:13]
; %bb.291:                              ;   in Loop: Header=BB160_40 Depth=1
	v_bfe_u32 v3, v2, 16, 1
	v_add3_u32 v97, v2, v3, s20
                                        ; implicit-def: $vgpr2
; %bb.292:                              ;   in Loop: Header=BB160_40 Depth=1
	s_andn2_saveexec_b64 s[12:13], s[0:1]
; %bb.293:                              ;   in Loop: Header=BB160_40 Depth=1
	v_or_b32_e32 v3, 0x10000, v2
	v_cmp_eq_u32_sdwa s[0:1], v2, v19 src0_sel:WORD_0 src1_sel:DWORD
	s_nop 1
	v_cndmask_b32_e64 v97, v3, v2, s[0:1]
; %bb.294:                              ;   in Loop: Header=BB160_40 Depth=1
	s_or_b64 exec, exec, s[12:13]
	v_lshlrev_b32_e32 v2, 16, v4
	v_mul_f32_e32 v2, v55, v2
	v_and_b32_e32 v3, 0x7f800000, v2
	v_cmp_ne_u32_e64 s[0:1], s15, v3
                                        ; implicit-def: $vgpr98
	s_and_saveexec_b64 s[12:13], s[0:1]
	s_xor_b64 s[0:1], exec, s[12:13]
; %bb.295:                              ;   in Loop: Header=BB160_40 Depth=1
	v_bfe_u32 v3, v2, 16, 1
	v_add3_u32 v98, v2, v3, s20
                                        ; implicit-def: $vgpr2
; %bb.296:                              ;   in Loop: Header=BB160_40 Depth=1
	s_andn2_saveexec_b64 s[12:13], s[0:1]
; %bb.297:                              ;   in Loop: Header=BB160_40 Depth=1
	v_or_b32_e32 v3, 0x10000, v2
	v_cmp_eq_u32_sdwa s[0:1], v2, v19 src0_sel:WORD_0 src1_sel:DWORD
	s_nop 1
	v_cndmask_b32_e64 v98, v3, v2, s[0:1]
; %bb.298:                              ;   in Loop: Header=BB160_40 Depth=1
	s_or_b64 exec, exec, s[12:13]
	v_lshlrev_b32_e32 v2, 16, v99
	v_mul_f32_e32 v2, v56, v2
	v_and_b32_e32 v3, 0x7f800000, v2
	v_cmp_ne_u32_e64 s[0:1], s15, v3
                                        ; implicit-def: $vgpr99
	s_and_saveexec_b64 s[12:13], s[0:1]
	s_xor_b64 s[0:1], exec, s[12:13]
; %bb.299:                              ;   in Loop: Header=BB160_40 Depth=1
	v_bfe_u32 v3, v2, 16, 1
	v_add3_u32 v99, v2, v3, s20
                                        ; implicit-def: $vgpr2
; %bb.300:                              ;   in Loop: Header=BB160_40 Depth=1
	s_andn2_saveexec_b64 s[12:13], s[0:1]
; %bb.301:                              ;   in Loop: Header=BB160_40 Depth=1
	v_or_b32_e32 v3, 0x10000, v2
	v_cmp_eq_u32_sdwa s[0:1], v2, v19 src0_sel:WORD_0 src1_sel:DWORD
	s_nop 1
	v_cndmask_b32_e64 v99, v3, v2, s[0:1]
; %bb.302:                              ;   in Loop: Header=BB160_40 Depth=1
	s_or_b64 exec, exec, s[12:13]
	v_lshlrev_b32_e32 v2, 16, v5
	v_mul_f32_e32 v2, v57, v2
	v_and_b32_e32 v3, 0x7f800000, v2
	v_cmp_ne_u32_e64 s[0:1], s15, v3
                                        ; implicit-def: $vgpr100
	s_and_saveexec_b64 s[12:13], s[0:1]
	s_xor_b64 s[0:1], exec, s[12:13]
; %bb.303:                              ;   in Loop: Header=BB160_40 Depth=1
	v_bfe_u32 v3, v2, 16, 1
	v_add3_u32 v100, v2, v3, s20
                                        ; implicit-def: $vgpr2
; %bb.304:                              ;   in Loop: Header=BB160_40 Depth=1
	s_andn2_saveexec_b64 s[12:13], s[0:1]
; %bb.305:                              ;   in Loop: Header=BB160_40 Depth=1
	v_or_b32_e32 v3, 0x10000, v2
	v_cmp_eq_u32_sdwa s[0:1], v2, v19 src0_sel:WORD_0 src1_sel:DWORD
	s_nop 1
	v_cndmask_b32_e64 v100, v3, v2, s[0:1]
; %bb.306:                              ;   in Loop: Header=BB160_40 Depth=1
	s_or_b64 exec, exec, s[12:13]
	v_lshlrev_b32_e32 v2, 16, v29
	v_mul_f32_e32 v2, v58, v2
	v_and_b32_e32 v3, 0x7f800000, v2
	v_cmp_ne_u32_e64 s[0:1], s15, v3
                                        ; implicit-def: $vgpr101
	s_and_saveexec_b64 s[12:13], s[0:1]
	s_xor_b64 s[0:1], exec, s[12:13]
; %bb.307:                              ;   in Loop: Header=BB160_40 Depth=1
	v_bfe_u32 v3, v2, 16, 1
	v_add3_u32 v101, v2, v3, s20
                                        ; implicit-def: $vgpr2
; %bb.308:                              ;   in Loop: Header=BB160_40 Depth=1
	s_andn2_saveexec_b64 s[12:13], s[0:1]
; %bb.309:                              ;   in Loop: Header=BB160_40 Depth=1
	v_or_b32_e32 v3, 0x10000, v2
	v_cmp_eq_u32_sdwa s[0:1], v2, v19 src0_sel:WORD_0 src1_sel:DWORD
	s_nop 1
	v_cndmask_b32_e64 v101, v3, v2, s[0:1]
; %bb.310:                              ;   in Loop: Header=BB160_40 Depth=1
	s_or_b64 exec, exec, s[12:13]
	v_mov_b32_e32 v29, v19
	v_lshl_add_u64 v[2:3], v[6:7], 0, v[28:29]
	global_load_dwordx4 v[2:5], v[2:3], off
	s_waitcnt vmcnt(0)
	v_lshrrev_b32_e32 v6, 16, v2
	v_lshrrev_b32_e32 v7, 16, v3
	v_lshrrev_b32_e32 v102, 16, v4
	v_lshrrev_b32_e32 v29, 16, v5
	s_and_saveexec_b64 s[0:1], vcc
	s_cbranch_execz .LBB160_312
; %bb.311:                              ;   in Loop: Header=BB160_40 Depth=1
	v_cmp_gt_i32_e32 vcc, s33, v43
	s_nop 1
	v_cndmask_b32_e32 v2, 0, v2, vcc
	v_cmp_gt_i32_e32 vcc, s33, v49
	s_nop 1
	v_cndmask_b32_e32 v6, 0, v6, vcc
	;; [unrolled: 3-line block ×8, first 2 shown]
.LBB160_312:                            ;   in Loop: Header=BB160_40 Depth=1
	s_or_b64 exec, exec, s[0:1]
	v_lshlrev_b32_e32 v2, 16, v2
	v_mul_f32_e32 v43, v51, v2
	v_and_b32_e32 v2, 0x7f800000, v43
	v_cmp_ne_u32_e32 vcc, s15, v2
                                        ; implicit-def: $vgpr2
	s_and_saveexec_b64 s[0:1], vcc
	s_xor_b64 s[0:1], exec, s[0:1]
; %bb.313:                              ;   in Loop: Header=BB160_40 Depth=1
	v_bfe_u32 v2, v43, 16, 1
	v_add3_u32 v2, v43, v2, s20
                                        ; implicit-def: $vgpr43
; %bb.314:                              ;   in Loop: Header=BB160_40 Depth=1
	s_andn2_saveexec_b64 s[0:1], s[0:1]
; %bb.315:                              ;   in Loop: Header=BB160_40 Depth=1
	v_or_b32_e32 v2, 0x10000, v43
	v_cmp_eq_u32_sdwa vcc, v43, v19 src0_sel:WORD_0 src1_sel:DWORD
	s_nop 1
	v_cndmask_b32_e32 v2, v2, v43, vcc
; %bb.316:                              ;   in Loop: Header=BB160_40 Depth=1
	s_or_b64 exec, exec, s[0:1]
	v_lshlrev_b32_e32 v6, 16, v6
	v_mul_f32_e32 v43, v52, v6
	v_and_b32_e32 v6, 0x7f800000, v43
	v_cmp_ne_u32_e32 vcc, s15, v6
                                        ; implicit-def: $vgpr6
	s_and_saveexec_b64 s[0:1], vcc
	s_xor_b64 s[0:1], exec, s[0:1]
; %bb.317:                              ;   in Loop: Header=BB160_40 Depth=1
	v_bfe_u32 v6, v43, 16, 1
	v_add3_u32 v6, v43, v6, s20
                                        ; implicit-def: $vgpr43
; %bb.318:                              ;   in Loop: Header=BB160_40 Depth=1
	s_andn2_saveexec_b64 s[0:1], s[0:1]
; %bb.319:                              ;   in Loop: Header=BB160_40 Depth=1
	v_or_b32_e32 v6, 0x10000, v43
	v_cmp_eq_u32_sdwa vcc, v43, v19 src0_sel:WORD_0 src1_sel:DWORD
	s_nop 1
	v_cndmask_b32_e32 v6, v6, v43, vcc
; %bb.320:                              ;   in Loop: Header=BB160_40 Depth=1
	s_or_b64 exec, exec, s[0:1]
	v_lshlrev_b32_e32 v3, 16, v3
	v_mul_f32_e32 v43, v53, v3
	v_and_b32_e32 v3, 0x7f800000, v43
	v_cmp_ne_u32_e32 vcc, s15, v3
                                        ; implicit-def: $vgpr3
	s_and_saveexec_b64 s[0:1], vcc
	s_xor_b64 s[0:1], exec, s[0:1]
; %bb.321:                              ;   in Loop: Header=BB160_40 Depth=1
	v_bfe_u32 v3, v43, 16, 1
	v_add3_u32 v3, v43, v3, s20
                                        ; implicit-def: $vgpr43
; %bb.322:                              ;   in Loop: Header=BB160_40 Depth=1
	s_andn2_saveexec_b64 s[0:1], s[0:1]
; %bb.323:                              ;   in Loop: Header=BB160_40 Depth=1
	v_or_b32_e32 v3, 0x10000, v43
	v_cmp_eq_u32_sdwa vcc, v43, v19 src0_sel:WORD_0 src1_sel:DWORD
	s_nop 1
	v_cndmask_b32_e32 v3, v3, v43, vcc
; %bb.324:                              ;   in Loop: Header=BB160_40 Depth=1
	s_or_b64 exec, exec, s[0:1]
	v_lshlrev_b32_e32 v7, 16, v7
	v_mul_f32_e32 v43, v54, v7
	v_and_b32_e32 v7, 0x7f800000, v43
	v_cmp_ne_u32_e32 vcc, s15, v7
                                        ; implicit-def: $vgpr7
	s_and_saveexec_b64 s[0:1], vcc
	s_xor_b64 s[0:1], exec, s[0:1]
; %bb.325:                              ;   in Loop: Header=BB160_40 Depth=1
	v_bfe_u32 v7, v43, 16, 1
	v_add3_u32 v7, v43, v7, s20
                                        ; implicit-def: $vgpr43
; %bb.326:                              ;   in Loop: Header=BB160_40 Depth=1
	s_andn2_saveexec_b64 s[0:1], s[0:1]
; %bb.327:                              ;   in Loop: Header=BB160_40 Depth=1
	v_or_b32_e32 v7, 0x10000, v43
	v_cmp_eq_u32_sdwa vcc, v43, v19 src0_sel:WORD_0 src1_sel:DWORD
	s_nop 1
	v_cndmask_b32_e32 v7, v7, v43, vcc
; %bb.328:                              ;   in Loop: Header=BB160_40 Depth=1
	s_or_b64 exec, exec, s[0:1]
	v_lshlrev_b32_e32 v4, 16, v4
	v_mul_f32_e32 v43, v55, v4
	v_and_b32_e32 v4, 0x7f800000, v43
	v_cmp_ne_u32_e32 vcc, s15, v4
                                        ; implicit-def: $vgpr4
	s_and_saveexec_b64 s[0:1], vcc
	s_xor_b64 s[0:1], exec, s[0:1]
; %bb.329:                              ;   in Loop: Header=BB160_40 Depth=1
	v_bfe_u32 v4, v43, 16, 1
	v_add3_u32 v4, v43, v4, s20
                                        ; implicit-def: $vgpr43
; %bb.330:                              ;   in Loop: Header=BB160_40 Depth=1
	s_andn2_saveexec_b64 s[0:1], s[0:1]
; %bb.331:                              ;   in Loop: Header=BB160_40 Depth=1
	v_or_b32_e32 v4, 0x10000, v43
	v_cmp_eq_u32_sdwa vcc, v43, v19 src0_sel:WORD_0 src1_sel:DWORD
	s_nop 1
	v_cndmask_b32_e32 v4, v4, v43, vcc
; %bb.332:                              ;   in Loop: Header=BB160_40 Depth=1
	s_or_b64 exec, exec, s[0:1]
	v_lshlrev_b32_e32 v43, 16, v102
	v_mul_f32_e32 v44, v56, v43
	v_and_b32_e32 v43, 0x7f800000, v44
	v_cmp_ne_u32_e32 vcc, s15, v43
                                        ; implicit-def: $vgpr43
	s_and_saveexec_b64 s[0:1], vcc
	s_xor_b64 s[0:1], exec, s[0:1]
; %bb.333:                              ;   in Loop: Header=BB160_40 Depth=1
	v_bfe_u32 v43, v44, 16, 1
	v_add3_u32 v43, v44, v43, s20
                                        ; implicit-def: $vgpr44
; %bb.334:                              ;   in Loop: Header=BB160_40 Depth=1
	s_andn2_saveexec_b64 s[0:1], s[0:1]
; %bb.335:                              ;   in Loop: Header=BB160_40 Depth=1
	v_or_b32_e32 v43, 0x10000, v44
	v_cmp_eq_u32_sdwa vcc, v44, v19 src0_sel:WORD_0 src1_sel:DWORD
	s_nop 1
	v_cndmask_b32_e32 v43, v43, v44, vcc
; %bb.336:                              ;   in Loop: Header=BB160_40 Depth=1
	s_or_b64 exec, exec, s[0:1]
	v_lshlrev_b32_e32 v5, 16, v5
	v_mul_f32_e32 v44, v57, v5
	v_and_b32_e32 v5, 0x7f800000, v44
	v_cmp_ne_u32_e32 vcc, s15, v5
                                        ; implicit-def: $vgpr5
	s_and_saveexec_b64 s[0:1], vcc
	s_xor_b64 s[0:1], exec, s[0:1]
; %bb.337:                              ;   in Loop: Header=BB160_40 Depth=1
	v_bfe_u32 v5, v44, 16, 1
	v_add3_u32 v5, v44, v5, s20
                                        ; implicit-def: $vgpr44
; %bb.338:                              ;   in Loop: Header=BB160_40 Depth=1
	s_andn2_saveexec_b64 s[0:1], s[0:1]
; %bb.339:                              ;   in Loop: Header=BB160_40 Depth=1
	v_or_b32_e32 v5, 0x10000, v44
	v_cmp_eq_u32_sdwa vcc, v44, v19 src0_sel:WORD_0 src1_sel:DWORD
	s_nop 1
	v_cndmask_b32_e32 v5, v5, v44, vcc
; %bb.340:                              ;   in Loop: Header=BB160_40 Depth=1
	s_or_b64 exec, exec, s[0:1]
	v_lshlrev_b32_e32 v29, 16, v29
	v_mul_f32_e32 v44, v58, v29
	v_and_b32_e32 v29, 0x7f800000, v44
	v_cmp_ne_u32_e32 vcc, s15, v29
                                        ; implicit-def: $vgpr29
	s_and_saveexec_b64 s[0:1], vcc
	s_xor_b64 s[0:1], exec, s[0:1]
; %bb.341:                              ;   in Loop: Header=BB160_40 Depth=1
	v_bfe_u32 v29, v44, 16, 1
	v_add3_u32 v29, v44, v29, s20
                                        ; implicit-def: $vgpr44
; %bb.342:                              ;   in Loop: Header=BB160_40 Depth=1
	s_andn2_saveexec_b64 s[0:1], s[0:1]
	s_cbranch_execz .LBB160_39
; %bb.343:                              ;   in Loop: Header=BB160_40 Depth=1
	v_or_b32_e32 v29, 0x10000, v44
	v_cmp_eq_u32_sdwa vcc, v44, v19 src0_sel:WORD_0 src1_sel:DWORD
	s_nop 1
	v_cndmask_b32_e32 v29, v29, v44, vcc
	s_branch .LBB160_39
.LBB160_344:
	s_or_b64 exec, exec, s[8:9]
.LBB160_345:
	s_or_b64 exec, exec, s[2:3]
	ds_bpermute_b32 v2, v31, v16
	ds_bpermute_b32 v3, v31, v17
	;; [unrolled: 1-line block ×6, first 2 shown]
	s_waitcnt lgkmcnt(4)
	v_pk_add_f32 v[2:3], v[16:17], v[2:3]
	ds_bpermute_b32 v16, v31, v10
	ds_bpermute_b32 v17, v31, v11
	s_waitcnt lgkmcnt(4)
	v_pk_add_f32 v[4:5], v[14:15], v[4:5]
	s_waitcnt lgkmcnt(2)
	v_pk_add_f32 v[12:13], v[12:13], v[8:9]
	ds_bpermute_b32 v6, v32, v2
	ds_bpermute_b32 v7, v32, v3
	s_waitcnt lgkmcnt(2)
	v_pk_add_f32 v[10:11], v[10:11], v[16:17]
	ds_bpermute_b32 v14, v32, v4
	ds_bpermute_b32 v15, v32, v5
	;; [unrolled: 1-line block ×6, first 2 shown]
	v_and_b32_e32 v1, 0x3c3, v0
	s_waitcnt lgkmcnt(6)
	v_pk_add_f32 v[8:9], v[2:3], v[6:7]
	s_waitcnt lgkmcnt(4)
	v_pk_add_f32 v[4:5], v[4:5], v[14:15]
	;; [unrolled: 2-line block ×4, first 2 shown]
	v_cmp_eq_u32_e32 vcc, 64, v1
	s_barrier
	s_and_saveexec_b64 s[0:1], vcc
	s_cbranch_execz .LBB160_347
; %bb.346:
	v_add_u32_e32 v1, 0x110, v30
	ds_write2_b32 v1, v8, v9 offset1:16
	ds_write2_b32 v1, v4, v5 offset0:32 offset1:48
	ds_write2_b32 v1, v2, v3 offset0:64 offset1:80
	;; [unrolled: 1-line block ×3, first 2 shown]
.LBB160_347:
	s_or_b64 exec, exec, s[0:1]
	v_cmp_gt_u32_e32 vcc, 64, v0
	s_waitcnt lgkmcnt(0)
	s_barrier
	s_and_saveexec_b64 s[2:3], vcc
	s_cbranch_execz .LBB160_358
; %bb.348:
	v_cmp_eq_u32_e64 s[0:1], 0, v33
	v_lshrrev_b32_e32 v1, 2, v0
	s_and_saveexec_b64 s[6:7], s[0:1]
	s_cbranch_execnz .LBB160_394
; %bb.349:
	s_or_b64 exec, exec, s[6:7]
	s_and_saveexec_b64 s[6:7], s[0:1]
	s_cbranch_execnz .LBB160_395
.LBB160_350:
	s_or_b64 exec, exec, s[6:7]
	s_and_saveexec_b64 s[6:7], s[0:1]
	s_cbranch_execnz .LBB160_396
.LBB160_351:
	s_or_b64 exec, exec, s[6:7]
	s_and_saveexec_b64 s[6:7], s[0:1]
	s_cbranch_execnz .LBB160_397
.LBB160_352:
	s_or_b64 exec, exec, s[6:7]
	s_and_saveexec_b64 s[6:7], s[0:1]
	s_cbranch_execnz .LBB160_398
.LBB160_353:
	s_or_b64 exec, exec, s[6:7]
	s_and_saveexec_b64 s[6:7], s[0:1]
	s_cbranch_execnz .LBB160_399
.LBB160_354:
	s_or_b64 exec, exec, s[6:7]
	s_and_saveexec_b64 s[6:7], s[0:1]
	s_cbranch_execnz .LBB160_400
.LBB160_355:
	s_or_b64 exec, exec, s[6:7]
	s_and_saveexec_b64 s[6:7], s[0:1]
	s_cbranch_execz .LBB160_357
.LBB160_356:
	v_mov_b32_e32 v10, 0x110
	v_lshl_add_u32 v1, v1, 2, v10
	ds_read_b32 v1, v1 offset:448
	s_waitcnt lgkmcnt(0)
	v_add_f32_e32 v7, v7, v1
.LBB160_357:
	s_or_b64 exec, exec, s[6:7]
.LBB160_358:
	s_or_b64 exec, exec, s[2:3]
	s_barrier
	s_and_saveexec_b64 s[0:1], vcc
	s_cbranch_execz .LBB160_393
; %bb.359:
	v_cmp_eq_u32_e32 vcc, 0, v33
	s_and_b64 exec, exec, vcc
	s_cbranch_execz .LBB160_393
; %bb.360:
	s_mov_b32 s0, 0x7f800000
	v_and_b32_e32 v1, 0x7f800000, v8
	v_cmp_ne_u32_e32 vcc, s0, v1
                                        ; implicit-def: $vgpr10
	s_and_saveexec_b64 s[0:1], vcc
	s_xor_b64 s[0:1], exec, s[0:1]
; %bb.361:
	v_bfe_u32 v1, v8, 16, 1
	s_movk_i32 s2, 0x7fff
	v_add3_u32 v10, v8, v1, s2
; %bb.362:
	s_andn2_saveexec_b64 s[0:1], s[0:1]
; %bb.363:
	v_mov_b32_e32 v1, 0
	v_or_b32_e32 v10, 0x10000, v8
	v_cmp_eq_u32_sdwa vcc, v8, v1 src0_sel:WORD_0 src1_sel:DWORD
	s_nop 1
	v_cndmask_b32_e32 v10, v10, v8, vcc
; %bb.364:
	s_or_b64 exec, exec, s[0:1]
	s_mul_i32 s0, s10, s11
	s_mul_i32 s0, s0, s5
	s_lshl_b32 s0, s0, 7
	s_ashr_i32 s1, s0, 31
	s_lshl_b64 s[0:1], s[0:1], 1
	s_add_u32 s2, s18, s0
	s_mul_i32 s0, s11, s16
	s_addc_u32 s3, s19, s1
	s_ashr_i32 s1, s0, 31
	s_lshl_b64 s[0:1], s[0:1], 1
	s_add_u32 s2, s2, s0
	s_addc_u32 s3, s3, s1
	s_lshl_b32 s0, s4, 7
	s_ashr_i32 s1, s0, 31
	s_lshl_b64 s[0:1], s[0:1], 1
	s_add_u32 s0, s2, s0
	v_lshrrev_b32_e32 v0, 1, v0
	s_mov_b32 s2, 0x7f800000
	v_and_b32_e32 v8, 0x7f800000, v9
	s_addc_u32 s1, s3, s1
	v_and_b32_e32 v0, 0x1fe, v0
	v_mov_b32_e32 v1, 0
	v_cmp_ne_u32_e32 vcc, s2, v8
	global_store_short_d16_hi v0, v10, s[0:1]
                                        ; implicit-def: $vgpr8
	s_and_saveexec_b64 s[2:3], vcc
	s_xor_b64 s[2:3], exec, s[2:3]
; %bb.365:
	v_bfe_u32 v8, v9, 16, 1
	s_movk_i32 s4, 0x7fff
	v_add3_u32 v8, v9, v8, s4
; %bb.366:
	s_or_saveexec_b64 s[2:3], s[2:3]
	v_lshl_add_u64 v[10:11], s[0:1], 0, v[0:1]
	s_xor_b64 exec, exec, s[2:3]
; %bb.367:
	v_mov_b32_e32 v0, 0
	v_or_b32_e32 v1, 0x10000, v9
	v_cmp_eq_u32_sdwa vcc, v9, v0 src0_sel:WORD_0 src1_sel:DWORD
	s_nop 1
	v_cndmask_b32_e32 v8, v1, v9, vcc
; %bb.368:
	s_or_b64 exec, exec, s[2:3]
	s_mov_b32 s0, 0x7f800000
	v_and_b32_e32 v0, 0x7f800000, v4
	v_cmp_ne_u32_e32 vcc, s0, v0
	global_store_short_d16_hi v[10:11], v8, off offset:32
                                        ; implicit-def: $vgpr0
	s_and_saveexec_b64 s[0:1], vcc
	s_xor_b64 s[0:1], exec, s[0:1]
; %bb.369:
	v_bfe_u32 v0, v4, 16, 1
	s_movk_i32 s2, 0x7fff
	v_add3_u32 v0, v4, v0, s2
; %bb.370:
	s_andn2_saveexec_b64 s[0:1], s[0:1]
; %bb.371:
	v_mov_b32_e32 v0, 0
	v_or_b32_e32 v1, 0x10000, v4
	v_cmp_eq_u32_sdwa vcc, v4, v0 src0_sel:WORD_0 src1_sel:DWORD
	s_nop 1
	v_cndmask_b32_e32 v0, v1, v4, vcc
; %bb.372:
	s_or_b64 exec, exec, s[0:1]
	global_store_short_d16_hi v[10:11], v0, off offset:64
	s_mov_b32 s0, 0x7f800000
	v_and_b32_e32 v0, 0x7f800000, v5
	v_cmp_ne_u32_e32 vcc, s0, v0
                                        ; implicit-def: $vgpr0
	s_and_saveexec_b64 s[0:1], vcc
	s_xor_b64 s[0:1], exec, s[0:1]
; %bb.373:
	v_bfe_u32 v0, v5, 16, 1
	s_movk_i32 s2, 0x7fff
	v_add3_u32 v0, v5, v0, s2
; %bb.374:
	s_andn2_saveexec_b64 s[0:1], s[0:1]
; %bb.375:
	v_mov_b32_e32 v0, 0
	v_or_b32_e32 v1, 0x10000, v5
	v_cmp_eq_u32_sdwa vcc, v5, v0 src0_sel:WORD_0 src1_sel:DWORD
	s_nop 1
	v_cndmask_b32_e32 v0, v1, v5, vcc
; %bb.376:
	s_or_b64 exec, exec, s[0:1]
	global_store_short_d16_hi v[10:11], v0, off offset:96
	s_mov_b32 s0, 0x7f800000
	v_and_b32_e32 v0, 0x7f800000, v2
	v_cmp_ne_u32_e32 vcc, s0, v0
	;; [unrolled: 21-line block ×5, first 2 shown]
                                        ; implicit-def: $vgpr8
	s_and_saveexec_b64 s[0:1], vcc
	s_xor_b64 s[0:1], exec, s[0:1]
; %bb.389:
	v_bfe_u32 v0, v7, 16, 1
	s_movk_i32 s2, 0x7fff
	v_add3_u32 v8, v7, v0, s2
                                        ; implicit-def: $vgpr0_vgpr1_vgpr2_vgpr3_vgpr4_vgpr5_vgpr6_vgpr7
; %bb.390:
	s_andn2_saveexec_b64 s[0:1], s[0:1]
; %bb.391:
	v_mov_b32_e32 v0, 0
	v_or_b32_e32 v1, 0x10000, v7
	v_cmp_eq_u32_sdwa vcc, v7, v0 src0_sel:WORD_0 src1_sel:DWORD
	s_nop 1
	v_cndmask_b32_e32 v8, v1, v7, vcc
; %bb.392:
	s_or_b64 exec, exec, s[0:1]
	global_store_short_d16_hi v[10:11], v8, off offset:224
.LBB160_393:
	s_endpgm
.LBB160_394:
	v_mov_b32_e32 v10, 0x110
	v_lshl_add_u32 v10, v1, 2, v10
	ds_read_b32 v10, v10
	s_waitcnt lgkmcnt(0)
	v_add_f32_e32 v8, v8, v10
	s_or_b64 exec, exec, s[6:7]
	s_and_saveexec_b64 s[6:7], s[0:1]
	s_cbranch_execz .LBB160_350
.LBB160_395:
	v_mov_b32_e32 v10, 0x110
	v_lshl_add_u32 v10, v1, 2, v10
	ds_read_b32 v10, v10 offset:64
	s_waitcnt lgkmcnt(0)
	v_add_f32_e32 v9, v9, v10
	s_or_b64 exec, exec, s[6:7]
	s_and_saveexec_b64 s[6:7], s[0:1]
	s_cbranch_execz .LBB160_351
.LBB160_396:
	v_mov_b32_e32 v10, 0x110
	v_lshl_add_u32 v10, v1, 2, v10
	ds_read_b32 v10, v10 offset:128
	s_waitcnt lgkmcnt(0)
	v_add_f32_e32 v4, v4, v10
	s_or_b64 exec, exec, s[6:7]
	s_and_saveexec_b64 s[6:7], s[0:1]
	s_cbranch_execz .LBB160_352
.LBB160_397:
	v_mov_b32_e32 v10, 0x110
	v_lshl_add_u32 v10, v1, 2, v10
	ds_read_b32 v10, v10 offset:192
	s_waitcnt lgkmcnt(0)
	v_add_f32_e32 v5, v5, v10
	s_or_b64 exec, exec, s[6:7]
	s_and_saveexec_b64 s[6:7], s[0:1]
	s_cbranch_execz .LBB160_353
.LBB160_398:
	v_mov_b32_e32 v10, 0x110
	v_lshl_add_u32 v10, v1, 2, v10
	ds_read_b32 v10, v10 offset:256
	s_waitcnt lgkmcnt(0)
	v_add_f32_e32 v2, v2, v10
	s_or_b64 exec, exec, s[6:7]
	s_and_saveexec_b64 s[6:7], s[0:1]
	s_cbranch_execz .LBB160_354
.LBB160_399:
	v_mov_b32_e32 v10, 0x110
	v_lshl_add_u32 v10, v1, 2, v10
	ds_read_b32 v10, v10 offset:320
	s_waitcnt lgkmcnt(0)
	v_add_f32_e32 v3, v3, v10
	s_or_b64 exec, exec, s[6:7]
	s_and_saveexec_b64 s[6:7], s[0:1]
	s_cbranch_execz .LBB160_355
.LBB160_400:
	v_mov_b32_e32 v10, 0x110
	v_lshl_add_u32 v10, v1, 2, v10
	ds_read_b32 v10, v10 offset:384
	s_waitcnt lgkmcnt(0)
	v_add_f32_e32 v6, v6, v10
	s_or_b64 exec, exec, s[6:7]
	s_and_saveexec_b64 s[6:7], s[0:1]
	s_cbranch_execnz .LBB160_356
	s_branch .LBB160_357
	.section	.rodata,"a",@progbits
	.p2align	6, 0x0
	.amdhsa_kernel _ZN4vllm25paged_attention_v1_kernelI14__hip_bfloat16S1_Li128ELi32ELi128ELNS_18Fp8KVCacheDataTypeE0ELb0EEEvPT_PKS3_PKT0_S9_ifPKiSB_iPKfiiiSD_SD_iiiii
		.amdhsa_group_segment_fixed_size 272
		.amdhsa_private_segment_fixed_size 0
		.amdhsa_kernarg_size 384
		.amdhsa_user_sgpr_count 2
		.amdhsa_user_sgpr_dispatch_ptr 0
		.amdhsa_user_sgpr_queue_ptr 0
		.amdhsa_user_sgpr_kernarg_segment_ptr 1
		.amdhsa_user_sgpr_dispatch_id 0
		.amdhsa_user_sgpr_kernarg_preload_length 0
		.amdhsa_user_sgpr_kernarg_preload_offset 0
		.amdhsa_user_sgpr_private_segment_size 0
		.amdhsa_uses_dynamic_stack 0
		.amdhsa_enable_private_segment 0
		.amdhsa_system_sgpr_workgroup_id_x 1
		.amdhsa_system_sgpr_workgroup_id_y 1
		.amdhsa_system_sgpr_workgroup_id_z 1
		.amdhsa_system_sgpr_workgroup_info 0
		.amdhsa_system_vgpr_workitem_id 0
		.amdhsa_next_free_vgpr 116
		.amdhsa_next_free_sgpr 35
		.amdhsa_accum_offset 116
		.amdhsa_reserve_vcc 1
		.amdhsa_float_round_mode_32 0
		.amdhsa_float_round_mode_16_64 0
		.amdhsa_float_denorm_mode_32 3
		.amdhsa_float_denorm_mode_16_64 3
		.amdhsa_dx10_clamp 1
		.amdhsa_ieee_mode 1
		.amdhsa_fp16_overflow 0
		.amdhsa_tg_split 0
		.amdhsa_exception_fp_ieee_invalid_op 0
		.amdhsa_exception_fp_denorm_src 0
		.amdhsa_exception_fp_ieee_div_zero 0
		.amdhsa_exception_fp_ieee_overflow 0
		.amdhsa_exception_fp_ieee_underflow 0
		.amdhsa_exception_fp_ieee_inexact 0
		.amdhsa_exception_int_div_zero 0
	.end_amdhsa_kernel
	.section	.text._ZN4vllm25paged_attention_v1_kernelI14__hip_bfloat16S1_Li128ELi32ELi128ELNS_18Fp8KVCacheDataTypeE0ELb0EEEvPT_PKS3_PKT0_S9_ifPKiSB_iPKfiiiSD_SD_iiiii,"axG",@progbits,_ZN4vllm25paged_attention_v1_kernelI14__hip_bfloat16S1_Li128ELi32ELi128ELNS_18Fp8KVCacheDataTypeE0ELb0EEEvPT_PKS3_PKT0_S9_ifPKiSB_iPKfiiiSD_SD_iiiii,comdat
.Lfunc_end160:
	.size	_ZN4vllm25paged_attention_v1_kernelI14__hip_bfloat16S1_Li128ELi32ELi128ELNS_18Fp8KVCacheDataTypeE0ELb0EEEvPT_PKS3_PKT0_S9_ifPKiSB_iPKfiiiSD_SD_iiiii, .Lfunc_end160-_ZN4vllm25paged_attention_v1_kernelI14__hip_bfloat16S1_Li128ELi32ELi128ELNS_18Fp8KVCacheDataTypeE0ELb0EEEvPT_PKS3_PKT0_S9_ifPKiSB_iPKfiiiSD_SD_iiiii
                                        ; -- End function
	.section	.AMDGPU.csdata,"",@progbits
; Kernel info:
; codeLenInByte = 13960
; NumSgprs: 41
; NumVgprs: 116
; NumAgprs: 0
; TotalNumVgprs: 116
; ScratchSize: 0
; MemoryBound: 0
; FloatMode: 240
; IeeeMode: 1
; LDSByteSize: 272 bytes/workgroup (compile time only)
; SGPRBlocks: 5
; VGPRBlocks: 14
; NumSGPRsForWavesPerEU: 41
; NumVGPRsForWavesPerEU: 116
; AccumOffset: 116
; Occupancy: 4
; WaveLimiterHint : 1
; COMPUTE_PGM_RSRC2:SCRATCH_EN: 0
; COMPUTE_PGM_RSRC2:USER_SGPR: 2
; COMPUTE_PGM_RSRC2:TRAP_HANDLER: 0
; COMPUTE_PGM_RSRC2:TGID_X_EN: 1
; COMPUTE_PGM_RSRC2:TGID_Y_EN: 1
; COMPUTE_PGM_RSRC2:TGID_Z_EN: 1
; COMPUTE_PGM_RSRC2:TIDIG_COMP_CNT: 0
; COMPUTE_PGM_RSRC3_GFX90A:ACCUM_OFFSET: 28
; COMPUTE_PGM_RSRC3_GFX90A:TG_SPLIT: 0
	.section	.text._ZN4vllm25paged_attention_v1_kernelI14__hip_bfloat16S1_Li192ELi32ELi128ELNS_18Fp8KVCacheDataTypeE0ELb0EEEvPT_PKS3_PKT0_S9_ifPKiSB_iPKfiiiSD_SD_iiiii,"axG",@progbits,_ZN4vllm25paged_attention_v1_kernelI14__hip_bfloat16S1_Li192ELi32ELi128ELNS_18Fp8KVCacheDataTypeE0ELb0EEEvPT_PKS3_PKT0_S9_ifPKiSB_iPKfiiiSD_SD_iiiii,comdat
	.protected	_ZN4vllm25paged_attention_v1_kernelI14__hip_bfloat16S1_Li192ELi32ELi128ELNS_18Fp8KVCacheDataTypeE0ELb0EEEvPT_PKS3_PKT0_S9_ifPKiSB_iPKfiiiSD_SD_iiiii ; -- Begin function _ZN4vllm25paged_attention_v1_kernelI14__hip_bfloat16S1_Li192ELi32ELi128ELNS_18Fp8KVCacheDataTypeE0ELb0EEEvPT_PKS3_PKT0_S9_ifPKiSB_iPKfiiiSD_SD_iiiii
	.globl	_ZN4vllm25paged_attention_v1_kernelI14__hip_bfloat16S1_Li192ELi32ELi128ELNS_18Fp8KVCacheDataTypeE0ELb0EEEvPT_PKS3_PKT0_S9_ifPKiSB_iPKfiiiSD_SD_iiiii
	.p2align	8
	.type	_ZN4vllm25paged_attention_v1_kernelI14__hip_bfloat16S1_Li192ELi32ELi128ELNS_18Fp8KVCacheDataTypeE0ELb0EEEvPT_PKS3_PKT0_S9_ifPKiSB_iPKfiiiSD_SD_iiiii,@function
_ZN4vllm25paged_attention_v1_kernelI14__hip_bfloat16S1_Li192ELi32ELi128ELNS_18Fp8KVCacheDataTypeE0ELb0EEEvPT_PKS3_PKT0_S9_ifPKiSB_iPKfiiiSD_SD_iiiii: ; @_ZN4vllm25paged_attention_v1_kernelI14__hip_bfloat16S1_Li192ELi32ELi128ELNS_18Fp8KVCacheDataTypeE0ELb0EEEvPT_PKS3_PKT0_S9_ifPKiSB_iPKfiiiSD_SD_iiiii
; %bb.0:
	s_load_dword s5, s[0:1], 0x80
	s_load_dwordx2 s[6:7], s[0:1], 0x30
	s_load_dwordx2 s[8:9], s[0:1], 0x20
	s_mov_b32 s10, s3
	s_ashr_i32 s11, s3, 31
	s_lshl_b64 s[12:13], s[10:11], 2
	s_waitcnt lgkmcnt(0)
	s_add_u32 s6, s6, s12
	s_addc_u32 s7, s7, s13
	s_abs_i32 s3, s8
	v_mov_b32_e32 v24, v0
	v_cvt_f32_u32_e32 v0, s3
	s_sub_i32 s12, 0, s3
	s_abs_i32 s11, s5
	s_xor_b32 s8, s5, s8
	v_rcp_iflag_f32_e32 v0, v0
	s_ashr_i32 s8, s8, 31
	v_mul_f32_e32 v0, 0x4f7ffffe, v0
	v_cvt_u32_f32_e32 v0, v0
	s_nop 0
	v_readfirstlane_b32 s13, v0
	s_mul_i32 s12, s12, s13
	s_mul_hi_u32 s12, s13, s12
	s_add_i32 s13, s13, s12
	s_mul_hi_u32 s12, s11, s13
	s_mul_i32 s13, s12, s3
	s_sub_i32 s11, s11, s13
	s_add_i32 s13, s12, 1
	s_sub_i32 s14, s11, s3
	s_cmp_ge_u32 s11, s3
	s_cselect_b32 s12, s13, s12
	s_cselect_b32 s11, s14, s11
	s_add_i32 s13, s12, 1
	s_cmp_ge_u32 s11, s3
	s_cselect_b32 s3, s13, s12
	s_xor_b32 s3, s3, s8
	s_sub_i32 s14, s3, s8
	s_abs_i32 s11, s14
	v_cvt_f32_u32_e32 v0, s11
	s_load_dwordx2 s[12:13], s[0:1], 0x40
	s_sub_i32 s3, 0, s11
	s_abs_i32 s18, s2
	v_rcp_iflag_f32_e32 v0, v0
	s_mov_b32 s8, 0
	v_mul_f32_e32 v0, 0x4f7ffffe, v0
	v_cvt_u32_f32_e32 v0, v0
	s_nop 0
	v_readfirstlane_b32 s15, v0
	s_mul_i32 s3, s3, s15
	s_mul_hi_u32 s3, s15, s3
	s_add_i32 s15, s15, s3
	s_waitcnt lgkmcnt(0)
	s_cmp_eq_u64 s[12:13], 0
	s_mul_hi_u32 s19, s18, s15
	s_cbranch_scc1 .LBB161_2
; %bb.1:
	s_ashr_i32 s3, s2, 31
	s_lshl_b64 s[16:17], s[2:3], 2
	s_add_u32 s12, s12, s16
	s_addc_u32 s13, s13, s17
	s_load_dword s8, s[12:13], 0x0
.LBB161_2:
	s_load_dword s33, s[6:7], 0x0
	s_ashr_i32 s7, s14, 31
	s_load_dwordx4 s[12:15], s[0:1], 0x48
	s_ashr_i32 s6, s2, 31
	v_and_b32_e32 v1, 1, v24
	s_waitcnt lgkmcnt(0)
	s_movk_i32 s15, 0xc0
	s_mul_i32 s16, s2, 0xc0
	v_cmp_gt_u32_e32 vcc, 48, v24
	v_lshlrev_b32_e32 v22, 3, v24
	s_and_saveexec_b64 s[2:3], vcc
	s_cbranch_execz .LBB161_4
; %bb.3:
	s_load_dwordx2 s[20:21], s[0:1], 0x8
	s_mul_i32 s22, s10, s12
	s_ashr_i32 s23, s22, 31
	s_lshl_b64 s[22:23], s[22:23], 1
	v_lshlrev_b32_e32 v0, 2, v24
	s_waitcnt lgkmcnt(0)
	s_add_u32 s12, s20, s22
	s_addc_u32 s22, s21, s23
	s_ashr_i32 s17, s16, 31
	s_lshl_b64 s[20:21], s[16:17], 1
	s_add_u32 s20, s12, s20
	s_addc_u32 s21, s22, s21
	global_load_dwordx2 v[2:3], v22, s[20:21]
	v_and_b32_e32 v0, 0xff8, v0
	v_mad_u32_u24 v0, v1, s15, v0
	s_waitcnt vmcnt(0)
	ds_write_b64 v0, v[2:3]
.LBB161_4:
	s_or_b64 exec, exec, s[2:3]
	s_add_i32 s3, s33, 31
	s_ashr_i32 s12, s3, 31
	s_lshr_b32 s12, s12, 27
	s_add_i32 s3, s3, s12
	s_ashr_i32 s17, s3, 5
	s_xor_b32 s3, s6, s7
	s_mul_i32 s6, s19, s11
	s_sub_i32 s6, s18, s6
	s_add_i32 s7, s19, 1
	s_sub_i32 s12, s6, s11
	s_load_dwordx2 s[20:21], s[0:1], 0x28
	s_load_dword s2, s[0:1], 0x38
	s_cmp_ge_u32 s6, s11
	s_cselect_b32 s7, s7, s19
	s_cselect_b32 s6, s12, s6
	s_add_i32 s12, s7, 1
	s_cmp_ge_u32 s6, s11
	s_cselect_b32 s6, s12, s7
	v_lshrrev_b32_e32 v51, 6, v24
	s_xor_b32 s6, s6, s3
	s_waitcnt lgkmcnt(0)
	s_mul_i32 s22, s10, s2
	s_sub_i32 s12, s6, s3
	s_ashr_i32 s23, s22, 31
	v_cmp_gt_i32_e64 s[6:7], s17, v51
	v_cmp_le_i32_e32 vcc, s17, v51
	v_mbcnt_lo_u32_b32 v4, -1, 0
	s_barrier
	s_waitcnt lgkmcnt(0)
                                        ; implicit-def: $sgpr15
                                        ; implicit-def: $vgpr80
                                        ; implicit-def: $vgpr8
	s_and_saveexec_b64 s[2:3], vcc
	s_xor_b64 s[2:3], exec, s[2:3]
; %bb.5:
	v_mbcnt_hi_u32_b32 v80, -1, v4
	v_and_b32_e32 v0, 64, v80
	v_add_u32_e32 v8, 64, v0
	s_mov_b32 s15, 0xff7fffff
                                        ; implicit-def: $vgpr1
                                        ; implicit-def: $vgpr4
; %bb.6:
	s_or_saveexec_b64 s[26:27], s[2:3]
	s_load_dwordx2 s[18:19], s[0:1], 0x0
	s_load_dwordx2 s[24:25], s[0:1], 0x18
	s_load_dword s11, s[0:1], 0x88
	v_mov_b32_e32 v70, s15
	s_mul_i32 s14, s12, s14
	v_lshrrev_b32_e32 v28, 4, v24
	scratch_store_dword off, v24, off offset:128 ; 4-byte Folded Spill
	s_xor_b64 exec, exec, s[26:27]
	s_cbranch_execz .LBB161_12
; %bb.7:
	v_mul_u32_u24_e32 v2, 0xc0, v1
	ds_read_b128 v[6:9], v2
	ds_read_b128 v[10:13], v2 offset:16
	ds_read_b128 v[14:17], v2 offset:32
	ds_read_b128 v[18:21], v2 offset:48
	s_load_dwordx2 s[0:1], s[0:1], 0x10
	s_waitcnt lgkmcnt(0)
	v_lshlrev_b32_e32 v0, 16, v6
	scratch_store_dword off, v0, off        ; 4-byte Folded Spill
	v_and_b32_e32 v0, 0xffff0000, v6
	scratch_store_dword off, v0, off offset:4 ; 4-byte Folded Spill
	v_lshlrev_b32_e32 v0, 16, v7
	scratch_store_dword off, v0, off offset:8 ; 4-byte Folded Spill
	v_and_b32_e32 v0, 0xffff0000, v7
	scratch_store_dword off, v0, off offset:12 ; 4-byte Folded Spill
	v_lshlrev_b32_e32 v0, 16, v8
	scratch_store_dword off, v0, off offset:16 ; 4-byte Folded Spill
	;; [unrolled: 4-line block ×5, first 2 shown]
	v_and_b32_e32 v0, 0xffff0000, v11
	scratch_store_dword off, v0, off offset:44 ; 4-byte Folded Spill
	v_lshlrev_b32_e32 v0, 16, v12
	ds_read_b128 v[6:9], v2 offset:64
	scratch_store_dword off, v0, off offset:48 ; 4-byte Folded Spill
	v_and_b32_e32 v0, 0xffff0000, v12
	scratch_store_dword off, v0, off offset:52 ; 4-byte Folded Spill
	v_lshlrev_b32_e32 v0, 16, v13
	scratch_store_dword off, v0, off offset:56 ; 4-byte Folded Spill
	v_and_b32_e32 v0, 0xffff0000, v13
	ds_read_b128 v[10:13], v2 offset:80
	scratch_store_dword off, v0, off offset:60 ; 4-byte Folded Spill
	v_lshlrev_b32_e32 v0, 16, v14
	scratch_store_dword off, v0, off offset:64 ; 4-byte Folded Spill
	v_and_b32_e32 v0, 0xffff0000, v14
	s_waitcnt lgkmcnt(1)
	v_lshlrev_b32_e32 v87, 16, v6
	v_and_b32_e32 v86, 0xffff0000, v6
	v_lshlrev_b32_e32 v88, 16, v7
	v_and_b32_e32 v89, 0xffff0000, v7
	;; [unrolled: 2-line block ×4, first 2 shown]
	ds_read_b128 v[6:9], v2 offset:96
	scratch_store_dword off, v0, off offset:68 ; 4-byte Folded Spill
	v_lshlrev_b32_e32 v0, 16, v15
	scratch_store_dword off, v0, off offset:72 ; 4-byte Folded Spill
	v_and_b32_e32 v0, 0xffff0000, v15
	scratch_store_dword off, v0, off offset:76 ; 4-byte Folded Spill
	v_lshlrev_b32_e32 v0, 16, v16
	scratch_store_dword off, v0, off offset:80 ; 4-byte Folded Spill
	v_and_b32_e32 v0, 0xffff0000, v16
	scratch_store_dword off, v0, off offset:84 ; 4-byte Folded Spill
	v_lshlrev_b32_e32 v0, 16, v17
	s_waitcnt lgkmcnt(1)
	v_lshlrev_b32_e32 v94, 16, v10
	v_and_b32_e32 v95, 0xffff0000, v10
	v_lshlrev_b32_e32 v96, 16, v11
	v_and_b32_e32 v97, 0xffff0000, v11
	;; [unrolled: 2-line block ×4, first 2 shown]
	ds_read_b128 v[10:13], v2 offset:112
	s_waitcnt lgkmcnt(1)
	v_lshlrev_b32_e32 v102, 16, v6
	v_and_b32_e32 v103, 0xffff0000, v6
	v_lshlrev_b32_e32 v104, 16, v7
	v_and_b32_e32 v105, 0xffff0000, v7
	;; [unrolled: 2-line block ×4, first 2 shown]
	ds_read_b128 v[6:9], v2 offset:128
	scratch_store_dword off, v0, off offset:88 ; 4-byte Folded Spill
	v_and_b32_e32 v0, 0xffff0000, v17
	scratch_store_dword off, v0, off offset:92 ; 4-byte Folded Spill
	v_lshlrev_b32_e32 v0, 16, v18
	scratch_store_dword off, v0, off offset:96 ; 4-byte Folded Spill
	v_and_b32_e32 v0, 0xffff0000, v18
	scratch_store_dword off, v0, off offset:100 ; 4-byte Folded Spill
	v_lshlrev_b32_e32 v0, 16, v19
	scratch_store_dword off, v0, off offset:104 ; 4-byte Folded Spill
	v_and_b32_e32 v0, 0xffff0000, v19
	s_waitcnt lgkmcnt(1)
	v_lshlrev_b32_e32 v110, 16, v10
	v_and_b32_e32 v111, 0xffff0000, v10
	v_lshlrev_b32_e32 v112, 16, v11
	v_and_b32_e32 v113, 0xffff0000, v11
	;; [unrolled: 2-line block ×4, first 2 shown]
	ds_read_b128 v[10:13], v2 offset:144
	s_waitcnt lgkmcnt(1)
	v_lshlrev_b32_e32 v118, 16, v6
	v_and_b32_e32 v119, 0xffff0000, v6
	v_lshlrev_b32_e32 v120, 16, v7
	v_and_b32_e32 v121, 0xffff0000, v7
	;; [unrolled: 2-line block ×4, first 2 shown]
	ds_read_b128 v[6:9], v2 offset:160
	scratch_store_dword off, v0, off offset:108 ; 4-byte Folded Spill
	v_lshlrev_b32_e32 v0, 16, v20
	scratch_store_dword off, v0, off offset:112 ; 4-byte Folded Spill
	v_and_b32_e32 v0, 0xffff0000, v20
	s_ashr_i32 s15, s14, 31
	scratch_store_dword off, v0, off offset:116 ; 4-byte Folded Spill
	v_lshlrev_b32_e32 v0, 16, v21
	s_lshl_b64 s[2:3], s[14:15], 1
	v_mbcnt_hi_u32_b32 v80, -1, v4
	scratch_store_dword off, v0, off offset:120 ; 4-byte Folded Spill
	v_and_b32_e32 v0, 0xffff0000, v21
	v_cmp_eq_u32_e32 vcc, 0, v1
	s_add_u32 s0, s0, s2
	v_bfe_u32 v1, v24, 1, 5
	v_and_b32_e32 v4, 64, v80
	scratch_store_dword off, v0, off offset:124 ; 4-byte Folded Spill
	s_waitcnt lgkmcnt(1)
	v_lshlrev_b32_e32 v126, 16, v10
	v_and_b32_e32 v127, 0xffff0000, v10
	v_lshlrev_b32_e32 v74, 16, v11
	v_and_b32_e32 v50, 0xffff0000, v11
	;; [unrolled: 2-line block ×4, first 2 shown]
	ds_read_b128 v[10:13], v2 offset:176
	s_waitcnt lgkmcnt(1)
	v_lshlrev_b32_e32 v54, 16, v6
	v_and_b32_e32 v55, 0xffff0000, v6
	v_lshlrev_b32_e32 v56, 16, v7
	v_and_b32_e32 v57, 0xffff0000, v7
	s_addc_u32 s1, s1, s3
	v_lshlrev_b32_e32 v6, 4, v1
	v_mov_b32_e32 v7, 0
	v_add_u32_e32 v5, 64, v4
	v_xor_b32_e32 v4, 1, v80
	v_lshl_add_u64 v[2:3], s[0:1], 0, v[6:7]
	v_cmp_lt_i32_e64 s[0:1], v4, v5
	s_sub_i32 s15, 1, s33
	v_and_b32_e32 v6, 8, v22
	v_cndmask_b32_e64 v4, v80, v4, s[0:1]
	s_lshl_b64 s[0:1], s[22:23], 2
	v_lshl_or_b32 v72, v51, 5, v1
	v_lshlrev_b32_e32 v1, 2, v1
	s_add_u32 s0, s20, s0
	v_lshl_add_u64 v[2:3], v[2:3], 0, v[6:7]
	v_lshl_or_b32 v1, v51, 7, v1
	v_and_b32_e32 v6, 60, v28
	s_addc_u32 s1, s21, s1
	v_lshlrev_b32_e32 v58, 16, v8
	v_and_b32_e32 v59, 0xffff0000, v8
	v_lshlrev_b32_e32 v60, 16, v9
	v_and_b32_e32 v61, 0xffff0000, v9
	s_waitcnt lgkmcnt(0)
	v_lshlrev_b32_e32 v62, 16, v10
	v_and_b32_e32 v63, 0xffff0000, v10
	v_lshlrev_b32_e32 v64, 16, v11
	v_and_b32_e32 v65, 0xffff0000, v11
	;; [unrolled: 2-line block ×4, first 2 shown]
	s_mov_b32 s12, s13
	scratch_store_dword off, v5, off offset:140 ; 4-byte Folded Spill
	v_lshlrev_b32_e32 v71, 2, v4
	v_cmp_neq_f32_e64 s[2:3], s8, 0
	v_add_u32_e32 v73, 0x190, v1
	v_lshl_add_u64 v[4:5], s[0:1], 0, v[6:7]
	s_mov_b64 s[28:29], 0
	s_movk_i32 s34, 0x1000
	s_movk_i32 s35, 0x2000
	v_mov_b32_e32 v70, 0xff7fffff
	v_mov_b32_e32 v1, v51
	scratch_store_dword off, v22, off offset:132 ; 4-byte Folded Spill
	scratch_store_dword off, v28, off offset:136 ; 4-byte Folded Spill
	s_branch .LBB161_9
.LBB161_8:                              ;   in Loop: Header=BB161_9 Depth=1
	s_or_b64 exec, exec, s[30:31]
	v_add_u32_e32 v1, 2, v1
	v_cmp_le_i32_e64 s[0:1], s17, v1
	v_add_u32_e32 v72, 64, v72
	v_add_u32_e32 v73, 0x100, v73
	s_or_b64 s[28:29], s[0:1], s[28:29]
	v_lshl_add_u64 v[4:5], v[4:5], 0, 8
	s_andn2_b64 exec, exec, s[28:29]
	s_cbranch_execz .LBB161_11
.LBB161_9:                              ; =>This Inner Loop Header: Depth=1
	global_load_dword v6, v[4:5], off
	s_waitcnt vmcnt(0) lgkmcnt(0)
	v_mad_i64_i32 v[6:7], s[0:1], v6, s12, 0
	v_lshl_add_u64 v[6:7], v[6:7], 1, v[2:3]
	global_load_dwordx2 v[76:77], v[6:7], off
	global_load_dwordx2 v[78:79], v[6:7], off offset:512
	global_load_dwordx2 v[48:49], v[6:7], off offset:1024
	;; [unrolled: 1-line block ×7, first 2 shown]
	v_add_co_u32_e64 v8, s[0:1], s34, v6
	s_waitcnt vmcnt(7)
	v_lshlrev_b32_e32 v83, 16, v77
	v_addc_co_u32_e64 v9, s[0:1], 0, v7, s[0:1]
	v_add_co_u32_e64 v6, s[0:1], s35, v6
	v_and_b32_e32 v84, 0xffff0000, v77
	s_nop 0
	v_addc_co_u32_e64 v7, s[0:1], 0, v7, s[0:1]
	global_load_dwordx2 v[36:37], v[6:7], off offset:-4096
	global_load_dwordx2 v[34:35], v[8:9], off offset:512
	global_load_dwordx2 v[32:33], v[8:9], off offset:1024
	;; [unrolled: 1-line block ×7, first 2 shown]
	global_load_dwordx2 v[20:21], v[6:7], off
	global_load_dwordx2 v[18:19], v[6:7], off offset:512
	global_load_dwordx2 v[16:17], v[6:7], off offset:1024
	;; [unrolled: 1-line block ×6, first 2 shown]
	s_nop 0
	global_load_dwordx2 v[6:7], v[6:7], off offset:3584
	s_waitcnt vmcnt(22)
	v_lshlrev_b32_e32 v75, 16, v78
	scratch_load_dword v77, off, off offset:16 ; 4-byte Folded Reload
	v_lshlrev_b32_e32 v81, 16, v76
	v_and_b32_e32 v82, 0xffff0000, v76
	v_and_b32_e32 v76, 0xffff0000, v78
	;; [unrolled: 1-line block ×3, first 2 shown]
	s_waitcnt vmcnt(0)
	v_mul_f32_e32 v75, v77, v75
	scratch_load_dword v77, off, off        ; 4-byte Folded Reload
	s_waitcnt vmcnt(0)
	v_fmac_f32_e32 v75, v77, v81
	scratch_load_dword v77, off, off offset:20 ; 4-byte Folded Reload
	scratch_load_dword v81, off, off offset:32 ; 4-byte Folded Reload
	s_waitcnt vmcnt(1)
	v_mul_f32_e32 v76, v77, v76
	scratch_load_dword v77, off, off offset:4 ; 4-byte Folded Reload
	s_waitcnt vmcnt(0)
	v_fmac_f32_e32 v76, v77, v82
	v_lshlrev_b32_e32 v77, 16, v79
	scratch_load_dword v79, off, off offset:24 ; 4-byte Folded Reload
	s_waitcnt vmcnt(0)
	v_mul_f32_e32 v77, v79, v77
	scratch_load_dword v79, off, off offset:8 ; 4-byte Folded Reload
	s_waitcnt vmcnt(0)
	v_fmac_f32_e32 v77, v79, v83
	scratch_load_dword v79, off, off offset:28 ; 4-byte Folded Reload
	s_waitcnt vmcnt(0)
	v_mul_f32_e32 v78, v79, v78
	scratch_load_dword v79, off, off offset:12 ; 4-byte Folded Reload
	s_waitcnt vmcnt(0)
	v_fmac_f32_e32 v78, v79, v84
	v_lshlrev_b32_e32 v79, 16, v48
	v_fmac_f32_e32 v75, v81, v79
	scratch_load_dword v79, off, off offset:36 ; 4-byte Folded Reload
	v_and_b32_e32 v48, 0xffff0000, v48
	s_waitcnt vmcnt(0)
	v_fmac_f32_e32 v76, v79, v48
	scratch_load_dword v79, off, off offset:40 ; 4-byte Folded Reload
	v_lshlrev_b32_e32 v48, 16, v49
	v_and_b32_e32 v49, 0xffff0000, v49
	s_waitcnt vmcnt(0)
	v_fmac_f32_e32 v77, v79, v48
	scratch_load_dword v48, off, off offset:44 ; 4-byte Folded Reload
	s_waitcnt vmcnt(0)
	v_fmac_f32_e32 v78, v48, v49
	scratch_load_dword v49, off, off offset:48 ; 4-byte Folded Reload
	v_lshlrev_b32_e32 v48, 16, v46
	v_and_b32_e32 v46, 0xffff0000, v46
	s_waitcnt vmcnt(0)
	v_fmac_f32_e32 v75, v49, v48
	scratch_load_dword v48, off, off offset:52 ; 4-byte Folded Reload
	;; [unrolled: 8-line block ×11, first 2 shown]
	s_waitcnt vmcnt(0)
	v_fmac_f32_e32 v78, v38, v39
	v_lshlrev_b32_e32 v38, 16, v36
	v_mov_b32_e32 v39, v87
	v_and_b32_e32 v36, 0xffff0000, v36
	v_fmac_f32_e32 v75, v39, v38
	v_mov_b32_e32 v38, v86
	v_fmac_f32_e32 v76, v38, v36
	v_lshlrev_b32_e32 v36, 16, v37
	v_fmac_f32_e32 v77, v88, v36
	v_lshlrev_b32_e32 v36, 16, v34
	v_and_b32_e32 v34, 0xffff0000, v34
	v_fmac_f32_e32 v76, v91, v34
	v_lshlrev_b32_e32 v34, 16, v35
	v_fmac_f32_e32 v77, v92, v34
	v_lshlrev_b32_e32 v34, 16, v32
	v_and_b32_e32 v32, 0xffff0000, v32
	;; [unrolled: 5-line block ×8, first 2 shown]
	v_and_b32_e32 v37, 0xffff0000, v37
	v_fmac_f32_e32 v75, v90, v36
	v_fmac_f32_e32 v76, v119, v20
	v_lshlrev_b32_e32 v20, 16, v21
	v_fmac_f32_e32 v78, v89, v37
	v_and_b32_e32 v35, 0xffff0000, v35
	v_fmac_f32_e32 v75, v94, v34
	v_fmac_f32_e32 v77, v120, v20
	v_lshlrev_b32_e32 v20, 16, v18
	v_and_b32_e32 v18, 0xffff0000, v18
	v_fmac_f32_e32 v78, v93, v35
	v_and_b32_e32 v33, 0xffff0000, v33
	v_fmac_f32_e32 v75, v98, v32
	v_fmac_f32_e32 v76, v123, v18
	v_lshlrev_b32_e32 v18, 16, v19
	v_fmac_f32_e32 v78, v97, v33
	v_and_b32_e32 v31, 0xffff0000, v31
	v_fmac_f32_e32 v75, v102, v30
	v_fmac_f32_e32 v77, v124, v18
	v_lshlrev_b32_e32 v18, 16, v16
	v_and_b32_e32 v16, 0xffff0000, v16
	v_fmac_f32_e32 v78, v101, v31
	;; [unrolled: 11-line block ×7, first 2 shown]
	v_and_b32_e32 v9, 0xffff0000, v9
	v_fmac_f32_e32 v75, v66, v8
	v_fmac_f32_e32 v76, v67, v6
	v_lshlrev_b32_e32 v6, 16, v7
	v_fmac_f32_e32 v78, v65, v9
	v_and_b32_e32 v7, 0xffff0000, v7
	v_fmac_f32_e32 v77, v68, v6
	v_add_f32_e32 v6, v75, v76
	v_fmac_f32_e32 v78, v69, v7
	v_add_f32_e32 v6, v6, v77
	v_add_f32_e32 v6, v78, v6
	ds_bpermute_b32 v7, v71, v6
	s_and_saveexec_b64 s[30:31], vcc
	s_cbranch_execz .LBB161_8
; %bb.10:                               ;   in Loop: Header=BB161_9 Depth=1
	v_add_u32_e32 v8, s15, v72
	v_cvt_f32_i32_e32 v8, v8
	s_waitcnt lgkmcnt(0)
	v_add_f32_e32 v6, v6, v7
	v_cmp_gt_i32_e64 s[0:1], s33, v72
	v_max_f32_e32 v7, v70, v70
	v_mul_f32_e32 v8, s8, v8
	v_cndmask_b32_e64 v8, 0, v8, s[2:3]
	v_fmac_f32_e32 v8, s9, v6
	v_cndmask_b32_e64 v6, 0, v8, s[0:1]
	ds_write_b32 v73, v6
	v_max_f32_e32 v6, v7, v8
	v_cndmask_b32_e64 v70, v70, v6, s[0:1]
	s_branch .LBB161_8
.LBB161_11:
	s_or_b64 exec, exec, s[28:29]
	scratch_load_dword v24, off, off offset:128 ; 4-byte Folded Reload
	scratch_load_dword v22, off, off offset:132 ; 4-byte Folded Reload
	;; [unrolled: 1-line block ×4, first 2 shown]
.LBB161_12:
	s_or_b64 exec, exec, s[26:27]
	v_xor_b32_e32 v0, 32, v80
	s_waitcnt vmcnt(0)
	v_cmp_lt_i32_e32 vcc, v0, v8
	v_xor_b32_e32 v3, 16, v80
	v_max_f32_e32 v2, v70, v70
	v_cndmask_b32_e32 v0, v80, v0, vcc
	v_lshlrev_b32_e32 v0, 2, v0
	ds_bpermute_b32 v1, v0, v70
	v_cmp_lt_i32_e32 vcc, v3, v8
	v_xor_b32_e32 v4, 8, v80
	v_xor_b32_e32 v5, 4, v80
	;; [unrolled: 1-line block ×3, first 2 shown]
	s_waitcnt lgkmcnt(0)
	v_max_f32_e32 v1, v1, v1
	v_max_f32_e32 v2, v2, v1
	v_cndmask_b32_e32 v1, v80, v3, vcc
	v_lshlrev_b32_e32 v1, 2, v1
	ds_bpermute_b32 v3, v1, v2
	v_cmp_lt_i32_e32 vcc, v4, v8
	v_and_b32_e32 v25, 63, v24
	s_waitcnt lgkmcnt(0)
	v_max_f32_e32 v3, v3, v3
	v_max_f32_e32 v3, v2, v3
	v_cndmask_b32_e32 v2, v80, v4, vcc
	v_lshlrev_b32_e32 v2, 2, v2
	ds_bpermute_b32 v4, v2, v3
	v_cmp_lt_i32_e32 vcc, v5, v8
	s_waitcnt lgkmcnt(0)
	v_max_f32_e32 v4, v4, v4
	v_max_f32_e32 v4, v3, v4
	v_cndmask_b32_e32 v3, v80, v5, vcc
	v_lshlrev_b32_e32 v3, 2, v3
	ds_bpermute_b32 v5, v3, v4
	v_cmp_lt_i32_e32 vcc, v6, v8
	s_waitcnt lgkmcnt(0)
	v_max_f32_e32 v5, v5, v5
	v_max_f32_e32 v5, v4, v5
	v_cndmask_b32_e32 v4, v80, v6, vcc
	v_lshlrev_b32_e32 v23, 2, v4
	ds_bpermute_b32 v6, v23, v5
	v_cmp_eq_u32_e32 vcc, 0, v25
	v_lshlrev_b32_e32 v4, 2, v51
	s_and_saveexec_b64 s[0:1], vcc
	s_cbranch_execz .LBB161_14
; %bb.13:
	s_waitcnt lgkmcnt(0)
	v_max_f32_e32 v6, v6, v6
	v_max_f32_e32 v5, v5, v5
	;; [unrolled: 1-line block ×3, first 2 shown]
	ds_write_b32 v4, v5 offset:384
.LBB161_14:
	s_or_b64 exec, exec, s[0:1]
	v_cmp_gt_u32_e64 s[0:1], 2, v25
	s_waitcnt lgkmcnt(0)
	v_mov_b32_e32 v6, 0xff7fffff
	v_lshlrev_b32_e32 v5, 2, v25
	s_barrier
	s_and_saveexec_b64 s[2:3], s[0:1]
	s_cbranch_execz .LBB161_16
; %bb.15:
	ds_read_b32 v6, v5 offset:384
.LBB161_16:
	s_or_b64 exec, exec, s[2:3]
	v_xor_b32_e32 v7, 1, v80
	v_cmp_lt_i32_e64 s[2:3], v7, v8
	v_lshlrev_b32_e32 v8, 2, v80
	s_nop 0
	v_cndmask_b32_e64 v7, v80, v7, s[2:3]
	v_lshlrev_b32_e32 v27, 2, v7
	s_waitcnt lgkmcnt(0)
	ds_bpermute_b32 v7, v27, v6
	v_max_f32_e32 v6, v6, v6
	s_lshl_b32 s2, s17, 5
	s_min_i32 s12, s2, s33
	v_cmp_gt_i32_e64 s[2:3], s12, v24
	s_waitcnt lgkmcnt(0)
	v_max_f32_e32 v7, v7, v7
	v_max_f32_e32 v7, v6, v7
	v_and_b32_e32 v6, 0xffffff00, v8
	ds_bpermute_b32 v8, v6, v7
	v_mov_b32_e32 v7, 0
	s_and_saveexec_b64 s[26:27], s[2:3]
	s_cbranch_execz .LBB161_20
; %bb.17:
	v_mov_b32_e32 v7, 0x190
	v_lshl_add_u32 v9, v24, 2, v7
	s_mov_b64 s[28:29], 0
	v_mov_b32_e32 v7, 0
	v_mov_b32_e32 v10, v24
.LBB161_18:                             ; =>This Inner Loop Header: Depth=1
	ds_read_b32 v11, v9
	v_add_u32_e32 v10, 0x80, v10
	v_cmp_le_i32_e64 s[8:9], s12, v10
	s_or_b64 s[28:29], s[8:9], s[28:29]
	s_waitcnt lgkmcnt(0)
	v_sub_f32_e32 v11, v11, v8
	v_mul_f32_e32 v11, 0x3fb8aa3b, v11
	v_exp_f32_e32 v11, v11
	ds_write_b32 v9, v11
	v_add_f32_e32 v7, v7, v11
	v_add_u32_e32 v9, 0x200, v9
	s_andn2_b64 exec, exec, s[28:29]
	s_cbranch_execnz .LBB161_18
; %bb.19:
	s_or_b64 exec, exec, s[28:29]
.LBB161_20:
	s_or_b64 exec, exec, s[26:27]
	ds_bpermute_b32 v0, v0, v7
	s_waitcnt lgkmcnt(0)
	v_add_f32_e32 v0, v7, v0
	ds_bpermute_b32 v1, v1, v0
	s_waitcnt lgkmcnt(0)
	v_add_f32_e32 v0, v0, v1
	;; [unrolled: 3-line block ×6, first 2 shown]
	s_and_saveexec_b64 s[8:9], vcc
	s_cbranch_execz .LBB161_22
; %bb.21:
	ds_write_b32 v4, v0 offset:392
.LBB161_22:
	s_or_b64 exec, exec, s[8:9]
	s_waitcnt lgkmcnt(0)
	s_barrier
	s_and_saveexec_b64 s[8:9], s[0:1]
	s_cbranch_execz .LBB161_24
; %bb.23:
	ds_read_b32 v0, v5 offset:392
.LBB161_24:
	s_or_b64 exec, exec, s[8:9]
	s_waitcnt lgkmcnt(0)
	ds_bpermute_b32 v1, v27, v0
	s_waitcnt lgkmcnt(0)
	v_add_f32_e32 v0, v0, v1
	ds_bpermute_b32 v0, v6, v0
	s_and_saveexec_b64 s[0:1], s[2:3]
	s_cbranch_execz .LBB161_37
; %bb.25:
	s_waitcnt lgkmcnt(0)
	v_add_f32_e32 v0, 0x358637bd, v0
	v_div_scale_f32 v1, s[2:3], v0, v0, 1.0
	v_rcp_f32_e32 v2, v1
	v_div_scale_f32 v3, vcc, 1.0, v0, 1.0
	s_movk_i32 s2, 0x7f
	v_fma_f32 v4, -v1, v2, 1.0
	v_fmac_f32_e32 v2, v4, v2
	v_mul_f32_e32 v4, v3, v2
	v_fma_f32 v5, -v1, v4, v3
	v_fmac_f32_e32 v4, v5, v2
	v_fma_f32 v1, -v1, v4, v3
	v_div_fmas_f32 v1, v1, v2, v4
	v_div_fixup_f32 v2, v1, v0, 1.0
	v_xad_u32 v1, v24, -1, s12
	v_cmp_lt_u32_e32 vcc, s2, v1
	s_mov_b64 s[8:9], -1
	v_mov_b32_e32 v0, v24
	s_and_saveexec_b64 s[2:3], vcc
	s_cbranch_execz .LBB161_34
; %bb.26:
	v_lshrrev_b32_e32 v0, 7, v1
	v_add_u32_e32 v4, -1, v0
	v_lshrrev_b32_e32 v1, 1, v4
	v_mov_b32_e32 v3, v2
	v_add_u32_e32 v1, 1, v1
	v_cmp_lt_u32_e32 vcc, 13, v4
	v_mov_b32_e32 v6, 0
	s_and_saveexec_b64 s[8:9], vcc
	s_cbranch_execz .LBB161_30
; %bb.27:
	v_mov_b32_e32 v5, 0x190
	v_and_b32_e32 v4, -8, v1
	v_lshl_add_u32 v5, v24, 2, v5
	s_mov_b32 s15, 0
	s_mov_b64 s[26:27], 0
.LBB161_28:                             ; =>This Inner Loop Header: Depth=1
	ds_read2st64_b32 v[6:7], v5 offset1:2
	ds_read2st64_b32 v[8:9], v5 offset0:4 offset1:6
	ds_read2st64_b32 v[10:11], v5 offset0:8 offset1:10
	;; [unrolled: 1-line block ×3, first 2 shown]
	v_add_u32_e32 v4, -8, v4
	s_waitcnt lgkmcnt(3)
	v_pk_mul_f32 v[6:7], v[2:3], v[6:7]
	s_waitcnt lgkmcnt(2)
	v_pk_mul_f32 v[8:9], v[2:3], v[8:9]
	ds_write2st64_b32 v5, v6, v7 offset1:2
	ds_write2st64_b32 v5, v8, v9 offset0:4 offset1:6
	ds_read2st64_b32 v[8:9], v5 offset0:16 offset1:18
	s_waitcnt lgkmcnt(4)
	v_pk_mul_f32 v[6:7], v[2:3], v[10:11]
	ds_write2st64_b32 v5, v6, v7 offset0:8 offset1:10
	s_waitcnt lgkmcnt(4)
	v_pk_mul_f32 v[6:7], v[2:3], v[12:13]
	ds_write2st64_b32 v5, v6, v7 offset0:12 offset1:14
	ds_read2st64_b32 v[6:7], v5 offset0:20 offset1:22
	s_waitcnt lgkmcnt(3)
	v_pk_mul_f32 v[8:9], v[2:3], v[8:9]
	ds_read2st64_b32 v[10:11], v5 offset0:24 offset1:26
	ds_write2st64_b32 v5, v8, v9 offset0:16 offset1:18
	ds_read2st64_b32 v[8:9], v5 offset0:28 offset1:30
	s_waitcnt lgkmcnt(3)
	v_pk_mul_f32 v[6:7], v[2:3], v[6:7]
	ds_write2st64_b32 v5, v6, v7 offset0:20 offset1:22
	s_waitcnt lgkmcnt(3)
	v_pk_mul_f32 v[6:7], v[2:3], v[10:11]
	ds_write2st64_b32 v5, v6, v7 offset0:24 offset1:26
	s_waitcnt lgkmcnt(2)
	v_pk_mul_f32 v[6:7], v[2:3], v[8:9]
	s_add_i32 s15, s15, 16
	v_cmp_eq_u32_e32 vcc, 0, v4
	ds_write2st64_b32 v5, v6, v7 offset0:28 offset1:30
	v_add_u32_e32 v5, 0x2000, v5
	s_or_b64 s[26:27], vcc, s[26:27]
	v_mov_b32_e32 v6, s15
	s_andn2_b64 exec, exec, s[26:27]
	s_cbranch_execnz .LBB161_28
; %bb.29:
	s_or_b64 exec, exec, s[26:27]
.LBB161_30:
	s_or_b64 exec, exec, s[8:9]
	v_and_b32_e32 v1, 7, v1
	v_cmp_ne_u32_e32 vcc, 0, v1
	s_and_saveexec_b64 s[8:9], vcc
	s_cbranch_execz .LBB161_33
; %bb.31:
	v_lshlrev_b32_e32 v4, 9, v6
	v_lshlrev_b32_e32 v5, 2, v24
	s_movk_i32 s15, 0x190
	v_add3_u32 v4, v4, v5, s15
	s_mov_b64 s[26:27], 0
.LBB161_32:                             ; =>This Inner Loop Header: Depth=1
	ds_read2st64_b32 v[6:7], v4 offset1:2
	v_add_u32_e32 v1, -1, v1
	v_cmp_eq_u32_e32 vcc, 0, v1
	s_or_b64 s[26:27], vcc, s[26:27]
	s_waitcnt lgkmcnt(0)
	v_pk_mul_f32 v[6:7], v[2:3], v[6:7]
	ds_write2st64_b32 v4, v6, v7 offset1:2
	v_add_u32_e32 v4, 0x400, v4
	s_andn2_b64 exec, exec, s[26:27]
	s_cbranch_execnz .LBB161_32
.LBB161_33:
	s_or_b64 exec, exec, s[8:9]
	v_add_u32_e32 v1, 1, v0
	v_and_b32_e32 v3, 0x3fffffe, v1
	v_cmp_ne_u32_e32 vcc, v1, v3
	v_lshl_add_u32 v0, v3, 7, v24
	s_orn2_b64 s[8:9], vcc, exec
.LBB161_34:
	s_or_b64 exec, exec, s[2:3]
	s_and_b64 exec, exec, s[8:9]
	s_cbranch_execz .LBB161_37
; %bb.35:
	v_mov_b32_e32 v1, 0x190
	v_lshl_add_u32 v1, v0, 2, v1
	s_mov_b64 s[2:3], 0
.LBB161_36:                             ; =>This Inner Loop Header: Depth=1
	ds_read_b32 v3, v1
	v_add_u32_e32 v0, 0x80, v0
	v_cmp_le_i32_e32 vcc, s12, v0
	s_or_b64 s[2:3], vcc, s[2:3]
	s_waitcnt lgkmcnt(0)
	v_mul_f32_e32 v3, v2, v3
	ds_write_b32 v1, v3
	v_add_u32_e32 v1, 0x200, v1
	s_andn2_b64 exec, exec, s[2:3]
	s_cbranch_execnz .LBB161_36
.LBB161_37:
	s_or_b64 exec, exec, s[0:1]
	v_mov_b32_e32 v20, 0
	v_and_b32_e32 v26, 3, v24
	v_mov_b32_e32 v21, 0
	v_mov_b32_e32 v18, 0
	;; [unrolled: 1-line block ×11, first 2 shown]
	s_waitcnt lgkmcnt(0)
	s_barrier
	s_and_saveexec_b64 s[2:3], s[6:7]
	s_cbranch_execz .LBB161_481
; %bb.38:
	s_ashr_i32 s15, s14, 31
	s_lshl_b64 s[0:1], s[14:15], 1
	s_add_u32 s6, s24, s0
	v_and_b32_e32 v1, 24, v22
	s_addc_u32 s7, s25, s1
	s_add_i32 s14, s17, -1
	v_lshlrev_b32_e32 v3, 5, v51
	s_lshl_b64 s[0:1], s[22:23], 2
	v_and_b32_e32 v0, 0x1f8, v22
	v_or3_b32 v46, v3, v1, 7
	v_lshlrev_b32_e32 v1, 5, v26
	s_add_u32 s0, s20, s0
	scratch_store_dword off, v27, off offset:52 ; 4-byte Folded Spill
	scratch_store_dword off, v23, off offset:48 ; 4-byte Folded Spill
	;; [unrolled: 1-line block ×3, first 2 shown]
	v_mov_b32_e32 v23, 0
	v_or_b32_e32 v2, 0x800, v0
	v_or_b32_e32 v4, 0xa00, v0
	;; [unrolled: 1-line block ×8, first 2 shown]
	v_lshl_or_b32 v1, v51, 7, v1
	v_and_b32_e32 v22, 60, v28
	s_addc_u32 s1, s21, s1
	s_mov_b32 s26, s13
	scratch_store_dword off, v26, off offset:44 ; 4-byte Folded Spill
	v_add_u32_e32 v47, 0x190, v1
	v_lshl_add_u64 v[24:25], s[0:1], 0, v[22:23]
	s_mov_b64 s[8:9], 0
	s_mov_b32 s15, 0x7f800000
	s_movk_i32 s20, 0x7fff
	v_lshlrev_b32_e32 v22, 1, v0
	v_lshlrev_b32_e32 v26, 1, v2
	;; [unrolled: 1-line block ×9, first 2 shown]
	v_mov_b32_e32 v11, v23
	v_mov_b32_e32 v10, v23
	;; [unrolled: 1-line block ×12, first 2 shown]
	s_branch .LBB161_40
.LBB161_39:                             ;   in Loop: Header=BB161_40 Depth=1
	s_or_b64 exec, exec, s[0:1]
	v_and_b32_e32 v52, 0xffff0000, v52
	v_and_b32_e32 v1, 0xffff0000, v1
	;; [unrolled: 1-line block ×6, first 2 shown]
	v_add_f32_e32 v39, v39, v50
	v_add_f32_e32 v1, v1, v52
	v_and_b32_e32 v55, 0xffff0000, v55
	v_and_b32_e32 v56, 0xffff0000, v56
	v_add_f32_e32 v1, v39, v1
	v_add_f32_e32 v39, v53, v54
	v_add_f32_e32 v1, v1, v39
	v_add_f32_e32 v39, v55, v56
	v_add_f32_e32 v1, v1, v39
	v_and_b32_e32 v42, 0xffff0000, v42
	v_and_b32_e32 v43, 0xffff0000, v43
	v_and_b32_e32 v37, 0xffff0000, v37
	v_and_b32_e32 v0, 0xffff0000, v0
	v_add_f32_e32 v10, v10, v1
	v_and_b32_e32 v1, 0xffff0000, v45
	v_and_b32_e32 v39, 0xffff0000, v44
	v_add_f32_e32 v0, v0, v37
	v_add_f32_e32 v37, v43, v42
	v_and_b32_e32 v44, 0xffff0000, v48
	v_and_b32_e32 v45, 0xffff0000, v49
	v_add_f32_e32 v0, v0, v37
	v_add_f32_e32 v1, v39, v1
	v_add_f32_e32 v0, v0, v1
	v_add_f32_e32 v1, v44, v45
	v_add_f32_e32 v0, v0, v1
	v_and_b32_e32 v37, 0xffff0000, v123
	v_and_b32_e32 v39, 0xffff0000, v122
	v_and_b32_e32 v42, 0xffff0000, v121
	v_and_b32_e32 v35, 0xffff0000, v35
	v_add_f32_e32 v13, v13, v0
	v_and_b32_e32 v0, 0xffff0000, v125
	v_and_b32_e32 v1, 0xffff0000, v124
	;; [unrolled: 16-line block ×7, first 2 shown]
	v_add_f32_e32 v8, v8, v9
	v_add_f32_e32 v9, v29, v27
	;; [unrolled: 1-line block ×5, first 2 shown]
	v_and_b32_e32 v8, 0xffff0000, v82
	v_and_b32_e32 v9, 0xffff0000, v81
	v_and_b32_e32 v27, 0xffff0000, v80
	v_and_b32_e32 v29, 0xffff0000, v79
	v_add_f32_e32 v27, v29, v27
	v_add_f32_e32 v8, v9, v8
	;; [unrolled: 1-line block ×3, first 2 shown]
	scratch_load_dword v27, off, off offset:36 ; 4-byte Folded Reload
	scratch_load_dword v29, off, off offset:32 ; 4-byte Folded Reload
	v_and_b32_e32 v31, 0xffff0000, v91
	v_and_b32_e32 v33, 0xffff0000, v92
	v_add_f32_e32 v1, v31, v33
	v_add_f32_e32 v0, v0, v1
	;; [unrolled: 1-line block ×3, first 2 shown]
	v_and_b32_e32 v0, 0xffff0000, v84
	v_and_b32_e32 v1, 0xffff0000, v83
	;; [unrolled: 1-line block ×4, first 2 shown]
	v_add_f32_e32 v0, v1, v0
	v_add_f32_e32 v0, v8, v0
	;; [unrolled: 1-line block ×4, first 2 shown]
	v_and_b32_e32 v8, 0xffff0000, v69
	v_and_b32_e32 v9, 0xffff0000, v74
	v_add_f32_e32 v18, v18, v0
	v_and_b32_e32 v0, 0xffff0000, v76
	v_and_b32_e32 v1, 0xffff0000, v75
	v_add_f32_e32 v8, v9, v8
	;; [unrolled: 3-line block ×3, first 2 shown]
	v_add_f32_e32 v1, v31, v33
	scratch_load_dword v9, off, off offset:8 ; 4-byte Folded Reload
	scratch_load_dword v31, off, off offset:24 ; 4-byte Folded Reload
	;; [unrolled: 1-line block ×3, first 2 shown]
	v_and_b32_e32 v7, 0xffff0000, v7
	v_and_b32_e32 v6, 0xffff0000, v6
	;; [unrolled: 1-line block ×6, first 2 shown]
	v_pk_add_f32 v[2:3], v[2:3], v[6:7]
	v_add_u32_e32 v51, 2, v51
	v_add_f32_e32 v2, v2, v3
	v_cmp_le_i32_e32 vcc, s17, v51
	v_add_u32_e32 v46, 64, v46
	v_add_u32_e32 v47, 0x100, v47
	s_or_b64 s[8:9], vcc, s[8:9]
	v_lshl_add_u64 v[24:25], v[24:25], 0, 8
	s_waitcnt vmcnt(4)
	v_and_b32_e32 v27, 0xffff0000, v27
	s_waitcnt vmcnt(3)
	v_and_b32_e32 v29, 0xffff0000, v29
	v_add_f32_e32 v27, v29, v27
	v_add_f32_e32 v8, v27, v8
	;; [unrolled: 1-line block ×5, first 2 shown]
	scratch_load_dword v0, off, off offset:20 ; 4-byte Folded Reload
	scratch_load_dword v1, off, off offset:16 ; 4-byte Folded Reload
	;; [unrolled: 1-line block ×4, first 2 shown]
	scratch_load_dword v29, off, off        ; 4-byte Folded Reload
	s_waitcnt vmcnt(7)
	v_and_b32_e32 v9, 0xffff0000, v9
	s_waitcnt vmcnt(6)
	v_and_b32_e32 v31, 0xffff0000, v31
	;; [unrolled: 2-line block ×8, first 2 shown]
	v_add_f32_e32 v27, v29, v27
	v_add_f32_e32 v8, v9, v8
	;; [unrolled: 1-line block ×8, first 2 shown]
	v_and_b32_e32 v1, 0xffff0000, v41
	v_and_b32_e32 v0, 0xffff0000, v57
	v_pk_add_f32 v[0:1], v[4:5], v[0:1]
	s_nop 0
	v_add_f32_e32 v0, v2, v0
	v_add_f32_e32 v0, v0, v1
	;; [unrolled: 1-line block ×3, first 2 shown]
	s_andn2_b64 exec, exec, s[8:9]
	s_cbranch_execz .LBB161_480
.LBB161_40:                             ; =>This Inner Loop Header: Depth=1
	global_load_dword v39, v[24:25], off
	ds_read2_b64 v[6:9], v47 offset1:1
	ds_read2_b64 v[2:5], v47 offset0:2 offset1:3
                                        ; implicit-def: $vgpr37
	s_waitcnt lgkmcnt(1)
	v_and_b32_e32 v0, 0x7f800000, v6
	v_cmp_ne_u32_e32 vcc, s15, v0
	s_and_saveexec_b64 s[0:1], vcc
	s_xor_b64 s[0:1], exec, s[0:1]
; %bb.41:                               ;   in Loop: Header=BB161_40 Depth=1
	v_bfe_u32 v0, v6, 16, 1
	v_add3_u32 v37, v6, v0, s20
; %bb.42:                               ;   in Loop: Header=BB161_40 Depth=1
	s_andn2_saveexec_b64 s[0:1], s[0:1]
; %bb.43:                               ;   in Loop: Header=BB161_40 Depth=1
	v_or_b32_e32 v0, 0x10000, v6
	v_cmp_eq_u32_sdwa vcc, v6, v23 src0_sel:WORD_0 src1_sel:DWORD
	s_nop 1
	v_cndmask_b32_e32 v37, v0, v6, vcc
; %bb.44:                               ;   in Loop: Header=BB161_40 Depth=1
	s_or_b64 exec, exec, s[0:1]
	v_and_b32_e32 v0, 0x7f800000, v7
	v_cmp_ne_u32_e32 vcc, s15, v0
                                        ; implicit-def: $vgpr35
	s_and_saveexec_b64 s[0:1], vcc
	s_xor_b64 s[0:1], exec, s[0:1]
; %bb.45:                               ;   in Loop: Header=BB161_40 Depth=1
	v_bfe_u32 v0, v7, 16, 1
	v_add3_u32 v35, v7, v0, s20
; %bb.46:                               ;   in Loop: Header=BB161_40 Depth=1
	s_andn2_saveexec_b64 s[0:1], s[0:1]
; %bb.47:                               ;   in Loop: Header=BB161_40 Depth=1
	v_or_b32_e32 v0, 0x10000, v7
	v_cmp_eq_u32_sdwa vcc, v7, v23 src0_sel:WORD_0 src1_sel:DWORD
	s_nop 1
	v_cndmask_b32_e32 v35, v0, v7, vcc
; %bb.48:                               ;   in Loop: Header=BB161_40 Depth=1
	s_or_b64 exec, exec, s[0:1]
	v_and_b32_e32 v0, 0x7f800000, v8
	v_cmp_ne_u32_e32 vcc, s15, v0
                                        ; implicit-def: $vgpr33
	s_and_saveexec_b64 s[0:1], vcc
	s_xor_b64 s[0:1], exec, s[0:1]
; %bb.49:                               ;   in Loop: Header=BB161_40 Depth=1
	v_bfe_u32 v0, v8, 16, 1
	v_add3_u32 v33, v8, v0, s20
; %bb.50:                               ;   in Loop: Header=BB161_40 Depth=1
	s_andn2_saveexec_b64 s[0:1], s[0:1]
; %bb.51:                               ;   in Loop: Header=BB161_40 Depth=1
	v_or_b32_e32 v0, 0x10000, v8
	v_cmp_eq_u32_sdwa vcc, v8, v23 src0_sel:WORD_0 src1_sel:DWORD
	s_nop 1
	v_cndmask_b32_e32 v33, v0, v8, vcc
; %bb.52:                               ;   in Loop: Header=BB161_40 Depth=1
	s_or_b64 exec, exec, s[0:1]
	v_and_b32_e32 v0, 0x7f800000, v9
	v_cmp_ne_u32_e32 vcc, s15, v0
                                        ; implicit-def: $vgpr31
	s_and_saveexec_b64 s[0:1], vcc
	s_xor_b64 s[0:1], exec, s[0:1]
; %bb.53:                               ;   in Loop: Header=BB161_40 Depth=1
	v_bfe_u32 v0, v9, 16, 1
	v_add3_u32 v31, v9, v0, s20
                                        ; implicit-def: $vgpr6_vgpr7_vgpr8_vgpr9
; %bb.54:                               ;   in Loop: Header=BB161_40 Depth=1
	s_andn2_saveexec_b64 s[0:1], s[0:1]
; %bb.55:                               ;   in Loop: Header=BB161_40 Depth=1
	v_or_b32_e32 v0, 0x10000, v9
	v_cmp_eq_u32_sdwa vcc, v9, v23 src0_sel:WORD_0 src1_sel:DWORD
	s_nop 1
	v_cndmask_b32_e32 v31, v0, v9, vcc
; %bb.56:                               ;   in Loop: Header=BB161_40 Depth=1
	s_or_b64 exec, exec, s[0:1]
	s_waitcnt lgkmcnt(0)
	v_and_b32_e32 v0, 0x7f800000, v2
	v_cmp_ne_u32_e32 vcc, s15, v0
                                        ; implicit-def: $vgpr29
	s_and_saveexec_b64 s[0:1], vcc
	s_xor_b64 s[0:1], exec, s[0:1]
; %bb.57:                               ;   in Loop: Header=BB161_40 Depth=1
	v_bfe_u32 v0, v2, 16, 1
	v_add3_u32 v29, v2, v0, s20
; %bb.58:                               ;   in Loop: Header=BB161_40 Depth=1
	s_andn2_saveexec_b64 s[0:1], s[0:1]
; %bb.59:                               ;   in Loop: Header=BB161_40 Depth=1
	v_or_b32_e32 v0, 0x10000, v2
	v_cmp_eq_u32_sdwa vcc, v2, v23 src0_sel:WORD_0 src1_sel:DWORD
	s_nop 1
	v_cndmask_b32_e32 v29, v0, v2, vcc
; %bb.60:                               ;   in Loop: Header=BB161_40 Depth=1
	s_or_b64 exec, exec, s[0:1]
	v_and_b32_e32 v0, 0x7f800000, v3
	v_cmp_ne_u32_e32 vcc, s15, v0
                                        ; implicit-def: $vgpr27
	s_and_saveexec_b64 s[0:1], vcc
	s_xor_b64 s[0:1], exec, s[0:1]
; %bb.61:                               ;   in Loop: Header=BB161_40 Depth=1
	v_bfe_u32 v0, v3, 16, 1
	v_add3_u32 v27, v3, v0, s20
; %bb.62:                               ;   in Loop: Header=BB161_40 Depth=1
	s_andn2_saveexec_b64 s[0:1], s[0:1]
; %bb.63:                               ;   in Loop: Header=BB161_40 Depth=1
	v_or_b32_e32 v0, 0x10000, v3
	v_cmp_eq_u32_sdwa vcc, v3, v23 src0_sel:WORD_0 src1_sel:DWORD
	s_nop 1
	v_cndmask_b32_e32 v27, v0, v3, vcc
; %bb.64:                               ;   in Loop: Header=BB161_40 Depth=1
	s_or_b64 exec, exec, s[0:1]
	v_and_b32_e32 v0, 0x7f800000, v4
	v_cmp_ne_u32_e32 vcc, s15, v0
                                        ; implicit-def: $vgpr1
	s_and_saveexec_b64 s[0:1], vcc
	s_xor_b64 s[0:1], exec, s[0:1]
; %bb.65:                               ;   in Loop: Header=BB161_40 Depth=1
	v_bfe_u32 v0, v4, 16, 1
	v_add3_u32 v1, v4, v0, s20
; %bb.66:                               ;   in Loop: Header=BB161_40 Depth=1
	s_andn2_saveexec_b64 s[0:1], s[0:1]
; %bb.67:                               ;   in Loop: Header=BB161_40 Depth=1
	v_or_b32_e32 v0, 0x10000, v4
	v_cmp_eq_u32_sdwa vcc, v4, v23 src0_sel:WORD_0 src1_sel:DWORD
	s_nop 1
	v_cndmask_b32_e32 v1, v0, v4, vcc
; %bb.68:                               ;   in Loop: Header=BB161_40 Depth=1
	s_or_b64 exec, exec, s[0:1]
	v_and_b32_e32 v0, 0x7f800000, v5
	v_cmp_ne_u32_e32 vcc, s15, v0
                                        ; implicit-def: $vgpr0
	s_and_saveexec_b64 s[0:1], vcc
	s_xor_b64 s[0:1], exec, s[0:1]
; %bb.69:                               ;   in Loop: Header=BB161_40 Depth=1
	v_bfe_u32 v0, v5, 16, 1
	v_add3_u32 v0, v5, v0, s20
                                        ; implicit-def: $vgpr2_vgpr3_vgpr4_vgpr5
; %bb.70:                               ;   in Loop: Header=BB161_40 Depth=1
	s_andn2_saveexec_b64 s[0:1], s[0:1]
; %bb.71:                               ;   in Loop: Header=BB161_40 Depth=1
	v_or_b32_e32 v0, 0x10000, v5
	v_cmp_eq_u32_sdwa vcc, v5, v23 src0_sel:WORD_0 src1_sel:DWORD
	s_nop 1
	v_cndmask_b32_e32 v0, v0, v5, vcc
; %bb.72:                               ;   in Loop: Header=BB161_40 Depth=1
	s_or_b64 exec, exec, s[0:1]
	s_waitcnt vmcnt(0)
	v_mad_i64_i32 v[2:3], s[0:1], v39, s26, 0
	v_lshl_add_u64 v[6:7], v[2:3], 1, s[6:7]
	v_lshl_add_u64 v[8:9], v[6:7], 0, v[22:23]
	global_load_dwordx4 v[2:5], v[8:9], off
	v_add_u32_e32 v57, -7, v46
	v_cmp_eq_u32_e32 vcc, s14, v51
	v_add_u32_e32 v64, -6, v46
	v_add_u32_e32 v62, -5, v46
	v_add_u32_e32 v61, -4, v46
	v_add_u32_e32 v60, -3, v46
	v_add_u32_e32 v59, -2, v46
	v_add_u32_e32 v63, -1, v46
	s_waitcnt vmcnt(0)
	v_lshrrev_b32_e32 v43, 16, v2
	v_lshrrev_b32_e32 v42, 16, v3
	v_lshrrev_b32_e32 v41, 16, v4
	v_lshrrev_b32_e32 v39, 16, v5
	s_and_saveexec_b64 s[12:13], vcc
	s_cbranch_execz .LBB161_74
; %bb.73:                               ;   in Loop: Header=BB161_40 Depth=1
	v_cmp_gt_i32_e64 s[0:1], s33, v57
	s_nop 1
	v_cndmask_b32_e64 v2, 0, v2, s[0:1]
	v_cmp_gt_i32_e64 s[0:1], s33, v64
	s_nop 1
	v_cndmask_b32_e64 v43, 0, v43, s[0:1]
	;; [unrolled: 3-line block ×8, first 2 shown]
.LBB161_74:                             ;   in Loop: Header=BB161_40 Depth=1
	s_or_b64 exec, exec, s[12:13]
	v_and_b32_e32 v65, 0xffff0000, v37
	v_lshlrev_b32_e32 v2, 16, v2
	v_mul_f32_e32 v2, v65, v2
	v_and_b32_e32 v37, 0x7f800000, v2
	v_cmp_ne_u32_e64 s[0:1], s15, v37
                                        ; implicit-def: $vgpr37
                                        ; kill: killed $vgpr37
	s_and_saveexec_b64 s[12:13], s[0:1]
	s_xor_b64 s[0:1], exec, s[12:13]
	s_cbranch_execz .LBB161_76
; %bb.75:                               ;   in Loop: Header=BB161_40 Depth=1
	v_bfe_u32 v37, v2, 16, 1
	v_add3_u32 v2, v2, v37, s20
	scratch_store_dword off, v2, off        ; 4-byte Folded Spill
                                        ; implicit-def: $vgpr2
.LBB161_76:                             ;   in Loop: Header=BB161_40 Depth=1
	s_andn2_saveexec_b64 s[12:13], s[0:1]
	s_cbranch_execz .LBB161_78
; %bb.77:                               ;   in Loop: Header=BB161_40 Depth=1
	v_or_b32_e32 v37, 0x10000, v2
	v_cmp_eq_u32_sdwa s[0:1], v2, v23 src0_sel:WORD_0 src1_sel:DWORD
	s_nop 1
	v_cndmask_b32_e64 v2, v37, v2, s[0:1]
	scratch_store_dword off, v2, off        ; 4-byte Folded Spill
.LBB161_78:                             ;   in Loop: Header=BB161_40 Depth=1
	s_or_b64 exec, exec, s[12:13]
	v_and_b32_e32 v66, 0xffff0000, v35
	v_lshlrev_b32_e32 v2, 16, v43
	v_mul_f32_e32 v2, v66, v2
	v_and_b32_e32 v35, 0x7f800000, v2
	v_cmp_ne_u32_e64 s[0:1], s15, v35
                                        ; implicit-def: $vgpr35
                                        ; kill: killed $vgpr35
	s_and_saveexec_b64 s[12:13], s[0:1]
	s_xor_b64 s[0:1], exec, s[12:13]
	s_cbranch_execz .LBB161_80
; %bb.79:                               ;   in Loop: Header=BB161_40 Depth=1
	v_bfe_u32 v35, v2, 16, 1
	v_add3_u32 v2, v2, v35, s20
	scratch_store_dword off, v2, off offset:4 ; 4-byte Folded Spill
                                        ; implicit-def: $vgpr2
.LBB161_80:                             ;   in Loop: Header=BB161_40 Depth=1
	s_andn2_saveexec_b64 s[12:13], s[0:1]
	s_cbranch_execz .LBB161_82
; %bb.81:                               ;   in Loop: Header=BB161_40 Depth=1
	v_or_b32_e32 v35, 0x10000, v2
	v_cmp_eq_u32_sdwa s[0:1], v2, v23 src0_sel:WORD_0 src1_sel:DWORD
	s_nop 1
	v_cndmask_b32_e64 v2, v35, v2, s[0:1]
	scratch_store_dword off, v2, off offset:4 ; 4-byte Folded Spill
.LBB161_82:                             ;   in Loop: Header=BB161_40 Depth=1
	s_or_b64 exec, exec, s[12:13]
	v_and_b32_e32 v67, 0xffff0000, v33
	v_lshlrev_b32_e32 v2, 16, v3
	v_mul_f32_e32 v2, v67, v2
	v_and_b32_e32 v3, 0x7f800000, v2
	v_cmp_ne_u32_e64 s[0:1], s15, v3
                                        ; implicit-def: $vgpr3
                                        ; kill: killed $vgpr3
	s_and_saveexec_b64 s[12:13], s[0:1]
	s_xor_b64 s[0:1], exec, s[12:13]
	s_cbranch_execz .LBB161_84
; %bb.83:                               ;   in Loop: Header=BB161_40 Depth=1
	v_bfe_u32 v3, v2, 16, 1
	v_add3_u32 v2, v2, v3, s20
	scratch_store_dword off, v2, off offset:8 ; 4-byte Folded Spill
                                        ; implicit-def: $vgpr2
.LBB161_84:                             ;   in Loop: Header=BB161_40 Depth=1
	s_andn2_saveexec_b64 s[12:13], s[0:1]
	s_cbranch_execz .LBB161_86
; %bb.85:                               ;   in Loop: Header=BB161_40 Depth=1
	v_or_b32_e32 v3, 0x10000, v2
	v_cmp_eq_u32_sdwa s[0:1], v2, v23 src0_sel:WORD_0 src1_sel:DWORD
	s_nop 1
	v_cndmask_b32_e64 v2, v3, v2, s[0:1]
	scratch_store_dword off, v2, off offset:8 ; 4-byte Folded Spill
.LBB161_86:                             ;   in Loop: Header=BB161_40 Depth=1
	s_or_b64 exec, exec, s[12:13]
	v_and_b32_e32 v68, 0xffff0000, v31
	v_lshlrev_b32_e32 v2, 16, v42
	v_mul_f32_e32 v2, v68, v2
	v_and_b32_e32 v3, 0x7f800000, v2
	v_cmp_ne_u32_e64 s[0:1], s15, v3
                                        ; implicit-def: $vgpr3
                                        ; kill: killed $vgpr3
	;; [unrolled: 26-line block ×4, first 2 shown]
	s_and_saveexec_b64 s[12:13], s[0:1]
	s_xor_b64 s[0:1], exec, s[12:13]
	s_cbranch_execz .LBB161_96
; %bb.95:                               ;   in Loop: Header=BB161_40 Depth=1
	v_bfe_u32 v3, v2, 16, 1
	v_add3_u32 v2, v2, v3, s20
	scratch_store_dword off, v2, off offset:20 ; 4-byte Folded Spill
                                        ; implicit-def: $vgpr2
.LBB161_96:                             ;   in Loop: Header=BB161_40 Depth=1
	s_andn2_saveexec_b64 s[12:13], s[0:1]
	s_cbranch_execz .LBB161_98
; %bb.97:                               ;   in Loop: Header=BB161_40 Depth=1
	v_or_b32_e32 v3, 0x10000, v2
	v_cmp_eq_u32_sdwa s[0:1], v2, v23 src0_sel:WORD_0 src1_sel:DWORD
	s_nop 1
	v_cndmask_b32_e64 v2, v3, v2, s[0:1]
	scratch_store_dword off, v2, off offset:20 ; 4-byte Folded Spill
.LBB161_98:                             ;   in Loop: Header=BB161_40 Depth=1
	s_or_b64 exec, exec, s[12:13]
	v_and_b32_e32 v72, 0xffff0000, v1
	v_lshlrev_b32_e32 v1, 16, v5
	v_mul_f32_e32 v1, v72, v1
	v_and_b32_e32 v2, 0x7f800000, v1
	v_cmp_ne_u32_e64 s[0:1], s15, v2
                                        ; implicit-def: $vgpr2
                                        ; kill: killed $vgpr2
	s_and_saveexec_b64 s[12:13], s[0:1]
	s_xor_b64 s[0:1], exec, s[12:13]
	s_cbranch_execz .LBB161_100
; %bb.99:                               ;   in Loop: Header=BB161_40 Depth=1
	v_bfe_u32 v2, v1, 16, 1
	v_add3_u32 v1, v1, v2, s20
	scratch_store_dword off, v1, off offset:24 ; 4-byte Folded Spill
                                        ; implicit-def: $vgpr1
.LBB161_100:                            ;   in Loop: Header=BB161_40 Depth=1
	s_andn2_saveexec_b64 s[12:13], s[0:1]
	s_cbranch_execz .LBB161_102
; %bb.101:                              ;   in Loop: Header=BB161_40 Depth=1
	v_or_b32_e32 v2, 0x10000, v1
	v_cmp_eq_u32_sdwa s[0:1], v1, v23 src0_sel:WORD_0 src1_sel:DWORD
	s_nop 1
	v_cndmask_b32_e64 v1, v2, v1, s[0:1]
	scratch_store_dword off, v1, off offset:24 ; 4-byte Folded Spill
.LBB161_102:                            ;   in Loop: Header=BB161_40 Depth=1
	s_or_b64 exec, exec, s[12:13]
	v_and_b32_e32 v73, 0xffff0000, v0
	v_lshlrev_b32_e32 v0, 16, v39
	v_mul_f32_e32 v0, v73, v0
	v_and_b32_e32 v1, 0x7f800000, v0
	v_cmp_ne_u32_e64 s[0:1], s15, v1
                                        ; implicit-def: $vgpr1
                                        ; kill: killed $vgpr1
	s_and_saveexec_b64 s[12:13], s[0:1]
	s_xor_b64 s[0:1], exec, s[12:13]
	s_cbranch_execz .LBB161_104
; %bb.103:                              ;   in Loop: Header=BB161_40 Depth=1
	v_bfe_u32 v1, v0, 16, 1
	v_add3_u32 v0, v0, v1, s20
	scratch_store_dword off, v0, off offset:28 ; 4-byte Folded Spill
                                        ; implicit-def: $vgpr0
.LBB161_104:                            ;   in Loop: Header=BB161_40 Depth=1
	s_andn2_saveexec_b64 s[12:13], s[0:1]
	s_cbranch_execz .LBB161_106
; %bb.105:                              ;   in Loop: Header=BB161_40 Depth=1
	v_or_b32_e32 v1, 0x10000, v0
	v_cmp_eq_u32_sdwa s[0:1], v0, v23 src0_sel:WORD_0 src1_sel:DWORD
	s_nop 1
	v_cndmask_b32_e64 v0, v1, v0, s[0:1]
	scratch_store_dword off, v0, off offset:28 ; 4-byte Folded Spill
.LBB161_106:                            ;   in Loop: Header=BB161_40 Depth=1
	s_or_b64 exec, exec, s[12:13]
	global_load_dwordx4 v[2:5], v[8:9], off offset:1024
	s_waitcnt vmcnt(0)
	v_lshrrev_b32_e32 v29, 16, v2
	v_lshrrev_b32_e32 v27, 16, v3
	;; [unrolled: 1-line block ×4, first 2 shown]
	s_and_saveexec_b64 s[12:13], vcc
	s_cbranch_execz .LBB161_108
; %bb.107:                              ;   in Loop: Header=BB161_40 Depth=1
	v_cmp_gt_i32_e64 s[0:1], s33, v57
	s_nop 1
	v_cndmask_b32_e64 v2, 0, v2, s[0:1]
	v_cmp_gt_i32_e64 s[0:1], s33, v64
	s_nop 1
	v_cndmask_b32_e64 v29, 0, v29, s[0:1]
	;; [unrolled: 3-line block ×8, first 2 shown]
.LBB161_108:                            ;   in Loop: Header=BB161_40 Depth=1
	s_or_b64 exec, exec, s[12:13]
	v_lshlrev_b32_e32 v2, 16, v2
	v_mul_f32_e32 v2, v65, v2
	v_and_b32_e32 v31, 0x7f800000, v2
	v_cmp_ne_u32_e64 s[0:1], s15, v31
                                        ; implicit-def: $vgpr31
                                        ; kill: killed $vgpr31
	s_and_saveexec_b64 s[12:13], s[0:1]
	s_xor_b64 s[0:1], exec, s[12:13]
	s_cbranch_execz .LBB161_110
; %bb.109:                              ;   in Loop: Header=BB161_40 Depth=1
	v_bfe_u32 v31, v2, 16, 1
	v_add3_u32 v2, v2, v31, s20
	scratch_store_dword off, v2, off offset:32 ; 4-byte Folded Spill
                                        ; implicit-def: $vgpr2
.LBB161_110:                            ;   in Loop: Header=BB161_40 Depth=1
	s_andn2_saveexec_b64 s[12:13], s[0:1]
	s_cbranch_execz .LBB161_112
; %bb.111:                              ;   in Loop: Header=BB161_40 Depth=1
	v_or_b32_e32 v31, 0x10000, v2
	v_cmp_eq_u32_sdwa s[0:1], v2, v23 src0_sel:WORD_0 src1_sel:DWORD
	s_nop 1
	v_cndmask_b32_e64 v2, v31, v2, s[0:1]
	scratch_store_dword off, v2, off offset:32 ; 4-byte Folded Spill
.LBB161_112:                            ;   in Loop: Header=BB161_40 Depth=1
	s_or_b64 exec, exec, s[12:13]
	v_lshlrev_b32_e32 v2, 16, v29
	v_mul_f32_e32 v2, v66, v2
	v_and_b32_e32 v29, 0x7f800000, v2
	v_cmp_ne_u32_e64 s[0:1], s15, v29
                                        ; implicit-def: $vgpr29
                                        ; kill: killed $vgpr29
	s_and_saveexec_b64 s[12:13], s[0:1]
	s_xor_b64 s[0:1], exec, s[12:13]
	s_cbranch_execz .LBB161_114
; %bb.113:                              ;   in Loop: Header=BB161_40 Depth=1
	v_bfe_u32 v29, v2, 16, 1
	v_add3_u32 v2, v2, v29, s20
	scratch_store_dword off, v2, off offset:36 ; 4-byte Folded Spill
                                        ; implicit-def: $vgpr2
.LBB161_114:                            ;   in Loop: Header=BB161_40 Depth=1
	s_andn2_saveexec_b64 s[12:13], s[0:1]
	s_cbranch_execz .LBB161_116
; %bb.115:                              ;   in Loop: Header=BB161_40 Depth=1
	v_or_b32_e32 v29, 0x10000, v2
	v_cmp_eq_u32_sdwa s[0:1], v2, v23 src0_sel:WORD_0 src1_sel:DWORD
	s_nop 1
	v_cndmask_b32_e64 v2, v29, v2, s[0:1]
	scratch_store_dword off, v2, off offset:36 ; 4-byte Folded Spill
.LBB161_116:                            ;   in Loop: Header=BB161_40 Depth=1
	s_or_b64 exec, exec, s[12:13]
	v_lshlrev_b32_e32 v2, 16, v3
	v_mul_f32_e32 v2, v67, v2
	v_and_b32_e32 v3, 0x7f800000, v2
	v_cmp_ne_u32_e64 s[0:1], s15, v3
                                        ; implicit-def: $vgpr74
	s_and_saveexec_b64 s[12:13], s[0:1]
	s_xor_b64 s[0:1], exec, s[12:13]
; %bb.117:                              ;   in Loop: Header=BB161_40 Depth=1
	v_bfe_u32 v3, v2, 16, 1
	v_add3_u32 v74, v2, v3, s20
                                        ; implicit-def: $vgpr2
; %bb.118:                              ;   in Loop: Header=BB161_40 Depth=1
	s_andn2_saveexec_b64 s[12:13], s[0:1]
; %bb.119:                              ;   in Loop: Header=BB161_40 Depth=1
	v_or_b32_e32 v3, 0x10000, v2
	v_cmp_eq_u32_sdwa s[0:1], v2, v23 src0_sel:WORD_0 src1_sel:DWORD
	s_nop 1
	v_cndmask_b32_e64 v74, v3, v2, s[0:1]
; %bb.120:                              ;   in Loop: Header=BB161_40 Depth=1
	s_or_b64 exec, exec, s[12:13]
	v_lshlrev_b32_e32 v2, 16, v27
	v_mul_f32_e32 v2, v68, v2
	v_and_b32_e32 v3, 0x7f800000, v2
	v_cmp_ne_u32_e64 s[0:1], s15, v3
                                        ; implicit-def: $vgpr69
	s_and_saveexec_b64 s[12:13], s[0:1]
	s_xor_b64 s[0:1], exec, s[12:13]
; %bb.121:                              ;   in Loop: Header=BB161_40 Depth=1
	v_bfe_u32 v3, v2, 16, 1
	v_add3_u32 v69, v2, v3, s20
                                        ; implicit-def: $vgpr2
; %bb.122:                              ;   in Loop: Header=BB161_40 Depth=1
	s_andn2_saveexec_b64 s[12:13], s[0:1]
; %bb.123:                              ;   in Loop: Header=BB161_40 Depth=1
	v_or_b32_e32 v3, 0x10000, v2
	v_cmp_eq_u32_sdwa s[0:1], v2, v23 src0_sel:WORD_0 src1_sel:DWORD
	s_nop 1
	v_cndmask_b32_e64 v69, v3, v2, s[0:1]
; %bb.124:                              ;   in Loop: Header=BB161_40 Depth=1
	s_or_b64 exec, exec, s[12:13]
	v_lshlrev_b32_e32 v2, 16, v4
	v_mul_f32_e32 v2, v70, v2
	v_and_b32_e32 v3, 0x7f800000, v2
	v_cmp_ne_u32_e64 s[0:1], s15, v3
                                        ; implicit-def: $vgpr75
	s_and_saveexec_b64 s[12:13], s[0:1]
	s_xor_b64 s[0:1], exec, s[12:13]
; %bb.125:                              ;   in Loop: Header=BB161_40 Depth=1
	v_bfe_u32 v3, v2, 16, 1
	v_add3_u32 v75, v2, v3, s20
                                        ; implicit-def: $vgpr2
; %bb.126:                              ;   in Loop: Header=BB161_40 Depth=1
	s_andn2_saveexec_b64 s[12:13], s[0:1]
; %bb.127:                              ;   in Loop: Header=BB161_40 Depth=1
	v_or_b32_e32 v3, 0x10000, v2
	v_cmp_eq_u32_sdwa s[0:1], v2, v23 src0_sel:WORD_0 src1_sel:DWORD
	s_nop 1
	v_cndmask_b32_e64 v75, v3, v2, s[0:1]
; %bb.128:                              ;   in Loop: Header=BB161_40 Depth=1
	s_or_b64 exec, exec, s[12:13]
	v_lshlrev_b32_e32 v1, 16, v1
	v_mul_f32_e32 v1, v71, v1
	v_and_b32_e32 v2, 0x7f800000, v1
	v_cmp_ne_u32_e64 s[0:1], s15, v2
                                        ; implicit-def: $vgpr76
	s_and_saveexec_b64 s[12:13], s[0:1]
	s_xor_b64 s[0:1], exec, s[12:13]
; %bb.129:                              ;   in Loop: Header=BB161_40 Depth=1
	v_bfe_u32 v2, v1, 16, 1
	v_add3_u32 v76, v1, v2, s20
                                        ; implicit-def: $vgpr1
; %bb.130:                              ;   in Loop: Header=BB161_40 Depth=1
	s_andn2_saveexec_b64 s[12:13], s[0:1]
; %bb.131:                              ;   in Loop: Header=BB161_40 Depth=1
	v_or_b32_e32 v2, 0x10000, v1
	v_cmp_eq_u32_sdwa s[0:1], v1, v23 src0_sel:WORD_0 src1_sel:DWORD
	s_nop 1
	v_cndmask_b32_e64 v76, v2, v1, s[0:1]
; %bb.132:                              ;   in Loop: Header=BB161_40 Depth=1
	s_or_b64 exec, exec, s[12:13]
	v_lshlrev_b32_e32 v1, 16, v5
	v_mul_f32_e32 v1, v72, v1
	v_and_b32_e32 v2, 0x7f800000, v1
	v_cmp_ne_u32_e64 s[0:1], s15, v2
                                        ; implicit-def: $vgpr77
	s_and_saveexec_b64 s[12:13], s[0:1]
	s_xor_b64 s[0:1], exec, s[12:13]
; %bb.133:                              ;   in Loop: Header=BB161_40 Depth=1
	v_bfe_u32 v2, v1, 16, 1
	v_add3_u32 v77, v1, v2, s20
                                        ; implicit-def: $vgpr1
; %bb.134:                              ;   in Loop: Header=BB161_40 Depth=1
	s_andn2_saveexec_b64 s[12:13], s[0:1]
; %bb.135:                              ;   in Loop: Header=BB161_40 Depth=1
	v_or_b32_e32 v2, 0x10000, v1
	v_cmp_eq_u32_sdwa s[0:1], v1, v23 src0_sel:WORD_0 src1_sel:DWORD
	s_nop 1
	v_cndmask_b32_e64 v77, v2, v1, s[0:1]
; %bb.136:                              ;   in Loop: Header=BB161_40 Depth=1
	s_or_b64 exec, exec, s[12:13]
	v_lshlrev_b32_e32 v0, 16, v0
	v_mul_f32_e32 v0, v73, v0
	v_and_b32_e32 v1, 0x7f800000, v0
	v_cmp_ne_u32_e64 s[0:1], s15, v1
                                        ; implicit-def: $vgpr78
	s_and_saveexec_b64 s[12:13], s[0:1]
	s_xor_b64 s[0:1], exec, s[12:13]
; %bb.137:                              ;   in Loop: Header=BB161_40 Depth=1
	v_bfe_u32 v1, v0, 16, 1
	v_add3_u32 v78, v0, v1, s20
                                        ; implicit-def: $vgpr0
; %bb.138:                              ;   in Loop: Header=BB161_40 Depth=1
	s_andn2_saveexec_b64 s[12:13], s[0:1]
; %bb.139:                              ;   in Loop: Header=BB161_40 Depth=1
	v_or_b32_e32 v1, 0x10000, v0
	v_cmp_eq_u32_sdwa s[0:1], v0, v23 src0_sel:WORD_0 src1_sel:DWORD
	s_nop 1
	v_cndmask_b32_e64 v78, v1, v0, s[0:1]
; %bb.140:                              ;   in Loop: Header=BB161_40 Depth=1
	s_or_b64 exec, exec, s[12:13]
	global_load_dwordx4 v[2:5], v[8:9], off offset:2048
	s_waitcnt vmcnt(0)
	v_lshrrev_b32_e32 v29, 16, v2
	v_lshrrev_b32_e32 v27, 16, v3
	;; [unrolled: 1-line block ×4, first 2 shown]
	s_and_saveexec_b64 s[12:13], vcc
	s_cbranch_execz .LBB161_142
; %bb.141:                              ;   in Loop: Header=BB161_40 Depth=1
	v_cmp_gt_i32_e64 s[0:1], s33, v57
	s_nop 1
	v_cndmask_b32_e64 v2, 0, v2, s[0:1]
	v_cmp_gt_i32_e64 s[0:1], s33, v64
	s_nop 1
	v_cndmask_b32_e64 v29, 0, v29, s[0:1]
	;; [unrolled: 3-line block ×8, first 2 shown]
.LBB161_142:                            ;   in Loop: Header=BB161_40 Depth=1
	s_or_b64 exec, exec, s[12:13]
	v_lshlrev_b32_e32 v2, 16, v2
	v_mul_f32_e32 v2, v65, v2
	v_and_b32_e32 v31, 0x7f800000, v2
	v_cmp_ne_u32_e64 s[0:1], s15, v31
                                        ; implicit-def: $vgpr79
	s_and_saveexec_b64 s[12:13], s[0:1]
	s_xor_b64 s[0:1], exec, s[12:13]
; %bb.143:                              ;   in Loop: Header=BB161_40 Depth=1
	v_bfe_u32 v31, v2, 16, 1
	v_add3_u32 v79, v2, v31, s20
                                        ; implicit-def: $vgpr2
; %bb.144:                              ;   in Loop: Header=BB161_40 Depth=1
	s_andn2_saveexec_b64 s[12:13], s[0:1]
; %bb.145:                              ;   in Loop: Header=BB161_40 Depth=1
	v_or_b32_e32 v31, 0x10000, v2
	v_cmp_eq_u32_sdwa s[0:1], v2, v23 src0_sel:WORD_0 src1_sel:DWORD
	s_nop 1
	v_cndmask_b32_e64 v79, v31, v2, s[0:1]
; %bb.146:                              ;   in Loop: Header=BB161_40 Depth=1
	s_or_b64 exec, exec, s[12:13]
	v_lshlrev_b32_e32 v2, 16, v29
	v_mul_f32_e32 v2, v66, v2
	v_and_b32_e32 v29, 0x7f800000, v2
	v_cmp_ne_u32_e64 s[0:1], s15, v29
                                        ; implicit-def: $vgpr80
	s_and_saveexec_b64 s[12:13], s[0:1]
	s_xor_b64 s[0:1], exec, s[12:13]
; %bb.147:                              ;   in Loop: Header=BB161_40 Depth=1
	v_bfe_u32 v29, v2, 16, 1
	v_add3_u32 v80, v2, v29, s20
                                        ; implicit-def: $vgpr2
; %bb.148:                              ;   in Loop: Header=BB161_40 Depth=1
	s_andn2_saveexec_b64 s[12:13], s[0:1]
; %bb.149:                              ;   in Loop: Header=BB161_40 Depth=1
	v_or_b32_e32 v29, 0x10000, v2
	v_cmp_eq_u32_sdwa s[0:1], v2, v23 src0_sel:WORD_0 src1_sel:DWORD
	s_nop 1
	v_cndmask_b32_e64 v80, v29, v2, s[0:1]
; %bb.150:                              ;   in Loop: Header=BB161_40 Depth=1
	s_or_b64 exec, exec, s[12:13]
	v_lshlrev_b32_e32 v2, 16, v3
	v_mul_f32_e32 v2, v67, v2
	v_and_b32_e32 v3, 0x7f800000, v2
	v_cmp_ne_u32_e64 s[0:1], s15, v3
                                        ; implicit-def: $vgpr81
	s_and_saveexec_b64 s[12:13], s[0:1]
	s_xor_b64 s[0:1], exec, s[12:13]
; %bb.151:                              ;   in Loop: Header=BB161_40 Depth=1
	v_bfe_u32 v3, v2, 16, 1
	v_add3_u32 v81, v2, v3, s20
                                        ; implicit-def: $vgpr2
; %bb.152:                              ;   in Loop: Header=BB161_40 Depth=1
	s_andn2_saveexec_b64 s[12:13], s[0:1]
; %bb.153:                              ;   in Loop: Header=BB161_40 Depth=1
	v_or_b32_e32 v3, 0x10000, v2
	v_cmp_eq_u32_sdwa s[0:1], v2, v23 src0_sel:WORD_0 src1_sel:DWORD
	s_nop 1
	v_cndmask_b32_e64 v81, v3, v2, s[0:1]
; %bb.154:                              ;   in Loop: Header=BB161_40 Depth=1
	s_or_b64 exec, exec, s[12:13]
	v_lshlrev_b32_e32 v2, 16, v27
	v_mul_f32_e32 v2, v68, v2
	v_and_b32_e32 v3, 0x7f800000, v2
	v_cmp_ne_u32_e64 s[0:1], s15, v3
                                        ; implicit-def: $vgpr82
	s_and_saveexec_b64 s[12:13], s[0:1]
	s_xor_b64 s[0:1], exec, s[12:13]
; %bb.155:                              ;   in Loop: Header=BB161_40 Depth=1
	v_bfe_u32 v3, v2, 16, 1
	v_add3_u32 v82, v2, v3, s20
                                        ; implicit-def: $vgpr2
; %bb.156:                              ;   in Loop: Header=BB161_40 Depth=1
	s_andn2_saveexec_b64 s[12:13], s[0:1]
; %bb.157:                              ;   in Loop: Header=BB161_40 Depth=1
	v_or_b32_e32 v3, 0x10000, v2
	v_cmp_eq_u32_sdwa s[0:1], v2, v23 src0_sel:WORD_0 src1_sel:DWORD
	s_nop 1
	v_cndmask_b32_e64 v82, v3, v2, s[0:1]
; %bb.158:                              ;   in Loop: Header=BB161_40 Depth=1
	s_or_b64 exec, exec, s[12:13]
	v_lshlrev_b32_e32 v2, 16, v4
	v_mul_f32_e32 v2, v70, v2
	v_and_b32_e32 v3, 0x7f800000, v2
	v_cmp_ne_u32_e64 s[0:1], s15, v3
                                        ; implicit-def: $vgpr83
	s_and_saveexec_b64 s[12:13], s[0:1]
	s_xor_b64 s[0:1], exec, s[12:13]
; %bb.159:                              ;   in Loop: Header=BB161_40 Depth=1
	v_bfe_u32 v3, v2, 16, 1
	v_add3_u32 v83, v2, v3, s20
                                        ; implicit-def: $vgpr2
; %bb.160:                              ;   in Loop: Header=BB161_40 Depth=1
	s_andn2_saveexec_b64 s[12:13], s[0:1]
; %bb.161:                              ;   in Loop: Header=BB161_40 Depth=1
	v_or_b32_e32 v3, 0x10000, v2
	v_cmp_eq_u32_sdwa s[0:1], v2, v23 src0_sel:WORD_0 src1_sel:DWORD
	s_nop 1
	v_cndmask_b32_e64 v83, v3, v2, s[0:1]
; %bb.162:                              ;   in Loop: Header=BB161_40 Depth=1
	s_or_b64 exec, exec, s[12:13]
	v_lshlrev_b32_e32 v1, 16, v1
	v_mul_f32_e32 v1, v71, v1
	v_and_b32_e32 v2, 0x7f800000, v1
	v_cmp_ne_u32_e64 s[0:1], s15, v2
                                        ; implicit-def: $vgpr84
	s_and_saveexec_b64 s[12:13], s[0:1]
	s_xor_b64 s[0:1], exec, s[12:13]
; %bb.163:                              ;   in Loop: Header=BB161_40 Depth=1
	v_bfe_u32 v2, v1, 16, 1
	v_add3_u32 v84, v1, v2, s20
                                        ; implicit-def: $vgpr1
; %bb.164:                              ;   in Loop: Header=BB161_40 Depth=1
	s_andn2_saveexec_b64 s[12:13], s[0:1]
; %bb.165:                              ;   in Loop: Header=BB161_40 Depth=1
	v_or_b32_e32 v2, 0x10000, v1
	v_cmp_eq_u32_sdwa s[0:1], v1, v23 src0_sel:WORD_0 src1_sel:DWORD
	s_nop 1
	v_cndmask_b32_e64 v84, v2, v1, s[0:1]
; %bb.166:                              ;   in Loop: Header=BB161_40 Depth=1
	s_or_b64 exec, exec, s[12:13]
	v_lshlrev_b32_e32 v1, 16, v5
	v_mul_f32_e32 v1, v72, v1
	v_and_b32_e32 v2, 0x7f800000, v1
	v_cmp_ne_u32_e64 s[0:1], s15, v2
                                        ; implicit-def: $vgpr85
	s_and_saveexec_b64 s[12:13], s[0:1]
	s_xor_b64 s[0:1], exec, s[12:13]
; %bb.167:                              ;   in Loop: Header=BB161_40 Depth=1
	v_bfe_u32 v2, v1, 16, 1
	v_add3_u32 v85, v1, v2, s20
                                        ; implicit-def: $vgpr1
; %bb.168:                              ;   in Loop: Header=BB161_40 Depth=1
	s_andn2_saveexec_b64 s[12:13], s[0:1]
; %bb.169:                              ;   in Loop: Header=BB161_40 Depth=1
	v_or_b32_e32 v2, 0x10000, v1
	v_cmp_eq_u32_sdwa s[0:1], v1, v23 src0_sel:WORD_0 src1_sel:DWORD
	s_nop 1
	v_cndmask_b32_e64 v85, v2, v1, s[0:1]
; %bb.170:                              ;   in Loop: Header=BB161_40 Depth=1
	s_or_b64 exec, exec, s[12:13]
	v_lshlrev_b32_e32 v0, 16, v0
	v_mul_f32_e32 v0, v73, v0
	v_and_b32_e32 v1, 0x7f800000, v0
	v_cmp_ne_u32_e64 s[0:1], s15, v1
                                        ; implicit-def: $vgpr86
	s_and_saveexec_b64 s[12:13], s[0:1]
	s_xor_b64 s[0:1], exec, s[12:13]
; %bb.171:                              ;   in Loop: Header=BB161_40 Depth=1
	v_bfe_u32 v1, v0, 16, 1
	v_add3_u32 v86, v0, v1, s20
                                        ; implicit-def: $vgpr0
; %bb.172:                              ;   in Loop: Header=BB161_40 Depth=1
	s_andn2_saveexec_b64 s[12:13], s[0:1]
; %bb.173:                              ;   in Loop: Header=BB161_40 Depth=1
	v_or_b32_e32 v1, 0x10000, v0
	v_cmp_eq_u32_sdwa s[0:1], v0, v23 src0_sel:WORD_0 src1_sel:DWORD
	s_nop 1
	v_cndmask_b32_e64 v86, v1, v0, s[0:1]
; %bb.174:                              ;   in Loop: Header=BB161_40 Depth=1
	s_or_b64 exec, exec, s[12:13]
	global_load_dwordx4 v[2:5], v[8:9], off offset:3072
	s_waitcnt vmcnt(0)
	v_lshrrev_b32_e32 v9, 16, v2
	v_lshrrev_b32_e32 v27, 16, v3
	;; [unrolled: 1-line block ×4, first 2 shown]
	s_and_saveexec_b64 s[12:13], vcc
	s_cbranch_execz .LBB161_176
; %bb.175:                              ;   in Loop: Header=BB161_40 Depth=1
	v_cmp_gt_i32_e64 s[0:1], s33, v57
	s_nop 1
	v_cndmask_b32_e64 v2, 0, v2, s[0:1]
	v_cmp_gt_i32_e64 s[0:1], s33, v64
	s_nop 1
	v_cndmask_b32_e64 v9, 0, v9, s[0:1]
	v_cmp_gt_i32_e64 s[0:1], s33, v62
	s_nop 1
	v_cndmask_b32_e64 v3, 0, v3, s[0:1]
	v_cmp_gt_i32_e64 s[0:1], s33, v61
	s_nop 1
	v_cndmask_b32_e64 v27, 0, v27, s[0:1]
	v_cmp_gt_i32_e64 s[0:1], s33, v60
	s_nop 1
	v_cndmask_b32_e64 v4, 0, v4, s[0:1]
	v_cmp_gt_i32_e64 s[0:1], s33, v59
	s_nop 1
	v_cndmask_b32_e64 v1, 0, v1, s[0:1]
	v_cmp_gt_i32_e64 s[0:1], s33, v63
	s_nop 1
	v_cndmask_b32_e64 v5, 0, v5, s[0:1]
	v_cmp_gt_i32_e64 s[0:1], s33, v46
	s_nop 1
	v_cndmask_b32_e64 v0, 0, v0, s[0:1]
.LBB161_176:                            ;   in Loop: Header=BB161_40 Depth=1
	s_or_b64 exec, exec, s[12:13]
	v_lshlrev_b32_e32 v2, 16, v2
	v_mul_f32_e32 v2, v65, v2
	v_and_b32_e32 v8, 0x7f800000, v2
	v_cmp_ne_u32_e64 s[0:1], s15, v8
                                        ; implicit-def: $vgpr8
	s_and_saveexec_b64 s[12:13], s[0:1]
	s_xor_b64 s[0:1], exec, s[12:13]
; %bb.177:                              ;   in Loop: Header=BB161_40 Depth=1
	v_bfe_u32 v8, v2, 16, 1
	v_add3_u32 v8, v2, v8, s20
                                        ; implicit-def: $vgpr2
; %bb.178:                              ;   in Loop: Header=BB161_40 Depth=1
	s_andn2_saveexec_b64 s[12:13], s[0:1]
; %bb.179:                              ;   in Loop: Header=BB161_40 Depth=1
	v_or_b32_e32 v8, 0x10000, v2
	v_cmp_eq_u32_sdwa s[0:1], v2, v23 src0_sel:WORD_0 src1_sel:DWORD
	s_nop 1
	v_cndmask_b32_e64 v8, v8, v2, s[0:1]
; %bb.180:                              ;   in Loop: Header=BB161_40 Depth=1
	s_or_b64 exec, exec, s[12:13]
	v_lshlrev_b32_e32 v2, 16, v9
	v_mul_f32_e32 v2, v66, v2
	v_and_b32_e32 v9, 0x7f800000, v2
	v_cmp_ne_u32_e64 s[0:1], s15, v9
                                        ; implicit-def: $vgpr9
	s_and_saveexec_b64 s[12:13], s[0:1]
	s_xor_b64 s[0:1], exec, s[12:13]
; %bb.181:                              ;   in Loop: Header=BB161_40 Depth=1
	v_bfe_u32 v9, v2, 16, 1
	v_add3_u32 v9, v2, v9, s20
                                        ; implicit-def: $vgpr2
; %bb.182:                              ;   in Loop: Header=BB161_40 Depth=1
	s_andn2_saveexec_b64 s[12:13], s[0:1]
; %bb.183:                              ;   in Loop: Header=BB161_40 Depth=1
	v_or_b32_e32 v9, 0x10000, v2
	v_cmp_eq_u32_sdwa s[0:1], v2, v23 src0_sel:WORD_0 src1_sel:DWORD
	s_nop 1
	v_cndmask_b32_e64 v9, v9, v2, s[0:1]
; %bb.184:                              ;   in Loop: Header=BB161_40 Depth=1
	s_or_b64 exec, exec, s[12:13]
	v_lshlrev_b32_e32 v2, 16, v3
	v_mul_f32_e32 v2, v67, v2
	v_and_b32_e32 v3, 0x7f800000, v2
	v_cmp_ne_u32_e64 s[0:1], s15, v3
                                        ; implicit-def: $vgpr87
	s_and_saveexec_b64 s[12:13], s[0:1]
	s_xor_b64 s[0:1], exec, s[12:13]
; %bb.185:                              ;   in Loop: Header=BB161_40 Depth=1
	v_bfe_u32 v3, v2, 16, 1
	v_add3_u32 v87, v2, v3, s20
                                        ; implicit-def: $vgpr2
; %bb.186:                              ;   in Loop: Header=BB161_40 Depth=1
	s_andn2_saveexec_b64 s[12:13], s[0:1]
; %bb.187:                              ;   in Loop: Header=BB161_40 Depth=1
	v_or_b32_e32 v3, 0x10000, v2
	v_cmp_eq_u32_sdwa s[0:1], v2, v23 src0_sel:WORD_0 src1_sel:DWORD
	s_nop 1
	v_cndmask_b32_e64 v87, v3, v2, s[0:1]
; %bb.188:                              ;   in Loop: Header=BB161_40 Depth=1
	s_or_b64 exec, exec, s[12:13]
	v_lshlrev_b32_e32 v2, 16, v27
	v_mul_f32_e32 v2, v68, v2
	v_and_b32_e32 v3, 0x7f800000, v2
	v_cmp_ne_u32_e64 s[0:1], s15, v3
                                        ; implicit-def: $vgpr88
	s_and_saveexec_b64 s[12:13], s[0:1]
	s_xor_b64 s[0:1], exec, s[12:13]
; %bb.189:                              ;   in Loop: Header=BB161_40 Depth=1
	v_bfe_u32 v3, v2, 16, 1
	v_add3_u32 v88, v2, v3, s20
                                        ; implicit-def: $vgpr2
; %bb.190:                              ;   in Loop: Header=BB161_40 Depth=1
	s_andn2_saveexec_b64 s[12:13], s[0:1]
; %bb.191:                              ;   in Loop: Header=BB161_40 Depth=1
	v_or_b32_e32 v3, 0x10000, v2
	v_cmp_eq_u32_sdwa s[0:1], v2, v23 src0_sel:WORD_0 src1_sel:DWORD
	s_nop 1
	v_cndmask_b32_e64 v88, v3, v2, s[0:1]
; %bb.192:                              ;   in Loop: Header=BB161_40 Depth=1
	s_or_b64 exec, exec, s[12:13]
	v_lshlrev_b32_e32 v2, 16, v4
	v_mul_f32_e32 v2, v70, v2
	v_and_b32_e32 v3, 0x7f800000, v2
	v_cmp_ne_u32_e64 s[0:1], s15, v3
                                        ; implicit-def: $vgpr89
	s_and_saveexec_b64 s[12:13], s[0:1]
	s_xor_b64 s[0:1], exec, s[12:13]
; %bb.193:                              ;   in Loop: Header=BB161_40 Depth=1
	v_bfe_u32 v3, v2, 16, 1
	v_add3_u32 v89, v2, v3, s20
                                        ; implicit-def: $vgpr2
; %bb.194:                              ;   in Loop: Header=BB161_40 Depth=1
	s_andn2_saveexec_b64 s[12:13], s[0:1]
; %bb.195:                              ;   in Loop: Header=BB161_40 Depth=1
	v_or_b32_e32 v3, 0x10000, v2
	v_cmp_eq_u32_sdwa s[0:1], v2, v23 src0_sel:WORD_0 src1_sel:DWORD
	s_nop 1
	v_cndmask_b32_e64 v89, v3, v2, s[0:1]
; %bb.196:                              ;   in Loop: Header=BB161_40 Depth=1
	s_or_b64 exec, exec, s[12:13]
	v_lshlrev_b32_e32 v1, 16, v1
	v_mul_f32_e32 v1, v71, v1
	v_and_b32_e32 v2, 0x7f800000, v1
	v_cmp_ne_u32_e64 s[0:1], s15, v2
                                        ; implicit-def: $vgpr90
	s_and_saveexec_b64 s[12:13], s[0:1]
	s_xor_b64 s[0:1], exec, s[12:13]
; %bb.197:                              ;   in Loop: Header=BB161_40 Depth=1
	v_bfe_u32 v2, v1, 16, 1
	v_add3_u32 v90, v1, v2, s20
                                        ; implicit-def: $vgpr1
; %bb.198:                              ;   in Loop: Header=BB161_40 Depth=1
	s_andn2_saveexec_b64 s[12:13], s[0:1]
; %bb.199:                              ;   in Loop: Header=BB161_40 Depth=1
	v_or_b32_e32 v2, 0x10000, v1
	v_cmp_eq_u32_sdwa s[0:1], v1, v23 src0_sel:WORD_0 src1_sel:DWORD
	s_nop 1
	v_cndmask_b32_e64 v90, v2, v1, s[0:1]
; %bb.200:                              ;   in Loop: Header=BB161_40 Depth=1
	s_or_b64 exec, exec, s[12:13]
	v_lshlrev_b32_e32 v1, 16, v5
	v_mul_f32_e32 v1, v72, v1
	v_and_b32_e32 v2, 0x7f800000, v1
	v_cmp_ne_u32_e64 s[0:1], s15, v2
                                        ; implicit-def: $vgpr91
	s_and_saveexec_b64 s[12:13], s[0:1]
	s_xor_b64 s[0:1], exec, s[12:13]
; %bb.201:                              ;   in Loop: Header=BB161_40 Depth=1
	v_bfe_u32 v2, v1, 16, 1
	v_add3_u32 v91, v1, v2, s20
                                        ; implicit-def: $vgpr1
; %bb.202:                              ;   in Loop: Header=BB161_40 Depth=1
	s_andn2_saveexec_b64 s[12:13], s[0:1]
; %bb.203:                              ;   in Loop: Header=BB161_40 Depth=1
	v_or_b32_e32 v2, 0x10000, v1
	v_cmp_eq_u32_sdwa s[0:1], v1, v23 src0_sel:WORD_0 src1_sel:DWORD
	s_nop 1
	v_cndmask_b32_e64 v91, v2, v1, s[0:1]
; %bb.204:                              ;   in Loop: Header=BB161_40 Depth=1
	s_or_b64 exec, exec, s[12:13]
	v_lshlrev_b32_e32 v0, 16, v0
	v_mul_f32_e32 v0, v73, v0
	v_and_b32_e32 v1, 0x7f800000, v0
	v_cmp_ne_u32_e64 s[0:1], s15, v1
                                        ; implicit-def: $vgpr92
	s_and_saveexec_b64 s[12:13], s[0:1]
	s_xor_b64 s[0:1], exec, s[12:13]
; %bb.205:                              ;   in Loop: Header=BB161_40 Depth=1
	v_bfe_u32 v1, v0, 16, 1
	v_add3_u32 v92, v0, v1, s20
                                        ; implicit-def: $vgpr0
; %bb.206:                              ;   in Loop: Header=BB161_40 Depth=1
	s_andn2_saveexec_b64 s[12:13], s[0:1]
; %bb.207:                              ;   in Loop: Header=BB161_40 Depth=1
	v_or_b32_e32 v1, 0x10000, v0
	v_cmp_eq_u32_sdwa s[0:1], v0, v23 src0_sel:WORD_0 src1_sel:DWORD
	s_nop 1
	v_cndmask_b32_e64 v92, v1, v0, s[0:1]
; %bb.208:                              ;   in Loop: Header=BB161_40 Depth=1
	s_or_b64 exec, exec, s[12:13]
	v_mov_b32_e32 v27, v23
	v_lshl_add_u64 v[0:1], v[6:7], 0, v[26:27]
	global_load_dwordx4 v[2:5], v[0:1], off
	s_waitcnt vmcnt(0)
	v_lshrrev_b32_e32 v31, 16, v2
	v_lshrrev_b32_e32 v29, 16, v3
	;; [unrolled: 1-line block ×4, first 2 shown]
	s_and_saveexec_b64 s[12:13], vcc
	s_cbranch_execz .LBB161_210
; %bb.209:                              ;   in Loop: Header=BB161_40 Depth=1
	v_cmp_gt_i32_e64 s[0:1], s33, v57
	s_nop 1
	v_cndmask_b32_e64 v2, 0, v2, s[0:1]
	v_cmp_gt_i32_e64 s[0:1], s33, v64
	s_nop 1
	v_cndmask_b32_e64 v31, 0, v31, s[0:1]
	;; [unrolled: 3-line block ×8, first 2 shown]
.LBB161_210:                            ;   in Loop: Header=BB161_40 Depth=1
	s_or_b64 exec, exec, s[12:13]
	v_lshlrev_b32_e32 v2, 16, v2
	v_mul_f32_e32 v2, v65, v2
	v_and_b32_e32 v27, 0x7f800000, v2
	v_cmp_ne_u32_e64 s[0:1], s15, v27
                                        ; implicit-def: $vgpr27
	s_and_saveexec_b64 s[12:13], s[0:1]
	s_xor_b64 s[0:1], exec, s[12:13]
; %bb.211:                              ;   in Loop: Header=BB161_40 Depth=1
	v_bfe_u32 v27, v2, 16, 1
	v_add3_u32 v27, v2, v27, s20
                                        ; implicit-def: $vgpr2
; %bb.212:                              ;   in Loop: Header=BB161_40 Depth=1
	s_andn2_saveexec_b64 s[12:13], s[0:1]
; %bb.213:                              ;   in Loop: Header=BB161_40 Depth=1
	v_or_b32_e32 v27, 0x10000, v2
	v_cmp_eq_u32_sdwa s[0:1], v2, v23 src0_sel:WORD_0 src1_sel:DWORD
	s_nop 1
	v_cndmask_b32_e64 v27, v27, v2, s[0:1]
; %bb.214:                              ;   in Loop: Header=BB161_40 Depth=1
	s_or_b64 exec, exec, s[12:13]
	v_lshlrev_b32_e32 v2, 16, v31
	v_mul_f32_e32 v2, v66, v2
	v_and_b32_e32 v31, 0x7f800000, v2
	v_cmp_ne_u32_e64 s[0:1], s15, v31
                                        ; implicit-def: $vgpr93
	s_and_saveexec_b64 s[12:13], s[0:1]
	s_xor_b64 s[0:1], exec, s[12:13]
; %bb.215:                              ;   in Loop: Header=BB161_40 Depth=1
	v_bfe_u32 v31, v2, 16, 1
	v_add3_u32 v93, v2, v31, s20
                                        ; implicit-def: $vgpr2
; %bb.216:                              ;   in Loop: Header=BB161_40 Depth=1
	s_andn2_saveexec_b64 s[12:13], s[0:1]
; %bb.217:                              ;   in Loop: Header=BB161_40 Depth=1
	v_or_b32_e32 v31, 0x10000, v2
	v_cmp_eq_u32_sdwa s[0:1], v2, v23 src0_sel:WORD_0 src1_sel:DWORD
	s_nop 1
	v_cndmask_b32_e64 v93, v31, v2, s[0:1]
; %bb.218:                              ;   in Loop: Header=BB161_40 Depth=1
	s_or_b64 exec, exec, s[12:13]
	v_lshlrev_b32_e32 v2, 16, v3
	v_mul_f32_e32 v2, v67, v2
	v_and_b32_e32 v3, 0x7f800000, v2
	v_cmp_ne_u32_e64 s[0:1], s15, v3
                                        ; implicit-def: $vgpr94
	s_and_saveexec_b64 s[12:13], s[0:1]
	s_xor_b64 s[0:1], exec, s[12:13]
; %bb.219:                              ;   in Loop: Header=BB161_40 Depth=1
	v_bfe_u32 v3, v2, 16, 1
	v_add3_u32 v94, v2, v3, s20
                                        ; implicit-def: $vgpr2
; %bb.220:                              ;   in Loop: Header=BB161_40 Depth=1
	s_andn2_saveexec_b64 s[12:13], s[0:1]
; %bb.221:                              ;   in Loop: Header=BB161_40 Depth=1
	v_or_b32_e32 v3, 0x10000, v2
	v_cmp_eq_u32_sdwa s[0:1], v2, v23 src0_sel:WORD_0 src1_sel:DWORD
	s_nop 1
	v_cndmask_b32_e64 v94, v3, v2, s[0:1]
; %bb.222:                              ;   in Loop: Header=BB161_40 Depth=1
	s_or_b64 exec, exec, s[12:13]
	v_lshlrev_b32_e32 v2, 16, v29
	v_mul_f32_e32 v2, v68, v2
	v_and_b32_e32 v3, 0x7f800000, v2
	v_cmp_ne_u32_e64 s[0:1], s15, v3
                                        ; implicit-def: $vgpr95
	s_and_saveexec_b64 s[12:13], s[0:1]
	s_xor_b64 s[0:1], exec, s[12:13]
; %bb.223:                              ;   in Loop: Header=BB161_40 Depth=1
	v_bfe_u32 v3, v2, 16, 1
	v_add3_u32 v95, v2, v3, s20
                                        ; implicit-def: $vgpr2
; %bb.224:                              ;   in Loop: Header=BB161_40 Depth=1
	s_andn2_saveexec_b64 s[12:13], s[0:1]
; %bb.225:                              ;   in Loop: Header=BB161_40 Depth=1
	v_or_b32_e32 v3, 0x10000, v2
	v_cmp_eq_u32_sdwa s[0:1], v2, v23 src0_sel:WORD_0 src1_sel:DWORD
	s_nop 1
	v_cndmask_b32_e64 v95, v3, v2, s[0:1]
; %bb.226:                              ;   in Loop: Header=BB161_40 Depth=1
	s_or_b64 exec, exec, s[12:13]
	v_lshlrev_b32_e32 v2, 16, v4
	v_mul_f32_e32 v2, v70, v2
	v_and_b32_e32 v3, 0x7f800000, v2
	v_cmp_ne_u32_e64 s[0:1], s15, v3
                                        ; implicit-def: $vgpr96
	s_and_saveexec_b64 s[12:13], s[0:1]
	s_xor_b64 s[0:1], exec, s[12:13]
; %bb.227:                              ;   in Loop: Header=BB161_40 Depth=1
	v_bfe_u32 v3, v2, 16, 1
	v_add3_u32 v96, v2, v3, s20
                                        ; implicit-def: $vgpr2
; %bb.228:                              ;   in Loop: Header=BB161_40 Depth=1
	s_andn2_saveexec_b64 s[12:13], s[0:1]
; %bb.229:                              ;   in Loop: Header=BB161_40 Depth=1
	v_or_b32_e32 v3, 0x10000, v2
	v_cmp_eq_u32_sdwa s[0:1], v2, v23 src0_sel:WORD_0 src1_sel:DWORD
	s_nop 1
	v_cndmask_b32_e64 v96, v3, v2, s[0:1]
; %bb.230:                              ;   in Loop: Header=BB161_40 Depth=1
	s_or_b64 exec, exec, s[12:13]
	v_lshlrev_b32_e32 v1, 16, v1
	v_mul_f32_e32 v1, v71, v1
	v_and_b32_e32 v2, 0x7f800000, v1
	v_cmp_ne_u32_e64 s[0:1], s15, v2
                                        ; implicit-def: $vgpr97
	s_and_saveexec_b64 s[12:13], s[0:1]
	s_xor_b64 s[0:1], exec, s[12:13]
; %bb.231:                              ;   in Loop: Header=BB161_40 Depth=1
	v_bfe_u32 v2, v1, 16, 1
	v_add3_u32 v97, v1, v2, s20
                                        ; implicit-def: $vgpr1
; %bb.232:                              ;   in Loop: Header=BB161_40 Depth=1
	s_andn2_saveexec_b64 s[12:13], s[0:1]
; %bb.233:                              ;   in Loop: Header=BB161_40 Depth=1
	v_or_b32_e32 v2, 0x10000, v1
	v_cmp_eq_u32_sdwa s[0:1], v1, v23 src0_sel:WORD_0 src1_sel:DWORD
	s_nop 1
	v_cndmask_b32_e64 v97, v2, v1, s[0:1]
; %bb.234:                              ;   in Loop: Header=BB161_40 Depth=1
	s_or_b64 exec, exec, s[12:13]
	v_lshlrev_b32_e32 v1, 16, v5
	v_mul_f32_e32 v1, v72, v1
	v_and_b32_e32 v2, 0x7f800000, v1
	v_cmp_ne_u32_e64 s[0:1], s15, v2
                                        ; implicit-def: $vgpr98
	s_and_saveexec_b64 s[12:13], s[0:1]
	s_xor_b64 s[0:1], exec, s[12:13]
; %bb.235:                              ;   in Loop: Header=BB161_40 Depth=1
	v_bfe_u32 v2, v1, 16, 1
	v_add3_u32 v98, v1, v2, s20
                                        ; implicit-def: $vgpr1
; %bb.236:                              ;   in Loop: Header=BB161_40 Depth=1
	s_andn2_saveexec_b64 s[12:13], s[0:1]
; %bb.237:                              ;   in Loop: Header=BB161_40 Depth=1
	v_or_b32_e32 v2, 0x10000, v1
	v_cmp_eq_u32_sdwa s[0:1], v1, v23 src0_sel:WORD_0 src1_sel:DWORD
	s_nop 1
	v_cndmask_b32_e64 v98, v2, v1, s[0:1]
; %bb.238:                              ;   in Loop: Header=BB161_40 Depth=1
	s_or_b64 exec, exec, s[12:13]
	v_lshlrev_b32_e32 v0, 16, v0
	v_mul_f32_e32 v0, v73, v0
	v_and_b32_e32 v1, 0x7f800000, v0
	v_cmp_ne_u32_e64 s[0:1], s15, v1
                                        ; implicit-def: $vgpr99
	s_and_saveexec_b64 s[12:13], s[0:1]
	s_xor_b64 s[0:1], exec, s[12:13]
; %bb.239:                              ;   in Loop: Header=BB161_40 Depth=1
	v_bfe_u32 v1, v0, 16, 1
	v_add3_u32 v99, v0, v1, s20
                                        ; implicit-def: $vgpr0
; %bb.240:                              ;   in Loop: Header=BB161_40 Depth=1
	s_andn2_saveexec_b64 s[12:13], s[0:1]
; %bb.241:                              ;   in Loop: Header=BB161_40 Depth=1
	v_or_b32_e32 v1, 0x10000, v0
	v_cmp_eq_u32_sdwa s[0:1], v0, v23 src0_sel:WORD_0 src1_sel:DWORD
	s_nop 1
	v_cndmask_b32_e64 v99, v1, v0, s[0:1]
; %bb.242:                              ;   in Loop: Header=BB161_40 Depth=1
	s_or_b64 exec, exec, s[12:13]
	v_mov_b32_e32 v29, v23
	v_lshl_add_u64 v[0:1], v[6:7], 0, v[28:29]
	global_load_dwordx4 v[2:5], v[0:1], off
	s_waitcnt vmcnt(0)
	v_lshrrev_b32_e32 v33, 16, v2
	v_lshrrev_b32_e32 v31, 16, v3
	;; [unrolled: 1-line block ×4, first 2 shown]
	s_and_saveexec_b64 s[12:13], vcc
	s_cbranch_execz .LBB161_244
; %bb.243:                              ;   in Loop: Header=BB161_40 Depth=1
	v_cmp_gt_i32_e64 s[0:1], s33, v57
	s_nop 1
	v_cndmask_b32_e64 v2, 0, v2, s[0:1]
	v_cmp_gt_i32_e64 s[0:1], s33, v64
	s_nop 1
	v_cndmask_b32_e64 v33, 0, v33, s[0:1]
	;; [unrolled: 3-line block ×8, first 2 shown]
.LBB161_244:                            ;   in Loop: Header=BB161_40 Depth=1
	s_or_b64 exec, exec, s[12:13]
	v_lshlrev_b32_e32 v2, 16, v2
	v_mul_f32_e32 v2, v65, v2
	v_and_b32_e32 v29, 0x7f800000, v2
	v_cmp_ne_u32_e64 s[0:1], s15, v29
                                        ; implicit-def: $vgpr29
	s_and_saveexec_b64 s[12:13], s[0:1]
	s_xor_b64 s[0:1], exec, s[12:13]
; %bb.245:                              ;   in Loop: Header=BB161_40 Depth=1
	v_bfe_u32 v29, v2, 16, 1
	v_add3_u32 v29, v2, v29, s20
                                        ; implicit-def: $vgpr2
; %bb.246:                              ;   in Loop: Header=BB161_40 Depth=1
	s_andn2_saveexec_b64 s[12:13], s[0:1]
; %bb.247:                              ;   in Loop: Header=BB161_40 Depth=1
	v_or_b32_e32 v29, 0x10000, v2
	v_cmp_eq_u32_sdwa s[0:1], v2, v23 src0_sel:WORD_0 src1_sel:DWORD
	s_nop 1
	v_cndmask_b32_e64 v29, v29, v2, s[0:1]
; %bb.248:                              ;   in Loop: Header=BB161_40 Depth=1
	s_or_b64 exec, exec, s[12:13]
	v_lshlrev_b32_e32 v2, 16, v33
	v_mul_f32_e32 v2, v66, v2
	v_and_b32_e32 v33, 0x7f800000, v2
	v_cmp_ne_u32_e64 s[0:1], s15, v33
                                        ; implicit-def: $vgpr100
	s_and_saveexec_b64 s[12:13], s[0:1]
	s_xor_b64 s[0:1], exec, s[12:13]
; %bb.249:                              ;   in Loop: Header=BB161_40 Depth=1
	v_bfe_u32 v33, v2, 16, 1
	v_add3_u32 v100, v2, v33, s20
                                        ; implicit-def: $vgpr2
; %bb.250:                              ;   in Loop: Header=BB161_40 Depth=1
	s_andn2_saveexec_b64 s[12:13], s[0:1]
; %bb.251:                              ;   in Loop: Header=BB161_40 Depth=1
	v_or_b32_e32 v33, 0x10000, v2
	v_cmp_eq_u32_sdwa s[0:1], v2, v23 src0_sel:WORD_0 src1_sel:DWORD
	s_nop 1
	v_cndmask_b32_e64 v100, v33, v2, s[0:1]
; %bb.252:                              ;   in Loop: Header=BB161_40 Depth=1
	s_or_b64 exec, exec, s[12:13]
	v_lshlrev_b32_e32 v2, 16, v3
	v_mul_f32_e32 v2, v67, v2
	v_and_b32_e32 v3, 0x7f800000, v2
	v_cmp_ne_u32_e64 s[0:1], s15, v3
                                        ; implicit-def: $vgpr101
	s_and_saveexec_b64 s[12:13], s[0:1]
	s_xor_b64 s[0:1], exec, s[12:13]
; %bb.253:                              ;   in Loop: Header=BB161_40 Depth=1
	v_bfe_u32 v3, v2, 16, 1
	v_add3_u32 v101, v2, v3, s20
                                        ; implicit-def: $vgpr2
; %bb.254:                              ;   in Loop: Header=BB161_40 Depth=1
	s_andn2_saveexec_b64 s[12:13], s[0:1]
; %bb.255:                              ;   in Loop: Header=BB161_40 Depth=1
	v_or_b32_e32 v3, 0x10000, v2
	v_cmp_eq_u32_sdwa s[0:1], v2, v23 src0_sel:WORD_0 src1_sel:DWORD
	s_nop 1
	v_cndmask_b32_e64 v101, v3, v2, s[0:1]
; %bb.256:                              ;   in Loop: Header=BB161_40 Depth=1
	s_or_b64 exec, exec, s[12:13]
	v_lshlrev_b32_e32 v2, 16, v31
	v_mul_f32_e32 v2, v68, v2
	v_and_b32_e32 v3, 0x7f800000, v2
	v_cmp_ne_u32_e64 s[0:1], s15, v3
                                        ; implicit-def: $vgpr102
	s_and_saveexec_b64 s[12:13], s[0:1]
	s_xor_b64 s[0:1], exec, s[12:13]
; %bb.257:                              ;   in Loop: Header=BB161_40 Depth=1
	v_bfe_u32 v3, v2, 16, 1
	v_add3_u32 v102, v2, v3, s20
                                        ; implicit-def: $vgpr2
; %bb.258:                              ;   in Loop: Header=BB161_40 Depth=1
	s_andn2_saveexec_b64 s[12:13], s[0:1]
; %bb.259:                              ;   in Loop: Header=BB161_40 Depth=1
	v_or_b32_e32 v3, 0x10000, v2
	v_cmp_eq_u32_sdwa s[0:1], v2, v23 src0_sel:WORD_0 src1_sel:DWORD
	s_nop 1
	v_cndmask_b32_e64 v102, v3, v2, s[0:1]
; %bb.260:                              ;   in Loop: Header=BB161_40 Depth=1
	s_or_b64 exec, exec, s[12:13]
	v_lshlrev_b32_e32 v2, 16, v4
	v_mul_f32_e32 v2, v70, v2
	v_and_b32_e32 v3, 0x7f800000, v2
	v_cmp_ne_u32_e64 s[0:1], s15, v3
                                        ; implicit-def: $vgpr103
	s_and_saveexec_b64 s[12:13], s[0:1]
	s_xor_b64 s[0:1], exec, s[12:13]
; %bb.261:                              ;   in Loop: Header=BB161_40 Depth=1
	v_bfe_u32 v3, v2, 16, 1
	v_add3_u32 v103, v2, v3, s20
                                        ; implicit-def: $vgpr2
; %bb.262:                              ;   in Loop: Header=BB161_40 Depth=1
	s_andn2_saveexec_b64 s[12:13], s[0:1]
; %bb.263:                              ;   in Loop: Header=BB161_40 Depth=1
	v_or_b32_e32 v3, 0x10000, v2
	v_cmp_eq_u32_sdwa s[0:1], v2, v23 src0_sel:WORD_0 src1_sel:DWORD
	s_nop 1
	v_cndmask_b32_e64 v103, v3, v2, s[0:1]
; %bb.264:                              ;   in Loop: Header=BB161_40 Depth=1
	s_or_b64 exec, exec, s[12:13]
	v_lshlrev_b32_e32 v1, 16, v1
	v_mul_f32_e32 v1, v71, v1
	v_and_b32_e32 v2, 0x7f800000, v1
	v_cmp_ne_u32_e64 s[0:1], s15, v2
                                        ; implicit-def: $vgpr104
	s_and_saveexec_b64 s[12:13], s[0:1]
	s_xor_b64 s[0:1], exec, s[12:13]
; %bb.265:                              ;   in Loop: Header=BB161_40 Depth=1
	v_bfe_u32 v2, v1, 16, 1
	v_add3_u32 v104, v1, v2, s20
                                        ; implicit-def: $vgpr1
; %bb.266:                              ;   in Loop: Header=BB161_40 Depth=1
	s_andn2_saveexec_b64 s[12:13], s[0:1]
; %bb.267:                              ;   in Loop: Header=BB161_40 Depth=1
	v_or_b32_e32 v2, 0x10000, v1
	v_cmp_eq_u32_sdwa s[0:1], v1, v23 src0_sel:WORD_0 src1_sel:DWORD
	s_nop 1
	v_cndmask_b32_e64 v104, v2, v1, s[0:1]
; %bb.268:                              ;   in Loop: Header=BB161_40 Depth=1
	s_or_b64 exec, exec, s[12:13]
	v_lshlrev_b32_e32 v1, 16, v5
	v_mul_f32_e32 v1, v72, v1
	v_and_b32_e32 v2, 0x7f800000, v1
	v_cmp_ne_u32_e64 s[0:1], s15, v2
                                        ; implicit-def: $vgpr105
	s_and_saveexec_b64 s[12:13], s[0:1]
	s_xor_b64 s[0:1], exec, s[12:13]
; %bb.269:                              ;   in Loop: Header=BB161_40 Depth=1
	v_bfe_u32 v2, v1, 16, 1
	v_add3_u32 v105, v1, v2, s20
                                        ; implicit-def: $vgpr1
; %bb.270:                              ;   in Loop: Header=BB161_40 Depth=1
	s_andn2_saveexec_b64 s[12:13], s[0:1]
; %bb.271:                              ;   in Loop: Header=BB161_40 Depth=1
	v_or_b32_e32 v2, 0x10000, v1
	v_cmp_eq_u32_sdwa s[0:1], v1, v23 src0_sel:WORD_0 src1_sel:DWORD
	s_nop 1
	v_cndmask_b32_e64 v105, v2, v1, s[0:1]
; %bb.272:                              ;   in Loop: Header=BB161_40 Depth=1
	s_or_b64 exec, exec, s[12:13]
	v_lshlrev_b32_e32 v0, 16, v0
	v_mul_f32_e32 v0, v73, v0
	v_and_b32_e32 v1, 0x7f800000, v0
	v_cmp_ne_u32_e64 s[0:1], s15, v1
                                        ; implicit-def: $vgpr106
	s_and_saveexec_b64 s[12:13], s[0:1]
	s_xor_b64 s[0:1], exec, s[12:13]
; %bb.273:                              ;   in Loop: Header=BB161_40 Depth=1
	v_bfe_u32 v1, v0, 16, 1
	v_add3_u32 v106, v0, v1, s20
                                        ; implicit-def: $vgpr0
; %bb.274:                              ;   in Loop: Header=BB161_40 Depth=1
	s_andn2_saveexec_b64 s[12:13], s[0:1]
; %bb.275:                              ;   in Loop: Header=BB161_40 Depth=1
	v_or_b32_e32 v1, 0x10000, v0
	v_cmp_eq_u32_sdwa s[0:1], v0, v23 src0_sel:WORD_0 src1_sel:DWORD
	s_nop 1
	v_cndmask_b32_e64 v106, v1, v0, s[0:1]
; %bb.276:                              ;   in Loop: Header=BB161_40 Depth=1
	s_or_b64 exec, exec, s[12:13]
	v_mov_b32_e32 v31, v23
	v_lshl_add_u64 v[0:1], v[6:7], 0, v[30:31]
	global_load_dwordx4 v[2:5], v[0:1], off
	s_waitcnt vmcnt(0)
	v_lshrrev_b32_e32 v35, 16, v2
	v_lshrrev_b32_e32 v33, 16, v3
	;; [unrolled: 1-line block ×4, first 2 shown]
	s_and_saveexec_b64 s[12:13], vcc
	s_cbranch_execz .LBB161_278
; %bb.277:                              ;   in Loop: Header=BB161_40 Depth=1
	v_cmp_gt_i32_e64 s[0:1], s33, v57
	s_nop 1
	v_cndmask_b32_e64 v2, 0, v2, s[0:1]
	v_cmp_gt_i32_e64 s[0:1], s33, v64
	s_nop 1
	v_cndmask_b32_e64 v35, 0, v35, s[0:1]
	;; [unrolled: 3-line block ×8, first 2 shown]
.LBB161_278:                            ;   in Loop: Header=BB161_40 Depth=1
	s_or_b64 exec, exec, s[12:13]
	v_lshlrev_b32_e32 v2, 16, v2
	v_mul_f32_e32 v2, v65, v2
	v_and_b32_e32 v31, 0x7f800000, v2
	v_cmp_ne_u32_e64 s[0:1], s15, v31
                                        ; implicit-def: $vgpr31
	s_and_saveexec_b64 s[12:13], s[0:1]
	s_xor_b64 s[0:1], exec, s[12:13]
; %bb.279:                              ;   in Loop: Header=BB161_40 Depth=1
	v_bfe_u32 v31, v2, 16, 1
	v_add3_u32 v31, v2, v31, s20
                                        ; implicit-def: $vgpr2
; %bb.280:                              ;   in Loop: Header=BB161_40 Depth=1
	s_andn2_saveexec_b64 s[12:13], s[0:1]
; %bb.281:                              ;   in Loop: Header=BB161_40 Depth=1
	v_or_b32_e32 v31, 0x10000, v2
	v_cmp_eq_u32_sdwa s[0:1], v2, v23 src0_sel:WORD_0 src1_sel:DWORD
	s_nop 1
	v_cndmask_b32_e64 v31, v31, v2, s[0:1]
; %bb.282:                              ;   in Loop: Header=BB161_40 Depth=1
	s_or_b64 exec, exec, s[12:13]
	v_lshlrev_b32_e32 v2, 16, v35
	v_mul_f32_e32 v2, v66, v2
	v_and_b32_e32 v35, 0x7f800000, v2
	v_cmp_ne_u32_e64 s[0:1], s15, v35
                                        ; implicit-def: $vgpr107
	s_and_saveexec_b64 s[12:13], s[0:1]
	s_xor_b64 s[0:1], exec, s[12:13]
; %bb.283:                              ;   in Loop: Header=BB161_40 Depth=1
	v_bfe_u32 v35, v2, 16, 1
	v_add3_u32 v107, v2, v35, s20
                                        ; implicit-def: $vgpr2
; %bb.284:                              ;   in Loop: Header=BB161_40 Depth=1
	s_andn2_saveexec_b64 s[12:13], s[0:1]
; %bb.285:                              ;   in Loop: Header=BB161_40 Depth=1
	v_or_b32_e32 v35, 0x10000, v2
	v_cmp_eq_u32_sdwa s[0:1], v2, v23 src0_sel:WORD_0 src1_sel:DWORD
	s_nop 1
	v_cndmask_b32_e64 v107, v35, v2, s[0:1]
; %bb.286:                              ;   in Loop: Header=BB161_40 Depth=1
	s_or_b64 exec, exec, s[12:13]
	v_lshlrev_b32_e32 v2, 16, v3
	v_mul_f32_e32 v2, v67, v2
	v_and_b32_e32 v3, 0x7f800000, v2
	v_cmp_ne_u32_e64 s[0:1], s15, v3
                                        ; implicit-def: $vgpr108
	s_and_saveexec_b64 s[12:13], s[0:1]
	s_xor_b64 s[0:1], exec, s[12:13]
; %bb.287:                              ;   in Loop: Header=BB161_40 Depth=1
	v_bfe_u32 v3, v2, 16, 1
	v_add3_u32 v108, v2, v3, s20
                                        ; implicit-def: $vgpr2
; %bb.288:                              ;   in Loop: Header=BB161_40 Depth=1
	s_andn2_saveexec_b64 s[12:13], s[0:1]
; %bb.289:                              ;   in Loop: Header=BB161_40 Depth=1
	v_or_b32_e32 v3, 0x10000, v2
	v_cmp_eq_u32_sdwa s[0:1], v2, v23 src0_sel:WORD_0 src1_sel:DWORD
	s_nop 1
	v_cndmask_b32_e64 v108, v3, v2, s[0:1]
; %bb.290:                              ;   in Loop: Header=BB161_40 Depth=1
	s_or_b64 exec, exec, s[12:13]
	v_lshlrev_b32_e32 v2, 16, v33
	v_mul_f32_e32 v2, v68, v2
	v_and_b32_e32 v3, 0x7f800000, v2
	v_cmp_ne_u32_e64 s[0:1], s15, v3
                                        ; implicit-def: $vgpr109
	s_and_saveexec_b64 s[12:13], s[0:1]
	s_xor_b64 s[0:1], exec, s[12:13]
; %bb.291:                              ;   in Loop: Header=BB161_40 Depth=1
	v_bfe_u32 v3, v2, 16, 1
	v_add3_u32 v109, v2, v3, s20
                                        ; implicit-def: $vgpr2
; %bb.292:                              ;   in Loop: Header=BB161_40 Depth=1
	s_andn2_saveexec_b64 s[12:13], s[0:1]
; %bb.293:                              ;   in Loop: Header=BB161_40 Depth=1
	v_or_b32_e32 v3, 0x10000, v2
	v_cmp_eq_u32_sdwa s[0:1], v2, v23 src0_sel:WORD_0 src1_sel:DWORD
	s_nop 1
	v_cndmask_b32_e64 v109, v3, v2, s[0:1]
; %bb.294:                              ;   in Loop: Header=BB161_40 Depth=1
	s_or_b64 exec, exec, s[12:13]
	v_lshlrev_b32_e32 v2, 16, v4
	v_mul_f32_e32 v2, v70, v2
	v_and_b32_e32 v3, 0x7f800000, v2
	v_cmp_ne_u32_e64 s[0:1], s15, v3
                                        ; implicit-def: $vgpr110
	s_and_saveexec_b64 s[12:13], s[0:1]
	s_xor_b64 s[0:1], exec, s[12:13]
; %bb.295:                              ;   in Loop: Header=BB161_40 Depth=1
	v_bfe_u32 v3, v2, 16, 1
	v_add3_u32 v110, v2, v3, s20
                                        ; implicit-def: $vgpr2
; %bb.296:                              ;   in Loop: Header=BB161_40 Depth=1
	s_andn2_saveexec_b64 s[12:13], s[0:1]
; %bb.297:                              ;   in Loop: Header=BB161_40 Depth=1
	v_or_b32_e32 v3, 0x10000, v2
	v_cmp_eq_u32_sdwa s[0:1], v2, v23 src0_sel:WORD_0 src1_sel:DWORD
	s_nop 1
	v_cndmask_b32_e64 v110, v3, v2, s[0:1]
; %bb.298:                              ;   in Loop: Header=BB161_40 Depth=1
	s_or_b64 exec, exec, s[12:13]
	v_lshlrev_b32_e32 v1, 16, v1
	v_mul_f32_e32 v1, v71, v1
	v_and_b32_e32 v2, 0x7f800000, v1
	v_cmp_ne_u32_e64 s[0:1], s15, v2
                                        ; implicit-def: $vgpr111
	s_and_saveexec_b64 s[12:13], s[0:1]
	s_xor_b64 s[0:1], exec, s[12:13]
; %bb.299:                              ;   in Loop: Header=BB161_40 Depth=1
	v_bfe_u32 v2, v1, 16, 1
	v_add3_u32 v111, v1, v2, s20
                                        ; implicit-def: $vgpr1
; %bb.300:                              ;   in Loop: Header=BB161_40 Depth=1
	s_andn2_saveexec_b64 s[12:13], s[0:1]
; %bb.301:                              ;   in Loop: Header=BB161_40 Depth=1
	v_or_b32_e32 v2, 0x10000, v1
	v_cmp_eq_u32_sdwa s[0:1], v1, v23 src0_sel:WORD_0 src1_sel:DWORD
	s_nop 1
	v_cndmask_b32_e64 v111, v2, v1, s[0:1]
; %bb.302:                              ;   in Loop: Header=BB161_40 Depth=1
	s_or_b64 exec, exec, s[12:13]
	v_lshlrev_b32_e32 v1, 16, v5
	v_mul_f32_e32 v1, v72, v1
	v_and_b32_e32 v2, 0x7f800000, v1
	v_cmp_ne_u32_e64 s[0:1], s15, v2
                                        ; implicit-def: $vgpr112
	s_and_saveexec_b64 s[12:13], s[0:1]
	s_xor_b64 s[0:1], exec, s[12:13]
; %bb.303:                              ;   in Loop: Header=BB161_40 Depth=1
	v_bfe_u32 v2, v1, 16, 1
	v_add3_u32 v112, v1, v2, s20
                                        ; implicit-def: $vgpr1
; %bb.304:                              ;   in Loop: Header=BB161_40 Depth=1
	s_andn2_saveexec_b64 s[12:13], s[0:1]
; %bb.305:                              ;   in Loop: Header=BB161_40 Depth=1
	v_or_b32_e32 v2, 0x10000, v1
	v_cmp_eq_u32_sdwa s[0:1], v1, v23 src0_sel:WORD_0 src1_sel:DWORD
	s_nop 1
	v_cndmask_b32_e64 v112, v2, v1, s[0:1]
; %bb.306:                              ;   in Loop: Header=BB161_40 Depth=1
	s_or_b64 exec, exec, s[12:13]
	v_lshlrev_b32_e32 v0, 16, v0
	v_mul_f32_e32 v0, v73, v0
	v_and_b32_e32 v1, 0x7f800000, v0
	v_cmp_ne_u32_e64 s[0:1], s15, v1
                                        ; implicit-def: $vgpr113
	s_and_saveexec_b64 s[12:13], s[0:1]
	s_xor_b64 s[0:1], exec, s[12:13]
; %bb.307:                              ;   in Loop: Header=BB161_40 Depth=1
	v_bfe_u32 v1, v0, 16, 1
	v_add3_u32 v113, v0, v1, s20
                                        ; implicit-def: $vgpr0
; %bb.308:                              ;   in Loop: Header=BB161_40 Depth=1
	s_andn2_saveexec_b64 s[12:13], s[0:1]
; %bb.309:                              ;   in Loop: Header=BB161_40 Depth=1
	v_or_b32_e32 v1, 0x10000, v0
	v_cmp_eq_u32_sdwa s[0:1], v0, v23 src0_sel:WORD_0 src1_sel:DWORD
	s_nop 1
	v_cndmask_b32_e64 v113, v1, v0, s[0:1]
; %bb.310:                              ;   in Loop: Header=BB161_40 Depth=1
	s_or_b64 exec, exec, s[12:13]
	v_mov_b32_e32 v33, v23
	v_lshl_add_u64 v[0:1], v[6:7], 0, v[32:33]
	global_load_dwordx4 v[2:5], v[0:1], off
	s_waitcnt vmcnt(0)
	v_lshrrev_b32_e32 v37, 16, v2
	v_lshrrev_b32_e32 v35, 16, v3
	v_lshrrev_b32_e32 v1, 16, v4
	v_lshrrev_b32_e32 v0, 16, v5
	s_and_saveexec_b64 s[12:13], vcc
	s_cbranch_execz .LBB161_312
; %bb.311:                              ;   in Loop: Header=BB161_40 Depth=1
	v_cmp_gt_i32_e64 s[0:1], s33, v57
	s_nop 1
	v_cndmask_b32_e64 v2, 0, v2, s[0:1]
	v_cmp_gt_i32_e64 s[0:1], s33, v64
	s_nop 1
	v_cndmask_b32_e64 v37, 0, v37, s[0:1]
	v_cmp_gt_i32_e64 s[0:1], s33, v62
	s_nop 1
	v_cndmask_b32_e64 v3, 0, v3, s[0:1]
	v_cmp_gt_i32_e64 s[0:1], s33, v61
	s_nop 1
	v_cndmask_b32_e64 v35, 0, v35, s[0:1]
	v_cmp_gt_i32_e64 s[0:1], s33, v60
	s_nop 1
	v_cndmask_b32_e64 v4, 0, v4, s[0:1]
	v_cmp_gt_i32_e64 s[0:1], s33, v59
	s_nop 1
	v_cndmask_b32_e64 v1, 0, v1, s[0:1]
	v_cmp_gt_i32_e64 s[0:1], s33, v63
	s_nop 1
	v_cndmask_b32_e64 v5, 0, v5, s[0:1]
	v_cmp_gt_i32_e64 s[0:1], s33, v46
	s_nop 1
	v_cndmask_b32_e64 v0, 0, v0, s[0:1]
.LBB161_312:                            ;   in Loop: Header=BB161_40 Depth=1
	s_or_b64 exec, exec, s[12:13]
	v_lshlrev_b32_e32 v2, 16, v2
	v_mul_f32_e32 v2, v65, v2
	v_and_b32_e32 v33, 0x7f800000, v2
	v_cmp_ne_u32_e64 s[0:1], s15, v33
                                        ; implicit-def: $vgpr33
	s_and_saveexec_b64 s[12:13], s[0:1]
	s_xor_b64 s[0:1], exec, s[12:13]
; %bb.313:                              ;   in Loop: Header=BB161_40 Depth=1
	v_bfe_u32 v33, v2, 16, 1
	v_add3_u32 v33, v2, v33, s20
                                        ; implicit-def: $vgpr2
; %bb.314:                              ;   in Loop: Header=BB161_40 Depth=1
	s_andn2_saveexec_b64 s[12:13], s[0:1]
; %bb.315:                              ;   in Loop: Header=BB161_40 Depth=1
	v_or_b32_e32 v33, 0x10000, v2
	v_cmp_eq_u32_sdwa s[0:1], v2, v23 src0_sel:WORD_0 src1_sel:DWORD
	s_nop 1
	v_cndmask_b32_e64 v33, v33, v2, s[0:1]
; %bb.316:                              ;   in Loop: Header=BB161_40 Depth=1
	s_or_b64 exec, exec, s[12:13]
	v_lshlrev_b32_e32 v2, 16, v37
	v_mul_f32_e32 v2, v66, v2
	v_and_b32_e32 v37, 0x7f800000, v2
	v_cmp_ne_u32_e64 s[0:1], s15, v37
                                        ; implicit-def: $vgpr114
	s_and_saveexec_b64 s[12:13], s[0:1]
	s_xor_b64 s[0:1], exec, s[12:13]
; %bb.317:                              ;   in Loop: Header=BB161_40 Depth=1
	v_bfe_u32 v37, v2, 16, 1
	v_add3_u32 v114, v2, v37, s20
                                        ; implicit-def: $vgpr2
; %bb.318:                              ;   in Loop: Header=BB161_40 Depth=1
	s_andn2_saveexec_b64 s[12:13], s[0:1]
; %bb.319:                              ;   in Loop: Header=BB161_40 Depth=1
	v_or_b32_e32 v37, 0x10000, v2
	v_cmp_eq_u32_sdwa s[0:1], v2, v23 src0_sel:WORD_0 src1_sel:DWORD
	s_nop 1
	v_cndmask_b32_e64 v114, v37, v2, s[0:1]
; %bb.320:                              ;   in Loop: Header=BB161_40 Depth=1
	s_or_b64 exec, exec, s[12:13]
	v_lshlrev_b32_e32 v2, 16, v3
	v_mul_f32_e32 v2, v67, v2
	v_and_b32_e32 v3, 0x7f800000, v2
	v_cmp_ne_u32_e64 s[0:1], s15, v3
                                        ; implicit-def: $vgpr115
	s_and_saveexec_b64 s[12:13], s[0:1]
	s_xor_b64 s[0:1], exec, s[12:13]
; %bb.321:                              ;   in Loop: Header=BB161_40 Depth=1
	v_bfe_u32 v3, v2, 16, 1
	v_add3_u32 v115, v2, v3, s20
                                        ; implicit-def: $vgpr2
; %bb.322:                              ;   in Loop: Header=BB161_40 Depth=1
	s_andn2_saveexec_b64 s[12:13], s[0:1]
; %bb.323:                              ;   in Loop: Header=BB161_40 Depth=1
	v_or_b32_e32 v3, 0x10000, v2
	v_cmp_eq_u32_sdwa s[0:1], v2, v23 src0_sel:WORD_0 src1_sel:DWORD
	s_nop 1
	v_cndmask_b32_e64 v115, v3, v2, s[0:1]
; %bb.324:                              ;   in Loop: Header=BB161_40 Depth=1
	s_or_b64 exec, exec, s[12:13]
	v_lshlrev_b32_e32 v2, 16, v35
	v_mul_f32_e32 v2, v68, v2
	v_and_b32_e32 v3, 0x7f800000, v2
	v_cmp_ne_u32_e64 s[0:1], s15, v3
                                        ; implicit-def: $vgpr116
	s_and_saveexec_b64 s[12:13], s[0:1]
	s_xor_b64 s[0:1], exec, s[12:13]
; %bb.325:                              ;   in Loop: Header=BB161_40 Depth=1
	v_bfe_u32 v3, v2, 16, 1
	v_add3_u32 v116, v2, v3, s20
                                        ; implicit-def: $vgpr2
; %bb.326:                              ;   in Loop: Header=BB161_40 Depth=1
	s_andn2_saveexec_b64 s[12:13], s[0:1]
; %bb.327:                              ;   in Loop: Header=BB161_40 Depth=1
	v_or_b32_e32 v3, 0x10000, v2
	v_cmp_eq_u32_sdwa s[0:1], v2, v23 src0_sel:WORD_0 src1_sel:DWORD
	s_nop 1
	v_cndmask_b32_e64 v116, v3, v2, s[0:1]
; %bb.328:                              ;   in Loop: Header=BB161_40 Depth=1
	s_or_b64 exec, exec, s[12:13]
	v_lshlrev_b32_e32 v2, 16, v4
	v_mul_f32_e32 v2, v70, v2
	v_and_b32_e32 v3, 0x7f800000, v2
	v_cmp_ne_u32_e64 s[0:1], s15, v3
                                        ; implicit-def: $vgpr117
	s_and_saveexec_b64 s[12:13], s[0:1]
	s_xor_b64 s[0:1], exec, s[12:13]
; %bb.329:                              ;   in Loop: Header=BB161_40 Depth=1
	v_bfe_u32 v3, v2, 16, 1
	v_add3_u32 v117, v2, v3, s20
                                        ; implicit-def: $vgpr2
; %bb.330:                              ;   in Loop: Header=BB161_40 Depth=1
	s_andn2_saveexec_b64 s[12:13], s[0:1]
; %bb.331:                              ;   in Loop: Header=BB161_40 Depth=1
	v_or_b32_e32 v3, 0x10000, v2
	v_cmp_eq_u32_sdwa s[0:1], v2, v23 src0_sel:WORD_0 src1_sel:DWORD
	s_nop 1
	v_cndmask_b32_e64 v117, v3, v2, s[0:1]
; %bb.332:                              ;   in Loop: Header=BB161_40 Depth=1
	s_or_b64 exec, exec, s[12:13]
	v_lshlrev_b32_e32 v1, 16, v1
	v_mul_f32_e32 v1, v71, v1
	v_and_b32_e32 v2, 0x7f800000, v1
	v_cmp_ne_u32_e64 s[0:1], s15, v2
                                        ; implicit-def: $vgpr118
	s_and_saveexec_b64 s[12:13], s[0:1]
	s_xor_b64 s[0:1], exec, s[12:13]
; %bb.333:                              ;   in Loop: Header=BB161_40 Depth=1
	v_bfe_u32 v2, v1, 16, 1
	v_add3_u32 v118, v1, v2, s20
                                        ; implicit-def: $vgpr1
; %bb.334:                              ;   in Loop: Header=BB161_40 Depth=1
	s_andn2_saveexec_b64 s[12:13], s[0:1]
; %bb.335:                              ;   in Loop: Header=BB161_40 Depth=1
	v_or_b32_e32 v2, 0x10000, v1
	v_cmp_eq_u32_sdwa s[0:1], v1, v23 src0_sel:WORD_0 src1_sel:DWORD
	s_nop 1
	v_cndmask_b32_e64 v118, v2, v1, s[0:1]
; %bb.336:                              ;   in Loop: Header=BB161_40 Depth=1
	s_or_b64 exec, exec, s[12:13]
	v_lshlrev_b32_e32 v1, 16, v5
	v_mul_f32_e32 v1, v72, v1
	v_and_b32_e32 v2, 0x7f800000, v1
	v_cmp_ne_u32_e64 s[0:1], s15, v2
                                        ; implicit-def: $vgpr119
	s_and_saveexec_b64 s[12:13], s[0:1]
	s_xor_b64 s[0:1], exec, s[12:13]
; %bb.337:                              ;   in Loop: Header=BB161_40 Depth=1
	v_bfe_u32 v2, v1, 16, 1
	v_add3_u32 v119, v1, v2, s20
                                        ; implicit-def: $vgpr1
; %bb.338:                              ;   in Loop: Header=BB161_40 Depth=1
	s_andn2_saveexec_b64 s[12:13], s[0:1]
; %bb.339:                              ;   in Loop: Header=BB161_40 Depth=1
	v_or_b32_e32 v2, 0x10000, v1
	v_cmp_eq_u32_sdwa s[0:1], v1, v23 src0_sel:WORD_0 src1_sel:DWORD
	s_nop 1
	v_cndmask_b32_e64 v119, v2, v1, s[0:1]
; %bb.340:                              ;   in Loop: Header=BB161_40 Depth=1
	s_or_b64 exec, exec, s[12:13]
	v_lshlrev_b32_e32 v0, 16, v0
	v_mul_f32_e32 v0, v73, v0
	v_and_b32_e32 v1, 0x7f800000, v0
	v_cmp_ne_u32_e64 s[0:1], s15, v1
                                        ; implicit-def: $vgpr120
	s_and_saveexec_b64 s[12:13], s[0:1]
	s_xor_b64 s[0:1], exec, s[12:13]
; %bb.341:                              ;   in Loop: Header=BB161_40 Depth=1
	v_bfe_u32 v1, v0, 16, 1
	v_add3_u32 v120, v0, v1, s20
                                        ; implicit-def: $vgpr0
; %bb.342:                              ;   in Loop: Header=BB161_40 Depth=1
	s_andn2_saveexec_b64 s[12:13], s[0:1]
; %bb.343:                              ;   in Loop: Header=BB161_40 Depth=1
	v_or_b32_e32 v1, 0x10000, v0
	v_cmp_eq_u32_sdwa s[0:1], v0, v23 src0_sel:WORD_0 src1_sel:DWORD
	s_nop 1
	v_cndmask_b32_e64 v120, v1, v0, s[0:1]
; %bb.344:                              ;   in Loop: Header=BB161_40 Depth=1
	s_or_b64 exec, exec, s[12:13]
	v_mov_b32_e32 v35, v23
	v_lshl_add_u64 v[0:1], v[6:7], 0, v[34:35]
	global_load_dwordx4 v[2:5], v[0:1], off
	s_waitcnt vmcnt(0)
	v_lshrrev_b32_e32 v39, 16, v2
	v_lshrrev_b32_e32 v37, 16, v3
	;; [unrolled: 1-line block ×4, first 2 shown]
	s_and_saveexec_b64 s[12:13], vcc
	s_cbranch_execz .LBB161_346
; %bb.345:                              ;   in Loop: Header=BB161_40 Depth=1
	v_cmp_gt_i32_e64 s[0:1], s33, v57
	s_nop 1
	v_cndmask_b32_e64 v2, 0, v2, s[0:1]
	v_cmp_gt_i32_e64 s[0:1], s33, v64
	s_nop 1
	v_cndmask_b32_e64 v39, 0, v39, s[0:1]
	v_cmp_gt_i32_e64 s[0:1], s33, v62
	s_nop 1
	v_cndmask_b32_e64 v3, 0, v3, s[0:1]
	v_cmp_gt_i32_e64 s[0:1], s33, v61
	s_nop 1
	v_cndmask_b32_e64 v37, 0, v37, s[0:1]
	v_cmp_gt_i32_e64 s[0:1], s33, v60
	s_nop 1
	v_cndmask_b32_e64 v4, 0, v4, s[0:1]
	v_cmp_gt_i32_e64 s[0:1], s33, v59
	s_nop 1
	v_cndmask_b32_e64 v1, 0, v1, s[0:1]
	v_cmp_gt_i32_e64 s[0:1], s33, v63
	s_nop 1
	v_cndmask_b32_e64 v5, 0, v5, s[0:1]
	v_cmp_gt_i32_e64 s[0:1], s33, v46
	s_nop 1
	v_cndmask_b32_e64 v0, 0, v0, s[0:1]
.LBB161_346:                            ;   in Loop: Header=BB161_40 Depth=1
	s_or_b64 exec, exec, s[12:13]
	v_lshlrev_b32_e32 v2, 16, v2
	v_mul_f32_e32 v2, v65, v2
	v_and_b32_e32 v35, 0x7f800000, v2
	v_cmp_ne_u32_e64 s[0:1], s15, v35
                                        ; implicit-def: $vgpr35
	s_and_saveexec_b64 s[12:13], s[0:1]
	s_xor_b64 s[0:1], exec, s[12:13]
; %bb.347:                              ;   in Loop: Header=BB161_40 Depth=1
	v_bfe_u32 v35, v2, 16, 1
	v_add3_u32 v35, v2, v35, s20
                                        ; implicit-def: $vgpr2
; %bb.348:                              ;   in Loop: Header=BB161_40 Depth=1
	s_andn2_saveexec_b64 s[12:13], s[0:1]
; %bb.349:                              ;   in Loop: Header=BB161_40 Depth=1
	v_or_b32_e32 v35, 0x10000, v2
	v_cmp_eq_u32_sdwa s[0:1], v2, v23 src0_sel:WORD_0 src1_sel:DWORD
	s_nop 1
	v_cndmask_b32_e64 v35, v35, v2, s[0:1]
; %bb.350:                              ;   in Loop: Header=BB161_40 Depth=1
	s_or_b64 exec, exec, s[12:13]
	v_lshlrev_b32_e32 v2, 16, v39
	v_mul_f32_e32 v2, v66, v2
	v_and_b32_e32 v39, 0x7f800000, v2
	v_cmp_ne_u32_e64 s[0:1], s15, v39
                                        ; implicit-def: $vgpr121
	s_and_saveexec_b64 s[12:13], s[0:1]
	s_xor_b64 s[0:1], exec, s[12:13]
; %bb.351:                              ;   in Loop: Header=BB161_40 Depth=1
	v_bfe_u32 v39, v2, 16, 1
	v_add3_u32 v121, v2, v39, s20
                                        ; implicit-def: $vgpr2
; %bb.352:                              ;   in Loop: Header=BB161_40 Depth=1
	s_andn2_saveexec_b64 s[12:13], s[0:1]
; %bb.353:                              ;   in Loop: Header=BB161_40 Depth=1
	v_or_b32_e32 v39, 0x10000, v2
	v_cmp_eq_u32_sdwa s[0:1], v2, v23 src0_sel:WORD_0 src1_sel:DWORD
	s_nop 1
	v_cndmask_b32_e64 v121, v39, v2, s[0:1]
; %bb.354:                              ;   in Loop: Header=BB161_40 Depth=1
	s_or_b64 exec, exec, s[12:13]
	v_lshlrev_b32_e32 v2, 16, v3
	v_mul_f32_e32 v2, v67, v2
	v_and_b32_e32 v3, 0x7f800000, v2
	v_cmp_ne_u32_e64 s[0:1], s15, v3
                                        ; implicit-def: $vgpr122
	s_and_saveexec_b64 s[12:13], s[0:1]
	s_xor_b64 s[0:1], exec, s[12:13]
; %bb.355:                              ;   in Loop: Header=BB161_40 Depth=1
	v_bfe_u32 v3, v2, 16, 1
	v_add3_u32 v122, v2, v3, s20
                                        ; implicit-def: $vgpr2
; %bb.356:                              ;   in Loop: Header=BB161_40 Depth=1
	s_andn2_saveexec_b64 s[12:13], s[0:1]
; %bb.357:                              ;   in Loop: Header=BB161_40 Depth=1
	v_or_b32_e32 v3, 0x10000, v2
	v_cmp_eq_u32_sdwa s[0:1], v2, v23 src0_sel:WORD_0 src1_sel:DWORD
	s_nop 1
	v_cndmask_b32_e64 v122, v3, v2, s[0:1]
; %bb.358:                              ;   in Loop: Header=BB161_40 Depth=1
	s_or_b64 exec, exec, s[12:13]
	v_lshlrev_b32_e32 v2, 16, v37
	v_mul_f32_e32 v2, v68, v2
	v_and_b32_e32 v3, 0x7f800000, v2
	v_cmp_ne_u32_e64 s[0:1], s15, v3
                                        ; implicit-def: $vgpr123
	s_and_saveexec_b64 s[12:13], s[0:1]
	s_xor_b64 s[0:1], exec, s[12:13]
; %bb.359:                              ;   in Loop: Header=BB161_40 Depth=1
	v_bfe_u32 v3, v2, 16, 1
	v_add3_u32 v123, v2, v3, s20
                                        ; implicit-def: $vgpr2
; %bb.360:                              ;   in Loop: Header=BB161_40 Depth=1
	s_andn2_saveexec_b64 s[12:13], s[0:1]
; %bb.361:                              ;   in Loop: Header=BB161_40 Depth=1
	v_or_b32_e32 v3, 0x10000, v2
	v_cmp_eq_u32_sdwa s[0:1], v2, v23 src0_sel:WORD_0 src1_sel:DWORD
	s_nop 1
	v_cndmask_b32_e64 v123, v3, v2, s[0:1]
; %bb.362:                              ;   in Loop: Header=BB161_40 Depth=1
	s_or_b64 exec, exec, s[12:13]
	v_lshlrev_b32_e32 v2, 16, v4
	v_mul_f32_e32 v2, v70, v2
	v_and_b32_e32 v3, 0x7f800000, v2
	v_cmp_ne_u32_e64 s[0:1], s15, v3
                                        ; implicit-def: $vgpr124
	s_and_saveexec_b64 s[12:13], s[0:1]
	s_xor_b64 s[0:1], exec, s[12:13]
; %bb.363:                              ;   in Loop: Header=BB161_40 Depth=1
	v_bfe_u32 v3, v2, 16, 1
	v_add3_u32 v124, v2, v3, s20
                                        ; implicit-def: $vgpr2
; %bb.364:                              ;   in Loop: Header=BB161_40 Depth=1
	s_andn2_saveexec_b64 s[12:13], s[0:1]
; %bb.365:                              ;   in Loop: Header=BB161_40 Depth=1
	v_or_b32_e32 v3, 0x10000, v2
	v_cmp_eq_u32_sdwa s[0:1], v2, v23 src0_sel:WORD_0 src1_sel:DWORD
	s_nop 1
	v_cndmask_b32_e64 v124, v3, v2, s[0:1]
; %bb.366:                              ;   in Loop: Header=BB161_40 Depth=1
	s_or_b64 exec, exec, s[12:13]
	v_lshlrev_b32_e32 v1, 16, v1
	v_mul_f32_e32 v1, v71, v1
	v_and_b32_e32 v2, 0x7f800000, v1
	v_cmp_ne_u32_e64 s[0:1], s15, v2
                                        ; implicit-def: $vgpr125
	s_and_saveexec_b64 s[12:13], s[0:1]
	s_xor_b64 s[0:1], exec, s[12:13]
; %bb.367:                              ;   in Loop: Header=BB161_40 Depth=1
	v_bfe_u32 v2, v1, 16, 1
	v_add3_u32 v125, v1, v2, s20
                                        ; implicit-def: $vgpr1
; %bb.368:                              ;   in Loop: Header=BB161_40 Depth=1
	s_andn2_saveexec_b64 s[12:13], s[0:1]
; %bb.369:                              ;   in Loop: Header=BB161_40 Depth=1
	v_or_b32_e32 v2, 0x10000, v1
	v_cmp_eq_u32_sdwa s[0:1], v1, v23 src0_sel:WORD_0 src1_sel:DWORD
	s_nop 1
	v_cndmask_b32_e64 v125, v2, v1, s[0:1]
; %bb.370:                              ;   in Loop: Header=BB161_40 Depth=1
	s_or_b64 exec, exec, s[12:13]
	v_lshlrev_b32_e32 v1, 16, v5
	v_mul_f32_e32 v1, v72, v1
	v_and_b32_e32 v2, 0x7f800000, v1
	v_cmp_ne_u32_e64 s[0:1], s15, v2
                                        ; implicit-def: $vgpr126
	s_and_saveexec_b64 s[12:13], s[0:1]
	s_xor_b64 s[0:1], exec, s[12:13]
; %bb.371:                              ;   in Loop: Header=BB161_40 Depth=1
	v_bfe_u32 v2, v1, 16, 1
	v_add3_u32 v126, v1, v2, s20
                                        ; implicit-def: $vgpr1
; %bb.372:                              ;   in Loop: Header=BB161_40 Depth=1
	s_andn2_saveexec_b64 s[12:13], s[0:1]
; %bb.373:                              ;   in Loop: Header=BB161_40 Depth=1
	v_or_b32_e32 v2, 0x10000, v1
	v_cmp_eq_u32_sdwa s[0:1], v1, v23 src0_sel:WORD_0 src1_sel:DWORD
	s_nop 1
	v_cndmask_b32_e64 v126, v2, v1, s[0:1]
; %bb.374:                              ;   in Loop: Header=BB161_40 Depth=1
	s_or_b64 exec, exec, s[12:13]
	v_lshlrev_b32_e32 v0, 16, v0
	v_mul_f32_e32 v0, v73, v0
	v_and_b32_e32 v1, 0x7f800000, v0
	v_cmp_ne_u32_e64 s[0:1], s15, v1
                                        ; implicit-def: $vgpr127
	s_and_saveexec_b64 s[12:13], s[0:1]
	s_xor_b64 s[0:1], exec, s[12:13]
; %bb.375:                              ;   in Loop: Header=BB161_40 Depth=1
	v_bfe_u32 v1, v0, 16, 1
	v_add3_u32 v127, v0, v1, s20
                                        ; implicit-def: $vgpr0
; %bb.376:                              ;   in Loop: Header=BB161_40 Depth=1
	s_andn2_saveexec_b64 s[12:13], s[0:1]
; %bb.377:                              ;   in Loop: Header=BB161_40 Depth=1
	v_or_b32_e32 v1, 0x10000, v0
	v_cmp_eq_u32_sdwa s[0:1], v0, v23 src0_sel:WORD_0 src1_sel:DWORD
	s_nop 1
	v_cndmask_b32_e64 v127, v1, v0, s[0:1]
; %bb.378:                              ;   in Loop: Header=BB161_40 Depth=1
	s_or_b64 exec, exec, s[12:13]
	v_mov_b32_e32 v37, v23
	v_lshl_add_u64 v[0:1], v[6:7], 0, v[36:37]
	global_load_dwordx4 v[2:5], v[0:1], off
	s_waitcnt vmcnt(0)
	v_lshrrev_b32_e32 v37, 16, v2
	v_lshrrev_b32_e32 v41, 16, v3
	v_lshrrev_b32_e32 v39, 16, v4
	v_lshrrev_b32_e32 v1, 16, v5
	s_and_saveexec_b64 s[12:13], vcc
	s_cbranch_execz .LBB161_380
; %bb.379:                              ;   in Loop: Header=BB161_40 Depth=1
	v_cmp_gt_i32_e64 s[0:1], s33, v57
	s_nop 1
	v_cndmask_b32_e64 v2, 0, v2, s[0:1]
	v_cmp_gt_i32_e64 s[0:1], s33, v64
	s_nop 1
	v_cndmask_b32_e64 v37, 0, v37, s[0:1]
	v_cmp_gt_i32_e64 s[0:1], s33, v62
	s_nop 1
	v_cndmask_b32_e64 v3, 0, v3, s[0:1]
	v_cmp_gt_i32_e64 s[0:1], s33, v61
	s_nop 1
	v_cndmask_b32_e64 v41, 0, v41, s[0:1]
	v_cmp_gt_i32_e64 s[0:1], s33, v60
	s_nop 1
	v_cndmask_b32_e64 v4, 0, v4, s[0:1]
	v_cmp_gt_i32_e64 s[0:1], s33, v59
	s_nop 1
	v_cndmask_b32_e64 v39, 0, v39, s[0:1]
	v_cmp_gt_i32_e64 s[0:1], s33, v63
	s_nop 1
	v_cndmask_b32_e64 v5, 0, v5, s[0:1]
	v_cmp_gt_i32_e64 s[0:1], s33, v46
	s_nop 1
	v_cndmask_b32_e64 v1, 0, v1, s[0:1]
.LBB161_380:                            ;   in Loop: Header=BB161_40 Depth=1
	s_or_b64 exec, exec, s[12:13]
	v_lshlrev_b32_e32 v0, 16, v2
	v_mul_f32_e32 v2, v65, v0
	v_and_b32_e32 v0, 0x7f800000, v2
	v_cmp_ne_u32_e64 s[0:1], s15, v0
                                        ; implicit-def: $vgpr0
	s_and_saveexec_b64 s[12:13], s[0:1]
	s_xor_b64 s[0:1], exec, s[12:13]
; %bb.381:                              ;   in Loop: Header=BB161_40 Depth=1
	v_bfe_u32 v0, v2, 16, 1
	v_add3_u32 v0, v2, v0, s20
                                        ; implicit-def: $vgpr2
; %bb.382:                              ;   in Loop: Header=BB161_40 Depth=1
	s_andn2_saveexec_b64 s[12:13], s[0:1]
; %bb.383:                              ;   in Loop: Header=BB161_40 Depth=1
	v_or_b32_e32 v0, 0x10000, v2
	v_cmp_eq_u32_sdwa s[0:1], v2, v23 src0_sel:WORD_0 src1_sel:DWORD
	s_nop 1
	v_cndmask_b32_e64 v0, v0, v2, s[0:1]
; %bb.384:                              ;   in Loop: Header=BB161_40 Depth=1
	s_or_b64 exec, exec, s[12:13]
	v_lshlrev_b32_e32 v2, 16, v37
	v_mul_f32_e32 v2, v66, v2
	v_and_b32_e32 v37, 0x7f800000, v2
	v_cmp_ne_u32_e64 s[0:1], s15, v37
                                        ; implicit-def: $vgpr37
	s_and_saveexec_b64 s[12:13], s[0:1]
	s_xor_b64 s[0:1], exec, s[12:13]
; %bb.385:                              ;   in Loop: Header=BB161_40 Depth=1
	v_bfe_u32 v37, v2, 16, 1
	v_add3_u32 v37, v2, v37, s20
                                        ; implicit-def: $vgpr2
; %bb.386:                              ;   in Loop: Header=BB161_40 Depth=1
	s_andn2_saveexec_b64 s[12:13], s[0:1]
; %bb.387:                              ;   in Loop: Header=BB161_40 Depth=1
	v_or_b32_e32 v37, 0x10000, v2
	v_cmp_eq_u32_sdwa s[0:1], v2, v23 src0_sel:WORD_0 src1_sel:DWORD
	s_nop 1
	v_cndmask_b32_e64 v37, v37, v2, s[0:1]
; %bb.388:                              ;   in Loop: Header=BB161_40 Depth=1
	s_or_b64 exec, exec, s[12:13]
	v_lshlrev_b32_e32 v2, 16, v3
	v_mul_f32_e32 v2, v67, v2
	v_and_b32_e32 v3, 0x7f800000, v2
	v_cmp_ne_u32_e64 s[0:1], s15, v3
                                        ; implicit-def: $vgpr43
	s_and_saveexec_b64 s[12:13], s[0:1]
	s_xor_b64 s[0:1], exec, s[12:13]
; %bb.389:                              ;   in Loop: Header=BB161_40 Depth=1
	v_bfe_u32 v3, v2, 16, 1
	v_add3_u32 v43, v2, v3, s20
                                        ; implicit-def: $vgpr2
; %bb.390:                              ;   in Loop: Header=BB161_40 Depth=1
	s_andn2_saveexec_b64 s[12:13], s[0:1]
; %bb.391:                              ;   in Loop: Header=BB161_40 Depth=1
	v_or_b32_e32 v3, 0x10000, v2
	v_cmp_eq_u32_sdwa s[0:1], v2, v23 src0_sel:WORD_0 src1_sel:DWORD
	s_nop 1
	v_cndmask_b32_e64 v43, v3, v2, s[0:1]
; %bb.392:                              ;   in Loop: Header=BB161_40 Depth=1
	s_or_b64 exec, exec, s[12:13]
	v_lshlrev_b32_e32 v2, 16, v41
	v_mul_f32_e32 v2, v68, v2
	v_and_b32_e32 v3, 0x7f800000, v2
	v_cmp_ne_u32_e64 s[0:1], s15, v3
                                        ; implicit-def: $vgpr42
	s_and_saveexec_b64 s[12:13], s[0:1]
	s_xor_b64 s[0:1], exec, s[12:13]
; %bb.393:                              ;   in Loop: Header=BB161_40 Depth=1
	v_bfe_u32 v3, v2, 16, 1
	v_add3_u32 v42, v2, v3, s20
                                        ; implicit-def: $vgpr2
; %bb.394:                              ;   in Loop: Header=BB161_40 Depth=1
	s_andn2_saveexec_b64 s[12:13], s[0:1]
; %bb.395:                              ;   in Loop: Header=BB161_40 Depth=1
	v_or_b32_e32 v3, 0x10000, v2
	v_cmp_eq_u32_sdwa s[0:1], v2, v23 src0_sel:WORD_0 src1_sel:DWORD
	s_nop 1
	v_cndmask_b32_e64 v42, v3, v2, s[0:1]
; %bb.396:                              ;   in Loop: Header=BB161_40 Depth=1
	s_or_b64 exec, exec, s[12:13]
	v_lshlrev_b32_e32 v2, 16, v4
	v_mul_f32_e32 v2, v70, v2
	v_and_b32_e32 v3, 0x7f800000, v2
	v_cmp_ne_u32_e64 s[0:1], s15, v3
                                        ; implicit-def: $vgpr44
	s_and_saveexec_b64 s[12:13], s[0:1]
	s_xor_b64 s[0:1], exec, s[12:13]
; %bb.397:                              ;   in Loop: Header=BB161_40 Depth=1
	v_bfe_u32 v3, v2, 16, 1
	v_add3_u32 v44, v2, v3, s20
                                        ; implicit-def: $vgpr2
; %bb.398:                              ;   in Loop: Header=BB161_40 Depth=1
	s_andn2_saveexec_b64 s[12:13], s[0:1]
; %bb.399:                              ;   in Loop: Header=BB161_40 Depth=1
	v_or_b32_e32 v3, 0x10000, v2
	v_cmp_eq_u32_sdwa s[0:1], v2, v23 src0_sel:WORD_0 src1_sel:DWORD
	s_nop 1
	v_cndmask_b32_e64 v44, v3, v2, s[0:1]
; %bb.400:                              ;   in Loop: Header=BB161_40 Depth=1
	s_or_b64 exec, exec, s[12:13]
	v_lshlrev_b32_e32 v2, 16, v39
	v_mul_f32_e32 v2, v71, v2
	v_and_b32_e32 v3, 0x7f800000, v2
	v_cmp_ne_u32_e64 s[0:1], s15, v3
                                        ; implicit-def: $vgpr45
	s_and_saveexec_b64 s[12:13], s[0:1]
	s_xor_b64 s[0:1], exec, s[12:13]
; %bb.401:                              ;   in Loop: Header=BB161_40 Depth=1
	v_bfe_u32 v3, v2, 16, 1
	v_add3_u32 v45, v2, v3, s20
                                        ; implicit-def: $vgpr2
; %bb.402:                              ;   in Loop: Header=BB161_40 Depth=1
	s_andn2_saveexec_b64 s[12:13], s[0:1]
; %bb.403:                              ;   in Loop: Header=BB161_40 Depth=1
	v_or_b32_e32 v3, 0x10000, v2
	v_cmp_eq_u32_sdwa s[0:1], v2, v23 src0_sel:WORD_0 src1_sel:DWORD
	s_nop 1
	v_cndmask_b32_e64 v45, v3, v2, s[0:1]
; %bb.404:                              ;   in Loop: Header=BB161_40 Depth=1
	s_or_b64 exec, exec, s[12:13]
	v_lshlrev_b32_e32 v2, 16, v5
	v_mul_f32_e32 v2, v72, v2
	v_and_b32_e32 v3, 0x7f800000, v2
	v_cmp_ne_u32_e64 s[0:1], s15, v3
                                        ; implicit-def: $vgpr48
	s_and_saveexec_b64 s[12:13], s[0:1]
	s_xor_b64 s[0:1], exec, s[12:13]
; %bb.405:                              ;   in Loop: Header=BB161_40 Depth=1
	v_bfe_u32 v3, v2, 16, 1
	v_add3_u32 v48, v2, v3, s20
                                        ; implicit-def: $vgpr2
; %bb.406:                              ;   in Loop: Header=BB161_40 Depth=1
	s_andn2_saveexec_b64 s[12:13], s[0:1]
; %bb.407:                              ;   in Loop: Header=BB161_40 Depth=1
	v_or_b32_e32 v3, 0x10000, v2
	v_cmp_eq_u32_sdwa s[0:1], v2, v23 src0_sel:WORD_0 src1_sel:DWORD
	s_nop 1
	v_cndmask_b32_e64 v48, v3, v2, s[0:1]
; %bb.408:                              ;   in Loop: Header=BB161_40 Depth=1
	s_or_b64 exec, exec, s[12:13]
	v_lshlrev_b32_e32 v1, 16, v1
	v_mul_f32_e32 v1, v73, v1
	v_and_b32_e32 v2, 0x7f800000, v1
	v_cmp_ne_u32_e64 s[0:1], s15, v2
                                        ; implicit-def: $vgpr49
	s_and_saveexec_b64 s[12:13], s[0:1]
	s_xor_b64 s[0:1], exec, s[12:13]
; %bb.409:                              ;   in Loop: Header=BB161_40 Depth=1
	v_bfe_u32 v2, v1, 16, 1
	v_add3_u32 v49, v1, v2, s20
                                        ; implicit-def: $vgpr1
; %bb.410:                              ;   in Loop: Header=BB161_40 Depth=1
	s_andn2_saveexec_b64 s[12:13], s[0:1]
; %bb.411:                              ;   in Loop: Header=BB161_40 Depth=1
	v_or_b32_e32 v2, 0x10000, v1
	v_cmp_eq_u32_sdwa s[0:1], v1, v23 src0_sel:WORD_0 src1_sel:DWORD
	s_nop 1
	v_cndmask_b32_e64 v49, v2, v1, s[0:1]
; %bb.412:                              ;   in Loop: Header=BB161_40 Depth=1
	s_or_b64 exec, exec, s[12:13]
	v_mov_b32_e32 v39, v23
	v_lshl_add_u64 v[2:3], v[6:7], 0, v[38:39]
	global_load_dwordx4 v[2:5], v[2:3], off
	s_waitcnt vmcnt(0)
	v_lshrrev_b32_e32 v1, 16, v2
	v_lshrrev_b32_e32 v52, 16, v3
	;; [unrolled: 1-line block ×4, first 2 shown]
	s_and_saveexec_b64 s[12:13], vcc
	s_cbranch_execz .LBB161_414
; %bb.413:                              ;   in Loop: Header=BB161_40 Depth=1
	v_cmp_gt_i32_e64 s[0:1], s33, v57
	s_nop 1
	v_cndmask_b32_e64 v2, 0, v2, s[0:1]
	v_cmp_gt_i32_e64 s[0:1], s33, v64
	s_nop 1
	v_cndmask_b32_e64 v1, 0, v1, s[0:1]
	;; [unrolled: 3-line block ×8, first 2 shown]
.LBB161_414:                            ;   in Loop: Header=BB161_40 Depth=1
	s_or_b64 exec, exec, s[12:13]
	v_lshlrev_b32_e32 v2, 16, v2
	v_mul_f32_e32 v2, v65, v2
	v_and_b32_e32 v39, 0x7f800000, v2
	v_cmp_ne_u32_e64 s[0:1], s15, v39
                                        ; implicit-def: $vgpr39
	s_and_saveexec_b64 s[12:13], s[0:1]
	s_xor_b64 s[0:1], exec, s[12:13]
; %bb.415:                              ;   in Loop: Header=BB161_40 Depth=1
	v_bfe_u32 v39, v2, 16, 1
	v_add3_u32 v39, v2, v39, s20
                                        ; implicit-def: $vgpr2
; %bb.416:                              ;   in Loop: Header=BB161_40 Depth=1
	s_andn2_saveexec_b64 s[12:13], s[0:1]
; %bb.417:                              ;   in Loop: Header=BB161_40 Depth=1
	v_or_b32_e32 v39, 0x10000, v2
	v_cmp_eq_u32_sdwa s[0:1], v2, v23 src0_sel:WORD_0 src1_sel:DWORD
	s_nop 1
	v_cndmask_b32_e64 v39, v39, v2, s[0:1]
; %bb.418:                              ;   in Loop: Header=BB161_40 Depth=1
	s_or_b64 exec, exec, s[12:13]
	v_lshlrev_b32_e32 v1, 16, v1
	v_mul_f32_e32 v1, v66, v1
	v_and_b32_e32 v2, 0x7f800000, v1
	v_cmp_ne_u32_e64 s[0:1], s15, v2
                                        ; implicit-def: $vgpr50
	s_and_saveexec_b64 s[12:13], s[0:1]
	s_xor_b64 s[0:1], exec, s[12:13]
; %bb.419:                              ;   in Loop: Header=BB161_40 Depth=1
	v_bfe_u32 v2, v1, 16, 1
	v_add3_u32 v50, v1, v2, s20
                                        ; implicit-def: $vgpr1
; %bb.420:                              ;   in Loop: Header=BB161_40 Depth=1
	s_andn2_saveexec_b64 s[12:13], s[0:1]
; %bb.421:                              ;   in Loop: Header=BB161_40 Depth=1
	v_or_b32_e32 v2, 0x10000, v1
	v_cmp_eq_u32_sdwa s[0:1], v1, v23 src0_sel:WORD_0 src1_sel:DWORD
	s_nop 1
	v_cndmask_b32_e64 v50, v2, v1, s[0:1]
; %bb.422:                              ;   in Loop: Header=BB161_40 Depth=1
	s_or_b64 exec, exec, s[12:13]
	v_lshlrev_b32_e32 v1, 16, v3
	v_mul_f32_e32 v2, v67, v1
	v_and_b32_e32 v1, 0x7f800000, v2
	v_cmp_ne_u32_e64 s[0:1], s15, v1
                                        ; implicit-def: $vgpr1
	s_and_saveexec_b64 s[12:13], s[0:1]
	s_xor_b64 s[0:1], exec, s[12:13]
; %bb.423:                              ;   in Loop: Header=BB161_40 Depth=1
	v_bfe_u32 v1, v2, 16, 1
	v_add3_u32 v1, v2, v1, s20
                                        ; implicit-def: $vgpr2
; %bb.424:                              ;   in Loop: Header=BB161_40 Depth=1
	s_andn2_saveexec_b64 s[12:13], s[0:1]
; %bb.425:                              ;   in Loop: Header=BB161_40 Depth=1
	v_or_b32_e32 v1, 0x10000, v2
	v_cmp_eq_u32_sdwa s[0:1], v2, v23 src0_sel:WORD_0 src1_sel:DWORD
	s_nop 1
	v_cndmask_b32_e64 v1, v1, v2, s[0:1]
; %bb.426:                              ;   in Loop: Header=BB161_40 Depth=1
	s_or_b64 exec, exec, s[12:13]
	v_lshlrev_b32_e32 v2, 16, v52
	v_mul_f32_e32 v2, v68, v2
	v_and_b32_e32 v3, 0x7f800000, v2
	v_cmp_ne_u32_e64 s[0:1], s15, v3
                                        ; implicit-def: $vgpr52
	s_and_saveexec_b64 s[12:13], s[0:1]
	s_xor_b64 s[0:1], exec, s[12:13]
; %bb.427:                              ;   in Loop: Header=BB161_40 Depth=1
	v_bfe_u32 v3, v2, 16, 1
	v_add3_u32 v52, v2, v3, s20
                                        ; implicit-def: $vgpr2
; %bb.428:                              ;   in Loop: Header=BB161_40 Depth=1
	s_andn2_saveexec_b64 s[12:13], s[0:1]
; %bb.429:                              ;   in Loop: Header=BB161_40 Depth=1
	v_or_b32_e32 v3, 0x10000, v2
	v_cmp_eq_u32_sdwa s[0:1], v2, v23 src0_sel:WORD_0 src1_sel:DWORD
	s_nop 1
	v_cndmask_b32_e64 v52, v3, v2, s[0:1]
; %bb.430:                              ;   in Loop: Header=BB161_40 Depth=1
	s_or_b64 exec, exec, s[12:13]
	v_lshlrev_b32_e32 v2, 16, v4
	v_mul_f32_e32 v2, v70, v2
	v_and_b32_e32 v3, 0x7f800000, v2
	v_cmp_ne_u32_e64 s[0:1], s15, v3
                                        ; implicit-def: $vgpr53
	s_and_saveexec_b64 s[12:13], s[0:1]
	s_xor_b64 s[0:1], exec, s[12:13]
; %bb.431:                              ;   in Loop: Header=BB161_40 Depth=1
	v_bfe_u32 v3, v2, 16, 1
	v_add3_u32 v53, v2, v3, s20
                                        ; implicit-def: $vgpr2
; %bb.432:                              ;   in Loop: Header=BB161_40 Depth=1
	s_andn2_saveexec_b64 s[12:13], s[0:1]
; %bb.433:                              ;   in Loop: Header=BB161_40 Depth=1
	v_or_b32_e32 v3, 0x10000, v2
	v_cmp_eq_u32_sdwa s[0:1], v2, v23 src0_sel:WORD_0 src1_sel:DWORD
	s_nop 1
	v_cndmask_b32_e64 v53, v3, v2, s[0:1]
; %bb.434:                              ;   in Loop: Header=BB161_40 Depth=1
	s_or_b64 exec, exec, s[12:13]
	v_lshlrev_b32_e32 v2, 16, v54
	v_mul_f32_e32 v2, v71, v2
	v_and_b32_e32 v3, 0x7f800000, v2
	v_cmp_ne_u32_e64 s[0:1], s15, v3
                                        ; implicit-def: $vgpr54
	s_and_saveexec_b64 s[12:13], s[0:1]
	s_xor_b64 s[0:1], exec, s[12:13]
; %bb.435:                              ;   in Loop: Header=BB161_40 Depth=1
	v_bfe_u32 v3, v2, 16, 1
	v_add3_u32 v54, v2, v3, s20
                                        ; implicit-def: $vgpr2
; %bb.436:                              ;   in Loop: Header=BB161_40 Depth=1
	s_andn2_saveexec_b64 s[12:13], s[0:1]
; %bb.437:                              ;   in Loop: Header=BB161_40 Depth=1
	v_or_b32_e32 v3, 0x10000, v2
	v_cmp_eq_u32_sdwa s[0:1], v2, v23 src0_sel:WORD_0 src1_sel:DWORD
	s_nop 1
	v_cndmask_b32_e64 v54, v3, v2, s[0:1]
; %bb.438:                              ;   in Loop: Header=BB161_40 Depth=1
	s_or_b64 exec, exec, s[12:13]
	v_lshlrev_b32_e32 v2, 16, v5
	v_mul_f32_e32 v2, v72, v2
	v_and_b32_e32 v3, 0x7f800000, v2
	v_cmp_ne_u32_e64 s[0:1], s15, v3
                                        ; implicit-def: $vgpr55
	s_and_saveexec_b64 s[12:13], s[0:1]
	s_xor_b64 s[0:1], exec, s[12:13]
; %bb.439:                              ;   in Loop: Header=BB161_40 Depth=1
	v_bfe_u32 v3, v2, 16, 1
	v_add3_u32 v55, v2, v3, s20
                                        ; implicit-def: $vgpr2
; %bb.440:                              ;   in Loop: Header=BB161_40 Depth=1
	s_andn2_saveexec_b64 s[12:13], s[0:1]
; %bb.441:                              ;   in Loop: Header=BB161_40 Depth=1
	v_or_b32_e32 v3, 0x10000, v2
	v_cmp_eq_u32_sdwa s[0:1], v2, v23 src0_sel:WORD_0 src1_sel:DWORD
	s_nop 1
	v_cndmask_b32_e64 v55, v3, v2, s[0:1]
; %bb.442:                              ;   in Loop: Header=BB161_40 Depth=1
	s_or_b64 exec, exec, s[12:13]
	v_lshlrev_b32_e32 v2, 16, v41
	v_mul_f32_e32 v2, v73, v2
	v_and_b32_e32 v3, 0x7f800000, v2
	v_cmp_ne_u32_e64 s[0:1], s15, v3
                                        ; implicit-def: $vgpr56
	s_and_saveexec_b64 s[12:13], s[0:1]
	s_xor_b64 s[0:1], exec, s[12:13]
; %bb.443:                              ;   in Loop: Header=BB161_40 Depth=1
	v_bfe_u32 v3, v2, 16, 1
	v_add3_u32 v56, v2, v3, s20
                                        ; implicit-def: $vgpr2
; %bb.444:                              ;   in Loop: Header=BB161_40 Depth=1
	s_andn2_saveexec_b64 s[12:13], s[0:1]
; %bb.445:                              ;   in Loop: Header=BB161_40 Depth=1
	v_or_b32_e32 v3, 0x10000, v2
	v_cmp_eq_u32_sdwa s[0:1], v2, v23 src0_sel:WORD_0 src1_sel:DWORD
	s_nop 1
	v_cndmask_b32_e64 v56, v3, v2, s[0:1]
; %bb.446:                              ;   in Loop: Header=BB161_40 Depth=1
	s_or_b64 exec, exec, s[12:13]
	v_mov_b32_e32 v41, v23
	v_lshl_add_u64 v[2:3], v[6:7], 0, v[40:41]
	global_load_dwordx4 v[2:5], v[2:3], off
	s_waitcnt vmcnt(0)
	v_lshrrev_b32_e32 v6, 16, v2
	v_lshrrev_b32_e32 v7, 16, v3
	;; [unrolled: 1-line block ×4, first 2 shown]
	s_and_saveexec_b64 s[0:1], vcc
	s_cbranch_execz .LBB161_448
; %bb.447:                              ;   in Loop: Header=BB161_40 Depth=1
	v_cmp_gt_i32_e32 vcc, s33, v57
	s_nop 1
	v_cndmask_b32_e32 v2, 0, v2, vcc
	v_cmp_gt_i32_e32 vcc, s33, v64
	s_nop 1
	v_cndmask_b32_e32 v6, 0, v6, vcc
	;; [unrolled: 3-line block ×8, first 2 shown]
.LBB161_448:                            ;   in Loop: Header=BB161_40 Depth=1
	s_or_b64 exec, exec, s[0:1]
	v_lshlrev_b32_e32 v2, 16, v2
	v_mul_f32_e32 v57, v65, v2
	v_and_b32_e32 v2, 0x7f800000, v57
	v_cmp_ne_u32_e32 vcc, s15, v2
                                        ; implicit-def: $vgpr2
	s_and_saveexec_b64 s[0:1], vcc
	s_xor_b64 s[0:1], exec, s[0:1]
; %bb.449:                              ;   in Loop: Header=BB161_40 Depth=1
	v_bfe_u32 v2, v57, 16, 1
	v_add3_u32 v2, v57, v2, s20
                                        ; implicit-def: $vgpr57
; %bb.450:                              ;   in Loop: Header=BB161_40 Depth=1
	s_andn2_saveexec_b64 s[0:1], s[0:1]
; %bb.451:                              ;   in Loop: Header=BB161_40 Depth=1
	v_or_b32_e32 v2, 0x10000, v57
	v_cmp_eq_u32_sdwa vcc, v57, v23 src0_sel:WORD_0 src1_sel:DWORD
	s_nop 1
	v_cndmask_b32_e32 v2, v2, v57, vcc
; %bb.452:                              ;   in Loop: Header=BB161_40 Depth=1
	s_or_b64 exec, exec, s[0:1]
	v_lshlrev_b32_e32 v6, 16, v6
	v_mul_f32_e32 v57, v66, v6
	v_and_b32_e32 v6, 0x7f800000, v57
	v_cmp_ne_u32_e32 vcc, s15, v6
                                        ; implicit-def: $vgpr6
	s_and_saveexec_b64 s[0:1], vcc
	s_xor_b64 s[0:1], exec, s[0:1]
; %bb.453:                              ;   in Loop: Header=BB161_40 Depth=1
	v_bfe_u32 v6, v57, 16, 1
	v_add3_u32 v6, v57, v6, s20
                                        ; implicit-def: $vgpr57
; %bb.454:                              ;   in Loop: Header=BB161_40 Depth=1
	s_andn2_saveexec_b64 s[0:1], s[0:1]
; %bb.455:                              ;   in Loop: Header=BB161_40 Depth=1
	v_or_b32_e32 v6, 0x10000, v57
	v_cmp_eq_u32_sdwa vcc, v57, v23 src0_sel:WORD_0 src1_sel:DWORD
	s_nop 1
	v_cndmask_b32_e32 v6, v6, v57, vcc
; %bb.456:                              ;   in Loop: Header=BB161_40 Depth=1
	s_or_b64 exec, exec, s[0:1]
	v_lshlrev_b32_e32 v3, 16, v3
	v_mul_f32_e32 v57, v67, v3
	v_and_b32_e32 v3, 0x7f800000, v57
	v_cmp_ne_u32_e32 vcc, s15, v3
                                        ; implicit-def: $vgpr3
	s_and_saveexec_b64 s[0:1], vcc
	s_xor_b64 s[0:1], exec, s[0:1]
; %bb.457:                              ;   in Loop: Header=BB161_40 Depth=1
	v_bfe_u32 v3, v57, 16, 1
	v_add3_u32 v3, v57, v3, s20
                                        ; implicit-def: $vgpr57
; %bb.458:                              ;   in Loop: Header=BB161_40 Depth=1
	s_andn2_saveexec_b64 s[0:1], s[0:1]
; %bb.459:                              ;   in Loop: Header=BB161_40 Depth=1
	v_or_b32_e32 v3, 0x10000, v57
	v_cmp_eq_u32_sdwa vcc, v57, v23 src0_sel:WORD_0 src1_sel:DWORD
	s_nop 1
	v_cndmask_b32_e32 v3, v3, v57, vcc
; %bb.460:                              ;   in Loop: Header=BB161_40 Depth=1
	s_or_b64 exec, exec, s[0:1]
	v_lshlrev_b32_e32 v7, 16, v7
	v_mul_f32_e32 v57, v68, v7
	v_and_b32_e32 v7, 0x7f800000, v57
	v_cmp_ne_u32_e32 vcc, s15, v7
                                        ; implicit-def: $vgpr7
	s_and_saveexec_b64 s[0:1], vcc
	s_xor_b64 s[0:1], exec, s[0:1]
; %bb.461:                              ;   in Loop: Header=BB161_40 Depth=1
	v_bfe_u32 v7, v57, 16, 1
	v_add3_u32 v7, v57, v7, s20
                                        ; implicit-def: $vgpr57
; %bb.462:                              ;   in Loop: Header=BB161_40 Depth=1
	s_andn2_saveexec_b64 s[0:1], s[0:1]
; %bb.463:                              ;   in Loop: Header=BB161_40 Depth=1
	v_or_b32_e32 v7, 0x10000, v57
	v_cmp_eq_u32_sdwa vcc, v57, v23 src0_sel:WORD_0 src1_sel:DWORD
	s_nop 1
	v_cndmask_b32_e32 v7, v7, v57, vcc
; %bb.464:                              ;   in Loop: Header=BB161_40 Depth=1
	s_or_b64 exec, exec, s[0:1]
	v_lshlrev_b32_e32 v4, 16, v4
	v_mul_f32_e32 v57, v70, v4
	v_and_b32_e32 v4, 0x7f800000, v57
	v_cmp_ne_u32_e32 vcc, s15, v4
                                        ; implicit-def: $vgpr4
	s_and_saveexec_b64 s[0:1], vcc
	s_xor_b64 s[0:1], exec, s[0:1]
; %bb.465:                              ;   in Loop: Header=BB161_40 Depth=1
	v_bfe_u32 v4, v57, 16, 1
	v_add3_u32 v4, v57, v4, s20
                                        ; implicit-def: $vgpr57
; %bb.466:                              ;   in Loop: Header=BB161_40 Depth=1
	s_andn2_saveexec_b64 s[0:1], s[0:1]
; %bb.467:                              ;   in Loop: Header=BB161_40 Depth=1
	v_or_b32_e32 v4, 0x10000, v57
	v_cmp_eq_u32_sdwa vcc, v57, v23 src0_sel:WORD_0 src1_sel:DWORD
	s_nop 1
	v_cndmask_b32_e32 v4, v4, v57, vcc
; %bb.468:                              ;   in Loop: Header=BB161_40 Depth=1
	s_or_b64 exec, exec, s[0:1]
	v_lshlrev_b32_e32 v57, 16, v58
	v_mul_f32_e32 v58, v71, v57
	v_and_b32_e32 v57, 0x7f800000, v58
	v_cmp_ne_u32_e32 vcc, s15, v57
                                        ; implicit-def: $vgpr57
	s_and_saveexec_b64 s[0:1], vcc
	s_xor_b64 s[0:1], exec, s[0:1]
; %bb.469:                              ;   in Loop: Header=BB161_40 Depth=1
	v_bfe_u32 v57, v58, 16, 1
	v_add3_u32 v57, v58, v57, s20
                                        ; implicit-def: $vgpr58
; %bb.470:                              ;   in Loop: Header=BB161_40 Depth=1
	s_andn2_saveexec_b64 s[0:1], s[0:1]
; %bb.471:                              ;   in Loop: Header=BB161_40 Depth=1
	v_or_b32_e32 v57, 0x10000, v58
	v_cmp_eq_u32_sdwa vcc, v58, v23 src0_sel:WORD_0 src1_sel:DWORD
	s_nop 1
	v_cndmask_b32_e32 v57, v57, v58, vcc
; %bb.472:                              ;   in Loop: Header=BB161_40 Depth=1
	s_or_b64 exec, exec, s[0:1]
	v_lshlrev_b32_e32 v5, 16, v5
	v_mul_f32_e32 v58, v72, v5
	v_and_b32_e32 v5, 0x7f800000, v58
	v_cmp_ne_u32_e32 vcc, s15, v5
                                        ; implicit-def: $vgpr5
	s_and_saveexec_b64 s[0:1], vcc
	s_xor_b64 s[0:1], exec, s[0:1]
; %bb.473:                              ;   in Loop: Header=BB161_40 Depth=1
	v_bfe_u32 v5, v58, 16, 1
	v_add3_u32 v5, v58, v5, s20
                                        ; implicit-def: $vgpr58
; %bb.474:                              ;   in Loop: Header=BB161_40 Depth=1
	s_andn2_saveexec_b64 s[0:1], s[0:1]
; %bb.475:                              ;   in Loop: Header=BB161_40 Depth=1
	v_or_b32_e32 v5, 0x10000, v58
	v_cmp_eq_u32_sdwa vcc, v58, v23 src0_sel:WORD_0 src1_sel:DWORD
	s_nop 1
	v_cndmask_b32_e32 v5, v5, v58, vcc
; %bb.476:                              ;   in Loop: Header=BB161_40 Depth=1
	s_or_b64 exec, exec, s[0:1]
	v_lshlrev_b32_e32 v41, 16, v41
	v_mul_f32_e32 v58, v73, v41
	v_and_b32_e32 v41, 0x7f800000, v58
	v_cmp_ne_u32_e32 vcc, s15, v41
                                        ; implicit-def: $vgpr41
	s_and_saveexec_b64 s[0:1], vcc
	s_xor_b64 s[0:1], exec, s[0:1]
; %bb.477:                              ;   in Loop: Header=BB161_40 Depth=1
	v_bfe_u32 v41, v58, 16, 1
	v_add3_u32 v41, v58, v41, s20
                                        ; implicit-def: $vgpr58
; %bb.478:                              ;   in Loop: Header=BB161_40 Depth=1
	s_andn2_saveexec_b64 s[0:1], s[0:1]
	s_cbranch_execz .LBB161_39
; %bb.479:                              ;   in Loop: Header=BB161_40 Depth=1
	v_or_b32_e32 v41, 0x10000, v58
	v_cmp_eq_u32_sdwa vcc, v58, v23 src0_sel:WORD_0 src1_sel:DWORD
	s_nop 1
	v_cndmask_b32_e32 v41, v41, v58, vcc
	s_branch .LBB161_39
.LBB161_480:
	s_or_b64 exec, exec, s[8:9]
	scratch_load_dword v24, off, off offset:128 ; 4-byte Folded Reload
	scratch_load_dword v25, off, off offset:40 ; 4-byte Folded Reload
	;; [unrolled: 1-line block ×5, first 2 shown]
.LBB161_481:
	s_or_b64 exec, exec, s[2:3]
	s_waitcnt vmcnt(1)
	ds_bpermute_b32 v0, v23, v20
	ds_bpermute_b32 v1, v23, v21
	ds_bpermute_b32 v2, v23, v18
	ds_bpermute_b32 v3, v23, v19
	ds_bpermute_b32 v6, v23, v16
	ds_bpermute_b32 v7, v23, v17
	s_waitcnt lgkmcnt(4)
	v_pk_add_f32 v[0:1], v[20:21], v[0:1]
	s_waitcnt vmcnt(0)
	ds_bpermute_b32 v4, v27, v0
	ds_bpermute_b32 v5, v27, v1
	s_waitcnt lgkmcnt(4)
	v_pk_add_f32 v[2:3], v[18:19], v[2:3]
	ds_bpermute_b32 v8, v27, v2
	ds_bpermute_b32 v9, v27, v3
	;; [unrolled: 1-line block ×3, first 2 shown]
	s_waitcnt lgkmcnt(3)
	v_pk_add_f32 v[18:19], v[0:1], v[4:5]
	ds_bpermute_b32 v4, v23, v14
	ds_bpermute_b32 v5, v23, v15
	v_pk_add_f32 v[0:1], v[16:17], v[6:7]
	ds_bpermute_b32 v16, v23, v12
	ds_bpermute_b32 v17, v23, v13
	;; [unrolled: 1-line block ×3, first 2 shown]
	s_waitcnt lgkmcnt(3)
	v_pk_add_f32 v[4:5], v[14:15], v[4:5]
	ds_bpermute_b32 v7, v27, v1
	ds_bpermute_b32 v14, v27, v4
	;; [unrolled: 1-line block ×4, first 2 shown]
	s_waitcnt lgkmcnt(5)
	v_pk_add_f32 v[16:17], v[12:13], v[16:17]
	ds_bpermute_b32 v20, v27, v16
	ds_bpermute_b32 v21, v27, v17
	v_pk_add_f32 v[12:13], v[2:3], v[8:9]
	s_waitcnt lgkmcnt(5)
	v_pk_add_f32 v[8:9], v[0:1], v[6:7]
	s_waitcnt lgkmcnt(3)
	;; [unrolled: 2-line block ×3, first 2 shown]
	v_pk_add_f32 v[4:5], v[10:11], v[22:23]
	ds_bpermute_b32 v10, v27, v4
	ds_bpermute_b32 v11, v27, v5
	v_and_b32_e32 v0, 0x3c3, v24
	s_waitcnt lgkmcnt(2)
	v_pk_add_f32 v[2:3], v[16:17], v[20:21]
	v_cmp_ne_u32_e32 vcc, 64, v0
	s_waitcnt lgkmcnt(0)
	s_barrier
	s_and_saveexec_b64 s[0:1], vcc
	s_xor_b64 s[0:1], exec, s[0:1]
; %bb.482:
                                        ; implicit-def: $vgpr25
; %bb.483:
	s_or_saveexec_b64 s[0:1], s[0:1]
	v_pk_add_f32 v[4:5], v[4:5], v[10:11]
	s_xor_b64 exec, exec, s[0:1]
	s_cbranch_execz .LBB161_485
; %bb.484:
	v_add_u32_e32 v0, 0x190, v25
	ds_write2_b32 v0, v18, v19 offset1:16
	ds_write2_b32 v0, v12, v13 offset0:32 offset1:48
	ds_write2_b32 v0, v8, v9 offset0:64 offset1:80
	;; [unrolled: 1-line block ×5, first 2 shown]
.LBB161_485:
	s_or_b64 exec, exec, s[0:1]
	v_cmp_gt_u32_e32 vcc, 64, v24
	v_cmp_lt_u32_e64 s[0:1], 63, v24
	s_waitcnt lgkmcnt(0)
	s_barrier
	s_and_saveexec_b64 s[2:3], s[0:1]
	s_xor_b64 s[0:1], exec, s[2:3]
	s_andn2_saveexec_b64 s[2:3], s[0:1]
	s_cbranch_execz .LBB161_500
; %bb.486:
	v_cmp_eq_u32_e64 s[0:1], 0, v26
	v_lshrrev_b32_e32 v0, 2, v24
	s_and_saveexec_b64 s[6:7], s[0:1]
	s_cbranch_execnz .LBB161_552
; %bb.487:
	s_or_b64 exec, exec, s[6:7]
	s_and_saveexec_b64 s[6:7], s[0:1]
	s_cbranch_execnz .LBB161_553
.LBB161_488:
	s_or_b64 exec, exec, s[6:7]
	s_and_saveexec_b64 s[6:7], s[0:1]
	s_cbranch_execnz .LBB161_554
.LBB161_489:
	s_or_b64 exec, exec, s[6:7]
	s_and_saveexec_b64 s[6:7], s[0:1]
	s_cbranch_execnz .LBB161_555
.LBB161_490:
	s_or_b64 exec, exec, s[6:7]
	s_and_saveexec_b64 s[6:7], s[0:1]
	s_cbranch_execnz .LBB161_556
.LBB161_491:
	s_or_b64 exec, exec, s[6:7]
	s_and_saveexec_b64 s[6:7], s[0:1]
	s_cbranch_execnz .LBB161_557
.LBB161_492:
	s_or_b64 exec, exec, s[6:7]
	s_and_saveexec_b64 s[6:7], s[0:1]
	s_cbranch_execnz .LBB161_558
.LBB161_493:
	s_or_b64 exec, exec, s[6:7]
	s_and_saveexec_b64 s[6:7], s[0:1]
	s_cbranch_execnz .LBB161_559
.LBB161_494:
	s_or_b64 exec, exec, s[6:7]
	s_and_saveexec_b64 s[6:7], s[0:1]
	s_cbranch_execnz .LBB161_560
.LBB161_495:
	s_or_b64 exec, exec, s[6:7]
	s_and_saveexec_b64 s[6:7], s[0:1]
	s_cbranch_execnz .LBB161_561
.LBB161_496:
	s_or_b64 exec, exec, s[6:7]
	s_and_saveexec_b64 s[6:7], s[0:1]
	s_cbranch_execnz .LBB161_562
.LBB161_497:
	s_or_b64 exec, exec, s[6:7]
	s_and_saveexec_b64 s[6:7], s[0:1]
	s_cbranch_execz .LBB161_499
.LBB161_498:
	v_mov_b32_e32 v1, 0x190
	v_lshl_add_u32 v0, v0, 2, v1
	ds_read_b32 v0, v0 offset:704
	s_waitcnt lgkmcnt(0)
	v_add_f32_e32 v5, v5, v0
.LBB161_499:
	s_or_b64 exec, exec, s[6:7]
.LBB161_500:
	s_or_b64 exec, exec, s[2:3]
	s_barrier
	s_and_saveexec_b64 s[0:1], vcc
	s_cbranch_execz .LBB161_551
; %bb.501:
	v_cmp_eq_u32_e32 vcc, 0, v26
	s_and_b64 exec, exec, vcc
	s_cbranch_execz .LBB161_551
; %bb.502:
	s_mov_b32 s0, 0x7f800000
	v_and_b32_e32 v0, 0x7f800000, v18
	v_cmp_ne_u32_e32 vcc, s0, v0
                                        ; implicit-def: $vgpr10
	s_and_saveexec_b64 s[0:1], vcc
	s_xor_b64 s[0:1], exec, s[0:1]
; %bb.503:
	v_bfe_u32 v0, v18, 16, 1
	s_movk_i32 s2, 0x7fff
	v_add3_u32 v10, v18, v0, s2
; %bb.504:
	s_andn2_saveexec_b64 s[0:1], s[0:1]
; %bb.505:
	v_mov_b32_e32 v0, 0
	v_or_b32_e32 v1, 0x10000, v18
	v_cmp_eq_u32_sdwa vcc, v18, v0 src0_sel:WORD_0 src1_sel:DWORD
	s_nop 1
	v_cndmask_b32_e32 v10, v1, v18, vcc
; %bb.506:
	s_or_b64 exec, exec, s[0:1]
	s_mul_i32 s0, s10, s11
	s_mul_i32 s0, s0, s5
	s_mulk_i32 s0, 0xc0
	s_ashr_i32 s1, s0, 31
	s_lshl_b64 s[0:1], s[0:1], 1
	s_add_u32 s2, s18, s0
	s_mul_i32 s0, s11, s16
	s_addc_u32 s3, s19, s1
	s_ashr_i32 s1, s0, 31
	s_lshl_b64 s[0:1], s[0:1], 1
	s_add_u32 s2, s2, s0
	s_mul_i32 s0, s4, 0xc0
	s_addc_u32 s3, s3, s1
	s_ashr_i32 s1, s0, 31
	s_lshl_b64 s[0:1], s[0:1], 1
	s_add_u32 s0, s2, s0
	v_lshrrev_b32_e32 v0, 1, v24
	s_addc_u32 s1, s3, s1
	v_and_b32_e32 v0, 0x1fe, v0
	global_store_short_d16_hi v0, v10, s[0:1]
	s_mov_b32 s2, 0x7f800000
	v_and_b32_e32 v10, 0x7f800000, v19
	v_mov_b32_e32 v1, 0
	v_cmp_ne_u32_e32 vcc, s2, v10
                                        ; implicit-def: $vgpr10
	s_and_saveexec_b64 s[2:3], vcc
	s_xor_b64 s[2:3], exec, s[2:3]
; %bb.507:
	v_bfe_u32 v10, v19, 16, 1
	s_movk_i32 s4, 0x7fff
	v_add3_u32 v10, v19, v10, s4
                                        ; implicit-def: $vgpr18_vgpr19
; %bb.508:
	s_or_saveexec_b64 s[2:3], s[2:3]
	v_lshl_add_u64 v[0:1], s[0:1], 0, v[0:1]
	s_xor_b64 exec, exec, s[2:3]
; %bb.509:
	v_mov_b32_e32 v10, 0
	v_or_b32_e32 v11, 0x10000, v19
	v_cmp_eq_u32_sdwa vcc, v19, v10 src0_sel:WORD_0 src1_sel:DWORD
	s_nop 1
	v_cndmask_b32_e32 v10, v11, v19, vcc
; %bb.510:
	s_or_b64 exec, exec, s[2:3]
	global_store_short_d16_hi v[0:1], v10, off offset:32
	s_mov_b32 s0, 0x7f800000
	v_and_b32_e32 v10, 0x7f800000, v12
	v_cmp_ne_u32_e32 vcc, s0, v10
                                        ; implicit-def: $vgpr10
	s_and_saveexec_b64 s[0:1], vcc
	s_xor_b64 s[0:1], exec, s[0:1]
; %bb.511:
	v_bfe_u32 v10, v12, 16, 1
	s_movk_i32 s2, 0x7fff
	v_add3_u32 v10, v12, v10, s2
; %bb.512:
	s_andn2_saveexec_b64 s[0:1], s[0:1]
; %bb.513:
	v_mov_b32_e32 v10, 0
	v_or_b32_e32 v11, 0x10000, v12
	v_cmp_eq_u32_sdwa vcc, v12, v10 src0_sel:WORD_0 src1_sel:DWORD
	s_nop 1
	v_cndmask_b32_e32 v10, v11, v12, vcc
; %bb.514:
	s_or_b64 exec, exec, s[0:1]
	global_store_short_d16_hi v[0:1], v10, off offset:64
	s_mov_b32 s0, 0x7f800000
	v_and_b32_e32 v10, 0x7f800000, v13
	v_cmp_ne_u32_e32 vcc, s0, v10
                                        ; implicit-def: $vgpr10
	s_and_saveexec_b64 s[0:1], vcc
	s_xor_b64 s[0:1], exec, s[0:1]
; %bb.515:
	v_bfe_u32 v10, v13, 16, 1
	s_movk_i32 s2, 0x7fff
	v_add3_u32 v10, v13, v10, s2
                                        ; implicit-def: $vgpr12_vgpr13
; %bb.516:
	s_andn2_saveexec_b64 s[0:1], s[0:1]
; %bb.517:
	v_mov_b32_e32 v10, 0
	v_or_b32_e32 v11, 0x10000, v13
	v_cmp_eq_u32_sdwa vcc, v13, v10 src0_sel:WORD_0 src1_sel:DWORD
	s_nop 1
	v_cndmask_b32_e32 v10, v11, v13, vcc
; %bb.518:
	s_or_b64 exec, exec, s[0:1]
	global_store_short_d16_hi v[0:1], v10, off offset:96
	s_mov_b32 s0, 0x7f800000
	v_and_b32_e32 v10, 0x7f800000, v8
	v_cmp_ne_u32_e32 vcc, s0, v10
                                        ; implicit-def: $vgpr10
	s_and_saveexec_b64 s[0:1], vcc
	s_xor_b64 s[0:1], exec, s[0:1]
; %bb.519:
	v_bfe_u32 v10, v8, 16, 1
	s_movk_i32 s2, 0x7fff
	v_add3_u32 v10, v8, v10, s2
; %bb.520:
	s_andn2_saveexec_b64 s[0:1], s[0:1]
; %bb.521:
	v_mov_b32_e32 v10, 0
	v_or_b32_e32 v11, 0x10000, v8
	v_cmp_eq_u32_sdwa vcc, v8, v10 src0_sel:WORD_0 src1_sel:DWORD
	s_nop 1
	v_cndmask_b32_e32 v10, v11, v8, vcc
; %bb.522:
	s_or_b64 exec, exec, s[0:1]
	s_mov_b32 s0, 0x7f800000
	v_and_b32_e32 v8, 0x7f800000, v9
	v_cmp_ne_u32_e32 vcc, s0, v8
	global_store_short_d16_hi v[0:1], v10, off offset:128
                                        ; implicit-def: $vgpr10
	s_and_saveexec_b64 s[0:1], vcc
	s_xor_b64 s[0:1], exec, s[0:1]
; %bb.523:
	v_bfe_u32 v8, v9, 16, 1
	s_movk_i32 s2, 0x7fff
	v_add3_u32 v10, v9, v8, s2
                                        ; implicit-def: $vgpr8_vgpr9
; %bb.524:
	s_andn2_saveexec_b64 s[0:1], s[0:1]
; %bb.525:
	v_mov_b32_e32 v8, 0
	v_or_b32_e32 v10, 0x10000, v9
	v_cmp_eq_u32_sdwa vcc, v9, v8 src0_sel:WORD_0 src1_sel:DWORD
	s_nop 1
	v_cndmask_b32_e32 v10, v10, v9, vcc
; %bb.526:
	s_or_b64 exec, exec, s[0:1]
	s_mov_b32 s0, 0x7f800000
	v_and_b32_e32 v8, 0x7f800000, v6
	v_cmp_ne_u32_e32 vcc, s0, v8
	global_store_short_d16_hi v[0:1], v10, off offset:160
                                        ; implicit-def: $vgpr8
	s_and_saveexec_b64 s[0:1], vcc
	s_xor_b64 s[0:1], exec, s[0:1]
; %bb.527:
	v_bfe_u32 v8, v6, 16, 1
	s_movk_i32 s2, 0x7fff
	v_add3_u32 v8, v6, v8, s2
; %bb.528:
	s_andn2_saveexec_b64 s[0:1], s[0:1]
; %bb.529:
	v_mov_b32_e32 v8, 0
	v_or_b32_e32 v9, 0x10000, v6
	v_cmp_eq_u32_sdwa vcc, v6, v8 src0_sel:WORD_0 src1_sel:DWORD
	s_nop 1
	v_cndmask_b32_e32 v8, v9, v6, vcc
; %bb.530:
	s_or_b64 exec, exec, s[0:1]
	s_mov_b32 s0, 0x7f800000
	v_and_b32_e32 v6, 0x7f800000, v7
	v_cmp_ne_u32_e32 vcc, s0, v6
	global_store_short_d16_hi v[0:1], v8, off offset:192
                                        ; implicit-def: $vgpr8
	s_and_saveexec_b64 s[0:1], vcc
	s_xor_b64 s[0:1], exec, s[0:1]
; %bb.531:
	v_bfe_u32 v6, v7, 16, 1
	s_movk_i32 s2, 0x7fff
	v_add3_u32 v8, v7, v6, s2
                                        ; implicit-def: $vgpr6_vgpr7
; %bb.532:
	s_andn2_saveexec_b64 s[0:1], s[0:1]
; %bb.533:
	v_mov_b32_e32 v6, 0
	v_or_b32_e32 v8, 0x10000, v7
	v_cmp_eq_u32_sdwa vcc, v7, v6 src0_sel:WORD_0 src1_sel:DWORD
	s_nop 1
	v_cndmask_b32_e32 v8, v8, v7, vcc
; %bb.534:
	s_or_b64 exec, exec, s[0:1]
	s_mov_b32 s0, 0x7f800000
	v_and_b32_e32 v6, 0x7f800000, v2
	v_cmp_ne_u32_e32 vcc, s0, v6
	global_store_short_d16_hi v[0:1], v8, off offset:224
                                        ; implicit-def: $vgpr6
	s_and_saveexec_b64 s[0:1], vcc
	s_xor_b64 s[0:1], exec, s[0:1]
; %bb.535:
	v_bfe_u32 v6, v2, 16, 1
	s_movk_i32 s2, 0x7fff
	v_add3_u32 v6, v2, v6, s2
; %bb.536:
	s_andn2_saveexec_b64 s[0:1], s[0:1]
; %bb.537:
	v_mov_b32_e32 v6, 0
	v_or_b32_e32 v7, 0x10000, v2
	v_cmp_eq_u32_sdwa vcc, v2, v6 src0_sel:WORD_0 src1_sel:DWORD
	s_nop 1
	v_cndmask_b32_e32 v6, v7, v2, vcc
; %bb.538:
	s_or_b64 exec, exec, s[0:1]
	s_mov_b32 s0, 0x7f800000
	v_and_b32_e32 v2, 0x7f800000, v3
	v_cmp_ne_u32_e32 vcc, s0, v2
	global_store_short_d16_hi v[0:1], v6, off offset:256
                                        ; implicit-def: $vgpr6
	s_and_saveexec_b64 s[0:1], vcc
	s_xor_b64 s[0:1], exec, s[0:1]
; %bb.539:
	v_bfe_u32 v2, v3, 16, 1
	s_movk_i32 s2, 0x7fff
	v_add3_u32 v6, v3, v2, s2
                                        ; implicit-def: $vgpr2_vgpr3
; %bb.540:
	s_andn2_saveexec_b64 s[0:1], s[0:1]
; %bb.541:
	v_mov_b32_e32 v2, 0
	v_or_b32_e32 v6, 0x10000, v3
	v_cmp_eq_u32_sdwa vcc, v3, v2 src0_sel:WORD_0 src1_sel:DWORD
	s_nop 1
	v_cndmask_b32_e32 v6, v6, v3, vcc
; %bb.542:
	s_or_b64 exec, exec, s[0:1]
	s_mov_b32 s0, 0x7f800000
	v_and_b32_e32 v2, 0x7f800000, v4
	v_cmp_ne_u32_e32 vcc, s0, v2
	global_store_short_d16_hi v[0:1], v6, off offset:288
                                        ; implicit-def: $vgpr2
	s_and_saveexec_b64 s[0:1], vcc
	s_xor_b64 s[0:1], exec, s[0:1]
; %bb.543:
	v_bfe_u32 v2, v4, 16, 1
	s_movk_i32 s2, 0x7fff
	v_add3_u32 v2, v4, v2, s2
; %bb.544:
	s_andn2_saveexec_b64 s[0:1], s[0:1]
; %bb.545:
	v_mov_b32_e32 v2, 0
	v_or_b32_e32 v3, 0x10000, v4
	v_cmp_eq_u32_sdwa vcc, v4, v2 src0_sel:WORD_0 src1_sel:DWORD
	s_nop 1
	v_cndmask_b32_e32 v2, v3, v4, vcc
; %bb.546:
	s_or_b64 exec, exec, s[0:1]
	global_store_short_d16_hi v[0:1], v2, off offset:320
	s_mov_b32 s0, 0x7f800000
	v_and_b32_e32 v2, 0x7f800000, v5
	v_cmp_ne_u32_e32 vcc, s0, v2
                                        ; implicit-def: $vgpr2
	s_and_saveexec_b64 s[0:1], vcc
	s_xor_b64 s[0:1], exec, s[0:1]
; %bb.547:
	v_bfe_u32 v2, v5, 16, 1
	s_movk_i32 s2, 0x7fff
	v_add3_u32 v2, v5, v2, s2
                                        ; implicit-def: $vgpr4_vgpr5
; %bb.548:
	s_andn2_saveexec_b64 s[0:1], s[0:1]
; %bb.549:
	v_mov_b32_e32 v2, 0
	v_or_b32_e32 v3, 0x10000, v5
	v_cmp_eq_u32_sdwa vcc, v5, v2 src0_sel:WORD_0 src1_sel:DWORD
	s_nop 1
	v_cndmask_b32_e32 v2, v3, v5, vcc
; %bb.550:
	s_or_b64 exec, exec, s[0:1]
	global_store_short_d16_hi v[0:1], v2, off offset:352
.LBB161_551:
	s_endpgm
.LBB161_552:
	v_mov_b32_e32 v1, 0x190
	v_lshl_add_u32 v1, v0, 2, v1
	ds_read_b32 v1, v1
	s_waitcnt lgkmcnt(0)
	v_add_f32_e32 v18, v18, v1
	s_or_b64 exec, exec, s[6:7]
	s_and_saveexec_b64 s[6:7], s[0:1]
	s_cbranch_execz .LBB161_488
.LBB161_553:
	v_mov_b32_e32 v1, 0x190
	v_lshl_add_u32 v1, v0, 2, v1
	ds_read_b32 v1, v1 offset:64
	s_waitcnt lgkmcnt(0)
	v_add_f32_e32 v19, v19, v1
	s_or_b64 exec, exec, s[6:7]
	s_and_saveexec_b64 s[6:7], s[0:1]
	s_cbranch_execz .LBB161_489
.LBB161_554:
	v_mov_b32_e32 v1, 0x190
	v_lshl_add_u32 v1, v0, 2, v1
	ds_read_b32 v1, v1 offset:128
	s_waitcnt lgkmcnt(0)
	v_add_f32_e32 v12, v12, v1
	s_or_b64 exec, exec, s[6:7]
	s_and_saveexec_b64 s[6:7], s[0:1]
	s_cbranch_execz .LBB161_490
.LBB161_555:
	v_mov_b32_e32 v1, 0x190
	v_lshl_add_u32 v1, v0, 2, v1
	ds_read_b32 v1, v1 offset:192
	s_waitcnt lgkmcnt(0)
	v_add_f32_e32 v13, v13, v1
	s_or_b64 exec, exec, s[6:7]
	s_and_saveexec_b64 s[6:7], s[0:1]
	s_cbranch_execz .LBB161_491
.LBB161_556:
	v_mov_b32_e32 v1, 0x190
	v_lshl_add_u32 v1, v0, 2, v1
	ds_read_b32 v1, v1 offset:256
	s_waitcnt lgkmcnt(0)
	v_add_f32_e32 v8, v8, v1
	s_or_b64 exec, exec, s[6:7]
	s_and_saveexec_b64 s[6:7], s[0:1]
	s_cbranch_execz .LBB161_492
.LBB161_557:
	v_mov_b32_e32 v1, 0x190
	v_lshl_add_u32 v1, v0, 2, v1
	ds_read_b32 v1, v1 offset:320
	s_waitcnt lgkmcnt(0)
	v_add_f32_e32 v9, v9, v1
	s_or_b64 exec, exec, s[6:7]
	s_and_saveexec_b64 s[6:7], s[0:1]
	s_cbranch_execz .LBB161_493
.LBB161_558:
	v_mov_b32_e32 v1, 0x190
	v_lshl_add_u32 v1, v0, 2, v1
	ds_read_b32 v1, v1 offset:384
	s_waitcnt lgkmcnt(0)
	v_add_f32_e32 v6, v6, v1
	s_or_b64 exec, exec, s[6:7]
	s_and_saveexec_b64 s[6:7], s[0:1]
	s_cbranch_execz .LBB161_494
.LBB161_559:
	v_mov_b32_e32 v1, 0x190
	v_lshl_add_u32 v1, v0, 2, v1
	ds_read_b32 v1, v1 offset:448
	s_waitcnt lgkmcnt(0)
	v_add_f32_e32 v7, v7, v1
	s_or_b64 exec, exec, s[6:7]
	s_and_saveexec_b64 s[6:7], s[0:1]
	s_cbranch_execz .LBB161_495
.LBB161_560:
	v_mov_b32_e32 v1, 0x190
	v_lshl_add_u32 v1, v0, 2, v1
	ds_read_b32 v1, v1 offset:512
	s_waitcnt lgkmcnt(0)
	v_add_f32_e32 v2, v2, v1
	s_or_b64 exec, exec, s[6:7]
	s_and_saveexec_b64 s[6:7], s[0:1]
	s_cbranch_execz .LBB161_496
.LBB161_561:
	v_mov_b32_e32 v1, 0x190
	v_lshl_add_u32 v1, v0, 2, v1
	ds_read_b32 v1, v1 offset:576
	s_waitcnt lgkmcnt(0)
	v_add_f32_e32 v3, v3, v1
	s_or_b64 exec, exec, s[6:7]
	s_and_saveexec_b64 s[6:7], s[0:1]
	s_cbranch_execz .LBB161_497
.LBB161_562:
	v_mov_b32_e32 v1, 0x190
	v_lshl_add_u32 v1, v0, 2, v1
	ds_read_b32 v1, v1 offset:640
	s_waitcnt lgkmcnt(0)
	v_add_f32_e32 v4, v4, v1
	s_or_b64 exec, exec, s[6:7]
	s_and_saveexec_b64 s[6:7], s[0:1]
	s_cbranch_execnz .LBB161_498
	s_branch .LBB161_499
	.section	.rodata,"a",@progbits
	.p2align	6, 0x0
	.amdhsa_kernel _ZN4vllm25paged_attention_v1_kernelI14__hip_bfloat16S1_Li192ELi32ELi128ELNS_18Fp8KVCacheDataTypeE0ELb0EEEvPT_PKS3_PKT0_S9_ifPKiSB_iPKfiiiSD_SD_iiiii
		.amdhsa_group_segment_fixed_size 400
		.amdhsa_private_segment_fixed_size 148
		.amdhsa_kernarg_size 384
		.amdhsa_user_sgpr_count 2
		.amdhsa_user_sgpr_dispatch_ptr 0
		.amdhsa_user_sgpr_queue_ptr 0
		.amdhsa_user_sgpr_kernarg_segment_ptr 1
		.amdhsa_user_sgpr_dispatch_id 0
		.amdhsa_user_sgpr_kernarg_preload_length 0
		.amdhsa_user_sgpr_kernarg_preload_offset 0
		.amdhsa_user_sgpr_private_segment_size 0
		.amdhsa_uses_dynamic_stack 0
		.amdhsa_enable_private_segment 1
		.amdhsa_system_sgpr_workgroup_id_x 1
		.amdhsa_system_sgpr_workgroup_id_y 1
		.amdhsa_system_sgpr_workgroup_id_z 1
		.amdhsa_system_sgpr_workgroup_info 0
		.amdhsa_system_vgpr_workitem_id 0
		.amdhsa_next_free_vgpr 128
		.amdhsa_next_free_sgpr 36
		.amdhsa_accum_offset 128
		.amdhsa_reserve_vcc 1
		.amdhsa_float_round_mode_32 0
		.amdhsa_float_round_mode_16_64 0
		.amdhsa_float_denorm_mode_32 3
		.amdhsa_float_denorm_mode_16_64 3
		.amdhsa_dx10_clamp 1
		.amdhsa_ieee_mode 1
		.amdhsa_fp16_overflow 0
		.amdhsa_tg_split 0
		.amdhsa_exception_fp_ieee_invalid_op 0
		.amdhsa_exception_fp_denorm_src 0
		.amdhsa_exception_fp_ieee_div_zero 0
		.amdhsa_exception_fp_ieee_overflow 0
		.amdhsa_exception_fp_ieee_underflow 0
		.amdhsa_exception_fp_ieee_inexact 0
		.amdhsa_exception_int_div_zero 0
	.end_amdhsa_kernel
	.section	.text._ZN4vllm25paged_attention_v1_kernelI14__hip_bfloat16S1_Li192ELi32ELi128ELNS_18Fp8KVCacheDataTypeE0ELb0EEEvPT_PKS3_PKT0_S9_ifPKiSB_iPKfiiiSD_SD_iiiii,"axG",@progbits,_ZN4vllm25paged_attention_v1_kernelI14__hip_bfloat16S1_Li192ELi32ELi128ELNS_18Fp8KVCacheDataTypeE0ELb0EEEvPT_PKS3_PKT0_S9_ifPKiSB_iPKfiiiSD_SD_iiiii,comdat
.Lfunc_end161:
	.size	_ZN4vllm25paged_attention_v1_kernelI14__hip_bfloat16S1_Li192ELi32ELi128ELNS_18Fp8KVCacheDataTypeE0ELb0EEEvPT_PKS3_PKT0_S9_ifPKiSB_iPKfiiiSD_SD_iiiii, .Lfunc_end161-_ZN4vllm25paged_attention_v1_kernelI14__hip_bfloat16S1_Li192ELi32ELi128ELNS_18Fp8KVCacheDataTypeE0ELb0EEEvPT_PKS3_PKT0_S9_ifPKiSB_iPKfiiiSD_SD_iiiii
                                        ; -- End function
	.section	.AMDGPU.csdata,"",@progbits
; Kernel info:
; codeLenInByte = 20468
; NumSgprs: 42
; NumVgprs: 128
; NumAgprs: 0
; TotalNumVgprs: 128
; ScratchSize: 148
; MemoryBound: 0
; FloatMode: 240
; IeeeMode: 1
; LDSByteSize: 400 bytes/workgroup (compile time only)
; SGPRBlocks: 5
; VGPRBlocks: 15
; NumSGPRsForWavesPerEU: 42
; NumVGPRsForWavesPerEU: 128
; AccumOffset: 128
; Occupancy: 4
; WaveLimiterHint : 1
; COMPUTE_PGM_RSRC2:SCRATCH_EN: 1
; COMPUTE_PGM_RSRC2:USER_SGPR: 2
; COMPUTE_PGM_RSRC2:TRAP_HANDLER: 0
; COMPUTE_PGM_RSRC2:TGID_X_EN: 1
; COMPUTE_PGM_RSRC2:TGID_Y_EN: 1
; COMPUTE_PGM_RSRC2:TGID_Z_EN: 1
; COMPUTE_PGM_RSRC2:TIDIG_COMP_CNT: 0
; COMPUTE_PGM_RSRC3_GFX90A:ACCUM_OFFSET: 31
; COMPUTE_PGM_RSRC3_GFX90A:TG_SPLIT: 0
	.text
	.p2align	2                               ; -- Begin function _ZN4vllm22paged_attention_kernelI14__hip_bfloat16S1_Li256ELi32ELi128ELNS_18Fp8KVCacheDataTypeE0ELb0ELi0EEEvPfS3_PT_PKS4_PKT0_SA_ifPKiSC_iPKfiiiSE_SE_iiiii
	.type	_ZN4vllm22paged_attention_kernelI14__hip_bfloat16S1_Li256ELi32ELi128ELNS_18Fp8KVCacheDataTypeE0ELb0ELi0EEEvPfS3_PT_PKS4_PKT0_SA_ifPKiSC_iPKfiiiSE_SE_iiiii,@function
_ZN4vllm22paged_attention_kernelI14__hip_bfloat16S1_Li256ELi32ELi128ELNS_18Fp8KVCacheDataTypeE0ELb0ELi0EEEvPfS3_PT_PKS4_PKT0_SA_ifPKiSC_iPKfiiiSE_SE_iiiii: ; @_ZN4vllm22paged_attention_kernelI14__hip_bfloat16S1_Li256ELi32ELi128ELNS_18Fp8KVCacheDataTypeE0ELb0ELi0EEEvPfS3_PT_PKS4_PKT0_SA_ifPKiSC_iPKfiiiSE_SE_iiiii
; %bb.0:
	s_waitcnt vmcnt(0) expcnt(0) lgkmcnt(0)
	scratch_store_dword off, v40, s32 offset:188 ; 4-byte Folded Spill
	scratch_store_dword off, v41, s32 offset:184 ; 4-byte Folded Spill
	;; [unrolled: 1-line block ×47, first 2 shown]
	scratch_store_dword off, a63, s32       ; 4-byte Folded Spill
	s_mov_b32 s16, s13
	s_ashr_i32 s17, s13, 31
	scratch_store_dwordx2 off, v[0:1], s32 offset:588 ; 8-byte Folded Spill
	v_lshl_add_u64 v[0:1], s[16:17], 2, v[12:13]
	v_mov_b32_e32 v21, v16
	flat_load_dword v16, v[0:1]
	v_sub_u32_e32 v0, 0, v8
	v_max_i32_e32 v0, v8, v0
	v_cvt_f32_u32_e32 v1, v0
	scratch_store_dwordx2 off, v[18:19], s32 offset:196 ; 8-byte Folded Spill
	scratch_store_dword off, v9, s32 offset:580 ; 4-byte Folded Spill
	s_load_dword s0, s[8:9], 0x10
	s_load_dword s2, s[8:9], 0x0
	v_rcp_iflag_f32_e32 v1, v1
	v_mov_b32_e32 v49, v7
	v_sub_u32_e32 v7, 0, v0
	s_waitcnt lgkmcnt(0)
	s_lshr_b32 s0, s0, 16
	v_mul_f32_e32 v1, 0x4f7ffffe, v1
	v_cvt_u32_f32_e32 v1, v1
	s_cmp_lg_u32 s0, 0
	s_cselect_b64 s[0:1], -1, 0
	s_cmp_lg_u64 s[0:1], 0
	v_mul_lo_u32 v7, v7, v1
	s_mov_b32 s18, s15
	s_addc_u32 s15, s2, 0
	v_mul_hi_u32 v7, v1, v7
	s_abs_i32 s0, s15
	v_add_u32_e32 v1, v1, v7
	v_mul_hi_u32 v1, s0, v1
	v_mul_lo_u32 v7, v1, v0
	v_sub_u32_e32 v7, s0, v7
	v_mov_b32_e32 v48, v6
	v_xor_b32_e32 v6, s15, v8
	v_add_u32_e32 v8, 1, v1
	v_cmp_ge_u32_e32 vcc, v7, v0
	v_ashrrev_i32_e32 v6, 31, v6
	s_abs_i32 s6, s12
	v_cndmask_b32_e32 v1, v1, v8, vcc
	v_sub_u32_e32 v8, v7, v0
	v_cndmask_b32_e32 v7, v7, v8, vcc
	v_add_u32_e32 v8, 1, v1
	v_cmp_ge_u32_e32 vcc, v7, v0
	v_mov_b32_e32 v20, v15
	v_mov_b32_e32 v39, v11
	v_cndmask_b32_e32 v0, v1, v8, vcc
	v_xor_b32_e32 v0, v0, v6
	v_sub_u32_e32 v7, v0, v6
	v_sub_u32_e32 v0, 0, v7
	v_max_i32_e32 v6, v7, v0
	v_cvt_f32_u32_e32 v0, v6
	v_sub_u32_e32 v1, 0, v6
	v_mov_b32_e32 v38, v10
	v_cmp_ne_u64_e32 vcc, 0, v[20:21]
	v_rcp_iflag_f32_e32 v0, v0
	s_nop 0
	v_mul_f32_e32 v0, 0x4f7ffffe, v0
	v_cvt_u32_f32_e32 v0, v0
	v_mul_lo_u32 v1, v1, v0
	v_mul_hi_u32 v1, v0, v1
	v_add_u32_e32 v0, v0, v1
	v_mad_u64_u32 v[0:1], s[0:1], s6, v0, 0
	v_mov_b32_e32 v0, 0
	scratch_store_dword off, v0, s32 offset:576 ; 4-byte Folded Spill
	s_and_saveexec_b64 s[0:1], vcc
	s_cbranch_execz .LBB162_2
; %bb.1:
	s_ashr_i32 s13, s12, 31
	v_lshl_add_u64 v[8:9], s[12:13], 2, v[20:21]
	flat_load_dword v0, v[8:9]
	s_waitcnt vmcnt(0) lgkmcnt(0)
	scratch_store_dword off, v0, s32 offset:576 ; 4-byte Folded Spill
.LBB162_2:
	s_or_b64 exec, exec, s[0:1]
	v_and_b32_e32 v30, 0x3ff, v31
	s_ashr_i32 s7, s12, 31
	v_ashrrev_i32_e32 v7, 31, v7
	v_and_b32_e32 v0, 1, v30
	s_lshl_b32 s12, s12, 8
	v_cmp_lt_u32_e64 s[2:3], 63, v30
	v_cmp_gt_u32_e64 s[0:1], 64, v30
	v_lshlrev_b32_e32 v28, 3, v30
	s_and_saveexec_b64 s[4:5], s[0:1]
	s_cbranch_execz .LBB162_4
; %bb.3:
	v_mul_lo_u32 v8, s16, v17
	v_ashrrev_i32_e32 v9, 31, v8
	v_lshl_add_u64 v[2:3], v[8:9], 1, v[2:3]
	s_ashr_i32 s13, s12, 31
	v_lshl_add_u64 v[2:3], s[12:13], 1, v[2:3]
	v_mov_b32_e32 v29, 0
	v_lshl_add_u64 v[2:3], v[2:3], 0, v[28:29]
	flat_load_dwordx2 v[2:3], v[2:3]
	v_lshlrev_b32_e32 v8, 2, v30
	v_and_b32_e32 v8, 0xff8, v8
	v_lshl_add_u32 v8, v0, 8, v8
	s_waitcnt vmcnt(0) lgkmcnt(0)
	ds_write_b64 v8, v[2:3]
.LBB162_4:
	s_or_b64 exec, exec, s[4:5]
	s_waitcnt vmcnt(0)
	v_add_u32_e32 v2, 31, v16
	v_ashrrev_i32_e32 v3, 31, v2
	v_lshrrev_b32_e32 v3, 27, v3
	v_add_u32_e32 v2, v2, v3
	v_mul_lo_u32 v3, v1, v6
	v_sub_u32_e32 v3, s6, v3
	v_ashrrev_i32_e32 v8, 5, v2
	v_xor_b32_e32 v2, s7, v7
	v_add_u32_e32 v7, 1, v1
	v_cmp_ge_u32_e32 vcc, v3, v6
	v_lshrrev_b32_e32 v37, 6, v30
	v_mul_lo_u32 v50, s16, v14
	v_cndmask_b32_e32 v1, v1, v7, vcc
	v_sub_u32_e32 v7, v3, v6
	v_cndmask_b32_e32 v3, v3, v7, vcc
	v_add_u32_e32 v7, 1, v1
	v_cmp_ge_u32_e32 vcc, v3, v6
	v_ashrrev_i32_e32 v51, 31, v50
	v_cmp_lt_i32_e64 s[4:5], v37, v8
	v_cndmask_b32_e32 v1, v1, v7, vcc
	v_xor_b32_e32 v1, v1, v2
	v_sub_u32_e32 v2, v1, v2
	v_cmp_ge_i32_e32 vcc, v37, v8
	v_mbcnt_lo_u32_b32 v1, -1, 0
	s_waitcnt lgkmcnt(0)
	s_barrier
	scratch_store_dword off, v8, s32 offset:192 ; 4-byte Folded Spill
                                        ; implicit-def: $sgpr19
                                        ; implicit-def: $vgpr8
                                        ; implicit-def: $vgpr9
	s_and_saveexec_b64 s[6:7], vcc
	s_xor_b64 s[6:7], exec, s[6:7]
; %bb.5:
	v_mbcnt_hi_u32_b32 v8, -1, v1
	v_and_b32_e32 v0, 64, v8
	v_add_u32_e32 v9, 64, v0
                                        ; implicit-def: $vgpr0
	s_mov_b32 s19, 0xff7fffff
                                        ; kill: killed $vgpr0
                                        ; implicit-def: $vgpr0
                                        ; kill: killed $vgpr0
                                        ; implicit-def: $vgpr4
                                        ; implicit-def: $vgpr0
                                        ; implicit-def: $vgpr1
; %bb.6:
	s_or_saveexec_b64 s[10:11], s[6:7]
	s_load_dword s17, s[8:9], 0x14
	s_load_dword s13, s[8:9], 0x8
	v_mul_lo_u32 v52, v2, v19
	v_mov_b32_e32 v3, s19
	v_ashrrev_i32_e32 v53, 31, v52
	v_lshrrev_b32_e32 v17, 4, v30
	scratch_store_dword off, v30, s32 offset:584 ; 4-byte Folded Spill
	s_xor_b64 exec, exec, s[10:11]
	s_cbranch_execz .LBB162_12
; %bb.7:
	scratch_store_dwordx2 off, v[48:49], s32 offset:624 ; 8-byte Folded Spill
	v_lshlrev_b32_e32 v2, 8, v0
	ds_read_b128 v[6:9], v2
	ds_read_b128 v[10:13], v2 offset:16
	ds_read_b128 v[18:21], v2 offset:32
	;; [unrolled: 1-line block ×3, first 2 shown]
	v_cmp_eq_u32_e32 vcc, 0, v0
	s_waitcnt lgkmcnt(0)
	v_lshlrev_b32_e32 v3, 16, v6
	scratch_store_dword off, v3, s32 offset:216 ; 4-byte Folded Spill
	v_and_b32_e32 v3, 0xffff0000, v6
	scratch_store_dword off, v3, s32 offset:224 ; 4-byte Folded Spill
	v_lshlrev_b32_e32 v3, 16, v7
	scratch_store_dword off, v3, s32 offset:232 ; 4-byte Folded Spill
	v_and_b32_e32 v3, 0xffff0000, v7
	scratch_store_dword off, v3, s32 offset:240 ; 4-byte Folded Spill
	;; [unrolled: 4-line block ×13, first 2 shown]
	v_lshlrev_b32_e32 v3, 16, v23
	scratch_store_dword off, v3, s32 offset:368 ; 4-byte Folded Spill
	v_and_b32_e32 v3, 0xffff0000, v23
	ds_read_b128 v[6:9], v2 offset:64
	ds_read_b128 v[10:13], v2 offset:80
	scratch_store_dword off, v3, s32 offset:372 ; 4-byte Folded Spill
	v_lshlrev_b32_e32 v3, 16, v24
	scratch_store_dword off, v3, s32 offset:376 ; 4-byte Folded Spill
	v_and_b32_e32 v3, 0xffff0000, v24
	scratch_store_dword off, v3, s32 offset:380 ; 4-byte Folded Spill
	v_lshlrev_b32_e32 v3, 16, v25
	scratch_store_dword off, v3, s32 offset:384 ; 4-byte Folded Spill
	v_and_b32_e32 v3, 0xffff0000, v25
	scratch_store_dword off, v3, s32 offset:388 ; 4-byte Folded Spill
	s_waitcnt lgkmcnt(1)
	v_lshlrev_b32_e32 v3, 16, v6
	scratch_store_dword off, v3, s32 offset:392 ; 4-byte Folded Spill
	v_and_b32_e32 v3, 0xffff0000, v6
	scratch_store_dword off, v3, s32 offset:396 ; 4-byte Folded Spill
	v_lshlrev_b32_e32 v3, 16, v7
	scratch_store_dword off, v3, s32 offset:400 ; 4-byte Folded Spill
	v_and_b32_e32 v3, 0xffff0000, v7
	scratch_store_dword off, v3, s32 offset:404 ; 4-byte Folded Spill
	;; [unrolled: 4-line block ×4, first 2 shown]
	s_waitcnt lgkmcnt(0)
	v_lshlrev_b32_e32 v3, 16, v10
	scratch_store_dword off, v3, s32 offset:424 ; 4-byte Folded Spill
	v_and_b32_e32 v3, 0xffff0000, v10
	scratch_store_dword off, v3, s32 offset:428 ; 4-byte Folded Spill
	v_lshlrev_b32_e32 v3, 16, v11
	scratch_store_dword off, v3, s32 offset:432 ; 4-byte Folded Spill
	v_and_b32_e32 v3, 0xffff0000, v11
	scratch_store_dword off, v3, s32 offset:436 ; 4-byte Folded Spill
	;; [unrolled: 4-line block ×4, first 2 shown]
	ds_read_b128 v[6:9], v2 offset:96
	ds_read_b128 v[10:13], v2 offset:112
	v_mov_b32_e32 v0, v28
	s_ashr_i32 s19, s18, 31
	s_lshl_b64 s[8:9], s[18:19], 2
	s_waitcnt lgkmcnt(1)
	v_lshlrev_b32_e32 v3, 16, v6
	scratch_store_dword off, v3, s32 offset:456 ; 4-byte Folded Spill
	v_and_b32_e32 v3, 0xffff0000, v6
	scratch_store_dword off, v3, s32 offset:460 ; 4-byte Folded Spill
	v_lshlrev_b32_e32 v3, 16, v7
	scratch_store_dword off, v3, s32 offset:464 ; 4-byte Folded Spill
	v_and_b32_e32 v3, 0xffff0000, v7
	scratch_store_dword off, v3, s32 offset:472 ; 4-byte Folded Spill
	;; [unrolled: 4-line block ×4, first 2 shown]
	s_waitcnt lgkmcnt(0)
	v_lshlrev_b32_e32 v3, 16, v10
	scratch_store_dword off, v3, s32 offset:492 ; 4-byte Folded Spill
	v_and_b32_e32 v3, 0xffff0000, v10
	scratch_store_dword off, v3, s32 offset:496 ; 4-byte Folded Spill
	v_lshlrev_b32_e32 v3, 16, v11
	scratch_store_dword off, v3, s32 offset:500 ; 4-byte Folded Spill
	v_and_b32_e32 v3, 0xffff0000, v11
	scratch_store_dword off, v3, s32 offset:504 ; 4-byte Folded Spill
	;; [unrolled: 4-line block ×4, first 2 shown]
	ds_read_b128 v[6:9], v2 offset:128
	ds_read_b128 v[10:13], v2 offset:144
	s_getpc_b64 s[20:21]
	s_add_u32 s20, s20, llvm.amdgcn.dynlds.offset.table@rel32@lo+4
	s_addc_u32 s21, s21, llvm.amdgcn.dynlds.offset.table@rel32@hi+12
	s_add_u32 s20, s8, s20
	s_addc_u32 s21, s9, s21
	s_waitcnt lgkmcnt(1)
	v_lshlrev_b32_e32 v3, 16, v6
	scratch_store_dword off, v3, s32 offset:524 ; 4-byte Folded Spill
	v_and_b32_e32 v3, 0xffff0000, v6
	scratch_store_dword off, v3, s32 offset:532 ; 4-byte Folded Spill
	v_lshlrev_b32_e32 v3, 16, v7
	scratch_store_dword off, v3, s32 offset:528 ; 4-byte Folded Spill
	v_and_b32_e32 v3, 0xffff0000, v7
	scratch_store_dword off, v3, s32 offset:536 ; 4-byte Folded Spill
	;; [unrolled: 4-line block ×4, first 2 shown]
	s_waitcnt lgkmcnt(0)
	v_lshlrev_b32_e32 v3, 16, v10
	scratch_store_dword off, v3, s32 offset:556 ; 4-byte Folded Spill
	v_and_b32_e32 v3, 0xffff0000, v10
	scratch_store_dword off, v3, s32 offset:560 ; 4-byte Folded Spill
	v_lshlrev_b32_e32 v3, 16, v11
	scratch_store_dword off, v3, s32 offset:564 ; 4-byte Folded Spill
	v_and_b32_e32 v3, 0xffff0000, v11
	scratch_store_dword off, v3, s32 offset:568 ; 4-byte Folded Spill
	v_lshlrev_b32_e32 v3, 16, v12
	scratch_store_dword off, v3, s32 offset:572 ; 4-byte Folded Spill
	v_and_b32_e32 v3, 0xffff0000, v12
	v_accvgpr_write_b32 a26, v3
	v_lshlrev_b32_e32 v3, 16, v13
	v_accvgpr_write_b32 a27, v3
	v_and_b32_e32 v3, 0xffff0000, v13
	ds_read_b128 v[6:9], v2 offset:160
	ds_read_b128 v[10:13], v2 offset:176
	v_accvgpr_write_b32 a28, v3
	s_mov_b64 s[22:23], 0
	s_movk_i32 s19, 0x1000
	s_waitcnt lgkmcnt(1)
	v_lshlrev_b32_e32 v3, 16, v6
	v_accvgpr_write_b32 a29, v3
	v_and_b32_e32 v3, 0xffff0000, v6
	v_accvgpr_write_b32 a30, v3
	v_lshlrev_b32_e32 v3, 16, v7
	v_accvgpr_write_b32 a31, v3
	v_and_b32_e32 v3, 0xffff0000, v7
	v_accvgpr_write_b32 a32, v3
	;; [unrolled: 4-line block ×4, first 2 shown]
	s_waitcnt lgkmcnt(0)
	v_lshlrev_b32_e32 v3, 16, v10
	v_accvgpr_write_b32 a37, v3
	v_and_b32_e32 v3, 0xffff0000, v10
	v_accvgpr_write_b32 a38, v3
	v_lshlrev_b32_e32 v3, 16, v11
	v_accvgpr_write_b32 a39, v3
	v_and_b32_e32 v3, 0xffff0000, v11
	v_accvgpr_write_b32 a40, v3
	;; [unrolled: 4-line block ×3, first 2 shown]
	v_lshlrev_b32_e32 v3, 16, v13
	v_accvgpr_write_b32 a43, v3
	v_and_b32_e32 v3, 0xffff0000, v13
	ds_read_b128 v[6:9], v2 offset:192
	ds_read_b128 v[10:13], v2 offset:208
	v_accvgpr_write_b32 a44, v3
	s_movk_i32 s26, 0x2000
	s_movk_i32 s27, 0x3000
	s_waitcnt lgkmcnt(1)
	v_lshlrev_b32_e32 v3, 16, v6
	v_accvgpr_write_b32 a45, v3
	v_and_b32_e32 v3, 0xffff0000, v6
	v_accvgpr_write_b32 a46, v3
	v_lshlrev_b32_e32 v3, 16, v7
	v_accvgpr_write_b32 a47, v3
	v_and_b32_e32 v3, 0xffff0000, v7
	v_accvgpr_write_b32 a48, v3
	;; [unrolled: 4-line block ×4, first 2 shown]
	s_waitcnt lgkmcnt(0)
	v_lshlrev_b32_e32 v3, 16, v10
	v_accvgpr_write_b32 a53, v3
	v_and_b32_e32 v3, 0xffff0000, v10
	v_accvgpr_write_b32 a54, v3
	v_lshlrev_b32_e32 v3, 16, v11
	v_accvgpr_write_b32 a55, v3
	v_and_b32_e32 v3, 0xffff0000, v11
	v_accvgpr_write_b32 a56, v3
	;; [unrolled: 4-line block ×3, first 2 shown]
	v_lshlrev_b32_e32 v3, 16, v13
	v_accvgpr_write_b32 a60, v3
	v_and_b32_e32 v3, 0xffff0000, v13
	ds_read_b128 v[6:9], v2 offset:224
	ds_read_b128 v[10:13], v2 offset:240
	v_accvgpr_write_b32 a61, v3
	scratch_store_dwordx2 off, v[0:1], s32 offset:632 ; 8-byte Folded Spill
	v_mbcnt_hi_u32_b32 v1, -1, v1
	s_waitcnt lgkmcnt(1)
	v_lshlrev_b32_e32 v2, 16, v6
	v_accvgpr_write_b32 a63, v2
	v_and_b32_e32 v2, 0xffff0000, v6
	v_accvgpr_write_b32 a10, v2
	v_lshlrev_b32_e32 v2, 16, v7
	v_accvgpr_write_b32 a11, v2
	v_and_b32_e32 v2, 0xffff0000, v7
	v_accvgpr_write_b32 a2, v2
	;; [unrolled: 4-line block ×4, first 2 shown]
	s_waitcnt lgkmcnt(0)
	v_lshlrev_b32_e32 v2, 16, v10
	v_accvgpr_write_b32 a9, v2
	v_and_b32_e32 v2, 0xffff0000, v10
	v_accvgpr_write_b32 a5, v2
	v_lshlrev_b32_e32 v2, 16, v11
	v_accvgpr_write_b32 a6, v2
	v_and_b32_e32 v2, 0xffff0000, v11
	v_accvgpr_write_b32 a7, v2
	;; [unrolled: 4-line block ×3, first 2 shown]
	v_lshlrev_b32_e32 v2, 16, v13
	v_accvgpr_write_b32 a1, v2
	v_and_b32_e32 v2, 0xffff0000, v13
	v_bfe_u32 v6, v30, 1, 5
	v_accvgpr_write_b32 a12, v2
	v_lshl_add_u64 v[2:3], v[52:53], 1, v[4:5]
	v_lshlrev_b32_e32 v4, 4, v6
	v_mov_b32_e32 v5, 0
	v_lshl_add_u64 v[2:3], v[2:3], 0, v[4:5]
	v_and_b32_e32 v4, 8, v28
	v_lshl_add_u64 v[2:3], v[2:3], 0, v[4:5]
	v_accvgpr_write_b32 a15, v3
	v_and_b32_e32 v0, 64, v1
	v_accvgpr_write_b32 a14, v2
	v_add_u32_e32 v2, 64, v0
	v_xor_b32_e32 v0, 1, v1
	v_cmp_lt_i32_e64 s[6:7], v0, v2
	v_and_b32_e32 v4, 60, v17
	scratch_store_dword off, v1, s32 offset:608 ; 4-byte Folded Spill
	v_cndmask_b32_e64 v0, v1, v0, s[6:7]
	v_lshlrev_b32_e32 v0, 2, v0
	v_accvgpr_write_b32 a13, v0
	scratch_load_dword v0, off, s32 offset:576 ; 4-byte Folded Reload
	v_mov_b32_e32 v21, v37
	scratch_store_dword off, v17, s32 offset:612 ; 4-byte Folded Spill
	v_lshl_or_b32 v17, v37, 5, v6
	scratch_store_dwordx2 off, v[52:53], s32 offset:596 ; 8-byte Folded Spill
	scratch_store_dword off, v2, s32 offset:604 ; 4-byte Folded Spill
	scratch_store_dwordx2 off, v[50:51], s32 offset:616 ; 8-byte Folded Spill
	scratch_store_dwordx2 off, v[38:39], s32 offset:640 ; 8-byte Folded Spill
	s_waitcnt vmcnt(5)
	v_cmp_neq_f32_e64 s[6:7], 0, v0
	v_lshl_add_u64 v[0:1], v[50:51], 2, v[4:5]
	v_lshl_add_u64 v[26:27], v[38:39], 0, v[0:1]
	v_lshlrev_b32_e32 v0, 2, v6
	v_lshl_or_b32 v32, v37, 7, v0
	v_mov_b32_e32 v0, 0xff7fffff
	scratch_store_dword off, v0, s32 offset:208 ; 4-byte Folded Spill
	scratch_store_dword off, v37, s32 offset:204 ; 4-byte Folded Spill
	s_branch .LBB162_9
.LBB162_8:                              ;   in Loop: Header=BB162_9 Depth=1
	s_or_b64 exec, exec, s[24:25]
	scratch_load_dword v0, off, s32 offset:192 ; 4-byte Folded Reload
	v_add_u32_e32 v21, 2, v21
	v_lshl_add_u64 v[26:27], v[26:27], 0, 8
	v_add_u32_e32 v17, 64, v17
	v_add_u32_e32 v32, 0x100, v32
	s_waitcnt vmcnt(0)
	v_cmp_ge_i32_e64 s[8:9], v21, v0
	s_or_b64 s[22:23], s[8:9], s[22:23]
	s_andn2_b64 exec, exec, s[22:23]
	s_cbranch_execz .LBB162_11
.LBB162_9:                              ; =>This Inner Loop Header: Depth=1
	flat_load_dword v0, v[26:27]
	scratch_load_dwordx2 v[2:3], off, s32 offset:196 ; 8-byte Folded Reload
	s_waitcnt vmcnt(0) lgkmcnt(0)
	v_mad_i64_i32 v[0:1], s[8:9], v0, v2, 0
	v_accvgpr_read_b32 v2, a14
	v_accvgpr_read_b32 v3, a15
	v_lshl_add_u64 v[22:23], v[0:1], 1, v[2:3]
	flat_load_dwordx2 v[12:13], v[22:23]
	flat_load_dwordx2 v[8:9], v[22:23] offset:512
	flat_load_dwordx2 v[18:19], v[22:23] offset:1024
	;; [unrolled: 1-line block ×7, first 2 shown]
	v_add_co_u32_e64 v24, s[8:9], s19, v22
	s_waitcnt vmcnt(0) lgkmcnt(0)
	v_lshlrev_b32_e32 v20, 16, v13
	v_addc_co_u32_e64 v25, s[8:9], 0, v23, s[8:9]
	flat_load_dwordx2 v[0:1], v[24:25]
	flat_load_dwordx2 v[2:3], v[24:25] offset:512
	flat_load_dwordx2 v[62:63], v[24:25] offset:1024
	;; [unrolled: 1-line block ×7, first 2 shown]
	v_add_co_u32_e64 v24, s[8:9], s26, v22
	v_and_b32_e32 v33, 0xffff0000, v13
	s_nop 0
	v_addc_co_u32_e64 v25, s[8:9], 0, v23, s[8:9]
	v_add_co_u32_e64 v14, s[8:9], s27, v22
	flat_load_dwordx2 v[42:43], v[24:25]
	flat_load_dwordx2 v[40:41], v[24:25] offset:512
	flat_load_dwordx2 v[54:55], v[24:25] offset:1024
	;; [unrolled: 1-line block ×7, first 2 shown]
	v_addc_co_u32_e64 v15, s[8:9], 0, v23, s[8:9]
	flat_load_dwordx2 v[34:35], v[14:15]
	flat_load_dwordx2 v[22:23], v[14:15] offset:512
	flat_load_dwordx2 v[24:25], v[14:15] offset:1024
	;; [unrolled: 1-line block ×7, first 2 shown]
	v_lshlrev_b32_e32 v14, 16, v12
	v_and_b32_e32 v15, 0xffff0000, v12
	v_lshlrev_b32_e32 v12, 16, v8
	v_and_b32_e32 v13, 0xffff0000, v8
	scratch_load_dword v8, off, s32 offset:248 ; 4-byte Folded Reload
	s_waitcnt vmcnt(0)
	v_mul_f32_e32 v8, v8, v12
	scratch_load_dword v12, off, s32 offset:216 ; 4-byte Folded Reload
	s_waitcnt vmcnt(0)
	v_fmac_f32_e32 v8, v12, v14
	scratch_load_dword v12, off, s32 offset:256 ; 4-byte Folded Reload
	v_and_b32_e32 v14, 0xffff0000, v9
	s_waitcnt vmcnt(0)
	v_mul_f32_e32 v12, v12, v13
	scratch_load_dword v13, off, s32 offset:224 ; 4-byte Folded Reload
	s_waitcnt vmcnt(0)
	v_fmac_f32_e32 v12, v13, v15
	v_lshlrev_b32_e32 v13, 16, v9
	scratch_load_dword v9, off, s32 offset:264 ; 4-byte Folded Reload
	v_and_b32_e32 v15, 0xffff0000, v18
	s_waitcnt vmcnt(0)
	v_mul_f32_e32 v9, v9, v13
	scratch_load_dword v13, off, s32 offset:232 ; 4-byte Folded Reload
	s_waitcnt vmcnt(0)
	v_fmac_f32_e32 v9, v13, v20
	scratch_load_dword v13, off, s32 offset:272 ; 4-byte Folded Reload
	s_waitcnt vmcnt(0)
	v_mul_f32_e32 v13, v13, v14
	scratch_load_dword v14, off, s32 offset:240 ; 4-byte Folded Reload
	s_waitcnt vmcnt(0)
	v_fmac_f32_e32 v13, v14, v33
	v_lshlrev_b32_e32 v14, 16, v18
	scratch_load_dword v18, off, s32 offset:280 ; 4-byte Folded Reload
	s_waitcnt vmcnt(0)
	v_fmac_f32_e32 v8, v18, v14
	scratch_load_dword v14, off, s32 offset:288 ; 4-byte Folded Reload
	scratch_load_dword v18, off, s32 offset:296 ; 4-byte Folded Reload
	s_waitcnt vmcnt(0)
	v_fmac_f32_e32 v12, v14, v15
	v_lshlrev_b32_e32 v14, 16, v19
	v_fmac_f32_e32 v9, v18, v14
	scratch_load_dword v14, off, s32 offset:304 ; 4-byte Folded Reload
	v_and_b32_e32 v15, 0xffff0000, v19
	s_waitcnt vmcnt(0)
	v_fmac_f32_e32 v13, v14, v15
	scratch_load_dword v15, off, s32 offset:312 ; 4-byte Folded Reload
	v_lshlrev_b32_e32 v14, 16, v4
	v_and_b32_e32 v4, 0xffff0000, v4
	s_waitcnt vmcnt(0)
	v_fmac_f32_e32 v8, v15, v14
	scratch_load_dword v14, off, s32 offset:316 ; 4-byte Folded Reload
	s_waitcnt vmcnt(0)
	v_fmac_f32_e32 v12, v14, v4
	scratch_load_dword v14, off, s32 offset:320 ; 4-byte Folded Reload
	v_lshlrev_b32_e32 v4, 16, v5
	v_and_b32_e32 v5, 0xffff0000, v5
	s_waitcnt vmcnt(0)
	v_fmac_f32_e32 v9, v14, v4
	scratch_load_dword v4, off, s32 offset:324 ; 4-byte Folded Reload
	scratch_load_dword v14, off, s32 offset:328 ; 4-byte Folded Reload
	s_waitcnt vmcnt(0)
	v_fmac_f32_e32 v13, v4, v5
	v_lshlrev_b32_e32 v4, 16, v30
	v_fmac_f32_e32 v8, v14, v4
	scratch_load_dword v4, off, s32 offset:332 ; 4-byte Folded Reload
	scratch_load_dword v14, off, s32 offset:336 ; 4-byte Folded Reload
	v_and_b32_e32 v5, 0xffff0000, v30
	s_waitcnt vmcnt(0)
	v_fmac_f32_e32 v12, v4, v5
	v_lshlrev_b32_e32 v4, 16, v31
	v_fmac_f32_e32 v9, v14, v4
	scratch_load_dword v4, off, s32 offset:340 ; 4-byte Folded Reload
	v_and_b32_e32 v5, 0xffff0000, v31
	s_waitcnt vmcnt(0)
	v_fmac_f32_e32 v13, v4, v5
	v_lshlrev_b32_e32 v4, 16, v10
	v_and_b32_e32 v5, 0xffff0000, v10
	scratch_load_dword v10, off, s32 offset:344 ; 4-byte Folded Reload
	s_waitcnt vmcnt(0)
	v_fmac_f32_e32 v8, v10, v4
	scratch_load_dword v4, off, s32 offset:348 ; 4-byte Folded Reload
	scratch_load_dword v10, off, s32 offset:352 ; 4-byte Folded Reload
	s_waitcnt vmcnt(0)
	v_fmac_f32_e32 v12, v4, v5
	v_lshlrev_b32_e32 v4, 16, v11
	v_fmac_f32_e32 v9, v10, v4
	scratch_load_dword v4, off, s32 offset:356 ; 4-byte Folded Reload
	v_and_b32_e32 v5, 0xffff0000, v11
	s_waitcnt vmcnt(0)
	v_fmac_f32_e32 v13, v4, v5
	v_lshlrev_b32_e32 v4, 16, v6
	v_and_b32_e32 v5, 0xffff0000, v6
	scratch_load_dword v6, off, s32 offset:360 ; 4-byte Folded Reload
	s_waitcnt vmcnt(0)
	v_fmac_f32_e32 v8, v6, v4
	scratch_load_dword v4, off, s32 offset:364 ; 4-byte Folded Reload
	scratch_load_dword v6, off, s32 offset:368 ; 4-byte Folded Reload
	s_waitcnt vmcnt(0)
	v_fmac_f32_e32 v12, v4, v5
	v_lshlrev_b32_e32 v4, 16, v7
	v_fmac_f32_e32 v9, v6, v4
	scratch_load_dword v4, off, s32 offset:372 ; 4-byte Folded Reload
	scratch_load_dword v6, off, s32 offset:376 ; 4-byte Folded Reload
	v_and_b32_e32 v5, 0xffff0000, v7
	s_waitcnt vmcnt(0)
	v_fmac_f32_e32 v13, v4, v5
	v_lshlrev_b32_e32 v4, 16, v28
	v_fmac_f32_e32 v8, v6, v4
	scratch_load_dword v4, off, s32 offset:380 ; 4-byte Folded Reload
	scratch_load_dword v6, off, s32 offset:384 ; 4-byte Folded Reload
	v_and_b32_e32 v5, 0xffff0000, v28
	s_waitcnt vmcnt(0)
	v_fmac_f32_e32 v12, v4, v5
	v_lshlrev_b32_e32 v4, 16, v29
	v_fmac_f32_e32 v9, v6, v4
	scratch_load_dword v4, off, s32 offset:388 ; 4-byte Folded Reload
	v_and_b32_e32 v5, 0xffff0000, v29
	s_waitcnt vmcnt(0)
	v_fmac_f32_e32 v13, v4, v5
	scratch_load_dword v5, off, s32 offset:392 ; 4-byte Folded Reload
	s_waitcnt lgkmcnt(0)
	v_lshlrev_b32_e32 v4, 16, v0
	v_and_b32_e32 v0, 0xffff0000, v0
	s_waitcnt vmcnt(0)
	v_fmac_f32_e32 v8, v5, v4
	scratch_load_dword v4, off, s32 offset:396 ; 4-byte Folded Reload
	s_waitcnt vmcnt(0)
	v_fmac_f32_e32 v12, v4, v0
	scratch_load_dword v4, off, s32 offset:400 ; 4-byte Folded Reload
	v_lshlrev_b32_e32 v0, 16, v1
	v_and_b32_e32 v1, 0xffff0000, v1
	s_waitcnt vmcnt(0)
	v_fmac_f32_e32 v9, v4, v0
	scratch_load_dword v0, off, s32 offset:404 ; 4-byte Folded Reload
	s_waitcnt vmcnt(0)
	v_fmac_f32_e32 v13, v0, v1
	v_lshlrev_b32_e32 v0, 16, v2
	v_and_b32_e32 v1, 0xffff0000, v2
	scratch_load_dword v2, off, s32 offset:408 ; 4-byte Folded Reload
	s_waitcnt vmcnt(0)
	v_fmac_f32_e32 v8, v2, v0
	scratch_load_dword v0, off, s32 offset:412 ; 4-byte Folded Reload
	scratch_load_dword v2, off, s32 offset:416 ; 4-byte Folded Reload
	s_waitcnt vmcnt(1)
	v_fmac_f32_e32 v12, v0, v1
	v_lshlrev_b32_e32 v0, 16, v3
	s_waitcnt vmcnt(0)
	v_fmac_f32_e32 v9, v2, v0
	scratch_load_dword v0, off, s32 offset:420 ; 4-byte Folded Reload
	scratch_load_dword v2, off, s32 offset:424 ; 4-byte Folded Reload
	v_and_b32_e32 v1, 0xffff0000, v3
	s_waitcnt vmcnt(1)
	v_fmac_f32_e32 v13, v0, v1
	v_lshlrev_b32_e32 v0, 16, v62
	s_waitcnt vmcnt(0)
	v_fmac_f32_e32 v8, v2, v0
	scratch_load_dword v0, off, s32 offset:428 ; 4-byte Folded Reload
	scratch_load_dword v2, off, s32 offset:432 ; 4-byte Folded Reload
	v_and_b32_e32 v1, 0xffff0000, v62
	;; [unrolled: 8-line block ×19, first 2 shown]
	s_waitcnt vmcnt(1)
	v_fmac_f32_e32 v13, v0, v1
	v_lshlrev_b32_e32 v0, 16, v52
	v_and_b32_e32 v1, 0xffff0000, v52
	s_waitcnt vmcnt(0)
	v_fmac_f32_e32 v8, v2, v0
	v_accvgpr_read_b32 v0, a26
	v_fmac_f32_e32 v12, v0, v1
	v_lshlrev_b32_e32 v0, 16, v53
	v_accvgpr_read_b32 v2, a27
	v_and_b32_e32 v1, 0xffff0000, v53
	v_fmac_f32_e32 v9, v2, v0
	v_accvgpr_read_b32 v0, a28
	v_fmac_f32_e32 v13, v0, v1
	v_lshlrev_b32_e32 v0, 16, v50
	v_accvgpr_read_b32 v2, a29
	v_and_b32_e32 v1, 0xffff0000, v50
	;; [unrolled: 6-line block ×15, first 2 shown]
	v_fmac_f32_e32 v9, v2, v0
	v_accvgpr_read_b32 v0, a56
	v_accvgpr_read_b32 v2, a24
	v_fmac_f32_e32 v13, v0, v1
	v_lshlrev_b32_e32 v0, 16, v2
	v_and_b32_e32 v1, 0xffff0000, v2
	v_accvgpr_read_b32 v2, a58
	v_accvgpr_read_b32 v3, a25
	v_fmac_f32_e32 v8, v2, v0
	v_accvgpr_read_b32 v0, a59
	v_fmac_f32_e32 v12, v0, v1
	v_lshlrev_b32_e32 v0, 16, v3
	v_accvgpr_read_b32 v2, a60
	v_and_b32_e32 v1, 0xffff0000, v3
	v_fmac_f32_e32 v9, v2, v0
	v_accvgpr_read_b32 v0, a61
	v_accvgpr_read_b32 v2, a22
	v_fmac_f32_e32 v13, v0, v1
	v_lshlrev_b32_e32 v0, 16, v2
	v_and_b32_e32 v1, 0xffff0000, v2
	v_accvgpr_read_b32 v2, a63
	v_accvgpr_read_b32 v3, a23
	v_fmac_f32_e32 v8, v2, v0
	v_accvgpr_read_b32 v0, a10
	v_fmac_f32_e32 v12, v0, v1
	v_lshlrev_b32_e32 v0, 16, v3
	v_accvgpr_read_b32 v2, a11
	v_and_b32_e32 v1, 0xffff0000, v3
	;; [unrolled: 14-line block ×5, first 2 shown]
	v_fmac_f32_e32 v9, v2, v0
	v_accvgpr_read_b32 v0, a12
	v_fmac_f32_e32 v13, v0, v1
	v_add_f32_e32 v0, v8, v12
	v_add_f32_e32 v0, v0, v9
	v_add_f32_e32 v0, v13, v0
	v_accvgpr_read_b32 v1, a13
	ds_bpermute_b32 v1, v1, v0
	s_and_saveexec_b64 s[24:25], vcc
	s_cbranch_execz .LBB162_8
; %bb.10:                               ;   in Loop: Header=BB162_9 Depth=1
	scratch_load_dword v3, off, s32 offset:576 ; 4-byte Folded Reload
	v_sub_u32_e32 v2, 1, v16
	v_add_u32_e32 v2, v2, v17
	v_cvt_f32_i32_e32 v2, v2
	s_load_dword s8, s[20:21], 0x0
	s_waitcnt lgkmcnt(0)
	v_add_f32_e32 v0, v0, v1
	v_add_u32_e32 v1, s8, v32
	v_cmp_lt_i32_e64 s[8:9], v17, v16
	s_waitcnt vmcnt(0)
	v_mul_f32_e32 v2, v3, v2
	scratch_load_dword v3, off, s32 offset:580 ; 4-byte Folded Reload
	v_cndmask_b32_e64 v2, 0, v2, s[6:7]
	s_waitcnt vmcnt(0)
	v_fmac_f32_e32 v2, v0, v3
	v_cndmask_b32_e64 v0, 0, v2, s[8:9]
	ds_write_b32 v1, v0
	scratch_load_dword v1, off, s32 offset:208 ; 4-byte Folded Reload
	s_waitcnt vmcnt(0)
	v_max_f32_e32 v0, v1, v1
	v_max_f32_e32 v0, v0, v2
	v_cndmask_b32_e64 v1, v1, v0, s[8:9]
	scratch_store_dword off, v1, s32 offset:208 ; 4-byte Folded Spill
	s_branch .LBB162_8
.LBB162_11:
	s_or_b64 exec, exec, s[22:23]
	scratch_load_dword v30, off, s32 offset:584 ; 4-byte Folded Reload
	scratch_load_dword v37, off, s32 offset:204 ; 4-byte Folded Reload
	scratch_load_dwordx2 v[38:39], off, s32 offset:640 ; 8-byte Folded Reload
	scratch_load_dwordx2 v[48:49], off, s32 offset:624 ; 8-byte Folded Reload
	;; [unrolled: 1-line block ×4, first 2 shown]
	scratch_load_dword v17, off, s32 offset:612 ; 4-byte Folded Reload
	scratch_load_dwordx2 v[52:53], off, s32 offset:596 ; 8-byte Folded Reload
	scratch_load_dword v8, off, s32 offset:608 ; 4-byte Folded Reload
	scratch_load_dword v9, off, s32 offset:604 ; 4-byte Folded Reload
	;; [unrolled: 1-line block ×3, first 2 shown]
.LBB162_12:
	s_or_b64 exec, exec, s[10:11]
	s_waitcnt vmcnt(2)
	v_xor_b32_e32 v0, 32, v8
	s_waitcnt vmcnt(1)
	v_cmp_lt_i32_e32 vcc, v0, v9
	s_waitcnt vmcnt(0)
	v_max_f32_e32 v2, v3, v3
	v_xor_b32_e32 v4, 8, v8
	v_cndmask_b32_e32 v0, v8, v0, vcc
	v_lshlrev_b32_e32 v0, 2, v0
	s_waitcnt lgkmcnt(0)
	ds_bpermute_b32 v1, v0, v3
	v_xor_b32_e32 v3, 16, v8
	v_cmp_lt_i32_e32 vcc, v3, v9
	v_xor_b32_e32 v5, 4, v8
	v_xor_b32_e32 v6, 2, v8
	s_waitcnt lgkmcnt(0)
	v_max_f32_e32 v1, v1, v1
	v_max_f32_e32 v2, v2, v1
	v_cndmask_b32_e32 v1, v8, v3, vcc
	v_lshlrev_b32_e32 v1, 2, v1
	ds_bpermute_b32 v3, v1, v2
	v_cmp_lt_i32_e32 vcc, v4, v9
	v_and_b32_e32 v31, 63, v30
	s_lshr_b32 s17, s17, 16
	s_waitcnt lgkmcnt(0)
	v_max_f32_e32 v3, v3, v3
	v_max_f32_e32 v2, v2, v3
	v_cndmask_b32_e32 v3, v8, v4, vcc
	v_lshlrev_b32_e32 v3, 2, v3
	ds_bpermute_b32 v4, v3, v2
	v_cmp_lt_i32_e32 vcc, v5, v9
	s_waitcnt lgkmcnt(0)
	v_max_f32_e32 v4, v4, v4
	v_max_f32_e32 v2, v2, v4
	v_cndmask_b32_e32 v4, v8, v5, vcc
	v_lshlrev_b32_e32 v4, 2, v4
	ds_bpermute_b32 v5, v4, v2
	v_cmp_lt_i32_e32 vcc, v6, v9
	s_waitcnt lgkmcnt(0)
	v_max_f32_e32 v5, v5, v5
	v_max_f32_e32 v2, v2, v5
	v_cndmask_b32_e32 v5, v8, v6, vcc
	v_lshlrev_b32_e32 v29, 2, v5
	ds_bpermute_b32 v6, v29, v2
	v_cmp_eq_u32_e32 vcc, 0, v31
	v_lshlrev_b32_e32 v5, 2, v37
	s_and_saveexec_b64 s[6:7], vcc
	s_cbranch_execz .LBB162_14
; %bb.13:
	s_waitcnt lgkmcnt(0)
	v_max_f32_e32 v6, v6, v6
	v_max_f32_e32 v2, v2, v2
	;; [unrolled: 1-line block ×3, first 2 shown]
	ds_write_b32 v5, v2 offset:512
.LBB162_14:
	s_or_b64 exec, exec, s[6:7]
	v_cmp_gt_u32_e64 s[6:7], 2, v31
	v_mov_b32_e32 v2, 0xff7fffff
	s_waitcnt lgkmcnt(0)
	v_lshlrev_b32_e32 v6, 2, v31
	s_barrier
	s_and_saveexec_b64 s[8:9], s[6:7]
	s_cbranch_execz .LBB162_16
; %bb.15:
	ds_read_b32 v2, v6 offset:512
.LBB162_16:
	s_or_b64 exec, exec, s[8:9]
	v_xor_b32_e32 v7, 1, v8
	v_cmp_lt_i32_e64 s[8:9], v7, v9
	v_mov_b32_e32 v9, 0
	s_nop 0
	v_cndmask_b32_e64 v7, v8, v7, s[8:9]
	v_lshlrev_b32_e32 v35, 2, v7
	s_waitcnt lgkmcnt(0)
	ds_bpermute_b32 v7, v35, v2
	v_max_f32_e32 v2, v2, v2
	v_lshlrev_b32_e32 v8, 2, v8
	s_waitcnt lgkmcnt(0)
	v_max_f32_e32 v7, v7, v7
	v_max_f32_e32 v2, v2, v7
	v_and_b32_e32 v7, 0xffffff00, v8
	ds_bpermute_b32 v8, v7, v2
	scratch_load_dword v2, off, s32 offset:192 ; 4-byte Folded Reload
	s_waitcnt vmcnt(0)
	v_lshlrev_b32_e32 v2, 5, v2
	v_min_i32_e32 v2, v2, v16
	v_cmp_lt_i32_e64 s[8:9], v30, v2
	s_and_saveexec_b64 s[20:21], s[8:9]
	s_cbranch_execz .LBB162_20
; %bb.17:
	s_ashr_i32 s19, s18, 31
	s_lshl_b64 s[10:11], s[18:19], 2
	s_getpc_b64 s[22:23]
	s_add_u32 s22, s22, llvm.amdgcn.dynlds.offset.table@rel32@lo+4
	s_addc_u32 s23, s23, llvm.amdgcn.dynlds.offset.table@rel32@hi+12
	s_add_u32 s10, s10, s22
	s_addc_u32 s11, s11, s23
	s_load_dword s10, s[10:11], 0x0
	s_mov_b64 s[22:23], 0
	v_mov_b32_e32 v9, 0
	v_mov_b32_e32 v11, v30
	s_waitcnt lgkmcnt(0)
	v_lshl_add_u32 v10, v30, 2, s10
.LBB162_18:                             ; =>This Inner Loop Header: Depth=1
	ds_read_b32 v12, v10
	v_add_u32_e32 v11, 0x80, v11
	v_cmp_ge_i32_e64 s[10:11], v11, v2
	s_or_b64 s[22:23], s[10:11], s[22:23]
	s_waitcnt lgkmcnt(0)
	v_sub_f32_e32 v12, v12, v8
	v_mul_f32_e32 v12, 0x3fb8aa3b, v12
	v_exp_f32_e32 v12, v12
	ds_write_b32 v10, v12
	v_add_f32_e32 v9, v9, v12
	v_add_u32_e32 v10, 0x200, v10
	s_andn2_b64 exec, exec, s[22:23]
	s_cbranch_execnz .LBB162_18
; %bb.19:
	s_or_b64 exec, exec, s[22:23]
.LBB162_20:
	s_or_b64 exec, exec, s[20:21]
	ds_bpermute_b32 v0, v0, v9
	s_waitcnt lgkmcnt(0)
	v_add_f32_e32 v0, v9, v0
	ds_bpermute_b32 v1, v1, v0
	s_waitcnt lgkmcnt(0)
	v_add_f32_e32 v0, v0, v1
	;; [unrolled: 3-line block ×6, first 2 shown]
	s_and_saveexec_b64 s[10:11], vcc
	s_cbranch_execz .LBB162_22
; %bb.21:
	ds_write_b32 v5, v0 offset:520
.LBB162_22:
	s_or_b64 exec, exec, s[10:11]
	s_waitcnt lgkmcnt(0)
	s_barrier
	s_and_saveexec_b64 s[10:11], s[6:7]
	s_cbranch_execz .LBB162_24
; %bb.23:
	ds_read_b32 v0, v6 offset:520
.LBB162_24:
	s_or_b64 exec, exec, s[10:11]
	s_waitcnt lgkmcnt(0)
	ds_bpermute_b32 v1, v35, v0
	s_waitcnt lgkmcnt(0)
	v_add_f32_e32 v0, v0, v1
	ds_bpermute_b32 v0, v7, v0
	s_and_saveexec_b64 s[6:7], s[8:9]
	s_cbranch_execz .LBB162_37
; %bb.25:
	s_waitcnt lgkmcnt(0)
	v_add_f32_e32 v0, 0x358637bd, v0
	v_div_scale_f32 v1, s[8:9], v0, v0, 1.0
	v_rcp_f32_e32 v3, v1
	v_div_scale_f32 v4, vcc, 1.0, v0, 1.0
	s_movk_i32 s8, 0x7f
	v_fma_f32 v5, -v1, v3, 1.0
	v_fmac_f32_e32 v3, v5, v3
	v_mul_f32_e32 v5, v4, v3
	v_fma_f32 v6, -v1, v5, v4
	v_fmac_f32_e32 v5, v6, v3
	v_fma_f32 v1, -v1, v5, v4
	v_div_fmas_f32 v1, v1, v3, v5
	v_xad_u32 v3, v30, -1, v2
	v_div_fixup_f32 v0, v1, v0, 1.0
	v_cmp_lt_u32_e32 vcc, s8, v3
	s_mov_b64 s[10:11], -1
	v_mov_b32_e32 v1, v30
	s_and_saveexec_b64 s[8:9], vcc
	s_cbranch_execz .LBB162_34
; %bb.26:
	v_lshrrev_b32_e32 v3, 7, v3
	v_add_u32_e32 v5, -1, v3
	v_lshrrev_b32_e32 v4, 1, v5
	v_mov_b32_e32 v1, v0
	v_add_u32_e32 v4, 1, v4
	v_cmp_lt_u32_e32 vcc, 13, v5
	v_mov_b32_e32 v7, 0
	s_and_saveexec_b64 s[10:11], vcc
	s_cbranch_execz .LBB162_30
; %bb.27:
	s_ashr_i32 s19, s18, 31
	s_lshl_b64 s[20:21], s[18:19], 2
	s_getpc_b64 s[22:23]
	s_add_u32 s22, s22, llvm.amdgcn.dynlds.offset.table@rel32@lo+4
	s_addc_u32 s23, s23, llvm.amdgcn.dynlds.offset.table@rel32@hi+12
	s_add_u32 s20, s20, s22
	s_addc_u32 s21, s21, s23
	s_load_dword s20, s[20:21], 0x0
	v_and_b32_e32 v5, -8, v4
	s_mov_b32 s19, 0
	s_waitcnt lgkmcnt(0)
	v_lshl_add_u32 v6, v30, 2, s20
	s_mov_b64 s[20:21], 0
.LBB162_28:                             ; =>This Inner Loop Header: Depth=1
	ds_read2st64_b32 v[8:9], v6 offset1:2
	ds_read2st64_b32 v[10:11], v6 offset0:4 offset1:6
	ds_read2st64_b32 v[12:13], v6 offset0:8 offset1:10
	;; [unrolled: 1-line block ×3, first 2 shown]
	v_add_u32_e32 v5, -8, v5
	s_waitcnt lgkmcnt(3)
	v_pk_mul_f32 v[8:9], v[0:1], v[8:9]
	s_waitcnt lgkmcnt(2)
	v_pk_mul_f32 v[10:11], v[0:1], v[10:11]
	ds_write2st64_b32 v6, v8, v9 offset1:2
	ds_write2st64_b32 v6, v10, v11 offset0:4 offset1:6
	ds_read2st64_b32 v[10:11], v6 offset0:16 offset1:18
	s_waitcnt lgkmcnt(4)
	v_pk_mul_f32 v[8:9], v[0:1], v[12:13]
	ds_write2st64_b32 v6, v8, v9 offset0:8 offset1:10
	s_waitcnt lgkmcnt(4)
	v_pk_mul_f32 v[8:9], v[0:1], v[14:15]
	ds_write2st64_b32 v6, v8, v9 offset0:12 offset1:14
	ds_read2st64_b32 v[8:9], v6 offset0:20 offset1:22
	s_waitcnt lgkmcnt(3)
	v_pk_mul_f32 v[10:11], v[0:1], v[10:11]
	ds_read2st64_b32 v[12:13], v6 offset0:24 offset1:26
	ds_write2st64_b32 v6, v10, v11 offset0:16 offset1:18
	ds_read2st64_b32 v[10:11], v6 offset0:28 offset1:30
	s_waitcnt lgkmcnt(3)
	v_pk_mul_f32 v[8:9], v[0:1], v[8:9]
	ds_write2st64_b32 v6, v8, v9 offset0:20 offset1:22
	s_waitcnt lgkmcnt(3)
	v_pk_mul_f32 v[8:9], v[0:1], v[12:13]
	ds_write2st64_b32 v6, v8, v9 offset0:24 offset1:26
	s_waitcnt lgkmcnt(2)
	v_pk_mul_f32 v[8:9], v[0:1], v[10:11]
	s_add_i32 s19, s19, 16
	v_cmp_eq_u32_e32 vcc, 0, v5
	ds_write2st64_b32 v6, v8, v9 offset0:28 offset1:30
	v_add_u32_e32 v6, 0x2000, v6
	s_or_b64 s[20:21], vcc, s[20:21]
	v_mov_b32_e32 v7, s19
	s_andn2_b64 exec, exec, s[20:21]
	s_cbranch_execnz .LBB162_28
; %bb.29:
	s_or_b64 exec, exec, s[20:21]
.LBB162_30:
	s_or_b64 exec, exec, s[10:11]
	v_and_b32_e32 v4, 7, v4
	v_cmp_ne_u32_e32 vcc, 0, v4
	s_and_saveexec_b64 s[10:11], vcc
	s_cbranch_execz .LBB162_33
; %bb.31:
	s_ashr_i32 s19, s18, 31
	s_lshl_b64 s[20:21], s[18:19], 2
	s_getpc_b64 s[22:23]
	s_add_u32 s22, s22, llvm.amdgcn.dynlds.offset.table@rel32@lo+4
	s_addc_u32 s23, s23, llvm.amdgcn.dynlds.offset.table@rel32@hi+12
	s_add_u32 s20, s20, s22
	s_addc_u32 s21, s21, s23
	s_load_dword s19, s[20:21], 0x0
	v_lshlrev_b32_e32 v5, 9, v7
	v_lshlrev_b32_e32 v6, 2, v30
	s_mov_b64 s[20:21], 0
	s_waitcnt lgkmcnt(0)
	v_add3_u32 v5, v5, v6, s19
.LBB162_32:                             ; =>This Inner Loop Header: Depth=1
	ds_read2st64_b32 v[6:7], v5 offset1:2
	v_add_u32_e32 v4, -1, v4
	v_cmp_eq_u32_e32 vcc, 0, v4
	s_or_b64 s[20:21], vcc, s[20:21]
	s_waitcnt lgkmcnt(0)
	v_pk_mul_f32 v[6:7], v[0:1], v[6:7]
	ds_write2st64_b32 v5, v6, v7 offset1:2
	v_add_u32_e32 v5, 0x400, v5
	s_andn2_b64 exec, exec, s[20:21]
	s_cbranch_execnz .LBB162_32
.LBB162_33:
	s_or_b64 exec, exec, s[10:11]
	v_add_u32_e32 v3, 1, v3
	v_and_b32_e32 v4, 0x3fffffe, v3
	v_cmp_ne_u32_e32 vcc, v3, v4
	v_lshl_add_u32 v1, v4, 7, v30
	s_orn2_b64 s[10:11], vcc, exec
.LBB162_34:
	s_or_b64 exec, exec, s[8:9]
	s_and_b64 exec, exec, s[10:11]
	s_cbranch_execz .LBB162_37
; %bb.35:
	s_ashr_i32 s19, s18, 31
	s_lshl_b64 s[8:9], s[18:19], 2
	s_getpc_b64 s[10:11]
	s_add_u32 s10, s10, llvm.amdgcn.dynlds.offset.table@rel32@lo+4
	s_addc_u32 s11, s11, llvm.amdgcn.dynlds.offset.table@rel32@hi+12
	s_add_u32 s8, s8, s10
	s_addc_u32 s9, s9, s11
	s_load_dword s8, s[8:9], 0x0
	s_waitcnt lgkmcnt(0)
	v_lshl_add_u32 v3, v1, 2, s8
	s_mov_b64 s[8:9], 0
.LBB162_36:                             ; =>This Inner Loop Header: Depth=1
	ds_read_b32 v4, v3
	v_add_u32_e32 v1, 0x80, v1
	v_cmp_ge_i32_e32 vcc, v1, v2
	s_or_b64 s[8:9], vcc, s[8:9]
	s_waitcnt lgkmcnt(0)
	v_mul_f32_e32 v4, v0, v4
	ds_write_b32 v3, v4
	v_add_u32_e32 v3, 0x200, v3
	s_andn2_b64 exec, exec, s[8:9]
	s_cbranch_execnz .LBB162_36
.LBB162_37:
	s_or_b64 exec, exec, s[6:7]
	v_mov_b32_e32 v32, 0
	v_and_b32_e32 v34, 3, v30
	v_mov_b32_e32 v33, 0
	v_mov_b32_e32 v26, 0
	;; [unrolled: 1-line block ×9, first 2 shown]
	s_waitcnt lgkmcnt(0)
	v_mov_b32_e32 v0, 0
	v_mov_b32_e32 v1, 0
	;; [unrolled: 1-line block ×6, first 2 shown]
	s_barrier
	s_and_saveexec_b64 s[6:7], s[4:5]
	s_cbranch_execz .LBB162_617
; %bb.38:
	scratch_store_dword off, v35, s32 offset:472 ; 4-byte Folded Spill
	scratch_store_dword off, v29, s32 offset:480 ; 4-byte Folded Spill
	;; [unrolled: 1-line block ×3, first 2 shown]
	scratch_load_dword v0, off, s32 offset:192 ; 4-byte Folded Reload
	v_lshl_add_u64 v[2:3], v[52:53], 1, v[48:49]
	v_and_b32_e32 v1, 24, v28
	scratch_store_dwordx2 off, v[2:3], s32 offset:464 ; 8-byte Folded Spill
	v_lshlrev_b32_e32 v3, 5, v37
	v_mov_b32_e32 v31, 0
	v_and_b32_e32 v30, 60, v17
	v_or3_b32 v19, v3, v1, 7
	v_lshlrev_b32_e32 v1, 5, v34
	v_or_b32_e32 v26, 0x1e00, v28
	v_lshl_or_b32 v1, v37, 7, v1
	s_ashr_i32 s19, s18, 31
	s_lshl_b64 s[4:5], s[18:19], 2
	s_getpc_b64 s[8:9]
	s_add_u32 s8, s8, llvm.amdgcn.dynlds.offset.table@rel32@lo+4
	s_addc_u32 s9, s9, llvm.amdgcn.dynlds.offset.table@rel32@hi+12
	s_add_u32 s4, s4, s8
	s_addc_u32 s5, s5, s9
	s_load_dword s4, s[4:5], 0x0
	s_mov_b64 s[8:9], 0
	s_mov_b32 s19, 0x7f800000
	s_movk_i32 s20, 0x7fff
	v_mov_b32_e32 v13, v31
	s_waitcnt lgkmcnt(0)
	v_add_u32_e32 v62, s4, v1
	v_mov_b32_e32 v15, v31
	v_mov_b32_e32 v21, v31
	;; [unrolled: 1-line block ×7, first 2 shown]
	scratch_store_dword off, v34, s32 offset:484 ; 4-byte Folded Spill
	s_waitcnt vmcnt(2)
	v_add_u32_e32 v0, -1, v0
	scratch_store_dword off, v0, s32 offset:460 ; 4-byte Folded Spill
	v_and_b32_e32 v0, 0x1f8, v28
	v_or_b32_e32 v2, 0x800, v0
	v_or_b32_e32 v4, 0xa00, v0
	;; [unrolled: 1-line block ×11, first 2 shown]
	v_lshl_add_u64 v[28:29], v[50:51], 2, v[30:31]
	v_lshlrev_b32_e32 v30, 1, v0
	v_lshlrev_b32_e32 v0, 1, v2
	scratch_store_dwordx2 off, v[0:1], s32 offset:208 ; 8-byte Folded Spill
	v_lshlrev_b32_e32 v0, 1, v4
	scratch_store_dwordx2 off, v[0:1], s32 offset:216 ; 8-byte Folded Spill
	;; [unrolled: 2-line block ×10, first 2 shown]
	v_lshlrev_b32_e32 v0, 1, v24
	v_lshl_add_u64 v[28:29], v[38:39], 0, v[28:29]
	scratch_store_dwordx2 off, v[0:1], s32 offset:288 ; 8-byte Folded Spill
	v_lshlrev_b32_e32 v0, 1, v26
	v_mov_b64_e32 v[4:5], v[28:29]
	scratch_store_dwordx2 off, v[0:1], s32 offset:296 ; 8-byte Folded Spill
	v_mov_b32_e32 v12, v31
	v_mov_b32_e32 v14, v31
	;; [unrolled: 1-line block ×8, first 2 shown]
	s_branch .LBB162_40
.LBB162_39:                             ;   in Loop: Header=BB162_40 Depth=1
	s_or_b64 exec, exec, s[4:5]
	v_and_b32_e32 v36, 0xffff0000, v55
	v_and_b32_e32 v37, 0xffff0000, v54
	v_add_f32_e32 v36, v37, v36
	v_and_b32_e32 v10, 0xffff0000, v10
	v_and_b32_e32 v37, 0xffff0000, v40
	v_add_f32_e32 v10, v37, v10
	v_add_f32_e32 v10, v36, v10
	v_and_b32_e32 v36, 0xffff0000, v41
	v_and_b32_e32 v11, 0xffff0000, v11
	v_add_f32_e32 v11, v11, v36
	v_add_f32_e32 v10, v10, v11
	v_and_b32_e32 v11, 0xffff0000, v42
	v_and_b32_e32 v36, 0xffff0000, v43
	v_add_f32_e32 v11, v11, v36
	v_add_f32_e32 v10, v10, v11
	v_add_f32_e32 v12, v12, v10
	v_and_b32_e32 v9, 0xffff0000, v9
	v_and_b32_e32 v10, 0xffff0000, v57
	v_add_f32_e32 v9, v10, v9
	v_and_b32_e32 v8, 0xffff0000, v8
	v_and_b32_e32 v10, 0xffff0000, v49
	v_add_f32_e32 v8, v10, v8
	v_add_f32_e32 v8, v9, v8
	v_and_b32_e32 v9, 0xffff0000, v51
	v_and_b32_e32 v10, 0xffff0000, v50
	v_add_f32_e32 v9, v10, v9
	v_add_f32_e32 v8, v8, v9
	v_and_b32_e32 v9, 0xffff0000, v52
	v_and_b32_e32 v10, 0xffff0000, v53
	v_add_f32_e32 v9, v9, v10
	v_add_f32_e32 v8, v8, v9
	v_add_f32_e32 v15, v15, v8
	;; [unrolled: 16-line block ×3, first 2 shown]
	v_accvgpr_read_b32 v8, a8
	v_accvgpr_read_b32 v9, a7
	v_and_b32_e32 v8, 0xffff0000, v8
	v_and_b32_e32 v9, 0xffff0000, v9
	v_add_f32_e32 v8, v9, v8
	v_accvgpr_read_b32 v9, a0
	v_accvgpr_read_b32 v10, a6
	v_and_b32_e32 v9, 0xffff0000, v9
	v_and_b32_e32 v10, 0xffff0000, v10
	v_add_f32_e32 v9, v10, v9
	v_add_f32_e32 v8, v8, v9
	v_accvgpr_read_b32 v9, a2
	v_accvgpr_read_b32 v10, a1
	v_and_b32_e32 v9, 0xffff0000, v9
	v_and_b32_e32 v10, 0xffff0000, v10
	v_add_f32_e32 v9, v10, v9
	v_add_f32_e32 v8, v8, v9
	v_and_b32_e32 v9, 0xffff0000, v47
	v_and_b32_e32 v10, 0xffff0000, v56
	v_add_f32_e32 v9, v9, v10
	v_add_f32_e32 v8, v8, v9
	v_add_f32_e32 v1, v1, v8
	v_accvgpr_read_b32 v8, a58
	v_accvgpr_read_b32 v9, a57
	v_and_b32_e32 v8, 0xffff0000, v8
	v_and_b32_e32 v9, 0xffff0000, v9
	v_add_f32_e32 v8, v9, v8
	v_accvgpr_read_b32 v9, a60
	v_accvgpr_read_b32 v10, a59
	v_and_b32_e32 v9, 0xffff0000, v9
	v_and_b32_e32 v10, 0xffff0000, v10
	v_add_f32_e32 v9, v10, v9
	v_add_f32_e32 v8, v8, v9
	v_accvgpr_read_b32 v9, a62
	v_accvgpr_read_b32 v10, a61
	v_and_b32_e32 v9, 0xffff0000, v9
	v_and_b32_e32 v10, 0xffff0000, v10
	v_add_f32_e32 v9, v10, v9
	v_add_f32_e32 v8, v8, v9
	v_accvgpr_read_b32 v9, a63
	v_accvgpr_read_b32 v10, a9
	v_and_b32_e32 v9, 0xffff0000, v9
	v_and_b32_e32 v10, 0xffff0000, v10
	v_add_f32_e32 v9, v9, v10
	v_add_f32_e32 v8, v8, v9
	v_add_f32_e32 v0, v0, v8
	v_accvgpr_read_b32 v8, a50
	v_accvgpr_read_b32 v9, a49
	v_and_b32_e32 v8, 0xffff0000, v8
	v_and_b32_e32 v9, 0xffff0000, v9
	v_add_f32_e32 v8, v9, v8
	v_accvgpr_read_b32 v9, a52
	v_accvgpr_read_b32 v10, a51
	v_and_b32_e32 v9, 0xffff0000, v9
	v_and_b32_e32 v10, 0xffff0000, v10
	v_add_f32_e32 v9, v10, v9
	v_add_f32_e32 v8, v8, v9
	v_accvgpr_read_b32 v9, a54
	v_accvgpr_read_b32 v10, a53
	v_and_b32_e32 v9, 0xffff0000, v9
	v_and_b32_e32 v10, 0xffff0000, v10
	v_add_f32_e32 v9, v10, v9
	v_add_f32_e32 v8, v8, v9
	v_accvgpr_read_b32 v9, a55
	v_accvgpr_read_b32 v10, a56
	v_and_b32_e32 v9, 0xffff0000, v9
	v_and_b32_e32 v10, 0xffff0000, v10
	v_add_f32_e32 v9, v9, v10
	v_add_f32_e32 v8, v8, v9
	v_add_f32_e32 v21, v21, v8
	v_accvgpr_read_b32 v8, a31
	v_accvgpr_read_b32 v9, a29
	v_and_b32_e32 v8, 0xffff0000, v8
	v_and_b32_e32 v9, 0xffff0000, v9
	v_add_f32_e32 v8, v9, v8
	v_accvgpr_read_b32 v9, a35
	v_accvgpr_read_b32 v10, a33
	v_and_b32_e32 v9, 0xffff0000, v9
	v_and_b32_e32 v10, 0xffff0000, v10
	v_add_f32_e32 v9, v10, v9
	v_add_f32_e32 v8, v8, v9
	v_accvgpr_read_b32 v9, a39
	v_accvgpr_read_b32 v10, a37
	v_and_b32_e32 v9, 0xffff0000, v9
	v_and_b32_e32 v10, 0xffff0000, v10
	v_add_f32_e32 v9, v10, v9
	v_add_f32_e32 v8, v8, v9
	v_accvgpr_read_b32 v9, a40
	v_accvgpr_read_b32 v10, a48
	v_and_b32_e32 v9, 0xffff0000, v9
	v_and_b32_e32 v10, 0xffff0000, v10
	v_add_f32_e32 v9, v9, v10
	v_add_f32_e32 v8, v8, v9
	v_add_f32_e32 v20, v20, v8
	v_accvgpr_read_b32 v8, a13
	v_accvgpr_read_b32 v9, a5
	v_and_b32_e32 v8, 0xffff0000, v8
	v_and_b32_e32 v9, 0xffff0000, v9
	v_add_f32_e32 v8, v9, v8
	v_accvgpr_read_b32 v9, a19
	v_accvgpr_read_b32 v10, a17
	v_and_b32_e32 v9, 0xffff0000, v9
	v_and_b32_e32 v10, 0xffff0000, v10
	v_add_f32_e32 v9, v10, v9
	v_add_f32_e32 v8, v8, v9
	v_accvgpr_read_b32 v9, a23
	v_accvgpr_read_b32 v10, a21
	v_and_b32_e32 v9, 0xffff0000, v9
	v_and_b32_e32 v10, 0xffff0000, v10
	v_add_f32_e32 v9, v10, v9
	v_add_f32_e32 v8, v8, v9
	v_accvgpr_read_b32 v9, a25
	v_accvgpr_read_b32 v10, a27
	v_and_b32_e32 v9, 0xffff0000, v9
	v_and_b32_e32 v10, 0xffff0000, v10
	v_add_f32_e32 v9, v9, v10
	v_add_f32_e32 v8, v8, v9
	v_add_f32_e32 v23, v23, v8
	v_accvgpr_read_b32 v8, a26
	v_accvgpr_read_b32 v9, a24
	v_and_b32_e32 v8, 0xffff0000, v8
	v_and_b32_e32 v9, 0xffff0000, v9
	v_add_f32_e32 v8, v9, v8
	v_accvgpr_read_b32 v9, a30
	v_accvgpr_read_b32 v10, a28
	v_and_b32_e32 v9, 0xffff0000, v9
	v_and_b32_e32 v10, 0xffff0000, v10
	v_add_f32_e32 v9, v10, v9
	v_add_f32_e32 v8, v8, v9
	v_accvgpr_read_b32 v9, a34
	v_accvgpr_read_b32 v10, a32
	v_and_b32_e32 v9, 0xffff0000, v9
	v_and_b32_e32 v10, 0xffff0000, v10
	v_add_f32_e32 v9, v10, v9
	v_add_f32_e32 v8, v8, v9
	v_accvgpr_read_b32 v9, a36
	v_accvgpr_read_b32 v10, a38
	v_and_b32_e32 v9, 0xffff0000, v9
	v_and_b32_e32 v10, 0xffff0000, v10
	v_add_f32_e32 v9, v9, v10
	v_add_f32_e32 v8, v8, v9
	v_add_f32_e32 v22, v22, v8
	v_accvgpr_read_b32 v8, a4
	v_accvgpr_read_b32 v9, a11
	v_and_b32_e32 v8, 0xffff0000, v8
	v_and_b32_e32 v9, 0xffff0000, v9
	v_add_f32_e32 v8, v9, v8
	v_accvgpr_read_b32 v9, a15
	v_accvgpr_read_b32 v10, a14
	v_and_b32_e32 v9, 0xffff0000, v9
	v_and_b32_e32 v10, 0xffff0000, v10
	v_add_f32_e32 v9, v10, v9
	v_add_f32_e32 v8, v8, v9
	v_accvgpr_read_b32 v9, a18
	v_accvgpr_read_b32 v10, a16
	v_and_b32_e32 v9, 0xffff0000, v9
	v_and_b32_e32 v10, 0xffff0000, v10
	v_add_f32_e32 v9, v10, v9
	v_add_f32_e32 v8, v8, v9
	v_accvgpr_read_b32 v9, a20
	v_accvgpr_read_b32 v10, a22
	v_and_b32_e32 v9, 0xffff0000, v9
	v_and_b32_e32 v10, 0xffff0000, v10
	v_add_f32_e32 v9, v9, v10
	v_add_f32_e32 v8, v8, v9
	;; [unrolled: 1-line block ×3, first 2 shown]
	scratch_load_dword v8, off, s32 offset:444 ; 4-byte Folded Reload
	scratch_load_dword v10, off, s32 offset:448 ; 4-byte Folded Reload
	;; [unrolled: 1-line block ×3, first 2 shown]
	v_and_b32_e32 v7, 0xffff0000, v7
	v_and_b32_e32 v6, 0xffff0000, v6
	;; [unrolled: 1-line block ×6, first 2 shown]
	v_pk_add_f32 v[2:3], v[2:3], v[6:7]
	scratch_load_dword v37, off, s32 offset:204 ; 4-byte Folded Reload
	v_add_f32_e32 v2, v2, v3
	v_add_u32_e32 v19, 64, v19
	v_add_u32_e32 v62, 0x100, v62
	scratch_load_dword v11, off, s32 offset:424 ; 4-byte Folded Reload
	scratch_load_dword v18, off, s32 offset:436 ; 4-byte Folded Reload
	scratch_load_dword v17, off, s32 offset:432 ; 4-byte Folded Reload
	scratch_load_dword v28, off, s32 offset:400 ; 4-byte Folded Reload
	scratch_load_dword v29, off, s32 offset:404 ; 4-byte Folded Reload
	s_waitcnt vmcnt(8)
	v_and_b32_e32 v8, 0xffff0000, v8
	s_waitcnt vmcnt(7)
	v_and_b32_e32 v10, 0xffff0000, v10
	;; [unrolled: 2-line block ×3, first 2 shown]
	v_add_f32_e32 v8, v9, v8
	scratch_load_dword v9, off, s32 offset:452 ; 4-byte Folded Reload
	s_waitcnt vmcnt(5)
	v_and_b32_e32 v11, 0xffff0000, v11
	s_waitcnt vmcnt(4)
	v_and_b32_e32 v18, 0xffff0000, v18
	;; [unrolled: 2-line block ×6, first 2 shown]
	v_add_f32_e32 v9, v10, v9
	scratch_load_dword v10, off, s32 offset:456 ; 4-byte Folded Reload
	v_add_f32_e32 v8, v8, v9
	v_accvgpr_read_b32 v9, a12
	v_and_b32_e32 v9, 0xffff0000, v9
	s_waitcnt vmcnt(0)
	v_and_b32_e32 v10, 0xffff0000, v10
	v_add_f32_e32 v9, v10, v9
	v_add_f32_e32 v8, v8, v9
	v_accvgpr_read_b32 v9, a3
	v_accvgpr_read_b32 v10, a10
	v_and_b32_e32 v9, 0xffff0000, v9
	v_and_b32_e32 v10, 0xffff0000, v10
	v_add_f32_e32 v9, v9, v10
	v_add_f32_e32 v8, v8, v9
	;; [unrolled: 1-line block ×3, first 2 shown]
	scratch_load_dword v8, off, s32 offset:412 ; 4-byte Folded Reload
	scratch_load_dword v10, off, s32 offset:416 ; 4-byte Folded Reload
	;; [unrolled: 1-line block ×3, first 2 shown]
	s_waitcnt vmcnt(2)
	v_and_b32_e32 v8, 0xffff0000, v8
	s_waitcnt vmcnt(1)
	v_and_b32_e32 v10, 0xffff0000, v10
	;; [unrolled: 2-line block ×3, first 2 shown]
	v_add_f32_e32 v8, v9, v8
	scratch_load_dword v9, off, s32 offset:420 ; 4-byte Folded Reload
	s_waitcnt vmcnt(0)
	v_and_b32_e32 v9, 0xffff0000, v9
	v_add_f32_e32 v9, v10, v9
	scratch_load_dword v10, off, s32 offset:428 ; 4-byte Folded Reload
	v_add_f32_e32 v8, v8, v9
	s_waitcnt vmcnt(0)
	v_and_b32_e32 v10, 0xffff0000, v10
	v_add_f32_e32 v9, v11, v10
	v_add_f32_e32 v8, v8, v9
	;; [unrolled: 1-line block ×5, first 2 shown]
	scratch_load_dword v8, off, s32 offset:396 ; 4-byte Folded Reload
	scratch_load_dword v9, off, s32 offset:392 ; 4-byte Folded Reload
	;; [unrolled: 1-line block ×6, first 2 shown]
	s_waitcnt vmcnt(5)
	v_and_b32_e32 v8, 0xffff0000, v8
	s_waitcnt vmcnt(4)
	v_and_b32_e32 v9, 0xffff0000, v9
	;; [unrolled: 2-line block ×6, first 2 shown]
	v_add_f32_e32 v17, v18, v17
	v_add_f32_e32 v10, v11, v10
	;; [unrolled: 1-line block ×8, first 2 shown]
	scratch_load_dword v8, off, s32 offset:364 ; 4-byte Folded Reload
	scratch_load_dword v28, off, s32 offset:368 ; 4-byte Folded Reload
	;; [unrolled: 1-line block ×8, first 2 shown]
	s_waitcnt vmcnt(7)
	v_and_b32_e32 v8, 0xffff0000, v8
	s_waitcnt vmcnt(6)
	v_and_b32_e32 v28, 0xffff0000, v28
	;; [unrolled: 2-line block ×8, first 2 shown]
	v_add_f32_e32 v17, v18, v17
	v_add_f32_e32 v10, v11, v10
	;; [unrolled: 1-line block ×8, first 2 shown]
	scratch_load_dword v8, off, s32 offset:332 ; 4-byte Folded Reload
	scratch_load_dword v28, off, s32 offset:336 ; 4-byte Folded Reload
	;; [unrolled: 1-line block ×8, first 2 shown]
	s_waitcnt vmcnt(7)
	v_and_b32_e32 v8, 0xffff0000, v8
	s_waitcnt vmcnt(6)
	v_and_b32_e32 v28, 0xffff0000, v28
	;; [unrolled: 2-line block ×8, first 2 shown]
	v_add_f32_e32 v17, v18, v17
	v_add_f32_e32 v10, v11, v10
	;; [unrolled: 1-line block ×8, first 2 shown]
	v_and_b32_e32 v9, 0xffff0000, v35
	v_and_b32_e32 v8, 0xffff0000, v34
	v_pk_add_f32 v[4:5], v[4:5], v[8:9]
	s_nop 0
	v_add_f32_e32 v2, v2, v4
	v_add_f32_e32 v2, v2, v5
	;; [unrolled: 1-line block ×3, first 2 shown]
	scratch_load_dwordx2 v[4:5], off, s32 offset:304 ; 8-byte Folded Reload
	scratch_load_dword v2, off, s32 offset:192 ; 4-byte Folded Reload
	v_add_u32_e32 v37, 2, v37
	s_waitcnt vmcnt(1)
	v_lshl_add_u64 v[4:5], v[4:5], 0, 8
	s_waitcnt vmcnt(0)
	v_cmp_ge_i32_e32 vcc, v37, v2
	s_or_b64 s[8:9], vcc, s[8:9]
	s_andn2_b64 exec, exec, s[8:9]
	s_cbranch_execz .LBB162_616
.LBB162_40:                             ; =>This Inner Loop Header: Depth=1
	flat_load_dword v36, v[4:5]
                                        ; implicit-def: $vgpr35
	s_nop 0
	scratch_store_dwordx2 off, v[4:5], s32 offset:304 ; 8-byte Folded Spill
	ds_read2_b64 v[6:9], v62 offset1:1
	ds_read2_b64 v[2:5], v62 offset0:2 offset1:3
	s_waitcnt lgkmcnt(0)
	v_and_b32_e32 v10, 0x7f800000, v6
	v_cmp_ne_u32_e32 vcc, s19, v10
	s_and_saveexec_b64 s[4:5], vcc
	s_xor_b64 s[4:5], exec, s[4:5]
; %bb.41:                               ;   in Loop: Header=BB162_40 Depth=1
	v_bfe_u32 v10, v6, 16, 1
	v_add3_u32 v35, v6, v10, s20
; %bb.42:                               ;   in Loop: Header=BB162_40 Depth=1
	s_andn2_saveexec_b64 s[4:5], s[4:5]
; %bb.43:                               ;   in Loop: Header=BB162_40 Depth=1
	v_or_b32_e32 v10, 0x10000, v6
	v_cmp_eq_u32_sdwa vcc, v6, v31 src0_sel:WORD_0 src1_sel:DWORD
	s_nop 1
	v_cndmask_b32_e32 v35, v10, v6, vcc
; %bb.44:                               ;   in Loop: Header=BB162_40 Depth=1
	s_or_b64 exec, exec, s[4:5]
	v_and_b32_e32 v6, 0x7f800000, v7
	v_cmp_ne_u32_e32 vcc, s19, v6
                                        ; implicit-def: $vgpr34
	s_and_saveexec_b64 s[4:5], vcc
	s_xor_b64 s[4:5], exec, s[4:5]
; %bb.45:                               ;   in Loop: Header=BB162_40 Depth=1
	v_bfe_u32 v6, v7, 16, 1
	v_add3_u32 v34, v7, v6, s20
; %bb.46:                               ;   in Loop: Header=BB162_40 Depth=1
	s_andn2_saveexec_b64 s[4:5], s[4:5]
; %bb.47:                               ;   in Loop: Header=BB162_40 Depth=1
	v_or_b32_e32 v6, 0x10000, v7
	v_cmp_eq_u32_sdwa vcc, v7, v31 src0_sel:WORD_0 src1_sel:DWORD
	s_nop 1
	v_cndmask_b32_e32 v34, v6, v7, vcc
; %bb.48:                               ;   in Loop: Header=BB162_40 Depth=1
	s_or_b64 exec, exec, s[4:5]
	v_and_b32_e32 v6, 0x7f800000, v8
	v_cmp_ne_u32_e32 vcc, s19, v6
                                        ; implicit-def: $vgpr29
	s_and_saveexec_b64 s[4:5], vcc
	s_xor_b64 s[4:5], exec, s[4:5]
; %bb.49:                               ;   in Loop: Header=BB162_40 Depth=1
	v_bfe_u32 v6, v8, 16, 1
	v_add3_u32 v29, v8, v6, s20
; %bb.50:                               ;   in Loop: Header=BB162_40 Depth=1
	s_andn2_saveexec_b64 s[4:5], s[4:5]
; %bb.51:                               ;   in Loop: Header=BB162_40 Depth=1
	v_or_b32_e32 v6, 0x10000, v8
	v_cmp_eq_u32_sdwa vcc, v8, v31 src0_sel:WORD_0 src1_sel:DWORD
	s_nop 1
	v_cndmask_b32_e32 v29, v6, v8, vcc
; %bb.52:                               ;   in Loop: Header=BB162_40 Depth=1
	s_or_b64 exec, exec, s[4:5]
	v_and_b32_e32 v6, 0x7f800000, v9
	v_cmp_ne_u32_e32 vcc, s19, v6
                                        ; implicit-def: $vgpr28
	s_and_saveexec_b64 s[4:5], vcc
	s_xor_b64 s[4:5], exec, s[4:5]
; %bb.53:                               ;   in Loop: Header=BB162_40 Depth=1
	v_bfe_u32 v6, v9, 16, 1
	v_add3_u32 v28, v9, v6, s20
                                        ; implicit-def: $vgpr6_vgpr7_vgpr8_vgpr9
; %bb.54:                               ;   in Loop: Header=BB162_40 Depth=1
	s_andn2_saveexec_b64 s[4:5], s[4:5]
; %bb.55:                               ;   in Loop: Header=BB162_40 Depth=1
	v_or_b32_e32 v6, 0x10000, v9
	v_cmp_eq_u32_sdwa vcc, v9, v31 src0_sel:WORD_0 src1_sel:DWORD
	s_nop 1
	v_cndmask_b32_e32 v28, v6, v9, vcc
; %bb.56:                               ;   in Loop: Header=BB162_40 Depth=1
	s_or_b64 exec, exec, s[4:5]
	v_and_b32_e32 v6, 0x7f800000, v2
	v_cmp_ne_u32_e32 vcc, s19, v6
                                        ; implicit-def: $vgpr18
	s_and_saveexec_b64 s[4:5], vcc
	s_xor_b64 s[4:5], exec, s[4:5]
; %bb.57:                               ;   in Loop: Header=BB162_40 Depth=1
	v_bfe_u32 v6, v2, 16, 1
	v_add3_u32 v18, v2, v6, s20
; %bb.58:                               ;   in Loop: Header=BB162_40 Depth=1
	s_andn2_saveexec_b64 s[4:5], s[4:5]
; %bb.59:                               ;   in Loop: Header=BB162_40 Depth=1
	v_or_b32_e32 v6, 0x10000, v2
	v_cmp_eq_u32_sdwa vcc, v2, v31 src0_sel:WORD_0 src1_sel:DWORD
	s_nop 1
	v_cndmask_b32_e32 v18, v6, v2, vcc
; %bb.60:                               ;   in Loop: Header=BB162_40 Depth=1
	s_or_b64 exec, exec, s[4:5]
	v_and_b32_e32 v2, 0x7f800000, v3
	v_cmp_ne_u32_e32 vcc, s19, v2
                                        ; implicit-def: $vgpr17
	s_and_saveexec_b64 s[4:5], vcc
	s_xor_b64 s[4:5], exec, s[4:5]
; %bb.61:                               ;   in Loop: Header=BB162_40 Depth=1
	v_bfe_u32 v2, v3, 16, 1
	v_add3_u32 v17, v3, v2, s20
; %bb.62:                               ;   in Loop: Header=BB162_40 Depth=1
	s_andn2_saveexec_b64 s[4:5], s[4:5]
; %bb.63:                               ;   in Loop: Header=BB162_40 Depth=1
	v_or_b32_e32 v2, 0x10000, v3
	v_cmp_eq_u32_sdwa vcc, v3, v31 src0_sel:WORD_0 src1_sel:DWORD
	s_nop 1
	v_cndmask_b32_e32 v17, v2, v3, vcc
; %bb.64:                               ;   in Loop: Header=BB162_40 Depth=1
	s_or_b64 exec, exec, s[4:5]
	v_and_b32_e32 v2, 0x7f800000, v4
	v_cmp_ne_u32_e32 vcc, s19, v2
                                        ; implicit-def: $vgpr11
	s_and_saveexec_b64 s[4:5], vcc
	s_xor_b64 s[4:5], exec, s[4:5]
; %bb.65:                               ;   in Loop: Header=BB162_40 Depth=1
	v_bfe_u32 v2, v4, 16, 1
	v_add3_u32 v11, v4, v2, s20
; %bb.66:                               ;   in Loop: Header=BB162_40 Depth=1
	s_andn2_saveexec_b64 s[4:5], s[4:5]
; %bb.67:                               ;   in Loop: Header=BB162_40 Depth=1
	v_or_b32_e32 v2, 0x10000, v4
	v_cmp_eq_u32_sdwa vcc, v4, v31 src0_sel:WORD_0 src1_sel:DWORD
	s_nop 1
	v_cndmask_b32_e32 v11, v2, v4, vcc
; %bb.68:                               ;   in Loop: Header=BB162_40 Depth=1
	s_or_b64 exec, exec, s[4:5]
	v_and_b32_e32 v2, 0x7f800000, v5
	v_cmp_ne_u32_e32 vcc, s19, v2
                                        ; implicit-def: $vgpr10
	s_and_saveexec_b64 s[4:5], vcc
	s_xor_b64 s[4:5], exec, s[4:5]
; %bb.69:                               ;   in Loop: Header=BB162_40 Depth=1
	v_bfe_u32 v2, v5, 16, 1
	v_add3_u32 v10, v5, v2, s20
                                        ; implicit-def: $vgpr2_vgpr3_vgpr4_vgpr5
; %bb.70:                               ;   in Loop: Header=BB162_40 Depth=1
	s_andn2_saveexec_b64 s[4:5], s[4:5]
; %bb.71:                               ;   in Loop: Header=BB162_40 Depth=1
	v_or_b32_e32 v2, 0x10000, v5
	v_cmp_eq_u32_sdwa vcc, v5, v31 src0_sel:WORD_0 src1_sel:DWORD
	s_nop 1
	v_cndmask_b32_e32 v10, v2, v5, vcc
; %bb.72:                               ;   in Loop: Header=BB162_40 Depth=1
	s_or_b64 exec, exec, s[4:5]
	scratch_load_dwordx2 v[2:3], off, s32 offset:196 ; 8-byte Folded Reload
	scratch_load_dwordx2 v[4:5], off, s32 offset:464 ; 8-byte Folded Reload
	v_add_u32_e32 v38, -1, v19
	scratch_store_dword off, v37, s32 offset:204 ; 4-byte Folded Spill
	v_add_u32_e32 v54, -4, v19
	v_add_u32_e32 v46, -2, v19
	v_accvgpr_write_b32 a46, v38
	s_waitcnt vmcnt(0)
	v_mad_i64_i32 v[2:3], s[4:5], v36, v2, 0
	v_add_u32_e32 v36, -7, v19
	v_accvgpr_write_b32 a41, v36
	scratch_load_dword v36, off, s32 offset:460 ; 4-byte Folded Reload
	v_lshl_add_u64 v[6:7], v[2:3], 1, v[4:5]
	v_lshl_add_u64 v[8:9], v[6:7], 0, v[30:31]
	flat_load_dwordx4 v[2:5], v[8:9]
	s_waitcnt vmcnt(0)
	v_cmp_eq_u32_e32 vcc, v36, v37
	v_add_u32_e32 v36, -6, v19
	v_accvgpr_write_b32 a47, v36
	v_add_u32_e32 v36, -5, v19
	v_accvgpr_write_b32 a45, v36
	;; [unrolled: 2-line block ×3, first 2 shown]
	s_waitcnt lgkmcnt(0)
	v_lshrrev_b32_e32 v36, 16, v2
	v_lshrrev_b32_e32 v37, 16, v3
	;; [unrolled: 1-line block ×4, first 2 shown]
	s_and_saveexec_b64 s[10:11], vcc
	s_cbranch_execz .LBB162_74
; %bb.73:                               ;   in Loop: Header=BB162_40 Depth=1
	v_accvgpr_read_b32 v38, a41
	v_cmp_lt_i32_e64 s[4:5], v38, v16
	v_accvgpr_read_b32 v38, a47
	s_nop 0
	v_cndmask_b32_e64 v2, 0, v2, s[4:5]
	v_cmp_lt_i32_e64 s[4:5], v38, v16
	v_accvgpr_read_b32 v38, a45
	s_nop 0
	v_cndmask_b32_e64 v36, 0, v36, s[4:5]
	;; [unrolled: 4-line block ×3, first 2 shown]
	v_cmp_lt_i32_e64 s[4:5], v54, v16
	s_nop 1
	v_cndmask_b32_e64 v37, 0, v37, s[4:5]
	v_cmp_lt_i32_e64 s[4:5], v38, v16
	v_accvgpr_read_b32 v38, a46
	s_nop 0
	v_cndmask_b32_e64 v4, 0, v4, s[4:5]
	v_cmp_lt_i32_e64 s[4:5], v46, v16
	s_nop 1
	v_cndmask_b32_e64 v39, 0, v39, s[4:5]
	v_cmp_lt_i32_e64 s[4:5], v38, v16
	;; [unrolled: 3-line block ×3, first 2 shown]
	s_nop 1
	v_cndmask_b32_e64 v49, 0, v49, s[4:5]
.LBB162_74:                             ;   in Loop: Header=BB162_40 Depth=1
	s_or_b64 exec, exec, s[10:11]
	v_and_b32_e32 v61, 0xffff0000, v35
	v_lshlrev_b32_e32 v2, 16, v2
	v_mul_f32_e32 v2, v61, v2
	v_and_b32_e32 v35, 0x7f800000, v2
	v_cmp_ne_u32_e64 s[4:5], s19, v35
                                        ; implicit-def: $vgpr35
                                        ; kill: killed $vgpr35
	s_and_saveexec_b64 s[10:11], s[4:5]
	s_xor_b64 s[4:5], exec, s[10:11]
	s_cbranch_execz .LBB162_76
; %bb.75:                               ;   in Loop: Header=BB162_40 Depth=1
	v_bfe_u32 v35, v2, 16, 1
	v_add3_u32 v2, v2, v35, s20
	scratch_store_dword off, v2, s32 offset:312 ; 4-byte Folded Spill
                                        ; implicit-def: $vgpr2
.LBB162_76:                             ;   in Loop: Header=BB162_40 Depth=1
	s_andn2_saveexec_b64 s[10:11], s[4:5]
	s_cbranch_execz .LBB162_78
; %bb.77:                               ;   in Loop: Header=BB162_40 Depth=1
	v_or_b32_e32 v35, 0x10000, v2
	v_cmp_eq_u32_sdwa s[4:5], v2, v31 src0_sel:WORD_0 src1_sel:DWORD
	s_nop 1
	v_cndmask_b32_e64 v2, v35, v2, s[4:5]
	scratch_store_dword off, v2, s32 offset:312 ; 4-byte Folded Spill
.LBB162_78:                             ;   in Loop: Header=BB162_40 Depth=1
	s_or_b64 exec, exec, s[10:11]
	v_and_b32_e32 v34, 0xffff0000, v34
	v_lshlrev_b32_e32 v2, 16, v36
	v_mul_f32_e32 v2, v34, v2
	v_and_b32_e32 v35, 0x7f800000, v2
	v_cmp_ne_u32_e64 s[4:5], s19, v35
                                        ; implicit-def: $vgpr35
                                        ; kill: killed $vgpr35
	s_and_saveexec_b64 s[10:11], s[4:5]
	s_xor_b64 s[4:5], exec, s[10:11]
	s_cbranch_execz .LBB162_80
; %bb.79:                               ;   in Loop: Header=BB162_40 Depth=1
	v_bfe_u32 v35, v2, 16, 1
	v_add3_u32 v2, v2, v35, s20
	scratch_store_dword off, v2, s32 offset:316 ; 4-byte Folded Spill
                                        ; implicit-def: $vgpr2
.LBB162_80:                             ;   in Loop: Header=BB162_40 Depth=1
	s_andn2_saveexec_b64 s[10:11], s[4:5]
	s_cbranch_execz .LBB162_82
; %bb.81:                               ;   in Loop: Header=BB162_40 Depth=1
	v_or_b32_e32 v35, 0x10000, v2
	v_cmp_eq_u32_sdwa s[4:5], v2, v31 src0_sel:WORD_0 src1_sel:DWORD
	s_nop 1
	v_cndmask_b32_e64 v2, v35, v2, s[4:5]
	scratch_store_dword off, v2, s32 offset:316 ; 4-byte Folded Spill
.LBB162_82:                             ;   in Loop: Header=BB162_40 Depth=1
	s_or_b64 exec, exec, s[10:11]
	v_and_b32_e32 v35, 0xffff0000, v29
	v_lshlrev_b32_e32 v2, 16, v3
	v_mul_f32_e32 v2, v35, v2
	v_and_b32_e32 v3, 0x7f800000, v2
	v_cmp_ne_u32_e64 s[4:5], s19, v3
                                        ; implicit-def: $vgpr3
                                        ; kill: killed $vgpr3
	s_and_saveexec_b64 s[10:11], s[4:5]
	s_xor_b64 s[4:5], exec, s[10:11]
	s_cbranch_execz .LBB162_84
; %bb.83:                               ;   in Loop: Header=BB162_40 Depth=1
	v_bfe_u32 v3, v2, 16, 1
	v_add3_u32 v2, v2, v3, s20
	scratch_store_dword off, v2, s32 offset:320 ; 4-byte Folded Spill
                                        ; implicit-def: $vgpr2
.LBB162_84:                             ;   in Loop: Header=BB162_40 Depth=1
	s_andn2_saveexec_b64 s[10:11], s[4:5]
	s_cbranch_execz .LBB162_86
; %bb.85:                               ;   in Loop: Header=BB162_40 Depth=1
	v_or_b32_e32 v3, 0x10000, v2
	v_cmp_eq_u32_sdwa s[4:5], v2, v31 src0_sel:WORD_0 src1_sel:DWORD
	s_nop 1
	v_cndmask_b32_e64 v2, v3, v2, s[4:5]
	scratch_store_dword off, v2, s32 offset:320 ; 4-byte Folded Spill
.LBB162_86:                             ;   in Loop: Header=BB162_40 Depth=1
	s_or_b64 exec, exec, s[10:11]
	v_and_b32_e32 v36, 0xffff0000, v28
	v_lshlrev_b32_e32 v2, 16, v37
	v_mul_f32_e32 v2, v36, v2
	v_and_b32_e32 v3, 0x7f800000, v2
	v_cmp_ne_u32_e64 s[4:5], s19, v3
                                        ; implicit-def: $vgpr3
                                        ; kill: killed $vgpr3
	;; [unrolled: 26-line block ×5, first 2 shown]
	s_and_saveexec_b64 s[10:11], s[4:5]
	s_xor_b64 s[4:5], exec, s[10:11]
	s_cbranch_execz .LBB162_100
; %bb.99:                               ;   in Loop: Header=BB162_40 Depth=1
	v_bfe_u32 v3, v2, 16, 1
	v_add3_u32 v2, v2, v3, s20
	scratch_store_dword off, v2, s32 offset:336 ; 4-byte Folded Spill
                                        ; implicit-def: $vgpr2
.LBB162_100:                            ;   in Loop: Header=BB162_40 Depth=1
	s_andn2_saveexec_b64 s[10:11], s[4:5]
	s_cbranch_execz .LBB162_102
; %bb.101:                              ;   in Loop: Header=BB162_40 Depth=1
	v_or_b32_e32 v3, 0x10000, v2
	v_cmp_eq_u32_sdwa s[4:5], v2, v31 src0_sel:WORD_0 src1_sel:DWORD
	s_nop 1
	v_cndmask_b32_e64 v2, v3, v2, s[4:5]
	scratch_store_dword off, v2, s32 offset:336 ; 4-byte Folded Spill
.LBB162_102:                            ;   in Loop: Header=BB162_40 Depth=1
	s_or_b64 exec, exec, s[10:11]
	v_and_b32_e32 v48, 0xffff0000, v10
	v_lshlrev_b32_e32 v2, 16, v49
	v_mul_f32_e32 v2, v48, v2
	v_and_b32_e32 v3, 0x7f800000, v2
	v_cmp_ne_u32_e64 s[4:5], s19, v3
                                        ; implicit-def: $vgpr3
                                        ; kill: killed $vgpr3
	s_and_saveexec_b64 s[10:11], s[4:5]
	s_xor_b64 s[4:5], exec, s[10:11]
	s_cbranch_execz .LBB162_104
; %bb.103:                              ;   in Loop: Header=BB162_40 Depth=1
	v_bfe_u32 v3, v2, 16, 1
	v_add3_u32 v2, v2, v3, s20
	scratch_store_dword off, v2, s32 offset:340 ; 4-byte Folded Spill
                                        ; implicit-def: $vgpr2
.LBB162_104:                            ;   in Loop: Header=BB162_40 Depth=1
	s_andn2_saveexec_b64 s[10:11], s[4:5]
	s_cbranch_execz .LBB162_106
; %bb.105:                              ;   in Loop: Header=BB162_40 Depth=1
	v_or_b32_e32 v3, 0x10000, v2
	v_cmp_eq_u32_sdwa s[4:5], v2, v31 src0_sel:WORD_0 src1_sel:DWORD
	s_nop 1
	v_cndmask_b32_e64 v2, v3, v2, s[4:5]
	scratch_store_dword off, v2, s32 offset:340 ; 4-byte Folded Spill
.LBB162_106:                            ;   in Loop: Header=BB162_40 Depth=1
	s_or_b64 exec, exec, s[10:11]
	flat_load_dwordx4 v[2:5], v[8:9] offset:1024
	s_waitcnt vmcnt(0) lgkmcnt(0)
	v_lshrrev_b32_e32 v18, 16, v2
	v_lshrrev_b32_e32 v17, 16, v3
	;; [unrolled: 1-line block ×4, first 2 shown]
	s_and_saveexec_b64 s[10:11], vcc
	s_cbranch_execz .LBB162_108
; %bb.107:                              ;   in Loop: Header=BB162_40 Depth=1
	v_accvgpr_read_b32 v28, a41
	v_cmp_lt_i32_e64 s[4:5], v28, v16
	v_accvgpr_read_b32 v28, a47
	s_nop 0
	v_cndmask_b32_e64 v2, 0, v2, s[4:5]
	v_cmp_lt_i32_e64 s[4:5], v28, v16
	v_accvgpr_read_b32 v28, a45
	s_nop 0
	v_cndmask_b32_e64 v18, 0, v18, s[4:5]
	;; [unrolled: 4-line block ×3, first 2 shown]
	v_cmp_lt_i32_e64 s[4:5], v54, v16
	s_nop 1
	v_cndmask_b32_e64 v17, 0, v17, s[4:5]
	v_cmp_lt_i32_e64 s[4:5], v28, v16
	v_accvgpr_read_b32 v28, a46
	s_nop 0
	v_cndmask_b32_e64 v4, 0, v4, s[4:5]
	v_cmp_lt_i32_e64 s[4:5], v46, v16
	s_nop 1
	v_cndmask_b32_e64 v11, 0, v11, s[4:5]
	v_cmp_lt_i32_e64 s[4:5], v28, v16
	;; [unrolled: 3-line block ×3, first 2 shown]
	s_nop 1
	v_cndmask_b32_e64 v10, 0, v10, s[4:5]
.LBB162_108:                            ;   in Loop: Header=BB162_40 Depth=1
	s_or_b64 exec, exec, s[10:11]
	v_lshlrev_b32_e32 v2, 16, v2
	v_mul_f32_e32 v2, v61, v2
	v_and_b32_e32 v28, 0x7f800000, v2
	v_cmp_ne_u32_e64 s[4:5], s19, v28
                                        ; implicit-def: $vgpr28
                                        ; kill: killed $vgpr28
	s_and_saveexec_b64 s[10:11], s[4:5]
	s_xor_b64 s[4:5], exec, s[10:11]
	s_cbranch_execz .LBB162_110
; %bb.109:                              ;   in Loop: Header=BB162_40 Depth=1
	v_bfe_u32 v28, v2, 16, 1
	v_add3_u32 v2, v2, v28, s20
	scratch_store_dword off, v2, s32 offset:344 ; 4-byte Folded Spill
                                        ; implicit-def: $vgpr2
.LBB162_110:                            ;   in Loop: Header=BB162_40 Depth=1
	s_andn2_saveexec_b64 s[10:11], s[4:5]
	s_cbranch_execz .LBB162_112
; %bb.111:                              ;   in Loop: Header=BB162_40 Depth=1
	v_or_b32_e32 v28, 0x10000, v2
	v_cmp_eq_u32_sdwa s[4:5], v2, v31 src0_sel:WORD_0 src1_sel:DWORD
	s_nop 1
	v_cndmask_b32_e64 v2, v28, v2, s[4:5]
	scratch_store_dword off, v2, s32 offset:344 ; 4-byte Folded Spill
.LBB162_112:                            ;   in Loop: Header=BB162_40 Depth=1
	s_or_b64 exec, exec, s[10:11]
	v_lshlrev_b32_e32 v2, 16, v18
	v_mul_f32_e32 v2, v34, v2
	v_and_b32_e32 v18, 0x7f800000, v2
	v_cmp_ne_u32_e64 s[4:5], s19, v18
                                        ; implicit-def: $vgpr18
                                        ; kill: killed $vgpr18
	s_and_saveexec_b64 s[10:11], s[4:5]
	s_xor_b64 s[4:5], exec, s[10:11]
	s_cbranch_execz .LBB162_114
; %bb.113:                              ;   in Loop: Header=BB162_40 Depth=1
	v_bfe_u32 v18, v2, 16, 1
	v_add3_u32 v2, v2, v18, s20
	scratch_store_dword off, v2, s32 offset:348 ; 4-byte Folded Spill
                                        ; implicit-def: $vgpr2
.LBB162_114:                            ;   in Loop: Header=BB162_40 Depth=1
	s_andn2_saveexec_b64 s[10:11], s[4:5]
	s_cbranch_execz .LBB162_116
; %bb.115:                              ;   in Loop: Header=BB162_40 Depth=1
	v_or_b32_e32 v18, 0x10000, v2
	v_cmp_eq_u32_sdwa s[4:5], v2, v31 src0_sel:WORD_0 src1_sel:DWORD
	s_nop 1
	v_cndmask_b32_e64 v2, v18, v2, s[4:5]
	scratch_store_dword off, v2, s32 offset:348 ; 4-byte Folded Spill
.LBB162_116:                            ;   in Loop: Header=BB162_40 Depth=1
	s_or_b64 exec, exec, s[10:11]
	v_lshlrev_b32_e32 v2, 16, v3
	v_mul_f32_e32 v2, v35, v2
	v_and_b32_e32 v3, 0x7f800000, v2
	v_cmp_ne_u32_e64 s[4:5], s19, v3
                                        ; implicit-def: $vgpr3
                                        ; kill: killed $vgpr3
	s_and_saveexec_b64 s[10:11], s[4:5]
	s_xor_b64 s[4:5], exec, s[10:11]
	s_cbranch_execz .LBB162_118
; %bb.117:                              ;   in Loop: Header=BB162_40 Depth=1
	v_bfe_u32 v3, v2, 16, 1
	v_add3_u32 v2, v2, v3, s20
	scratch_store_dword off, v2, s32 offset:352 ; 4-byte Folded Spill
                                        ; implicit-def: $vgpr2
.LBB162_118:                            ;   in Loop: Header=BB162_40 Depth=1
	s_andn2_saveexec_b64 s[10:11], s[4:5]
	s_cbranch_execz .LBB162_120
; %bb.119:                              ;   in Loop: Header=BB162_40 Depth=1
	v_or_b32_e32 v3, 0x10000, v2
	v_cmp_eq_u32_sdwa s[4:5], v2, v31 src0_sel:WORD_0 src1_sel:DWORD
	s_nop 1
	v_cndmask_b32_e64 v2, v3, v2, s[4:5]
	scratch_store_dword off, v2, s32 offset:352 ; 4-byte Folded Spill
.LBB162_120:                            ;   in Loop: Header=BB162_40 Depth=1
	s_or_b64 exec, exec, s[10:11]
	v_lshlrev_b32_e32 v2, 16, v17
	v_mul_f32_e32 v2, v36, v2
	v_and_b32_e32 v3, 0x7f800000, v2
	v_cmp_ne_u32_e64 s[4:5], s19, v3
                                        ; implicit-def: $vgpr3
                                        ; kill: killed $vgpr3
	;; [unrolled: 25-line block ×6, first 2 shown]
	s_and_saveexec_b64 s[10:11], s[4:5]
	s_xor_b64 s[4:5], exec, s[10:11]
	s_cbranch_execz .LBB162_138
; %bb.137:                              ;   in Loop: Header=BB162_40 Depth=1
	v_bfe_u32 v3, v2, 16, 1
	v_add3_u32 v2, v2, v3, s20
	scratch_store_dword off, v2, s32 offset:372 ; 4-byte Folded Spill
                                        ; implicit-def: $vgpr2
.LBB162_138:                            ;   in Loop: Header=BB162_40 Depth=1
	s_andn2_saveexec_b64 s[10:11], s[4:5]
	s_cbranch_execz .LBB162_140
; %bb.139:                              ;   in Loop: Header=BB162_40 Depth=1
	v_or_b32_e32 v3, 0x10000, v2
	v_cmp_eq_u32_sdwa s[4:5], v2, v31 src0_sel:WORD_0 src1_sel:DWORD
	s_nop 1
	v_cndmask_b32_e64 v2, v3, v2, s[4:5]
	scratch_store_dword off, v2, s32 offset:372 ; 4-byte Folded Spill
.LBB162_140:                            ;   in Loop: Header=BB162_40 Depth=1
	s_or_b64 exec, exec, s[10:11]
	flat_load_dwordx4 v[2:5], v[8:9] offset:2048
	s_waitcnt vmcnt(0) lgkmcnt(0)
	v_lshrrev_b32_e32 v18, 16, v2
	v_lshrrev_b32_e32 v17, 16, v3
	;; [unrolled: 1-line block ×4, first 2 shown]
	s_and_saveexec_b64 s[10:11], vcc
	s_cbranch_execz .LBB162_142
; %bb.141:                              ;   in Loop: Header=BB162_40 Depth=1
	v_accvgpr_read_b32 v28, a41
	v_cmp_lt_i32_e64 s[4:5], v28, v16
	v_accvgpr_read_b32 v28, a47
	s_nop 0
	v_cndmask_b32_e64 v2, 0, v2, s[4:5]
	v_cmp_lt_i32_e64 s[4:5], v28, v16
	v_accvgpr_read_b32 v28, a45
	s_nop 0
	v_cndmask_b32_e64 v18, 0, v18, s[4:5]
	;; [unrolled: 4-line block ×3, first 2 shown]
	v_cmp_lt_i32_e64 s[4:5], v54, v16
	s_nop 1
	v_cndmask_b32_e64 v17, 0, v17, s[4:5]
	v_cmp_lt_i32_e64 s[4:5], v28, v16
	v_accvgpr_read_b32 v28, a46
	s_nop 0
	v_cndmask_b32_e64 v4, 0, v4, s[4:5]
	v_cmp_lt_i32_e64 s[4:5], v46, v16
	s_nop 1
	v_cndmask_b32_e64 v11, 0, v11, s[4:5]
	v_cmp_lt_i32_e64 s[4:5], v28, v16
	;; [unrolled: 3-line block ×3, first 2 shown]
	s_nop 1
	v_cndmask_b32_e64 v10, 0, v10, s[4:5]
.LBB162_142:                            ;   in Loop: Header=BB162_40 Depth=1
	s_or_b64 exec, exec, s[10:11]
	v_lshlrev_b32_e32 v2, 16, v2
	v_mul_f32_e32 v2, v61, v2
	v_and_b32_e32 v28, 0x7f800000, v2
	v_cmp_ne_u32_e64 s[4:5], s19, v28
                                        ; implicit-def: $vgpr28
                                        ; kill: killed $vgpr28
	s_and_saveexec_b64 s[10:11], s[4:5]
	s_xor_b64 s[4:5], exec, s[10:11]
	s_cbranch_execz .LBB162_144
; %bb.143:                              ;   in Loop: Header=BB162_40 Depth=1
	v_bfe_u32 v28, v2, 16, 1
	v_add3_u32 v2, v2, v28, s20
	scratch_store_dword off, v2, s32 offset:376 ; 4-byte Folded Spill
                                        ; implicit-def: $vgpr2
.LBB162_144:                            ;   in Loop: Header=BB162_40 Depth=1
	s_andn2_saveexec_b64 s[10:11], s[4:5]
	s_cbranch_execz .LBB162_146
; %bb.145:                              ;   in Loop: Header=BB162_40 Depth=1
	v_or_b32_e32 v28, 0x10000, v2
	v_cmp_eq_u32_sdwa s[4:5], v2, v31 src0_sel:WORD_0 src1_sel:DWORD
	s_nop 1
	v_cndmask_b32_e64 v2, v28, v2, s[4:5]
	scratch_store_dword off, v2, s32 offset:376 ; 4-byte Folded Spill
.LBB162_146:                            ;   in Loop: Header=BB162_40 Depth=1
	s_or_b64 exec, exec, s[10:11]
	v_lshlrev_b32_e32 v2, 16, v18
	v_mul_f32_e32 v2, v34, v2
	v_and_b32_e32 v18, 0x7f800000, v2
	v_cmp_ne_u32_e64 s[4:5], s19, v18
                                        ; implicit-def: $vgpr18
                                        ; kill: killed $vgpr18
	s_and_saveexec_b64 s[10:11], s[4:5]
	s_xor_b64 s[4:5], exec, s[10:11]
	s_cbranch_execz .LBB162_148
; %bb.147:                              ;   in Loop: Header=BB162_40 Depth=1
	v_bfe_u32 v18, v2, 16, 1
	v_add3_u32 v2, v2, v18, s20
	scratch_store_dword off, v2, s32 offset:380 ; 4-byte Folded Spill
                                        ; implicit-def: $vgpr2
.LBB162_148:                            ;   in Loop: Header=BB162_40 Depth=1
	s_andn2_saveexec_b64 s[10:11], s[4:5]
	s_cbranch_execz .LBB162_150
; %bb.149:                              ;   in Loop: Header=BB162_40 Depth=1
	v_or_b32_e32 v18, 0x10000, v2
	v_cmp_eq_u32_sdwa s[4:5], v2, v31 src0_sel:WORD_0 src1_sel:DWORD
	s_nop 1
	v_cndmask_b32_e64 v2, v18, v2, s[4:5]
	scratch_store_dword off, v2, s32 offset:380 ; 4-byte Folded Spill
.LBB162_150:                            ;   in Loop: Header=BB162_40 Depth=1
	s_or_b64 exec, exec, s[10:11]
	v_lshlrev_b32_e32 v2, 16, v3
	v_mul_f32_e32 v2, v35, v2
	v_and_b32_e32 v3, 0x7f800000, v2
	v_cmp_ne_u32_e64 s[4:5], s19, v3
                                        ; implicit-def: $vgpr3
                                        ; kill: killed $vgpr3
	s_and_saveexec_b64 s[10:11], s[4:5]
	s_xor_b64 s[4:5], exec, s[10:11]
	s_cbranch_execz .LBB162_152
; %bb.151:                              ;   in Loop: Header=BB162_40 Depth=1
	v_bfe_u32 v3, v2, 16, 1
	v_add3_u32 v2, v2, v3, s20
	scratch_store_dword off, v2, s32 offset:384 ; 4-byte Folded Spill
                                        ; implicit-def: $vgpr2
.LBB162_152:                            ;   in Loop: Header=BB162_40 Depth=1
	s_andn2_saveexec_b64 s[10:11], s[4:5]
	s_cbranch_execz .LBB162_154
; %bb.153:                              ;   in Loop: Header=BB162_40 Depth=1
	v_or_b32_e32 v3, 0x10000, v2
	v_cmp_eq_u32_sdwa s[4:5], v2, v31 src0_sel:WORD_0 src1_sel:DWORD
	s_nop 1
	v_cndmask_b32_e64 v2, v3, v2, s[4:5]
	scratch_store_dword off, v2, s32 offset:384 ; 4-byte Folded Spill
.LBB162_154:                            ;   in Loop: Header=BB162_40 Depth=1
	s_or_b64 exec, exec, s[10:11]
	v_lshlrev_b32_e32 v2, 16, v17
	v_mul_f32_e32 v2, v36, v2
	v_and_b32_e32 v3, 0x7f800000, v2
	v_cmp_ne_u32_e64 s[4:5], s19, v3
                                        ; implicit-def: $vgpr3
                                        ; kill: killed $vgpr3
	;; [unrolled: 25-line block ×6, first 2 shown]
	s_and_saveexec_b64 s[10:11], s[4:5]
	s_xor_b64 s[4:5], exec, s[10:11]
	s_cbranch_execz .LBB162_172
; %bb.171:                              ;   in Loop: Header=BB162_40 Depth=1
	v_bfe_u32 v3, v2, 16, 1
	v_add3_u32 v2, v2, v3, s20
	scratch_store_dword off, v2, s32 offset:404 ; 4-byte Folded Spill
                                        ; implicit-def: $vgpr2
.LBB162_172:                            ;   in Loop: Header=BB162_40 Depth=1
	s_andn2_saveexec_b64 s[10:11], s[4:5]
	s_cbranch_execz .LBB162_174
; %bb.173:                              ;   in Loop: Header=BB162_40 Depth=1
	v_or_b32_e32 v3, 0x10000, v2
	v_cmp_eq_u32_sdwa s[4:5], v2, v31 src0_sel:WORD_0 src1_sel:DWORD
	s_nop 1
	v_cndmask_b32_e64 v2, v3, v2, s[4:5]
	scratch_store_dword off, v2, s32 offset:404 ; 4-byte Folded Spill
.LBB162_174:                            ;   in Loop: Header=BB162_40 Depth=1
	s_or_b64 exec, exec, s[10:11]
	flat_load_dwordx4 v[2:5], v[8:9] offset:3072
	s_waitcnt vmcnt(0) lgkmcnt(0)
	v_lshrrev_b32_e32 v11, 16, v2
	v_lshrrev_b32_e32 v10, 16, v3
	;; [unrolled: 1-line block ×4, first 2 shown]
	s_and_saveexec_b64 s[10:11], vcc
	s_cbranch_execz .LBB162_176
; %bb.175:                              ;   in Loop: Header=BB162_40 Depth=1
	v_accvgpr_read_b32 v17, a41
	v_cmp_lt_i32_e64 s[4:5], v17, v16
	v_accvgpr_read_b32 v17, a47
	s_nop 0
	v_cndmask_b32_e64 v2, 0, v2, s[4:5]
	v_cmp_lt_i32_e64 s[4:5], v17, v16
	v_accvgpr_read_b32 v17, a45
	s_nop 0
	v_cndmask_b32_e64 v11, 0, v11, s[4:5]
	;; [unrolled: 4-line block ×3, first 2 shown]
	v_cmp_lt_i32_e64 s[4:5], v54, v16
	s_nop 1
	v_cndmask_b32_e64 v10, 0, v10, s[4:5]
	v_cmp_lt_i32_e64 s[4:5], v17, v16
	v_accvgpr_read_b32 v17, a46
	s_nop 0
	v_cndmask_b32_e64 v4, 0, v4, s[4:5]
	v_cmp_lt_i32_e64 s[4:5], v46, v16
	s_nop 1
	v_cndmask_b32_e64 v9, 0, v9, s[4:5]
	v_cmp_lt_i32_e64 s[4:5], v17, v16
	;; [unrolled: 3-line block ×3, first 2 shown]
	s_nop 1
	v_cndmask_b32_e64 v8, 0, v8, s[4:5]
.LBB162_176:                            ;   in Loop: Header=BB162_40 Depth=1
	s_or_b64 exec, exec, s[10:11]
	v_lshlrev_b32_e32 v2, 16, v2
	v_mul_f32_e32 v2, v61, v2
	v_and_b32_e32 v17, 0x7f800000, v2
	v_cmp_ne_u32_e64 s[4:5], s19, v17
                                        ; implicit-def: $vgpr17
                                        ; kill: killed $vgpr17
	s_and_saveexec_b64 s[10:11], s[4:5]
	s_xor_b64 s[4:5], exec, s[10:11]
	s_cbranch_execz .LBB162_178
; %bb.177:                              ;   in Loop: Header=BB162_40 Depth=1
	v_bfe_u32 v17, v2, 16, 1
	v_add3_u32 v2, v2, v17, s20
	scratch_store_dword off, v2, s32 offset:408 ; 4-byte Folded Spill
                                        ; implicit-def: $vgpr2
.LBB162_178:                            ;   in Loop: Header=BB162_40 Depth=1
	s_andn2_saveexec_b64 s[10:11], s[4:5]
	s_cbranch_execz .LBB162_180
; %bb.179:                              ;   in Loop: Header=BB162_40 Depth=1
	v_or_b32_e32 v17, 0x10000, v2
	v_cmp_eq_u32_sdwa s[4:5], v2, v31 src0_sel:WORD_0 src1_sel:DWORD
	s_nop 1
	v_cndmask_b32_e64 v2, v17, v2, s[4:5]
	scratch_store_dword off, v2, s32 offset:408 ; 4-byte Folded Spill
.LBB162_180:                            ;   in Loop: Header=BB162_40 Depth=1
	s_or_b64 exec, exec, s[10:11]
	v_lshlrev_b32_e32 v2, 16, v11
	v_mul_f32_e32 v2, v34, v2
	v_and_b32_e32 v11, 0x7f800000, v2
	v_cmp_ne_u32_e64 s[4:5], s19, v11
                                        ; implicit-def: $vgpr11
                                        ; kill: killed $vgpr11
	s_and_saveexec_b64 s[10:11], s[4:5]
	s_xor_b64 s[4:5], exec, s[10:11]
	s_cbranch_execz .LBB162_182
; %bb.181:                              ;   in Loop: Header=BB162_40 Depth=1
	v_bfe_u32 v11, v2, 16, 1
	v_add3_u32 v2, v2, v11, s20
	scratch_store_dword off, v2, s32 offset:412 ; 4-byte Folded Spill
                                        ; implicit-def: $vgpr2
.LBB162_182:                            ;   in Loop: Header=BB162_40 Depth=1
	s_andn2_saveexec_b64 s[10:11], s[4:5]
	s_cbranch_execz .LBB162_184
; %bb.183:                              ;   in Loop: Header=BB162_40 Depth=1
	v_or_b32_e32 v11, 0x10000, v2
	v_cmp_eq_u32_sdwa s[4:5], v2, v31 src0_sel:WORD_0 src1_sel:DWORD
	s_nop 1
	v_cndmask_b32_e64 v2, v11, v2, s[4:5]
	scratch_store_dword off, v2, s32 offset:412 ; 4-byte Folded Spill
.LBB162_184:                            ;   in Loop: Header=BB162_40 Depth=1
	s_or_b64 exec, exec, s[10:11]
	v_lshlrev_b32_e32 v2, 16, v3
	v_mul_f32_e32 v2, v35, v2
	v_and_b32_e32 v3, 0x7f800000, v2
	v_cmp_ne_u32_e64 s[4:5], s19, v3
                                        ; implicit-def: $vgpr3
                                        ; kill: killed $vgpr3
	s_and_saveexec_b64 s[10:11], s[4:5]
	s_xor_b64 s[4:5], exec, s[10:11]
	s_cbranch_execz .LBB162_186
; %bb.185:                              ;   in Loop: Header=BB162_40 Depth=1
	v_bfe_u32 v3, v2, 16, 1
	v_add3_u32 v2, v2, v3, s20
	scratch_store_dword off, v2, s32 offset:416 ; 4-byte Folded Spill
                                        ; implicit-def: $vgpr2
.LBB162_186:                            ;   in Loop: Header=BB162_40 Depth=1
	s_andn2_saveexec_b64 s[10:11], s[4:5]
	s_cbranch_execz .LBB162_188
; %bb.187:                              ;   in Loop: Header=BB162_40 Depth=1
	v_or_b32_e32 v3, 0x10000, v2
	v_cmp_eq_u32_sdwa s[4:5], v2, v31 src0_sel:WORD_0 src1_sel:DWORD
	s_nop 1
	v_cndmask_b32_e64 v2, v3, v2, s[4:5]
	scratch_store_dword off, v2, s32 offset:416 ; 4-byte Folded Spill
.LBB162_188:                            ;   in Loop: Header=BB162_40 Depth=1
	s_or_b64 exec, exec, s[10:11]
	v_lshlrev_b32_e32 v2, 16, v10
	v_mul_f32_e32 v2, v36, v2
	v_and_b32_e32 v3, 0x7f800000, v2
	v_cmp_ne_u32_e64 s[4:5], s19, v3
                                        ; implicit-def: $vgpr3
                                        ; kill: killed $vgpr3
	;; [unrolled: 25-line block ×6, first 2 shown]
	s_and_saveexec_b64 s[10:11], s[4:5]
	s_xor_b64 s[4:5], exec, s[10:11]
	s_cbranch_execz .LBB162_206
; %bb.205:                              ;   in Loop: Header=BB162_40 Depth=1
	v_bfe_u32 v3, v2, 16, 1
	v_add3_u32 v2, v2, v3, s20
	scratch_store_dword off, v2, s32 offset:436 ; 4-byte Folded Spill
                                        ; implicit-def: $vgpr2
.LBB162_206:                            ;   in Loop: Header=BB162_40 Depth=1
	s_andn2_saveexec_b64 s[10:11], s[4:5]
	s_cbranch_execz .LBB162_208
; %bb.207:                              ;   in Loop: Header=BB162_40 Depth=1
	v_or_b32_e32 v3, 0x10000, v2
	v_cmp_eq_u32_sdwa s[4:5], v2, v31 src0_sel:WORD_0 src1_sel:DWORD
	s_nop 1
	v_cndmask_b32_e64 v2, v3, v2, s[4:5]
	scratch_store_dword off, v2, s32 offset:436 ; 4-byte Folded Spill
.LBB162_208:                            ;   in Loop: Header=BB162_40 Depth=1
	s_or_b64 exec, exec, s[10:11]
	scratch_load_dwordx2 v[2:3], off, s32 offset:208 ; 8-byte Folded Reload
	s_waitcnt vmcnt(0)
	v_mov_b32_e32 v3, v31
	v_mov_b32_e32 v4, v2
	v_lshl_add_u64 v[2:3], v[6:7], 0, v[2:3]
	scratch_store_dwordx2 off, v[4:5], s32 offset:208 ; 8-byte Folded Spill
	flat_load_dwordx4 v[2:5], v[2:3]
	s_waitcnt vmcnt(0) lgkmcnt(0)
	v_lshrrev_b32_e32 v11, 16, v2
	v_lshrrev_b32_e32 v10, 16, v3
	;; [unrolled: 1-line block ×4, first 2 shown]
	s_and_saveexec_b64 s[10:11], vcc
	s_cbranch_execz .LBB162_210
; %bb.209:                              ;   in Loop: Header=BB162_40 Depth=1
	v_accvgpr_read_b32 v17, a41
	v_cmp_lt_i32_e64 s[4:5], v17, v16
	v_accvgpr_read_b32 v17, a47
	s_nop 0
	v_cndmask_b32_e64 v2, 0, v2, s[4:5]
	v_cmp_lt_i32_e64 s[4:5], v17, v16
	v_accvgpr_read_b32 v17, a45
	s_nop 0
	v_cndmask_b32_e64 v11, 0, v11, s[4:5]
	;; [unrolled: 4-line block ×3, first 2 shown]
	v_cmp_lt_i32_e64 s[4:5], v54, v16
	s_nop 1
	v_cndmask_b32_e64 v10, 0, v10, s[4:5]
	v_cmp_lt_i32_e64 s[4:5], v17, v16
	v_accvgpr_read_b32 v17, a46
	s_nop 0
	v_cndmask_b32_e64 v4, 0, v4, s[4:5]
	v_cmp_lt_i32_e64 s[4:5], v46, v16
	s_nop 1
	v_cndmask_b32_e64 v9, 0, v9, s[4:5]
	v_cmp_lt_i32_e64 s[4:5], v17, v16
	;; [unrolled: 3-line block ×3, first 2 shown]
	s_nop 1
	v_cndmask_b32_e64 v8, 0, v8, s[4:5]
.LBB162_210:                            ;   in Loop: Header=BB162_40 Depth=1
	s_or_b64 exec, exec, s[10:11]
	v_lshlrev_b32_e32 v2, 16, v2
	v_mul_f32_e32 v2, v61, v2
	v_and_b32_e32 v17, 0x7f800000, v2
	v_cmp_ne_u32_e64 s[4:5], s19, v17
                                        ; implicit-def: $vgpr17
                                        ; kill: killed $vgpr17
	s_and_saveexec_b64 s[10:11], s[4:5]
	s_xor_b64 s[4:5], exec, s[10:11]
	s_cbranch_execz .LBB162_212
; %bb.211:                              ;   in Loop: Header=BB162_40 Depth=1
	v_bfe_u32 v17, v2, 16, 1
	v_add3_u32 v2, v2, v17, s20
	scratch_store_dword off, v2, s32 offset:440 ; 4-byte Folded Spill
                                        ; implicit-def: $vgpr2
.LBB162_212:                            ;   in Loop: Header=BB162_40 Depth=1
	s_andn2_saveexec_b64 s[10:11], s[4:5]
	s_cbranch_execz .LBB162_214
; %bb.213:                              ;   in Loop: Header=BB162_40 Depth=1
	v_or_b32_e32 v17, 0x10000, v2
	v_cmp_eq_u32_sdwa s[4:5], v2, v31 src0_sel:WORD_0 src1_sel:DWORD
	s_nop 1
	v_cndmask_b32_e64 v2, v17, v2, s[4:5]
	scratch_store_dword off, v2, s32 offset:440 ; 4-byte Folded Spill
.LBB162_214:                            ;   in Loop: Header=BB162_40 Depth=1
	s_or_b64 exec, exec, s[10:11]
	v_lshlrev_b32_e32 v2, 16, v11
	v_mul_f32_e32 v2, v34, v2
	v_and_b32_e32 v11, 0x7f800000, v2
	v_cmp_ne_u32_e64 s[4:5], s19, v11
                                        ; implicit-def: $vgpr11
                                        ; kill: killed $vgpr11
	s_and_saveexec_b64 s[10:11], s[4:5]
	s_xor_b64 s[4:5], exec, s[10:11]
	s_cbranch_execz .LBB162_216
; %bb.215:                              ;   in Loop: Header=BB162_40 Depth=1
	v_bfe_u32 v11, v2, 16, 1
	v_add3_u32 v2, v2, v11, s20
	scratch_store_dword off, v2, s32 offset:444 ; 4-byte Folded Spill
                                        ; implicit-def: $vgpr2
.LBB162_216:                            ;   in Loop: Header=BB162_40 Depth=1
	s_andn2_saveexec_b64 s[10:11], s[4:5]
	s_cbranch_execz .LBB162_218
; %bb.217:                              ;   in Loop: Header=BB162_40 Depth=1
	v_or_b32_e32 v11, 0x10000, v2
	v_cmp_eq_u32_sdwa s[4:5], v2, v31 src0_sel:WORD_0 src1_sel:DWORD
	s_nop 1
	v_cndmask_b32_e64 v2, v11, v2, s[4:5]
	scratch_store_dword off, v2, s32 offset:444 ; 4-byte Folded Spill
.LBB162_218:                            ;   in Loop: Header=BB162_40 Depth=1
	s_or_b64 exec, exec, s[10:11]
	v_lshlrev_b32_e32 v2, 16, v3
	v_mul_f32_e32 v2, v35, v2
	v_and_b32_e32 v3, 0x7f800000, v2
	v_cmp_ne_u32_e64 s[4:5], s19, v3
                                        ; implicit-def: $vgpr3
                                        ; kill: killed $vgpr3
	s_and_saveexec_b64 s[10:11], s[4:5]
	s_xor_b64 s[4:5], exec, s[10:11]
	s_cbranch_execz .LBB162_220
; %bb.219:                              ;   in Loop: Header=BB162_40 Depth=1
	v_bfe_u32 v3, v2, 16, 1
	v_add3_u32 v2, v2, v3, s20
	scratch_store_dword off, v2, s32 offset:448 ; 4-byte Folded Spill
                                        ; implicit-def: $vgpr2
.LBB162_220:                            ;   in Loop: Header=BB162_40 Depth=1
	s_andn2_saveexec_b64 s[10:11], s[4:5]
	s_cbranch_execz .LBB162_222
; %bb.221:                              ;   in Loop: Header=BB162_40 Depth=1
	v_or_b32_e32 v3, 0x10000, v2
	v_cmp_eq_u32_sdwa s[4:5], v2, v31 src0_sel:WORD_0 src1_sel:DWORD
	s_nop 1
	v_cndmask_b32_e64 v2, v3, v2, s[4:5]
	scratch_store_dword off, v2, s32 offset:448 ; 4-byte Folded Spill
.LBB162_222:                            ;   in Loop: Header=BB162_40 Depth=1
	s_or_b64 exec, exec, s[10:11]
	v_lshlrev_b32_e32 v2, 16, v10
	v_mul_f32_e32 v2, v36, v2
	v_and_b32_e32 v3, 0x7f800000, v2
	v_cmp_ne_u32_e64 s[4:5], s19, v3
                                        ; implicit-def: $vgpr3
                                        ; kill: killed $vgpr3
	;; [unrolled: 25-line block ×3, first 2 shown]
	s_and_saveexec_b64 s[10:11], s[4:5]
	s_xor_b64 s[4:5], exec, s[10:11]
	s_cbranch_execz .LBB162_228
; %bb.227:                              ;   in Loop: Header=BB162_40 Depth=1
	v_bfe_u32 v3, v2, 16, 1
	v_add3_u32 v2, v2, v3, s20
	scratch_store_dword off, v2, s32 offset:456 ; 4-byte Folded Spill
                                        ; implicit-def: $vgpr2
.LBB162_228:                            ;   in Loop: Header=BB162_40 Depth=1
	s_andn2_saveexec_b64 s[10:11], s[4:5]
	s_cbranch_execz .LBB162_230
; %bb.229:                              ;   in Loop: Header=BB162_40 Depth=1
	v_or_b32_e32 v3, 0x10000, v2
	v_cmp_eq_u32_sdwa s[4:5], v2, v31 src0_sel:WORD_0 src1_sel:DWORD
	s_nop 1
	v_cndmask_b32_e64 v2, v3, v2, s[4:5]
	scratch_store_dword off, v2, s32 offset:456 ; 4-byte Folded Spill
.LBB162_230:                            ;   in Loop: Header=BB162_40 Depth=1
	s_or_b64 exec, exec, s[10:11]
	v_lshlrev_b32_e32 v2, 16, v9
	v_mul_f32_e32 v2, v38, v2
	v_and_b32_e32 v3, 0x7f800000, v2
	v_cmp_ne_u32_e64 s[4:5], s19, v3
                                        ; implicit-def: $agpr12
	s_and_saveexec_b64 s[10:11], s[4:5]
	s_xor_b64 s[4:5], exec, s[10:11]
; %bb.231:                              ;   in Loop: Header=BB162_40 Depth=1
	v_bfe_u32 v3, v2, 16, 1
	v_add3_u32 v2, v2, v3, s20
	v_accvgpr_write_b32 a12, v2
                                        ; implicit-def: $vgpr2
; %bb.232:                              ;   in Loop: Header=BB162_40 Depth=1
	s_andn2_saveexec_b64 s[10:11], s[4:5]
; %bb.233:                              ;   in Loop: Header=BB162_40 Depth=1
	v_or_b32_e32 v3, 0x10000, v2
	v_cmp_eq_u32_sdwa s[4:5], v2, v31 src0_sel:WORD_0 src1_sel:DWORD
	s_nop 1
	v_cndmask_b32_e64 v2, v3, v2, s[4:5]
	v_accvgpr_write_b32 a12, v2
; %bb.234:                              ;   in Loop: Header=BB162_40 Depth=1
	s_or_b64 exec, exec, s[10:11]
	v_lshlrev_b32_e32 v2, 16, v5
	v_mul_f32_e32 v2, v39, v2
	v_and_b32_e32 v3, 0x7f800000, v2
	v_cmp_ne_u32_e64 s[4:5], s19, v3
                                        ; implicit-def: $agpr3
	s_and_saveexec_b64 s[10:11], s[4:5]
	s_xor_b64 s[4:5], exec, s[10:11]
; %bb.235:                              ;   in Loop: Header=BB162_40 Depth=1
	v_bfe_u32 v3, v2, 16, 1
	v_add3_u32 v2, v2, v3, s20
	v_accvgpr_write_b32 a3, v2
                                        ; implicit-def: $vgpr2
; %bb.236:                              ;   in Loop: Header=BB162_40 Depth=1
	s_andn2_saveexec_b64 s[10:11], s[4:5]
; %bb.237:                              ;   in Loop: Header=BB162_40 Depth=1
	v_or_b32_e32 v3, 0x10000, v2
	v_cmp_eq_u32_sdwa s[4:5], v2, v31 src0_sel:WORD_0 src1_sel:DWORD
	s_nop 1
	v_cndmask_b32_e64 v2, v3, v2, s[4:5]
	v_accvgpr_write_b32 a3, v2
; %bb.238:                              ;   in Loop: Header=BB162_40 Depth=1
	s_or_b64 exec, exec, s[10:11]
	v_lshlrev_b32_e32 v2, 16, v8
	v_mul_f32_e32 v2, v48, v2
	v_and_b32_e32 v3, 0x7f800000, v2
	v_cmp_ne_u32_e64 s[4:5], s19, v3
                                        ; implicit-def: $agpr10
	s_and_saveexec_b64 s[10:11], s[4:5]
	s_xor_b64 s[4:5], exec, s[10:11]
; %bb.239:                              ;   in Loop: Header=BB162_40 Depth=1
	v_bfe_u32 v3, v2, 16, 1
	v_add3_u32 v2, v2, v3, s20
	v_accvgpr_write_b32 a10, v2
                                        ; implicit-def: $vgpr2
; %bb.240:                              ;   in Loop: Header=BB162_40 Depth=1
	s_andn2_saveexec_b64 s[10:11], s[4:5]
; %bb.241:                              ;   in Loop: Header=BB162_40 Depth=1
	v_or_b32_e32 v3, 0x10000, v2
	v_cmp_eq_u32_sdwa s[4:5], v2, v31 src0_sel:WORD_0 src1_sel:DWORD
	s_nop 1
	v_cndmask_b32_e64 v2, v3, v2, s[4:5]
	v_accvgpr_write_b32 a10, v2
; %bb.242:                              ;   in Loop: Header=BB162_40 Depth=1
	s_or_b64 exec, exec, s[10:11]
	scratch_load_dwordx2 v[2:3], off, s32 offset:216 ; 8-byte Folded Reload
	s_waitcnt vmcnt(0)
	v_mov_b32_e32 v3, v31
	v_mov_b32_e32 v4, v2
	v_lshl_add_u64 v[2:3], v[6:7], 0, v[2:3]
	scratch_store_dwordx2 off, v[4:5], s32 offset:216 ; 8-byte Folded Spill
	flat_load_dwordx4 v[2:5], v[2:3]
	s_waitcnt vmcnt(0) lgkmcnt(0)
	v_lshrrev_b32_e32 v11, 16, v2
	v_lshrrev_b32_e32 v10, 16, v3
	;; [unrolled: 1-line block ×4, first 2 shown]
	s_and_saveexec_b64 s[10:11], vcc
	s_cbranch_execz .LBB162_244
; %bb.243:                              ;   in Loop: Header=BB162_40 Depth=1
	v_accvgpr_read_b32 v17, a41
	v_cmp_lt_i32_e64 s[4:5], v17, v16
	v_accvgpr_read_b32 v17, a47
	s_nop 0
	v_cndmask_b32_e64 v2, 0, v2, s[4:5]
	v_cmp_lt_i32_e64 s[4:5], v17, v16
	v_accvgpr_read_b32 v17, a45
	s_nop 0
	v_cndmask_b32_e64 v11, 0, v11, s[4:5]
	;; [unrolled: 4-line block ×3, first 2 shown]
	v_cmp_lt_i32_e64 s[4:5], v54, v16
	s_nop 1
	v_cndmask_b32_e64 v10, 0, v10, s[4:5]
	v_cmp_lt_i32_e64 s[4:5], v17, v16
	v_accvgpr_read_b32 v17, a46
	s_nop 0
	v_cndmask_b32_e64 v4, 0, v4, s[4:5]
	v_cmp_lt_i32_e64 s[4:5], v46, v16
	s_nop 1
	v_cndmask_b32_e64 v9, 0, v9, s[4:5]
	v_cmp_lt_i32_e64 s[4:5], v17, v16
	;; [unrolled: 3-line block ×3, first 2 shown]
	s_nop 1
	v_cndmask_b32_e64 v8, 0, v8, s[4:5]
.LBB162_244:                            ;   in Loop: Header=BB162_40 Depth=1
	s_or_b64 exec, exec, s[10:11]
	v_lshlrev_b32_e32 v2, 16, v2
	v_mul_f32_e32 v2, v61, v2
	v_and_b32_e32 v17, 0x7f800000, v2
	v_cmp_ne_u32_e64 s[4:5], s19, v17
                                        ; implicit-def: $agpr11
	s_and_saveexec_b64 s[10:11], s[4:5]
	s_xor_b64 s[4:5], exec, s[10:11]
; %bb.245:                              ;   in Loop: Header=BB162_40 Depth=1
	v_bfe_u32 v17, v2, 16, 1
	v_add3_u32 v2, v2, v17, s20
	v_accvgpr_write_b32 a11, v2
                                        ; implicit-def: $vgpr2
; %bb.246:                              ;   in Loop: Header=BB162_40 Depth=1
	s_andn2_saveexec_b64 s[10:11], s[4:5]
; %bb.247:                              ;   in Loop: Header=BB162_40 Depth=1
	v_or_b32_e32 v17, 0x10000, v2
	v_cmp_eq_u32_sdwa s[4:5], v2, v31 src0_sel:WORD_0 src1_sel:DWORD
	s_nop 1
	v_cndmask_b32_e64 v2, v17, v2, s[4:5]
	v_accvgpr_write_b32 a11, v2
; %bb.248:                              ;   in Loop: Header=BB162_40 Depth=1
	s_or_b64 exec, exec, s[10:11]
	v_lshlrev_b32_e32 v2, 16, v11
	v_mul_f32_e32 v2, v34, v2
	v_and_b32_e32 v11, 0x7f800000, v2
	v_cmp_ne_u32_e64 s[4:5], s19, v11
                                        ; implicit-def: $agpr4
	s_and_saveexec_b64 s[10:11], s[4:5]
	s_xor_b64 s[4:5], exec, s[10:11]
; %bb.249:                              ;   in Loop: Header=BB162_40 Depth=1
	v_bfe_u32 v11, v2, 16, 1
	v_add3_u32 v2, v2, v11, s20
	v_accvgpr_write_b32 a4, v2
                                        ; implicit-def: $vgpr2
; %bb.250:                              ;   in Loop: Header=BB162_40 Depth=1
	s_andn2_saveexec_b64 s[10:11], s[4:5]
; %bb.251:                              ;   in Loop: Header=BB162_40 Depth=1
	v_or_b32_e32 v11, 0x10000, v2
	v_cmp_eq_u32_sdwa s[4:5], v2, v31 src0_sel:WORD_0 src1_sel:DWORD
	s_nop 1
	v_cndmask_b32_e64 v2, v11, v2, s[4:5]
	v_accvgpr_write_b32 a4, v2
; %bb.252:                              ;   in Loop: Header=BB162_40 Depth=1
	s_or_b64 exec, exec, s[10:11]
	v_lshlrev_b32_e32 v2, 16, v3
	v_mul_f32_e32 v2, v35, v2
	v_and_b32_e32 v3, 0x7f800000, v2
	v_cmp_ne_u32_e64 s[4:5], s19, v3
                                        ; implicit-def: $agpr14
	s_and_saveexec_b64 s[10:11], s[4:5]
	s_xor_b64 s[4:5], exec, s[10:11]
; %bb.253:                              ;   in Loop: Header=BB162_40 Depth=1
	v_bfe_u32 v3, v2, 16, 1
	v_add3_u32 v2, v2, v3, s20
	v_accvgpr_write_b32 a14, v2
                                        ; implicit-def: $vgpr2
; %bb.254:                              ;   in Loop: Header=BB162_40 Depth=1
	s_andn2_saveexec_b64 s[10:11], s[4:5]
; %bb.255:                              ;   in Loop: Header=BB162_40 Depth=1
	v_or_b32_e32 v3, 0x10000, v2
	v_cmp_eq_u32_sdwa s[4:5], v2, v31 src0_sel:WORD_0 src1_sel:DWORD
	s_nop 1
	v_cndmask_b32_e64 v2, v3, v2, s[4:5]
	v_accvgpr_write_b32 a14, v2
; %bb.256:                              ;   in Loop: Header=BB162_40 Depth=1
	s_or_b64 exec, exec, s[10:11]
	v_lshlrev_b32_e32 v2, 16, v10
	v_mul_f32_e32 v2, v36, v2
	v_and_b32_e32 v3, 0x7f800000, v2
	v_cmp_ne_u32_e64 s[4:5], s19, v3
                                        ; implicit-def: $agpr15
	s_and_saveexec_b64 s[10:11], s[4:5]
	s_xor_b64 s[4:5], exec, s[10:11]
; %bb.257:                              ;   in Loop: Header=BB162_40 Depth=1
	v_bfe_u32 v3, v2, 16, 1
	v_add3_u32 v2, v2, v3, s20
	v_accvgpr_write_b32 a15, v2
                                        ; implicit-def: $vgpr2
; %bb.258:                              ;   in Loop: Header=BB162_40 Depth=1
	s_andn2_saveexec_b64 s[10:11], s[4:5]
; %bb.259:                              ;   in Loop: Header=BB162_40 Depth=1
	v_or_b32_e32 v3, 0x10000, v2
	v_cmp_eq_u32_sdwa s[4:5], v2, v31 src0_sel:WORD_0 src1_sel:DWORD
	s_nop 1
	v_cndmask_b32_e64 v2, v3, v2, s[4:5]
	v_accvgpr_write_b32 a15, v2
; %bb.260:                              ;   in Loop: Header=BB162_40 Depth=1
	s_or_b64 exec, exec, s[10:11]
	v_lshlrev_b32_e32 v2, 16, v4
	v_mul_f32_e32 v2, v37, v2
	v_and_b32_e32 v3, 0x7f800000, v2
	v_cmp_ne_u32_e64 s[4:5], s19, v3
                                        ; implicit-def: $agpr16
	s_and_saveexec_b64 s[10:11], s[4:5]
	s_xor_b64 s[4:5], exec, s[10:11]
; %bb.261:                              ;   in Loop: Header=BB162_40 Depth=1
	v_bfe_u32 v3, v2, 16, 1
	v_add3_u32 v2, v2, v3, s20
	v_accvgpr_write_b32 a16, v2
                                        ; implicit-def: $vgpr2
; %bb.262:                              ;   in Loop: Header=BB162_40 Depth=1
	s_andn2_saveexec_b64 s[10:11], s[4:5]
; %bb.263:                              ;   in Loop: Header=BB162_40 Depth=1
	v_or_b32_e32 v3, 0x10000, v2
	v_cmp_eq_u32_sdwa s[4:5], v2, v31 src0_sel:WORD_0 src1_sel:DWORD
	s_nop 1
	v_cndmask_b32_e64 v2, v3, v2, s[4:5]
	v_accvgpr_write_b32 a16, v2
; %bb.264:                              ;   in Loop: Header=BB162_40 Depth=1
	s_or_b64 exec, exec, s[10:11]
	v_lshlrev_b32_e32 v2, 16, v9
	v_mul_f32_e32 v2, v38, v2
	v_and_b32_e32 v3, 0x7f800000, v2
	v_cmp_ne_u32_e64 s[4:5], s19, v3
                                        ; implicit-def: $agpr18
	s_and_saveexec_b64 s[10:11], s[4:5]
	s_xor_b64 s[4:5], exec, s[10:11]
; %bb.265:                              ;   in Loop: Header=BB162_40 Depth=1
	v_bfe_u32 v3, v2, 16, 1
	v_add3_u32 v2, v2, v3, s20
	v_accvgpr_write_b32 a18, v2
                                        ; implicit-def: $vgpr2
; %bb.266:                              ;   in Loop: Header=BB162_40 Depth=1
	s_andn2_saveexec_b64 s[10:11], s[4:5]
; %bb.267:                              ;   in Loop: Header=BB162_40 Depth=1
	v_or_b32_e32 v3, 0x10000, v2
	v_cmp_eq_u32_sdwa s[4:5], v2, v31 src0_sel:WORD_0 src1_sel:DWORD
	s_nop 1
	v_cndmask_b32_e64 v2, v3, v2, s[4:5]
	v_accvgpr_write_b32 a18, v2
; %bb.268:                              ;   in Loop: Header=BB162_40 Depth=1
	s_or_b64 exec, exec, s[10:11]
	v_lshlrev_b32_e32 v2, 16, v5
	v_mul_f32_e32 v2, v39, v2
	v_and_b32_e32 v3, 0x7f800000, v2
	v_cmp_ne_u32_e64 s[4:5], s19, v3
                                        ; implicit-def: $agpr20
	s_and_saveexec_b64 s[10:11], s[4:5]
	s_xor_b64 s[4:5], exec, s[10:11]
; %bb.269:                              ;   in Loop: Header=BB162_40 Depth=1
	v_bfe_u32 v3, v2, 16, 1
	v_add3_u32 v2, v2, v3, s20
	v_accvgpr_write_b32 a20, v2
                                        ; implicit-def: $vgpr2
; %bb.270:                              ;   in Loop: Header=BB162_40 Depth=1
	s_andn2_saveexec_b64 s[10:11], s[4:5]
; %bb.271:                              ;   in Loop: Header=BB162_40 Depth=1
	v_or_b32_e32 v3, 0x10000, v2
	v_cmp_eq_u32_sdwa s[4:5], v2, v31 src0_sel:WORD_0 src1_sel:DWORD
	s_nop 1
	v_cndmask_b32_e64 v2, v3, v2, s[4:5]
	v_accvgpr_write_b32 a20, v2
; %bb.272:                              ;   in Loop: Header=BB162_40 Depth=1
	s_or_b64 exec, exec, s[10:11]
	v_lshlrev_b32_e32 v2, 16, v8
	v_mul_f32_e32 v2, v48, v2
	v_and_b32_e32 v3, 0x7f800000, v2
	v_cmp_ne_u32_e64 s[4:5], s19, v3
                                        ; implicit-def: $agpr22
	s_and_saveexec_b64 s[10:11], s[4:5]
	s_xor_b64 s[4:5], exec, s[10:11]
; %bb.273:                              ;   in Loop: Header=BB162_40 Depth=1
	v_bfe_u32 v3, v2, 16, 1
	v_add3_u32 v2, v2, v3, s20
	v_accvgpr_write_b32 a22, v2
                                        ; implicit-def: $vgpr2
; %bb.274:                              ;   in Loop: Header=BB162_40 Depth=1
	s_andn2_saveexec_b64 s[10:11], s[4:5]
; %bb.275:                              ;   in Loop: Header=BB162_40 Depth=1
	v_or_b32_e32 v3, 0x10000, v2
	v_cmp_eq_u32_sdwa s[4:5], v2, v31 src0_sel:WORD_0 src1_sel:DWORD
	s_nop 1
	v_cndmask_b32_e64 v2, v3, v2, s[4:5]
	v_accvgpr_write_b32 a22, v2
; %bb.276:                              ;   in Loop: Header=BB162_40 Depth=1
	s_or_b64 exec, exec, s[10:11]
	scratch_load_dwordx2 v[2:3], off, s32 offset:224 ; 8-byte Folded Reload
	s_waitcnt vmcnt(0)
	v_mov_b32_e32 v3, v31
	v_mov_b32_e32 v4, v2
	v_lshl_add_u64 v[2:3], v[6:7], 0, v[2:3]
	scratch_store_dwordx2 off, v[4:5], s32 offset:224 ; 8-byte Folded Spill
	flat_load_dwordx4 v[2:5], v[2:3]
	s_waitcnt vmcnt(0) lgkmcnt(0)
	v_lshrrev_b32_e32 v11, 16, v2
	v_lshrrev_b32_e32 v10, 16, v3
	;; [unrolled: 1-line block ×4, first 2 shown]
	s_and_saveexec_b64 s[10:11], vcc
	s_cbranch_execz .LBB162_278
; %bb.277:                              ;   in Loop: Header=BB162_40 Depth=1
	v_accvgpr_read_b32 v17, a41
	v_cmp_lt_i32_e64 s[4:5], v17, v16
	v_accvgpr_read_b32 v17, a47
	s_nop 0
	v_cndmask_b32_e64 v2, 0, v2, s[4:5]
	v_cmp_lt_i32_e64 s[4:5], v17, v16
	v_accvgpr_read_b32 v17, a45
	s_nop 0
	v_cndmask_b32_e64 v11, 0, v11, s[4:5]
	;; [unrolled: 4-line block ×3, first 2 shown]
	v_cmp_lt_i32_e64 s[4:5], v54, v16
	s_nop 1
	v_cndmask_b32_e64 v10, 0, v10, s[4:5]
	v_cmp_lt_i32_e64 s[4:5], v17, v16
	v_accvgpr_read_b32 v17, a46
	s_nop 0
	v_cndmask_b32_e64 v4, 0, v4, s[4:5]
	v_cmp_lt_i32_e64 s[4:5], v46, v16
	s_nop 1
	v_cndmask_b32_e64 v9, 0, v9, s[4:5]
	v_cmp_lt_i32_e64 s[4:5], v17, v16
	;; [unrolled: 3-line block ×3, first 2 shown]
	s_nop 1
	v_cndmask_b32_e64 v8, 0, v8, s[4:5]
.LBB162_278:                            ;   in Loop: Header=BB162_40 Depth=1
	s_or_b64 exec, exec, s[10:11]
	v_lshlrev_b32_e32 v2, 16, v2
	v_mul_f32_e32 v2, v61, v2
	v_and_b32_e32 v17, 0x7f800000, v2
	v_cmp_ne_u32_e64 s[4:5], s19, v17
                                        ; implicit-def: $agpr24
	s_and_saveexec_b64 s[10:11], s[4:5]
	s_xor_b64 s[4:5], exec, s[10:11]
; %bb.279:                              ;   in Loop: Header=BB162_40 Depth=1
	v_bfe_u32 v17, v2, 16, 1
	v_add3_u32 v2, v2, v17, s20
	v_accvgpr_write_b32 a24, v2
                                        ; implicit-def: $vgpr2
; %bb.280:                              ;   in Loop: Header=BB162_40 Depth=1
	s_andn2_saveexec_b64 s[10:11], s[4:5]
; %bb.281:                              ;   in Loop: Header=BB162_40 Depth=1
	v_or_b32_e32 v17, 0x10000, v2
	v_cmp_eq_u32_sdwa s[4:5], v2, v31 src0_sel:WORD_0 src1_sel:DWORD
	s_nop 1
	v_cndmask_b32_e64 v2, v17, v2, s[4:5]
	v_accvgpr_write_b32 a24, v2
; %bb.282:                              ;   in Loop: Header=BB162_40 Depth=1
	s_or_b64 exec, exec, s[10:11]
	v_lshlrev_b32_e32 v2, 16, v11
	v_mul_f32_e32 v2, v34, v2
	v_and_b32_e32 v11, 0x7f800000, v2
	v_cmp_ne_u32_e64 s[4:5], s19, v11
                                        ; implicit-def: $agpr26
	s_and_saveexec_b64 s[10:11], s[4:5]
	s_xor_b64 s[4:5], exec, s[10:11]
; %bb.283:                              ;   in Loop: Header=BB162_40 Depth=1
	v_bfe_u32 v11, v2, 16, 1
	v_add3_u32 v2, v2, v11, s20
	v_accvgpr_write_b32 a26, v2
                                        ; implicit-def: $vgpr2
; %bb.284:                              ;   in Loop: Header=BB162_40 Depth=1
	s_andn2_saveexec_b64 s[10:11], s[4:5]
; %bb.285:                              ;   in Loop: Header=BB162_40 Depth=1
	v_or_b32_e32 v11, 0x10000, v2
	v_cmp_eq_u32_sdwa s[4:5], v2, v31 src0_sel:WORD_0 src1_sel:DWORD
	s_nop 1
	v_cndmask_b32_e64 v2, v11, v2, s[4:5]
	v_accvgpr_write_b32 a26, v2
; %bb.286:                              ;   in Loop: Header=BB162_40 Depth=1
	s_or_b64 exec, exec, s[10:11]
	v_lshlrev_b32_e32 v2, 16, v3
	v_mul_f32_e32 v2, v35, v2
	v_and_b32_e32 v3, 0x7f800000, v2
	v_cmp_ne_u32_e64 s[4:5], s19, v3
                                        ; implicit-def: $agpr28
	s_and_saveexec_b64 s[10:11], s[4:5]
	s_xor_b64 s[4:5], exec, s[10:11]
; %bb.287:                              ;   in Loop: Header=BB162_40 Depth=1
	v_bfe_u32 v3, v2, 16, 1
	v_add3_u32 v2, v2, v3, s20
	v_accvgpr_write_b32 a28, v2
                                        ; implicit-def: $vgpr2
; %bb.288:                              ;   in Loop: Header=BB162_40 Depth=1
	s_andn2_saveexec_b64 s[10:11], s[4:5]
; %bb.289:                              ;   in Loop: Header=BB162_40 Depth=1
	v_or_b32_e32 v3, 0x10000, v2
	v_cmp_eq_u32_sdwa s[4:5], v2, v31 src0_sel:WORD_0 src1_sel:DWORD
	s_nop 1
	v_cndmask_b32_e64 v2, v3, v2, s[4:5]
	v_accvgpr_write_b32 a28, v2
; %bb.290:                              ;   in Loop: Header=BB162_40 Depth=1
	s_or_b64 exec, exec, s[10:11]
	v_lshlrev_b32_e32 v2, 16, v10
	v_mul_f32_e32 v2, v36, v2
	v_and_b32_e32 v3, 0x7f800000, v2
	v_cmp_ne_u32_e64 s[4:5], s19, v3
                                        ; implicit-def: $agpr30
	s_and_saveexec_b64 s[10:11], s[4:5]
	s_xor_b64 s[4:5], exec, s[10:11]
; %bb.291:                              ;   in Loop: Header=BB162_40 Depth=1
	v_bfe_u32 v3, v2, 16, 1
	v_add3_u32 v2, v2, v3, s20
	v_accvgpr_write_b32 a30, v2
                                        ; implicit-def: $vgpr2
; %bb.292:                              ;   in Loop: Header=BB162_40 Depth=1
	s_andn2_saveexec_b64 s[10:11], s[4:5]
; %bb.293:                              ;   in Loop: Header=BB162_40 Depth=1
	v_or_b32_e32 v3, 0x10000, v2
	v_cmp_eq_u32_sdwa s[4:5], v2, v31 src0_sel:WORD_0 src1_sel:DWORD
	s_nop 1
	v_cndmask_b32_e64 v2, v3, v2, s[4:5]
	v_accvgpr_write_b32 a30, v2
; %bb.294:                              ;   in Loop: Header=BB162_40 Depth=1
	s_or_b64 exec, exec, s[10:11]
	v_lshlrev_b32_e32 v2, 16, v4
	v_mul_f32_e32 v2, v37, v2
	v_and_b32_e32 v3, 0x7f800000, v2
	v_cmp_ne_u32_e64 s[4:5], s19, v3
                                        ; implicit-def: $agpr32
	s_and_saveexec_b64 s[10:11], s[4:5]
	s_xor_b64 s[4:5], exec, s[10:11]
; %bb.295:                              ;   in Loop: Header=BB162_40 Depth=1
	v_bfe_u32 v3, v2, 16, 1
	v_add3_u32 v2, v2, v3, s20
	v_accvgpr_write_b32 a32, v2
                                        ; implicit-def: $vgpr2
; %bb.296:                              ;   in Loop: Header=BB162_40 Depth=1
	s_andn2_saveexec_b64 s[10:11], s[4:5]
; %bb.297:                              ;   in Loop: Header=BB162_40 Depth=1
	v_or_b32_e32 v3, 0x10000, v2
	v_cmp_eq_u32_sdwa s[4:5], v2, v31 src0_sel:WORD_0 src1_sel:DWORD
	s_nop 1
	v_cndmask_b32_e64 v2, v3, v2, s[4:5]
	v_accvgpr_write_b32 a32, v2
; %bb.298:                              ;   in Loop: Header=BB162_40 Depth=1
	s_or_b64 exec, exec, s[10:11]
	v_lshlrev_b32_e32 v2, 16, v9
	v_mul_f32_e32 v2, v38, v2
	v_and_b32_e32 v3, 0x7f800000, v2
	v_cmp_ne_u32_e64 s[4:5], s19, v3
                                        ; implicit-def: $agpr34
	s_and_saveexec_b64 s[10:11], s[4:5]
	s_xor_b64 s[4:5], exec, s[10:11]
; %bb.299:                              ;   in Loop: Header=BB162_40 Depth=1
	v_bfe_u32 v3, v2, 16, 1
	v_add3_u32 v2, v2, v3, s20
	v_accvgpr_write_b32 a34, v2
                                        ; implicit-def: $vgpr2
; %bb.300:                              ;   in Loop: Header=BB162_40 Depth=1
	s_andn2_saveexec_b64 s[10:11], s[4:5]
; %bb.301:                              ;   in Loop: Header=BB162_40 Depth=1
	v_or_b32_e32 v3, 0x10000, v2
	v_cmp_eq_u32_sdwa s[4:5], v2, v31 src0_sel:WORD_0 src1_sel:DWORD
	s_nop 1
	v_cndmask_b32_e64 v2, v3, v2, s[4:5]
	v_accvgpr_write_b32 a34, v2
; %bb.302:                              ;   in Loop: Header=BB162_40 Depth=1
	s_or_b64 exec, exec, s[10:11]
	v_lshlrev_b32_e32 v2, 16, v5
	v_mul_f32_e32 v2, v39, v2
	v_and_b32_e32 v3, 0x7f800000, v2
	v_cmp_ne_u32_e64 s[4:5], s19, v3
                                        ; implicit-def: $agpr36
	s_and_saveexec_b64 s[10:11], s[4:5]
	s_xor_b64 s[4:5], exec, s[10:11]
; %bb.303:                              ;   in Loop: Header=BB162_40 Depth=1
	v_bfe_u32 v3, v2, 16, 1
	v_add3_u32 v2, v2, v3, s20
	v_accvgpr_write_b32 a36, v2
                                        ; implicit-def: $vgpr2
; %bb.304:                              ;   in Loop: Header=BB162_40 Depth=1
	s_andn2_saveexec_b64 s[10:11], s[4:5]
; %bb.305:                              ;   in Loop: Header=BB162_40 Depth=1
	v_or_b32_e32 v3, 0x10000, v2
	v_cmp_eq_u32_sdwa s[4:5], v2, v31 src0_sel:WORD_0 src1_sel:DWORD
	s_nop 1
	v_cndmask_b32_e64 v2, v3, v2, s[4:5]
	v_accvgpr_write_b32 a36, v2
; %bb.306:                              ;   in Loop: Header=BB162_40 Depth=1
	s_or_b64 exec, exec, s[10:11]
	v_lshlrev_b32_e32 v2, 16, v8
	v_mul_f32_e32 v2, v48, v2
	v_and_b32_e32 v3, 0x7f800000, v2
	v_cmp_ne_u32_e64 s[4:5], s19, v3
                                        ; implicit-def: $agpr38
	s_and_saveexec_b64 s[10:11], s[4:5]
	s_xor_b64 s[4:5], exec, s[10:11]
; %bb.307:                              ;   in Loop: Header=BB162_40 Depth=1
	v_bfe_u32 v3, v2, 16, 1
	v_add3_u32 v2, v2, v3, s20
	v_accvgpr_write_b32 a38, v2
                                        ; implicit-def: $vgpr2
; %bb.308:                              ;   in Loop: Header=BB162_40 Depth=1
	s_andn2_saveexec_b64 s[10:11], s[4:5]
; %bb.309:                              ;   in Loop: Header=BB162_40 Depth=1
	v_or_b32_e32 v3, 0x10000, v2
	v_cmp_eq_u32_sdwa s[4:5], v2, v31 src0_sel:WORD_0 src1_sel:DWORD
	s_nop 1
	v_cndmask_b32_e64 v2, v3, v2, s[4:5]
	v_accvgpr_write_b32 a38, v2
; %bb.310:                              ;   in Loop: Header=BB162_40 Depth=1
	s_or_b64 exec, exec, s[10:11]
	scratch_load_dwordx2 v[2:3], off, s32 offset:232 ; 8-byte Folded Reload
	s_waitcnt vmcnt(0)
	v_mov_b32_e32 v3, v31
	v_mov_b32_e32 v4, v2
	v_lshl_add_u64 v[2:3], v[6:7], 0, v[2:3]
	scratch_store_dwordx2 off, v[4:5], s32 offset:232 ; 8-byte Folded Spill
	flat_load_dwordx4 v[2:5], v[2:3]
	s_waitcnt vmcnt(0) lgkmcnt(0)
	v_lshrrev_b32_e32 v11, 16, v2
	v_lshrrev_b32_e32 v10, 16, v3
	;; [unrolled: 1-line block ×4, first 2 shown]
	s_and_saveexec_b64 s[10:11], vcc
	s_cbranch_execz .LBB162_312
; %bb.311:                              ;   in Loop: Header=BB162_40 Depth=1
	v_accvgpr_read_b32 v17, a41
	v_cmp_lt_i32_e64 s[4:5], v17, v16
	v_accvgpr_read_b32 v17, a47
	s_nop 0
	v_cndmask_b32_e64 v2, 0, v2, s[4:5]
	v_cmp_lt_i32_e64 s[4:5], v17, v16
	v_accvgpr_read_b32 v17, a45
	s_nop 0
	v_cndmask_b32_e64 v11, 0, v11, s[4:5]
	;; [unrolled: 4-line block ×3, first 2 shown]
	v_cmp_lt_i32_e64 s[4:5], v54, v16
	s_nop 1
	v_cndmask_b32_e64 v10, 0, v10, s[4:5]
	v_cmp_lt_i32_e64 s[4:5], v17, v16
	v_accvgpr_read_b32 v17, a46
	s_nop 0
	v_cndmask_b32_e64 v4, 0, v4, s[4:5]
	v_cmp_lt_i32_e64 s[4:5], v46, v16
	s_nop 1
	v_cndmask_b32_e64 v9, 0, v9, s[4:5]
	v_cmp_lt_i32_e64 s[4:5], v17, v16
	;; [unrolled: 3-line block ×3, first 2 shown]
	s_nop 1
	v_cndmask_b32_e64 v8, 0, v8, s[4:5]
.LBB162_312:                            ;   in Loop: Header=BB162_40 Depth=1
	s_or_b64 exec, exec, s[10:11]
	v_lshlrev_b32_e32 v2, 16, v2
	v_mul_f32_e32 v2, v61, v2
	v_and_b32_e32 v17, 0x7f800000, v2
	v_cmp_ne_u32_e64 s[4:5], s19, v17
                                        ; implicit-def: $agpr5
	s_and_saveexec_b64 s[10:11], s[4:5]
	s_xor_b64 s[4:5], exec, s[10:11]
; %bb.313:                              ;   in Loop: Header=BB162_40 Depth=1
	v_bfe_u32 v17, v2, 16, 1
	v_add3_u32 v2, v2, v17, s20
	v_accvgpr_write_b32 a5, v2
                                        ; implicit-def: $vgpr2
; %bb.314:                              ;   in Loop: Header=BB162_40 Depth=1
	s_andn2_saveexec_b64 s[10:11], s[4:5]
; %bb.315:                              ;   in Loop: Header=BB162_40 Depth=1
	v_or_b32_e32 v17, 0x10000, v2
	v_cmp_eq_u32_sdwa s[4:5], v2, v31 src0_sel:WORD_0 src1_sel:DWORD
	s_nop 1
	v_cndmask_b32_e64 v2, v17, v2, s[4:5]
	v_accvgpr_write_b32 a5, v2
; %bb.316:                              ;   in Loop: Header=BB162_40 Depth=1
	s_or_b64 exec, exec, s[10:11]
	v_lshlrev_b32_e32 v2, 16, v11
	v_mul_f32_e32 v2, v34, v2
	v_and_b32_e32 v11, 0x7f800000, v2
	v_cmp_ne_u32_e64 s[4:5], s19, v11
                                        ; implicit-def: $agpr13
	s_and_saveexec_b64 s[10:11], s[4:5]
	s_xor_b64 s[4:5], exec, s[10:11]
; %bb.317:                              ;   in Loop: Header=BB162_40 Depth=1
	v_bfe_u32 v11, v2, 16, 1
	v_add3_u32 v2, v2, v11, s20
	v_accvgpr_write_b32 a13, v2
                                        ; implicit-def: $vgpr2
; %bb.318:                              ;   in Loop: Header=BB162_40 Depth=1
	s_andn2_saveexec_b64 s[10:11], s[4:5]
; %bb.319:                              ;   in Loop: Header=BB162_40 Depth=1
	v_or_b32_e32 v11, 0x10000, v2
	v_cmp_eq_u32_sdwa s[4:5], v2, v31 src0_sel:WORD_0 src1_sel:DWORD
	s_nop 1
	v_cndmask_b32_e64 v2, v11, v2, s[4:5]
	v_accvgpr_write_b32 a13, v2
; %bb.320:                              ;   in Loop: Header=BB162_40 Depth=1
	s_or_b64 exec, exec, s[10:11]
	v_lshlrev_b32_e32 v2, 16, v3
	v_mul_f32_e32 v2, v35, v2
	v_and_b32_e32 v3, 0x7f800000, v2
	v_cmp_ne_u32_e64 s[4:5], s19, v3
                                        ; implicit-def: $agpr17
	s_and_saveexec_b64 s[10:11], s[4:5]
	s_xor_b64 s[4:5], exec, s[10:11]
; %bb.321:                              ;   in Loop: Header=BB162_40 Depth=1
	v_bfe_u32 v3, v2, 16, 1
	v_add3_u32 v2, v2, v3, s20
	v_accvgpr_write_b32 a17, v2
                                        ; implicit-def: $vgpr2
; %bb.322:                              ;   in Loop: Header=BB162_40 Depth=1
	s_andn2_saveexec_b64 s[10:11], s[4:5]
; %bb.323:                              ;   in Loop: Header=BB162_40 Depth=1
	v_or_b32_e32 v3, 0x10000, v2
	v_cmp_eq_u32_sdwa s[4:5], v2, v31 src0_sel:WORD_0 src1_sel:DWORD
	s_nop 1
	v_cndmask_b32_e64 v2, v3, v2, s[4:5]
	v_accvgpr_write_b32 a17, v2
; %bb.324:                              ;   in Loop: Header=BB162_40 Depth=1
	s_or_b64 exec, exec, s[10:11]
	v_lshlrev_b32_e32 v2, 16, v10
	v_mul_f32_e32 v2, v36, v2
	v_and_b32_e32 v3, 0x7f800000, v2
	v_cmp_ne_u32_e64 s[4:5], s19, v3
                                        ; implicit-def: $agpr19
	s_and_saveexec_b64 s[10:11], s[4:5]
	s_xor_b64 s[4:5], exec, s[10:11]
; %bb.325:                              ;   in Loop: Header=BB162_40 Depth=1
	v_bfe_u32 v3, v2, 16, 1
	v_add3_u32 v2, v2, v3, s20
	v_accvgpr_write_b32 a19, v2
                                        ; implicit-def: $vgpr2
; %bb.326:                              ;   in Loop: Header=BB162_40 Depth=1
	s_andn2_saveexec_b64 s[10:11], s[4:5]
; %bb.327:                              ;   in Loop: Header=BB162_40 Depth=1
	v_or_b32_e32 v3, 0x10000, v2
	v_cmp_eq_u32_sdwa s[4:5], v2, v31 src0_sel:WORD_0 src1_sel:DWORD
	s_nop 1
	v_cndmask_b32_e64 v2, v3, v2, s[4:5]
	v_accvgpr_write_b32 a19, v2
; %bb.328:                              ;   in Loop: Header=BB162_40 Depth=1
	s_or_b64 exec, exec, s[10:11]
	v_lshlrev_b32_e32 v2, 16, v4
	v_mul_f32_e32 v2, v37, v2
	v_and_b32_e32 v3, 0x7f800000, v2
	v_cmp_ne_u32_e64 s[4:5], s19, v3
                                        ; implicit-def: $agpr21
	s_and_saveexec_b64 s[10:11], s[4:5]
	s_xor_b64 s[4:5], exec, s[10:11]
; %bb.329:                              ;   in Loop: Header=BB162_40 Depth=1
	v_bfe_u32 v3, v2, 16, 1
	v_add3_u32 v2, v2, v3, s20
	v_accvgpr_write_b32 a21, v2
                                        ; implicit-def: $vgpr2
; %bb.330:                              ;   in Loop: Header=BB162_40 Depth=1
	s_andn2_saveexec_b64 s[10:11], s[4:5]
; %bb.331:                              ;   in Loop: Header=BB162_40 Depth=1
	v_or_b32_e32 v3, 0x10000, v2
	v_cmp_eq_u32_sdwa s[4:5], v2, v31 src0_sel:WORD_0 src1_sel:DWORD
	s_nop 1
	v_cndmask_b32_e64 v2, v3, v2, s[4:5]
	v_accvgpr_write_b32 a21, v2
; %bb.332:                              ;   in Loop: Header=BB162_40 Depth=1
	s_or_b64 exec, exec, s[10:11]
	v_lshlrev_b32_e32 v2, 16, v9
	v_mul_f32_e32 v2, v38, v2
	v_and_b32_e32 v3, 0x7f800000, v2
	v_cmp_ne_u32_e64 s[4:5], s19, v3
                                        ; implicit-def: $agpr23
	s_and_saveexec_b64 s[10:11], s[4:5]
	s_xor_b64 s[4:5], exec, s[10:11]
; %bb.333:                              ;   in Loop: Header=BB162_40 Depth=1
	v_bfe_u32 v3, v2, 16, 1
	v_add3_u32 v2, v2, v3, s20
	v_accvgpr_write_b32 a23, v2
                                        ; implicit-def: $vgpr2
; %bb.334:                              ;   in Loop: Header=BB162_40 Depth=1
	s_andn2_saveexec_b64 s[10:11], s[4:5]
; %bb.335:                              ;   in Loop: Header=BB162_40 Depth=1
	v_or_b32_e32 v3, 0x10000, v2
	v_cmp_eq_u32_sdwa s[4:5], v2, v31 src0_sel:WORD_0 src1_sel:DWORD
	s_nop 1
	v_cndmask_b32_e64 v2, v3, v2, s[4:5]
	v_accvgpr_write_b32 a23, v2
; %bb.336:                              ;   in Loop: Header=BB162_40 Depth=1
	s_or_b64 exec, exec, s[10:11]
	v_lshlrev_b32_e32 v2, 16, v5
	v_mul_f32_e32 v2, v39, v2
	v_and_b32_e32 v3, 0x7f800000, v2
	v_cmp_ne_u32_e64 s[4:5], s19, v3
                                        ; implicit-def: $agpr25
	s_and_saveexec_b64 s[10:11], s[4:5]
	s_xor_b64 s[4:5], exec, s[10:11]
; %bb.337:                              ;   in Loop: Header=BB162_40 Depth=1
	v_bfe_u32 v3, v2, 16, 1
	v_add3_u32 v2, v2, v3, s20
	v_accvgpr_write_b32 a25, v2
                                        ; implicit-def: $vgpr2
; %bb.338:                              ;   in Loop: Header=BB162_40 Depth=1
	s_andn2_saveexec_b64 s[10:11], s[4:5]
; %bb.339:                              ;   in Loop: Header=BB162_40 Depth=1
	v_or_b32_e32 v3, 0x10000, v2
	v_cmp_eq_u32_sdwa s[4:5], v2, v31 src0_sel:WORD_0 src1_sel:DWORD
	s_nop 1
	v_cndmask_b32_e64 v2, v3, v2, s[4:5]
	v_accvgpr_write_b32 a25, v2
; %bb.340:                              ;   in Loop: Header=BB162_40 Depth=1
	s_or_b64 exec, exec, s[10:11]
	v_lshlrev_b32_e32 v2, 16, v8
	v_mul_f32_e32 v2, v48, v2
	v_and_b32_e32 v3, 0x7f800000, v2
	v_cmp_ne_u32_e64 s[4:5], s19, v3
                                        ; implicit-def: $agpr27
	s_and_saveexec_b64 s[10:11], s[4:5]
	s_xor_b64 s[4:5], exec, s[10:11]
; %bb.341:                              ;   in Loop: Header=BB162_40 Depth=1
	v_bfe_u32 v3, v2, 16, 1
	v_add3_u32 v2, v2, v3, s20
	v_accvgpr_write_b32 a27, v2
                                        ; implicit-def: $vgpr2
; %bb.342:                              ;   in Loop: Header=BB162_40 Depth=1
	s_andn2_saveexec_b64 s[10:11], s[4:5]
; %bb.343:                              ;   in Loop: Header=BB162_40 Depth=1
	v_or_b32_e32 v3, 0x10000, v2
	v_cmp_eq_u32_sdwa s[4:5], v2, v31 src0_sel:WORD_0 src1_sel:DWORD
	s_nop 1
	v_cndmask_b32_e64 v2, v3, v2, s[4:5]
	v_accvgpr_write_b32 a27, v2
; %bb.344:                              ;   in Loop: Header=BB162_40 Depth=1
	s_or_b64 exec, exec, s[10:11]
	scratch_load_dwordx2 v[2:3], off, s32 offset:240 ; 8-byte Folded Reload
	s_waitcnt vmcnt(0)
	v_mov_b32_e32 v3, v31
	v_mov_b32_e32 v4, v2
	v_lshl_add_u64 v[2:3], v[6:7], 0, v[2:3]
	scratch_store_dwordx2 off, v[4:5], s32 offset:240 ; 8-byte Folded Spill
	flat_load_dwordx4 v[2:5], v[2:3]
	s_waitcnt vmcnt(0) lgkmcnt(0)
	v_lshrrev_b32_e32 v11, 16, v2
	v_lshrrev_b32_e32 v10, 16, v3
	v_lshrrev_b32_e32 v9, 16, v4
	v_lshrrev_b32_e32 v8, 16, v5
	s_and_saveexec_b64 s[10:11], vcc
	s_cbranch_execz .LBB162_346
; %bb.345:                              ;   in Loop: Header=BB162_40 Depth=1
	v_accvgpr_read_b32 v17, a41
	v_cmp_lt_i32_e64 s[4:5], v17, v16
	v_accvgpr_read_b32 v17, a47
	s_nop 0
	v_cndmask_b32_e64 v2, 0, v2, s[4:5]
	v_cmp_lt_i32_e64 s[4:5], v17, v16
	v_accvgpr_read_b32 v17, a45
	s_nop 0
	v_cndmask_b32_e64 v11, 0, v11, s[4:5]
	;; [unrolled: 4-line block ×3, first 2 shown]
	v_cmp_lt_i32_e64 s[4:5], v54, v16
	s_nop 1
	v_cndmask_b32_e64 v10, 0, v10, s[4:5]
	v_cmp_lt_i32_e64 s[4:5], v17, v16
	v_accvgpr_read_b32 v17, a46
	s_nop 0
	v_cndmask_b32_e64 v4, 0, v4, s[4:5]
	v_cmp_lt_i32_e64 s[4:5], v46, v16
	s_nop 1
	v_cndmask_b32_e64 v9, 0, v9, s[4:5]
	v_cmp_lt_i32_e64 s[4:5], v17, v16
	;; [unrolled: 3-line block ×3, first 2 shown]
	s_nop 1
	v_cndmask_b32_e64 v8, 0, v8, s[4:5]
.LBB162_346:                            ;   in Loop: Header=BB162_40 Depth=1
	s_or_b64 exec, exec, s[10:11]
	v_lshlrev_b32_e32 v2, 16, v2
	v_mul_f32_e32 v2, v61, v2
	v_and_b32_e32 v17, 0x7f800000, v2
	v_cmp_ne_u32_e64 s[4:5], s19, v17
                                        ; implicit-def: $agpr29
	s_and_saveexec_b64 s[10:11], s[4:5]
	s_xor_b64 s[4:5], exec, s[10:11]
; %bb.347:                              ;   in Loop: Header=BB162_40 Depth=1
	v_bfe_u32 v17, v2, 16, 1
	v_add3_u32 v2, v2, v17, s20
	v_accvgpr_write_b32 a29, v2
                                        ; implicit-def: $vgpr2
; %bb.348:                              ;   in Loop: Header=BB162_40 Depth=1
	s_andn2_saveexec_b64 s[10:11], s[4:5]
; %bb.349:                              ;   in Loop: Header=BB162_40 Depth=1
	v_or_b32_e32 v17, 0x10000, v2
	v_cmp_eq_u32_sdwa s[4:5], v2, v31 src0_sel:WORD_0 src1_sel:DWORD
	s_nop 1
	v_cndmask_b32_e64 v2, v17, v2, s[4:5]
	v_accvgpr_write_b32 a29, v2
; %bb.350:                              ;   in Loop: Header=BB162_40 Depth=1
	s_or_b64 exec, exec, s[10:11]
	v_lshlrev_b32_e32 v2, 16, v11
	v_mul_f32_e32 v2, v34, v2
	v_and_b32_e32 v11, 0x7f800000, v2
	v_cmp_ne_u32_e64 s[4:5], s19, v11
                                        ; implicit-def: $agpr31
	s_and_saveexec_b64 s[10:11], s[4:5]
	s_xor_b64 s[4:5], exec, s[10:11]
; %bb.351:                              ;   in Loop: Header=BB162_40 Depth=1
	v_bfe_u32 v11, v2, 16, 1
	v_add3_u32 v2, v2, v11, s20
	v_accvgpr_write_b32 a31, v2
                                        ; implicit-def: $vgpr2
; %bb.352:                              ;   in Loop: Header=BB162_40 Depth=1
	s_andn2_saveexec_b64 s[10:11], s[4:5]
; %bb.353:                              ;   in Loop: Header=BB162_40 Depth=1
	v_or_b32_e32 v11, 0x10000, v2
	v_cmp_eq_u32_sdwa s[4:5], v2, v31 src0_sel:WORD_0 src1_sel:DWORD
	s_nop 1
	v_cndmask_b32_e64 v2, v11, v2, s[4:5]
	v_accvgpr_write_b32 a31, v2
; %bb.354:                              ;   in Loop: Header=BB162_40 Depth=1
	s_or_b64 exec, exec, s[10:11]
	v_lshlrev_b32_e32 v2, 16, v3
	v_mul_f32_e32 v2, v35, v2
	v_and_b32_e32 v3, 0x7f800000, v2
	v_cmp_ne_u32_e64 s[4:5], s19, v3
                                        ; implicit-def: $agpr33
	s_and_saveexec_b64 s[10:11], s[4:5]
	s_xor_b64 s[4:5], exec, s[10:11]
; %bb.355:                              ;   in Loop: Header=BB162_40 Depth=1
	v_bfe_u32 v3, v2, 16, 1
	v_add3_u32 v2, v2, v3, s20
	v_accvgpr_write_b32 a33, v2
                                        ; implicit-def: $vgpr2
; %bb.356:                              ;   in Loop: Header=BB162_40 Depth=1
	s_andn2_saveexec_b64 s[10:11], s[4:5]
; %bb.357:                              ;   in Loop: Header=BB162_40 Depth=1
	v_or_b32_e32 v3, 0x10000, v2
	v_cmp_eq_u32_sdwa s[4:5], v2, v31 src0_sel:WORD_0 src1_sel:DWORD
	s_nop 1
	v_cndmask_b32_e64 v2, v3, v2, s[4:5]
	v_accvgpr_write_b32 a33, v2
; %bb.358:                              ;   in Loop: Header=BB162_40 Depth=1
	s_or_b64 exec, exec, s[10:11]
	v_lshlrev_b32_e32 v2, 16, v10
	v_mul_f32_e32 v2, v36, v2
	v_and_b32_e32 v3, 0x7f800000, v2
	v_cmp_ne_u32_e64 s[4:5], s19, v3
                                        ; implicit-def: $agpr35
	s_and_saveexec_b64 s[10:11], s[4:5]
	s_xor_b64 s[4:5], exec, s[10:11]
; %bb.359:                              ;   in Loop: Header=BB162_40 Depth=1
	v_bfe_u32 v3, v2, 16, 1
	v_add3_u32 v2, v2, v3, s20
	v_accvgpr_write_b32 a35, v2
                                        ; implicit-def: $vgpr2
; %bb.360:                              ;   in Loop: Header=BB162_40 Depth=1
	s_andn2_saveexec_b64 s[10:11], s[4:5]
; %bb.361:                              ;   in Loop: Header=BB162_40 Depth=1
	v_or_b32_e32 v3, 0x10000, v2
	v_cmp_eq_u32_sdwa s[4:5], v2, v31 src0_sel:WORD_0 src1_sel:DWORD
	s_nop 1
	v_cndmask_b32_e64 v2, v3, v2, s[4:5]
	v_accvgpr_write_b32 a35, v2
; %bb.362:                              ;   in Loop: Header=BB162_40 Depth=1
	s_or_b64 exec, exec, s[10:11]
	v_lshlrev_b32_e32 v2, 16, v4
	v_mul_f32_e32 v2, v37, v2
	v_and_b32_e32 v3, 0x7f800000, v2
	v_cmp_ne_u32_e64 s[4:5], s19, v3
                                        ; implicit-def: $agpr37
	s_and_saveexec_b64 s[10:11], s[4:5]
	s_xor_b64 s[4:5], exec, s[10:11]
; %bb.363:                              ;   in Loop: Header=BB162_40 Depth=1
	v_bfe_u32 v3, v2, 16, 1
	v_add3_u32 v2, v2, v3, s20
	v_accvgpr_write_b32 a37, v2
                                        ; implicit-def: $vgpr2
; %bb.364:                              ;   in Loop: Header=BB162_40 Depth=1
	s_andn2_saveexec_b64 s[10:11], s[4:5]
; %bb.365:                              ;   in Loop: Header=BB162_40 Depth=1
	v_or_b32_e32 v3, 0x10000, v2
	v_cmp_eq_u32_sdwa s[4:5], v2, v31 src0_sel:WORD_0 src1_sel:DWORD
	s_nop 1
	v_cndmask_b32_e64 v2, v3, v2, s[4:5]
	v_accvgpr_write_b32 a37, v2
; %bb.366:                              ;   in Loop: Header=BB162_40 Depth=1
	s_or_b64 exec, exec, s[10:11]
	v_lshlrev_b32_e32 v2, 16, v9
	v_mul_f32_e32 v2, v38, v2
	v_and_b32_e32 v3, 0x7f800000, v2
	v_cmp_ne_u32_e64 s[4:5], s19, v3
                                        ; implicit-def: $agpr39
	s_and_saveexec_b64 s[10:11], s[4:5]
	s_xor_b64 s[4:5], exec, s[10:11]
; %bb.367:                              ;   in Loop: Header=BB162_40 Depth=1
	v_bfe_u32 v3, v2, 16, 1
	v_add3_u32 v2, v2, v3, s20
	v_accvgpr_write_b32 a39, v2
                                        ; implicit-def: $vgpr2
; %bb.368:                              ;   in Loop: Header=BB162_40 Depth=1
	s_andn2_saveexec_b64 s[10:11], s[4:5]
; %bb.369:                              ;   in Loop: Header=BB162_40 Depth=1
	v_or_b32_e32 v3, 0x10000, v2
	v_cmp_eq_u32_sdwa s[4:5], v2, v31 src0_sel:WORD_0 src1_sel:DWORD
	s_nop 1
	v_cndmask_b32_e64 v2, v3, v2, s[4:5]
	v_accvgpr_write_b32 a39, v2
; %bb.370:                              ;   in Loop: Header=BB162_40 Depth=1
	s_or_b64 exec, exec, s[10:11]
	v_lshlrev_b32_e32 v2, 16, v5
	v_mul_f32_e32 v2, v39, v2
	v_and_b32_e32 v3, 0x7f800000, v2
	v_cmp_ne_u32_e64 s[4:5], s19, v3
                                        ; implicit-def: $agpr40
	s_and_saveexec_b64 s[10:11], s[4:5]
	s_xor_b64 s[4:5], exec, s[10:11]
; %bb.371:                              ;   in Loop: Header=BB162_40 Depth=1
	v_bfe_u32 v3, v2, 16, 1
	v_add3_u32 v2, v2, v3, s20
	v_accvgpr_write_b32 a40, v2
                                        ; implicit-def: $vgpr2
; %bb.372:                              ;   in Loop: Header=BB162_40 Depth=1
	s_andn2_saveexec_b64 s[10:11], s[4:5]
; %bb.373:                              ;   in Loop: Header=BB162_40 Depth=1
	v_or_b32_e32 v3, 0x10000, v2
	v_cmp_eq_u32_sdwa s[4:5], v2, v31 src0_sel:WORD_0 src1_sel:DWORD
	s_nop 1
	v_cndmask_b32_e64 v2, v3, v2, s[4:5]
	v_accvgpr_write_b32 a40, v2
; %bb.374:                              ;   in Loop: Header=BB162_40 Depth=1
	s_or_b64 exec, exec, s[10:11]
	v_lshlrev_b32_e32 v2, 16, v8
	v_mul_f32_e32 v2, v48, v2
	v_and_b32_e32 v3, 0x7f800000, v2
	v_cmp_ne_u32_e64 s[4:5], s19, v3
                                        ; implicit-def: $agpr48
	s_and_saveexec_b64 s[10:11], s[4:5]
	s_xor_b64 s[4:5], exec, s[10:11]
; %bb.375:                              ;   in Loop: Header=BB162_40 Depth=1
	v_bfe_u32 v3, v2, 16, 1
	v_add3_u32 v2, v2, v3, s20
	v_accvgpr_write_b32 a48, v2
                                        ; implicit-def: $vgpr2
; %bb.376:                              ;   in Loop: Header=BB162_40 Depth=1
	s_andn2_saveexec_b64 s[10:11], s[4:5]
; %bb.377:                              ;   in Loop: Header=BB162_40 Depth=1
	v_or_b32_e32 v3, 0x10000, v2
	v_cmp_eq_u32_sdwa s[4:5], v2, v31 src0_sel:WORD_0 src1_sel:DWORD
	s_nop 1
	v_cndmask_b32_e64 v2, v3, v2, s[4:5]
	v_accvgpr_write_b32 a48, v2
; %bb.378:                              ;   in Loop: Header=BB162_40 Depth=1
	s_or_b64 exec, exec, s[10:11]
	scratch_load_dwordx2 v[2:3], off, s32 offset:248 ; 8-byte Folded Reload
	s_waitcnt vmcnt(0)
	v_mov_b32_e32 v3, v31
	v_mov_b32_e32 v4, v2
	v_lshl_add_u64 v[2:3], v[6:7], 0, v[2:3]
	scratch_store_dwordx2 off, v[4:5], s32 offset:248 ; 8-byte Folded Spill
	flat_load_dwordx4 v[2:5], v[2:3]
	s_waitcnt vmcnt(0) lgkmcnt(0)
	v_lshrrev_b32_e32 v11, 16, v2
	v_lshrrev_b32_e32 v10, 16, v3
	;; [unrolled: 1-line block ×4, first 2 shown]
	s_and_saveexec_b64 s[10:11], vcc
	s_cbranch_execz .LBB162_380
; %bb.379:                              ;   in Loop: Header=BB162_40 Depth=1
	v_accvgpr_read_b32 v17, a41
	v_cmp_lt_i32_e64 s[4:5], v17, v16
	v_accvgpr_read_b32 v17, a47
	s_nop 0
	v_cndmask_b32_e64 v2, 0, v2, s[4:5]
	v_cmp_lt_i32_e64 s[4:5], v17, v16
	v_accvgpr_read_b32 v17, a45
	s_nop 0
	v_cndmask_b32_e64 v11, 0, v11, s[4:5]
	;; [unrolled: 4-line block ×3, first 2 shown]
	v_cmp_lt_i32_e64 s[4:5], v54, v16
	s_nop 1
	v_cndmask_b32_e64 v10, 0, v10, s[4:5]
	v_cmp_lt_i32_e64 s[4:5], v17, v16
	v_accvgpr_read_b32 v17, a46
	s_nop 0
	v_cndmask_b32_e64 v4, 0, v4, s[4:5]
	v_cmp_lt_i32_e64 s[4:5], v46, v16
	s_nop 1
	v_cndmask_b32_e64 v9, 0, v9, s[4:5]
	v_cmp_lt_i32_e64 s[4:5], v17, v16
	;; [unrolled: 3-line block ×3, first 2 shown]
	s_nop 1
	v_cndmask_b32_e64 v8, 0, v8, s[4:5]
.LBB162_380:                            ;   in Loop: Header=BB162_40 Depth=1
	s_or_b64 exec, exec, s[10:11]
	v_lshlrev_b32_e32 v2, 16, v2
	v_mul_f32_e32 v2, v61, v2
	v_and_b32_e32 v17, 0x7f800000, v2
	v_cmp_ne_u32_e64 s[4:5], s19, v17
                                        ; implicit-def: $agpr49
	s_and_saveexec_b64 s[10:11], s[4:5]
	s_xor_b64 s[4:5], exec, s[10:11]
; %bb.381:                              ;   in Loop: Header=BB162_40 Depth=1
	v_bfe_u32 v17, v2, 16, 1
	v_add3_u32 v2, v2, v17, s20
	v_accvgpr_write_b32 a49, v2
                                        ; implicit-def: $vgpr2
; %bb.382:                              ;   in Loop: Header=BB162_40 Depth=1
	s_andn2_saveexec_b64 s[10:11], s[4:5]
; %bb.383:                              ;   in Loop: Header=BB162_40 Depth=1
	v_or_b32_e32 v17, 0x10000, v2
	v_cmp_eq_u32_sdwa s[4:5], v2, v31 src0_sel:WORD_0 src1_sel:DWORD
	s_nop 1
	v_cndmask_b32_e64 v2, v17, v2, s[4:5]
	v_accvgpr_write_b32 a49, v2
; %bb.384:                              ;   in Loop: Header=BB162_40 Depth=1
	s_or_b64 exec, exec, s[10:11]
	v_lshlrev_b32_e32 v2, 16, v11
	v_mul_f32_e32 v2, v34, v2
	v_and_b32_e32 v11, 0x7f800000, v2
	v_cmp_ne_u32_e64 s[4:5], s19, v11
                                        ; implicit-def: $agpr50
	s_and_saveexec_b64 s[10:11], s[4:5]
	s_xor_b64 s[4:5], exec, s[10:11]
; %bb.385:                              ;   in Loop: Header=BB162_40 Depth=1
	v_bfe_u32 v11, v2, 16, 1
	v_add3_u32 v2, v2, v11, s20
	v_accvgpr_write_b32 a50, v2
                                        ; implicit-def: $vgpr2
; %bb.386:                              ;   in Loop: Header=BB162_40 Depth=1
	s_andn2_saveexec_b64 s[10:11], s[4:5]
; %bb.387:                              ;   in Loop: Header=BB162_40 Depth=1
	v_or_b32_e32 v11, 0x10000, v2
	v_cmp_eq_u32_sdwa s[4:5], v2, v31 src0_sel:WORD_0 src1_sel:DWORD
	s_nop 1
	v_cndmask_b32_e64 v2, v11, v2, s[4:5]
	v_accvgpr_write_b32 a50, v2
; %bb.388:                              ;   in Loop: Header=BB162_40 Depth=1
	s_or_b64 exec, exec, s[10:11]
	v_lshlrev_b32_e32 v2, 16, v3
	v_mul_f32_e32 v2, v35, v2
	v_and_b32_e32 v3, 0x7f800000, v2
	v_cmp_ne_u32_e64 s[4:5], s19, v3
                                        ; implicit-def: $agpr51
	s_and_saveexec_b64 s[10:11], s[4:5]
	s_xor_b64 s[4:5], exec, s[10:11]
; %bb.389:                              ;   in Loop: Header=BB162_40 Depth=1
	v_bfe_u32 v3, v2, 16, 1
	v_add3_u32 v2, v2, v3, s20
	v_accvgpr_write_b32 a51, v2
                                        ; implicit-def: $vgpr2
; %bb.390:                              ;   in Loop: Header=BB162_40 Depth=1
	s_andn2_saveexec_b64 s[10:11], s[4:5]
; %bb.391:                              ;   in Loop: Header=BB162_40 Depth=1
	v_or_b32_e32 v3, 0x10000, v2
	v_cmp_eq_u32_sdwa s[4:5], v2, v31 src0_sel:WORD_0 src1_sel:DWORD
	s_nop 1
	v_cndmask_b32_e64 v2, v3, v2, s[4:5]
	v_accvgpr_write_b32 a51, v2
; %bb.392:                              ;   in Loop: Header=BB162_40 Depth=1
	s_or_b64 exec, exec, s[10:11]
	v_lshlrev_b32_e32 v2, 16, v10
	v_mul_f32_e32 v2, v36, v2
	v_and_b32_e32 v3, 0x7f800000, v2
	v_cmp_ne_u32_e64 s[4:5], s19, v3
                                        ; implicit-def: $agpr52
	s_and_saveexec_b64 s[10:11], s[4:5]
	s_xor_b64 s[4:5], exec, s[10:11]
; %bb.393:                              ;   in Loop: Header=BB162_40 Depth=1
	v_bfe_u32 v3, v2, 16, 1
	v_add3_u32 v2, v2, v3, s20
	v_accvgpr_write_b32 a52, v2
                                        ; implicit-def: $vgpr2
; %bb.394:                              ;   in Loop: Header=BB162_40 Depth=1
	s_andn2_saveexec_b64 s[10:11], s[4:5]
; %bb.395:                              ;   in Loop: Header=BB162_40 Depth=1
	v_or_b32_e32 v3, 0x10000, v2
	v_cmp_eq_u32_sdwa s[4:5], v2, v31 src0_sel:WORD_0 src1_sel:DWORD
	s_nop 1
	v_cndmask_b32_e64 v2, v3, v2, s[4:5]
	v_accvgpr_write_b32 a52, v2
; %bb.396:                              ;   in Loop: Header=BB162_40 Depth=1
	s_or_b64 exec, exec, s[10:11]
	v_lshlrev_b32_e32 v2, 16, v4
	v_mul_f32_e32 v2, v37, v2
	v_and_b32_e32 v3, 0x7f800000, v2
	v_cmp_ne_u32_e64 s[4:5], s19, v3
                                        ; implicit-def: $agpr53
	s_and_saveexec_b64 s[10:11], s[4:5]
	s_xor_b64 s[4:5], exec, s[10:11]
; %bb.397:                              ;   in Loop: Header=BB162_40 Depth=1
	v_bfe_u32 v3, v2, 16, 1
	v_add3_u32 v2, v2, v3, s20
	v_accvgpr_write_b32 a53, v2
                                        ; implicit-def: $vgpr2
; %bb.398:                              ;   in Loop: Header=BB162_40 Depth=1
	s_andn2_saveexec_b64 s[10:11], s[4:5]
; %bb.399:                              ;   in Loop: Header=BB162_40 Depth=1
	v_or_b32_e32 v3, 0x10000, v2
	v_cmp_eq_u32_sdwa s[4:5], v2, v31 src0_sel:WORD_0 src1_sel:DWORD
	s_nop 1
	v_cndmask_b32_e64 v2, v3, v2, s[4:5]
	v_accvgpr_write_b32 a53, v2
; %bb.400:                              ;   in Loop: Header=BB162_40 Depth=1
	s_or_b64 exec, exec, s[10:11]
	v_lshlrev_b32_e32 v2, 16, v9
	v_mul_f32_e32 v2, v38, v2
	v_and_b32_e32 v3, 0x7f800000, v2
	v_cmp_ne_u32_e64 s[4:5], s19, v3
                                        ; implicit-def: $agpr54
	s_and_saveexec_b64 s[10:11], s[4:5]
	s_xor_b64 s[4:5], exec, s[10:11]
; %bb.401:                              ;   in Loop: Header=BB162_40 Depth=1
	v_bfe_u32 v3, v2, 16, 1
	v_add3_u32 v2, v2, v3, s20
	v_accvgpr_write_b32 a54, v2
                                        ; implicit-def: $vgpr2
; %bb.402:                              ;   in Loop: Header=BB162_40 Depth=1
	s_andn2_saveexec_b64 s[10:11], s[4:5]
; %bb.403:                              ;   in Loop: Header=BB162_40 Depth=1
	v_or_b32_e32 v3, 0x10000, v2
	v_cmp_eq_u32_sdwa s[4:5], v2, v31 src0_sel:WORD_0 src1_sel:DWORD
	s_nop 1
	v_cndmask_b32_e64 v2, v3, v2, s[4:5]
	v_accvgpr_write_b32 a54, v2
; %bb.404:                              ;   in Loop: Header=BB162_40 Depth=1
	s_or_b64 exec, exec, s[10:11]
	v_lshlrev_b32_e32 v2, 16, v5
	v_mul_f32_e32 v2, v39, v2
	v_and_b32_e32 v3, 0x7f800000, v2
	v_cmp_ne_u32_e64 s[4:5], s19, v3
                                        ; implicit-def: $agpr55
	s_and_saveexec_b64 s[10:11], s[4:5]
	s_xor_b64 s[4:5], exec, s[10:11]
; %bb.405:                              ;   in Loop: Header=BB162_40 Depth=1
	v_bfe_u32 v3, v2, 16, 1
	v_add3_u32 v2, v2, v3, s20
	v_accvgpr_write_b32 a55, v2
                                        ; implicit-def: $vgpr2
; %bb.406:                              ;   in Loop: Header=BB162_40 Depth=1
	s_andn2_saveexec_b64 s[10:11], s[4:5]
; %bb.407:                              ;   in Loop: Header=BB162_40 Depth=1
	v_or_b32_e32 v3, 0x10000, v2
	v_cmp_eq_u32_sdwa s[4:5], v2, v31 src0_sel:WORD_0 src1_sel:DWORD
	s_nop 1
	v_cndmask_b32_e64 v2, v3, v2, s[4:5]
	v_accvgpr_write_b32 a55, v2
; %bb.408:                              ;   in Loop: Header=BB162_40 Depth=1
	s_or_b64 exec, exec, s[10:11]
	v_lshlrev_b32_e32 v2, 16, v8
	v_mul_f32_e32 v2, v48, v2
	v_and_b32_e32 v3, 0x7f800000, v2
	v_cmp_ne_u32_e64 s[4:5], s19, v3
                                        ; implicit-def: $agpr56
	s_and_saveexec_b64 s[10:11], s[4:5]
	s_xor_b64 s[4:5], exec, s[10:11]
; %bb.409:                              ;   in Loop: Header=BB162_40 Depth=1
	v_bfe_u32 v3, v2, 16, 1
	v_add3_u32 v2, v2, v3, s20
	v_accvgpr_write_b32 a56, v2
                                        ; implicit-def: $vgpr2
; %bb.410:                              ;   in Loop: Header=BB162_40 Depth=1
	s_andn2_saveexec_b64 s[10:11], s[4:5]
; %bb.411:                              ;   in Loop: Header=BB162_40 Depth=1
	v_or_b32_e32 v3, 0x10000, v2
	v_cmp_eq_u32_sdwa s[4:5], v2, v31 src0_sel:WORD_0 src1_sel:DWORD
	s_nop 1
	v_cndmask_b32_e64 v2, v3, v2, s[4:5]
	v_accvgpr_write_b32 a56, v2
; %bb.412:                              ;   in Loop: Header=BB162_40 Depth=1
	s_or_b64 exec, exec, s[10:11]
	scratch_load_dwordx2 v[2:3], off, s32 offset:256 ; 8-byte Folded Reload
	s_waitcnt vmcnt(0)
	v_mov_b32_e32 v3, v31
	v_mov_b32_e32 v4, v2
	v_lshl_add_u64 v[2:3], v[6:7], 0, v[2:3]
	scratch_store_dwordx2 off, v[4:5], s32 offset:256 ; 8-byte Folded Spill
	flat_load_dwordx4 v[2:5], v[2:3]
	s_waitcnt vmcnt(0) lgkmcnt(0)
	v_lshrrev_b32_e32 v11, 16, v2
	v_lshrrev_b32_e32 v10, 16, v3
	;; [unrolled: 1-line block ×4, first 2 shown]
	s_and_saveexec_b64 s[10:11], vcc
	s_cbranch_execz .LBB162_414
; %bb.413:                              ;   in Loop: Header=BB162_40 Depth=1
	v_accvgpr_read_b32 v17, a41
	v_cmp_lt_i32_e64 s[4:5], v17, v16
	v_accvgpr_read_b32 v17, a47
	s_nop 0
	v_cndmask_b32_e64 v2, 0, v2, s[4:5]
	v_cmp_lt_i32_e64 s[4:5], v17, v16
	v_accvgpr_read_b32 v17, a45
	s_nop 0
	v_cndmask_b32_e64 v11, 0, v11, s[4:5]
	;; [unrolled: 4-line block ×3, first 2 shown]
	v_cmp_lt_i32_e64 s[4:5], v54, v16
	s_nop 1
	v_cndmask_b32_e64 v10, 0, v10, s[4:5]
	v_cmp_lt_i32_e64 s[4:5], v17, v16
	v_accvgpr_read_b32 v17, a46
	s_nop 0
	v_cndmask_b32_e64 v4, 0, v4, s[4:5]
	v_cmp_lt_i32_e64 s[4:5], v46, v16
	s_nop 1
	v_cndmask_b32_e64 v9, 0, v9, s[4:5]
	v_cmp_lt_i32_e64 s[4:5], v17, v16
	;; [unrolled: 3-line block ×3, first 2 shown]
	s_nop 1
	v_cndmask_b32_e64 v8, 0, v8, s[4:5]
.LBB162_414:                            ;   in Loop: Header=BB162_40 Depth=1
	s_or_b64 exec, exec, s[10:11]
	v_lshlrev_b32_e32 v2, 16, v2
	v_mul_f32_e32 v2, v61, v2
	v_and_b32_e32 v17, 0x7f800000, v2
	v_cmp_ne_u32_e64 s[4:5], s19, v17
                                        ; implicit-def: $agpr57
	s_and_saveexec_b64 s[10:11], s[4:5]
	s_xor_b64 s[4:5], exec, s[10:11]
; %bb.415:                              ;   in Loop: Header=BB162_40 Depth=1
	v_bfe_u32 v17, v2, 16, 1
	v_add3_u32 v2, v2, v17, s20
	v_accvgpr_write_b32 a57, v2
                                        ; implicit-def: $vgpr2
; %bb.416:                              ;   in Loop: Header=BB162_40 Depth=1
	s_andn2_saveexec_b64 s[10:11], s[4:5]
; %bb.417:                              ;   in Loop: Header=BB162_40 Depth=1
	v_or_b32_e32 v17, 0x10000, v2
	v_cmp_eq_u32_sdwa s[4:5], v2, v31 src0_sel:WORD_0 src1_sel:DWORD
	s_nop 1
	v_cndmask_b32_e64 v2, v17, v2, s[4:5]
	v_accvgpr_write_b32 a57, v2
; %bb.418:                              ;   in Loop: Header=BB162_40 Depth=1
	s_or_b64 exec, exec, s[10:11]
	v_lshlrev_b32_e32 v2, 16, v11
	v_mul_f32_e32 v2, v34, v2
	v_and_b32_e32 v11, 0x7f800000, v2
	v_cmp_ne_u32_e64 s[4:5], s19, v11
                                        ; implicit-def: $agpr58
	s_and_saveexec_b64 s[10:11], s[4:5]
	s_xor_b64 s[4:5], exec, s[10:11]
; %bb.419:                              ;   in Loop: Header=BB162_40 Depth=1
	v_bfe_u32 v11, v2, 16, 1
	v_add3_u32 v2, v2, v11, s20
	v_accvgpr_write_b32 a58, v2
                                        ; implicit-def: $vgpr2
; %bb.420:                              ;   in Loop: Header=BB162_40 Depth=1
	s_andn2_saveexec_b64 s[10:11], s[4:5]
; %bb.421:                              ;   in Loop: Header=BB162_40 Depth=1
	v_or_b32_e32 v11, 0x10000, v2
	v_cmp_eq_u32_sdwa s[4:5], v2, v31 src0_sel:WORD_0 src1_sel:DWORD
	s_nop 1
	v_cndmask_b32_e64 v2, v11, v2, s[4:5]
	v_accvgpr_write_b32 a58, v2
; %bb.422:                              ;   in Loop: Header=BB162_40 Depth=1
	s_or_b64 exec, exec, s[10:11]
	v_lshlrev_b32_e32 v2, 16, v3
	v_mul_f32_e32 v2, v35, v2
	v_and_b32_e32 v3, 0x7f800000, v2
	v_cmp_ne_u32_e64 s[4:5], s19, v3
                                        ; implicit-def: $agpr59
	s_and_saveexec_b64 s[10:11], s[4:5]
	s_xor_b64 s[4:5], exec, s[10:11]
; %bb.423:                              ;   in Loop: Header=BB162_40 Depth=1
	v_bfe_u32 v3, v2, 16, 1
	v_add3_u32 v2, v2, v3, s20
	v_accvgpr_write_b32 a59, v2
                                        ; implicit-def: $vgpr2
; %bb.424:                              ;   in Loop: Header=BB162_40 Depth=1
	s_andn2_saveexec_b64 s[10:11], s[4:5]
; %bb.425:                              ;   in Loop: Header=BB162_40 Depth=1
	v_or_b32_e32 v3, 0x10000, v2
	v_cmp_eq_u32_sdwa s[4:5], v2, v31 src0_sel:WORD_0 src1_sel:DWORD
	s_nop 1
	v_cndmask_b32_e64 v2, v3, v2, s[4:5]
	v_accvgpr_write_b32 a59, v2
; %bb.426:                              ;   in Loop: Header=BB162_40 Depth=1
	s_or_b64 exec, exec, s[10:11]
	v_lshlrev_b32_e32 v2, 16, v10
	v_mul_f32_e32 v2, v36, v2
	v_and_b32_e32 v3, 0x7f800000, v2
	v_cmp_ne_u32_e64 s[4:5], s19, v3
                                        ; implicit-def: $agpr60
	s_and_saveexec_b64 s[10:11], s[4:5]
	s_xor_b64 s[4:5], exec, s[10:11]
; %bb.427:                              ;   in Loop: Header=BB162_40 Depth=1
	v_bfe_u32 v3, v2, 16, 1
	v_add3_u32 v2, v2, v3, s20
	v_accvgpr_write_b32 a60, v2
                                        ; implicit-def: $vgpr2
; %bb.428:                              ;   in Loop: Header=BB162_40 Depth=1
	s_andn2_saveexec_b64 s[10:11], s[4:5]
; %bb.429:                              ;   in Loop: Header=BB162_40 Depth=1
	v_or_b32_e32 v3, 0x10000, v2
	v_cmp_eq_u32_sdwa s[4:5], v2, v31 src0_sel:WORD_0 src1_sel:DWORD
	s_nop 1
	v_cndmask_b32_e64 v2, v3, v2, s[4:5]
	v_accvgpr_write_b32 a60, v2
; %bb.430:                              ;   in Loop: Header=BB162_40 Depth=1
	s_or_b64 exec, exec, s[10:11]
	v_lshlrev_b32_e32 v2, 16, v4
	v_mul_f32_e32 v2, v37, v2
	v_and_b32_e32 v3, 0x7f800000, v2
	v_cmp_ne_u32_e64 s[4:5], s19, v3
                                        ; implicit-def: $agpr61
	s_and_saveexec_b64 s[10:11], s[4:5]
	s_xor_b64 s[4:5], exec, s[10:11]
; %bb.431:                              ;   in Loop: Header=BB162_40 Depth=1
	v_bfe_u32 v3, v2, 16, 1
	v_add3_u32 v2, v2, v3, s20
	v_accvgpr_write_b32 a61, v2
                                        ; implicit-def: $vgpr2
; %bb.432:                              ;   in Loop: Header=BB162_40 Depth=1
	s_andn2_saveexec_b64 s[10:11], s[4:5]
; %bb.433:                              ;   in Loop: Header=BB162_40 Depth=1
	v_or_b32_e32 v3, 0x10000, v2
	v_cmp_eq_u32_sdwa s[4:5], v2, v31 src0_sel:WORD_0 src1_sel:DWORD
	s_nop 1
	v_cndmask_b32_e64 v2, v3, v2, s[4:5]
	v_accvgpr_write_b32 a61, v2
; %bb.434:                              ;   in Loop: Header=BB162_40 Depth=1
	s_or_b64 exec, exec, s[10:11]
	v_lshlrev_b32_e32 v2, 16, v9
	v_mul_f32_e32 v2, v38, v2
	v_and_b32_e32 v3, 0x7f800000, v2
	v_cmp_ne_u32_e64 s[4:5], s19, v3
                                        ; implicit-def: $agpr62
	s_and_saveexec_b64 s[10:11], s[4:5]
	s_xor_b64 s[4:5], exec, s[10:11]
; %bb.435:                              ;   in Loop: Header=BB162_40 Depth=1
	v_bfe_u32 v3, v2, 16, 1
	v_add3_u32 v2, v2, v3, s20
	v_accvgpr_write_b32 a62, v2
                                        ; implicit-def: $vgpr2
; %bb.436:                              ;   in Loop: Header=BB162_40 Depth=1
	s_andn2_saveexec_b64 s[10:11], s[4:5]
; %bb.437:                              ;   in Loop: Header=BB162_40 Depth=1
	v_or_b32_e32 v3, 0x10000, v2
	v_cmp_eq_u32_sdwa s[4:5], v2, v31 src0_sel:WORD_0 src1_sel:DWORD
	s_nop 1
	v_cndmask_b32_e64 v2, v3, v2, s[4:5]
	v_accvgpr_write_b32 a62, v2
; %bb.438:                              ;   in Loop: Header=BB162_40 Depth=1
	s_or_b64 exec, exec, s[10:11]
	v_lshlrev_b32_e32 v2, 16, v5
	v_mul_f32_e32 v2, v39, v2
	v_and_b32_e32 v3, 0x7f800000, v2
	v_cmp_ne_u32_e64 s[4:5], s19, v3
                                        ; implicit-def: $agpr63
	s_and_saveexec_b64 s[10:11], s[4:5]
	s_xor_b64 s[4:5], exec, s[10:11]
; %bb.439:                              ;   in Loop: Header=BB162_40 Depth=1
	v_bfe_u32 v3, v2, 16, 1
	v_add3_u32 v2, v2, v3, s20
	v_accvgpr_write_b32 a63, v2
                                        ; implicit-def: $vgpr2
; %bb.440:                              ;   in Loop: Header=BB162_40 Depth=1
	s_andn2_saveexec_b64 s[10:11], s[4:5]
; %bb.441:                              ;   in Loop: Header=BB162_40 Depth=1
	v_or_b32_e32 v3, 0x10000, v2
	v_cmp_eq_u32_sdwa s[4:5], v2, v31 src0_sel:WORD_0 src1_sel:DWORD
	s_nop 1
	v_cndmask_b32_e64 v2, v3, v2, s[4:5]
	v_accvgpr_write_b32 a63, v2
; %bb.442:                              ;   in Loop: Header=BB162_40 Depth=1
	s_or_b64 exec, exec, s[10:11]
	v_lshlrev_b32_e32 v2, 16, v8
	v_mul_f32_e32 v2, v48, v2
	v_and_b32_e32 v3, 0x7f800000, v2
	v_cmp_ne_u32_e64 s[4:5], s19, v3
                                        ; implicit-def: $agpr9
	s_and_saveexec_b64 s[10:11], s[4:5]
	s_xor_b64 s[4:5], exec, s[10:11]
; %bb.443:                              ;   in Loop: Header=BB162_40 Depth=1
	v_bfe_u32 v3, v2, 16, 1
	v_add3_u32 v2, v2, v3, s20
	v_accvgpr_write_b32 a9, v2
                                        ; implicit-def: $vgpr2
; %bb.444:                              ;   in Loop: Header=BB162_40 Depth=1
	s_andn2_saveexec_b64 s[10:11], s[4:5]
; %bb.445:                              ;   in Loop: Header=BB162_40 Depth=1
	v_or_b32_e32 v3, 0x10000, v2
	v_cmp_eq_u32_sdwa s[4:5], v2, v31 src0_sel:WORD_0 src1_sel:DWORD
	s_nop 1
	v_cndmask_b32_e64 v2, v3, v2, s[4:5]
	v_accvgpr_write_b32 a9, v2
; %bb.446:                              ;   in Loop: Header=BB162_40 Depth=1
	s_or_b64 exec, exec, s[10:11]
	scratch_load_dwordx2 v[2:3], off, s32 offset:264 ; 8-byte Folded Reload
	s_waitcnt vmcnt(0)
	v_mov_b32_e32 v3, v31
	v_mov_b32_e32 v4, v2
	v_lshl_add_u64 v[2:3], v[6:7], 0, v[2:3]
	scratch_store_dwordx2 off, v[4:5], s32 offset:264 ; 8-byte Folded Spill
	flat_load_dwordx4 v[2:5], v[2:3]
	s_waitcnt vmcnt(0) lgkmcnt(0)
	v_lshrrev_b32_e32 v11, 16, v2
	v_lshrrev_b32_e32 v10, 16, v3
	;; [unrolled: 1-line block ×4, first 2 shown]
	s_and_saveexec_b64 s[10:11], vcc
	s_cbranch_execz .LBB162_448
; %bb.447:                              ;   in Loop: Header=BB162_40 Depth=1
	v_accvgpr_read_b32 v17, a41
	v_cmp_lt_i32_e64 s[4:5], v17, v16
	v_accvgpr_read_b32 v17, a47
	s_nop 0
	v_cndmask_b32_e64 v2, 0, v2, s[4:5]
	v_cmp_lt_i32_e64 s[4:5], v17, v16
	v_accvgpr_read_b32 v17, a45
	s_nop 0
	v_cndmask_b32_e64 v11, 0, v11, s[4:5]
	;; [unrolled: 4-line block ×3, first 2 shown]
	v_cmp_lt_i32_e64 s[4:5], v54, v16
	s_nop 1
	v_cndmask_b32_e64 v10, 0, v10, s[4:5]
	v_cmp_lt_i32_e64 s[4:5], v17, v16
	v_accvgpr_read_b32 v17, a46
	s_nop 0
	v_cndmask_b32_e64 v4, 0, v4, s[4:5]
	v_cmp_lt_i32_e64 s[4:5], v46, v16
	s_nop 1
	v_cndmask_b32_e64 v9, 0, v9, s[4:5]
	v_cmp_lt_i32_e64 s[4:5], v17, v16
	;; [unrolled: 3-line block ×3, first 2 shown]
	s_nop 1
	v_cndmask_b32_e64 v8, 0, v8, s[4:5]
.LBB162_448:                            ;   in Loop: Header=BB162_40 Depth=1
	s_or_b64 exec, exec, s[10:11]
	v_lshlrev_b32_e32 v2, 16, v2
	v_mul_f32_e32 v2, v61, v2
	v_and_b32_e32 v17, 0x7f800000, v2
	v_cmp_ne_u32_e64 s[4:5], s19, v17
                                        ; implicit-def: $agpr7
	s_and_saveexec_b64 s[10:11], s[4:5]
	s_xor_b64 s[4:5], exec, s[10:11]
; %bb.449:                              ;   in Loop: Header=BB162_40 Depth=1
	v_bfe_u32 v17, v2, 16, 1
	v_add3_u32 v2, v2, v17, s20
	v_accvgpr_write_b32 a7, v2
                                        ; implicit-def: $vgpr2
; %bb.450:                              ;   in Loop: Header=BB162_40 Depth=1
	s_andn2_saveexec_b64 s[10:11], s[4:5]
; %bb.451:                              ;   in Loop: Header=BB162_40 Depth=1
	v_or_b32_e32 v17, 0x10000, v2
	v_cmp_eq_u32_sdwa s[4:5], v2, v31 src0_sel:WORD_0 src1_sel:DWORD
	s_nop 1
	v_cndmask_b32_e64 v2, v17, v2, s[4:5]
	v_accvgpr_write_b32 a7, v2
; %bb.452:                              ;   in Loop: Header=BB162_40 Depth=1
	s_or_b64 exec, exec, s[10:11]
	v_lshlrev_b32_e32 v2, 16, v11
	v_mul_f32_e32 v2, v34, v2
	v_and_b32_e32 v11, 0x7f800000, v2
	v_cmp_ne_u32_e64 s[4:5], s19, v11
                                        ; implicit-def: $agpr8
	s_and_saveexec_b64 s[10:11], s[4:5]
	s_xor_b64 s[4:5], exec, s[10:11]
; %bb.453:                              ;   in Loop: Header=BB162_40 Depth=1
	v_bfe_u32 v11, v2, 16, 1
	v_add3_u32 v2, v2, v11, s20
	v_accvgpr_write_b32 a8, v2
                                        ; implicit-def: $vgpr2
; %bb.454:                              ;   in Loop: Header=BB162_40 Depth=1
	s_andn2_saveexec_b64 s[10:11], s[4:5]
; %bb.455:                              ;   in Loop: Header=BB162_40 Depth=1
	v_or_b32_e32 v11, 0x10000, v2
	v_cmp_eq_u32_sdwa s[4:5], v2, v31 src0_sel:WORD_0 src1_sel:DWORD
	s_nop 1
	v_cndmask_b32_e64 v2, v11, v2, s[4:5]
	v_accvgpr_write_b32 a8, v2
; %bb.456:                              ;   in Loop: Header=BB162_40 Depth=1
	s_or_b64 exec, exec, s[10:11]
	v_lshlrev_b32_e32 v2, 16, v3
	v_mul_f32_e32 v2, v35, v2
	v_and_b32_e32 v3, 0x7f800000, v2
	v_cmp_ne_u32_e64 s[4:5], s19, v3
                                        ; implicit-def: $agpr6
	s_and_saveexec_b64 s[10:11], s[4:5]
	s_xor_b64 s[4:5], exec, s[10:11]
; %bb.457:                              ;   in Loop: Header=BB162_40 Depth=1
	v_bfe_u32 v3, v2, 16, 1
	v_add3_u32 v2, v2, v3, s20
	v_accvgpr_write_b32 a6, v2
                                        ; implicit-def: $vgpr2
; %bb.458:                              ;   in Loop: Header=BB162_40 Depth=1
	s_andn2_saveexec_b64 s[10:11], s[4:5]
; %bb.459:                              ;   in Loop: Header=BB162_40 Depth=1
	v_or_b32_e32 v3, 0x10000, v2
	v_cmp_eq_u32_sdwa s[4:5], v2, v31 src0_sel:WORD_0 src1_sel:DWORD
	s_nop 1
	v_cndmask_b32_e64 v2, v3, v2, s[4:5]
	v_accvgpr_write_b32 a6, v2
; %bb.460:                              ;   in Loop: Header=BB162_40 Depth=1
	s_or_b64 exec, exec, s[10:11]
	v_lshlrev_b32_e32 v2, 16, v10
	v_mul_f32_e32 v2, v36, v2
	v_and_b32_e32 v3, 0x7f800000, v2
	v_cmp_ne_u32_e64 s[4:5], s19, v3
                                        ; implicit-def: $agpr0
	s_and_saveexec_b64 s[10:11], s[4:5]
	s_xor_b64 s[4:5], exec, s[10:11]
; %bb.461:                              ;   in Loop: Header=BB162_40 Depth=1
	v_bfe_u32 v3, v2, 16, 1
	v_add3_u32 v2, v2, v3, s20
	v_accvgpr_write_b32 a0, v2
                                        ; implicit-def: $vgpr2
; %bb.462:                              ;   in Loop: Header=BB162_40 Depth=1
	s_andn2_saveexec_b64 s[10:11], s[4:5]
; %bb.463:                              ;   in Loop: Header=BB162_40 Depth=1
	v_or_b32_e32 v3, 0x10000, v2
	v_cmp_eq_u32_sdwa s[4:5], v2, v31 src0_sel:WORD_0 src1_sel:DWORD
	s_nop 1
	v_cndmask_b32_e64 v2, v3, v2, s[4:5]
	v_accvgpr_write_b32 a0, v2
; %bb.464:                              ;   in Loop: Header=BB162_40 Depth=1
	s_or_b64 exec, exec, s[10:11]
	v_lshlrev_b32_e32 v2, 16, v4
	v_mul_f32_e32 v2, v37, v2
	v_and_b32_e32 v3, 0x7f800000, v2
	v_cmp_ne_u32_e64 s[4:5], s19, v3
                                        ; implicit-def: $agpr1
	s_and_saveexec_b64 s[10:11], s[4:5]
	s_xor_b64 s[4:5], exec, s[10:11]
; %bb.465:                              ;   in Loop: Header=BB162_40 Depth=1
	v_bfe_u32 v3, v2, 16, 1
	v_add3_u32 v2, v2, v3, s20
	v_accvgpr_write_b32 a1, v2
                                        ; implicit-def: $vgpr2
; %bb.466:                              ;   in Loop: Header=BB162_40 Depth=1
	s_andn2_saveexec_b64 s[10:11], s[4:5]
; %bb.467:                              ;   in Loop: Header=BB162_40 Depth=1
	v_or_b32_e32 v3, 0x10000, v2
	v_cmp_eq_u32_sdwa s[4:5], v2, v31 src0_sel:WORD_0 src1_sel:DWORD
	s_nop 1
	v_cndmask_b32_e64 v2, v3, v2, s[4:5]
	v_accvgpr_write_b32 a1, v2
; %bb.468:                              ;   in Loop: Header=BB162_40 Depth=1
	s_or_b64 exec, exec, s[10:11]
	v_lshlrev_b32_e32 v2, 16, v9
	v_mul_f32_e32 v2, v38, v2
	v_and_b32_e32 v3, 0x7f800000, v2
	v_cmp_ne_u32_e64 s[4:5], s19, v3
                                        ; implicit-def: $agpr2
	s_and_saveexec_b64 s[10:11], s[4:5]
	s_xor_b64 s[4:5], exec, s[10:11]
; %bb.469:                              ;   in Loop: Header=BB162_40 Depth=1
	v_bfe_u32 v3, v2, 16, 1
	v_add3_u32 v2, v2, v3, s20
	v_accvgpr_write_b32 a2, v2
                                        ; implicit-def: $vgpr2
; %bb.470:                              ;   in Loop: Header=BB162_40 Depth=1
	s_andn2_saveexec_b64 s[10:11], s[4:5]
; %bb.471:                              ;   in Loop: Header=BB162_40 Depth=1
	v_or_b32_e32 v3, 0x10000, v2
	v_cmp_eq_u32_sdwa s[4:5], v2, v31 src0_sel:WORD_0 src1_sel:DWORD
	s_nop 1
	v_cndmask_b32_e64 v2, v3, v2, s[4:5]
	v_accvgpr_write_b32 a2, v2
; %bb.472:                              ;   in Loop: Header=BB162_40 Depth=1
	s_or_b64 exec, exec, s[10:11]
	v_lshlrev_b32_e32 v2, 16, v5
	v_mul_f32_e32 v2, v39, v2
	v_and_b32_e32 v3, 0x7f800000, v2
	v_cmp_ne_u32_e64 s[4:5], s19, v3
                                        ; implicit-def: $vgpr47
	s_and_saveexec_b64 s[10:11], s[4:5]
	s_xor_b64 s[4:5], exec, s[10:11]
; %bb.473:                              ;   in Loop: Header=BB162_40 Depth=1
	v_bfe_u32 v3, v2, 16, 1
	v_add3_u32 v47, v2, v3, s20
                                        ; implicit-def: $vgpr2
; %bb.474:                              ;   in Loop: Header=BB162_40 Depth=1
	s_andn2_saveexec_b64 s[10:11], s[4:5]
; %bb.475:                              ;   in Loop: Header=BB162_40 Depth=1
	v_or_b32_e32 v3, 0x10000, v2
	v_cmp_eq_u32_sdwa s[4:5], v2, v31 src0_sel:WORD_0 src1_sel:DWORD
	s_nop 1
	v_cndmask_b32_e64 v47, v3, v2, s[4:5]
; %bb.476:                              ;   in Loop: Header=BB162_40 Depth=1
	s_or_b64 exec, exec, s[10:11]
	v_lshlrev_b32_e32 v2, 16, v8
	v_mul_f32_e32 v2, v48, v2
	v_and_b32_e32 v3, 0x7f800000, v2
	v_cmp_ne_u32_e64 s[4:5], s19, v3
                                        ; implicit-def: $vgpr56
	s_and_saveexec_b64 s[10:11], s[4:5]
	s_xor_b64 s[4:5], exec, s[10:11]
; %bb.477:                              ;   in Loop: Header=BB162_40 Depth=1
	v_bfe_u32 v3, v2, 16, 1
	v_add3_u32 v56, v2, v3, s20
                                        ; implicit-def: $vgpr2
; %bb.478:                              ;   in Loop: Header=BB162_40 Depth=1
	s_andn2_saveexec_b64 s[10:11], s[4:5]
; %bb.479:                              ;   in Loop: Header=BB162_40 Depth=1
	v_or_b32_e32 v3, 0x10000, v2
	v_cmp_eq_u32_sdwa s[4:5], v2, v31 src0_sel:WORD_0 src1_sel:DWORD
	s_nop 1
	v_cndmask_b32_e64 v56, v3, v2, s[4:5]
; %bb.480:                              ;   in Loop: Header=BB162_40 Depth=1
	s_or_b64 exec, exec, s[10:11]
	scratch_load_dwordx2 v[2:3], off, s32 offset:272 ; 8-byte Folded Reload
	s_waitcnt vmcnt(0)
	v_mov_b32_e32 v3, v31
	v_mov_b32_e32 v4, v2
	v_lshl_add_u64 v[2:3], v[6:7], 0, v[2:3]
	scratch_store_dwordx2 off, v[4:5], s32 offset:272 ; 8-byte Folded Spill
	flat_load_dwordx4 v[2:5], v[2:3]
	s_waitcnt vmcnt(0) lgkmcnt(0)
	v_lshrrev_b32_e32 v11, 16, v2
	v_lshrrev_b32_e32 v10, 16, v3
	;; [unrolled: 1-line block ×4, first 2 shown]
	s_and_saveexec_b64 s[10:11], vcc
	s_cbranch_execz .LBB162_482
; %bb.481:                              ;   in Loop: Header=BB162_40 Depth=1
	v_accvgpr_read_b32 v17, a41
	v_cmp_lt_i32_e64 s[4:5], v17, v16
	v_accvgpr_read_b32 v17, a47
	s_nop 0
	v_cndmask_b32_e64 v2, 0, v2, s[4:5]
	v_cmp_lt_i32_e64 s[4:5], v17, v16
	v_accvgpr_read_b32 v17, a45
	s_nop 0
	v_cndmask_b32_e64 v11, 0, v11, s[4:5]
	;; [unrolled: 4-line block ×3, first 2 shown]
	v_cmp_lt_i32_e64 s[4:5], v54, v16
	s_nop 1
	v_cndmask_b32_e64 v10, 0, v10, s[4:5]
	v_cmp_lt_i32_e64 s[4:5], v17, v16
	v_accvgpr_read_b32 v17, a46
	s_nop 0
	v_cndmask_b32_e64 v4, 0, v4, s[4:5]
	v_cmp_lt_i32_e64 s[4:5], v46, v16
	s_nop 1
	v_cndmask_b32_e64 v9, 0, v9, s[4:5]
	v_cmp_lt_i32_e64 s[4:5], v17, v16
	;; [unrolled: 3-line block ×3, first 2 shown]
	s_nop 1
	v_cndmask_b32_e64 v8, 0, v8, s[4:5]
.LBB162_482:                            ;   in Loop: Header=BB162_40 Depth=1
	s_or_b64 exec, exec, s[10:11]
	v_lshlrev_b32_e32 v2, 16, v2
	v_mul_f32_e32 v2, v61, v2
	v_and_b32_e32 v17, 0x7f800000, v2
	v_cmp_ne_u32_e64 s[4:5], s19, v17
                                        ; implicit-def: $vgpr28
	s_and_saveexec_b64 s[10:11], s[4:5]
	s_xor_b64 s[4:5], exec, s[10:11]
; %bb.483:                              ;   in Loop: Header=BB162_40 Depth=1
	v_bfe_u32 v17, v2, 16, 1
	v_add3_u32 v28, v2, v17, s20
                                        ; implicit-def: $vgpr2
; %bb.484:                              ;   in Loop: Header=BB162_40 Depth=1
	s_andn2_saveexec_b64 s[10:11], s[4:5]
; %bb.485:                              ;   in Loop: Header=BB162_40 Depth=1
	v_or_b32_e32 v17, 0x10000, v2
	v_cmp_eq_u32_sdwa s[4:5], v2, v31 src0_sel:WORD_0 src1_sel:DWORD
	s_nop 1
	v_cndmask_b32_e64 v28, v17, v2, s[4:5]
; %bb.486:                              ;   in Loop: Header=BB162_40 Depth=1
	s_or_b64 exec, exec, s[10:11]
	v_lshlrev_b32_e32 v2, 16, v11
	v_mul_f32_e32 v2, v34, v2
	v_and_b32_e32 v11, 0x7f800000, v2
	v_cmp_ne_u32_e64 s[4:5], s19, v11
                                        ; implicit-def: $vgpr29
	s_and_saveexec_b64 s[10:11], s[4:5]
	s_xor_b64 s[4:5], exec, s[10:11]
; %bb.487:                              ;   in Loop: Header=BB162_40 Depth=1
	v_bfe_u32 v11, v2, 16, 1
	v_add3_u32 v29, v2, v11, s20
                                        ; implicit-def: $vgpr2
; %bb.488:                              ;   in Loop: Header=BB162_40 Depth=1
	s_andn2_saveexec_b64 s[10:11], s[4:5]
; %bb.489:                              ;   in Loop: Header=BB162_40 Depth=1
	v_or_b32_e32 v11, 0x10000, v2
	v_cmp_eq_u32_sdwa s[4:5], v2, v31 src0_sel:WORD_0 src1_sel:DWORD
	s_nop 1
	v_cndmask_b32_e64 v29, v11, v2, s[4:5]
; %bb.490:                              ;   in Loop: Header=BB162_40 Depth=1
	s_or_b64 exec, exec, s[10:11]
	v_lshlrev_b32_e32 v2, 16, v3
	v_mul_f32_e32 v2, v35, v2
	v_and_b32_e32 v3, 0x7f800000, v2
	v_cmp_ne_u32_e64 s[4:5], s19, v3
                                        ; implicit-def: $vgpr63
	s_and_saveexec_b64 s[10:11], s[4:5]
	s_xor_b64 s[4:5], exec, s[10:11]
; %bb.491:                              ;   in Loop: Header=BB162_40 Depth=1
	v_bfe_u32 v3, v2, 16, 1
	v_add3_u32 v63, v2, v3, s20
                                        ; implicit-def: $vgpr2
; %bb.492:                              ;   in Loop: Header=BB162_40 Depth=1
	s_andn2_saveexec_b64 s[10:11], s[4:5]
; %bb.493:                              ;   in Loop: Header=BB162_40 Depth=1
	v_or_b32_e32 v3, 0x10000, v2
	v_cmp_eq_u32_sdwa s[4:5], v2, v31 src0_sel:WORD_0 src1_sel:DWORD
	s_nop 1
	v_cndmask_b32_e64 v63, v3, v2, s[4:5]
; %bb.494:                              ;   in Loop: Header=BB162_40 Depth=1
	s_or_b64 exec, exec, s[10:11]
	v_lshlrev_b32_e32 v2, 16, v10
	v_mul_f32_e32 v2, v36, v2
	v_and_b32_e32 v3, 0x7f800000, v2
	v_cmp_ne_u32_e64 s[4:5], s19, v3
                                        ; implicit-def: $vgpr58
	s_and_saveexec_b64 s[10:11], s[4:5]
	s_xor_b64 s[4:5], exec, s[10:11]
; %bb.495:                              ;   in Loop: Header=BB162_40 Depth=1
	v_bfe_u32 v3, v2, 16, 1
	v_add3_u32 v58, v2, v3, s20
                                        ; implicit-def: $vgpr2
; %bb.496:                              ;   in Loop: Header=BB162_40 Depth=1
	s_andn2_saveexec_b64 s[10:11], s[4:5]
; %bb.497:                              ;   in Loop: Header=BB162_40 Depth=1
	v_or_b32_e32 v3, 0x10000, v2
	v_cmp_eq_u32_sdwa s[4:5], v2, v31 src0_sel:WORD_0 src1_sel:DWORD
	s_nop 1
	v_cndmask_b32_e64 v58, v3, v2, s[4:5]
; %bb.498:                              ;   in Loop: Header=BB162_40 Depth=1
	s_or_b64 exec, exec, s[10:11]
	v_lshlrev_b32_e32 v2, 16, v4
	v_mul_f32_e32 v2, v37, v2
	v_and_b32_e32 v3, 0x7f800000, v2
	v_cmp_ne_u32_e64 s[4:5], s19, v3
                                        ; implicit-def: $vgpr17
	s_and_saveexec_b64 s[10:11], s[4:5]
	s_xor_b64 s[4:5], exec, s[10:11]
; %bb.499:                              ;   in Loop: Header=BB162_40 Depth=1
	v_bfe_u32 v3, v2, 16, 1
	v_add3_u32 v17, v2, v3, s20
                                        ; implicit-def: $vgpr2
; %bb.500:                              ;   in Loop: Header=BB162_40 Depth=1
	s_andn2_saveexec_b64 s[10:11], s[4:5]
; %bb.501:                              ;   in Loop: Header=BB162_40 Depth=1
	v_or_b32_e32 v3, 0x10000, v2
	v_cmp_eq_u32_sdwa s[4:5], v2, v31 src0_sel:WORD_0 src1_sel:DWORD
	s_nop 1
	v_cndmask_b32_e64 v17, v3, v2, s[4:5]
; %bb.502:                              ;   in Loop: Header=BB162_40 Depth=1
	s_or_b64 exec, exec, s[10:11]
	v_lshlrev_b32_e32 v2, 16, v9
	v_mul_f32_e32 v2, v38, v2
	v_and_b32_e32 v3, 0x7f800000, v2
	v_cmp_ne_u32_e64 s[4:5], s19, v3
                                        ; implicit-def: $vgpr18
	s_and_saveexec_b64 s[10:11], s[4:5]
	s_xor_b64 s[4:5], exec, s[10:11]
; %bb.503:                              ;   in Loop: Header=BB162_40 Depth=1
	v_bfe_u32 v3, v2, 16, 1
	v_add3_u32 v18, v2, v3, s20
                                        ; implicit-def: $vgpr2
; %bb.504:                              ;   in Loop: Header=BB162_40 Depth=1
	s_andn2_saveexec_b64 s[10:11], s[4:5]
; %bb.505:                              ;   in Loop: Header=BB162_40 Depth=1
	v_or_b32_e32 v3, 0x10000, v2
	v_cmp_eq_u32_sdwa s[4:5], v2, v31 src0_sel:WORD_0 src1_sel:DWORD
	s_nop 1
	v_cndmask_b32_e64 v18, v3, v2, s[4:5]
; %bb.506:                              ;   in Loop: Header=BB162_40 Depth=1
	s_or_b64 exec, exec, s[10:11]
	v_lshlrev_b32_e32 v2, 16, v5
	v_mul_f32_e32 v2, v39, v2
	v_and_b32_e32 v3, 0x7f800000, v2
	v_cmp_ne_u32_e64 s[4:5], s19, v3
                                        ; implicit-def: $vgpr59
	s_and_saveexec_b64 s[10:11], s[4:5]
	s_xor_b64 s[4:5], exec, s[10:11]
; %bb.507:                              ;   in Loop: Header=BB162_40 Depth=1
	v_bfe_u32 v3, v2, 16, 1
	v_add3_u32 v59, v2, v3, s20
                                        ; implicit-def: $vgpr2
; %bb.508:                              ;   in Loop: Header=BB162_40 Depth=1
	s_andn2_saveexec_b64 s[10:11], s[4:5]
; %bb.509:                              ;   in Loop: Header=BB162_40 Depth=1
	v_or_b32_e32 v3, 0x10000, v2
	v_cmp_eq_u32_sdwa s[4:5], v2, v31 src0_sel:WORD_0 src1_sel:DWORD
	s_nop 1
	v_cndmask_b32_e64 v59, v3, v2, s[4:5]
; %bb.510:                              ;   in Loop: Header=BB162_40 Depth=1
	s_or_b64 exec, exec, s[10:11]
	v_lshlrev_b32_e32 v2, 16, v8
	v_mul_f32_e32 v2, v48, v2
	v_and_b32_e32 v3, 0x7f800000, v2
	v_cmp_ne_u32_e64 s[4:5], s19, v3
                                        ; implicit-def: $vgpr60
	s_and_saveexec_b64 s[10:11], s[4:5]
	s_xor_b64 s[4:5], exec, s[10:11]
; %bb.511:                              ;   in Loop: Header=BB162_40 Depth=1
	v_bfe_u32 v3, v2, 16, 1
	v_add3_u32 v60, v2, v3, s20
                                        ; implicit-def: $vgpr2
; %bb.512:                              ;   in Loop: Header=BB162_40 Depth=1
	s_andn2_saveexec_b64 s[10:11], s[4:5]
; %bb.513:                              ;   in Loop: Header=BB162_40 Depth=1
	v_or_b32_e32 v3, 0x10000, v2
	v_cmp_eq_u32_sdwa s[4:5], v2, v31 src0_sel:WORD_0 src1_sel:DWORD
	s_nop 1
	v_cndmask_b32_e64 v60, v3, v2, s[4:5]
; %bb.514:                              ;   in Loop: Header=BB162_40 Depth=1
	s_or_b64 exec, exec, s[10:11]
	scratch_load_dwordx2 v[2:3], off, s32 offset:280 ; 8-byte Folded Reload
	s_waitcnt vmcnt(0)
	v_mov_b32_e32 v3, v31
	v_mov_b32_e32 v4, v2
	v_lshl_add_u64 v[2:3], v[6:7], 0, v[2:3]
	scratch_store_dwordx2 off, v[4:5], s32 offset:280 ; 8-byte Folded Spill
	flat_load_dwordx4 v[2:5], v[2:3]
	s_waitcnt vmcnt(0) lgkmcnt(0)
	v_lshrrev_b32_e32 v9, 16, v2
	v_lshrrev_b32_e32 v8, 16, v3
	;; [unrolled: 1-line block ×4, first 2 shown]
	s_and_saveexec_b64 s[10:11], vcc
	s_cbranch_execz .LBB162_516
; %bb.515:                              ;   in Loop: Header=BB162_40 Depth=1
	v_accvgpr_read_b32 v49, a41
	v_cmp_lt_i32_e64 s[4:5], v49, v16
	v_accvgpr_read_b32 v49, a47
	s_nop 0
	v_cndmask_b32_e64 v2, 0, v2, s[4:5]
	v_cmp_lt_i32_e64 s[4:5], v49, v16
	v_accvgpr_read_b32 v49, a45
	s_nop 0
	v_cndmask_b32_e64 v9, 0, v9, s[4:5]
	;; [unrolled: 4-line block ×3, first 2 shown]
	v_cmp_lt_i32_e64 s[4:5], v54, v16
	s_nop 1
	v_cndmask_b32_e64 v8, 0, v8, s[4:5]
	v_cmp_lt_i32_e64 s[4:5], v49, v16
	v_accvgpr_read_b32 v49, a46
	s_nop 0
	v_cndmask_b32_e64 v4, 0, v4, s[4:5]
	v_cmp_lt_i32_e64 s[4:5], v46, v16
	s_nop 1
	v_cndmask_b32_e64 v11, 0, v11, s[4:5]
	v_cmp_lt_i32_e64 s[4:5], v49, v16
	;; [unrolled: 3-line block ×3, first 2 shown]
	s_nop 1
	v_cndmask_b32_e64 v10, 0, v10, s[4:5]
.LBB162_516:                            ;   in Loop: Header=BB162_40 Depth=1
	s_or_b64 exec, exec, s[10:11]
	v_lshlrev_b32_e32 v2, 16, v2
	v_mul_f32_e32 v2, v61, v2
	v_and_b32_e32 v49, 0x7f800000, v2
	v_cmp_ne_u32_e64 s[4:5], s19, v49
                                        ; implicit-def: $vgpr57
	s_and_saveexec_b64 s[10:11], s[4:5]
	s_xor_b64 s[4:5], exec, s[10:11]
; %bb.517:                              ;   in Loop: Header=BB162_40 Depth=1
	v_bfe_u32 v49, v2, 16, 1
	v_add3_u32 v57, v2, v49, s20
                                        ; implicit-def: $vgpr2
; %bb.518:                              ;   in Loop: Header=BB162_40 Depth=1
	s_andn2_saveexec_b64 s[10:11], s[4:5]
; %bb.519:                              ;   in Loop: Header=BB162_40 Depth=1
	v_or_b32_e32 v49, 0x10000, v2
	v_cmp_eq_u32_sdwa s[4:5], v2, v31 src0_sel:WORD_0 src1_sel:DWORD
	s_nop 1
	v_cndmask_b32_e64 v57, v49, v2, s[4:5]
; %bb.520:                              ;   in Loop: Header=BB162_40 Depth=1
	s_or_b64 exec, exec, s[10:11]
	v_lshlrev_b32_e32 v2, 16, v9
	v_mul_f32_e32 v2, v34, v2
	v_and_b32_e32 v9, 0x7f800000, v2
	v_cmp_ne_u32_e64 s[4:5], s19, v9
                                        ; implicit-def: $vgpr9
	s_and_saveexec_b64 s[10:11], s[4:5]
	s_xor_b64 s[4:5], exec, s[10:11]
; %bb.521:                              ;   in Loop: Header=BB162_40 Depth=1
	v_bfe_u32 v9, v2, 16, 1
	v_add3_u32 v9, v2, v9, s20
                                        ; implicit-def: $vgpr2
; %bb.522:                              ;   in Loop: Header=BB162_40 Depth=1
	s_andn2_saveexec_b64 s[10:11], s[4:5]
; %bb.523:                              ;   in Loop: Header=BB162_40 Depth=1
	v_or_b32_e32 v9, 0x10000, v2
	v_cmp_eq_u32_sdwa s[4:5], v2, v31 src0_sel:WORD_0 src1_sel:DWORD
	s_nop 1
	v_cndmask_b32_e64 v9, v9, v2, s[4:5]
; %bb.524:                              ;   in Loop: Header=BB162_40 Depth=1
	s_or_b64 exec, exec, s[10:11]
	v_lshlrev_b32_e32 v2, 16, v3
	v_mul_f32_e32 v2, v35, v2
	v_and_b32_e32 v3, 0x7f800000, v2
	v_cmp_ne_u32_e64 s[4:5], s19, v3
                                        ; implicit-def: $vgpr49
	s_and_saveexec_b64 s[10:11], s[4:5]
	s_xor_b64 s[4:5], exec, s[10:11]
; %bb.525:                              ;   in Loop: Header=BB162_40 Depth=1
	v_bfe_u32 v3, v2, 16, 1
	v_add3_u32 v49, v2, v3, s20
                                        ; implicit-def: $vgpr2
; %bb.526:                              ;   in Loop: Header=BB162_40 Depth=1
	s_andn2_saveexec_b64 s[10:11], s[4:5]
; %bb.527:                              ;   in Loop: Header=BB162_40 Depth=1
	v_or_b32_e32 v3, 0x10000, v2
	v_cmp_eq_u32_sdwa s[4:5], v2, v31 src0_sel:WORD_0 src1_sel:DWORD
	s_nop 1
	v_cndmask_b32_e64 v49, v3, v2, s[4:5]
; %bb.528:                              ;   in Loop: Header=BB162_40 Depth=1
	s_or_b64 exec, exec, s[10:11]
	v_lshlrev_b32_e32 v2, 16, v8
	v_mul_f32_e32 v2, v36, v2
	v_and_b32_e32 v3, 0x7f800000, v2
	v_cmp_ne_u32_e64 s[4:5], s19, v3
                                        ; implicit-def: $vgpr8
	s_and_saveexec_b64 s[10:11], s[4:5]
	s_xor_b64 s[4:5], exec, s[10:11]
; %bb.529:                              ;   in Loop: Header=BB162_40 Depth=1
	v_bfe_u32 v3, v2, 16, 1
	v_add3_u32 v8, v2, v3, s20
                                        ; implicit-def: $vgpr2
; %bb.530:                              ;   in Loop: Header=BB162_40 Depth=1
	s_andn2_saveexec_b64 s[10:11], s[4:5]
; %bb.531:                              ;   in Loop: Header=BB162_40 Depth=1
	v_or_b32_e32 v3, 0x10000, v2
	v_cmp_eq_u32_sdwa s[4:5], v2, v31 src0_sel:WORD_0 src1_sel:DWORD
	s_nop 1
	v_cndmask_b32_e64 v8, v3, v2, s[4:5]
; %bb.532:                              ;   in Loop: Header=BB162_40 Depth=1
	s_or_b64 exec, exec, s[10:11]
	v_lshlrev_b32_e32 v2, 16, v4
	v_mul_f32_e32 v2, v37, v2
	v_and_b32_e32 v3, 0x7f800000, v2
	v_cmp_ne_u32_e64 s[4:5], s19, v3
                                        ; implicit-def: $vgpr50
	s_and_saveexec_b64 s[10:11], s[4:5]
	s_xor_b64 s[4:5], exec, s[10:11]
; %bb.533:                              ;   in Loop: Header=BB162_40 Depth=1
	v_bfe_u32 v3, v2, 16, 1
	v_add3_u32 v50, v2, v3, s20
                                        ; implicit-def: $vgpr2
; %bb.534:                              ;   in Loop: Header=BB162_40 Depth=1
	s_andn2_saveexec_b64 s[10:11], s[4:5]
; %bb.535:                              ;   in Loop: Header=BB162_40 Depth=1
	v_or_b32_e32 v3, 0x10000, v2
	v_cmp_eq_u32_sdwa s[4:5], v2, v31 src0_sel:WORD_0 src1_sel:DWORD
	s_nop 1
	v_cndmask_b32_e64 v50, v3, v2, s[4:5]
; %bb.536:                              ;   in Loop: Header=BB162_40 Depth=1
	s_or_b64 exec, exec, s[10:11]
	v_lshlrev_b32_e32 v2, 16, v11
	v_mul_f32_e32 v2, v38, v2
	v_and_b32_e32 v3, 0x7f800000, v2
	v_cmp_ne_u32_e64 s[4:5], s19, v3
                                        ; implicit-def: $vgpr51
	s_and_saveexec_b64 s[10:11], s[4:5]
	s_xor_b64 s[4:5], exec, s[10:11]
; %bb.537:                              ;   in Loop: Header=BB162_40 Depth=1
	v_bfe_u32 v3, v2, 16, 1
	v_add3_u32 v51, v2, v3, s20
                                        ; implicit-def: $vgpr2
; %bb.538:                              ;   in Loop: Header=BB162_40 Depth=1
	s_andn2_saveexec_b64 s[10:11], s[4:5]
; %bb.539:                              ;   in Loop: Header=BB162_40 Depth=1
	v_or_b32_e32 v3, 0x10000, v2
	v_cmp_eq_u32_sdwa s[4:5], v2, v31 src0_sel:WORD_0 src1_sel:DWORD
	s_nop 1
	v_cndmask_b32_e64 v51, v3, v2, s[4:5]
; %bb.540:                              ;   in Loop: Header=BB162_40 Depth=1
	s_or_b64 exec, exec, s[10:11]
	v_lshlrev_b32_e32 v2, 16, v5
	v_mul_f32_e32 v2, v39, v2
	v_and_b32_e32 v3, 0x7f800000, v2
	v_cmp_ne_u32_e64 s[4:5], s19, v3
                                        ; implicit-def: $vgpr52
	s_and_saveexec_b64 s[10:11], s[4:5]
	s_xor_b64 s[4:5], exec, s[10:11]
; %bb.541:                              ;   in Loop: Header=BB162_40 Depth=1
	v_bfe_u32 v3, v2, 16, 1
	v_add3_u32 v52, v2, v3, s20
                                        ; implicit-def: $vgpr2
; %bb.542:                              ;   in Loop: Header=BB162_40 Depth=1
	s_andn2_saveexec_b64 s[10:11], s[4:5]
; %bb.543:                              ;   in Loop: Header=BB162_40 Depth=1
	v_or_b32_e32 v3, 0x10000, v2
	v_cmp_eq_u32_sdwa s[4:5], v2, v31 src0_sel:WORD_0 src1_sel:DWORD
	s_nop 1
	v_cndmask_b32_e64 v52, v3, v2, s[4:5]
; %bb.544:                              ;   in Loop: Header=BB162_40 Depth=1
	s_or_b64 exec, exec, s[10:11]
	v_lshlrev_b32_e32 v2, 16, v10
	v_mul_f32_e32 v2, v48, v2
	v_and_b32_e32 v3, 0x7f800000, v2
	v_cmp_ne_u32_e64 s[4:5], s19, v3
                                        ; implicit-def: $vgpr53
	s_and_saveexec_b64 s[10:11], s[4:5]
	s_xor_b64 s[4:5], exec, s[10:11]
; %bb.545:                              ;   in Loop: Header=BB162_40 Depth=1
	v_bfe_u32 v3, v2, 16, 1
	v_add3_u32 v53, v2, v3, s20
                                        ; implicit-def: $vgpr2
; %bb.546:                              ;   in Loop: Header=BB162_40 Depth=1
	s_andn2_saveexec_b64 s[10:11], s[4:5]
; %bb.547:                              ;   in Loop: Header=BB162_40 Depth=1
	v_or_b32_e32 v3, 0x10000, v2
	v_cmp_eq_u32_sdwa s[4:5], v2, v31 src0_sel:WORD_0 src1_sel:DWORD
	s_nop 1
	v_cndmask_b32_e64 v53, v3, v2, s[4:5]
; %bb.548:                              ;   in Loop: Header=BB162_40 Depth=1
	s_or_b64 exec, exec, s[10:11]
	scratch_load_dwordx2 v[2:3], off, s32 offset:288 ; 8-byte Folded Reload
	s_waitcnt vmcnt(0)
	v_mov_b32_e32 v3, v31
	v_accvgpr_write_b32 a44, v54
	v_mov_b32_e32 v4, v2
	v_lshl_add_u64 v[2:3], v[6:7], 0, v[2:3]
	scratch_store_dwordx2 off, v[4:5], s32 offset:288 ; 8-byte Folded Spill
	flat_load_dwordx4 v[2:5], v[2:3]
	s_waitcnt vmcnt(0) lgkmcnt(0)
	v_lshrrev_b32_e32 v11, 16, v2
	v_lshrrev_b32_e32 v10, 16, v3
	v_lshrrev_b32_e32 v41, 16, v4
	v_lshrrev_b32_e32 v43, 16, v5
	s_and_saveexec_b64 s[10:11], vcc
	s_cbranch_execz .LBB162_550
; %bb.549:                              ;   in Loop: Header=BB162_40 Depth=1
	v_accvgpr_read_b32 v54, a41
	v_cmp_lt_i32_e64 s[4:5], v54, v16
	v_accvgpr_read_b32 v54, a47
	s_nop 0
	v_cndmask_b32_e64 v2, 0, v2, s[4:5]
	v_cmp_lt_i32_e64 s[4:5], v54, v16
	v_accvgpr_read_b32 v54, a45
	s_nop 0
	v_cndmask_b32_e64 v11, 0, v11, s[4:5]
	;; [unrolled: 4-line block ×5, first 2 shown]
	v_cmp_lt_i32_e64 s[4:5], v46, v16
	s_nop 1
	v_cndmask_b32_e64 v41, 0, v41, s[4:5]
	v_cmp_lt_i32_e64 s[4:5], v54, v16
	s_nop 1
	v_cndmask_b32_e64 v5, 0, v5, s[4:5]
	;; [unrolled: 3-line block ×3, first 2 shown]
.LBB162_550:                            ;   in Loop: Header=BB162_40 Depth=1
	s_or_b64 exec, exec, s[10:11]
	v_lshlrev_b32_e32 v2, 16, v2
	v_mul_f32_e32 v2, v61, v2
	v_and_b32_e32 v54, 0x7f800000, v2
	v_cmp_ne_u32_e64 s[4:5], s19, v54
                                        ; implicit-def: $vgpr54
	s_and_saveexec_b64 s[10:11], s[4:5]
	s_xor_b64 s[4:5], exec, s[10:11]
; %bb.551:                              ;   in Loop: Header=BB162_40 Depth=1
	v_bfe_u32 v54, v2, 16, 1
	v_add3_u32 v54, v2, v54, s20
                                        ; implicit-def: $vgpr2
; %bb.552:                              ;   in Loop: Header=BB162_40 Depth=1
	s_andn2_saveexec_b64 s[10:11], s[4:5]
; %bb.553:                              ;   in Loop: Header=BB162_40 Depth=1
	v_or_b32_e32 v54, 0x10000, v2
	v_cmp_eq_u32_sdwa s[4:5], v2, v31 src0_sel:WORD_0 src1_sel:DWORD
	s_nop 1
	v_cndmask_b32_e64 v54, v54, v2, s[4:5]
; %bb.554:                              ;   in Loop: Header=BB162_40 Depth=1
	s_or_b64 exec, exec, s[10:11]
	v_lshlrev_b32_e32 v2, 16, v11
	v_mul_f32_e32 v2, v34, v2
	v_and_b32_e32 v11, 0x7f800000, v2
	v_cmp_ne_u32_e64 s[4:5], s19, v11
                                        ; implicit-def: $vgpr55
	s_and_saveexec_b64 s[10:11], s[4:5]
	s_xor_b64 s[4:5], exec, s[10:11]
; %bb.555:                              ;   in Loop: Header=BB162_40 Depth=1
	v_bfe_u32 v11, v2, 16, 1
	v_add3_u32 v55, v2, v11, s20
                                        ; implicit-def: $vgpr2
; %bb.556:                              ;   in Loop: Header=BB162_40 Depth=1
	s_andn2_saveexec_b64 s[10:11], s[4:5]
; %bb.557:                              ;   in Loop: Header=BB162_40 Depth=1
	v_or_b32_e32 v11, 0x10000, v2
	v_cmp_eq_u32_sdwa s[4:5], v2, v31 src0_sel:WORD_0 src1_sel:DWORD
	s_nop 1
	v_cndmask_b32_e64 v55, v11, v2, s[4:5]
; %bb.558:                              ;   in Loop: Header=BB162_40 Depth=1
	s_or_b64 exec, exec, s[10:11]
	v_lshlrev_b32_e32 v2, 16, v3
	v_mul_f32_e32 v2, v35, v2
	v_and_b32_e32 v3, 0x7f800000, v2
	v_cmp_ne_u32_e64 s[4:5], s19, v3
                                        ; implicit-def: $vgpr40
	s_and_saveexec_b64 s[10:11], s[4:5]
	s_xor_b64 s[4:5], exec, s[10:11]
; %bb.559:                              ;   in Loop: Header=BB162_40 Depth=1
	v_bfe_u32 v3, v2, 16, 1
	v_add3_u32 v40, v2, v3, s20
                                        ; implicit-def: $vgpr2
; %bb.560:                              ;   in Loop: Header=BB162_40 Depth=1
	s_andn2_saveexec_b64 s[10:11], s[4:5]
; %bb.561:                              ;   in Loop: Header=BB162_40 Depth=1
	v_or_b32_e32 v3, 0x10000, v2
	v_cmp_eq_u32_sdwa s[4:5], v2, v31 src0_sel:WORD_0 src1_sel:DWORD
	s_nop 1
	v_cndmask_b32_e64 v40, v3, v2, s[4:5]
; %bb.562:                              ;   in Loop: Header=BB162_40 Depth=1
	s_or_b64 exec, exec, s[10:11]
	v_lshlrev_b32_e32 v2, 16, v10
	v_mul_f32_e32 v2, v36, v2
	v_and_b32_e32 v3, 0x7f800000, v2
	v_cmp_ne_u32_e64 s[4:5], s19, v3
                                        ; implicit-def: $vgpr10
	s_and_saveexec_b64 s[10:11], s[4:5]
	s_xor_b64 s[4:5], exec, s[10:11]
; %bb.563:                              ;   in Loop: Header=BB162_40 Depth=1
	v_bfe_u32 v3, v2, 16, 1
	v_add3_u32 v10, v2, v3, s20
                                        ; implicit-def: $vgpr2
; %bb.564:                              ;   in Loop: Header=BB162_40 Depth=1
	s_andn2_saveexec_b64 s[10:11], s[4:5]
; %bb.565:                              ;   in Loop: Header=BB162_40 Depth=1
	v_or_b32_e32 v3, 0x10000, v2
	v_cmp_eq_u32_sdwa s[4:5], v2, v31 src0_sel:WORD_0 src1_sel:DWORD
	s_nop 1
	v_cndmask_b32_e64 v10, v3, v2, s[4:5]
; %bb.566:                              ;   in Loop: Header=BB162_40 Depth=1
	s_or_b64 exec, exec, s[10:11]
	v_lshlrev_b32_e32 v2, 16, v4
	v_mul_f32_e32 v2, v37, v2
	v_and_b32_e32 v3, 0x7f800000, v2
	v_cmp_ne_u32_e64 s[4:5], s19, v3
                                        ; implicit-def: $vgpr11
	s_and_saveexec_b64 s[10:11], s[4:5]
	s_xor_b64 s[4:5], exec, s[10:11]
; %bb.567:                              ;   in Loop: Header=BB162_40 Depth=1
	v_bfe_u32 v3, v2, 16, 1
	v_add3_u32 v11, v2, v3, s20
                                        ; implicit-def: $vgpr2
; %bb.568:                              ;   in Loop: Header=BB162_40 Depth=1
	s_andn2_saveexec_b64 s[10:11], s[4:5]
; %bb.569:                              ;   in Loop: Header=BB162_40 Depth=1
	v_or_b32_e32 v3, 0x10000, v2
	v_cmp_eq_u32_sdwa s[4:5], v2, v31 src0_sel:WORD_0 src1_sel:DWORD
	s_nop 1
	v_cndmask_b32_e64 v11, v3, v2, s[4:5]
; %bb.570:                              ;   in Loop: Header=BB162_40 Depth=1
	s_or_b64 exec, exec, s[10:11]
	v_lshlrev_b32_e32 v2, 16, v41
	v_mul_f32_e32 v2, v38, v2
	v_and_b32_e32 v3, 0x7f800000, v2
	v_cmp_ne_u32_e64 s[4:5], s19, v3
                                        ; implicit-def: $vgpr41
	s_and_saveexec_b64 s[10:11], s[4:5]
	s_xor_b64 s[4:5], exec, s[10:11]
; %bb.571:                              ;   in Loop: Header=BB162_40 Depth=1
	v_bfe_u32 v3, v2, 16, 1
	v_add3_u32 v41, v2, v3, s20
                                        ; implicit-def: $vgpr2
; %bb.572:                              ;   in Loop: Header=BB162_40 Depth=1
	s_andn2_saveexec_b64 s[10:11], s[4:5]
; %bb.573:                              ;   in Loop: Header=BB162_40 Depth=1
	v_or_b32_e32 v3, 0x10000, v2
	v_cmp_eq_u32_sdwa s[4:5], v2, v31 src0_sel:WORD_0 src1_sel:DWORD
	s_nop 1
	v_cndmask_b32_e64 v41, v3, v2, s[4:5]
; %bb.574:                              ;   in Loop: Header=BB162_40 Depth=1
	s_or_b64 exec, exec, s[10:11]
	v_lshlrev_b32_e32 v2, 16, v5
	v_mul_f32_e32 v2, v39, v2
	v_and_b32_e32 v3, 0x7f800000, v2
	v_cmp_ne_u32_e64 s[4:5], s19, v3
                                        ; implicit-def: $vgpr42
	s_and_saveexec_b64 s[10:11], s[4:5]
	s_xor_b64 s[4:5], exec, s[10:11]
; %bb.575:                              ;   in Loop: Header=BB162_40 Depth=1
	v_bfe_u32 v3, v2, 16, 1
	v_add3_u32 v42, v2, v3, s20
                                        ; implicit-def: $vgpr2
; %bb.576:                              ;   in Loop: Header=BB162_40 Depth=1
	s_andn2_saveexec_b64 s[10:11], s[4:5]
; %bb.577:                              ;   in Loop: Header=BB162_40 Depth=1
	v_or_b32_e32 v3, 0x10000, v2
	v_cmp_eq_u32_sdwa s[4:5], v2, v31 src0_sel:WORD_0 src1_sel:DWORD
	s_nop 1
	v_cndmask_b32_e64 v42, v3, v2, s[4:5]
; %bb.578:                              ;   in Loop: Header=BB162_40 Depth=1
	s_or_b64 exec, exec, s[10:11]
	v_lshlrev_b32_e32 v2, 16, v43
	v_mul_f32_e32 v2, v48, v2
	v_and_b32_e32 v3, 0x7f800000, v2
	v_cmp_ne_u32_e64 s[4:5], s19, v3
                                        ; implicit-def: $vgpr43
	s_and_saveexec_b64 s[10:11], s[4:5]
	s_xor_b64 s[4:5], exec, s[10:11]
; %bb.579:                              ;   in Loop: Header=BB162_40 Depth=1
	v_bfe_u32 v3, v2, 16, 1
	v_add3_u32 v43, v2, v3, s20
                                        ; implicit-def: $vgpr2
; %bb.580:                              ;   in Loop: Header=BB162_40 Depth=1
	s_andn2_saveexec_b64 s[10:11], s[4:5]
; %bb.581:                              ;   in Loop: Header=BB162_40 Depth=1
	v_or_b32_e32 v3, 0x10000, v2
	v_cmp_eq_u32_sdwa s[4:5], v2, v31 src0_sel:WORD_0 src1_sel:DWORD
	s_nop 1
	v_cndmask_b32_e64 v43, v3, v2, s[4:5]
; %bb.582:                              ;   in Loop: Header=BB162_40 Depth=1
	s_or_b64 exec, exec, s[10:11]
	scratch_load_dwordx2 v[2:3], off, s32 offset:296 ; 8-byte Folded Reload
	s_waitcnt vmcnt(0)
	v_mov_b32_e32 v3, v31
	v_mov_b32_e32 v4, v2
	v_lshl_add_u64 v[2:3], v[6:7], 0, v[2:3]
	scratch_store_dwordx2 off, v[4:5], s32 offset:296 ; 8-byte Folded Spill
	flat_load_dwordx4 v[2:5], v[2:3]
	s_waitcnt vmcnt(0) lgkmcnt(0)
	v_lshrrev_b32_e32 v6, 16, v2
	v_lshrrev_b32_e32 v7, 16, v3
	v_lshrrev_b32_e32 v45, 16, v4
	v_lshrrev_b32_e32 v44, 16, v5
	s_and_saveexec_b64 s[4:5], vcc
	s_cbranch_execz .LBB162_584
; %bb.583:                              ;   in Loop: Header=BB162_40 Depth=1
	v_accvgpr_write_b32 a42, v62
	v_mov_b32_e32 v62, v46
	v_accvgpr_read_b32 v46, a41
	v_cmp_lt_i32_e32 vcc, v46, v16
	v_accvgpr_read_b32 v46, a47
	s_nop 0
	v_cndmask_b32_e32 v2, 0, v2, vcc
	v_cmp_lt_i32_e32 vcc, v46, v16
	v_accvgpr_read_b32 v46, a45
	s_nop 0
	v_cndmask_b32_e32 v6, 0, v6, vcc
	v_cmp_lt_i32_e32 vcc, v46, v16
	v_accvgpr_read_b32 v46, a44
	s_nop 0
	v_cndmask_b32_e32 v3, 0, v3, vcc
	v_cmp_lt_i32_e32 vcc, v46, v16
	v_accvgpr_read_b32 v46, a43
	s_nop 0
	v_cndmask_b32_e32 v7, 0, v7, vcc
	v_cmp_lt_i32_e32 vcc, v46, v16
	v_accvgpr_read_b32 v46, a46
	s_nop 0
	v_cndmask_b32_e32 v4, 0, v4, vcc
	v_cmp_lt_i32_e32 vcc, v62, v16
	v_accvgpr_read_b32 v62, a42
	s_nop 0
	v_cndmask_b32_e32 v45, 0, v45, vcc
	v_cmp_lt_i32_e32 vcc, v46, v16
	s_nop 1
	v_cndmask_b32_e32 v5, 0, v5, vcc
	v_cmp_lt_i32_e32 vcc, v19, v16
	s_nop 1
	v_cndmask_b32_e32 v44, 0, v44, vcc
.LBB162_584:                            ;   in Loop: Header=BB162_40 Depth=1
	s_or_b64 exec, exec, s[4:5]
	v_lshlrev_b32_e32 v2, 16, v2
	v_mul_f32_e32 v61, v61, v2
	v_and_b32_e32 v2, 0x7f800000, v61
	v_cmp_ne_u32_e32 vcc, s19, v2
                                        ; implicit-def: $vgpr2
	s_and_saveexec_b64 s[4:5], vcc
	s_xor_b64 s[4:5], exec, s[4:5]
; %bb.585:                              ;   in Loop: Header=BB162_40 Depth=1
	v_bfe_u32 v2, v61, 16, 1
	v_add3_u32 v2, v61, v2, s20
                                        ; implicit-def: $vgpr61
; %bb.586:                              ;   in Loop: Header=BB162_40 Depth=1
	s_andn2_saveexec_b64 s[4:5], s[4:5]
; %bb.587:                              ;   in Loop: Header=BB162_40 Depth=1
	v_or_b32_e32 v2, 0x10000, v61
	v_cmp_eq_u32_sdwa vcc, v61, v31 src0_sel:WORD_0 src1_sel:DWORD
	s_nop 1
	v_cndmask_b32_e32 v2, v2, v61, vcc
; %bb.588:                              ;   in Loop: Header=BB162_40 Depth=1
	s_or_b64 exec, exec, s[4:5]
	v_lshlrev_b32_e32 v6, 16, v6
	v_mul_f32_e32 v34, v34, v6
	v_and_b32_e32 v6, 0x7f800000, v34
	v_cmp_ne_u32_e32 vcc, s19, v6
                                        ; implicit-def: $vgpr6
	s_and_saveexec_b64 s[4:5], vcc
	s_xor_b64 s[4:5], exec, s[4:5]
; %bb.589:                              ;   in Loop: Header=BB162_40 Depth=1
	v_bfe_u32 v6, v34, 16, 1
	v_add3_u32 v6, v34, v6, s20
                                        ; implicit-def: $vgpr34
; %bb.590:                              ;   in Loop: Header=BB162_40 Depth=1
	s_andn2_saveexec_b64 s[4:5], s[4:5]
; %bb.591:                              ;   in Loop: Header=BB162_40 Depth=1
	v_or_b32_e32 v6, 0x10000, v34
	v_cmp_eq_u32_sdwa vcc, v34, v31 src0_sel:WORD_0 src1_sel:DWORD
	s_nop 1
	v_cndmask_b32_e32 v6, v6, v34, vcc
; %bb.592:                              ;   in Loop: Header=BB162_40 Depth=1
	s_or_b64 exec, exec, s[4:5]
	v_lshlrev_b32_e32 v3, 16, v3
	v_mul_f32_e32 v34, v35, v3
	v_and_b32_e32 v3, 0x7f800000, v34
	v_cmp_ne_u32_e32 vcc, s19, v3
                                        ; implicit-def: $vgpr3
	s_and_saveexec_b64 s[4:5], vcc
	s_xor_b64 s[4:5], exec, s[4:5]
; %bb.593:                              ;   in Loop: Header=BB162_40 Depth=1
	v_bfe_u32 v3, v34, 16, 1
	v_add3_u32 v3, v34, v3, s20
                                        ; implicit-def: $vgpr34
; %bb.594:                              ;   in Loop: Header=BB162_40 Depth=1
	s_andn2_saveexec_b64 s[4:5], s[4:5]
; %bb.595:                              ;   in Loop: Header=BB162_40 Depth=1
	v_or_b32_e32 v3, 0x10000, v34
	v_cmp_eq_u32_sdwa vcc, v34, v31 src0_sel:WORD_0 src1_sel:DWORD
	s_nop 1
	v_cndmask_b32_e32 v3, v3, v34, vcc
; %bb.596:                              ;   in Loop: Header=BB162_40 Depth=1
	s_or_b64 exec, exec, s[4:5]
	v_lshlrev_b32_e32 v7, 16, v7
	v_mul_f32_e32 v34, v36, v7
	v_and_b32_e32 v7, 0x7f800000, v34
	v_cmp_ne_u32_e32 vcc, s19, v7
                                        ; implicit-def: $vgpr7
	s_and_saveexec_b64 s[4:5], vcc
	s_xor_b64 s[4:5], exec, s[4:5]
; %bb.597:                              ;   in Loop: Header=BB162_40 Depth=1
	v_bfe_u32 v7, v34, 16, 1
	v_add3_u32 v7, v34, v7, s20
                                        ; implicit-def: $vgpr34
; %bb.598:                              ;   in Loop: Header=BB162_40 Depth=1
	s_andn2_saveexec_b64 s[4:5], s[4:5]
; %bb.599:                              ;   in Loop: Header=BB162_40 Depth=1
	v_or_b32_e32 v7, 0x10000, v34
	v_cmp_eq_u32_sdwa vcc, v34, v31 src0_sel:WORD_0 src1_sel:DWORD
	s_nop 1
	v_cndmask_b32_e32 v7, v7, v34, vcc
; %bb.600:                              ;   in Loop: Header=BB162_40 Depth=1
	s_or_b64 exec, exec, s[4:5]
	v_lshlrev_b32_e32 v4, 16, v4
	v_mul_f32_e32 v34, v37, v4
	v_and_b32_e32 v4, 0x7f800000, v34
	v_cmp_ne_u32_e32 vcc, s19, v4
                                        ; implicit-def: $vgpr4
	s_and_saveexec_b64 s[4:5], vcc
	s_xor_b64 s[4:5], exec, s[4:5]
; %bb.601:                              ;   in Loop: Header=BB162_40 Depth=1
	v_bfe_u32 v4, v34, 16, 1
	v_add3_u32 v4, v34, v4, s20
                                        ; implicit-def: $vgpr34
; %bb.602:                              ;   in Loop: Header=BB162_40 Depth=1
	s_andn2_saveexec_b64 s[4:5], s[4:5]
; %bb.603:                              ;   in Loop: Header=BB162_40 Depth=1
	v_or_b32_e32 v4, 0x10000, v34
	v_cmp_eq_u32_sdwa vcc, v34, v31 src0_sel:WORD_0 src1_sel:DWORD
	s_nop 1
	v_cndmask_b32_e32 v4, v4, v34, vcc
; %bb.604:                              ;   in Loop: Header=BB162_40 Depth=1
	s_or_b64 exec, exec, s[4:5]
	v_lshlrev_b32_e32 v34, 16, v45
	v_mul_f32_e32 v35, v38, v34
	v_and_b32_e32 v34, 0x7f800000, v35
	v_cmp_ne_u32_e32 vcc, s19, v34
                                        ; implicit-def: $vgpr34
	s_and_saveexec_b64 s[4:5], vcc
	s_xor_b64 s[4:5], exec, s[4:5]
; %bb.605:                              ;   in Loop: Header=BB162_40 Depth=1
	v_bfe_u32 v34, v35, 16, 1
	v_add3_u32 v34, v35, v34, s20
                                        ; implicit-def: $vgpr35
; %bb.606:                              ;   in Loop: Header=BB162_40 Depth=1
	s_andn2_saveexec_b64 s[4:5], s[4:5]
; %bb.607:                              ;   in Loop: Header=BB162_40 Depth=1
	v_or_b32_e32 v34, 0x10000, v35
	v_cmp_eq_u32_sdwa vcc, v35, v31 src0_sel:WORD_0 src1_sel:DWORD
	s_nop 1
	v_cndmask_b32_e32 v34, v34, v35, vcc
; %bb.608:                              ;   in Loop: Header=BB162_40 Depth=1
	s_or_b64 exec, exec, s[4:5]
	v_lshlrev_b32_e32 v5, 16, v5
	v_mul_f32_e32 v35, v39, v5
	v_and_b32_e32 v5, 0x7f800000, v35
	v_cmp_ne_u32_e32 vcc, s19, v5
                                        ; implicit-def: $vgpr5
	s_and_saveexec_b64 s[4:5], vcc
	s_xor_b64 s[4:5], exec, s[4:5]
; %bb.609:                              ;   in Loop: Header=BB162_40 Depth=1
	v_bfe_u32 v5, v35, 16, 1
	v_add3_u32 v5, v35, v5, s20
                                        ; implicit-def: $vgpr35
; %bb.610:                              ;   in Loop: Header=BB162_40 Depth=1
	s_andn2_saveexec_b64 s[4:5], s[4:5]
; %bb.611:                              ;   in Loop: Header=BB162_40 Depth=1
	v_or_b32_e32 v5, 0x10000, v35
	v_cmp_eq_u32_sdwa vcc, v35, v31 src0_sel:WORD_0 src1_sel:DWORD
	s_nop 1
	v_cndmask_b32_e32 v5, v5, v35, vcc
; %bb.612:                              ;   in Loop: Header=BB162_40 Depth=1
	s_or_b64 exec, exec, s[4:5]
	v_lshlrev_b32_e32 v35, 16, v44
	v_mul_f32_e32 v36, v48, v35
	v_and_b32_e32 v35, 0x7f800000, v36
	v_cmp_ne_u32_e32 vcc, s19, v35
                                        ; implicit-def: $vgpr35
	s_and_saveexec_b64 s[4:5], vcc
	s_xor_b64 s[4:5], exec, s[4:5]
; %bb.613:                              ;   in Loop: Header=BB162_40 Depth=1
	v_bfe_u32 v35, v36, 16, 1
	v_add3_u32 v35, v36, v35, s20
                                        ; implicit-def: $vgpr36
; %bb.614:                              ;   in Loop: Header=BB162_40 Depth=1
	s_andn2_saveexec_b64 s[4:5], s[4:5]
	s_cbranch_execz .LBB162_39
; %bb.615:                              ;   in Loop: Header=BB162_40 Depth=1
	v_or_b32_e32 v35, 0x10000, v36
	v_cmp_eq_u32_sdwa vcc, v36, v31 src0_sel:WORD_0 src1_sel:DWORD
	s_nop 1
	v_cndmask_b32_e32 v35, v35, v36, vcc
	s_branch .LBB162_39
.LBB162_616:
	s_or_b64 exec, exec, s[8:9]
	scratch_load_dword v30, off, s32 offset:584 ; 4-byte Folded Reload
	scratch_load_dword v34, off, s32 offset:484 ; 4-byte Folded Reload
	;; [unrolled: 1-line block ×5, first 2 shown]
.LBB162_617:
	s_or_b64 exec, exec, s[6:7]
	s_waitcnt vmcnt(1)
	ds_bpermute_b32 v2, v29, v32
	ds_bpermute_b32 v3, v29, v33
	;; [unrolled: 1-line block ×6, first 2 shown]
	s_waitcnt lgkmcnt(4)
	v_pk_add_f32 v[2:3], v[32:33], v[2:3]
	s_waitcnt vmcnt(0)
	ds_bpermute_b32 v6, v35, v2
	ds_bpermute_b32 v7, v35, v3
	s_waitcnt lgkmcnt(4)
	v_pk_add_f32 v[4:5], v[26:27], v[4:5]
	ds_bpermute_b32 v10, v35, v4
	ds_bpermute_b32 v11, v35, v5
	;; [unrolled: 1-line block ×3, first 2 shown]
	s_waitcnt lgkmcnt(3)
	v_pk_add_f32 v[26:27], v[2:3], v[6:7]
	v_pk_add_f32 v[2:3], v[24:25], v[8:9]
	ds_bpermute_b32 v6, v35, v2
	ds_bpermute_b32 v7, v35, v3
	;; [unrolled: 1-line block ×4, first 2 shown]
	s_waitcnt lgkmcnt(5)
	v_pk_add_f32 v[24:25], v[4:5], v[10:11]
	ds_bpermute_b32 v4, v29, v20
	s_waitcnt lgkmcnt(3)
	v_pk_add_f32 v[18:19], v[2:3], v[6:7]
	ds_bpermute_b32 v5, v29, v21
	;; [unrolled: 3-line block ×3, first 2 shown]
	ds_bpermute_b32 v9, v29, v1
	ds_bpermute_b32 v10, v29, v14
	;; [unrolled: 1-line block ×5, first 2 shown]
	s_waitcnt lgkmcnt(4)
	v_pk_add_f32 v[0:1], v[0:1], v[8:9]
	v_pk_add_f32 v[4:5], v[20:21], v[4:5]
	ds_bpermute_b32 v20, v35, v0
	ds_bpermute_b32 v21, v35, v1
	;; [unrolled: 1-line block ×5, first 2 shown]
	s_waitcnt lgkmcnt(7)
	v_pk_add_f32 v[14:15], v[14:15], v[10:11]
	ds_bpermute_b32 v22, v35, v14
	ds_bpermute_b32 v23, v35, v15
	s_waitcnt lgkmcnt(7)
	v_pk_add_f32 v[10:11], v[2:3], v[6:7]
	s_waitcnt lgkmcnt(5)
	v_pk_add_f32 v[6:7], v[0:1], v[20:21]
	;; [unrolled: 2-line block ×4, first 2 shown]
	ds_bpermute_b32 v4, v35, v0
	ds_bpermute_b32 v5, v35, v1
	v_and_b32_e32 v12, 0x3c3, v30
	s_waitcnt lgkmcnt(2)
	v_pk_add_f32 v[2:3], v[14:15], v[22:23]
	v_cmp_ne_u32_e32 vcc, 64, v12
	s_waitcnt lgkmcnt(0)
	s_barrier
	s_and_saveexec_b64 s[4:5], vcc
	s_xor_b64 s[4:5], exec, s[4:5]
; %bb.618:
                                        ; implicit-def: $vgpr31
; %bb.619:
	s_or_saveexec_b64 s[4:5], s[4:5]
	v_pk_add_f32 v[4:5], v[0:1], v[4:5]
	s_xor_b64 exec, exec, s[4:5]
	s_cbranch_execz .LBB162_621
; %bb.620:
	s_ashr_i32 s19, s18, 31
	s_lshl_b64 s[6:7], s[18:19], 2
	s_getpc_b64 s[8:9]
	s_add_u32 s8, s8, llvm.amdgcn.dynlds.offset.table@rel32@lo+4
	s_addc_u32 s9, s9, llvm.amdgcn.dynlds.offset.table@rel32@hi+12
	s_add_u32 s6, s6, s8
	s_addc_u32 s7, s7, s9
	s_load_dword s6, s[6:7], 0x0
	s_waitcnt lgkmcnt(0)
	v_add_u32_e32 v0, s6, v31
	ds_write2_b32 v0, v26, v27 offset1:16
	ds_write2_b32 v0, v24, v25 offset0:32 offset1:48
	ds_write2_b32 v0, v18, v19 offset0:64 offset1:80
	;; [unrolled: 1-line block ×7, first 2 shown]
.LBB162_621:
	s_or_b64 exec, exec, s[4:5]
	s_waitcnt lgkmcnt(0)
	s_barrier
	s_and_saveexec_b64 s[4:5], s[2:3]
	s_xor_b64 s[2:3], exec, s[4:5]
	s_andn2_saveexec_b64 s[2:3], s[2:3]
	s_cbranch_execz .LBB162_640
; %bb.622:
	v_cmp_eq_u32_e32 vcc, 0, v34
	v_lshrrev_b32_e32 v0, 2, v30
	s_and_saveexec_b64 s[4:5], vcc
	s_cbranch_execnz .LBB162_708
; %bb.623:
	s_or_b64 exec, exec, s[4:5]
	s_and_saveexec_b64 s[4:5], vcc
	s_cbranch_execnz .LBB162_709
.LBB162_624:
	s_or_b64 exec, exec, s[4:5]
	s_and_saveexec_b64 s[4:5], vcc
	s_cbranch_execnz .LBB162_710
.LBB162_625:
	s_or_b64 exec, exec, s[4:5]
	s_and_saveexec_b64 s[4:5], vcc
	s_cbranch_execnz .LBB162_711
.LBB162_626:
	s_or_b64 exec, exec, s[4:5]
	s_and_saveexec_b64 s[4:5], vcc
	s_cbranch_execnz .LBB162_712
.LBB162_627:
	s_or_b64 exec, exec, s[4:5]
	s_and_saveexec_b64 s[4:5], vcc
	s_cbranch_execnz .LBB162_713
.LBB162_628:
	s_or_b64 exec, exec, s[4:5]
	s_and_saveexec_b64 s[4:5], vcc
	s_cbranch_execnz .LBB162_714
.LBB162_629:
	s_or_b64 exec, exec, s[4:5]
	s_and_saveexec_b64 s[4:5], vcc
	s_cbranch_execnz .LBB162_715
.LBB162_630:
	s_or_b64 exec, exec, s[4:5]
	s_and_saveexec_b64 s[4:5], vcc
	s_cbranch_execnz .LBB162_716
.LBB162_631:
	s_or_b64 exec, exec, s[4:5]
	s_and_saveexec_b64 s[4:5], vcc
	s_cbranch_execnz .LBB162_717
.LBB162_632:
	s_or_b64 exec, exec, s[4:5]
	s_and_saveexec_b64 s[4:5], vcc
	s_cbranch_execnz .LBB162_718
.LBB162_633:
	s_or_b64 exec, exec, s[4:5]
	s_and_saveexec_b64 s[4:5], vcc
	s_cbranch_execnz .LBB162_719
.LBB162_634:
	s_or_b64 exec, exec, s[4:5]
	s_and_saveexec_b64 s[4:5], vcc
	s_cbranch_execnz .LBB162_720
.LBB162_635:
	s_or_b64 exec, exec, s[4:5]
	s_and_saveexec_b64 s[4:5], vcc
	s_cbranch_execnz .LBB162_721
.LBB162_636:
	s_or_b64 exec, exec, s[4:5]
	s_and_saveexec_b64 s[4:5], vcc
	s_cbranch_execnz .LBB162_722
.LBB162_637:
	s_or_b64 exec, exec, s[4:5]
	s_and_saveexec_b64 s[4:5], vcc
	s_cbranch_execz .LBB162_639
.LBB162_638:
	s_ashr_i32 s19, s18, 31
	s_lshl_b64 s[6:7], s[18:19], 2
	s_getpc_b64 s[8:9]
	s_add_u32 s8, s8, llvm.amdgcn.dynlds.offset.table@rel32@lo+4
	s_addc_u32 s9, s9, llvm.amdgcn.dynlds.offset.table@rel32@hi+12
	s_add_u32 s6, s6, s8
	s_addc_u32 s7, s7, s9
	s_load_dword s6, s[6:7], 0x0
	s_waitcnt lgkmcnt(0)
	v_lshl_add_u32 v0, v0, 2, s6
	ds_read_b32 v0, v0 offset:960
	s_waitcnt lgkmcnt(0)
	v_add_f32_e32 v5, v0, v5
.LBB162_639:
	s_or_b64 exec, exec, s[4:5]
.LBB162_640:
	s_or_b64 exec, exec, s[2:3]
	s_barrier
	s_and_saveexec_b64 s[2:3], s[0:1]
	s_cbranch_execz .LBB162_707
; %bb.641:
	v_cmp_eq_u32_e32 vcc, 0, v34
	s_and_b64 exec, exec, vcc
	s_cbranch_execz .LBB162_707
; %bb.642:
	s_mov_b32 s0, 0x7f800000
	v_and_b32_e32 v0, 0x7f800000, v26
	v_cmp_ne_u32_e32 vcc, s0, v0
                                        ; implicit-def: $vgpr12
	s_and_saveexec_b64 s[0:1], vcc
	s_xor_b64 s[0:1], exec, s[0:1]
; %bb.643:
	v_bfe_u32 v0, v26, 16, 1
	s_movk_i32 s4, 0x7fff
	v_add3_u32 v12, v26, v0, s4
; %bb.644:
	s_andn2_saveexec_b64 s[0:1], s[0:1]
; %bb.645:
	v_mov_b32_e32 v0, 0
	v_or_b32_e32 v1, 0x10000, v26
	v_cmp_eq_u32_sdwa vcc, v26, v0 src0_sel:WORD_0 src1_sel:DWORD
	s_nop 1
	v_cndmask_b32_e32 v12, v1, v26, vcc
; %bb.646:
	s_or_b64 exec, exec, s[0:1]
	scratch_load_dwordx2 v[0:1], off, s32 offset:588 ; 8-byte Folded Reload
	v_cmp_ne_u16_e64 s[0:1], s17, 0
	s_cmp_lg_u64 s[0:1], 0
	s_addc_u32 s4, s13, 0
	s_mul_i32 s0, s16, s4
	s_mul_i32 s0, s0, s15
	s_lshl_b32 s0, s0, 8
	s_mul_i32 s4, s12, s4
	s_lshl_b32 s6, s14, 8
	s_ashr_i32 s1, s0, 31
	s_ashr_i32 s5, s4, 31
	;; [unrolled: 1-line block ×3, first 2 shown]
	s_lshl_b64 s[0:1], s[0:1], 1
	s_lshl_b64 s[4:5], s[4:5], 1
	;; [unrolled: 1-line block ×3, first 2 shown]
	s_add_u32 s4, s6, s4
	s_addc_u32 s5, s7, s5
	s_add_u32 s0, s4, s0
	s_addc_u32 s1, s5, s1
	v_lshrrev_b32_e32 v13, 1, v30
	v_and_b32_e32 v14, 0x1fe, v13
	v_mov_b32_e32 v15, 0
	s_waitcnt vmcnt(0)
	v_lshl_add_u64 v[0:1], s[0:1], 0, v[0:1]
	v_lshl_add_u64 v[0:1], v[0:1], 0, v[14:15]
	flat_store_short_d16_hi v[0:1], v12
	s_mov_b32 s0, 0x7f800000
	v_and_b32_e32 v12, 0x7f800000, v27
	v_cmp_ne_u32_e32 vcc, s0, v12
                                        ; implicit-def: $vgpr12
	s_and_saveexec_b64 s[0:1], vcc
	s_xor_b64 s[0:1], exec, s[0:1]
; %bb.647:
	v_bfe_u32 v12, v27, 16, 1
	s_movk_i32 s4, 0x7fff
	v_add3_u32 v12, v27, v12, s4
                                        ; implicit-def: $vgpr26_vgpr27
; %bb.648:
	s_andn2_saveexec_b64 s[0:1], s[0:1]
; %bb.649:
	v_mov_b32_e32 v12, 0
	v_or_b32_e32 v13, 0x10000, v27
	v_cmp_eq_u32_sdwa vcc, v27, v12 src0_sel:WORD_0 src1_sel:DWORD
	s_nop 1
	v_cndmask_b32_e32 v12, v13, v27, vcc
; %bb.650:
	s_or_b64 exec, exec, s[0:1]
	flat_store_short_d16_hi v[0:1], v12 offset:32
	s_mov_b32 s0, 0x7f800000
	v_and_b32_e32 v12, 0x7f800000, v24
	v_cmp_ne_u32_e32 vcc, s0, v12
                                        ; implicit-def: $vgpr12
	s_and_saveexec_b64 s[0:1], vcc
	s_xor_b64 s[0:1], exec, s[0:1]
; %bb.651:
	v_bfe_u32 v12, v24, 16, 1
	s_movk_i32 s4, 0x7fff
	v_add3_u32 v12, v24, v12, s4
; %bb.652:
	s_andn2_saveexec_b64 s[0:1], s[0:1]
; %bb.653:
	v_mov_b32_e32 v12, 0
	v_or_b32_e32 v13, 0x10000, v24
	v_cmp_eq_u32_sdwa vcc, v24, v12 src0_sel:WORD_0 src1_sel:DWORD
	s_nop 1
	v_cndmask_b32_e32 v12, v13, v24, vcc
; %bb.654:
	s_or_b64 exec, exec, s[0:1]
	flat_store_short_d16_hi v[0:1], v12 offset:64
	s_mov_b32 s0, 0x7f800000
	v_and_b32_e32 v12, 0x7f800000, v25
	v_cmp_ne_u32_e32 vcc, s0, v12
                                        ; implicit-def: $vgpr12
	s_and_saveexec_b64 s[0:1], vcc
	s_xor_b64 s[0:1], exec, s[0:1]
; %bb.655:
	v_bfe_u32 v12, v25, 16, 1
	s_movk_i32 s4, 0x7fff
	v_add3_u32 v12, v25, v12, s4
                                        ; implicit-def: $vgpr24_vgpr25
; %bb.656:
	s_andn2_saveexec_b64 s[0:1], s[0:1]
; %bb.657:
	v_mov_b32_e32 v12, 0
	v_or_b32_e32 v13, 0x10000, v25
	v_cmp_eq_u32_sdwa vcc, v25, v12 src0_sel:WORD_0 src1_sel:DWORD
	s_nop 1
	v_cndmask_b32_e32 v12, v13, v25, vcc
; %bb.658:
	s_or_b64 exec, exec, s[0:1]
	flat_store_short_d16_hi v[0:1], v12 offset:96
	s_mov_b32 s0, 0x7f800000
	v_and_b32_e32 v12, 0x7f800000, v18
	v_cmp_ne_u32_e32 vcc, s0, v12
                                        ; implicit-def: $vgpr12
	s_and_saveexec_b64 s[0:1], vcc
	s_xor_b64 s[0:1], exec, s[0:1]
; %bb.659:
	v_bfe_u32 v12, v18, 16, 1
	s_movk_i32 s4, 0x7fff
	v_add3_u32 v12, v18, v12, s4
; %bb.660:
	s_andn2_saveexec_b64 s[0:1], s[0:1]
; %bb.661:
	v_mov_b32_e32 v12, 0
	v_or_b32_e32 v13, 0x10000, v18
	v_cmp_eq_u32_sdwa vcc, v18, v12 src0_sel:WORD_0 src1_sel:DWORD
	s_nop 1
	v_cndmask_b32_e32 v12, v13, v18, vcc
; %bb.662:
	s_or_b64 exec, exec, s[0:1]
	flat_store_short_d16_hi v[0:1], v12 offset:128
	s_mov_b32 s0, 0x7f800000
	v_and_b32_e32 v12, 0x7f800000, v19
	v_cmp_ne_u32_e32 vcc, s0, v12
                                        ; implicit-def: $vgpr12
	s_and_saveexec_b64 s[0:1], vcc
	s_xor_b64 s[0:1], exec, s[0:1]
; %bb.663:
	v_bfe_u32 v12, v19, 16, 1
	s_movk_i32 s4, 0x7fff
	v_add3_u32 v12, v19, v12, s4
                                        ; implicit-def: $vgpr18_vgpr19
; %bb.664:
	s_andn2_saveexec_b64 s[0:1], s[0:1]
; %bb.665:
	v_mov_b32_e32 v12, 0
	v_or_b32_e32 v13, 0x10000, v19
	v_cmp_eq_u32_sdwa vcc, v19, v12 src0_sel:WORD_0 src1_sel:DWORD
	s_nop 1
	v_cndmask_b32_e32 v12, v13, v19, vcc
; %bb.666:
	s_or_b64 exec, exec, s[0:1]
	flat_store_short_d16_hi v[0:1], v12 offset:160
	s_mov_b32 s0, 0x7f800000
	v_and_b32_e32 v12, 0x7f800000, v10
	v_cmp_ne_u32_e32 vcc, s0, v12
                                        ; implicit-def: $vgpr12
	s_and_saveexec_b64 s[0:1], vcc
	s_xor_b64 s[0:1], exec, s[0:1]
; %bb.667:
	v_bfe_u32 v12, v10, 16, 1
	s_movk_i32 s4, 0x7fff
	v_add3_u32 v12, v10, v12, s4
; %bb.668:
	s_andn2_saveexec_b64 s[0:1], s[0:1]
; %bb.669:
	v_mov_b32_e32 v12, 0
	v_or_b32_e32 v13, 0x10000, v10
	v_cmp_eq_u32_sdwa vcc, v10, v12 src0_sel:WORD_0 src1_sel:DWORD
	s_nop 1
	v_cndmask_b32_e32 v12, v13, v10, vcc
; %bb.670:
	s_or_b64 exec, exec, s[0:1]
	s_mov_b32 s0, 0x7f800000
	v_and_b32_e32 v10, 0x7f800000, v11
	v_cmp_ne_u32_e32 vcc, s0, v10
	flat_store_short_d16_hi v[0:1], v12 offset:192
                                        ; implicit-def: $vgpr12
	s_and_saveexec_b64 s[0:1], vcc
	s_xor_b64 s[0:1], exec, s[0:1]
; %bb.671:
	v_bfe_u32 v10, v11, 16, 1
	s_movk_i32 s4, 0x7fff
	v_add3_u32 v12, v11, v10, s4
                                        ; implicit-def: $vgpr10_vgpr11
; %bb.672:
	s_andn2_saveexec_b64 s[0:1], s[0:1]
; %bb.673:
	v_mov_b32_e32 v10, 0
	v_or_b32_e32 v12, 0x10000, v11
	v_cmp_eq_u32_sdwa vcc, v11, v10 src0_sel:WORD_0 src1_sel:DWORD
	s_nop 1
	v_cndmask_b32_e32 v12, v12, v11, vcc
; %bb.674:
	s_or_b64 exec, exec, s[0:1]
	s_mov_b32 s0, 0x7f800000
	v_and_b32_e32 v10, 0x7f800000, v8
	v_cmp_ne_u32_e32 vcc, s0, v10
	flat_store_short_d16_hi v[0:1], v12 offset:224
                                        ; implicit-def: $vgpr10
	s_and_saveexec_b64 s[0:1], vcc
	s_xor_b64 s[0:1], exec, s[0:1]
; %bb.675:
	v_bfe_u32 v10, v8, 16, 1
	s_movk_i32 s4, 0x7fff
	v_add3_u32 v10, v8, v10, s4
; %bb.676:
	s_andn2_saveexec_b64 s[0:1], s[0:1]
; %bb.677:
	v_mov_b32_e32 v10, 0
	v_or_b32_e32 v11, 0x10000, v8
	v_cmp_eq_u32_sdwa vcc, v8, v10 src0_sel:WORD_0 src1_sel:DWORD
	s_nop 1
	v_cndmask_b32_e32 v10, v11, v8, vcc
; %bb.678:
	s_or_b64 exec, exec, s[0:1]
	s_mov_b32 s0, 0x7f800000
	v_and_b32_e32 v8, 0x7f800000, v9
	v_cmp_ne_u32_e32 vcc, s0, v8
	flat_store_short_d16_hi v[0:1], v10 offset:256
                                        ; implicit-def: $vgpr10
	s_and_saveexec_b64 s[0:1], vcc
	s_xor_b64 s[0:1], exec, s[0:1]
; %bb.679:
	v_bfe_u32 v8, v9, 16, 1
	s_movk_i32 s4, 0x7fff
	v_add3_u32 v10, v9, v8, s4
                                        ; implicit-def: $vgpr8_vgpr9
; %bb.680:
	s_andn2_saveexec_b64 s[0:1], s[0:1]
; %bb.681:
	v_mov_b32_e32 v8, 0
	v_or_b32_e32 v10, 0x10000, v9
	v_cmp_eq_u32_sdwa vcc, v9, v8 src0_sel:WORD_0 src1_sel:DWORD
	s_nop 1
	v_cndmask_b32_e32 v10, v10, v9, vcc
; %bb.682:
	s_or_b64 exec, exec, s[0:1]
	s_mov_b32 s0, 0x7f800000
	v_and_b32_e32 v8, 0x7f800000, v6
	v_cmp_ne_u32_e32 vcc, s0, v8
	flat_store_short_d16_hi v[0:1], v10 offset:288
                                        ; implicit-def: $vgpr8
	s_and_saveexec_b64 s[0:1], vcc
	s_xor_b64 s[0:1], exec, s[0:1]
; %bb.683:
	v_bfe_u32 v8, v6, 16, 1
	s_movk_i32 s4, 0x7fff
	v_add3_u32 v8, v6, v8, s4
; %bb.684:
	s_andn2_saveexec_b64 s[0:1], s[0:1]
; %bb.685:
	v_mov_b32_e32 v8, 0
	v_or_b32_e32 v9, 0x10000, v6
	v_cmp_eq_u32_sdwa vcc, v6, v8 src0_sel:WORD_0 src1_sel:DWORD
	s_nop 1
	v_cndmask_b32_e32 v8, v9, v6, vcc
; %bb.686:
	s_or_b64 exec, exec, s[0:1]
	s_mov_b32 s0, 0x7f800000
	v_and_b32_e32 v6, 0x7f800000, v7
	v_cmp_ne_u32_e32 vcc, s0, v6
	flat_store_short_d16_hi v[0:1], v8 offset:320
                                        ; implicit-def: $vgpr8
	s_and_saveexec_b64 s[0:1], vcc
	s_xor_b64 s[0:1], exec, s[0:1]
; %bb.687:
	v_bfe_u32 v6, v7, 16, 1
	s_movk_i32 s4, 0x7fff
	v_add3_u32 v8, v7, v6, s4
                                        ; implicit-def: $vgpr6_vgpr7
; %bb.688:
	s_andn2_saveexec_b64 s[0:1], s[0:1]
; %bb.689:
	v_mov_b32_e32 v6, 0
	v_or_b32_e32 v8, 0x10000, v7
	v_cmp_eq_u32_sdwa vcc, v7, v6 src0_sel:WORD_0 src1_sel:DWORD
	s_nop 1
	v_cndmask_b32_e32 v8, v8, v7, vcc
; %bb.690:
	s_or_b64 exec, exec, s[0:1]
	s_mov_b32 s0, 0x7f800000
	v_and_b32_e32 v6, 0x7f800000, v2
	v_cmp_ne_u32_e32 vcc, s0, v6
	flat_store_short_d16_hi v[0:1], v8 offset:352
                                        ; implicit-def: $vgpr6
	s_and_saveexec_b64 s[0:1], vcc
	s_xor_b64 s[0:1], exec, s[0:1]
; %bb.691:
	v_bfe_u32 v6, v2, 16, 1
	s_movk_i32 s4, 0x7fff
	v_add3_u32 v6, v2, v6, s4
; %bb.692:
	s_andn2_saveexec_b64 s[0:1], s[0:1]
; %bb.693:
	v_mov_b32_e32 v6, 0
	v_or_b32_e32 v7, 0x10000, v2
	v_cmp_eq_u32_sdwa vcc, v2, v6 src0_sel:WORD_0 src1_sel:DWORD
	s_nop 1
	v_cndmask_b32_e32 v6, v7, v2, vcc
; %bb.694:
	s_or_b64 exec, exec, s[0:1]
	s_mov_b32 s0, 0x7f800000
	v_and_b32_e32 v2, 0x7f800000, v3
	v_cmp_ne_u32_e32 vcc, s0, v2
	flat_store_short_d16_hi v[0:1], v6 offset:384
                                        ; implicit-def: $vgpr6
	s_and_saveexec_b64 s[0:1], vcc
	s_xor_b64 s[0:1], exec, s[0:1]
; %bb.695:
	v_bfe_u32 v2, v3, 16, 1
	s_movk_i32 s4, 0x7fff
	v_add3_u32 v6, v3, v2, s4
                                        ; implicit-def: $vgpr2_vgpr3
; %bb.696:
	s_andn2_saveexec_b64 s[0:1], s[0:1]
; %bb.697:
	v_mov_b32_e32 v2, 0
	v_or_b32_e32 v6, 0x10000, v3
	v_cmp_eq_u32_sdwa vcc, v3, v2 src0_sel:WORD_0 src1_sel:DWORD
	s_nop 1
	v_cndmask_b32_e32 v6, v6, v3, vcc
; %bb.698:
	s_or_b64 exec, exec, s[0:1]
	s_mov_b32 s0, 0x7f800000
	v_and_b32_e32 v2, 0x7f800000, v4
	v_cmp_ne_u32_e32 vcc, s0, v2
	flat_store_short_d16_hi v[0:1], v6 offset:416
                                        ; implicit-def: $vgpr2
	s_and_saveexec_b64 s[0:1], vcc
	s_xor_b64 s[0:1], exec, s[0:1]
; %bb.699:
	v_bfe_u32 v2, v4, 16, 1
	s_movk_i32 s4, 0x7fff
	v_add3_u32 v2, v4, v2, s4
; %bb.700:
	s_andn2_saveexec_b64 s[0:1], s[0:1]
; %bb.701:
	v_mov_b32_e32 v2, 0
	v_or_b32_e32 v3, 0x10000, v4
	v_cmp_eq_u32_sdwa vcc, v4, v2 src0_sel:WORD_0 src1_sel:DWORD
	s_nop 1
	v_cndmask_b32_e32 v2, v3, v4, vcc
; %bb.702:
	s_or_b64 exec, exec, s[0:1]
	flat_store_short_d16_hi v[0:1], v2 offset:448
	s_mov_b32 s0, 0x7f800000
	v_and_b32_e32 v2, 0x7f800000, v5
	v_cmp_ne_u32_e32 vcc, s0, v2
                                        ; implicit-def: $vgpr2
	s_and_saveexec_b64 s[0:1], vcc
	s_xor_b64 s[0:1], exec, s[0:1]
; %bb.703:
	v_bfe_u32 v2, v5, 16, 1
	s_movk_i32 s4, 0x7fff
	v_add3_u32 v2, v5, v2, s4
                                        ; implicit-def: $vgpr4_vgpr5
; %bb.704:
	s_andn2_saveexec_b64 s[0:1], s[0:1]
; %bb.705:
	v_mov_b32_e32 v2, 0
	v_or_b32_e32 v3, 0x10000, v5
	v_cmp_eq_u32_sdwa vcc, v5, v2 src0_sel:WORD_0 src1_sel:DWORD
	s_nop 1
	v_cndmask_b32_e32 v2, v3, v5, vcc
; %bb.706:
	s_or_b64 exec, exec, s[0:1]
	flat_store_short_d16_hi v[0:1], v2 offset:480
.LBB162_707:
	s_or_b64 exec, exec, s[2:3]
	scratch_load_dword a63, off, s32        ; 4-byte Folded Reload
	scratch_load_dword a62, off, s32 offset:4 ; 4-byte Folded Reload
	scratch_load_dword a61, off, s32 offset:8 ; 4-byte Folded Reload
	;; [unrolled: 1-line block ×47, first 2 shown]
	s_waitcnt vmcnt(0) lgkmcnt(0)
	s_setpc_b64 s[30:31]
.LBB162_708:
	s_ashr_i32 s19, s18, 31
	s_lshl_b64 s[6:7], s[18:19], 2
	s_getpc_b64 s[8:9]
	s_add_u32 s8, s8, llvm.amdgcn.dynlds.offset.table@rel32@lo+4
	s_addc_u32 s9, s9, llvm.amdgcn.dynlds.offset.table@rel32@hi+12
	s_add_u32 s6, s6, s8
	s_addc_u32 s7, s7, s9
	s_load_dword s6, s[6:7], 0x0
	s_waitcnt lgkmcnt(0)
	v_lshl_add_u32 v1, v0, 2, s6
	ds_read_b32 v1, v1
	s_waitcnt lgkmcnt(0)
	v_add_f32_e32 v26, v1, v26
	s_or_b64 exec, exec, s[4:5]
	s_and_saveexec_b64 s[4:5], vcc
	s_cbranch_execz .LBB162_624
.LBB162_709:
	s_ashr_i32 s19, s18, 31
	s_lshl_b64 s[6:7], s[18:19], 2
	s_getpc_b64 s[8:9]
	s_add_u32 s8, s8, llvm.amdgcn.dynlds.offset.table@rel32@lo+4
	s_addc_u32 s9, s9, llvm.amdgcn.dynlds.offset.table@rel32@hi+12
	s_add_u32 s6, s6, s8
	s_addc_u32 s7, s7, s9
	s_load_dword s6, s[6:7], 0x0
	s_waitcnt lgkmcnt(0)
	v_lshl_add_u32 v1, v0, 2, s6
	ds_read_b32 v1, v1 offset:64
	s_waitcnt lgkmcnt(0)
	v_add_f32_e32 v27, v1, v27
	s_or_b64 exec, exec, s[4:5]
	s_and_saveexec_b64 s[4:5], vcc
	s_cbranch_execz .LBB162_625
.LBB162_710:
	s_ashr_i32 s19, s18, 31
	s_lshl_b64 s[6:7], s[18:19], 2
	s_getpc_b64 s[8:9]
	s_add_u32 s8, s8, llvm.amdgcn.dynlds.offset.table@rel32@lo+4
	s_addc_u32 s9, s9, llvm.amdgcn.dynlds.offset.table@rel32@hi+12
	s_add_u32 s6, s6, s8
	s_addc_u32 s7, s7, s9
	s_load_dword s6, s[6:7], 0x0
	s_waitcnt lgkmcnt(0)
	v_lshl_add_u32 v1, v0, 2, s6
	ds_read_b32 v1, v1 offset:128
	s_waitcnt lgkmcnt(0)
	v_add_f32_e32 v24, v1, v24
	s_or_b64 exec, exec, s[4:5]
	s_and_saveexec_b64 s[4:5], vcc
	s_cbranch_execz .LBB162_626
.LBB162_711:
	s_ashr_i32 s19, s18, 31
	s_lshl_b64 s[6:7], s[18:19], 2
	s_getpc_b64 s[8:9]
	s_add_u32 s8, s8, llvm.amdgcn.dynlds.offset.table@rel32@lo+4
	s_addc_u32 s9, s9, llvm.amdgcn.dynlds.offset.table@rel32@hi+12
	s_add_u32 s6, s6, s8
	s_addc_u32 s7, s7, s9
	s_load_dword s6, s[6:7], 0x0
	s_waitcnt lgkmcnt(0)
	v_lshl_add_u32 v1, v0, 2, s6
	ds_read_b32 v1, v1 offset:192
	s_waitcnt lgkmcnt(0)
	v_add_f32_e32 v25, v1, v25
	s_or_b64 exec, exec, s[4:5]
	s_and_saveexec_b64 s[4:5], vcc
	s_cbranch_execz .LBB162_627
.LBB162_712:
	s_ashr_i32 s19, s18, 31
	s_lshl_b64 s[6:7], s[18:19], 2
	s_getpc_b64 s[8:9]
	s_add_u32 s8, s8, llvm.amdgcn.dynlds.offset.table@rel32@lo+4
	s_addc_u32 s9, s9, llvm.amdgcn.dynlds.offset.table@rel32@hi+12
	s_add_u32 s6, s6, s8
	s_addc_u32 s7, s7, s9
	s_load_dword s6, s[6:7], 0x0
	s_waitcnt lgkmcnt(0)
	v_lshl_add_u32 v1, v0, 2, s6
	ds_read_b32 v1, v1 offset:256
	s_waitcnt lgkmcnt(0)
	v_add_f32_e32 v18, v1, v18
	s_or_b64 exec, exec, s[4:5]
	s_and_saveexec_b64 s[4:5], vcc
	s_cbranch_execz .LBB162_628
.LBB162_713:
	s_ashr_i32 s19, s18, 31
	s_lshl_b64 s[6:7], s[18:19], 2
	s_getpc_b64 s[8:9]
	s_add_u32 s8, s8, llvm.amdgcn.dynlds.offset.table@rel32@lo+4
	s_addc_u32 s9, s9, llvm.amdgcn.dynlds.offset.table@rel32@hi+12
	s_add_u32 s6, s6, s8
	s_addc_u32 s7, s7, s9
	s_load_dword s6, s[6:7], 0x0
	s_waitcnt lgkmcnt(0)
	v_lshl_add_u32 v1, v0, 2, s6
	ds_read_b32 v1, v1 offset:320
	s_waitcnt lgkmcnt(0)
	v_add_f32_e32 v19, v1, v19
	s_or_b64 exec, exec, s[4:5]
	s_and_saveexec_b64 s[4:5], vcc
	s_cbranch_execz .LBB162_629
.LBB162_714:
	s_ashr_i32 s19, s18, 31
	s_lshl_b64 s[6:7], s[18:19], 2
	s_getpc_b64 s[8:9]
	s_add_u32 s8, s8, llvm.amdgcn.dynlds.offset.table@rel32@lo+4
	s_addc_u32 s9, s9, llvm.amdgcn.dynlds.offset.table@rel32@hi+12
	s_add_u32 s6, s6, s8
	s_addc_u32 s7, s7, s9
	s_load_dword s6, s[6:7], 0x0
	s_waitcnt lgkmcnt(0)
	v_lshl_add_u32 v1, v0, 2, s6
	ds_read_b32 v1, v1 offset:384
	s_waitcnt lgkmcnt(0)
	v_add_f32_e32 v10, v1, v10
	s_or_b64 exec, exec, s[4:5]
	s_and_saveexec_b64 s[4:5], vcc
	s_cbranch_execz .LBB162_630
.LBB162_715:
	s_ashr_i32 s19, s18, 31
	s_lshl_b64 s[6:7], s[18:19], 2
	s_getpc_b64 s[8:9]
	s_add_u32 s8, s8, llvm.amdgcn.dynlds.offset.table@rel32@lo+4
	s_addc_u32 s9, s9, llvm.amdgcn.dynlds.offset.table@rel32@hi+12
	s_add_u32 s6, s6, s8
	s_addc_u32 s7, s7, s9
	s_load_dword s6, s[6:7], 0x0
	s_waitcnt lgkmcnt(0)
	v_lshl_add_u32 v1, v0, 2, s6
	ds_read_b32 v1, v1 offset:448
	s_waitcnt lgkmcnt(0)
	v_add_f32_e32 v11, v1, v11
	s_or_b64 exec, exec, s[4:5]
	s_and_saveexec_b64 s[4:5], vcc
	s_cbranch_execz .LBB162_631
.LBB162_716:
	s_ashr_i32 s19, s18, 31
	s_lshl_b64 s[6:7], s[18:19], 2
	s_getpc_b64 s[8:9]
	s_add_u32 s8, s8, llvm.amdgcn.dynlds.offset.table@rel32@lo+4
	s_addc_u32 s9, s9, llvm.amdgcn.dynlds.offset.table@rel32@hi+12
	s_add_u32 s6, s6, s8
	s_addc_u32 s7, s7, s9
	s_load_dword s6, s[6:7], 0x0
	s_waitcnt lgkmcnt(0)
	v_lshl_add_u32 v1, v0, 2, s6
	ds_read_b32 v1, v1 offset:512
	s_waitcnt lgkmcnt(0)
	v_add_f32_e32 v8, v1, v8
	s_or_b64 exec, exec, s[4:5]
	s_and_saveexec_b64 s[4:5], vcc
	s_cbranch_execz .LBB162_632
.LBB162_717:
	s_ashr_i32 s19, s18, 31
	s_lshl_b64 s[6:7], s[18:19], 2
	s_getpc_b64 s[8:9]
	s_add_u32 s8, s8, llvm.amdgcn.dynlds.offset.table@rel32@lo+4
	s_addc_u32 s9, s9, llvm.amdgcn.dynlds.offset.table@rel32@hi+12
	s_add_u32 s6, s6, s8
	s_addc_u32 s7, s7, s9
	s_load_dword s6, s[6:7], 0x0
	s_waitcnt lgkmcnt(0)
	v_lshl_add_u32 v1, v0, 2, s6
	ds_read_b32 v1, v1 offset:576
	s_waitcnt lgkmcnt(0)
	v_add_f32_e32 v9, v1, v9
	s_or_b64 exec, exec, s[4:5]
	s_and_saveexec_b64 s[4:5], vcc
	s_cbranch_execz .LBB162_633
.LBB162_718:
	s_ashr_i32 s19, s18, 31
	s_lshl_b64 s[6:7], s[18:19], 2
	s_getpc_b64 s[8:9]
	s_add_u32 s8, s8, llvm.amdgcn.dynlds.offset.table@rel32@lo+4
	s_addc_u32 s9, s9, llvm.amdgcn.dynlds.offset.table@rel32@hi+12
	s_add_u32 s6, s6, s8
	s_addc_u32 s7, s7, s9
	s_load_dword s6, s[6:7], 0x0
	s_waitcnt lgkmcnt(0)
	v_lshl_add_u32 v1, v0, 2, s6
	ds_read_b32 v1, v1 offset:640
	s_waitcnt lgkmcnt(0)
	v_add_f32_e32 v6, v1, v6
	s_or_b64 exec, exec, s[4:5]
	s_and_saveexec_b64 s[4:5], vcc
	s_cbranch_execz .LBB162_634
.LBB162_719:
	s_ashr_i32 s19, s18, 31
	s_lshl_b64 s[6:7], s[18:19], 2
	s_getpc_b64 s[8:9]
	s_add_u32 s8, s8, llvm.amdgcn.dynlds.offset.table@rel32@lo+4
	s_addc_u32 s9, s9, llvm.amdgcn.dynlds.offset.table@rel32@hi+12
	s_add_u32 s6, s6, s8
	s_addc_u32 s7, s7, s9
	s_load_dword s6, s[6:7], 0x0
	s_waitcnt lgkmcnt(0)
	v_lshl_add_u32 v1, v0, 2, s6
	ds_read_b32 v1, v1 offset:704
	s_waitcnt lgkmcnt(0)
	v_add_f32_e32 v7, v1, v7
	s_or_b64 exec, exec, s[4:5]
	s_and_saveexec_b64 s[4:5], vcc
	s_cbranch_execz .LBB162_635
.LBB162_720:
	s_ashr_i32 s19, s18, 31
	s_lshl_b64 s[6:7], s[18:19], 2
	s_getpc_b64 s[8:9]
	s_add_u32 s8, s8, llvm.amdgcn.dynlds.offset.table@rel32@lo+4
	s_addc_u32 s9, s9, llvm.amdgcn.dynlds.offset.table@rel32@hi+12
	s_add_u32 s6, s6, s8
	s_addc_u32 s7, s7, s9
	s_load_dword s6, s[6:7], 0x0
	s_waitcnt lgkmcnt(0)
	v_lshl_add_u32 v1, v0, 2, s6
	ds_read_b32 v1, v1 offset:768
	s_waitcnt lgkmcnt(0)
	v_add_f32_e32 v2, v1, v2
	s_or_b64 exec, exec, s[4:5]
	s_and_saveexec_b64 s[4:5], vcc
	s_cbranch_execz .LBB162_636
.LBB162_721:
	s_ashr_i32 s19, s18, 31
	s_lshl_b64 s[6:7], s[18:19], 2
	s_getpc_b64 s[8:9]
	s_add_u32 s8, s8, llvm.amdgcn.dynlds.offset.table@rel32@lo+4
	s_addc_u32 s9, s9, llvm.amdgcn.dynlds.offset.table@rel32@hi+12
	s_add_u32 s6, s6, s8
	s_addc_u32 s7, s7, s9
	s_load_dword s6, s[6:7], 0x0
	s_waitcnt lgkmcnt(0)
	v_lshl_add_u32 v1, v0, 2, s6
	ds_read_b32 v1, v1 offset:832
	s_waitcnt lgkmcnt(0)
	v_add_f32_e32 v3, v1, v3
	s_or_b64 exec, exec, s[4:5]
	s_and_saveexec_b64 s[4:5], vcc
	s_cbranch_execz .LBB162_637
.LBB162_722:
	s_ashr_i32 s19, s18, 31
	s_lshl_b64 s[6:7], s[18:19], 2
	s_getpc_b64 s[8:9]
	s_add_u32 s8, s8, llvm.amdgcn.dynlds.offset.table@rel32@lo+4
	s_addc_u32 s9, s9, llvm.amdgcn.dynlds.offset.table@rel32@hi+12
	s_add_u32 s6, s6, s8
	s_addc_u32 s7, s7, s9
	s_load_dword s6, s[6:7], 0x0
	s_waitcnt lgkmcnt(0)
	v_lshl_add_u32 v1, v0, 2, s6
	ds_read_b32 v1, v1 offset:896
	s_waitcnt lgkmcnt(0)
	v_add_f32_e32 v4, v1, v4
	s_or_b64 exec, exec, s[4:5]
	s_and_saveexec_b64 s[4:5], vcc
	s_cbranch_execnz .LBB162_638
	s_branch .LBB162_639
.Lfunc_end162:
	.size	_ZN4vllm22paged_attention_kernelI14__hip_bfloat16S1_Li256ELi32ELi128ELNS_18Fp8KVCacheDataTypeE0ELb0ELi0EEEvPfS3_PT_PKS4_PKT0_SA_ifPKiSC_iPKfiiiSE_SE_iiiii, .Lfunc_end162-_ZN4vllm22paged_attention_kernelI14__hip_bfloat16S1_Li256ELi32ELi128ELNS_18Fp8KVCacheDataTypeE0ELb0ELi0EEEvPfS3_PT_PKS4_PKT0_SA_ifPKiSC_iPKfiiiSE_SE_iiiii
                                        ; -- End function
	.section	.AMDGPU.csdata,"",@progbits
; Function info:
; codeLenInByte = 33176
; NumSgprs: 39
; NumVgprs: 64
; NumAgprs: 64
; TotalNumVgprs: 128
; ScratchSize: 652
; MemoryBound: 0
	.section	.text._ZN4vllm25paged_attention_v1_kernelI14__hip_bfloat16S1_Li256ELi32ELi128ELNS_18Fp8KVCacheDataTypeE0ELb0EEEvPT_PKS3_PKT0_S9_ifPKiSB_iPKfiiiSD_SD_iiiii,"axG",@progbits,_ZN4vllm25paged_attention_v1_kernelI14__hip_bfloat16S1_Li256ELi32ELi128ELNS_18Fp8KVCacheDataTypeE0ELb0EEEvPT_PKS3_PKT0_S9_ifPKiSB_iPKfiiiSD_SD_iiiii,comdat
	.protected	_ZN4vllm25paged_attention_v1_kernelI14__hip_bfloat16S1_Li256ELi32ELi128ELNS_18Fp8KVCacheDataTypeE0ELb0EEEvPT_PKS3_PKT0_S9_ifPKiSB_iPKfiiiSD_SD_iiiii ; -- Begin function _ZN4vllm25paged_attention_v1_kernelI14__hip_bfloat16S1_Li256ELi32ELi128ELNS_18Fp8KVCacheDataTypeE0ELb0EEEvPT_PKS3_PKT0_S9_ifPKiSB_iPKfiiiSD_SD_iiiii
	.globl	_ZN4vllm25paged_attention_v1_kernelI14__hip_bfloat16S1_Li256ELi32ELi128ELNS_18Fp8KVCacheDataTypeE0ELb0EEEvPT_PKS3_PKT0_S9_ifPKiSB_iPKfiiiSD_SD_iiiii
	.p2align	8
	.type	_ZN4vllm25paged_attention_v1_kernelI14__hip_bfloat16S1_Li256ELi32ELi128ELNS_18Fp8KVCacheDataTypeE0ELb0EEEvPT_PKS3_PKT0_S9_ifPKiSB_iPKfiiiSD_SD_iiiii,@function
_ZN4vllm25paged_attention_v1_kernelI14__hip_bfloat16S1_Li256ELi32ELi128ELNS_18Fp8KVCacheDataTypeE0ELb0EEEvPT_PKS3_PKT0_S9_ifPKiSB_iPKfiiiSD_SD_iiiii: ; @_ZN4vllm25paged_attention_v1_kernelI14__hip_bfloat16S1_Li256ELi32ELi128ELNS_18Fp8KVCacheDataTypeE0ELb0EEEvPT_PKS3_PKT0_S9_ifPKiSB_iPKfiiiSD_SD_iiiii
; %bb.0:
	s_load_dwordx8 s[16:23], s[0:1], 0x0
	s_load_dwordx4 s[24:27], s[0:1], 0x20
	s_load_dwordx2 s[6:7], s[0:1], 0x30
	s_load_dword s5, s[0:1], 0x38
	s_load_dwordx2 s[10:11], s[0:1], 0x40
	s_load_dwordx4 s[28:31], s[0:1], 0x48
	s_add_u32 s8, s0, 0x80
	s_addc_u32 s9, s1, 0
	s_mov_b32 s12, s2
	s_mov_b32 s13, s3
	;; [unrolled: 1-line block ×4, first 2 shown]
	v_mov_b32_e32 v31, v0
	s_waitcnt lgkmcnt(0)
	v_mov_b32_e32 v0, s16
	v_mov_b32_e32 v1, s17
	;; [unrolled: 1-line block ×20, first 2 shown]
	s_mov_b32 s32, 0
	s_getpc_b64 s[0:1]
	s_add_u32 s0, s0, _ZN4vllm22paged_attention_kernelI14__hip_bfloat16S1_Li256ELi32ELi128ELNS_18Fp8KVCacheDataTypeE0ELb0ELi0EEEvPfS3_PT_PKS4_PKT0_SA_ifPKiSC_iPKfiiiSE_SE_iiiii@rel32@lo+4
	s_addc_u32 s1, s1, _ZN4vllm22paged_attention_kernelI14__hip_bfloat16S1_Li256ELi32ELi128ELNS_18Fp8KVCacheDataTypeE0ELb0ELi0EEEvPfS3_PT_PKS4_PKT0_SA_ifPKiSC_iPKfiiiSE_SE_iiiii@rel32@hi+12
	s_swappc_b64 s[30:31], s[0:1]
	s_endpgm
	.section	.rodata,"a",@progbits
	.p2align	6, 0x0
	.amdhsa_kernel _ZN4vllm25paged_attention_v1_kernelI14__hip_bfloat16S1_Li256ELi32ELi128ELNS_18Fp8KVCacheDataTypeE0ELb0EEEvPT_PKS3_PKT0_S9_ifPKiSB_iPKfiiiSD_SD_iiiii
		.amdhsa_group_segment_fixed_size 528
		.amdhsa_private_segment_fixed_size 652
		.amdhsa_kernarg_size 384
		.amdhsa_user_sgpr_count 2
		.amdhsa_user_sgpr_dispatch_ptr 0
		.amdhsa_user_sgpr_queue_ptr 0
		.amdhsa_user_sgpr_kernarg_segment_ptr 1
		.amdhsa_user_sgpr_dispatch_id 0
		.amdhsa_user_sgpr_kernarg_preload_length 0
		.amdhsa_user_sgpr_kernarg_preload_offset 0
		.amdhsa_user_sgpr_private_segment_size 0
		.amdhsa_uses_dynamic_stack 0
		.amdhsa_enable_private_segment 1
		.amdhsa_system_sgpr_workgroup_id_x 1
		.amdhsa_system_sgpr_workgroup_id_y 1
		.amdhsa_system_sgpr_workgroup_id_z 1
		.amdhsa_system_sgpr_workgroup_info 0
		.amdhsa_system_vgpr_workitem_id 0
		.amdhsa_next_free_vgpr 128
		.amdhsa_next_free_sgpr 33
		.amdhsa_accum_offset 64
		.amdhsa_reserve_vcc 1
		.amdhsa_float_round_mode_32 0
		.amdhsa_float_round_mode_16_64 0
		.amdhsa_float_denorm_mode_32 3
		.amdhsa_float_denorm_mode_16_64 3
		.amdhsa_dx10_clamp 1
		.amdhsa_ieee_mode 1
		.amdhsa_fp16_overflow 0
		.amdhsa_tg_split 0
		.amdhsa_exception_fp_ieee_invalid_op 0
		.amdhsa_exception_fp_denorm_src 0
		.amdhsa_exception_fp_ieee_div_zero 0
		.amdhsa_exception_fp_ieee_overflow 0
		.amdhsa_exception_fp_ieee_underflow 0
		.amdhsa_exception_fp_ieee_inexact 0
		.amdhsa_exception_int_div_zero 0
	.end_amdhsa_kernel
	.section	.text._ZN4vllm25paged_attention_v1_kernelI14__hip_bfloat16S1_Li256ELi32ELi128ELNS_18Fp8KVCacheDataTypeE0ELb0EEEvPT_PKS3_PKT0_S9_ifPKiSB_iPKfiiiSD_SD_iiiii,"axG",@progbits,_ZN4vllm25paged_attention_v1_kernelI14__hip_bfloat16S1_Li256ELi32ELi128ELNS_18Fp8KVCacheDataTypeE0ELb0EEEvPT_PKS3_PKT0_S9_ifPKiSB_iPKfiiiSD_SD_iiiii,comdat
.Lfunc_end163:
	.size	_ZN4vllm25paged_attention_v1_kernelI14__hip_bfloat16S1_Li256ELi32ELi128ELNS_18Fp8KVCacheDataTypeE0ELb0EEEvPT_PKS3_PKT0_S9_ifPKiSB_iPKfiiiSD_SD_iiiii, .Lfunc_end163-_ZN4vllm25paged_attention_v1_kernelI14__hip_bfloat16S1_Li256ELi32ELi128ELNS_18Fp8KVCacheDataTypeE0ELb0EEEvPT_PKS3_PKT0_S9_ifPKiSB_iPKfiiiSD_SD_iiiii
                                        ; -- End function
	.section	.AMDGPU.csdata,"",@progbits
; Kernel info:
; codeLenInByte = 196
; NumSgprs: 39
; NumVgprs: 64
; NumAgprs: 64
; TotalNumVgprs: 128
; ScratchSize: 652
; MemoryBound: 0
; FloatMode: 240
; IeeeMode: 1
; LDSByteSize: 528 bytes/workgroup (compile time only)
; SGPRBlocks: 4
; VGPRBlocks: 15
; NumSGPRsForWavesPerEU: 39
; NumVGPRsForWavesPerEU: 128
; AccumOffset: 64
; Occupancy: 4
; WaveLimiterHint : 1
; COMPUTE_PGM_RSRC2:SCRATCH_EN: 1
; COMPUTE_PGM_RSRC2:USER_SGPR: 2
; COMPUTE_PGM_RSRC2:TRAP_HANDLER: 0
; COMPUTE_PGM_RSRC2:TGID_X_EN: 1
; COMPUTE_PGM_RSRC2:TGID_Y_EN: 1
; COMPUTE_PGM_RSRC2:TGID_Z_EN: 1
; COMPUTE_PGM_RSRC2:TIDIG_COMP_CNT: 0
; COMPUTE_PGM_RSRC3_GFX90A:ACCUM_OFFSET: 15
; COMPUTE_PGM_RSRC3_GFX90A:TG_SPLIT: 0
	.section	.text._ZN4vllm25paged_attention_v1_kernelIfhLi32ELi8ELi128ELNS_18Fp8KVCacheDataTypeE1ELb1EEEvPT_PKS2_PKT0_S8_ifPKiSA_iPKfiiiSC_SC_iiiii,"axG",@progbits,_ZN4vllm25paged_attention_v1_kernelIfhLi32ELi8ELi128ELNS_18Fp8KVCacheDataTypeE1ELb1EEEvPT_PKS2_PKT0_S8_ifPKiSA_iPKfiiiSC_SC_iiiii,comdat
	.protected	_ZN4vllm25paged_attention_v1_kernelIfhLi32ELi8ELi128ELNS_18Fp8KVCacheDataTypeE1ELb1EEEvPT_PKS2_PKT0_S8_ifPKiSA_iPKfiiiSC_SC_iiiii ; -- Begin function _ZN4vllm25paged_attention_v1_kernelIfhLi32ELi8ELi128ELNS_18Fp8KVCacheDataTypeE1ELb1EEEvPT_PKS2_PKT0_S8_ifPKiSA_iPKfiiiSC_SC_iiiii
	.globl	_ZN4vllm25paged_attention_v1_kernelIfhLi32ELi8ELi128ELNS_18Fp8KVCacheDataTypeE1ELb1EEEvPT_PKS2_PKT0_S8_ifPKiSA_iPKfiiiSC_SC_iiiii
	.p2align	8
	.type	_ZN4vllm25paged_attention_v1_kernelIfhLi32ELi8ELi128ELNS_18Fp8KVCacheDataTypeE1ELb1EEEvPT_PKS2_PKT0_S8_ifPKiSA_iPKfiiiSC_SC_iiiii,@function
_ZN4vllm25paged_attention_v1_kernelIfhLi32ELi8ELi128ELNS_18Fp8KVCacheDataTypeE1ELb1EEEvPT_PKS2_PKT0_S8_ifPKiSA_iPKfiiiSC_SC_iiiii: ; @_ZN4vllm25paged_attention_v1_kernelIfhLi32ELi8ELi128ELNS_18Fp8KVCacheDataTypeE1ELb1EEEvPT_PKS2_PKT0_S8_ifPKiSA_iPKfiiiSC_SC_iiiii
; %bb.0:
	s_load_dword s5, s[0:1], 0x80
	s_load_dwordx2 s[6:7], s[0:1], 0x30
	s_load_dwordx2 s[36:37], s[0:1], 0x20
	s_mov_b32 s10, s3
	s_ashr_i32 s11, s3, 31
	s_lshl_b64 s[8:9], s[10:11], 2
	s_waitcnt lgkmcnt(0)
	s_add_u32 s6, s6, s8
	s_addc_u32 s7, s7, s9
	s_abs_i32 s3, s36
	v_cvt_f32_u32_e32 v1, s3
	s_sub_i32 s11, 0, s3
	s_abs_i32 s9, s5
	s_xor_b32 s8, s5, s36
	v_rcp_iflag_f32_e32 v1, v1
	s_ashr_i32 s8, s8, 31
	s_mov_b32 s44, 0
	v_mul_f32_e32 v1, 0x4f7ffffe, v1
	v_cvt_u32_f32_e32 v1, v1
	s_nop 0
	v_readfirstlane_b32 s12, v1
	s_mul_i32 s11, s11, s12
	s_mul_hi_u32 s11, s12, s11
	s_add_i32 s12, s12, s11
	s_mul_hi_u32 s11, s9, s12
	s_mul_i32 s12, s11, s3
	s_sub_i32 s9, s9, s12
	s_add_i32 s12, s11, 1
	s_sub_i32 s13, s9, s3
	s_cmp_ge_u32 s9, s3
	s_cselect_b32 s11, s12, s11
	s_cselect_b32 s9, s13, s9
	s_add_i32 s12, s11, 1
	s_cmp_ge_u32 s9, s3
	s_cselect_b32 s3, s12, s11
	s_xor_b32 s3, s3, s8
	s_sub_i32 s15, s3, s8
	s_abs_i32 s12, s15
	v_cvt_f32_u32_e32 v1, s12
	s_load_dwordx2 s[8:9], s[0:1], 0x40
	s_sub_i32 s3, 0, s12
	s_abs_i32 s13, s2
	v_rcp_iflag_f32_e32 v1, v1
	s_nop 0
	v_mul_f32_e32 v1, 0x4f7ffffe, v1
	v_cvt_u32_f32_e32 v1, v1
	s_nop 0
	v_readfirstlane_b32 s11, v1
	s_mul_i32 s3, s3, s11
	s_mul_hi_u32 s3, s11, s3
	s_add_i32 s11, s11, s3
	s_waitcnt lgkmcnt(0)
	s_cmp_eq_u64 s[8:9], 0
	s_mul_hi_u32 s14, s13, s11
	s_cbranch_scc1 .LBB164_2
; %bb.1:
	s_ashr_i32 s3, s2, 31
	s_lshl_b64 s[16:17], s[2:3], 2
	s_add_u32 s8, s8, s16
	s_addc_u32 s9, s9, s17
	s_load_dword s44, s[8:9], 0x0
.LBB164_2:
	s_load_dword s11, s[6:7], 0x0
	s_load_dwordx4 s[16:19], s[0:1], 0x48
	s_ashr_i32 s8, s2, 31
	s_ashr_i32 s9, s15, 31
	v_and_b32_e32 v2, 7, v0
	s_lshl_b32 s24, s2, 5
	v_cmp_gt_u32_e32 vcc, 32, v0
	v_lshlrev_b32_e32 v8, 2, v0
	s_and_saveexec_b64 s[6:7], vcc
	s_cbranch_execz .LBB164_4
; %bb.3:
	s_load_dwordx2 s[20:21], s[0:1], 0x8
	s_waitcnt lgkmcnt(0)
	s_mul_i32 s22, s10, s16
	s_ashr_i32 s23, s22, 31
	s_lshl_b64 s[22:23], s[22:23], 2
	v_lshrrev_b32_e32 v3, 1, v0
	s_add_u32 s3, s20, s22
	s_addc_u32 s15, s21, s23
	s_ashr_i32 s25, s24, 31
	s_lshl_b64 s[20:21], s[24:25], 2
	s_add_u32 s20, s3, s20
	s_addc_u32 s21, s15, s21
	global_load_dword v1, v8, s[20:21]
	v_and_b32_e32 v3, 0x1fc, v3
	v_lshl_add_u32 v3, v2, 4, v3
	s_waitcnt vmcnt(0)
	ds_write_b32 v3, v1
.LBB164_4:
	s_or_b64 exec, exec, s[6:7]
	s_mul_i32 s7, s14, s12
	s_sub_i32 s7, s13, s7
	s_xor_b32 s6, s8, s9
	s_add_i32 s8, s14, 1
	s_sub_i32 s9, s7, s12
	s_load_dwordx4 s[20:23], s[0:1], 0x68
	s_load_dword s3, s[0:1], 0x78
	s_cmp_ge_u32 s7, s12
	s_cselect_b32 s8, s8, s14
	s_cselect_b32 s7, s9, s7
	s_add_i32 s9, s8, 1
	s_cmp_ge_u32 s7, s12
	s_cselect_b32 s7, s9, s8
	s_waitcnt lgkmcnt(0)
	s_abs_i32 s25, s23
	v_cvt_f32_u32_e32 v1, s25
	s_xor_b32 s7, s7, s6
	s_sub_i32 s43, s7, s6
	s_sub_i32 s6, 0, s25
	v_rcp_iflag_f32_e32 v1, v1
	s_add_i32 s12, s11, -1
	s_abs_i32 s8, s12
	v_mul_f32_e32 v1, 0x4f7ffffe, v1
	v_cvt_u32_f32_e32 v1, v1
	s_barrier
	v_readfirstlane_b32 s33, v1
	s_mul_i32 s6, s6, s33
	s_mul_hi_u32 s6, s33, s6
	s_add_i32 s33, s33, s6
	s_cmp_lt_i32 s3, 0
	s_mul_hi_u32 s9, s8, s33
	s_cbranch_scc0 .LBB164_6
; %bb.5:
	s_mul_i32 s6, s20, s36
	s_add_i32 s6, s43, s6
	s_mul_i32 s6, s6, s3
	s_sub_i32 s36, 1, s6
	s_mov_b64 s[6:7], 0
	s_branch .LBB164_7
.LBB164_6:
	s_mov_b64 s[6:7], -1
                                        ; implicit-def: $sgpr36
.LBB164_7:
	s_load_dwordx2 s[28:29], s[0:1], 0x28
	s_ashr_i32 s19, s12, 31
	s_andn2_b64 vcc, exec, s[6:7]
	s_ashr_i32 s23, s23, 31
	s_cbranch_vccnz .LBB164_9
; %bb.8:
	s_mul_i32 s6, s5, s20
	s_add_i32 s2, s6, s2
	s_mul_i32 s2, s2, s3
	s_add_i32 s36, s2, 1
.LBB164_9:
	s_load_dword s2, s[0:1], 0x38
	s_load_dwordx2 s[26:27], s[0:1], 0x0
	s_load_dwordx2 s[34:35], s[0:1], 0x18
	s_load_dword s16, s[0:1], 0x88
	s_load_dwordx4 s[12:15], s[0:1], 0x58
	s_mul_i32 s3, s9, s25
	s_waitcnt lgkmcnt(0)
	s_mul_i32 s30, s10, s2
	s_sub_i32 s3, s8, s3
	s_ashr_i32 s31, s30, 31
	s_xor_b32 s2, s19, s23
	s_add_i32 s6, s9, 1
	s_sub_i32 s7, s3, s25
	s_cmp_ge_u32 s3, s25
	s_cselect_b32 s6, s6, s9
	s_cselect_b32 s3, s7, s3
	s_add_i32 s7, s6, 1
	s_cmp_ge_u32 s3, s25
	s_cselect_b32 s3, s7, s6
	s_xor_b32 s3, s3, s2
	s_sub_i32 s42, s3, s2
	s_add_i32 s2, s11, 7
	s_ashr_i32 s3, s2, 31
	s_lshr_b32 s3, s3, 29
	s_add_i32 s2, s2, s3
	s_ashr_i32 s20, s2, 3
	v_lshrrev_b32_e32 v1, 6, v0
	v_cmp_gt_i32_e64 s[2:3], s20, v1
	v_mov_b32_e32 v13, 0xff7fffff
	s_mul_i32 s43, s43, s18
	v_lshrrev_b32_e32 v10, 4, v0
	v_lshlrev_b32_e32 v16, 3, v1
	v_mbcnt_lo_u32_b32 v9, -1, 0
	s_and_saveexec_b64 s[18:19], s[2:3]
	s_cbranch_execz .LBB164_19
; %bb.10:
	s_load_dwordx2 s[0:1], s[0:1], 0x10
	s_sub_i32 s45, s42, s21
	s_ashr_i32 s7, s43, 31
	v_bfe_u32 v11, v0, 3, 3
	v_mov_b32_e32 v7, 0
	s_waitcnt lgkmcnt(0)
	s_add_u32 s6, s0, s43
	s_addc_u32 s7, s1, s7
	s_abs_i32 s46, s22
	v_cvt_f32_u32_e32 v3, s46
	v_lshlrev_b32_e32 v6, 4, v11
	v_lshl_add_u64 v[4:5], s[6:7], 0, v[6:7]
	s_sub_i32 s6, 0, s46
	v_rcp_iflag_f32_e32 v3, v3
	v_mbcnt_hi_u32_b32 v20, -1, v9
	v_cmp_eq_u32_e32 vcc, 0, v2
	s_mov_b32 s47, s17
	v_mul_f32_e32 v3, 0x4f7ffffe, v3
	v_cvt_u32_f32_e32 v13, v3
	v_lshlrev_b32_e32 v12, 4, v2
	v_cmp_neq_f32_e64 s[0:1], s44, 0
	v_mov_b32_e32 v3, v7
	v_mul_lo_u32 v6, s6, v13
	v_mul_hi_u32 v6, v13, v6
	v_add_u32_e32 v14, v13, v6
	v_lshlrev_b32_e32 v13, 2, v11
	s_lshl_b64 s[6:7], s[30:31], 2
	v_lshl_or_b32 v13, v1, 5, v13
	s_add_u32 s6, s28, s6
	v_add_u32_e32 v17, 0x90, v13
	v_subrev_u32_e32 v13, s11, v11
	v_and_b32_e32 v6, 60, v10
	s_addc_u32 s7, s29, s7
	v_add_u32_e32 v18, 1, v13
	v_and_b32_e32 v13, 64, v20
	v_lshl_add_u64 v[6:7], s[6:7], 0, v[6:7]
	v_lshlrev_b32_e32 v15, 3, v1
	s_mov_b64 s[38:39], 0
	v_mov_b32_e32 v19, 0xff7fffff
	v_add_u32_e32 v21, 64, v13
	v_xor_b32_e32 v22, 4, v20
	v_xor_b32_e32 v23, 2, v20
	;; [unrolled: 1-line block ×3, first 2 shown]
	v_mov_b32_e32 v13, 0xff7fffff
	v_mov_b32_e32 v25, v1
	s_branch .LBB164_13
.LBB164_11:                             ;   in Loop: Header=BB164_13 Depth=1
	s_or_b64 exec, exec, s[40:41]
.LBB164_12:                             ;   in Loop: Header=BB164_13 Depth=1
	s_or_b64 exec, exec, s[8:9]
	v_add_u32_e32 v25, 2, v25
	v_cmp_le_i32_e64 s[6:7], s20, v25
	v_lshl_add_u64 v[6:7], v[6:7], 0, 8
	v_add_u32_e32 v15, 16, v15
	s_or_b64 s[38:39], s[6:7], s[38:39]
	v_add_u32_e32 v17, 64, v17
	s_andn2_b64 exec, exec, s[38:39]
	s_cbranch_execz .LBB164_18
.LBB164_13:                             ; =>This Inner Loop Header: Depth=1
	v_mul_hi_u32 v26, v15, s33
	s_waitcnt lgkmcnt(0)
	v_mul_lo_u32 v27, v26, s25
	v_sub_u32_e32 v27, v15, v27
	v_add_u32_e32 v28, 1, v26
	v_cmp_le_u32_e64 s[6:7], s25, v27
	s_nop 1
	v_cndmask_b32_e64 v26, v26, v28, s[6:7]
	v_subrev_u32_e32 v28, s25, v27
	v_cndmask_b32_e64 v27, v27, v28, s[6:7]
	v_add_u32_e32 v28, 1, v26
	v_cmp_le_u32_e64 s[6:7], s25, v27
	s_nop 1
	v_cndmask_b32_e64 v26, v26, v28, s[6:7]
	v_xor_b32_e32 v26, s23, v26
	v_subrev_u32_e32 v26, s23, v26
	v_add_u32_e32 v27, s36, v26
	v_sub_u32_e32 v29, 0, v27
	v_ashrrev_i32_e32 v28, 31, v27
	v_max_i32_e32 v27, v27, v29
	v_mul_hi_u32 v29, v27, v14
	v_mul_lo_u32 v29, v29, s46
	v_sub_u32_e32 v27, v27, v29
	v_subrev_u32_e32 v29, s46, v27
	v_cmp_le_u32_e64 s[6:7], s46, v27
	v_cmp_ge_i32_e64 s[8:9], s45, v26
	s_nop 0
	v_cndmask_b32_e64 v27, v27, v29, s[6:7]
	v_subrev_u32_e32 v29, s46, v27
	v_cmp_le_u32_e64 s[6:7], s46, v27
	s_nop 1
	v_cndmask_b32_e64 v27, v27, v29, s[6:7]
	v_xor_b32_e32 v27, v27, v28
	v_sub_u32_e32 v27, v27, v28
	v_cmp_ne_u32_e64 s[6:7], 0, v27
	s_and_b64 s[6:7], s[6:7], s[8:9]
	s_and_b64 s[40:41], vcc, s[6:7]
	s_and_saveexec_b64 s[8:9], s[40:41]
	s_cbranch_execz .LBB164_15
; %bb.14:                               ;   in Loop: Header=BB164_13 Depth=1
	ds_write_b32 v17, v19
.LBB164_15:                             ;   in Loop: Header=BB164_13 Depth=1
	s_or_b64 exec, exec, s[8:9]
	s_xor_b64 s[6:7], s[6:7], -1
	s_and_saveexec_b64 s[8:9], s[6:7]
	s_cbranch_execz .LBB164_12
; %bb.16:                               ;   in Loop: Header=BB164_13 Depth=1
	global_load_dword v26, v[6:7], off
	s_waitcnt vmcnt(0)
	v_mad_i64_i32 v[26:27], s[6:7], v26, s47, v[4:5]
	v_lshl_add_u64 v[26:27], v[26:27], 0, v[2:3]
	global_load_ubyte v30, v[26:27], off
	global_load_ubyte v31, v[26:27], off offset:8
	global_load_ubyte v32, v[26:27], off offset:128
	;; [unrolled: 1-line block ×3, first 2 shown]
	v_cmp_lt_i32_e64 s[6:7], v22, v21
	ds_read_b128 v[26:29], v12
	s_waitcnt vmcnt(3)
	v_cvt_f32_fp8_sdwa v30, v30 src0_sel:BYTE_0
	v_cndmask_b32_e64 v34, v20, v22, s[6:7]
	s_load_dword s6, s[12:13], 0x0
	s_waitcnt vmcnt(2)
	v_cvt_f32_fp8_sdwa v31, v31 src0_sel:BYTE_0
	s_waitcnt vmcnt(1)
	v_cvt_f32_fp8_sdwa v32, v32 src0_sel:BYTE_0
	;; [unrolled: 2-line block ×3, first 2 shown]
	v_lshlrev_b32_e32 v34, 2, v34
	s_waitcnt lgkmcnt(0)
	v_mul_f32_e32 v31, s6, v31
	v_mul_f32_e32 v30, s6, v30
	;; [unrolled: 1-line block ×4, first 2 shown]
	v_fmac_f32_e32 v27, v26, v30
	v_mul_f32_e32 v33, s6, v33
	v_fmac_f32_e32 v27, v28, v32
	v_fmac_f32_e32 v27, v29, v33
	ds_bpermute_b32 v26, v34, v27
	v_cmp_lt_i32_e64 s[6:7], v23, v21
	s_waitcnt lgkmcnt(0)
	v_add_f32_e32 v26, v27, v26
	v_cndmask_b32_e64 v28, v20, v23, s[6:7]
	v_lshlrev_b32_e32 v28, 2, v28
	ds_bpermute_b32 v27, v28, v26
	v_cmp_lt_i32_e64 s[6:7], v24, v21
	s_waitcnt lgkmcnt(0)
	v_add_f32_e32 v26, v26, v27
	v_cndmask_b32_e64 v28, v20, v24, s[6:7]
	v_lshlrev_b32_e32 v28, 2, v28
	ds_bpermute_b32 v27, v28, v26
	s_and_saveexec_b64 s[40:41], vcc
	s_cbranch_execz .LBB164_11
; %bb.17:                               ;   in Loop: Header=BB164_13 Depth=1
	v_add_u32_e32 v28, v18, v15
	v_cvt_f32_i32_e32 v28, v28
	s_waitcnt lgkmcnt(0)
	v_add_f32_e32 v26, v26, v27
	v_add_u32_e32 v29, v11, v15
	v_cmp_gt_i32_e64 s[6:7], s11, v29
	v_mul_f32_e32 v27, s44, v28
	v_cndmask_b32_e64 v27, 0, v27, s[0:1]
	v_fmac_f32_e32 v27, s37, v26
	v_cndmask_b32_e64 v26, 0, v27, s[6:7]
	ds_write_b32 v17, v26
	v_max_f32_e32 v26, v13, v13
	v_max_f32_e32 v26, v26, v27
	v_cndmask_b32_e64 v13, v13, v26, s[6:7]
	s_branch .LBB164_11
.LBB164_18:
	s_or_b64 exec, exec, s[38:39]
.LBB164_19:
	s_or_b64 exec, exec, s[18:19]
	v_mbcnt_hi_u32_b32 v2, -1, v9
	v_and_b32_e32 v3, 64, v2
	v_add_u32_e32 v3, 64, v3
	v_xor_b32_e32 v4, 32, v2
	v_cmp_lt_i32_e32 vcc, v4, v3
	v_xor_b32_e32 v7, 16, v2
	v_max_f32_e32 v6, v13, v13
	v_cndmask_b32_e32 v4, v2, v4, vcc
	v_lshlrev_b32_e32 v5, 2, v4
	ds_bpermute_b32 v4, v5, v13
	v_cmp_lt_i32_e32 vcc, v7, v3
	v_xor_b32_e32 v9, 8, v2
	v_and_b32_e32 v17, 63, v0
	s_waitcnt lgkmcnt(0)
	v_max_f32_e32 v4, v4, v4
	v_max_f32_e32 v4, v6, v4
	v_cndmask_b32_e32 v6, v2, v7, vcc
	v_lshlrev_b32_e32 v7, 2, v6
	ds_bpermute_b32 v6, v7, v4
	v_cmp_lt_i32_e32 vcc, v9, v3
	s_waitcnt lgkmcnt(0)
	v_max_f32_e32 v6, v6, v6
	v_max_f32_e32 v6, v4, v6
	v_cndmask_b32_e32 v4, v2, v9, vcc
	v_lshlrev_b32_e32 v9, 2, v4
	ds_bpermute_b32 v11, v9, v6
	v_cmp_eq_u32_e32 vcc, 0, v17
	v_lshlrev_b32_e32 v4, 2, v1
	s_and_saveexec_b64 s[0:1], vcc
	s_cbranch_execz .LBB164_21
; %bb.20:
	s_waitcnt lgkmcnt(0)
	v_max_f32_e32 v11, v11, v11
	v_max_f32_e32 v6, v6, v6
	;; [unrolled: 1-line block ×3, first 2 shown]
	ds_write_b32 v4, v6 offset:128
.LBB164_21:
	s_or_b64 exec, exec, s[0:1]
	v_cmp_gt_u32_e64 s[0:1], 2, v17
	s_waitcnt lgkmcnt(0)
	v_mov_b32_e32 v11, 0xff7fffff
	v_lshlrev_b32_e32 v6, 2, v17
	s_barrier
	s_and_saveexec_b64 s[6:7], s[0:1]
	s_cbranch_execz .LBB164_23
; %bb.22:
	ds_read_b32 v11, v6 offset:128
.LBB164_23:
	s_or_b64 exec, exec, s[6:7]
	v_xor_b32_e32 v12, 1, v2
	v_cmp_lt_i32_e64 s[6:7], v12, v3
	v_lshlrev_b32_e32 v13, 2, v2
	s_nop 0
	v_cndmask_b32_e64 v12, v2, v12, s[6:7]
	v_lshlrev_b32_e32 v18, 2, v12
	s_waitcnt lgkmcnt(0)
	ds_bpermute_b32 v12, v18, v11
	v_max_f32_e32 v11, v11, v11
	s_lshl_b32 s6, s20, 3
	s_min_i32 s37, s6, s11
	v_cmp_gt_i32_e64 s[6:7], s37, v0
	s_waitcnt lgkmcnt(0)
	v_max_f32_e32 v12, v12, v12
	v_max_f32_e32 v12, v11, v12
	v_and_b32_e32 v11, 0x100, v13
	ds_bpermute_b32 v13, v11, v12
	v_mov_b32_e32 v12, 0
	s_and_saveexec_b64 s[12:13], s[6:7]
	s_cbranch_execz .LBB164_27
; %bb.24:
	v_mov_b32_e32 v12, 0x90
	v_lshl_add_u32 v14, v0, 2, v12
	s_mov_b64 s[18:19], 0
	v_mov_b32_e32 v12, 0
	v_mov_b32_e32 v15, v0
.LBB164_25:                             ; =>This Inner Loop Header: Depth=1
	ds_read_b32 v19, v14
	v_add_u32_e32 v15, 0x80, v15
	v_cmp_le_i32_e64 s[8:9], s37, v15
	s_or_b64 s[18:19], s[8:9], s[18:19]
	s_waitcnt lgkmcnt(0)
	v_sub_f32_e32 v19, v19, v13
	v_mul_f32_e32 v19, 0x3fb8aa3b, v19
	v_exp_f32_e32 v19, v19
	ds_write_b32 v14, v19
	v_add_f32_e32 v12, v12, v19
	v_add_u32_e32 v14, 0x200, v14
	s_andn2_b64 exec, exec, s[18:19]
	s_cbranch_execnz .LBB164_25
; %bb.26:
	s_or_b64 exec, exec, s[18:19]
.LBB164_27:
	s_or_b64 exec, exec, s[12:13]
	ds_bpermute_b32 v5, v5, v12
	s_waitcnt lgkmcnt(0)
	v_add_f32_e32 v5, v12, v5
	ds_bpermute_b32 v7, v7, v5
	s_waitcnt lgkmcnt(0)
	v_add_f32_e32 v5, v5, v7
	ds_bpermute_b32 v7, v9, v5
	v_xor_b32_e32 v9, 4, v2
	v_cmp_lt_i32_e64 s[8:9], v9, v3
	s_waitcnt lgkmcnt(0)
	v_add_f32_e32 v5, v5, v7
	v_cndmask_b32_e64 v9, v2, v9, s[8:9]
	v_lshlrev_b32_e32 v9, 2, v9
	ds_bpermute_b32 v7, v9, v5
	v_xor_b32_e32 v9, 2, v2
	v_cmp_lt_i32_e64 s[8:9], v9, v3
	s_waitcnt lgkmcnt(0)
	v_add_f32_e32 v3, v5, v7
	v_cndmask_b32_e64 v2, v2, v9, s[8:9]
	v_lshlrev_b32_e32 v2, 2, v2
	ds_bpermute_b32 v2, v2, v3
	s_waitcnt lgkmcnt(0)
	v_add_f32_e32 v2, v3, v2
	ds_bpermute_b32 v3, v18, v2
	s_waitcnt lgkmcnt(0)
	v_add_f32_e32 v2, v2, v3
	s_and_saveexec_b64 s[8:9], vcc
	s_cbranch_execz .LBB164_29
; %bb.28:
	ds_write_b32 v4, v2 offset:136
.LBB164_29:
	s_or_b64 exec, exec, s[8:9]
	s_waitcnt lgkmcnt(0)
	s_barrier
	s_and_saveexec_b64 s[8:9], s[0:1]
	s_cbranch_execz .LBB164_31
; %bb.30:
	ds_read_b32 v2, v6 offset:136
.LBB164_31:
	s_or_b64 exec, exec, s[8:9]
	s_waitcnt lgkmcnt(0)
	ds_bpermute_b32 v3, v18, v2
	s_waitcnt lgkmcnt(0)
	v_add_f32_e32 v2, v2, v3
	ds_bpermute_b32 v2, v11, v2
	s_and_saveexec_b64 s[0:1], s[6:7]
	s_cbranch_execz .LBB164_44
; %bb.32:
	s_waitcnt lgkmcnt(0)
	v_add_f32_e32 v2, 0x358637bd, v2
	v_div_scale_f32 v3, s[6:7], v2, v2, 1.0
	v_rcp_f32_e32 v4, v3
	v_div_scale_f32 v5, vcc, 1.0, v2, 1.0
	s_movk_i32 s6, 0x7f
	v_fma_f32 v6, -v3, v4, 1.0
	v_fmac_f32_e32 v4, v6, v4
	v_mul_f32_e32 v6, v5, v4
	v_fma_f32 v7, -v3, v6, v5
	v_fmac_f32_e32 v6, v7, v4
	v_fma_f32 v3, -v3, v6, v5
	v_div_fmas_f32 v3, v3, v4, v6
	v_xad_u32 v4, v0, -1, s37
	v_div_fixup_f32 v2, v3, v2, 1.0
	v_cmp_lt_u32_e32 vcc, s6, v4
	s_mov_b64 s[8:9], -1
	v_mov_b32_e32 v3, v0
	s_and_saveexec_b64 s[6:7], vcc
	s_cbranch_execz .LBB164_41
; %bb.33:
	v_lshrrev_b32_e32 v4, 7, v4
	v_add_u32_e32 v6, -1, v4
	v_lshrrev_b32_e32 v5, 1, v6
	v_mov_b32_e32 v3, v2
	v_add_u32_e32 v5, 1, v5
	v_cmp_lt_u32_e32 vcc, 13, v6
	v_mov_b32_e32 v9, 0
	s_and_saveexec_b64 s[8:9], vcc
	s_cbranch_execz .LBB164_37
; %bb.34:
	v_mov_b32_e32 v7, 0x90
	v_and_b32_e32 v6, -8, v5
	v_lshl_add_u32 v7, v0, 2, v7
	s_mov_b32 s18, 0
	s_mov_b64 s[12:13], 0
.LBB164_35:                             ; =>This Inner Loop Header: Depth=1
	ds_read2st64_b32 v[12:13], v7 offset1:2
	ds_read2st64_b32 v[14:15], v7 offset0:4 offset1:6
	ds_read2st64_b32 v[20:21], v7 offset0:8 offset1:10
	;; [unrolled: 1-line block ×3, first 2 shown]
	v_add_u32_e32 v6, -8, v6
	s_waitcnt lgkmcnt(3)
	v_pk_mul_f32 v[12:13], v[2:3], v[12:13]
	s_waitcnt lgkmcnt(2)
	v_pk_mul_f32 v[14:15], v[2:3], v[14:15]
	ds_write2st64_b32 v7, v12, v13 offset1:2
	ds_write2st64_b32 v7, v14, v15 offset0:4 offset1:6
	ds_read2st64_b32 v[14:15], v7 offset0:16 offset1:18
	s_waitcnt lgkmcnt(4)
	v_pk_mul_f32 v[12:13], v[2:3], v[20:21]
	ds_write2st64_b32 v7, v12, v13 offset0:8 offset1:10
	s_waitcnt lgkmcnt(4)
	v_pk_mul_f32 v[12:13], v[2:3], v[22:23]
	ds_write2st64_b32 v7, v12, v13 offset0:12 offset1:14
	ds_read2st64_b32 v[12:13], v7 offset0:20 offset1:22
	s_waitcnt lgkmcnt(3)
	v_pk_mul_f32 v[14:15], v[2:3], v[14:15]
	ds_read2st64_b32 v[20:21], v7 offset0:24 offset1:26
	ds_write2st64_b32 v7, v14, v15 offset0:16 offset1:18
	ds_read2st64_b32 v[14:15], v7 offset0:28 offset1:30
	s_waitcnt lgkmcnt(3)
	v_pk_mul_f32 v[12:13], v[2:3], v[12:13]
	ds_write2st64_b32 v7, v12, v13 offset0:20 offset1:22
	s_waitcnt lgkmcnt(3)
	v_pk_mul_f32 v[12:13], v[2:3], v[20:21]
	ds_write2st64_b32 v7, v12, v13 offset0:24 offset1:26
	s_waitcnt lgkmcnt(2)
	v_pk_mul_f32 v[12:13], v[2:3], v[14:15]
	s_add_i32 s18, s18, 16
	v_cmp_eq_u32_e32 vcc, 0, v6
	ds_write2st64_b32 v7, v12, v13 offset0:28 offset1:30
	v_add_u32_e32 v7, 0x2000, v7
	s_or_b64 s[12:13], vcc, s[12:13]
	v_mov_b32_e32 v9, s18
	s_andn2_b64 exec, exec, s[12:13]
	s_cbranch_execnz .LBB164_35
; %bb.36:
	s_or_b64 exec, exec, s[12:13]
.LBB164_37:
	s_or_b64 exec, exec, s[8:9]
	v_and_b32_e32 v5, 7, v5
	v_cmp_ne_u32_e32 vcc, 0, v5
	s_and_saveexec_b64 s[8:9], vcc
	s_cbranch_execz .LBB164_40
; %bb.38:
	v_lshlrev_b32_e32 v6, 9, v9
	s_movk_i32 s12, 0x90
	v_add3_u32 v6, v6, v8, s12
	s_mov_b64 s[12:13], 0
.LBB164_39:                             ; =>This Inner Loop Header: Depth=1
	ds_read2st64_b32 v[12:13], v6 offset1:2
	v_add_u32_e32 v5, -1, v5
	v_cmp_eq_u32_e32 vcc, 0, v5
	s_or_b64 s[12:13], vcc, s[12:13]
	s_waitcnt lgkmcnt(0)
	v_pk_mul_f32 v[12:13], v[2:3], v[12:13]
	ds_write2st64_b32 v6, v12, v13 offset1:2
	v_add_u32_e32 v6, 0x400, v6
	s_andn2_b64 exec, exec, s[12:13]
	s_cbranch_execnz .LBB164_39
.LBB164_40:
	s_or_b64 exec, exec, s[8:9]
	v_add_u32_e32 v4, 1, v4
	v_and_b32_e32 v5, 0x3fffffe, v4
	v_cmp_ne_u32_e32 vcc, v4, v5
	v_lshl_add_u32 v3, v5, 7, v0
	s_orn2_b64 s[8:9], vcc, exec
.LBB164_41:
	s_or_b64 exec, exec, s[6:7]
	s_and_b64 exec, exec, s[8:9]
	s_cbranch_execz .LBB164_44
; %bb.42:
	v_mov_b32_e32 v4, 0x90
	v_lshl_add_u32 v4, v3, 2, v4
	s_mov_b64 s[6:7], 0
.LBB164_43:                             ; =>This Inner Loop Header: Depth=1
	ds_read_b32 v5, v4
	v_add_u32_e32 v3, 0x80, v3
	v_cmp_le_i32_e32 vcc, s37, v3
	s_or_b64 s[6:7], vcc, s[6:7]
	s_waitcnt lgkmcnt(0)
	v_mul_f32_e32 v5, v2, v5
	ds_write_b32 v4, v5
	v_add_u32_e32 v4, 0x200, v4
	s_andn2_b64 exec, exec, s[6:7]
	s_cbranch_execnz .LBB164_43
.LBB164_44:
	s_or_b64 exec, exec, s[0:1]
	v_mov_b32_e32 v7, 0
	s_waitcnt lgkmcnt(0)
	s_barrier
	s_and_saveexec_b64 s[6:7], s[2:3]
	s_cbranch_execz .LBB164_52
; %bb.45:
	s_sub_i32 s12, s42, s21
	s_ashr_i32 s1, s43, 31
	s_add_u32 s0, s34, s43
	s_addc_u32 s1, s35, s1
	s_abs_i32 s13, s22
	v_cvt_f32_u32_e32 v2, s13
	v_and_b32_e32 v6, 0xfc, v8
	v_mov_b32_e32 v7, 0
	v_and_b32_e32 v19, 4, v8
	v_rcp_iflag_f32_e32 v2, v2
	v_lshl_add_u64 v[8:9], s[0:1], 0, v[6:7]
	s_sub_i32 s0, 0, s13
	s_add_i32 s18, s20, -1
	v_mul_f32_e32 v2, 0x4f7ffffe, v2
	v_cvt_u32_f32_e32 v2, v2
	v_and_b32_e32 v6, 60, v10
	s_mov_b64 s[2:3], 0
	v_mul_lo_u32 v3, s0, v2
	v_mul_hi_u32 v3, v2, v3
	v_add_u32_e32 v20, v2, v3
	s_lshl_b64 s[0:1], s[30:31], 2
	v_and_b32_e32 v2, 1, v0
	s_add_u32 s0, s28, s0
	v_lshlrev_b32_e32 v2, 4, v2
	s_addc_u32 s1, s29, s1
	v_lshl_or_b32 v2, v1, 5, v2
	v_lshl_add_u64 v[10:11], s[0:1], 0, v[6:7]
	v_add_u32_e32 v6, 0x90, v2
	s_branch .LBB164_48
.LBB164_46:                             ;   in Loop: Header=BB164_48 Depth=1
	s_or_b64 exec, exec, s[8:9]
	v_mul_f32_e32 v3, v3, v15
	v_fmac_f32_e32 v3, v2, v14
	v_fmac_f32_e32 v3, v4, v12
	;; [unrolled: 1-line block ×3, first 2 shown]
	v_add_f32_e32 v7, v7, v3
.LBB164_47:                             ;   in Loop: Header=BB164_48 Depth=1
	s_or_b64 exec, exec, s[0:1]
	v_add_u32_e32 v1, 2, v1
	v_cmp_le_i32_e32 vcc, s20, v1
	v_lshl_add_u64 v[10:11], v[10:11], 0, 8
	v_add_u32_e32 v16, 16, v16
	s_or_b64 s[2:3], vcc, s[2:3]
	v_add_u32_e32 v6, 64, v6
	s_andn2_b64 exec, exec, s[2:3]
	s_cbranch_execz .LBB164_51
.LBB164_48:                             ; =>This Inner Loop Header: Depth=1
	v_mul_hi_u32 v2, v16, s33
	v_mul_lo_u32 v3, v2, s25
	v_sub_u32_e32 v3, v16, v3
	v_add_u32_e32 v4, 1, v2
	v_cmp_le_u32_e32 vcc, s25, v3
	s_nop 1
	v_cndmask_b32_e32 v2, v2, v4, vcc
	v_subrev_u32_e32 v4, s25, v3
	v_cndmask_b32_e32 v3, v3, v4, vcc
	v_add_u32_e32 v4, 1, v2
	v_cmp_le_u32_e32 vcc, s25, v3
	s_nop 1
	v_cndmask_b32_e32 v2, v2, v4, vcc
	v_xor_b32_e32 v2, s23, v2
	v_subrev_u32_e32 v2, s23, v2
	v_add_u32_e32 v3, s36, v2
	v_sub_u32_e32 v5, 0, v3
	v_ashrrev_i32_e32 v4, 31, v3
	v_max_i32_e32 v3, v3, v5
	v_mul_hi_u32 v5, v3, v20
	v_mul_lo_u32 v5, v5, s13
	v_sub_u32_e32 v3, v3, v5
	v_subrev_u32_e32 v5, s13, v3
	v_cmp_le_u32_e32 vcc, s13, v3
	v_cmp_lt_i32_e64 s[0:1], s12, v2
	s_nop 0
	v_cndmask_b32_e32 v3, v3, v5, vcc
	v_subrev_u32_e32 v5, s13, v3
	v_cmp_le_u32_e32 vcc, s13, v3
	s_nop 1
	v_cndmask_b32_e32 v3, v3, v5, vcc
	v_xor_b32_e32 v3, v3, v4
	v_sub_u32_e32 v3, v3, v4
	v_cmp_eq_u32_e32 vcc, 0, v3
	s_or_b64 s[8:9], vcc, s[0:1]
	s_and_saveexec_b64 s[0:1], s[8:9]
	s_cbranch_execz .LBB164_47
; %bb.49:                               ;   in Loop: Header=BB164_48 Depth=1
	global_load_dword v2, v[10:11], off
	v_cmp_eq_u32_e32 vcc, s18, v1
	s_waitcnt vmcnt(0)
	v_mad_i64_i32 v[2:3], s[8:9], v2, s17, v[8:9]
	global_load_dword v2, v[2:3], off
	s_load_dword s8, s[14:15], 0x0
	s_waitcnt vmcnt(0)
	v_and_b32_e32 v3, 0xffff, v2
	v_lshrrev_b32_e32 v2, 16, v2
	v_cvt_pk_f32_fp8_e32 v[12:13], v3
	v_cvt_pk_f32_fp8_e32 v[22:23], v2
	ds_read_b128 v[2:5], v6
	s_waitcnt lgkmcnt(0)
	v_pk_mul_f32 v[14:15], s[8:9], v[12:13] op_sel_hi:[0,1]
	v_pk_mul_f32 v[12:13], s[8:9], v[22:23] op_sel_hi:[0,1]
	s_and_saveexec_b64 s[8:9], vcc
	s_cbranch_execz .LBB164_46
; %bb.50:                               ;   in Loop: Header=BB164_48 Depth=1
	v_add_u32_e32 v21, v19, v16
	v_cmp_gt_i32_e32 vcc, s11, v21
	v_add_u32_e32 v22, 1, v21
	s_nop 0
	v_cndmask_b32_e32 v14, 0, v14, vcc
	v_cmp_gt_i32_e32 vcc, s11, v22
	v_add_u32_e32 v22, 2, v21
	v_add_u32_e32 v21, 3, v21
	v_cndmask_b32_e32 v15, 0, v15, vcc
	v_cmp_gt_i32_e32 vcc, s11, v22
	s_nop 1
	v_cndmask_b32_e32 v12, 0, v12, vcc
	v_cmp_gt_i32_e32 vcc, s11, v21
	s_nop 1
	v_cndmask_b32_e32 v13, 0, v13, vcc
	s_branch .LBB164_46
.LBB164_51:
	s_or_b64 exec, exec, s[2:3]
.LBB164_52:
	s_or_b64 exec, exec, s[6:7]
	ds_bpermute_b32 v1, v18, v7
	v_and_b32_e32 v2, 0x3c1, v0
	v_cmp_eq_u32_e32 vcc, 64, v2
	s_waitcnt lgkmcnt(0)
	s_barrier
	v_add_f32_e32 v1, v7, v1
	s_and_saveexec_b64 s[0:1], vcc
	s_cbranch_execz .LBB164_54
; %bb.53:
	v_mov_b32_e32 v3, 0x90
	v_lshl_add_u32 v3, v17, 1, v3
	ds_write_b32 v3, v1
.LBB164_54:
	s_or_b64 exec, exec, s[0:1]
	v_cmp_eq_u32_e32 vcc, 0, v2
	s_waitcnt lgkmcnt(0)
	s_barrier
	s_and_saveexec_b64 s[0:1], vcc
	s_cbranch_execz .LBB164_56
; %bb.55:
	v_mov_b32_e32 v2, 0x90
	v_lshl_add_u32 v2, v0, 1, v2
	ds_read_b32 v2, v2
	s_waitcnt lgkmcnt(0)
	v_add_f32_e32 v1, v1, v2
.LBB164_56:
	s_or_b64 exec, exec, s[0:1]
	s_barrier
	s_and_saveexec_b64 s[0:1], vcc
	s_cbranch_execz .LBB164_58
; %bb.57:
	s_mul_i32 s0, s10, s16
	s_mul_i32 s0, s0, s5
	s_lshl_b32 s0, s0, 5
	s_ashr_i32 s1, s0, 31
	s_lshl_b64 s[0:1], s[0:1], 2
	s_add_u32 s2, s26, s0
	s_mul_i32 s0, s16, s24
	s_addc_u32 s3, s27, s1
	s_ashr_i32 s1, s0, 31
	s_lshl_b64 s[0:1], s[0:1], 2
	s_add_u32 s2, s2, s0
	s_addc_u32 s3, s3, s1
	s_lshl_b32 s0, s4, 5
	s_ashr_i32 s1, s0, 31
	s_lshl_b64 s[0:1], s[0:1], 2
	s_add_u32 s0, s2, s0
	s_addc_u32 s1, s3, s1
	v_lshlrev_b32_e32 v0, 1, v0
	global_store_dword v0, v1, s[0:1]
.LBB164_58:
	s_endpgm
	.section	.rodata,"a",@progbits
	.p2align	6, 0x0
	.amdhsa_kernel _ZN4vllm25paged_attention_v1_kernelIfhLi32ELi8ELi128ELNS_18Fp8KVCacheDataTypeE1ELb1EEEvPT_PKS2_PKT0_S8_ifPKiSA_iPKfiiiSC_SC_iiiii
		.amdhsa_group_segment_fixed_size 144
		.amdhsa_private_segment_fixed_size 0
		.amdhsa_kernarg_size 384
		.amdhsa_user_sgpr_count 2
		.amdhsa_user_sgpr_dispatch_ptr 0
		.amdhsa_user_sgpr_queue_ptr 0
		.amdhsa_user_sgpr_kernarg_segment_ptr 1
		.amdhsa_user_sgpr_dispatch_id 0
		.amdhsa_user_sgpr_kernarg_preload_length 0
		.amdhsa_user_sgpr_kernarg_preload_offset 0
		.amdhsa_user_sgpr_private_segment_size 0
		.amdhsa_uses_dynamic_stack 0
		.amdhsa_enable_private_segment 0
		.amdhsa_system_sgpr_workgroup_id_x 1
		.amdhsa_system_sgpr_workgroup_id_y 1
		.amdhsa_system_sgpr_workgroup_id_z 1
		.amdhsa_system_sgpr_workgroup_info 0
		.amdhsa_system_vgpr_workitem_id 0
		.amdhsa_next_free_vgpr 35
		.amdhsa_next_free_sgpr 48
		.amdhsa_accum_offset 36
		.amdhsa_reserve_vcc 1
		.amdhsa_float_round_mode_32 0
		.amdhsa_float_round_mode_16_64 0
		.amdhsa_float_denorm_mode_32 3
		.amdhsa_float_denorm_mode_16_64 3
		.amdhsa_dx10_clamp 1
		.amdhsa_ieee_mode 1
		.amdhsa_fp16_overflow 0
		.amdhsa_tg_split 0
		.amdhsa_exception_fp_ieee_invalid_op 0
		.amdhsa_exception_fp_denorm_src 0
		.amdhsa_exception_fp_ieee_div_zero 0
		.amdhsa_exception_fp_ieee_overflow 0
		.amdhsa_exception_fp_ieee_underflow 0
		.amdhsa_exception_fp_ieee_inexact 0
		.amdhsa_exception_int_div_zero 0
	.end_amdhsa_kernel
	.section	.text._ZN4vllm25paged_attention_v1_kernelIfhLi32ELi8ELi128ELNS_18Fp8KVCacheDataTypeE1ELb1EEEvPT_PKS2_PKT0_S8_ifPKiSA_iPKfiiiSC_SC_iiiii,"axG",@progbits,_ZN4vllm25paged_attention_v1_kernelIfhLi32ELi8ELi128ELNS_18Fp8KVCacheDataTypeE1ELb1EEEvPT_PKS2_PKT0_S8_ifPKiSA_iPKfiiiSC_SC_iiiii,comdat
.Lfunc_end164:
	.size	_ZN4vllm25paged_attention_v1_kernelIfhLi32ELi8ELi128ELNS_18Fp8KVCacheDataTypeE1ELb1EEEvPT_PKS2_PKT0_S8_ifPKiSA_iPKfiiiSC_SC_iiiii, .Lfunc_end164-_ZN4vllm25paged_attention_v1_kernelIfhLi32ELi8ELi128ELNS_18Fp8KVCacheDataTypeE1ELb1EEEvPT_PKS2_PKT0_S8_ifPKiSA_iPKfiiiSC_SC_iiiii
                                        ; -- End function
	.section	.AMDGPU.csdata,"",@progbits
; Kernel info:
; codeLenInByte = 3780
; NumSgprs: 54
; NumVgprs: 35
; NumAgprs: 0
; TotalNumVgprs: 35
; ScratchSize: 0
; MemoryBound: 0
; FloatMode: 240
; IeeeMode: 1
; LDSByteSize: 144 bytes/workgroup (compile time only)
; SGPRBlocks: 6
; VGPRBlocks: 4
; NumSGPRsForWavesPerEU: 54
; NumVGPRsForWavesPerEU: 35
; AccumOffset: 36
; Occupancy: 8
; WaveLimiterHint : 1
; COMPUTE_PGM_RSRC2:SCRATCH_EN: 0
; COMPUTE_PGM_RSRC2:USER_SGPR: 2
; COMPUTE_PGM_RSRC2:TRAP_HANDLER: 0
; COMPUTE_PGM_RSRC2:TGID_X_EN: 1
; COMPUTE_PGM_RSRC2:TGID_Y_EN: 1
; COMPUTE_PGM_RSRC2:TGID_Z_EN: 1
; COMPUTE_PGM_RSRC2:TIDIG_COMP_CNT: 0
; COMPUTE_PGM_RSRC3_GFX90A:ACCUM_OFFSET: 8
; COMPUTE_PGM_RSRC3_GFX90A:TG_SPLIT: 0
	.section	.text._ZN4vllm25paged_attention_v1_kernelIfhLi64ELi8ELi128ELNS_18Fp8KVCacheDataTypeE1ELb1EEEvPT_PKS2_PKT0_S8_ifPKiSA_iPKfiiiSC_SC_iiiii,"axG",@progbits,_ZN4vllm25paged_attention_v1_kernelIfhLi64ELi8ELi128ELNS_18Fp8KVCacheDataTypeE1ELb1EEEvPT_PKS2_PKT0_S8_ifPKiSA_iPKfiiiSC_SC_iiiii,comdat
	.protected	_ZN4vllm25paged_attention_v1_kernelIfhLi64ELi8ELi128ELNS_18Fp8KVCacheDataTypeE1ELb1EEEvPT_PKS2_PKT0_S8_ifPKiSA_iPKfiiiSC_SC_iiiii ; -- Begin function _ZN4vllm25paged_attention_v1_kernelIfhLi64ELi8ELi128ELNS_18Fp8KVCacheDataTypeE1ELb1EEEvPT_PKS2_PKT0_S8_ifPKiSA_iPKfiiiSC_SC_iiiii
	.globl	_ZN4vllm25paged_attention_v1_kernelIfhLi64ELi8ELi128ELNS_18Fp8KVCacheDataTypeE1ELb1EEEvPT_PKS2_PKT0_S8_ifPKiSA_iPKfiiiSC_SC_iiiii
	.p2align	8
	.type	_ZN4vllm25paged_attention_v1_kernelIfhLi64ELi8ELi128ELNS_18Fp8KVCacheDataTypeE1ELb1EEEvPT_PKS2_PKT0_S8_ifPKiSA_iPKfiiiSC_SC_iiiii,@function
_ZN4vllm25paged_attention_v1_kernelIfhLi64ELi8ELi128ELNS_18Fp8KVCacheDataTypeE1ELb1EEEvPT_PKS2_PKT0_S8_ifPKiSA_iPKfiiiSC_SC_iiiii: ; @_ZN4vllm25paged_attention_v1_kernelIfhLi64ELi8ELi128ELNS_18Fp8KVCacheDataTypeE1ELb1EEEvPT_PKS2_PKT0_S8_ifPKiSA_iPKfiiiSC_SC_iiiii
; %bb.0:
	s_load_dword s5, s[0:1], 0x80
	s_load_dwordx2 s[6:7], s[0:1], 0x30
	s_load_dwordx2 s[38:39], s[0:1], 0x20
	s_mov_b32 s24, s3
	s_ashr_i32 s25, s3, 31
	s_lshl_b64 s[8:9], s[24:25], 2
	s_waitcnt lgkmcnt(0)
	s_add_u32 s6, s6, s8
	s_addc_u32 s7, s7, s9
	s_abs_i32 s3, s38
	v_cvt_f32_u32_e32 v1, s3
	s_sub_i32 s10, 0, s3
	s_abs_i32 s9, s5
	s_xor_b32 s8, s5, s38
	v_rcp_iflag_f32_e32 v1, v1
	s_ashr_i32 s8, s8, 31
	s_mov_b32 s46, 0
	v_mul_f32_e32 v1, 0x4f7ffffe, v1
	v_cvt_u32_f32_e32 v1, v1
	s_nop 0
	v_readfirstlane_b32 s11, v1
	s_mul_i32 s10, s10, s11
	s_mul_hi_u32 s10, s11, s10
	s_add_i32 s11, s11, s10
	s_mul_hi_u32 s10, s9, s11
	s_mul_i32 s11, s10, s3
	s_sub_i32 s9, s9, s11
	s_add_i32 s11, s10, 1
	s_sub_i32 s12, s9, s3
	s_cmp_ge_u32 s9, s3
	s_cselect_b32 s10, s11, s10
	s_cselect_b32 s9, s12, s9
	s_add_i32 s11, s10, 1
	s_cmp_ge_u32 s9, s3
	s_cselect_b32 s3, s11, s10
	s_xor_b32 s3, s3, s8
	s_sub_i32 s14, s3, s8
	s_abs_i32 s10, s14
	v_cvt_f32_u32_e32 v1, s10
	s_load_dwordx2 s[8:9], s[0:1], 0x40
	s_sub_i32 s3, 0, s10
	s_abs_i32 s11, s2
	v_rcp_iflag_f32_e32 v1, v1
	s_nop 0
	v_mul_f32_e32 v1, 0x4f7ffffe, v1
	v_cvt_u32_f32_e32 v1, v1
	s_nop 0
	v_readfirstlane_b32 s12, v1
	s_mul_i32 s3, s3, s12
	s_mul_hi_u32 s3, s12, s3
	s_add_i32 s12, s12, s3
	s_waitcnt lgkmcnt(0)
	s_cmp_eq_u64 s[8:9], 0
	s_mul_hi_u32 s12, s11, s12
	s_cbranch_scc1 .LBB165_2
; %bb.1:
	s_ashr_i32 s3, s2, 31
	s_lshl_b64 s[16:17], s[2:3], 2
	s_add_u32 s8, s8, s16
	s_addc_u32 s9, s9, s17
	s_load_dword s46, s[8:9], 0x0
.LBB165_2:
	s_load_dword s25, s[6:7], 0x0
	s_load_dwordx4 s[16:19], s[0:1], 0x48
	s_ashr_i32 s13, s2, 31
	s_ashr_i32 s14, s14, 31
	v_and_b32_e32 v2, 7, v0
	s_lshl_b32 s26, s2, 6
	v_cmp_gt_u32_e64 s[8:9], 64, v0
	v_lshlrev_b32_e32 v8, 2, v0
	v_lshrrev_b32_e32 v1, 1, v0
	s_and_saveexec_b64 s[6:7], s[8:9]
	s_cbranch_execz .LBB165_4
; %bb.3:
	s_load_dwordx2 s[20:21], s[0:1], 0x8
	s_waitcnt lgkmcnt(0)
	s_mul_i32 s22, s24, s16
	s_ashr_i32 s23, s22, 31
	s_lshl_b64 s[22:23], s[22:23], 2
	v_and_b32_e32 v4, 0x1fc, v1
	s_add_u32 s3, s20, s22
	s_addc_u32 s15, s21, s23
	s_ashr_i32 s27, s26, 31
	s_lshl_b64 s[20:21], s[26:27], 2
	s_add_u32 s20, s3, s20
	s_addc_u32 s21, s15, s21
	global_load_dword v3, v8, s[20:21]
	v_lshl_add_u32 v4, v2, 5, v4
	s_waitcnt vmcnt(0)
	ds_write_b32 v4, v3
.LBB165_4:
	s_or_b64 exec, exec, s[6:7]
	s_mul_i32 s7, s12, s10
	s_sub_i32 s7, s11, s7
	s_xor_b32 s6, s13, s14
	s_add_i32 s11, s12, 1
	s_sub_i32 s13, s7, s10
	s_load_dwordx4 s[20:23], s[0:1], 0x68
	s_load_dword s3, s[0:1], 0x78
	s_cmp_ge_u32 s7, s10
	s_cselect_b32 s11, s11, s12
	s_cselect_b32 s7, s13, s7
	s_add_i32 s12, s11, 1
	s_cmp_ge_u32 s7, s10
	s_cselect_b32 s7, s12, s11
	s_waitcnt lgkmcnt(0)
	s_abs_i32 s27, s23
	v_cvt_f32_u32_e32 v3, s27
	s_xor_b32 s7, s7, s6
	s_sub_i32 s45, s7, s6
	s_sub_i32 s6, 0, s27
	v_rcp_iflag_f32_e32 v3, v3
	s_add_i32 s12, s25, -1
	s_abs_i32 s10, s12
	v_mul_f32_e32 v3, 0x4f7ffffe, v3
	v_cvt_u32_f32_e32 v3, v3
	s_barrier
	v_readfirstlane_b32 s33, v3
	s_mul_i32 s6, s6, s33
	s_mul_hi_u32 s6, s33, s6
	s_add_i32 s33, s33, s6
	s_cmp_lt_i32 s3, 0
	s_mul_hi_u32 s11, s10, s33
	s_cbranch_scc0 .LBB165_6
; %bb.5:
	s_mul_i32 s6, s20, s38
	s_add_i32 s6, s45, s6
	s_mul_i32 s6, s6, s3
	s_sub_i32 s38, 1, s6
	s_mov_b64 s[6:7], 0
	s_branch .LBB165_7
.LBB165_6:
	s_mov_b64 s[6:7], -1
                                        ; implicit-def: $sgpr38
.LBB165_7:
	s_load_dwordx2 s[30:31], s[0:1], 0x28
	s_ashr_i32 s16, s12, 31
	s_andn2_b64 vcc, exec, s[6:7]
	s_ashr_i32 s23, s23, 31
	s_cbranch_vccnz .LBB165_9
; %bb.8:
	s_mul_i32 s6, s5, s20
	s_add_i32 s2, s6, s2
	s_mul_i32 s2, s2, s3
	s_add_i32 s38, s2, 1
.LBB165_9:
	s_load_dword s2, s[0:1], 0x38
	s_load_dwordx2 s[28:29], s[0:1], 0x0
	s_load_dwordx2 s[36:37], s[0:1], 0x18
	s_load_dword s20, s[0:1], 0x88
	s_load_dwordx4 s[12:15], s[0:1], 0x58
	s_mul_i32 s3, s11, s27
	s_waitcnt lgkmcnt(0)
	s_mul_i32 s34, s24, s2
	s_sub_i32 s3, s10, s3
	s_ashr_i32 s35, s34, 31
	s_xor_b32 s2, s16, s23
	s_add_i32 s6, s11, 1
	s_sub_i32 s7, s3, s27
	s_cmp_ge_u32 s3, s27
	s_cselect_b32 s6, s6, s11
	s_cselect_b32 s3, s7, s3
	s_add_i32 s7, s6, 1
	s_cmp_ge_u32 s3, s27
	s_cselect_b32 s3, s7, s6
	s_xor_b32 s3, s3, s2
	s_sub_i32 s16, s3, s2
	s_add_i32 s2, s25, 7
	s_ashr_i32 s3, s2, 31
	s_lshr_b32 s3, s3, 29
	s_add_i32 s2, s2, s3
	s_ashr_i32 s44, s2, 3
	v_lshrrev_b32_e32 v20, 6, v0
	v_cmp_gt_i32_e64 s[2:3], s44, v20
	v_mov_b32_e32 v13, 0xff7fffff
	s_mul_i32 s45, s45, s18
	v_lshrrev_b32_e32 v10, 4, v0
	v_lshlrev_b32_e32 v21, 3, v20
	v_mbcnt_lo_u32_b32 v9, -1, 0
	s_and_saveexec_b64 s[18:19], s[2:3]
	s_cbranch_execz .LBB165_19
; %bb.10:
	s_load_dwordx2 s[0:1], s[0:1], 0x10
	s_sub_i32 s47, s16, s21
	s_ashr_i32 s7, s45, 31
	v_bfe_u32 v11, v0, 3, 3
	v_mov_b32_e32 v7, 0
	s_waitcnt lgkmcnt(0)
	s_add_u32 s6, s0, s45
	s_addc_u32 s7, s1, s7
	s_abs_i32 s48, s22
	v_cvt_f32_u32_e32 v3, s48
	v_lshlrev_b32_e32 v6, 4, v11
	v_lshl_add_u64 v[4:5], s[6:7], 0, v[6:7]
	s_sub_i32 s6, 0, s48
	v_rcp_iflag_f32_e32 v3, v3
	v_mbcnt_hi_u32_b32 v19, -1, v9
	v_cmp_eq_u32_e32 vcc, 0, v2
	s_mov_b32 s49, s17
	v_mul_f32_e32 v3, 0x4f7ffffe, v3
	v_cvt_u32_f32_e32 v13, v3
	v_lshlrev_b32_e32 v12, 5, v2
	v_cmp_neq_f32_e64 s[0:1], s46, 0
	v_mov_b32_e32 v3, v7
	v_mul_lo_u32 v6, s6, v13
	v_mul_hi_u32 v6, v13, v6
	v_add_u32_e32 v14, v13, v6
	v_lshlrev_b32_e32 v13, 2, v11
	s_lshl_b64 s[6:7], s[34:35], 2
	v_lshl_or_b32 v13, v20, 5, v13
	s_add_u32 s6, s30, s6
	v_add_u32_e32 v16, 0x110, v13
	v_subrev_u32_e32 v13, s25, v11
	v_and_b32_e32 v6, 60, v10
	s_addc_u32 s7, s31, s7
	v_add_u32_e32 v17, 1, v13
	v_and_b32_e32 v13, 64, v19
	v_lshl_add_u64 v[6:7], s[6:7], 0, v[6:7]
	v_lshlrev_b32_e32 v15, 3, v20
	s_mov_b64 s[40:41], 0
	v_mov_b32_e32 v18, 0xff7fffff
	v_add_u32_e32 v22, 64, v13
	v_xor_b32_e32 v23, 4, v19
	v_xor_b32_e32 v24, 2, v19
	;; [unrolled: 1-line block ×3, first 2 shown]
	v_mov_b32_e32 v13, 0xff7fffff
	v_mov_b32_e32 v26, v20
	s_branch .LBB165_13
.LBB165_11:                             ;   in Loop: Header=BB165_13 Depth=1
	s_or_b64 exec, exec, s[42:43]
.LBB165_12:                             ;   in Loop: Header=BB165_13 Depth=1
	s_or_b64 exec, exec, s[10:11]
	v_add_u32_e32 v26, 2, v26
	v_cmp_le_i32_e64 s[6:7], s44, v26
	v_lshl_add_u64 v[6:7], v[6:7], 0, 8
	v_add_u32_e32 v15, 16, v15
	s_or_b64 s[40:41], s[6:7], s[40:41]
	v_add_u32_e32 v16, 64, v16
	s_andn2_b64 exec, exec, s[40:41]
	s_cbranch_execz .LBB165_18
.LBB165_13:                             ; =>This Inner Loop Header: Depth=1
	v_mul_hi_u32 v27, v15, s33
	s_waitcnt lgkmcnt(0)
	v_mul_lo_u32 v28, v27, s27
	v_sub_u32_e32 v28, v15, v28
	v_add_u32_e32 v29, 1, v27
	v_cmp_le_u32_e64 s[6:7], s27, v28
	s_nop 1
	v_cndmask_b32_e64 v27, v27, v29, s[6:7]
	v_subrev_u32_e32 v29, s27, v28
	v_cndmask_b32_e64 v28, v28, v29, s[6:7]
	v_add_u32_e32 v29, 1, v27
	v_cmp_le_u32_e64 s[6:7], s27, v28
	s_nop 1
	v_cndmask_b32_e64 v27, v27, v29, s[6:7]
	v_xor_b32_e32 v27, s23, v27
	v_subrev_u32_e32 v27, s23, v27
	v_add_u32_e32 v28, s38, v27
	v_sub_u32_e32 v30, 0, v28
	v_ashrrev_i32_e32 v29, 31, v28
	v_max_i32_e32 v28, v28, v30
	v_mul_hi_u32 v30, v28, v14
	v_mul_lo_u32 v30, v30, s48
	v_sub_u32_e32 v28, v28, v30
	v_subrev_u32_e32 v30, s48, v28
	v_cmp_le_u32_e64 s[6:7], s48, v28
	v_cmp_ge_i32_e64 s[10:11], s47, v27
	s_nop 0
	v_cndmask_b32_e64 v28, v28, v30, s[6:7]
	v_subrev_u32_e32 v30, s48, v28
	v_cmp_le_u32_e64 s[6:7], s48, v28
	s_nop 1
	v_cndmask_b32_e64 v28, v28, v30, s[6:7]
	v_xor_b32_e32 v28, v28, v29
	v_sub_u32_e32 v28, v28, v29
	v_cmp_ne_u32_e64 s[6:7], 0, v28
	s_and_b64 s[6:7], s[6:7], s[10:11]
	s_and_b64 s[42:43], vcc, s[6:7]
	s_and_saveexec_b64 s[10:11], s[42:43]
	s_cbranch_execz .LBB165_15
; %bb.14:                               ;   in Loop: Header=BB165_13 Depth=1
	ds_write_b32 v16, v18
.LBB165_15:                             ;   in Loop: Header=BB165_13 Depth=1
	s_or_b64 exec, exec, s[10:11]
	s_xor_b64 s[6:7], s[6:7], -1
	s_and_saveexec_b64 s[10:11], s[6:7]
	s_cbranch_execz .LBB165_12
; %bb.16:                               ;   in Loop: Header=BB165_13 Depth=1
	global_load_dword v27, v[6:7], off
	s_waitcnt vmcnt(0)
	v_mad_i64_i32 v[28:29], s[6:7], v27, s49, v[4:5]
	v_lshl_add_u64 v[28:29], v[28:29], 0, v[2:3]
	global_load_ubyte v27, v[28:29], off
	global_load_ubyte v36, v[28:29], off offset:8
	global_load_ubyte v37, v[28:29], off offset:128
	;; [unrolled: 1-line block ×7, first 2 shown]
	v_cmp_lt_i32_e64 s[6:7], v23, v22
	ds_read_b128 v[28:31], v12
	ds_read_b128 v[32:35], v12 offset:16
	v_cndmask_b32_e64 v43, v19, v23, s[6:7]
	s_load_dword s6, s[12:13], 0x0
	v_lshlrev_b32_e32 v43, 2, v43
	s_waitcnt vmcnt(7)
	v_cvt_f32_fp8_sdwa v27, v27 src0_sel:BYTE_0
	s_waitcnt vmcnt(6)
	v_cvt_f32_fp8_sdwa v36, v36 src0_sel:BYTE_0
	s_waitcnt vmcnt(5)
	v_cvt_f32_fp8_sdwa v37, v37 src0_sel:BYTE_0
	s_waitcnt vmcnt(4)
	v_cvt_f32_fp8_sdwa v38, v38 src0_sel:BYTE_0
	s_waitcnt vmcnt(3)
	v_cvt_f32_fp8_sdwa v39, v39 src0_sel:BYTE_0
	s_waitcnt lgkmcnt(0)
	v_mul_f32_e32 v36, s6, v36
	s_waitcnt vmcnt(2)
	v_cvt_f32_fp8_sdwa v40, v40 src0_sel:BYTE_0
	v_mul_f32_e32 v27, s6, v27
	v_mul_f32_e32 v29, v29, v36
	s_waitcnt vmcnt(1)
	v_cvt_f32_fp8_sdwa v41, v41 src0_sel:BYTE_0
	v_mul_f32_e32 v37, s6, v37
	v_fmac_f32_e32 v29, v28, v27
	s_waitcnt vmcnt(0)
	v_cvt_f32_fp8_sdwa v42, v42 src0_sel:BYTE_0
	v_mul_f32_e32 v38, s6, v38
	v_fmac_f32_e32 v29, v30, v37
	v_mul_f32_e32 v39, s6, v39
	v_fmac_f32_e32 v29, v31, v38
	;; [unrolled: 2-line block ×5, first 2 shown]
	v_fmac_f32_e32 v29, v35, v42
	ds_bpermute_b32 v27, v43, v29
	v_cmp_lt_i32_e64 s[6:7], v24, v22
	s_waitcnt lgkmcnt(0)
	v_add_f32_e32 v27, v29, v27
	v_cndmask_b32_e64 v28, v19, v24, s[6:7]
	v_lshlrev_b32_e32 v28, 2, v28
	ds_bpermute_b32 v28, v28, v27
	v_cmp_lt_i32_e64 s[6:7], v25, v22
	s_waitcnt lgkmcnt(0)
	v_add_f32_e32 v27, v27, v28
	v_cndmask_b32_e64 v29, v19, v25, s[6:7]
	v_lshlrev_b32_e32 v29, 2, v29
	ds_bpermute_b32 v28, v29, v27
	s_and_saveexec_b64 s[42:43], vcc
	s_cbranch_execz .LBB165_11
; %bb.17:                               ;   in Loop: Header=BB165_13 Depth=1
	v_add_u32_e32 v29, v17, v15
	v_cvt_f32_i32_e32 v29, v29
	s_waitcnt lgkmcnt(0)
	v_add_f32_e32 v27, v27, v28
	v_add_u32_e32 v30, v11, v15
	v_cmp_gt_i32_e64 s[6:7], s25, v30
	v_mul_f32_e32 v28, s46, v29
	v_cndmask_b32_e64 v28, 0, v28, s[0:1]
	v_fmac_f32_e32 v28, s39, v27
	v_cndmask_b32_e64 v27, 0, v28, s[6:7]
	ds_write_b32 v16, v27
	v_max_f32_e32 v27, v13, v13
	v_max_f32_e32 v27, v27, v28
	v_cndmask_b32_e64 v13, v13, v27, s[6:7]
	s_branch .LBB165_11
.LBB165_18:
	s_or_b64 exec, exec, s[40:41]
.LBB165_19:
	s_or_b64 exec, exec, s[18:19]
	v_mbcnt_hi_u32_b32 v2, -1, v9
	v_and_b32_e32 v3, 64, v2
	v_add_u32_e32 v3, 64, v3
	v_xor_b32_e32 v4, 32, v2
	v_cmp_lt_i32_e32 vcc, v4, v3
	v_xor_b32_e32 v7, 16, v2
	v_max_f32_e32 v6, v13, v13
	v_cndmask_b32_e32 v4, v2, v4, vcc
	v_lshlrev_b32_e32 v5, 2, v4
	ds_bpermute_b32 v4, v5, v13
	v_cmp_lt_i32_e32 vcc, v7, v3
	v_xor_b32_e32 v9, 8, v2
	v_and_b32_e32 v22, 63, v0
	s_waitcnt lgkmcnt(0)
	v_max_f32_e32 v4, v4, v4
	v_max_f32_e32 v4, v6, v4
	v_cndmask_b32_e32 v6, v2, v7, vcc
	v_lshlrev_b32_e32 v7, 2, v6
	ds_bpermute_b32 v6, v7, v4
	v_cmp_lt_i32_e32 vcc, v9, v3
	s_waitcnt lgkmcnt(0)
	v_max_f32_e32 v6, v6, v6
	v_max_f32_e32 v6, v4, v6
	v_cndmask_b32_e32 v4, v2, v9, vcc
	v_lshlrev_b32_e32 v9, 2, v4
	ds_bpermute_b32 v11, v9, v6
	v_cmp_eq_u32_e32 vcc, 0, v22
	v_lshlrev_b32_e32 v4, 2, v20
	s_and_saveexec_b64 s[0:1], vcc
	s_cbranch_execz .LBB165_21
; %bb.20:
	s_waitcnt lgkmcnt(0)
	v_max_f32_e32 v11, v11, v11
	v_max_f32_e32 v6, v6, v6
	;; [unrolled: 1-line block ×3, first 2 shown]
	ds_write_b32 v4, v6 offset:256
.LBB165_21:
	s_or_b64 exec, exec, s[0:1]
	v_cmp_gt_u32_e64 s[0:1], 2, v22
	s_waitcnt lgkmcnt(0)
	v_mov_b32_e32 v11, 0xff7fffff
	v_lshlrev_b32_e32 v6, 2, v22
	s_barrier
	s_and_saveexec_b64 s[6:7], s[0:1]
	s_cbranch_execz .LBB165_23
; %bb.22:
	ds_read_b32 v11, v6 offset:256
.LBB165_23:
	s_or_b64 exec, exec, s[6:7]
	v_xor_b32_e32 v12, 1, v2
	v_cmp_lt_i32_e64 s[6:7], v12, v3
	v_lshlrev_b32_e32 v13, 2, v2
	s_nop 0
	v_cndmask_b32_e64 v12, v2, v12, s[6:7]
	v_lshlrev_b32_e32 v23, 2, v12
	s_waitcnt lgkmcnt(0)
	ds_bpermute_b32 v12, v23, v11
	v_max_f32_e32 v11, v11, v11
	s_lshl_b32 s6, s44, 3
	s_min_i32 s39, s6, s25
	v_cmp_gt_i32_e64 s[6:7], s39, v0
	s_waitcnt lgkmcnt(0)
	v_max_f32_e32 v12, v12, v12
	v_max_f32_e32 v12, v11, v12
	v_and_b32_e32 v11, 0x100, v13
	ds_bpermute_b32 v13, v11, v12
	v_mov_b32_e32 v12, 0
	s_and_saveexec_b64 s[12:13], s[6:7]
	s_cbranch_execz .LBB165_27
; %bb.24:
	v_mov_b32_e32 v12, 0x110
	v_lshl_add_u32 v14, v0, 2, v12
	s_mov_b64 s[18:19], 0
	v_mov_b32_e32 v12, 0
	v_mov_b32_e32 v15, v0
.LBB165_25:                             ; =>This Inner Loop Header: Depth=1
	ds_read_b32 v16, v14
	v_add_u32_e32 v15, 0x80, v15
	v_cmp_le_i32_e64 s[10:11], s39, v15
	s_or_b64 s[18:19], s[10:11], s[18:19]
	s_waitcnt lgkmcnt(0)
	v_sub_f32_e32 v16, v16, v13
	v_mul_f32_e32 v16, 0x3fb8aa3b, v16
	v_exp_f32_e32 v16, v16
	ds_write_b32 v14, v16
	v_add_f32_e32 v12, v12, v16
	v_add_u32_e32 v14, 0x200, v14
	s_andn2_b64 exec, exec, s[18:19]
	s_cbranch_execnz .LBB165_25
; %bb.26:
	s_or_b64 exec, exec, s[18:19]
.LBB165_27:
	s_or_b64 exec, exec, s[12:13]
	ds_bpermute_b32 v5, v5, v12
	s_waitcnt lgkmcnt(0)
	v_add_f32_e32 v5, v12, v5
	ds_bpermute_b32 v7, v7, v5
	s_waitcnt lgkmcnt(0)
	v_add_f32_e32 v5, v5, v7
	ds_bpermute_b32 v7, v9, v5
	v_xor_b32_e32 v9, 4, v2
	v_cmp_lt_i32_e64 s[10:11], v9, v3
	s_waitcnt lgkmcnt(0)
	v_add_f32_e32 v5, v5, v7
	v_cndmask_b32_e64 v9, v2, v9, s[10:11]
	v_lshlrev_b32_e32 v9, 2, v9
	ds_bpermute_b32 v7, v9, v5
	v_xor_b32_e32 v9, 2, v2
	v_cmp_lt_i32_e64 s[10:11], v9, v3
	s_waitcnt lgkmcnt(0)
	v_add_f32_e32 v3, v5, v7
	v_cndmask_b32_e64 v2, v2, v9, s[10:11]
	v_lshlrev_b32_e32 v2, 2, v2
	ds_bpermute_b32 v2, v2, v3
	s_waitcnt lgkmcnt(0)
	v_add_f32_e32 v2, v3, v2
	ds_bpermute_b32 v3, v23, v2
	s_waitcnt lgkmcnt(0)
	v_add_f32_e32 v2, v2, v3
	s_and_saveexec_b64 s[10:11], vcc
	s_cbranch_execz .LBB165_29
; %bb.28:
	ds_write_b32 v4, v2 offset:264
.LBB165_29:
	s_or_b64 exec, exec, s[10:11]
	s_waitcnt lgkmcnt(0)
	s_barrier
	s_and_saveexec_b64 s[10:11], s[0:1]
	s_cbranch_execz .LBB165_31
; %bb.30:
	ds_read_b32 v2, v6 offset:264
.LBB165_31:
	s_or_b64 exec, exec, s[10:11]
	s_waitcnt lgkmcnt(0)
	ds_bpermute_b32 v3, v23, v2
	s_waitcnt lgkmcnt(0)
	v_add_f32_e32 v2, v2, v3
	ds_bpermute_b32 v2, v11, v2
	s_and_saveexec_b64 s[0:1], s[6:7]
	s_cbranch_execz .LBB165_44
; %bb.32:
	s_waitcnt lgkmcnt(0)
	v_add_f32_e32 v2, 0x358637bd, v2
	v_div_scale_f32 v3, s[6:7], v2, v2, 1.0
	v_rcp_f32_e32 v4, v3
	v_div_scale_f32 v5, vcc, 1.0, v2, 1.0
	s_movk_i32 s6, 0x7f
	v_fma_f32 v6, -v3, v4, 1.0
	v_fmac_f32_e32 v4, v6, v4
	v_mul_f32_e32 v6, v5, v4
	v_fma_f32 v7, -v3, v6, v5
	v_fmac_f32_e32 v6, v7, v4
	v_fma_f32 v3, -v3, v6, v5
	v_div_fmas_f32 v3, v3, v4, v6
	v_xad_u32 v4, v0, -1, s39
	v_div_fixup_f32 v2, v3, v2, 1.0
	v_cmp_lt_u32_e32 vcc, s6, v4
	s_mov_b64 s[10:11], -1
	v_mov_b32_e32 v3, v0
	s_and_saveexec_b64 s[6:7], vcc
	s_cbranch_execz .LBB165_41
; %bb.33:
	v_lshrrev_b32_e32 v4, 7, v4
	v_add_u32_e32 v6, -1, v4
	v_lshrrev_b32_e32 v5, 1, v6
	v_mov_b32_e32 v3, v2
	v_add_u32_e32 v5, 1, v5
	v_cmp_lt_u32_e32 vcc, 13, v6
	v_mov_b32_e32 v9, 0
	s_and_saveexec_b64 s[10:11], vcc
	s_cbranch_execz .LBB165_37
; %bb.34:
	v_mov_b32_e32 v7, 0x110
	v_and_b32_e32 v6, -8, v5
	v_lshl_add_u32 v7, v0, 2, v7
	s_mov_b32 s18, 0
	s_mov_b64 s[12:13], 0
.LBB165_35:                             ; =>This Inner Loop Header: Depth=1
	ds_read2st64_b32 v[12:13], v7 offset1:2
	ds_read2st64_b32 v[14:15], v7 offset0:4 offset1:6
	ds_read2st64_b32 v[16:17], v7 offset0:8 offset1:10
	;; [unrolled: 1-line block ×3, first 2 shown]
	v_add_u32_e32 v6, -8, v6
	s_waitcnt lgkmcnt(3)
	v_pk_mul_f32 v[12:13], v[2:3], v[12:13]
	s_waitcnt lgkmcnt(2)
	v_pk_mul_f32 v[14:15], v[2:3], v[14:15]
	ds_write2st64_b32 v7, v12, v13 offset1:2
	ds_write2st64_b32 v7, v14, v15 offset0:4 offset1:6
	ds_read2st64_b32 v[14:15], v7 offset0:16 offset1:18
	s_waitcnt lgkmcnt(4)
	v_pk_mul_f32 v[12:13], v[2:3], v[16:17]
	ds_write2st64_b32 v7, v12, v13 offset0:8 offset1:10
	s_waitcnt lgkmcnt(4)
	v_pk_mul_f32 v[12:13], v[2:3], v[18:19]
	ds_write2st64_b32 v7, v12, v13 offset0:12 offset1:14
	ds_read2st64_b32 v[12:13], v7 offset0:20 offset1:22
	s_waitcnt lgkmcnt(3)
	v_pk_mul_f32 v[14:15], v[2:3], v[14:15]
	ds_read2st64_b32 v[16:17], v7 offset0:24 offset1:26
	ds_write2st64_b32 v7, v14, v15 offset0:16 offset1:18
	ds_read2st64_b32 v[14:15], v7 offset0:28 offset1:30
	s_waitcnt lgkmcnt(3)
	v_pk_mul_f32 v[12:13], v[2:3], v[12:13]
	ds_write2st64_b32 v7, v12, v13 offset0:20 offset1:22
	s_waitcnt lgkmcnt(3)
	v_pk_mul_f32 v[12:13], v[2:3], v[16:17]
	ds_write2st64_b32 v7, v12, v13 offset0:24 offset1:26
	s_waitcnt lgkmcnt(2)
	v_pk_mul_f32 v[12:13], v[2:3], v[14:15]
	s_add_i32 s18, s18, 16
	v_cmp_eq_u32_e32 vcc, 0, v6
	ds_write2st64_b32 v7, v12, v13 offset0:28 offset1:30
	v_add_u32_e32 v7, 0x2000, v7
	s_or_b64 s[12:13], vcc, s[12:13]
	v_mov_b32_e32 v9, s18
	s_andn2_b64 exec, exec, s[12:13]
	s_cbranch_execnz .LBB165_35
; %bb.36:
	s_or_b64 exec, exec, s[12:13]
.LBB165_37:
	s_or_b64 exec, exec, s[10:11]
	v_and_b32_e32 v5, 7, v5
	v_cmp_ne_u32_e32 vcc, 0, v5
	s_and_saveexec_b64 s[10:11], vcc
	s_cbranch_execz .LBB165_40
; %bb.38:
	v_lshlrev_b32_e32 v6, 9, v9
	s_movk_i32 s12, 0x110
	v_add3_u32 v6, v6, v8, s12
	s_mov_b64 s[12:13], 0
.LBB165_39:                             ; =>This Inner Loop Header: Depth=1
	ds_read2st64_b32 v[12:13], v6 offset1:2
	v_add_u32_e32 v5, -1, v5
	v_cmp_eq_u32_e32 vcc, 0, v5
	s_or_b64 s[12:13], vcc, s[12:13]
	s_waitcnt lgkmcnt(0)
	v_pk_mul_f32 v[12:13], v[2:3], v[12:13]
	ds_write2st64_b32 v6, v12, v13 offset1:2
	v_add_u32_e32 v6, 0x400, v6
	s_andn2_b64 exec, exec, s[12:13]
	s_cbranch_execnz .LBB165_39
.LBB165_40:
	s_or_b64 exec, exec, s[10:11]
	v_add_u32_e32 v4, 1, v4
	v_and_b32_e32 v5, 0x3fffffe, v4
	v_cmp_ne_u32_e32 vcc, v4, v5
	v_lshl_add_u32 v3, v5, 7, v0
	s_orn2_b64 s[10:11], vcc, exec
.LBB165_41:
	s_or_b64 exec, exec, s[6:7]
	s_and_b64 exec, exec, s[10:11]
	s_cbranch_execz .LBB165_44
; %bb.42:
	v_mov_b32_e32 v4, 0x110
	v_lshl_add_u32 v4, v3, 2, v4
	s_mov_b64 s[6:7], 0
.LBB165_43:                             ; =>This Inner Loop Header: Depth=1
	ds_read_b32 v5, v4
	v_add_u32_e32 v3, 0x80, v3
	v_cmp_le_i32_e32 vcc, s39, v3
	s_or_b64 s[6:7], vcc, s[6:7]
	s_waitcnt lgkmcnt(0)
	v_mul_f32_e32 v5, v2, v5
	ds_write_b32 v4, v5
	v_add_u32_e32 v4, 0x200, v4
	s_andn2_b64 exec, exec, s[6:7]
	s_cbranch_execnz .LBB165_43
.LBB165_44:
	s_or_b64 exec, exec, s[0:1]
	v_mov_b32_e32 v7, 0
	v_and_b32_e32 v24, 1, v0
	v_mov_b32_e32 v6, 0
	s_waitcnt lgkmcnt(0)
	s_barrier
	s_and_saveexec_b64 s[6:7], s[2:3]
	s_cbranch_execz .LBB165_54
; %bb.45:
	s_sub_i32 s18, s16, s21
	s_ashr_i32 s1, s45, 31
	s_add_u32 s0, s36, s45
	s_addc_u32 s1, s37, s1
	s_abs_i32 s19, s22
	v_cvt_f32_u32_e32 v2, s19
	s_sub_i32 s2, 0, s19
	v_and_b32_e32 v6, 0xfc, v8
	v_mov_b32_e32 v7, 0
	v_rcp_iflag_f32_e32 v2, v2
	v_and_b32_e32 v25, 4, v8
	s_add_i32 s22, s44, -1
	v_lshl_add_u64 v[8:9], s[0:1], 0, v[6:7]
	v_mul_f32_e32 v2, 0x4f7ffffe, v2
	v_cvt_u32_f32_e32 v2, v2
	s_lshl_b64 s[0:1], s[34:35], 2
	s_add_u32 s0, s30, s0
	v_and_b32_e32 v6, 60, v10
	v_mul_lo_u32 v3, s2, v2
	v_mul_hi_u32 v3, v2, v3
	v_add_u32_e32 v26, v2, v3
	v_lshlrev_b32_e32 v2, 4, v24
	s_addc_u32 s1, s31, s1
	v_lshl_or_b32 v2, v20, 5, v2
	s_mov_b32 s21, s17
	v_lshl_add_u64 v[10:11], s[0:1], 0, v[6:7]
	v_add_u32_e32 v27, 0x110, v2
	s_mov_b64 s[2:3], 0
	v_mov_b32_e32 v6, v7
	s_branch .LBB165_48
.LBB165_46:                             ;   in Loop: Header=BB165_48 Depth=1
	s_or_b64 exec, exec, s[0:1]
	v_mul_f32_e32 v15, v3, v15
	v_mul_f32_e32 v3, v3, v19
	v_fmac_f32_e32 v15, v2, v14
	v_fmac_f32_e32 v3, v2, v18
	;; [unrolled: 1-line block ×6, first 2 shown]
	v_add_f32_e32 v6, v6, v15
	v_add_f32_e32 v7, v7, v3
.LBB165_47:                             ;   in Loop: Header=BB165_48 Depth=1
	s_or_b64 exec, exec, s[10:11]
	v_add_u32_e32 v20, 2, v20
	v_cmp_le_i32_e32 vcc, s44, v20
	v_lshl_add_u64 v[10:11], v[10:11], 0, 8
	v_add_u32_e32 v21, 16, v21
	s_or_b64 s[2:3], vcc, s[2:3]
	v_add_u32_e32 v27, 64, v27
	s_andn2_b64 exec, exec, s[2:3]
	s_cbranch_execz .LBB165_53
.LBB165_48:                             ; =>This Inner Loop Header: Depth=1
	v_mul_hi_u32 v2, v21, s33
	v_mul_lo_u32 v3, v2, s27
	v_sub_u32_e32 v3, v21, v3
	v_add_u32_e32 v4, 1, v2
	v_cmp_le_u32_e32 vcc, s27, v3
	s_nop 1
	v_cndmask_b32_e32 v2, v2, v4, vcc
	v_subrev_u32_e32 v4, s27, v3
	v_cndmask_b32_e32 v3, v3, v4, vcc
	v_add_u32_e32 v4, 1, v2
	v_cmp_le_u32_e32 vcc, s27, v3
	s_nop 1
	v_cndmask_b32_e32 v2, v2, v4, vcc
	v_xor_b32_e32 v2, s23, v2
	v_subrev_u32_e32 v2, s23, v2
	v_add_u32_e32 v3, s38, v2
	v_sub_u32_e32 v5, 0, v3
	v_ashrrev_i32_e32 v4, 31, v3
	v_max_i32_e32 v3, v3, v5
	v_mul_hi_u32 v5, v3, v26
	v_mul_lo_u32 v5, v5, s19
	v_sub_u32_e32 v3, v3, v5
	v_subrev_u32_e32 v5, s19, v3
	v_cmp_le_u32_e32 vcc, s19, v3
	v_cmp_lt_i32_e64 s[0:1], s18, v2
	s_nop 0
	v_cndmask_b32_e32 v3, v3, v5, vcc
	v_subrev_u32_e32 v5, s19, v3
	v_cmp_le_u32_e32 vcc, s19, v3
	s_nop 1
	v_cndmask_b32_e32 v3, v3, v5, vcc
	v_xor_b32_e32 v3, v3, v4
	v_sub_u32_e32 v3, v3, v4
	v_cmp_eq_u32_e32 vcc, 0, v3
	s_or_b64 s[0:1], vcc, s[0:1]
	s_and_saveexec_b64 s[10:11], s[0:1]
	s_cbranch_execz .LBB165_47
; %bb.49:                               ;   in Loop: Header=BB165_48 Depth=1
	global_load_dword v2, v[10:11], off
	s_load_dword s12, s[14:15], 0x0
	v_add_u32_e32 v28, v25, v21
	v_cmp_eq_u32_e32 vcc, s22, v20
	v_add_u32_e32 v30, 1, v28
	v_add_u32_e32 v29, 2, v28
	;; [unrolled: 1-line block ×3, first 2 shown]
	s_waitcnt vmcnt(0)
	v_mad_i64_i32 v[16:17], s[0:1], v2, s21, v[8:9]
	global_load_dword v12, v[16:17], off
	ds_read_b128 v[2:5], v27
	s_waitcnt vmcnt(0)
	v_and_b32_e32 v13, 0xffff, v12
	v_lshrrev_b32_e32 v14, 16, v12
	v_cvt_pk_f32_fp8_e32 v[12:13], v13
	v_cvt_pk_f32_fp8_e32 v[18:19], v14
	s_waitcnt lgkmcnt(0)
	v_pk_mul_f32 v[14:15], s[12:13], v[12:13] op_sel_hi:[0,1]
	v_pk_mul_f32 v[12:13], s[12:13], v[18:19] op_sel_hi:[0,1]
	s_and_saveexec_b64 s[16:17], vcc
; %bb.50:                               ;   in Loop: Header=BB165_48 Depth=1
	v_cmp_gt_i32_e64 s[0:1], s25, v28
	s_nop 1
	v_cndmask_b32_e64 v14, 0, v14, s[0:1]
	v_cmp_gt_i32_e64 s[0:1], s25, v30
	s_nop 1
	v_cndmask_b32_e64 v15, 0, v15, s[0:1]
	;; [unrolled: 3-line block ×4, first 2 shown]
; %bb.51:                               ;   in Loop: Header=BB165_48 Depth=1
	s_or_b64 exec, exec, s[16:17]
	global_load_dword v16, v[16:17], off offset:256
	s_mov_b32 s13, s12
	s_waitcnt vmcnt(0)
	v_and_b32_e32 v17, 0xffff, v16
	v_lshrrev_b32_e32 v18, 16, v16
	v_cvt_pk_f32_fp8_e32 v[16:17], v17
	v_cvt_pk_f32_fp8_e32 v[32:33], v18
	v_pk_mul_f32 v[18:19], s[12:13], v[16:17]
	v_pk_mul_f32 v[16:17], s[12:13], v[32:33]
	s_and_saveexec_b64 s[0:1], vcc
	s_cbranch_execz .LBB165_46
; %bb.52:                               ;   in Loop: Header=BB165_48 Depth=1
	v_cmp_gt_i32_e32 vcc, s25, v28
	s_nop 1
	v_cndmask_b32_e32 v18, 0, v18, vcc
	v_cmp_gt_i32_e32 vcc, s25, v30
	s_nop 1
	v_cndmask_b32_e32 v19, 0, v19, vcc
	;; [unrolled: 3-line block ×4, first 2 shown]
	s_branch .LBB165_46
.LBB165_53:
	s_or_b64 exec, exec, s[2:3]
.LBB165_54:
	s_or_b64 exec, exec, s[6:7]
	ds_bpermute_b32 v2, v23, v6
	ds_bpermute_b32 v3, v23, v7
	v_and_b32_e32 v4, 0x3c1, v0
	v_cmp_eq_u32_e32 vcc, 64, v4
	s_waitcnt lgkmcnt(0)
	s_barrier
	v_pk_add_f32 v[2:3], v[6:7], v[2:3]
	s_and_saveexec_b64 s[0:1], vcc
	s_cbranch_execz .LBB165_56
; %bb.55:
	v_mov_b32_e32 v5, 0x110
	v_lshl_add_u32 v5, v22, 1, v5
	ds_write2_b32 v5, v2, v3 offset1:32
.LBB165_56:
	s_or_b64 exec, exec, s[0:1]
	s_waitcnt lgkmcnt(0)
	s_barrier
	s_and_saveexec_b64 s[0:1], s[8:9]
	s_cbranch_execz .LBB165_62
; %bb.57:
	v_cmp_eq_u32_e32 vcc, 0, v24
	s_and_saveexec_b64 s[2:3], vcc
	s_cbranch_execz .LBB165_59
; %bb.58:
	v_mov_b32_e32 v5, 0x110
	v_lshl_add_u32 v5, v1, 2, v5
	ds_read_b32 v5, v5
	s_waitcnt lgkmcnt(0)
	v_add_f32_e32 v2, v2, v5
.LBB165_59:
	s_or_b64 exec, exec, s[2:3]
	s_and_saveexec_b64 s[2:3], vcc
	s_cbranch_execz .LBB165_61
; %bb.60:
	v_mov_b32_e32 v5, 0x110
	v_lshl_add_u32 v1, v1, 2, v5
	ds_read_b32 v1, v1 offset:128
	s_waitcnt lgkmcnt(0)
	v_add_f32_e32 v3, v3, v1
.LBB165_61:
	s_or_b64 exec, exec, s[2:3]
.LBB165_62:
	s_or_b64 exec, exec, s[0:1]
	v_cmp_eq_u32_e32 vcc, 0, v4
	s_barrier
	s_and_saveexec_b64 s[0:1], vcc
	s_cbranch_execz .LBB165_64
; %bb.63:
	s_mul_i32 s0, s24, s20
	s_mul_i32 s0, s0, s5
	s_lshl_b32 s0, s0, 6
	s_ashr_i32 s1, s0, 31
	s_lshl_b64 s[0:1], s[0:1], 2
	s_add_u32 s2, s28, s0
	s_mul_i32 s0, s20, s26
	s_addc_u32 s3, s29, s1
	s_ashr_i32 s1, s0, 31
	s_lshl_b64 s[0:1], s[0:1], 2
	s_add_u32 s2, s2, s0
	s_addc_u32 s3, s3, s1
	s_lshl_b32 s0, s4, 6
	s_ashr_i32 s1, s0, 31
	s_lshl_b64 s[0:1], s[0:1], 2
	s_add_u32 s0, s2, s0
	s_addc_u32 s1, s3, s1
	v_lshlrev_b32_e32 v0, 1, v0
	global_store_dword v0, v2, s[0:1]
	global_store_dword v0, v3, s[0:1] offset:128
.LBB165_64:
	s_endpgm
	.section	.rodata,"a",@progbits
	.p2align	6, 0x0
	.amdhsa_kernel _ZN4vllm25paged_attention_v1_kernelIfhLi64ELi8ELi128ELNS_18Fp8KVCacheDataTypeE1ELb1EEEvPT_PKS2_PKT0_S8_ifPKiSA_iPKfiiiSC_SC_iiiii
		.amdhsa_group_segment_fixed_size 272
		.amdhsa_private_segment_fixed_size 0
		.amdhsa_kernarg_size 384
		.amdhsa_user_sgpr_count 2
		.amdhsa_user_sgpr_dispatch_ptr 0
		.amdhsa_user_sgpr_queue_ptr 0
		.amdhsa_user_sgpr_kernarg_segment_ptr 1
		.amdhsa_user_sgpr_dispatch_id 0
		.amdhsa_user_sgpr_kernarg_preload_length 0
		.amdhsa_user_sgpr_kernarg_preload_offset 0
		.amdhsa_user_sgpr_private_segment_size 0
		.amdhsa_uses_dynamic_stack 0
		.amdhsa_enable_private_segment 0
		.amdhsa_system_sgpr_workgroup_id_x 1
		.amdhsa_system_sgpr_workgroup_id_y 1
		.amdhsa_system_sgpr_workgroup_id_z 1
		.amdhsa_system_sgpr_workgroup_info 0
		.amdhsa_system_vgpr_workitem_id 0
		.amdhsa_next_free_vgpr 44
		.amdhsa_next_free_sgpr 50
		.amdhsa_accum_offset 44
		.amdhsa_reserve_vcc 1
		.amdhsa_float_round_mode_32 0
		.amdhsa_float_round_mode_16_64 0
		.amdhsa_float_denorm_mode_32 3
		.amdhsa_float_denorm_mode_16_64 3
		.amdhsa_dx10_clamp 1
		.amdhsa_ieee_mode 1
		.amdhsa_fp16_overflow 0
		.amdhsa_tg_split 0
		.amdhsa_exception_fp_ieee_invalid_op 0
		.amdhsa_exception_fp_denorm_src 0
		.amdhsa_exception_fp_ieee_div_zero 0
		.amdhsa_exception_fp_ieee_overflow 0
		.amdhsa_exception_fp_ieee_underflow 0
		.amdhsa_exception_fp_ieee_inexact 0
		.amdhsa_exception_int_div_zero 0
	.end_amdhsa_kernel
	.section	.text._ZN4vllm25paged_attention_v1_kernelIfhLi64ELi8ELi128ELNS_18Fp8KVCacheDataTypeE1ELb1EEEvPT_PKS2_PKT0_S8_ifPKiSA_iPKfiiiSC_SC_iiiii,"axG",@progbits,_ZN4vllm25paged_attention_v1_kernelIfhLi64ELi8ELi128ELNS_18Fp8KVCacheDataTypeE1ELb1EEEvPT_PKS2_PKT0_S8_ifPKiSA_iPKfiiiSC_SC_iiiii,comdat
.Lfunc_end165:
	.size	_ZN4vllm25paged_attention_v1_kernelIfhLi64ELi8ELi128ELNS_18Fp8KVCacheDataTypeE1ELb1EEEvPT_PKS2_PKT0_S8_ifPKiSA_iPKfiiiSC_SC_iiiii, .Lfunc_end165-_ZN4vllm25paged_attention_v1_kernelIfhLi64ELi8ELi128ELNS_18Fp8KVCacheDataTypeE1ELb1EEEvPT_PKS2_PKT0_S8_ifPKiSA_iPKfiiiSC_SC_iiiii
                                        ; -- End function
	.section	.AMDGPU.csdata,"",@progbits
; Kernel info:
; codeLenInByte = 4160
; NumSgprs: 56
; NumVgprs: 44
; NumAgprs: 0
; TotalNumVgprs: 44
; ScratchSize: 0
; MemoryBound: 0
; FloatMode: 240
; IeeeMode: 1
; LDSByteSize: 272 bytes/workgroup (compile time only)
; SGPRBlocks: 6
; VGPRBlocks: 5
; NumSGPRsForWavesPerEU: 56
; NumVGPRsForWavesPerEU: 44
; AccumOffset: 44
; Occupancy: 8
; WaveLimiterHint : 1
; COMPUTE_PGM_RSRC2:SCRATCH_EN: 0
; COMPUTE_PGM_RSRC2:USER_SGPR: 2
; COMPUTE_PGM_RSRC2:TRAP_HANDLER: 0
; COMPUTE_PGM_RSRC2:TGID_X_EN: 1
; COMPUTE_PGM_RSRC2:TGID_Y_EN: 1
; COMPUTE_PGM_RSRC2:TGID_Z_EN: 1
; COMPUTE_PGM_RSRC2:TIDIG_COMP_CNT: 0
; COMPUTE_PGM_RSRC3_GFX90A:ACCUM_OFFSET: 10
; COMPUTE_PGM_RSRC3_GFX90A:TG_SPLIT: 0
	.section	.text._ZN4vllm25paged_attention_v1_kernelIfhLi80ELi8ELi128ELNS_18Fp8KVCacheDataTypeE1ELb1EEEvPT_PKS2_PKT0_S8_ifPKiSA_iPKfiiiSC_SC_iiiii,"axG",@progbits,_ZN4vllm25paged_attention_v1_kernelIfhLi80ELi8ELi128ELNS_18Fp8KVCacheDataTypeE1ELb1EEEvPT_PKS2_PKT0_S8_ifPKiSA_iPKfiiiSC_SC_iiiii,comdat
	.protected	_ZN4vllm25paged_attention_v1_kernelIfhLi80ELi8ELi128ELNS_18Fp8KVCacheDataTypeE1ELb1EEEvPT_PKS2_PKT0_S8_ifPKiSA_iPKfiiiSC_SC_iiiii ; -- Begin function _ZN4vllm25paged_attention_v1_kernelIfhLi80ELi8ELi128ELNS_18Fp8KVCacheDataTypeE1ELb1EEEvPT_PKS2_PKT0_S8_ifPKiSA_iPKfiiiSC_SC_iiiii
	.globl	_ZN4vllm25paged_attention_v1_kernelIfhLi80ELi8ELi128ELNS_18Fp8KVCacheDataTypeE1ELb1EEEvPT_PKS2_PKT0_S8_ifPKiSA_iPKfiiiSC_SC_iiiii
	.p2align	8
	.type	_ZN4vllm25paged_attention_v1_kernelIfhLi80ELi8ELi128ELNS_18Fp8KVCacheDataTypeE1ELb1EEEvPT_PKS2_PKT0_S8_ifPKiSA_iPKfiiiSC_SC_iiiii,@function
_ZN4vllm25paged_attention_v1_kernelIfhLi80ELi8ELi128ELNS_18Fp8KVCacheDataTypeE1ELb1EEEvPT_PKS2_PKT0_S8_ifPKiSA_iPKfiiiSC_SC_iiiii: ; @_ZN4vllm25paged_attention_v1_kernelIfhLi80ELi8ELi128ELNS_18Fp8KVCacheDataTypeE1ELb1EEEvPT_PKS2_PKT0_S8_ifPKiSA_iPKfiiiSC_SC_iiiii
; %bb.0:
	s_load_dword s5, s[0:1], 0x80
	s_load_dwordx2 s[6:7], s[0:1], 0x30
	s_load_dwordx2 s[36:37], s[0:1], 0x20
	s_mov_b32 s10, s3
	s_ashr_i32 s11, s3, 31
	s_lshl_b64 s[8:9], s[10:11], 2
	s_waitcnt lgkmcnt(0)
	s_add_u32 s6, s6, s8
	s_addc_u32 s7, s7, s9
	s_abs_i32 s3, s36
	v_cvt_f32_u32_e32 v1, s3
	s_sub_i32 s11, 0, s3
	s_abs_i32 s9, s5
	s_xor_b32 s8, s5, s36
	v_rcp_iflag_f32_e32 v1, v1
	s_ashr_i32 s8, s8, 31
	s_mov_b32 s44, 0
	v_mul_f32_e32 v1, 0x4f7ffffe, v1
	v_cvt_u32_f32_e32 v1, v1
	s_nop 0
	v_readfirstlane_b32 s12, v1
	s_mul_i32 s11, s11, s12
	s_mul_hi_u32 s11, s12, s11
	s_add_i32 s12, s12, s11
	s_mul_hi_u32 s11, s9, s12
	s_mul_i32 s12, s11, s3
	s_sub_i32 s9, s9, s12
	s_add_i32 s12, s11, 1
	s_sub_i32 s13, s9, s3
	s_cmp_ge_u32 s9, s3
	s_cselect_b32 s11, s12, s11
	s_cselect_b32 s9, s13, s9
	s_add_i32 s12, s11, 1
	s_cmp_ge_u32 s9, s3
	s_cselect_b32 s3, s12, s11
	s_xor_b32 s3, s3, s8
	s_sub_i32 s14, s3, s8
	s_abs_i32 s11, s14
	v_cvt_f32_u32_e32 v1, s11
	s_load_dwordx2 s[8:9], s[0:1], 0x40
	s_sub_i32 s3, 0, s11
	s_abs_i32 s12, s2
	v_rcp_iflag_f32_e32 v1, v1
	s_nop 0
	v_mul_f32_e32 v1, 0x4f7ffffe, v1
	v_cvt_u32_f32_e32 v1, v1
	s_nop 0
	v_readfirstlane_b32 s13, v1
	s_mul_i32 s3, s3, s13
	s_mul_hi_u32 s3, s13, s3
	s_add_i32 s13, s13, s3
	s_waitcnt lgkmcnt(0)
	s_cmp_eq_u64 s[8:9], 0
	s_mul_hi_u32 s13, s12, s13
	s_cbranch_scc1 .LBB166_2
; %bb.1:
	s_ashr_i32 s3, s2, 31
	s_lshl_b64 s[16:17], s[2:3], 2
	s_add_u32 s8, s8, s16
	s_addc_u32 s9, s9, s17
	s_load_dword s44, s[8:9], 0x0
.LBB166_2:
	s_load_dword s33, s[6:7], 0x0
	s_load_dwordx4 s[16:19], s[0:1], 0x48
	s_movk_i32 s6, 0x50
	s_ashr_i32 s3, s2, 31
	s_ashr_i32 s9, s14, 31
	v_and_b32_e32 v2, 7, v0
	s_mul_i32 s24, s2, 0x50
	v_cmp_gt_u32_e32 vcc, s6, v0
	v_lshlrev_b32_e32 v10, 2, v0
	v_lshrrev_b32_e32 v1, 1, v0
	s_and_saveexec_b64 s[6:7], vcc
	s_cbranch_execz .LBB166_4
; %bb.3:
	s_load_dwordx2 s[14:15], s[0:1], 0x8
	s_waitcnt lgkmcnt(0)
	s_mul_i32 s20, s10, s16
	s_ashr_i32 s21, s20, 31
	s_lshl_b64 s[20:21], s[20:21], 2
	v_and_b32_e32 v4, 0x1fc, v1
	s_add_u32 s8, s14, s20
	s_addc_u32 s16, s15, s21
	s_ashr_i32 s25, s24, 31
	s_lshl_b64 s[14:15], s[24:25], 2
	s_add_u32 s14, s8, s14
	s_addc_u32 s15, s16, s15
	global_load_dword v3, v10, s[14:15]
	v_mad_u32_u24 v4, v2, 40, v4
	s_waitcnt vmcnt(0)
	ds_write_b32 v4, v3
.LBB166_4:
	s_or_b64 exec, exec, s[6:7]
	s_mul_i32 s6, s13, s11
	s_sub_i32 s6, s12, s6
	s_xor_b32 s3, s3, s9
	s_add_i32 s7, s13, 1
	s_sub_i32 s9, s6, s11
	s_load_dwordx4 s[20:23], s[0:1], 0x68
	s_load_dword s8, s[0:1], 0x78
	s_cmp_ge_u32 s6, s11
	s_cselect_b32 s7, s7, s13
	s_cselect_b32 s6, s9, s6
	s_add_i32 s9, s7, 1
	s_cmp_ge_u32 s6, s11
	s_cselect_b32 s6, s9, s7
	s_waitcnt lgkmcnt(0)
	s_abs_i32 s25, s23
	v_cvt_f32_u32_e32 v3, s25
	s_xor_b32 s6, s6, s3
	s_sub_i32 s3, s6, s3
	s_sub_i32 s6, 0, s25
	v_rcp_iflag_f32_e32 v3, v3
	s_add_i32 s11, s33, -1
	s_abs_i32 s9, s11
	v_mul_f32_e32 v3, 0x4f7ffffe, v3
	v_cvt_u32_f32_e32 v3, v3
	s_barrier
	v_readfirstlane_b32 s42, v3
	s_mul_i32 s6, s6, s42
	s_mul_hi_u32 s6, s42, s6
	s_add_i32 s42, s42, s6
	s_cmp_lt_i32 s8, 0
	s_mul_hi_u32 s16, s9, s42
	s_cbranch_scc0 .LBB166_6
; %bb.5:
	s_mul_i32 s6, s20, s36
	s_add_i32 s6, s3, s6
	s_mul_i32 s6, s6, s8
	s_sub_i32 s36, 1, s6
	s_mov_b64 s[6:7], 0
	s_branch .LBB166_7
.LBB166_6:
	s_mov_b64 s[6:7], -1
                                        ; implicit-def: $sgpr36
.LBB166_7:
	s_load_dwordx2 s[28:29], s[0:1], 0x28
	s_ashr_i32 s19, s11, 31
	s_andn2_b64 vcc, exec, s[6:7]
	s_ashr_i32 s23, s23, 31
	s_cbranch_vccnz .LBB166_9
; %bb.8:
	s_mul_i32 s6, s5, s20
	s_add_i32 s2, s6, s2
	s_mul_i32 s2, s2, s8
	s_add_i32 s36, s2, 1
.LBB166_9:
	s_load_dword s2, s[0:1], 0x38
	s_load_dwordx2 s[26:27], s[0:1], 0x0
	s_load_dwordx2 s[34:35], s[0:1], 0x18
	s_load_dword s11, s[0:1], 0x88
	s_load_dwordx4 s[12:15], s[0:1], 0x58
	s_mul_i32 s6, s16, s25
	s_waitcnt lgkmcnt(0)
	s_mul_i32 s30, s10, s2
	s_sub_i32 s6, s9, s6
	s_ashr_i32 s31, s30, 31
	s_xor_b32 s2, s19, s23
	s_add_i32 s7, s16, 1
	s_sub_i32 s8, s6, s25
	s_cmp_ge_u32 s6, s25
	s_cselect_b32 s7, s7, s16
	s_cselect_b32 s6, s8, s6
	s_add_i32 s8, s7, 1
	s_cmp_ge_u32 s6, s25
	s_cselect_b32 s6, s8, s7
	s_xor_b32 s6, s6, s2
	s_sub_i32 s16, s6, s2
	s_add_i32 s2, s33, 7
	s_ashr_i32 s6, s2, 31
	s_lshr_b32 s6, s6, 29
	s_add_i32 s2, s2, s6
	s_ashr_i32 s43, s2, 3
	v_lshrrev_b32_e32 v9, 6, v0
	v_cmp_gt_i32_e64 s[6:7], s43, v9
	v_mov_b32_e32 v13, 0xff7fffff
	s_mul_i32 s20, s3, s18
	v_lshrrev_b32_e32 v14, 4, v0
	v_lshlrev_b32_e32 v26, 3, v9
	v_mbcnt_lo_u32_b32 v8, -1, 0
	s_and_saveexec_b64 s[18:19], s[6:7]
	s_cbranch_execz .LBB166_19
; %bb.10:
	s_load_dwordx2 s[0:1], s[0:1], 0x10
	s_sub_i32 s45, s16, s21
	s_ashr_i32 s2, s20, 31
	v_bfe_u32 v11, v0, 3, 3
	v_mov_b32_e32 v7, 0
	s_waitcnt lgkmcnt(0)
	s_add_u32 s0, s0, s20
	s_addc_u32 s1, s1, s2
	s_abs_i32 s46, s22
	v_cvt_f32_u32_e32 v3, s46
	v_lshlrev_b32_e32 v6, 4, v11
	v_lshl_add_u64 v[4:5], s[0:1], 0, v[6:7]
	s_sub_i32 s0, 0, s46
	v_rcp_iflag_f32_e32 v3, v3
	v_mbcnt_hi_u32_b32 v20, -1, v8
	v_cmp_eq_u32_e32 vcc, 0, v2
	s_mov_b32 s47, s17
	v_mul_f32_e32 v3, 0x4f7ffffe, v3
	v_cvt_u32_f32_e32 v13, v3
	v_mul_u32_u24_e32 v12, 40, v2
	v_cmp_neq_f32_e64 s[2:3], s44, 0
	v_mov_b32_e32 v3, v7
	v_mul_lo_u32 v6, s0, v13
	v_mul_hi_u32 v6, v13, v6
	v_add_u32_e32 v15, v13, v6
	v_lshlrev_b32_e32 v13, 2, v11
	s_lshl_b64 s[0:1], s[30:31], 2
	v_lshl_or_b32 v13, v9, 5, v13
	s_add_u32 s0, s28, s0
	v_add_u32_e32 v17, 0x150, v13
	v_subrev_u32_e32 v13, s33, v11
	v_and_b32_e32 v6, 60, v14
	s_addc_u32 s1, s29, s1
	v_add_u32_e32 v18, 1, v13
	v_and_b32_e32 v13, 64, v20
	v_lshl_add_u64 v[6:7], s[0:1], 0, v[6:7]
	v_lshlrev_b32_e32 v16, 3, v9
	s_mov_b64 s[38:39], 0
	v_mov_b32_e32 v19, 0xff7fffff
	v_add_u32_e32 v21, 64, v13
	v_xor_b32_e32 v22, 4, v20
	v_xor_b32_e32 v23, 2, v20
	;; [unrolled: 1-line block ×3, first 2 shown]
	v_mov_b32_e32 v13, 0xff7fffff
	v_mov_b32_e32 v25, v9
	s_branch .LBB166_13
.LBB166_11:                             ;   in Loop: Header=BB166_13 Depth=1
	s_or_b64 exec, exec, s[40:41]
.LBB166_12:                             ;   in Loop: Header=BB166_13 Depth=1
	s_or_b64 exec, exec, s[8:9]
	v_add_u32_e32 v25, 2, v25
	v_cmp_le_i32_e64 s[0:1], s43, v25
	v_lshl_add_u64 v[6:7], v[6:7], 0, 8
	v_add_u32_e32 v16, 16, v16
	s_or_b64 s[38:39], s[0:1], s[38:39]
	v_add_u32_e32 v17, 64, v17
	s_andn2_b64 exec, exec, s[38:39]
	s_cbranch_execz .LBB166_18
.LBB166_13:                             ; =>This Inner Loop Header: Depth=1
	v_mul_hi_u32 v27, v16, s42
	s_waitcnt lgkmcnt(0)
	v_mul_lo_u32 v28, v27, s25
	v_sub_u32_e32 v28, v16, v28
	v_add_u32_e32 v29, 1, v27
	v_cmp_le_u32_e64 s[0:1], s25, v28
	s_nop 1
	v_cndmask_b32_e64 v27, v27, v29, s[0:1]
	v_subrev_u32_e32 v29, s25, v28
	v_cndmask_b32_e64 v28, v28, v29, s[0:1]
	v_add_u32_e32 v29, 1, v27
	v_cmp_le_u32_e64 s[0:1], s25, v28
	s_nop 1
	v_cndmask_b32_e64 v27, v27, v29, s[0:1]
	v_xor_b32_e32 v27, s23, v27
	v_subrev_u32_e32 v27, s23, v27
	v_add_u32_e32 v28, s36, v27
	v_sub_u32_e32 v30, 0, v28
	v_ashrrev_i32_e32 v29, 31, v28
	v_max_i32_e32 v28, v28, v30
	v_mul_hi_u32 v30, v28, v15
	v_mul_lo_u32 v30, v30, s46
	v_sub_u32_e32 v28, v28, v30
	v_subrev_u32_e32 v30, s46, v28
	v_cmp_le_u32_e64 s[0:1], s46, v28
	v_cmp_ge_i32_e64 s[8:9], s45, v27
	s_nop 0
	v_cndmask_b32_e64 v28, v28, v30, s[0:1]
	v_subrev_u32_e32 v30, s46, v28
	v_cmp_le_u32_e64 s[0:1], s46, v28
	s_nop 1
	v_cndmask_b32_e64 v28, v28, v30, s[0:1]
	v_xor_b32_e32 v28, v28, v29
	v_sub_u32_e32 v28, v28, v29
	v_cmp_ne_u32_e64 s[0:1], 0, v28
	s_and_b64 s[0:1], s[0:1], s[8:9]
	s_and_b64 s[40:41], vcc, s[0:1]
	s_and_saveexec_b64 s[8:9], s[40:41]
	s_cbranch_execz .LBB166_15
; %bb.14:                               ;   in Loop: Header=BB166_13 Depth=1
	ds_write_b32 v17, v19
.LBB166_15:                             ;   in Loop: Header=BB166_13 Depth=1
	s_or_b64 exec, exec, s[8:9]
	s_xor_b64 s[0:1], s[0:1], -1
	s_and_saveexec_b64 s[8:9], s[0:1]
	s_cbranch_execz .LBB166_12
; %bb.16:                               ;   in Loop: Header=BB166_13 Depth=1
	global_load_dword v27, v[6:7], off
	s_waitcnt vmcnt(0)
	v_mad_i64_i32 v[28:29], s[0:1], v27, s47, v[4:5]
	v_lshl_add_u64 v[28:29], v[28:29], 0, v[2:3]
	global_load_ubyte v27, v[28:29], off
	global_load_ubyte v38, v[28:29], off offset:8
	global_load_ubyte v39, v[28:29], off offset:128
	;; [unrolled: 1-line block ×9, first 2 shown]
	v_cmp_lt_i32_e64 s[0:1], v22, v21
	ds_read2_b64 v[28:31], v12 offset1:1
	ds_read2_b64 v[32:35], v12 offset0:2 offset1:3
	ds_read_b64 v[36:37], v12 offset:32
	v_cndmask_b32_e64 v47, v20, v22, s[0:1]
	s_load_dword s0, s[12:13], 0x0
	v_lshlrev_b32_e32 v47, 2, v47
	s_waitcnt vmcnt(9)
	v_cvt_f32_fp8_sdwa v27, v27 src0_sel:BYTE_0
	s_waitcnt vmcnt(8)
	v_cvt_f32_fp8_sdwa v38, v38 src0_sel:BYTE_0
	;; [unrolled: 2-line block ×5, first 2 shown]
	s_waitcnt lgkmcnt(0)
	v_mul_f32_e32 v38, s0, v38
	s_waitcnt vmcnt(4)
	v_cvt_f32_fp8_sdwa v42, v42 src0_sel:BYTE_0
	v_mul_f32_e32 v27, s0, v27
	v_mul_f32_e32 v29, v29, v38
	s_waitcnt vmcnt(3)
	v_cvt_f32_fp8_sdwa v43, v43 src0_sel:BYTE_0
	v_mul_f32_e32 v39, s0, v39
	v_fmac_f32_e32 v29, v28, v27
	s_waitcnt vmcnt(2)
	v_cvt_f32_fp8_sdwa v44, v44 src0_sel:BYTE_0
	v_mul_f32_e32 v40, s0, v40
	v_fmac_f32_e32 v29, v30, v39
	;; [unrolled: 4-line block ×4, first 2 shown]
	v_mul_f32_e32 v43, s0, v43
	v_fmac_f32_e32 v29, v33, v42
	v_mul_f32_e32 v44, s0, v44
	v_fmac_f32_e32 v29, v34, v43
	;; [unrolled: 2-line block ×4, first 2 shown]
	v_fmac_f32_e32 v29, v37, v46
	ds_bpermute_b32 v27, v47, v29
	v_cmp_lt_i32_e64 s[0:1], v23, v21
	s_waitcnt lgkmcnt(0)
	v_add_f32_e32 v27, v29, v27
	v_cndmask_b32_e64 v28, v20, v23, s[0:1]
	v_lshlrev_b32_e32 v28, 2, v28
	ds_bpermute_b32 v28, v28, v27
	v_cmp_lt_i32_e64 s[0:1], v24, v21
	s_waitcnt lgkmcnt(0)
	v_add_f32_e32 v27, v27, v28
	v_cndmask_b32_e64 v29, v20, v24, s[0:1]
	v_lshlrev_b32_e32 v29, 2, v29
	ds_bpermute_b32 v28, v29, v27
	s_and_saveexec_b64 s[40:41], vcc
	s_cbranch_execz .LBB166_11
; %bb.17:                               ;   in Loop: Header=BB166_13 Depth=1
	v_add_u32_e32 v29, v18, v16
	v_cvt_f32_i32_e32 v29, v29
	s_waitcnt lgkmcnt(0)
	v_add_f32_e32 v27, v27, v28
	v_add_u32_e32 v30, v11, v16
	v_cmp_gt_i32_e64 s[0:1], s33, v30
	v_mul_f32_e32 v28, s44, v29
	v_cndmask_b32_e64 v28, 0, v28, s[2:3]
	v_fmac_f32_e32 v28, s37, v27
	v_cndmask_b32_e64 v27, 0, v28, s[0:1]
	ds_write_b32 v17, v27
	v_max_f32_e32 v27, v13, v13
	v_max_f32_e32 v27, v27, v28
	v_cndmask_b32_e64 v13, v13, v27, s[0:1]
	s_branch .LBB166_11
.LBB166_18:
	s_or_b64 exec, exec, s[38:39]
.LBB166_19:
	s_or_b64 exec, exec, s[18:19]
	v_mbcnt_hi_u32_b32 v2, -1, v8
	v_and_b32_e32 v3, 64, v2
	v_add_u32_e32 v3, 64, v3
	v_xor_b32_e32 v4, 32, v2
	v_cmp_lt_i32_e32 vcc, v4, v3
	v_xor_b32_e32 v7, 16, v2
	v_max_f32_e32 v5, v13, v13
	v_cndmask_b32_e32 v4, v2, v4, vcc
	v_lshlrev_b32_e32 v6, 2, v4
	ds_bpermute_b32 v4, v6, v13
	v_cmp_lt_i32_e32 vcc, v7, v3
	v_xor_b32_e32 v11, 8, v2
	s_waitcnt lgkmcnt(0)
	v_max_f32_e32 v4, v4, v4
	v_max_f32_e32 v4, v5, v4
	v_cndmask_b32_e32 v5, v2, v7, vcc
	v_lshlrev_b32_e32 v8, 2, v5
	ds_bpermute_b32 v5, v8, v4
	v_cmp_lt_i32_e32 vcc, v11, v3
	s_waitcnt lgkmcnt(0)
	v_max_f32_e32 v5, v5, v5
	v_max_f32_e32 v7, v4, v5
	v_cndmask_b32_e32 v4, v2, v11, vcc
	v_lshlrev_b32_e32 v11, 2, v4
	ds_bpermute_b32 v12, v11, v7
	v_and_b32_e32 v4, 63, v0
	v_cmp_eq_u32_e32 vcc, 0, v4
	v_lshlrev_b32_e32 v5, 2, v9
	s_and_saveexec_b64 s[0:1], vcc
	s_cbranch_execz .LBB166_21
; %bb.20:
	s_waitcnt lgkmcnt(0)
	v_max_f32_e32 v12, v12, v12
	v_max_f32_e32 v7, v7, v7
	;; [unrolled: 1-line block ×3, first 2 shown]
	ds_write_b32 v5, v7 offset:320
.LBB166_21:
	s_or_b64 exec, exec, s[0:1]
	v_cmp_gt_u32_e64 s[0:1], 2, v4
	s_waitcnt lgkmcnt(0)
	v_mov_b32_e32 v12, 0xff7fffff
	v_lshlrev_b32_e32 v7, 2, v4
	s_barrier
	s_and_saveexec_b64 s[2:3], s[0:1]
	s_cbranch_execz .LBB166_23
; %bb.22:
	ds_read_b32 v12, v7 offset:320
.LBB166_23:
	s_or_b64 exec, exec, s[2:3]
	v_xor_b32_e32 v13, 1, v2
	v_cmp_lt_i32_e64 s[2:3], v13, v3
	v_lshlrev_b32_e32 v15, 2, v2
	s_nop 0
	v_cndmask_b32_e64 v13, v2, v13, s[2:3]
	v_lshlrev_b32_e32 v27, 2, v13
	s_waitcnt lgkmcnt(0)
	ds_bpermute_b32 v13, v27, v12
	v_max_f32_e32 v12, v12, v12
	s_lshl_b32 s2, s43, 3
	s_min_i32 s37, s2, s33
	v_cmp_gt_i32_e64 s[2:3], s37, v0
	s_waitcnt lgkmcnt(0)
	v_max_f32_e32 v13, v13, v13
	v_max_f32_e32 v13, v12, v13
	v_and_b32_e32 v12, 0x100, v15
	ds_bpermute_b32 v15, v12, v13
	v_mov_b32_e32 v13, 0
	s_and_saveexec_b64 s[12:13], s[2:3]
	s_cbranch_execz .LBB166_27
; %bb.24:
	v_mov_b32_e32 v13, 0x150
	v_lshl_add_u32 v16, v0, 2, v13
	s_mov_b64 s[18:19], 0
	v_mov_b32_e32 v13, 0
	v_mov_b32_e32 v17, v0
.LBB166_25:                             ; =>This Inner Loop Header: Depth=1
	ds_read_b32 v18, v16
	v_add_u32_e32 v17, 0x80, v17
	v_cmp_le_i32_e64 s[8:9], s37, v17
	s_or_b64 s[18:19], s[8:9], s[18:19]
	s_waitcnt lgkmcnt(0)
	v_sub_f32_e32 v18, v18, v15
	v_mul_f32_e32 v18, 0x3fb8aa3b, v18
	v_exp_f32_e32 v18, v18
	ds_write_b32 v16, v18
	v_add_f32_e32 v13, v13, v18
	v_add_u32_e32 v16, 0x200, v16
	s_andn2_b64 exec, exec, s[18:19]
	s_cbranch_execnz .LBB166_25
; %bb.26:
	s_or_b64 exec, exec, s[18:19]
.LBB166_27:
	s_or_b64 exec, exec, s[12:13]
	ds_bpermute_b32 v6, v6, v13
	s_waitcnt lgkmcnt(0)
	v_add_f32_e32 v6, v13, v6
	ds_bpermute_b32 v8, v8, v6
	s_waitcnt lgkmcnt(0)
	v_add_f32_e32 v6, v6, v8
	ds_bpermute_b32 v8, v11, v6
	v_xor_b32_e32 v11, 4, v2
	v_cmp_lt_i32_e64 s[8:9], v11, v3
	s_waitcnt lgkmcnt(0)
	v_add_f32_e32 v6, v6, v8
	v_cndmask_b32_e64 v11, v2, v11, s[8:9]
	v_lshlrev_b32_e32 v11, 2, v11
	ds_bpermute_b32 v8, v11, v6
	v_xor_b32_e32 v11, 2, v2
	v_cmp_lt_i32_e64 s[8:9], v11, v3
	s_waitcnt lgkmcnt(0)
	v_add_f32_e32 v3, v6, v8
	v_cndmask_b32_e64 v2, v2, v11, s[8:9]
	v_lshlrev_b32_e32 v2, 2, v2
	ds_bpermute_b32 v2, v2, v3
	s_waitcnt lgkmcnt(0)
	v_add_f32_e32 v2, v3, v2
	ds_bpermute_b32 v3, v27, v2
	s_waitcnt lgkmcnt(0)
	v_add_f32_e32 v2, v2, v3
	s_and_saveexec_b64 s[8:9], vcc
	s_cbranch_execz .LBB166_29
; %bb.28:
	ds_write_b32 v5, v2 offset:328
.LBB166_29:
	s_or_b64 exec, exec, s[8:9]
	s_waitcnt lgkmcnt(0)
	s_barrier
	s_and_saveexec_b64 s[8:9], s[0:1]
	s_cbranch_execz .LBB166_31
; %bb.30:
	ds_read_b32 v2, v7 offset:328
.LBB166_31:
	s_or_b64 exec, exec, s[8:9]
	s_waitcnt lgkmcnt(0)
	ds_bpermute_b32 v3, v27, v2
	s_waitcnt lgkmcnt(0)
	v_add_f32_e32 v2, v2, v3
	ds_bpermute_b32 v2, v12, v2
	s_and_saveexec_b64 s[0:1], s[2:3]
	s_cbranch_execz .LBB166_44
; %bb.32:
	s_waitcnt lgkmcnt(0)
	v_add_f32_e32 v2, 0x358637bd, v2
	v_div_scale_f32 v3, s[2:3], v2, v2, 1.0
	v_rcp_f32_e32 v5, v3
	v_div_scale_f32 v6, vcc, 1.0, v2, 1.0
	s_movk_i32 s2, 0x7f
	v_fma_f32 v7, -v3, v5, 1.0
	v_fmac_f32_e32 v5, v7, v5
	v_mul_f32_e32 v7, v6, v5
	v_fma_f32 v8, -v3, v7, v6
	v_fmac_f32_e32 v7, v8, v5
	v_fma_f32 v3, -v3, v7, v6
	v_div_fmas_f32 v3, v3, v5, v7
	v_xad_u32 v5, v0, -1, s37
	v_div_fixup_f32 v2, v3, v2, 1.0
	v_cmp_lt_u32_e32 vcc, s2, v5
	s_mov_b64 s[8:9], -1
	v_mov_b32_e32 v3, v0
	s_and_saveexec_b64 s[2:3], vcc
	s_cbranch_execz .LBB166_41
; %bb.33:
	v_lshrrev_b32_e32 v5, 7, v5
	v_add_u32_e32 v7, -1, v5
	v_lshrrev_b32_e32 v6, 1, v7
	v_mov_b32_e32 v3, v2
	v_add_u32_e32 v6, 1, v6
	v_cmp_lt_u32_e32 vcc, 13, v7
	v_mov_b32_e32 v11, 0
	s_and_saveexec_b64 s[8:9], vcc
	s_cbranch_execz .LBB166_37
; %bb.34:
	v_mov_b32_e32 v8, 0x150
	v_and_b32_e32 v7, -8, v6
	v_lshl_add_u32 v8, v0, 2, v8
	s_mov_b32 s18, 0
	s_mov_b64 s[12:13], 0
.LBB166_35:                             ; =>This Inner Loop Header: Depth=1
	ds_read2st64_b32 v[12:13], v8 offset1:2
	ds_read2st64_b32 v[16:17], v8 offset0:4 offset1:6
	ds_read2st64_b32 v[18:19], v8 offset0:8 offset1:10
	;; [unrolled: 1-line block ×3, first 2 shown]
	v_add_u32_e32 v7, -8, v7
	s_waitcnt lgkmcnt(3)
	v_pk_mul_f32 v[12:13], v[2:3], v[12:13]
	s_waitcnt lgkmcnt(2)
	v_pk_mul_f32 v[16:17], v[2:3], v[16:17]
	ds_write2st64_b32 v8, v12, v13 offset1:2
	ds_write2st64_b32 v8, v16, v17 offset0:4 offset1:6
	ds_read2st64_b32 v[16:17], v8 offset0:16 offset1:18
	s_waitcnt lgkmcnt(4)
	v_pk_mul_f32 v[12:13], v[2:3], v[18:19]
	ds_write2st64_b32 v8, v12, v13 offset0:8 offset1:10
	s_waitcnt lgkmcnt(4)
	v_pk_mul_f32 v[12:13], v[2:3], v[20:21]
	ds_write2st64_b32 v8, v12, v13 offset0:12 offset1:14
	ds_read2st64_b32 v[12:13], v8 offset0:20 offset1:22
	s_waitcnt lgkmcnt(3)
	v_pk_mul_f32 v[16:17], v[2:3], v[16:17]
	ds_read2st64_b32 v[18:19], v8 offset0:24 offset1:26
	ds_write2st64_b32 v8, v16, v17 offset0:16 offset1:18
	ds_read2st64_b32 v[16:17], v8 offset0:28 offset1:30
	s_waitcnt lgkmcnt(3)
	v_pk_mul_f32 v[12:13], v[2:3], v[12:13]
	ds_write2st64_b32 v8, v12, v13 offset0:20 offset1:22
	s_waitcnt lgkmcnt(3)
	v_pk_mul_f32 v[12:13], v[2:3], v[18:19]
	ds_write2st64_b32 v8, v12, v13 offset0:24 offset1:26
	s_waitcnt lgkmcnt(2)
	v_pk_mul_f32 v[12:13], v[2:3], v[16:17]
	s_add_i32 s18, s18, 16
	v_cmp_eq_u32_e32 vcc, 0, v7
	ds_write2st64_b32 v8, v12, v13 offset0:28 offset1:30
	v_add_u32_e32 v8, 0x2000, v8
	s_or_b64 s[12:13], vcc, s[12:13]
	v_mov_b32_e32 v11, s18
	s_andn2_b64 exec, exec, s[12:13]
	s_cbranch_execnz .LBB166_35
; %bb.36:
	s_or_b64 exec, exec, s[12:13]
.LBB166_37:
	s_or_b64 exec, exec, s[8:9]
	v_and_b32_e32 v6, 7, v6
	v_cmp_ne_u32_e32 vcc, 0, v6
	s_and_saveexec_b64 s[8:9], vcc
	s_cbranch_execz .LBB166_40
; %bb.38:
	v_lshlrev_b32_e32 v7, 9, v11
	s_movk_i32 s12, 0x150
	v_add3_u32 v7, v7, v10, s12
	s_mov_b64 s[12:13], 0
.LBB166_39:                             ; =>This Inner Loop Header: Depth=1
	ds_read2st64_b32 v[12:13], v7 offset1:2
	v_add_u32_e32 v6, -1, v6
	v_cmp_eq_u32_e32 vcc, 0, v6
	s_or_b64 s[12:13], vcc, s[12:13]
	s_waitcnt lgkmcnt(0)
	v_pk_mul_f32 v[12:13], v[2:3], v[12:13]
	ds_write2st64_b32 v7, v12, v13 offset1:2
	v_add_u32_e32 v7, 0x400, v7
	s_andn2_b64 exec, exec, s[12:13]
	s_cbranch_execnz .LBB166_39
.LBB166_40:
	s_or_b64 exec, exec, s[8:9]
	v_add_u32_e32 v5, 1, v5
	v_and_b32_e32 v6, 0x3fffffe, v5
	v_cmp_ne_u32_e32 vcc, v5, v6
	v_lshl_add_u32 v3, v6, 7, v0
	s_orn2_b64 s[8:9], vcc, exec
.LBB166_41:
	s_or_b64 exec, exec, s[2:3]
	s_and_b64 exec, exec, s[8:9]
	s_cbranch_execz .LBB166_44
; %bb.42:
	v_mov_b32_e32 v5, 0x150
	v_lshl_add_u32 v5, v3, 2, v5
	s_mov_b64 s[2:3], 0
.LBB166_43:                             ; =>This Inner Loop Header: Depth=1
	ds_read_b32 v6, v5
	v_add_u32_e32 v3, 0x80, v3
	v_cmp_le_i32_e32 vcc, s37, v3
	s_or_b64 s[2:3], vcc, s[2:3]
	s_waitcnt lgkmcnt(0)
	v_mul_f32_e32 v6, v2, v6
	ds_write_b32 v5, v6
	v_add_u32_e32 v5, 0x200, v5
	s_andn2_b64 exec, exec, s[2:3]
	s_cbranch_execnz .LBB166_43
.LBB166_44:
	s_or_b64 exec, exec, s[0:1]
	s_mov_b32 s0, 0
	v_mov_b32_e32 v8, 0
	v_lshrrev_b32_e32 v29, 1, v4
	v_and_b32_e32 v28, 1, v0
	v_mov_b32_e32 v7, 0
	v_mov_b32_e32 v6, 0
	s_waitcnt lgkmcnt(0)
	s_barrier
	s_and_saveexec_b64 s[8:9], s[6:7]
	s_cbranch_execz .LBB166_58
; %bb.45:
	s_sub_i32 s37, s16, s21
	s_ashr_i32 s1, s20, 31
	s_add_u32 s6, s34, s20
	s_addc_u32 s7, s35, s1
	s_abs_i32 s22, s22
	v_cvt_f32_u32_e32 v2, s22
	v_or_b32_e32 v3, 64, v29
	s_movk_i32 s1, 0x50
	v_and_b32_e32 v30, 4, v10
	v_rcp_iflag_f32_e32 v2, v2
	v_cmp_gt_u32_e32 vcc, s1, v3
	s_sub_i32 s1, 0, s22
	s_add_i32 s34, s43, -1
	v_mul_f32_e32 v2, 0x4f7ffffe, v2
	v_cvt_u32_f32_e32 v2, v2
	v_lshl_or_b32 v12, v3, 3, v30
	s_lshl_b64 s[2:3], s[30:31], 2
	v_mov_b32_e32 v11, 0
	v_mul_lo_u32 v3, s1, v2
	v_mul_hi_u32 v3, v2, v3
	s_add_u32 s2, s28, s2
	v_add_u32_e32 v31, v2, v3
	v_and_b32_e32 v2, 60, v14
	v_mov_b32_e32 v3, v11
	s_addc_u32 s3, s29, s3
	v_lshl_add_u64 v[14:15], s[2:3], 0, v[2:3]
	v_lshlrev_b32_e32 v2, 4, v28
	s_mov_b32 s2, s0
	v_lshl_or_b32 v2, v9, 5, v2
	s_mov_b32 s1, s0
	v_mov_b32_e32 v8, s2
	s_mov_b32 s38, s17
	v_lshl_or_b32 v10, v29, 3, v30
	v_mov_b32_e32 v13, v11
	v_add_u32_e32 v32, 0x150, v2
	s_mov_b64 s[12:13], 0
	v_mov_b32_e32 v7, s1
	v_mov_b32_e32 v6, s0
	s_branch .LBB166_49
.LBB166_46:                             ;   in Loop: Header=BB166_49 Depth=1
	s_or_b64 exec, exec, s[18:19]
	v_mul_f32_e32 v3, v3, v19
	v_fmac_f32_e32 v3, v2, v18
	v_fmac_f32_e32 v3, v4, v16
	;; [unrolled: 1-line block ×3, first 2 shown]
	v_add_f32_e32 v8, v8, v3
.LBB166_47:                             ;   in Loop: Header=BB166_49 Depth=1
	s_or_b64 exec, exec, s[2:3]
.LBB166_48:                             ;   in Loop: Header=BB166_49 Depth=1
	s_or_b64 exec, exec, s[16:17]
	v_add_u32_e32 v9, 2, v9
	v_cmp_le_i32_e64 s[0:1], s43, v9
	v_lshl_add_u64 v[14:15], v[14:15], 0, 8
	v_add_u32_e32 v26, 16, v26
	s_or_b64 s[12:13], s[0:1], s[12:13]
	v_add_u32_e32 v32, 64, v32
	s_andn2_b64 exec, exec, s[12:13]
	s_cbranch_execz .LBB166_57
.LBB166_49:                             ; =>This Inner Loop Header: Depth=1
	v_mul_hi_u32 v2, v26, s42
	v_mul_lo_u32 v3, v2, s25
	v_sub_u32_e32 v3, v26, v3
	v_add_u32_e32 v4, 1, v2
	v_cmp_le_u32_e64 s[0:1], s25, v3
	s_nop 1
	v_cndmask_b32_e64 v2, v2, v4, s[0:1]
	v_subrev_u32_e32 v4, s25, v3
	v_cndmask_b32_e64 v3, v3, v4, s[0:1]
	v_add_u32_e32 v4, 1, v2
	v_cmp_le_u32_e64 s[0:1], s25, v3
	s_nop 1
	v_cndmask_b32_e64 v2, v2, v4, s[0:1]
	v_xor_b32_e32 v2, s23, v2
	v_subrev_u32_e32 v2, s23, v2
	v_add_u32_e32 v3, s36, v2
	v_sub_u32_e32 v5, 0, v3
	v_ashrrev_i32_e32 v4, 31, v3
	v_max_i32_e32 v3, v3, v5
	v_mul_hi_u32 v5, v3, v31
	v_mul_lo_u32 v5, v5, s22
	v_sub_u32_e32 v3, v3, v5
	v_subrev_u32_e32 v5, s22, v3
	v_cmp_le_u32_e64 s[0:1], s22, v3
	v_cmp_lt_i32_e64 s[2:3], s37, v2
	s_nop 0
	v_cndmask_b32_e64 v3, v3, v5, s[0:1]
	v_subrev_u32_e32 v5, s22, v3
	v_cmp_le_u32_e64 s[0:1], s22, v3
	s_nop 1
	v_cndmask_b32_e64 v3, v3, v5, s[0:1]
	v_xor_b32_e32 v3, v3, v4
	v_sub_u32_e32 v3, v3, v4
	v_cmp_eq_u32_e64 s[0:1], 0, v3
	s_or_b64 s[0:1], s[0:1], s[2:3]
	s_and_saveexec_b64 s[16:17], s[0:1]
	s_cbranch_execz .LBB166_48
; %bb.50:                               ;   in Loop: Header=BB166_49 Depth=1
	global_load_dword v4, v[14:15], off
	v_mov_b64_e32 v[2:3], s[6:7]
	s_load_dword s18, s[14:15], 0x0
	v_add_u32_e32 v33, v30, v26
	s_waitcnt vmcnt(0)
	v_mad_i64_i32 v[16:17], s[0:1], v4, s38, v[2:3]
	v_lshl_add_u64 v[22:23], v[16:17], 0, v[10:11]
	global_load_dword v18, v[22:23], off
	ds_read_b128 v[2:5], v32
	v_cmp_eq_u32_e64 s[0:1], s34, v9
	s_waitcnt vmcnt(0)
	v_and_b32_e32 v19, 0xffff, v18
	v_lshrrev_b32_e32 v20, 16, v18
	v_cvt_pk_f32_fp8_e32 v[18:19], v19
	v_cvt_pk_f32_fp8_e32 v[24:25], v20
	s_waitcnt lgkmcnt(0)
	v_pk_mul_f32 v[20:21], s[18:19], v[18:19] op_sel_hi:[0,1]
	v_pk_mul_f32 v[18:19], s[18:19], v[24:25] op_sel_hi:[0,1]
	s_and_saveexec_b64 s[20:21], s[0:1]
; %bb.51:                               ;   in Loop: Header=BB166_49 Depth=1
	v_cmp_gt_i32_e64 s[2:3], s33, v33
	v_add_u32_e32 v24, 1, v33
	s_nop 0
	v_cndmask_b32_e64 v20, 0, v20, s[2:3]
	v_cmp_gt_i32_e64 s[2:3], s33, v24
	v_add_u32_e32 v24, 2, v33
	s_nop 0
	v_cndmask_b32_e64 v21, 0, v21, s[2:3]
	;; [unrolled: 4-line block ×3, first 2 shown]
	v_cmp_gt_i32_e64 s[2:3], s33, v24
	s_nop 1
	v_cndmask_b32_e64 v19, 0, v19, s[2:3]
; %bb.52:                               ;   in Loop: Header=BB166_49 Depth=1
	s_or_b64 exec, exec, s[20:21]
	global_load_dword v22, v[22:23], off offset:256
	s_mov_b32 s19, s18
	s_waitcnt vmcnt(0)
	v_and_b32_e32 v23, 0xffff, v22
	v_lshrrev_b32_e32 v24, 16, v22
	v_cvt_pk_f32_fp8_e32 v[22:23], v23
	v_cvt_pk_f32_fp8_e32 v[34:35], v24
	v_pk_mul_f32 v[24:25], s[18:19], v[22:23]
	v_pk_mul_f32 v[22:23], s[18:19], v[34:35]
	s_and_saveexec_b64 s[20:21], s[0:1]
; %bb.53:                               ;   in Loop: Header=BB166_49 Depth=1
	v_cmp_gt_i32_e64 s[2:3], s33, v33
	v_add_u32_e32 v34, 1, v33
	s_nop 0
	v_cndmask_b32_e64 v24, 0, v24, s[2:3]
	v_cmp_gt_i32_e64 s[2:3], s33, v34
	v_add_u32_e32 v34, 2, v33
	s_nop 0
	v_cndmask_b32_e64 v25, 0, v25, s[2:3]
	;; [unrolled: 4-line block ×3, first 2 shown]
	v_cmp_gt_i32_e64 s[2:3], s33, v34
	s_nop 1
	v_cndmask_b32_e64 v23, 0, v23, s[2:3]
; %bb.54:                               ;   in Loop: Header=BB166_49 Depth=1
	s_or_b64 exec, exec, s[20:21]
	v_mul_f32_e32 v21, v3, v21
	v_fmac_f32_e32 v21, v2, v20
	v_fmac_f32_e32 v21, v4, v18
	v_mul_f32_e32 v18, v3, v25
	v_fmac_f32_e32 v18, v2, v24
	v_fmac_f32_e32 v18, v4, v22
	;; [unrolled: 1-line block ×4, first 2 shown]
	v_add_f32_e32 v6, v6, v21
	v_add_f32_e32 v7, v7, v18
	s_and_saveexec_b64 s[2:3], vcc
	s_cbranch_execz .LBB166_47
; %bb.55:                               ;   in Loop: Header=BB166_49 Depth=1
	v_lshl_add_u64 v[16:17], v[16:17], 0, v[12:13]
	global_load_dword v16, v[16:17], off
	s_waitcnt vmcnt(0)
	v_and_b32_e32 v17, 0xffff, v16
	v_lshrrev_b32_e32 v18, 16, v16
	v_cvt_pk_f32_fp8_e32 v[16:17], v17
	v_cvt_pk_f32_fp8_e32 v[20:21], v18
	v_pk_mul_f32 v[18:19], s[18:19], v[16:17]
	v_pk_mul_f32 v[16:17], s[18:19], v[20:21]
	s_and_saveexec_b64 s[18:19], s[0:1]
	s_cbranch_execz .LBB166_46
; %bb.56:                               ;   in Loop: Header=BB166_49 Depth=1
	v_cmp_gt_i32_e64 s[0:1], s33, v33
	v_add_u32_e32 v20, 1, v33
	s_nop 0
	v_cndmask_b32_e64 v18, 0, v18, s[0:1]
	v_cmp_gt_i32_e64 s[0:1], s33, v20
	v_add_u32_e32 v20, 2, v33
	s_nop 0
	v_cndmask_b32_e64 v19, 0, v19, s[0:1]
	;; [unrolled: 4-line block ×3, first 2 shown]
	v_cmp_gt_i32_e64 s[0:1], s33, v20
	s_nop 1
	v_cndmask_b32_e64 v17, 0, v17, s[0:1]
	s_branch .LBB166_46
.LBB166_57:
	s_or_b64 exec, exec, s[12:13]
.LBB166_58:
	s_or_b64 exec, exec, s[8:9]
	ds_bpermute_b32 v2, v27, v6
	ds_bpermute_b32 v3, v27, v7
	;; [unrolled: 1-line block ×3, first 2 shown]
	v_and_b32_e32 v5, 0x3c0, v0
	v_cmp_eq_u32_e32 vcc, 64, v5
	s_waitcnt lgkmcnt(0)
	v_pk_add_f32 v[2:3], v[6:7], v[2:3]
	v_add_f32_e32 v4, v8, v4
	s_barrier
	s_and_saveexec_b64 s[2:3], vcc
	s_cbranch_execz .LBB166_63
; %bb.59:
	v_cmp_eq_u32_e32 vcc, 0, v28
	s_and_saveexec_b64 s[0:1], vcc
	s_cbranch_execz .LBB166_61
; %bb.60:
	v_mov_b32_e32 v5, 0x150
	v_lshl_add_u32 v5, v29, 2, v5
	ds_write2_b32 v5, v2, v3 offset1:32
.LBB166_61:
	s_or_b64 exec, exec, s[0:1]
	v_or_b32_e32 v5, 64, v29
	s_movk_i32 s0, 0x50
	v_cmp_gt_u32_e64 s[0:1], s0, v5
	s_and_b64 s[0:1], vcc, s[0:1]
	s_and_b64 exec, exec, s[0:1]
	s_cbranch_execz .LBB166_63
; %bb.62:
	v_mov_b32_e32 v5, 0x150
	v_lshl_add_u32 v5, v29, 2, v5
	ds_write_b32 v5, v4 offset:256
.LBB166_63:
	s_or_b64 exec, exec, s[2:3]
	v_cmp_gt_u32_e32 vcc, 64, v0
	s_waitcnt lgkmcnt(0)
	s_barrier
	s_and_saveexec_b64 s[6:7], vcc
	s_cbranch_execz .LBB166_71
; %bb.64:
	v_cmp_eq_u32_e64 s[0:1], 0, v28
	s_and_saveexec_b64 s[2:3], s[0:1]
	s_cbranch_execz .LBB166_66
; %bb.65:
	v_mov_b32_e32 v0, 0x150
	v_lshl_add_u32 v0, v1, 2, v0
	ds_read_b32 v0, v0
	s_waitcnt lgkmcnt(0)
	v_add_f32_e32 v2, v2, v0
.LBB166_66:
	s_or_b64 exec, exec, s[2:3]
	s_and_saveexec_b64 s[2:3], s[0:1]
	s_cbranch_execz .LBB166_68
; %bb.67:
	v_mov_b32_e32 v0, 0x150
	v_lshl_add_u32 v0, v1, 2, v0
	ds_read_b32 v0, v0 offset:128
	s_waitcnt lgkmcnt(0)
	v_add_f32_e32 v3, v3, v0
.LBB166_68:
	s_or_b64 exec, exec, s[2:3]
	v_or_b32_e32 v0, 64, v1
	s_movk_i32 s2, 0x50
	v_cmp_gt_u32_e64 s[2:3], s2, v0
	s_and_b64 s[2:3], s[0:1], s[2:3]
	s_and_saveexec_b64 s[0:1], s[2:3]
	s_cbranch_execz .LBB166_70
; %bb.69:
	v_mov_b32_e32 v0, 0x150
	v_lshl_add_u32 v0, v1, 2, v0
	ds_read_b32 v0, v0 offset:256
	s_waitcnt lgkmcnt(0)
	v_add_f32_e32 v4, v4, v0
.LBB166_70:
	s_or_b64 exec, exec, s[0:1]
.LBB166_71:
	s_or_b64 exec, exec, s[6:7]
	s_barrier
	s_and_saveexec_b64 s[0:1], vcc
	s_cbranch_execz .LBB166_76
; %bb.72:
	s_mul_i32 s0, s10, s11
	s_mul_i32 s0, s0, s5
	s_mulk_i32 s0, 0x50
	s_ashr_i32 s1, s0, 31
	s_lshl_b64 s[0:1], s[0:1], 2
	s_add_u32 s2, s26, s0
	s_mul_i32 s0, s11, s24
	s_addc_u32 s3, s27, s1
	s_ashr_i32 s1, s0, 31
	s_lshl_b64 s[0:1], s[0:1], 2
	s_add_u32 s2, s2, s0
	s_mul_i32 s0, s4, 0x50
	s_addc_u32 s3, s3, s1
	s_ashr_i32 s1, s0, 31
	s_lshl_b64 s[0:1], s[0:1], 2
	s_add_u32 s2, s2, s0
	s_movk_i32 s5, 0x50
	s_addc_u32 s3, s3, s1
	v_cmp_eq_u32_e32 vcc, 0, v28
	v_lshlrev_b32_e32 v0, 2, v1
	s_and_saveexec_b64 s[0:1], vcc
	s_cbranch_execz .LBB166_74
; %bb.73:
	global_store_dword v0, v2, s[2:3]
	global_store_dword v0, v3, s[2:3] offset:128
.LBB166_74:
	s_or_b64 exec, exec, s[0:1]
	v_or_b32_e32 v1, 64, v1
	v_cmp_gt_u32_e64 s[0:1], s5, v1
	s_and_b64 s[0:1], vcc, s[0:1]
	s_and_b64 exec, exec, s[0:1]
	s_cbranch_execz .LBB166_76
; %bb.75:
	global_store_dword v0, v4, s[2:3] offset:256
.LBB166_76:
	s_endpgm
	.section	.rodata,"a",@progbits
	.p2align	6, 0x0
	.amdhsa_kernel _ZN4vllm25paged_attention_v1_kernelIfhLi80ELi8ELi128ELNS_18Fp8KVCacheDataTypeE1ELb1EEEvPT_PKS2_PKT0_S8_ifPKiSA_iPKfiiiSC_SC_iiiii
		.amdhsa_group_segment_fixed_size 336
		.amdhsa_private_segment_fixed_size 0
		.amdhsa_kernarg_size 384
		.amdhsa_user_sgpr_count 2
		.amdhsa_user_sgpr_dispatch_ptr 0
		.amdhsa_user_sgpr_queue_ptr 0
		.amdhsa_user_sgpr_kernarg_segment_ptr 1
		.amdhsa_user_sgpr_dispatch_id 0
		.amdhsa_user_sgpr_kernarg_preload_length 0
		.amdhsa_user_sgpr_kernarg_preload_offset 0
		.amdhsa_user_sgpr_private_segment_size 0
		.amdhsa_uses_dynamic_stack 0
		.amdhsa_enable_private_segment 0
		.amdhsa_system_sgpr_workgroup_id_x 1
		.amdhsa_system_sgpr_workgroup_id_y 1
		.amdhsa_system_sgpr_workgroup_id_z 1
		.amdhsa_system_sgpr_workgroup_info 0
		.amdhsa_system_vgpr_workitem_id 0
		.amdhsa_next_free_vgpr 48
		.amdhsa_next_free_sgpr 48
		.amdhsa_accum_offset 48
		.amdhsa_reserve_vcc 1
		.amdhsa_float_round_mode_32 0
		.amdhsa_float_round_mode_16_64 0
		.amdhsa_float_denorm_mode_32 3
		.amdhsa_float_denorm_mode_16_64 3
		.amdhsa_dx10_clamp 1
		.amdhsa_ieee_mode 1
		.amdhsa_fp16_overflow 0
		.amdhsa_tg_split 0
		.amdhsa_exception_fp_ieee_invalid_op 0
		.amdhsa_exception_fp_denorm_src 0
		.amdhsa_exception_fp_ieee_div_zero 0
		.amdhsa_exception_fp_ieee_overflow 0
		.amdhsa_exception_fp_ieee_underflow 0
		.amdhsa_exception_fp_ieee_inexact 0
		.amdhsa_exception_int_div_zero 0
	.end_amdhsa_kernel
	.section	.text._ZN4vllm25paged_attention_v1_kernelIfhLi80ELi8ELi128ELNS_18Fp8KVCacheDataTypeE1ELb1EEEvPT_PKS2_PKT0_S8_ifPKiSA_iPKfiiiSC_SC_iiiii,"axG",@progbits,_ZN4vllm25paged_attention_v1_kernelIfhLi80ELi8ELi128ELNS_18Fp8KVCacheDataTypeE1ELb1EEEvPT_PKS2_PKT0_S8_ifPKiSA_iPKfiiiSC_SC_iiiii,comdat
.Lfunc_end166:
	.size	_ZN4vllm25paged_attention_v1_kernelIfhLi80ELi8ELi128ELNS_18Fp8KVCacheDataTypeE1ELb1EEEvPT_PKS2_PKT0_S8_ifPKiSA_iPKfiiiSC_SC_iiiii, .Lfunc_end166-_ZN4vllm25paged_attention_v1_kernelIfhLi80ELi8ELi128ELNS_18Fp8KVCacheDataTypeE1ELb1EEEvPT_PKS2_PKT0_S8_ifPKiSA_iPKfiiiSC_SC_iiiii
                                        ; -- End function
	.section	.AMDGPU.csdata,"",@progbits
; Kernel info:
; codeLenInByte = 4772
; NumSgprs: 54
; NumVgprs: 48
; NumAgprs: 0
; TotalNumVgprs: 48
; ScratchSize: 0
; MemoryBound: 0
; FloatMode: 240
; IeeeMode: 1
; LDSByteSize: 336 bytes/workgroup (compile time only)
; SGPRBlocks: 6
; VGPRBlocks: 5
; NumSGPRsForWavesPerEU: 54
; NumVGPRsForWavesPerEU: 48
; AccumOffset: 48
; Occupancy: 8
; WaveLimiterHint : 1
; COMPUTE_PGM_RSRC2:SCRATCH_EN: 0
; COMPUTE_PGM_RSRC2:USER_SGPR: 2
; COMPUTE_PGM_RSRC2:TRAP_HANDLER: 0
; COMPUTE_PGM_RSRC2:TGID_X_EN: 1
; COMPUTE_PGM_RSRC2:TGID_Y_EN: 1
; COMPUTE_PGM_RSRC2:TGID_Z_EN: 1
; COMPUTE_PGM_RSRC2:TIDIG_COMP_CNT: 0
; COMPUTE_PGM_RSRC3_GFX90A:ACCUM_OFFSET: 11
; COMPUTE_PGM_RSRC3_GFX90A:TG_SPLIT: 0
	.section	.text._ZN4vllm25paged_attention_v1_kernelIfhLi96ELi8ELi128ELNS_18Fp8KVCacheDataTypeE1ELb1EEEvPT_PKS2_PKT0_S8_ifPKiSA_iPKfiiiSC_SC_iiiii,"axG",@progbits,_ZN4vllm25paged_attention_v1_kernelIfhLi96ELi8ELi128ELNS_18Fp8KVCacheDataTypeE1ELb1EEEvPT_PKS2_PKT0_S8_ifPKiSA_iPKfiiiSC_SC_iiiii,comdat
	.protected	_ZN4vllm25paged_attention_v1_kernelIfhLi96ELi8ELi128ELNS_18Fp8KVCacheDataTypeE1ELb1EEEvPT_PKS2_PKT0_S8_ifPKiSA_iPKfiiiSC_SC_iiiii ; -- Begin function _ZN4vllm25paged_attention_v1_kernelIfhLi96ELi8ELi128ELNS_18Fp8KVCacheDataTypeE1ELb1EEEvPT_PKS2_PKT0_S8_ifPKiSA_iPKfiiiSC_SC_iiiii
	.globl	_ZN4vllm25paged_attention_v1_kernelIfhLi96ELi8ELi128ELNS_18Fp8KVCacheDataTypeE1ELb1EEEvPT_PKS2_PKT0_S8_ifPKiSA_iPKfiiiSC_SC_iiiii
	.p2align	8
	.type	_ZN4vllm25paged_attention_v1_kernelIfhLi96ELi8ELi128ELNS_18Fp8KVCacheDataTypeE1ELb1EEEvPT_PKS2_PKT0_S8_ifPKiSA_iPKfiiiSC_SC_iiiii,@function
_ZN4vllm25paged_attention_v1_kernelIfhLi96ELi8ELi128ELNS_18Fp8KVCacheDataTypeE1ELb1EEEvPT_PKS2_PKT0_S8_ifPKiSA_iPKfiiiSC_SC_iiiii: ; @_ZN4vllm25paged_attention_v1_kernelIfhLi96ELi8ELi128ELNS_18Fp8KVCacheDataTypeE1ELb1EEEvPT_PKS2_PKT0_S8_ifPKiSA_iPKfiiiSC_SC_iiiii
; %bb.0:
	s_load_dword s5, s[0:1], 0x80
	s_load_dwordx2 s[6:7], s[0:1], 0x30
	s_load_dwordx2 s[36:37], s[0:1], 0x20
	s_mov_b32 s10, s3
	s_ashr_i32 s11, s3, 31
	s_lshl_b64 s[8:9], s[10:11], 2
	s_waitcnt lgkmcnt(0)
	s_add_u32 s6, s6, s8
	s_addc_u32 s7, s7, s9
	s_abs_i32 s3, s36
	v_cvt_f32_u32_e32 v1, s3
	s_sub_i32 s11, 0, s3
	s_abs_i32 s9, s5
	s_xor_b32 s8, s5, s36
	v_rcp_iflag_f32_e32 v1, v1
	s_ashr_i32 s8, s8, 31
	s_mov_b32 s44, 0
	v_mul_f32_e32 v1, 0x4f7ffffe, v1
	v_cvt_u32_f32_e32 v1, v1
	s_nop 0
	v_readfirstlane_b32 s12, v1
	s_mul_i32 s11, s11, s12
	s_mul_hi_u32 s11, s12, s11
	s_add_i32 s12, s12, s11
	s_mul_hi_u32 s11, s9, s12
	s_mul_i32 s12, s11, s3
	s_sub_i32 s9, s9, s12
	s_add_i32 s12, s11, 1
	s_sub_i32 s13, s9, s3
	s_cmp_ge_u32 s9, s3
	s_cselect_b32 s11, s12, s11
	s_cselect_b32 s9, s13, s9
	s_add_i32 s12, s11, 1
	s_cmp_ge_u32 s9, s3
	s_cselect_b32 s3, s12, s11
	s_xor_b32 s3, s3, s8
	s_sub_i32 s14, s3, s8
	s_abs_i32 s11, s14
	v_cvt_f32_u32_e32 v1, s11
	s_load_dwordx2 s[8:9], s[0:1], 0x40
	s_sub_i32 s3, 0, s11
	s_abs_i32 s12, s2
	v_rcp_iflag_f32_e32 v1, v1
	s_nop 0
	v_mul_f32_e32 v1, 0x4f7ffffe, v1
	v_cvt_u32_f32_e32 v1, v1
	s_nop 0
	v_readfirstlane_b32 s13, v1
	s_mul_i32 s3, s3, s13
	s_mul_hi_u32 s3, s13, s3
	s_add_i32 s13, s13, s3
	s_waitcnt lgkmcnt(0)
	s_cmp_eq_u64 s[8:9], 0
	s_mul_hi_u32 s13, s12, s13
	s_cbranch_scc1 .LBB167_2
; %bb.1:
	s_ashr_i32 s3, s2, 31
	s_lshl_b64 s[16:17], s[2:3], 2
	s_add_u32 s8, s8, s16
	s_addc_u32 s9, s9, s17
	s_load_dword s44, s[8:9], 0x0
.LBB167_2:
	s_load_dword s33, s[6:7], 0x0
	s_load_dwordx4 s[16:19], s[0:1], 0x48
	s_movk_i32 s3, 0x60
	s_ashr_i32 s8, s2, 31
	s_ashr_i32 s9, s14, 31
	v_and_b32_e32 v2, 7, v0
	s_mul_i32 s24, s2, 0x60
	v_cmp_gt_u32_e32 vcc, s3, v0
	v_lshlrev_b32_e32 v10, 2, v0
	v_lshrrev_b32_e32 v1, 1, v0
	s_and_saveexec_b64 s[6:7], vcc
	s_cbranch_execz .LBB167_4
; %bb.3:
	s_load_dwordx2 s[14:15], s[0:1], 0x8
	s_waitcnt lgkmcnt(0)
	s_mul_i32 s20, s10, s16
	s_ashr_i32 s21, s20, 31
	s_lshl_b64 s[20:21], s[20:21], 2
	v_and_b32_e32 v4, 0x1fc, v1
	s_add_u32 s3, s14, s20
	s_addc_u32 s16, s15, s21
	s_ashr_i32 s25, s24, 31
	s_lshl_b64 s[14:15], s[24:25], 2
	s_add_u32 s14, s3, s14
	s_addc_u32 s15, s16, s15
	global_load_dword v3, v10, s[14:15]
	v_mad_u32_u24 v4, v2, 48, v4
	s_waitcnt vmcnt(0)
	ds_write_b32 v4, v3
.LBB167_4:
	s_or_b64 exec, exec, s[6:7]
	s_mul_i32 s7, s13, s11
	s_sub_i32 s7, s12, s7
	s_xor_b32 s6, s8, s9
	s_add_i32 s8, s13, 1
	s_sub_i32 s9, s7, s11
	s_load_dwordx4 s[20:23], s[0:1], 0x68
	s_load_dword s3, s[0:1], 0x78
	s_cmp_ge_u32 s7, s11
	s_cselect_b32 s8, s8, s13
	s_cselect_b32 s7, s9, s7
	s_add_i32 s9, s8, 1
	s_cmp_ge_u32 s7, s11
	s_cselect_b32 s7, s9, s8
	s_waitcnt lgkmcnt(0)
	s_abs_i32 s25, s23
	v_cvt_f32_u32_e32 v3, s25
	s_xor_b32 s7, s7, s6
	s_sub_i32 s43, s7, s6
	s_sub_i32 s6, 0, s25
	v_rcp_iflag_f32_e32 v3, v3
	s_add_i32 s11, s33, -1
	s_abs_i32 s8, s11
	v_mul_f32_e32 v3, 0x4f7ffffe, v3
	v_cvt_u32_f32_e32 v3, v3
	s_barrier
	v_readfirstlane_b32 s42, v3
	s_mul_i32 s6, s6, s42
	s_mul_hi_u32 s6, s42, s6
	s_add_i32 s42, s42, s6
	s_cmp_lt_i32 s3, 0
	s_mul_hi_u32 s9, s8, s42
	s_cbranch_scc0 .LBB167_6
; %bb.5:
	s_mul_i32 s6, s20, s36
	s_add_i32 s6, s43, s6
	s_mul_i32 s6, s6, s3
	s_sub_i32 s36, 1, s6
	s_mov_b64 s[6:7], 0
	s_branch .LBB167_7
.LBB167_6:
	s_mov_b64 s[6:7], -1
                                        ; implicit-def: $sgpr36
.LBB167_7:
	s_load_dwordx2 s[28:29], s[0:1], 0x28
	s_ashr_i32 s16, s11, 31
	s_andn2_b64 vcc, exec, s[6:7]
	s_ashr_i32 s23, s23, 31
	s_cbranch_vccnz .LBB167_9
; %bb.8:
	s_mul_i32 s6, s5, s20
	s_add_i32 s2, s6, s2
	s_mul_i32 s2, s2, s3
	s_add_i32 s36, s2, 1
.LBB167_9:
	s_load_dword s2, s[0:1], 0x38
	s_load_dwordx2 s[26:27], s[0:1], 0x0
	s_load_dwordx2 s[34:35], s[0:1], 0x18
	s_load_dword s11, s[0:1], 0x88
	s_load_dwordx4 s[12:15], s[0:1], 0x58
	s_mul_i32 s3, s9, s25
	s_waitcnt lgkmcnt(0)
	s_mul_i32 s30, s10, s2
	s_sub_i32 s3, s8, s3
	s_ashr_i32 s31, s30, 31
	s_xor_b32 s2, s16, s23
	s_add_i32 s6, s9, 1
	s_sub_i32 s7, s3, s25
	s_cmp_ge_u32 s3, s25
	s_cselect_b32 s6, s6, s9
	s_cselect_b32 s3, s7, s3
	s_add_i32 s7, s6, 1
	s_cmp_ge_u32 s3, s25
	s_cselect_b32 s3, s7, s6
	s_xor_b32 s3, s3, s2
	s_sub_i32 s16, s3, s2
	s_add_i32 s2, s33, 7
	s_ashr_i32 s3, s2, 31
	s_lshr_b32 s3, s3, 29
	s_add_i32 s2, s2, s3
	s_ashr_i32 s20, s2, 3
	v_lshrrev_b32_e32 v9, 6, v0
	v_cmp_gt_i32_e64 s[6:7], s20, v9
	v_mov_b32_e32 v14, 0xff7fffff
	s_mul_i32 s43, s43, s18
	v_lshrrev_b32_e32 v12, 4, v0
	v_lshlrev_b32_e32 v26, 3, v9
	v_mbcnt_lo_u32_b32 v8, -1, 0
	s_and_saveexec_b64 s[18:19], s[6:7]
	s_cbranch_execz .LBB167_19
; %bb.10:
	s_load_dwordx2 s[0:1], s[0:1], 0x10
	s_sub_i32 s45, s16, s21
	s_ashr_i32 s2, s43, 31
	v_bfe_u32 v11, v0, 3, 3
	v_mov_b32_e32 v7, 0
	s_waitcnt lgkmcnt(0)
	s_add_u32 s0, s0, s43
	s_addc_u32 s1, s1, s2
	s_abs_i32 s46, s22
	v_cvt_f32_u32_e32 v3, s46
	v_lshlrev_b32_e32 v6, 4, v11
	v_lshl_add_u64 v[4:5], s[0:1], 0, v[6:7]
	s_sub_i32 s0, 0, s46
	v_rcp_iflag_f32_e32 v3, v3
	v_mbcnt_hi_u32_b32 v20, -1, v8
	v_cmp_eq_u32_e32 vcc, 0, v2
	s_mov_b32 s47, s17
	v_mul_f32_e32 v3, 0x4f7ffffe, v3
	v_cvt_u32_f32_e32 v14, v3
	v_mul_u32_u24_e32 v13, 48, v2
	v_cmp_neq_f32_e64 s[2:3], s44, 0
	v_mov_b32_e32 v3, v7
	v_mul_lo_u32 v6, s0, v14
	v_mul_hi_u32 v6, v14, v6
	v_add_u32_e32 v15, v14, v6
	v_lshlrev_b32_e32 v14, 2, v11
	s_lshl_b64 s[0:1], s[30:31], 2
	v_lshl_or_b32 v14, v9, 5, v14
	s_add_u32 s0, s28, s0
	v_add_u32_e32 v17, 0x190, v14
	v_subrev_u32_e32 v14, s33, v11
	v_and_b32_e32 v6, 60, v12
	s_addc_u32 s1, s29, s1
	v_add_u32_e32 v18, 1, v14
	v_and_b32_e32 v14, 64, v20
	v_lshl_add_u64 v[6:7], s[0:1], 0, v[6:7]
	v_lshlrev_b32_e32 v16, 3, v9
	s_mov_b64 s[38:39], 0
	v_mov_b32_e32 v19, 0xff7fffff
	v_add_u32_e32 v21, 64, v14
	v_xor_b32_e32 v22, 4, v20
	v_xor_b32_e32 v23, 2, v20
	;; [unrolled: 1-line block ×3, first 2 shown]
	v_mov_b32_e32 v14, 0xff7fffff
	v_mov_b32_e32 v25, v9
	s_branch .LBB167_13
.LBB167_11:                             ;   in Loop: Header=BB167_13 Depth=1
	s_or_b64 exec, exec, s[40:41]
.LBB167_12:                             ;   in Loop: Header=BB167_13 Depth=1
	s_or_b64 exec, exec, s[8:9]
	v_add_u32_e32 v25, 2, v25
	v_cmp_le_i32_e64 s[0:1], s20, v25
	v_lshl_add_u64 v[6:7], v[6:7], 0, 8
	v_add_u32_e32 v16, 16, v16
	s_or_b64 s[38:39], s[0:1], s[38:39]
	v_add_u32_e32 v17, 64, v17
	s_andn2_b64 exec, exec, s[38:39]
	s_cbranch_execz .LBB167_18
.LBB167_13:                             ; =>This Inner Loop Header: Depth=1
	v_mul_hi_u32 v27, v16, s42
	s_waitcnt lgkmcnt(0)
	v_mul_lo_u32 v28, v27, s25
	v_sub_u32_e32 v28, v16, v28
	v_add_u32_e32 v29, 1, v27
	v_cmp_le_u32_e64 s[0:1], s25, v28
	s_nop 1
	v_cndmask_b32_e64 v27, v27, v29, s[0:1]
	v_subrev_u32_e32 v29, s25, v28
	v_cndmask_b32_e64 v28, v28, v29, s[0:1]
	v_add_u32_e32 v29, 1, v27
	v_cmp_le_u32_e64 s[0:1], s25, v28
	s_nop 1
	v_cndmask_b32_e64 v27, v27, v29, s[0:1]
	v_xor_b32_e32 v27, s23, v27
	v_subrev_u32_e32 v27, s23, v27
	v_add_u32_e32 v28, s36, v27
	v_sub_u32_e32 v30, 0, v28
	v_ashrrev_i32_e32 v29, 31, v28
	v_max_i32_e32 v28, v28, v30
	v_mul_hi_u32 v30, v28, v15
	v_mul_lo_u32 v30, v30, s46
	v_sub_u32_e32 v28, v28, v30
	v_subrev_u32_e32 v30, s46, v28
	v_cmp_le_u32_e64 s[0:1], s46, v28
	v_cmp_ge_i32_e64 s[8:9], s45, v27
	s_nop 0
	v_cndmask_b32_e64 v28, v28, v30, s[0:1]
	v_subrev_u32_e32 v30, s46, v28
	v_cmp_le_u32_e64 s[0:1], s46, v28
	s_nop 1
	v_cndmask_b32_e64 v28, v28, v30, s[0:1]
	v_xor_b32_e32 v28, v28, v29
	v_sub_u32_e32 v28, v28, v29
	v_cmp_ne_u32_e64 s[0:1], 0, v28
	s_and_b64 s[0:1], s[0:1], s[8:9]
	s_and_b64 s[40:41], vcc, s[0:1]
	s_and_saveexec_b64 s[8:9], s[40:41]
	s_cbranch_execz .LBB167_15
; %bb.14:                               ;   in Loop: Header=BB167_13 Depth=1
	ds_write_b32 v17, v19
.LBB167_15:                             ;   in Loop: Header=BB167_13 Depth=1
	s_or_b64 exec, exec, s[8:9]
	s_xor_b64 s[0:1], s[0:1], -1
	s_and_saveexec_b64 s[8:9], s[0:1]
	s_cbranch_execz .LBB167_12
; %bb.16:                               ;   in Loop: Header=BB167_13 Depth=1
	global_load_dword v27, v[6:7], off
	s_waitcnt vmcnt(0)
	v_mad_i64_i32 v[28:29], s[0:1], v27, s47, v[4:5]
	v_lshl_add_u64 v[28:29], v[28:29], 0, v[2:3]
	global_load_ubyte v27, v[28:29], off
	global_load_ubyte v40, v[28:29], off offset:8
	global_load_ubyte v41, v[28:29], off offset:128
	;; [unrolled: 1-line block ×11, first 2 shown]
	v_cmp_lt_i32_e64 s[0:1], v22, v21
	ds_read_b128 v[28:31], v13
	ds_read_b128 v[32:35], v13 offset:16
	ds_read_b128 v[36:39], v13 offset:32
	v_cndmask_b32_e64 v51, v20, v22, s[0:1]
	s_load_dword s0, s[12:13], 0x0
	v_lshlrev_b32_e32 v51, 2, v51
	s_waitcnt vmcnt(11)
	v_cvt_f32_fp8_sdwa v27, v27 src0_sel:BYTE_0
	s_waitcnt vmcnt(10)
	v_cvt_f32_fp8_sdwa v40, v40 src0_sel:BYTE_0
	;; [unrolled: 2-line block ×5, first 2 shown]
	s_waitcnt lgkmcnt(0)
	v_mul_f32_e32 v40, s0, v40
	s_waitcnt vmcnt(6)
	v_cvt_f32_fp8_sdwa v44, v44 src0_sel:BYTE_0
	v_mul_f32_e32 v27, s0, v27
	v_mul_f32_e32 v29, v29, v40
	s_waitcnt vmcnt(5)
	v_cvt_f32_fp8_sdwa v45, v45 src0_sel:BYTE_0
	v_mul_f32_e32 v41, s0, v41
	v_fmac_f32_e32 v29, v28, v27
	s_waitcnt vmcnt(4)
	v_cvt_f32_fp8_sdwa v46, v46 src0_sel:BYTE_0
	v_mul_f32_e32 v42, s0, v42
	v_fmac_f32_e32 v29, v30, v41
	;; [unrolled: 4-line block ×6, first 2 shown]
	v_mul_f32_e32 v47, s0, v47
	v_fmac_f32_e32 v29, v35, v46
	v_mul_f32_e32 v48, s0, v48
	v_fmac_f32_e32 v29, v36, v47
	;; [unrolled: 2-line block ×4, first 2 shown]
	v_fmac_f32_e32 v29, v39, v50
	ds_bpermute_b32 v27, v51, v29
	v_cmp_lt_i32_e64 s[0:1], v23, v21
	s_waitcnt lgkmcnt(0)
	v_add_f32_e32 v27, v29, v27
	v_cndmask_b32_e64 v28, v20, v23, s[0:1]
	v_lshlrev_b32_e32 v28, 2, v28
	ds_bpermute_b32 v28, v28, v27
	v_cmp_lt_i32_e64 s[0:1], v24, v21
	s_waitcnt lgkmcnt(0)
	v_add_f32_e32 v27, v27, v28
	v_cndmask_b32_e64 v29, v20, v24, s[0:1]
	v_lshlrev_b32_e32 v29, 2, v29
	ds_bpermute_b32 v28, v29, v27
	s_and_saveexec_b64 s[40:41], vcc
	s_cbranch_execz .LBB167_11
; %bb.17:                               ;   in Loop: Header=BB167_13 Depth=1
	v_add_u32_e32 v29, v18, v16
	v_cvt_f32_i32_e32 v29, v29
	s_waitcnt lgkmcnt(0)
	v_add_f32_e32 v27, v27, v28
	v_add_u32_e32 v30, v11, v16
	v_cmp_gt_i32_e64 s[0:1], s33, v30
	v_mul_f32_e32 v28, s44, v29
	v_cndmask_b32_e64 v28, 0, v28, s[2:3]
	v_fmac_f32_e32 v28, s37, v27
	v_cndmask_b32_e64 v27, 0, v28, s[0:1]
	ds_write_b32 v17, v27
	v_max_f32_e32 v27, v14, v14
	v_max_f32_e32 v27, v27, v28
	v_cndmask_b32_e64 v14, v14, v27, s[0:1]
	s_branch .LBB167_11
.LBB167_18:
	s_or_b64 exec, exec, s[38:39]
.LBB167_19:
	s_or_b64 exec, exec, s[18:19]
	v_mbcnt_hi_u32_b32 v2, -1, v8
	v_and_b32_e32 v3, 64, v2
	v_add_u32_e32 v3, 64, v3
	v_xor_b32_e32 v4, 32, v2
	v_cmp_lt_i32_e32 vcc, v4, v3
	v_xor_b32_e32 v7, 16, v2
	v_max_f32_e32 v6, v14, v14
	v_cndmask_b32_e32 v4, v2, v4, vcc
	v_lshlrev_b32_e32 v5, 2, v4
	ds_bpermute_b32 v4, v5, v14
	v_cmp_lt_i32_e32 vcc, v7, v3
	v_xor_b32_e32 v8, 8, v2
	v_and_b32_e32 v27, 63, v0
	s_waitcnt lgkmcnt(0)
	v_max_f32_e32 v4, v4, v4
	v_max_f32_e32 v4, v6, v4
	v_cndmask_b32_e32 v6, v2, v7, vcc
	v_lshlrev_b32_e32 v7, 2, v6
	ds_bpermute_b32 v6, v7, v4
	v_cmp_lt_i32_e32 vcc, v8, v3
	s_waitcnt lgkmcnt(0)
	v_max_f32_e32 v6, v6, v6
	v_max_f32_e32 v6, v4, v6
	v_cndmask_b32_e32 v4, v2, v8, vcc
	v_lshlrev_b32_e32 v8, 2, v4
	ds_bpermute_b32 v11, v8, v6
	v_cmp_eq_u32_e32 vcc, 0, v27
	v_lshlrev_b32_e32 v4, 2, v9
	s_and_saveexec_b64 s[0:1], vcc
	s_cbranch_execz .LBB167_21
; %bb.20:
	s_waitcnt lgkmcnt(0)
	v_max_f32_e32 v11, v11, v11
	v_max_f32_e32 v6, v6, v6
	;; [unrolled: 1-line block ×3, first 2 shown]
	ds_write_b32 v4, v6 offset:384
.LBB167_21:
	s_or_b64 exec, exec, s[0:1]
	v_cmp_gt_u32_e64 s[0:1], 2, v27
	s_waitcnt lgkmcnt(0)
	v_mov_b32_e32 v11, 0xff7fffff
	v_lshlrev_b32_e32 v6, 2, v27
	s_barrier
	s_and_saveexec_b64 s[2:3], s[0:1]
	s_cbranch_execz .LBB167_23
; %bb.22:
	ds_read_b32 v11, v6 offset:384
.LBB167_23:
	s_or_b64 exec, exec, s[2:3]
	v_xor_b32_e32 v13, 1, v2
	v_cmp_lt_i32_e64 s[2:3], v13, v3
	v_lshlrev_b32_e32 v14, 2, v2
	s_nop 0
	v_cndmask_b32_e64 v13, v2, v13, s[2:3]
	v_lshlrev_b32_e32 v28, 2, v13
	s_waitcnt lgkmcnt(0)
	ds_bpermute_b32 v13, v28, v11
	v_max_f32_e32 v11, v11, v11
	s_lshl_b32 s2, s20, 3
	s_min_i32 s37, s2, s33
	v_cmp_gt_i32_e64 s[2:3], s37, v0
	s_waitcnt lgkmcnt(0)
	v_max_f32_e32 v13, v13, v13
	v_max_f32_e32 v13, v11, v13
	v_and_b32_e32 v11, 0x100, v14
	ds_bpermute_b32 v14, v11, v13
	v_mov_b32_e32 v13, 0
	s_and_saveexec_b64 s[12:13], s[2:3]
	s_cbranch_execz .LBB167_27
; %bb.24:
	v_mov_b32_e32 v13, 0x190
	v_lshl_add_u32 v15, v0, 2, v13
	s_mov_b64 s[18:19], 0
	v_mov_b32_e32 v13, 0
	v_mov_b32_e32 v16, v0
.LBB167_25:                             ; =>This Inner Loop Header: Depth=1
	ds_read_b32 v17, v15
	v_add_u32_e32 v16, 0x80, v16
	v_cmp_le_i32_e64 s[8:9], s37, v16
	s_or_b64 s[18:19], s[8:9], s[18:19]
	s_waitcnt lgkmcnt(0)
	v_sub_f32_e32 v17, v17, v14
	v_mul_f32_e32 v17, 0x3fb8aa3b, v17
	v_exp_f32_e32 v17, v17
	ds_write_b32 v15, v17
	v_add_f32_e32 v13, v13, v17
	v_add_u32_e32 v15, 0x200, v15
	s_andn2_b64 exec, exec, s[18:19]
	s_cbranch_execnz .LBB167_25
; %bb.26:
	s_or_b64 exec, exec, s[18:19]
.LBB167_27:
	s_or_b64 exec, exec, s[12:13]
	ds_bpermute_b32 v5, v5, v13
	s_waitcnt lgkmcnt(0)
	v_add_f32_e32 v5, v13, v5
	ds_bpermute_b32 v7, v7, v5
	s_waitcnt lgkmcnt(0)
	v_add_f32_e32 v5, v5, v7
	ds_bpermute_b32 v7, v8, v5
	v_xor_b32_e32 v8, 4, v2
	v_cmp_lt_i32_e64 s[8:9], v8, v3
	s_waitcnt lgkmcnt(0)
	v_add_f32_e32 v5, v5, v7
	v_cndmask_b32_e64 v8, v2, v8, s[8:9]
	v_lshlrev_b32_e32 v8, 2, v8
	ds_bpermute_b32 v7, v8, v5
	v_xor_b32_e32 v8, 2, v2
	v_cmp_lt_i32_e64 s[8:9], v8, v3
	s_waitcnt lgkmcnt(0)
	v_add_f32_e32 v3, v5, v7
	v_cndmask_b32_e64 v2, v2, v8, s[8:9]
	v_lshlrev_b32_e32 v2, 2, v2
	ds_bpermute_b32 v2, v2, v3
	s_waitcnt lgkmcnt(0)
	v_add_f32_e32 v2, v3, v2
	ds_bpermute_b32 v3, v28, v2
	s_waitcnt lgkmcnt(0)
	v_add_f32_e32 v2, v2, v3
	s_and_saveexec_b64 s[8:9], vcc
	s_cbranch_execz .LBB167_29
; %bb.28:
	ds_write_b32 v4, v2 offset:392
.LBB167_29:
	s_or_b64 exec, exec, s[8:9]
	s_waitcnt lgkmcnt(0)
	s_barrier
	s_and_saveexec_b64 s[8:9], s[0:1]
	s_cbranch_execz .LBB167_31
; %bb.30:
	ds_read_b32 v2, v6 offset:392
.LBB167_31:
	s_or_b64 exec, exec, s[8:9]
	s_waitcnt lgkmcnt(0)
	ds_bpermute_b32 v3, v28, v2
	s_waitcnt lgkmcnt(0)
	v_add_f32_e32 v2, v2, v3
	ds_bpermute_b32 v2, v11, v2
	s_and_saveexec_b64 s[0:1], s[2:3]
	s_cbranch_execz .LBB167_44
; %bb.32:
	s_waitcnt lgkmcnt(0)
	v_add_f32_e32 v2, 0x358637bd, v2
	v_div_scale_f32 v3, s[2:3], v2, v2, 1.0
	v_rcp_f32_e32 v4, v3
	v_div_scale_f32 v5, vcc, 1.0, v2, 1.0
	s_movk_i32 s2, 0x7f
	v_fma_f32 v6, -v3, v4, 1.0
	v_fmac_f32_e32 v4, v6, v4
	v_mul_f32_e32 v6, v5, v4
	v_fma_f32 v7, -v3, v6, v5
	v_fmac_f32_e32 v6, v7, v4
	v_fma_f32 v3, -v3, v6, v5
	v_div_fmas_f32 v3, v3, v4, v6
	v_xad_u32 v4, v0, -1, s37
	v_div_fixup_f32 v2, v3, v2, 1.0
	v_cmp_lt_u32_e32 vcc, s2, v4
	s_mov_b64 s[8:9], -1
	v_mov_b32_e32 v3, v0
	s_and_saveexec_b64 s[2:3], vcc
	s_cbranch_execz .LBB167_41
; %bb.33:
	v_lshrrev_b32_e32 v4, 7, v4
	v_add_u32_e32 v6, -1, v4
	v_lshrrev_b32_e32 v5, 1, v6
	v_mov_b32_e32 v3, v2
	v_add_u32_e32 v5, 1, v5
	v_cmp_lt_u32_e32 vcc, 13, v6
	v_mov_b32_e32 v8, 0
	s_and_saveexec_b64 s[8:9], vcc
	s_cbranch_execz .LBB167_37
; %bb.34:
	v_mov_b32_e32 v7, 0x190
	v_and_b32_e32 v6, -8, v5
	v_lshl_add_u32 v7, v0, 2, v7
	s_mov_b32 s18, 0
	s_mov_b64 s[12:13], 0
.LBB167_35:                             ; =>This Inner Loop Header: Depth=1
	ds_read2st64_b32 v[14:15], v7 offset1:2
	ds_read2st64_b32 v[16:17], v7 offset0:4 offset1:6
	ds_read2st64_b32 v[18:19], v7 offset0:8 offset1:10
	;; [unrolled: 1-line block ×3, first 2 shown]
	v_add_u32_e32 v6, -8, v6
	s_waitcnt lgkmcnt(3)
	v_pk_mul_f32 v[14:15], v[2:3], v[14:15]
	s_waitcnt lgkmcnt(2)
	v_pk_mul_f32 v[16:17], v[2:3], v[16:17]
	ds_write2st64_b32 v7, v14, v15 offset1:2
	ds_write2st64_b32 v7, v16, v17 offset0:4 offset1:6
	ds_read2st64_b32 v[16:17], v7 offset0:16 offset1:18
	s_waitcnt lgkmcnt(4)
	v_pk_mul_f32 v[14:15], v[2:3], v[18:19]
	ds_write2st64_b32 v7, v14, v15 offset0:8 offset1:10
	s_waitcnt lgkmcnt(4)
	v_pk_mul_f32 v[14:15], v[2:3], v[20:21]
	ds_write2st64_b32 v7, v14, v15 offset0:12 offset1:14
	ds_read2st64_b32 v[14:15], v7 offset0:20 offset1:22
	s_waitcnt lgkmcnt(3)
	v_pk_mul_f32 v[16:17], v[2:3], v[16:17]
	ds_read2st64_b32 v[18:19], v7 offset0:24 offset1:26
	ds_write2st64_b32 v7, v16, v17 offset0:16 offset1:18
	ds_read2st64_b32 v[16:17], v7 offset0:28 offset1:30
	s_waitcnt lgkmcnt(3)
	v_pk_mul_f32 v[14:15], v[2:3], v[14:15]
	ds_write2st64_b32 v7, v14, v15 offset0:20 offset1:22
	s_waitcnt lgkmcnt(3)
	v_pk_mul_f32 v[14:15], v[2:3], v[18:19]
	ds_write2st64_b32 v7, v14, v15 offset0:24 offset1:26
	s_waitcnt lgkmcnt(2)
	v_pk_mul_f32 v[14:15], v[2:3], v[16:17]
	s_add_i32 s18, s18, 16
	v_cmp_eq_u32_e32 vcc, 0, v6
	ds_write2st64_b32 v7, v14, v15 offset0:28 offset1:30
	v_add_u32_e32 v7, 0x2000, v7
	s_or_b64 s[12:13], vcc, s[12:13]
	v_mov_b32_e32 v8, s18
	s_andn2_b64 exec, exec, s[12:13]
	s_cbranch_execnz .LBB167_35
; %bb.36:
	s_or_b64 exec, exec, s[12:13]
.LBB167_37:
	s_or_b64 exec, exec, s[8:9]
	v_and_b32_e32 v5, 7, v5
	v_cmp_ne_u32_e32 vcc, 0, v5
	s_and_saveexec_b64 s[8:9], vcc
	s_cbranch_execz .LBB167_40
; %bb.38:
	v_lshlrev_b32_e32 v6, 9, v8
	s_movk_i32 s12, 0x190
	v_add3_u32 v6, v6, v10, s12
	s_mov_b64 s[12:13], 0
.LBB167_39:                             ; =>This Inner Loop Header: Depth=1
	ds_read2st64_b32 v[14:15], v6 offset1:2
	v_add_u32_e32 v5, -1, v5
	v_cmp_eq_u32_e32 vcc, 0, v5
	s_or_b64 s[12:13], vcc, s[12:13]
	s_waitcnt lgkmcnt(0)
	v_pk_mul_f32 v[14:15], v[2:3], v[14:15]
	ds_write2st64_b32 v6, v14, v15 offset1:2
	v_add_u32_e32 v6, 0x400, v6
	s_andn2_b64 exec, exec, s[12:13]
	s_cbranch_execnz .LBB167_39
.LBB167_40:
	s_or_b64 exec, exec, s[8:9]
	v_add_u32_e32 v4, 1, v4
	v_and_b32_e32 v5, 0x3fffffe, v4
	v_cmp_ne_u32_e32 vcc, v4, v5
	v_lshl_add_u32 v3, v5, 7, v0
	s_orn2_b64 s[8:9], vcc, exec
.LBB167_41:
	s_or_b64 exec, exec, s[2:3]
	s_and_b64 exec, exec, s[8:9]
	s_cbranch_execz .LBB167_44
; %bb.42:
	v_mov_b32_e32 v4, 0x190
	v_lshl_add_u32 v4, v3, 2, v4
	s_mov_b64 s[2:3], 0
.LBB167_43:                             ; =>This Inner Loop Header: Depth=1
	ds_read_b32 v5, v4
	v_add_u32_e32 v3, 0x80, v3
	v_cmp_le_i32_e32 vcc, s37, v3
	s_or_b64 s[2:3], vcc, s[2:3]
	s_waitcnt lgkmcnt(0)
	v_mul_f32_e32 v5, v2, v5
	ds_write_b32 v4, v5
	v_add_u32_e32 v4, 0x200, v4
	s_andn2_b64 exec, exec, s[2:3]
	s_cbranch_execnz .LBB167_43
.LBB167_44:
	s_or_b64 exec, exec, s[0:1]
	s_mov_b32 s0, 0
	v_mov_b32_e32 v8, 0
	v_and_b32_e32 v29, 1, v0
	v_mov_b32_e32 v7, 0
	v_mov_b32_e32 v6, 0
	s_waitcnt lgkmcnt(0)
	s_barrier
	s_and_saveexec_b64 s[8:9], s[6:7]
	s_cbranch_execz .LBB167_56
; %bb.45:
	s_sub_i32 s18, s16, s21
	s_ashr_i32 s1, s43, 31
	s_add_u32 s2, s34, s43
	s_addc_u32 s3, s35, s1
	s_abs_i32 s19, s22
	v_cvt_f32_u32_e32 v2, s19
	v_mov_b32_e32 v3, 0
	s_sub_i32 s1, 0, s19
	v_and_b32_e32 v30, 4, v10
	v_rcp_iflag_f32_e32 v4, v2
	v_and_b32_e32 v2, 0xfc, v10
	s_add_i32 s22, s20, -1
	v_lshl_add_u64 v[10:11], s[2:3], 0, v[2:3]
	v_mul_f32_e32 v4, 0x4f7ffffe, v4
	v_cvt_u32_f32_e32 v4, v4
	s_lshl_b64 s[2:3], s[30:31], 2
	s_add_u32 s2, s28, s2
	s_addc_u32 s3, s29, s3
	v_mul_lo_u32 v2, s1, v4
	v_mul_hi_u32 v2, v4, v2
	v_add_u32_e32 v31, v4, v2
	v_and_b32_e32 v2, 60, v12
	v_lshl_add_u64 v[12:13], s[2:3], 0, v[2:3]
	v_lshlrev_b32_e32 v2, 4, v29
	s_mov_b32 s2, s0
	v_lshl_or_b32 v2, v9, 5, v2
	s_mov_b32 s1, s0
	v_mov_b32_e32 v8, s2
	s_mov_b32 s21, s17
	v_add_u32_e32 v32, 0x190, v2
	s_mov_b64 s[6:7], 0
	v_mov_b32_e32 v7, s1
	v_mov_b32_e32 v6, s0
	s_branch .LBB167_48
.LBB167_46:                             ;   in Loop: Header=BB167_48 Depth=1
	s_or_b64 exec, exec, s[0:1]
	v_mul_f32_e32 v17, v3, v17
	v_fmac_f32_e32 v17, v2, v16
	v_fmac_f32_e32 v17, v4, v14
	v_mul_f32_e32 v14, v3, v23
	v_mul_f32_e32 v3, v3, v25
	v_fmac_f32_e32 v14, v2, v22
	v_fmac_f32_e32 v3, v2, v24
	;; [unrolled: 1-line block ×7, first 2 shown]
	v_add_f32_e32 v6, v6, v17
	v_add_f32_e32 v7, v7, v14
	v_add_f32_e32 v8, v8, v3
.LBB167_47:                             ;   in Loop: Header=BB167_48 Depth=1
	s_or_b64 exec, exec, s[2:3]
	v_add_u32_e32 v9, 2, v9
	v_cmp_le_i32_e32 vcc, s20, v9
	v_lshl_add_u64 v[12:13], v[12:13], 0, 8
	v_add_u32_e32 v26, 16, v26
	s_or_b64 s[6:7], vcc, s[6:7]
	v_add_u32_e32 v32, 64, v32
	s_andn2_b64 exec, exec, s[6:7]
	s_cbranch_execz .LBB167_55
.LBB167_48:                             ; =>This Inner Loop Header: Depth=1
	v_mul_hi_u32 v2, v26, s42
	v_mul_lo_u32 v3, v2, s25
	v_sub_u32_e32 v3, v26, v3
	v_add_u32_e32 v4, 1, v2
	v_cmp_le_u32_e32 vcc, s25, v3
	s_nop 1
	v_cndmask_b32_e32 v2, v2, v4, vcc
	v_subrev_u32_e32 v4, s25, v3
	v_cndmask_b32_e32 v3, v3, v4, vcc
	v_add_u32_e32 v4, 1, v2
	v_cmp_le_u32_e32 vcc, s25, v3
	s_nop 1
	v_cndmask_b32_e32 v2, v2, v4, vcc
	v_xor_b32_e32 v2, s23, v2
	v_subrev_u32_e32 v2, s23, v2
	v_add_u32_e32 v3, s36, v2
	v_sub_u32_e32 v5, 0, v3
	v_ashrrev_i32_e32 v4, 31, v3
	v_max_i32_e32 v3, v3, v5
	v_mul_hi_u32 v5, v3, v31
	v_mul_lo_u32 v5, v5, s19
	v_sub_u32_e32 v3, v3, v5
	v_subrev_u32_e32 v5, s19, v3
	v_cmp_le_u32_e32 vcc, s19, v3
	v_cmp_lt_i32_e64 s[0:1], s18, v2
	s_nop 0
	v_cndmask_b32_e32 v3, v3, v5, vcc
	v_subrev_u32_e32 v5, s19, v3
	v_cmp_le_u32_e32 vcc, s19, v3
	s_nop 1
	v_cndmask_b32_e32 v3, v3, v5, vcc
	v_xor_b32_e32 v3, v3, v4
	v_sub_u32_e32 v3, v3, v4
	v_cmp_eq_u32_e32 vcc, 0, v3
	s_or_b64 s[0:1], vcc, s[0:1]
	s_and_saveexec_b64 s[2:3], s[0:1]
	s_cbranch_execz .LBB167_47
; %bb.49:                               ;   in Loop: Header=BB167_48 Depth=1
	global_load_dword v2, v[12:13], off
	s_load_dword s12, s[14:15], 0x0
	v_add_u32_e32 v33, v30, v26
	v_cmp_eq_u32_e32 vcc, s22, v9
	v_add_u32_e32 v35, 1, v33
	v_add_u32_e32 v34, 2, v33
	;; [unrolled: 1-line block ×3, first 2 shown]
	s_waitcnt vmcnt(0)
	v_mad_i64_i32 v[18:19], s[0:1], v2, s21, v[10:11]
	global_load_dword v14, v[18:19], off
	ds_read_b128 v[2:5], v32
	s_waitcnt vmcnt(0)
	v_and_b32_e32 v15, 0xffff, v14
	v_lshrrev_b32_e32 v16, 16, v14
	v_cvt_pk_f32_fp8_e32 v[14:15], v15
	v_cvt_pk_f32_fp8_e32 v[20:21], v16
	s_waitcnt lgkmcnt(0)
	v_pk_mul_f32 v[16:17], s[12:13], v[14:15] op_sel_hi:[0,1]
	v_pk_mul_f32 v[14:15], s[12:13], v[20:21] op_sel_hi:[0,1]
	s_and_saveexec_b64 s[16:17], vcc
; %bb.50:                               ;   in Loop: Header=BB167_48 Depth=1
	v_cmp_gt_i32_e64 s[0:1], s33, v33
	s_nop 1
	v_cndmask_b32_e64 v16, 0, v16, s[0:1]
	v_cmp_gt_i32_e64 s[0:1], s33, v35
	s_nop 1
	v_cndmask_b32_e64 v17, 0, v17, s[0:1]
	;; [unrolled: 3-line block ×4, first 2 shown]
; %bb.51:                               ;   in Loop: Header=BB167_48 Depth=1
	s_or_b64 exec, exec, s[16:17]
	global_load_dword v20, v[18:19], off offset:256
	s_mov_b32 s13, s12
	s_waitcnt vmcnt(0)
	v_and_b32_e32 v21, 0xffff, v20
	v_lshrrev_b32_e32 v22, 16, v20
	v_cvt_pk_f32_fp8_e32 v[20:21], v21
	v_cvt_pk_f32_fp8_e32 v[24:25], v22
	v_pk_mul_f32 v[22:23], s[12:13], v[20:21]
	v_pk_mul_f32 v[20:21], s[12:13], v[24:25]
	s_and_saveexec_b64 s[16:17], vcc
; %bb.52:                               ;   in Loop: Header=BB167_48 Depth=1
	v_cmp_gt_i32_e64 s[0:1], s33, v33
	s_nop 1
	v_cndmask_b32_e64 v22, 0, v22, s[0:1]
	v_cmp_gt_i32_e64 s[0:1], s33, v35
	s_nop 1
	v_cndmask_b32_e64 v23, 0, v23, s[0:1]
	v_cmp_gt_i32_e64 s[0:1], s33, v34
	s_nop 1
	v_cndmask_b32_e64 v20, 0, v20, s[0:1]
	v_cmp_gt_i32_e64 s[0:1], s33, v36
	s_nop 1
	v_cndmask_b32_e64 v21, 0, v21, s[0:1]
; %bb.53:                               ;   in Loop: Header=BB167_48 Depth=1
	s_or_b64 exec, exec, s[16:17]
	global_load_dword v18, v[18:19], off offset:512
	s_waitcnt vmcnt(0)
	v_and_b32_e32 v19, 0xffff, v18
	v_lshrrev_b32_e32 v24, 16, v18
	v_cvt_pk_f32_fp8_e32 v[18:19], v19
	v_cvt_pk_f32_fp8_e32 v[38:39], v24
	v_pk_mul_f32 v[24:25], s[12:13], v[18:19]
	v_pk_mul_f32 v[18:19], s[12:13], v[38:39]
	s_and_saveexec_b64 s[0:1], vcc
	s_cbranch_execz .LBB167_46
; %bb.54:                               ;   in Loop: Header=BB167_48 Depth=1
	v_cmp_gt_i32_e32 vcc, s33, v33
	s_nop 1
	v_cndmask_b32_e32 v24, 0, v24, vcc
	v_cmp_gt_i32_e32 vcc, s33, v35
	s_nop 1
	v_cndmask_b32_e32 v25, 0, v25, vcc
	v_cmp_gt_i32_e32 vcc, s33, v34
	s_nop 1
	v_cndmask_b32_e32 v18, 0, v18, vcc
	v_cmp_gt_i32_e32 vcc, s33, v36
	s_nop 1
	v_cndmask_b32_e32 v19, 0, v19, vcc
	s_branch .LBB167_46
.LBB167_55:
	s_or_b64 exec, exec, s[6:7]
.LBB167_56:
	s_or_b64 exec, exec, s[8:9]
	ds_bpermute_b32 v2, v28, v6
	ds_bpermute_b32 v3, v28, v7
	;; [unrolled: 1-line block ×3, first 2 shown]
	v_and_b32_e32 v5, 0x3c1, v0
	v_cmp_eq_u32_e32 vcc, 64, v5
	s_waitcnt lgkmcnt(0)
	v_pk_add_f32 v[2:3], v[6:7], v[2:3]
	v_add_f32_e32 v4, v8, v4
	s_barrier
	s_and_saveexec_b64 s[0:1], vcc
	s_cbranch_execz .LBB167_58
; %bb.57:
	v_mov_b32_e32 v6, 0x190
	v_lshl_add_u32 v6, v27, 1, v6
	ds_write2_b32 v6, v2, v3 offset1:32
	ds_write_b32 v6, v4 offset:256
.LBB167_58:
	s_or_b64 exec, exec, s[0:1]
	v_cmp_gt_u32_e32 vcc, 64, v0
	s_waitcnt lgkmcnt(0)
	s_barrier
	s_and_saveexec_b64 s[0:1], vcc
	s_cbranch_execz .LBB167_64
; %bb.59:
	v_cmp_eq_u32_e32 vcc, 0, v29
	s_and_saveexec_b64 s[2:3], vcc
	s_cbranch_execnz .LBB167_67
; %bb.60:
	s_or_b64 exec, exec, s[2:3]
	s_and_saveexec_b64 s[2:3], vcc
	s_cbranch_execnz .LBB167_68
.LBB167_61:
	s_or_b64 exec, exec, s[2:3]
	s_and_saveexec_b64 s[2:3], vcc
	s_cbranch_execz .LBB167_63
.LBB167_62:
	v_mov_b32_e32 v6, 0x190
	v_lshl_add_u32 v1, v1, 2, v6
	ds_read_b32 v1, v1 offset:256
	s_waitcnt lgkmcnt(0)
	v_add_f32_e32 v4, v4, v1
.LBB167_63:
	s_or_b64 exec, exec, s[2:3]
.LBB167_64:
	s_or_b64 exec, exec, s[0:1]
	v_cmp_eq_u32_e32 vcc, 0, v5
	s_barrier
	s_and_saveexec_b64 s[0:1], vcc
	s_cbranch_execz .LBB167_66
; %bb.65:
	s_mul_i32 s0, s10, s11
	s_mul_i32 s0, s0, s5
	s_mulk_i32 s0, 0x60
	s_ashr_i32 s1, s0, 31
	s_lshl_b64 s[0:1], s[0:1], 2
	s_add_u32 s2, s26, s0
	s_mul_i32 s0, s11, s24
	s_addc_u32 s3, s27, s1
	s_ashr_i32 s1, s0, 31
	s_lshl_b64 s[0:1], s[0:1], 2
	s_add_u32 s2, s2, s0
	s_mul_i32 s0, s4, 0x60
	s_addc_u32 s3, s3, s1
	s_ashr_i32 s1, s0, 31
	s_lshl_b64 s[0:1], s[0:1], 2
	s_add_u32 s0, s2, s0
	s_addc_u32 s1, s3, s1
	v_lshlrev_b32_e32 v0, 1, v0
	global_store_dword v0, v2, s[0:1]
	global_store_dword v0, v3, s[0:1] offset:128
	global_store_dword v0, v4, s[0:1] offset:256
.LBB167_66:
	s_endpgm
.LBB167_67:
	v_mov_b32_e32 v6, 0x190
	v_lshl_add_u32 v6, v1, 2, v6
	ds_read_b32 v6, v6
	s_waitcnt lgkmcnt(0)
	v_add_f32_e32 v2, v2, v6
	s_or_b64 exec, exec, s[2:3]
	s_and_saveexec_b64 s[2:3], vcc
	s_cbranch_execz .LBB167_61
.LBB167_68:
	v_mov_b32_e32 v6, 0x190
	v_lshl_add_u32 v6, v1, 2, v6
	ds_read_b32 v6, v6 offset:128
	s_waitcnt lgkmcnt(0)
	v_add_f32_e32 v3, v3, v6
	s_or_b64 exec, exec, s[2:3]
	s_and_saveexec_b64 s[2:3], vcc
	s_cbranch_execnz .LBB167_62
	s_branch .LBB167_63
	.section	.rodata,"a",@progbits
	.p2align	6, 0x0
	.amdhsa_kernel _ZN4vllm25paged_attention_v1_kernelIfhLi96ELi8ELi128ELNS_18Fp8KVCacheDataTypeE1ELb1EEEvPT_PKS2_PKT0_S8_ifPKiSA_iPKfiiiSC_SC_iiiii
		.amdhsa_group_segment_fixed_size 400
		.amdhsa_private_segment_fixed_size 0
		.amdhsa_kernarg_size 384
		.amdhsa_user_sgpr_count 2
		.amdhsa_user_sgpr_dispatch_ptr 0
		.amdhsa_user_sgpr_queue_ptr 0
		.amdhsa_user_sgpr_kernarg_segment_ptr 1
		.amdhsa_user_sgpr_dispatch_id 0
		.amdhsa_user_sgpr_kernarg_preload_length 0
		.amdhsa_user_sgpr_kernarg_preload_offset 0
		.amdhsa_user_sgpr_private_segment_size 0
		.amdhsa_uses_dynamic_stack 0
		.amdhsa_enable_private_segment 0
		.amdhsa_system_sgpr_workgroup_id_x 1
		.amdhsa_system_sgpr_workgroup_id_y 1
		.amdhsa_system_sgpr_workgroup_id_z 1
		.amdhsa_system_sgpr_workgroup_info 0
		.amdhsa_system_vgpr_workitem_id 0
		.amdhsa_next_free_vgpr 52
		.amdhsa_next_free_sgpr 48
		.amdhsa_accum_offset 52
		.amdhsa_reserve_vcc 1
		.amdhsa_float_round_mode_32 0
		.amdhsa_float_round_mode_16_64 0
		.amdhsa_float_denorm_mode_32 3
		.amdhsa_float_denorm_mode_16_64 3
		.amdhsa_dx10_clamp 1
		.amdhsa_ieee_mode 1
		.amdhsa_fp16_overflow 0
		.amdhsa_tg_split 0
		.amdhsa_exception_fp_ieee_invalid_op 0
		.amdhsa_exception_fp_denorm_src 0
		.amdhsa_exception_fp_ieee_div_zero 0
		.amdhsa_exception_fp_ieee_overflow 0
		.amdhsa_exception_fp_ieee_underflow 0
		.amdhsa_exception_fp_ieee_inexact 0
		.amdhsa_exception_int_div_zero 0
	.end_amdhsa_kernel
	.section	.text._ZN4vllm25paged_attention_v1_kernelIfhLi96ELi8ELi128ELNS_18Fp8KVCacheDataTypeE1ELb1EEEvPT_PKS2_PKT0_S8_ifPKiSA_iPKfiiiSC_SC_iiiii,"axG",@progbits,_ZN4vllm25paged_attention_v1_kernelIfhLi96ELi8ELi128ELNS_18Fp8KVCacheDataTypeE1ELb1EEEvPT_PKS2_PKT0_S8_ifPKiSA_iPKfiiiSC_SC_iiiii,comdat
.Lfunc_end167:
	.size	_ZN4vllm25paged_attention_v1_kernelIfhLi96ELi8ELi128ELNS_18Fp8KVCacheDataTypeE1ELb1EEEvPT_PKS2_PKT0_S8_ifPKiSA_iPKfiiiSC_SC_iiiii, .Lfunc_end167-_ZN4vllm25paged_attention_v1_kernelIfhLi96ELi8ELi128ELNS_18Fp8KVCacheDataTypeE1ELb1EEEvPT_PKS2_PKT0_S8_ifPKiSA_iPKfiiiSC_SC_iiiii
                                        ; -- End function
	.section	.AMDGPU.csdata,"",@progbits
; Kernel info:
; codeLenInByte = 4572
; NumSgprs: 54
; NumVgprs: 52
; NumAgprs: 0
; TotalNumVgprs: 52
; ScratchSize: 0
; MemoryBound: 0
; FloatMode: 240
; IeeeMode: 1
; LDSByteSize: 400 bytes/workgroup (compile time only)
; SGPRBlocks: 6
; VGPRBlocks: 6
; NumSGPRsForWavesPerEU: 54
; NumVGPRsForWavesPerEU: 52
; AccumOffset: 52
; Occupancy: 8
; WaveLimiterHint : 1
; COMPUTE_PGM_RSRC2:SCRATCH_EN: 0
; COMPUTE_PGM_RSRC2:USER_SGPR: 2
; COMPUTE_PGM_RSRC2:TRAP_HANDLER: 0
; COMPUTE_PGM_RSRC2:TGID_X_EN: 1
; COMPUTE_PGM_RSRC2:TGID_Y_EN: 1
; COMPUTE_PGM_RSRC2:TGID_Z_EN: 1
; COMPUTE_PGM_RSRC2:TIDIG_COMP_CNT: 0
; COMPUTE_PGM_RSRC3_GFX90A:ACCUM_OFFSET: 12
; COMPUTE_PGM_RSRC3_GFX90A:TG_SPLIT: 0
	.section	.text._ZN4vllm25paged_attention_v1_kernelIfhLi112ELi8ELi128ELNS_18Fp8KVCacheDataTypeE1ELb1EEEvPT_PKS2_PKT0_S8_ifPKiSA_iPKfiiiSC_SC_iiiii,"axG",@progbits,_ZN4vllm25paged_attention_v1_kernelIfhLi112ELi8ELi128ELNS_18Fp8KVCacheDataTypeE1ELb1EEEvPT_PKS2_PKT0_S8_ifPKiSA_iPKfiiiSC_SC_iiiii,comdat
	.protected	_ZN4vllm25paged_attention_v1_kernelIfhLi112ELi8ELi128ELNS_18Fp8KVCacheDataTypeE1ELb1EEEvPT_PKS2_PKT0_S8_ifPKiSA_iPKfiiiSC_SC_iiiii ; -- Begin function _ZN4vllm25paged_attention_v1_kernelIfhLi112ELi8ELi128ELNS_18Fp8KVCacheDataTypeE1ELb1EEEvPT_PKS2_PKT0_S8_ifPKiSA_iPKfiiiSC_SC_iiiii
	.globl	_ZN4vllm25paged_attention_v1_kernelIfhLi112ELi8ELi128ELNS_18Fp8KVCacheDataTypeE1ELb1EEEvPT_PKS2_PKT0_S8_ifPKiSA_iPKfiiiSC_SC_iiiii
	.p2align	8
	.type	_ZN4vllm25paged_attention_v1_kernelIfhLi112ELi8ELi128ELNS_18Fp8KVCacheDataTypeE1ELb1EEEvPT_PKS2_PKT0_S8_ifPKiSA_iPKfiiiSC_SC_iiiii,@function
_ZN4vllm25paged_attention_v1_kernelIfhLi112ELi8ELi128ELNS_18Fp8KVCacheDataTypeE1ELb1EEEvPT_PKS2_PKT0_S8_ifPKiSA_iPKfiiiSC_SC_iiiii: ; @_ZN4vllm25paged_attention_v1_kernelIfhLi112ELi8ELi128ELNS_18Fp8KVCacheDataTypeE1ELb1EEEvPT_PKS2_PKT0_S8_ifPKiSA_iPKfiiiSC_SC_iiiii
; %bb.0:
	s_load_dword s5, s[0:1], 0x80
	s_load_dwordx2 s[6:7], s[0:1], 0x30
	s_load_dwordx2 s[36:37], s[0:1], 0x20
	s_mov_b32 s10, s3
	s_ashr_i32 s11, s3, 31
	s_lshl_b64 s[8:9], s[10:11], 2
	s_waitcnt lgkmcnt(0)
	s_add_u32 s6, s6, s8
	s_addc_u32 s7, s7, s9
	s_abs_i32 s3, s36
	v_cvt_f32_u32_e32 v1, s3
	s_sub_i32 s11, 0, s3
	s_abs_i32 s9, s5
	s_xor_b32 s8, s5, s36
	v_rcp_iflag_f32_e32 v1, v1
	s_ashr_i32 s8, s8, 31
	s_mov_b32 s44, 0
	v_mul_f32_e32 v1, 0x4f7ffffe, v1
	v_cvt_u32_f32_e32 v1, v1
	s_nop 0
	v_readfirstlane_b32 s12, v1
	s_mul_i32 s11, s11, s12
	s_mul_hi_u32 s11, s12, s11
	s_add_i32 s12, s12, s11
	s_mul_hi_u32 s11, s9, s12
	s_mul_i32 s12, s11, s3
	s_sub_i32 s9, s9, s12
	s_add_i32 s12, s11, 1
	s_sub_i32 s13, s9, s3
	s_cmp_ge_u32 s9, s3
	s_cselect_b32 s11, s12, s11
	s_cselect_b32 s9, s13, s9
	s_add_i32 s12, s11, 1
	s_cmp_ge_u32 s9, s3
	s_cselect_b32 s3, s12, s11
	s_xor_b32 s3, s3, s8
	s_sub_i32 s14, s3, s8
	s_abs_i32 s11, s14
	v_cvt_f32_u32_e32 v1, s11
	s_load_dwordx2 s[8:9], s[0:1], 0x40
	s_sub_i32 s3, 0, s11
	s_abs_i32 s12, s2
	v_rcp_iflag_f32_e32 v1, v1
	s_nop 0
	v_mul_f32_e32 v1, 0x4f7ffffe, v1
	v_cvt_u32_f32_e32 v1, v1
	s_nop 0
	v_readfirstlane_b32 s13, v1
	s_mul_i32 s3, s3, s13
	s_mul_hi_u32 s3, s13, s3
	s_add_i32 s13, s13, s3
	s_waitcnt lgkmcnt(0)
	s_cmp_eq_u64 s[8:9], 0
	s_mul_hi_u32 s13, s12, s13
	s_cbranch_scc1 .LBB168_2
; %bb.1:
	s_ashr_i32 s3, s2, 31
	s_lshl_b64 s[16:17], s[2:3], 2
	s_add_u32 s8, s8, s16
	s_addc_u32 s9, s9, s17
	s_load_dword s44, s[8:9], 0x0
.LBB168_2:
	s_load_dword s33, s[6:7], 0x0
	s_load_dwordx4 s[16:19], s[0:1], 0x48
	s_movk_i32 s6, 0x70
	s_ashr_i32 s3, s2, 31
	s_ashr_i32 s9, s14, 31
	v_and_b32_e32 v2, 7, v0
	s_mul_i32 s24, s2, 0x70
	v_cmp_gt_u32_e32 vcc, s6, v0
	v_lshlrev_b32_e32 v8, 2, v0
	v_lshrrev_b32_e32 v1, 1, v0
	s_and_saveexec_b64 s[6:7], vcc
	s_cbranch_execz .LBB168_4
; %bb.3:
	s_load_dwordx2 s[14:15], s[0:1], 0x8
	s_waitcnt lgkmcnt(0)
	s_mul_i32 s20, s10, s16
	s_ashr_i32 s21, s20, 31
	s_lshl_b64 s[20:21], s[20:21], 2
	v_and_b32_e32 v4, 0x1fc, v1
	s_add_u32 s8, s14, s20
	s_addc_u32 s16, s15, s21
	s_ashr_i32 s25, s24, 31
	s_lshl_b64 s[14:15], s[24:25], 2
	s_add_u32 s14, s8, s14
	s_addc_u32 s15, s16, s15
	global_load_dword v3, v8, s[14:15]
	v_mad_u32_u24 v4, v2, 56, v4
	s_waitcnt vmcnt(0)
	ds_write_b32 v4, v3
.LBB168_4:
	s_or_b64 exec, exec, s[6:7]
	s_mul_i32 s6, s13, s11
	s_sub_i32 s6, s12, s6
	s_xor_b32 s3, s3, s9
	s_add_i32 s7, s13, 1
	s_sub_i32 s9, s6, s11
	s_load_dwordx4 s[20:23], s[0:1], 0x68
	s_load_dword s8, s[0:1], 0x78
	s_cmp_ge_u32 s6, s11
	s_cselect_b32 s7, s7, s13
	s_cselect_b32 s6, s9, s6
	s_add_i32 s9, s7, 1
	s_cmp_ge_u32 s6, s11
	s_cselect_b32 s6, s9, s7
	s_waitcnt lgkmcnt(0)
	s_abs_i32 s25, s23
	v_cvt_f32_u32_e32 v3, s25
	s_xor_b32 s6, s6, s3
	s_sub_i32 s3, s6, s3
	s_sub_i32 s6, 0, s25
	v_rcp_iflag_f32_e32 v3, v3
	s_add_i32 s11, s33, -1
	s_abs_i32 s9, s11
	v_mul_f32_e32 v3, 0x4f7ffffe, v3
	v_cvt_u32_f32_e32 v3, v3
	s_barrier
	v_readfirstlane_b32 s42, v3
	s_mul_i32 s6, s6, s42
	s_mul_hi_u32 s6, s42, s6
	s_add_i32 s42, s42, s6
	s_cmp_lt_i32 s8, 0
	s_mul_hi_u32 s16, s9, s42
	s_cbranch_scc0 .LBB168_6
; %bb.5:
	s_mul_i32 s6, s20, s36
	s_add_i32 s6, s3, s6
	s_mul_i32 s6, s6, s8
	s_sub_i32 s36, 1, s6
	s_mov_b64 s[6:7], 0
	s_branch .LBB168_7
.LBB168_6:
	s_mov_b64 s[6:7], -1
                                        ; implicit-def: $sgpr36
.LBB168_7:
	s_load_dwordx2 s[28:29], s[0:1], 0x28
	s_ashr_i32 s19, s11, 31
	s_andn2_b64 vcc, exec, s[6:7]
	s_ashr_i32 s23, s23, 31
	s_cbranch_vccnz .LBB168_9
; %bb.8:
	s_mul_i32 s6, s5, s20
	s_add_i32 s2, s6, s2
	s_mul_i32 s2, s2, s8
	s_add_i32 s36, s2, 1
.LBB168_9:
	s_load_dword s2, s[0:1], 0x38
	s_load_dwordx2 s[26:27], s[0:1], 0x0
	s_load_dwordx2 s[34:35], s[0:1], 0x18
	s_load_dword s11, s[0:1], 0x88
	s_load_dwordx4 s[12:15], s[0:1], 0x58
	s_mul_i32 s6, s16, s25
	s_waitcnt lgkmcnt(0)
	s_mul_i32 s30, s10, s2
	s_sub_i32 s6, s9, s6
	s_ashr_i32 s31, s30, 31
	s_xor_b32 s2, s19, s23
	s_add_i32 s7, s16, 1
	s_sub_i32 s8, s6, s25
	s_cmp_ge_u32 s6, s25
	s_cselect_b32 s7, s7, s16
	s_cselect_b32 s6, s8, s6
	s_add_i32 s8, s7, 1
	s_cmp_ge_u32 s6, s25
	s_cselect_b32 s6, s8, s7
	s_xor_b32 s6, s6, s2
	s_sub_i32 s16, s6, s2
	s_add_i32 s2, s33, 7
	s_ashr_i32 s6, s2, 31
	s_lshr_b32 s6, s6, 29
	s_add_i32 s2, s2, s6
	s_ashr_i32 s43, s2, 3
	v_lshrrev_b32_e32 v30, 6, v0
	v_cmp_gt_i32_e64 s[6:7], s43, v30
	v_mov_b32_e32 v13, 0xff7fffff
	s_mul_i32 s20, s3, s18
	v_lshrrev_b32_e32 v9, 4, v0
	v_lshlrev_b32_e32 v31, 3, v30
	v_mbcnt_lo_u32_b32 v10, -1, 0
	s_and_saveexec_b64 s[18:19], s[6:7]
	s_cbranch_execz .LBB168_19
; %bb.10:
	s_load_dwordx2 s[0:1], s[0:1], 0x10
	s_sub_i32 s45, s16, s21
	s_ashr_i32 s2, s20, 31
	v_bfe_u32 v11, v0, 3, 3
	v_mov_b32_e32 v7, 0
	s_waitcnt lgkmcnt(0)
	s_add_u32 s0, s0, s20
	s_addc_u32 s1, s1, s2
	s_abs_i32 s46, s22
	v_cvt_f32_u32_e32 v3, s46
	v_lshlrev_b32_e32 v6, 4, v11
	v_lshl_add_u64 v[4:5], s[0:1], 0, v[6:7]
	s_sub_i32 s0, 0, s46
	v_rcp_iflag_f32_e32 v3, v3
	v_mbcnt_hi_u32_b32 v19, -1, v10
	v_cmp_eq_u32_e32 vcc, 0, v2
	s_mov_b32 s47, s17
	v_mul_f32_e32 v3, 0x4f7ffffe, v3
	v_cvt_u32_f32_e32 v13, v3
	v_mul_u32_u24_e32 v12, 56, v2
	v_cmp_neq_f32_e64 s[2:3], s44, 0
	v_mov_b32_e32 v3, v7
	v_mul_lo_u32 v6, s0, v13
	v_mul_hi_u32 v6, v13, v6
	v_add_u32_e32 v14, v13, v6
	v_lshlrev_b32_e32 v13, 2, v11
	s_lshl_b64 s[0:1], s[30:31], 2
	v_lshl_or_b32 v13, v30, 5, v13
	s_add_u32 s0, s28, s0
	v_add_u32_e32 v16, 0x1d0, v13
	v_subrev_u32_e32 v13, s33, v11
	v_and_b32_e32 v6, 60, v9
	s_addc_u32 s1, s29, s1
	v_add_u32_e32 v17, 1, v13
	v_and_b32_e32 v13, 64, v19
	v_lshl_add_u64 v[6:7], s[0:1], 0, v[6:7]
	v_lshlrev_b32_e32 v15, 3, v30
	s_mov_b64 s[38:39], 0
	v_mov_b32_e32 v18, 0xff7fffff
	v_add_u32_e32 v20, 64, v13
	v_xor_b32_e32 v21, 4, v19
	v_xor_b32_e32 v22, 2, v19
	;; [unrolled: 1-line block ×3, first 2 shown]
	v_mov_b32_e32 v13, 0xff7fffff
	v_mov_b32_e32 v24, v30
	s_branch .LBB168_13
.LBB168_11:                             ;   in Loop: Header=BB168_13 Depth=1
	s_or_b64 exec, exec, s[40:41]
.LBB168_12:                             ;   in Loop: Header=BB168_13 Depth=1
	s_or_b64 exec, exec, s[8:9]
	v_add_u32_e32 v24, 2, v24
	v_cmp_le_i32_e64 s[0:1], s43, v24
	v_lshl_add_u64 v[6:7], v[6:7], 0, 8
	v_add_u32_e32 v15, 16, v15
	s_or_b64 s[38:39], s[0:1], s[38:39]
	v_add_u32_e32 v16, 64, v16
	s_andn2_b64 exec, exec, s[38:39]
	s_cbranch_execz .LBB168_18
.LBB168_13:                             ; =>This Inner Loop Header: Depth=1
	v_mul_hi_u32 v25, v15, s42
	s_waitcnt lgkmcnt(0)
	v_mul_lo_u32 v26, v25, s25
	v_sub_u32_e32 v26, v15, v26
	v_add_u32_e32 v27, 1, v25
	v_cmp_le_u32_e64 s[0:1], s25, v26
	s_nop 1
	v_cndmask_b32_e64 v25, v25, v27, s[0:1]
	v_subrev_u32_e32 v27, s25, v26
	v_cndmask_b32_e64 v26, v26, v27, s[0:1]
	v_add_u32_e32 v27, 1, v25
	v_cmp_le_u32_e64 s[0:1], s25, v26
	s_nop 1
	v_cndmask_b32_e64 v25, v25, v27, s[0:1]
	v_xor_b32_e32 v25, s23, v25
	v_subrev_u32_e32 v25, s23, v25
	v_add_u32_e32 v26, s36, v25
	v_sub_u32_e32 v28, 0, v26
	v_ashrrev_i32_e32 v27, 31, v26
	v_max_i32_e32 v26, v26, v28
	v_mul_hi_u32 v28, v26, v14
	v_mul_lo_u32 v28, v28, s46
	v_sub_u32_e32 v26, v26, v28
	v_subrev_u32_e32 v28, s46, v26
	v_cmp_le_u32_e64 s[0:1], s46, v26
	v_cmp_ge_i32_e64 s[8:9], s45, v25
	s_nop 0
	v_cndmask_b32_e64 v26, v26, v28, s[0:1]
	v_subrev_u32_e32 v28, s46, v26
	v_cmp_le_u32_e64 s[0:1], s46, v26
	s_nop 1
	v_cndmask_b32_e64 v26, v26, v28, s[0:1]
	v_xor_b32_e32 v26, v26, v27
	v_sub_u32_e32 v26, v26, v27
	v_cmp_ne_u32_e64 s[0:1], 0, v26
	s_and_b64 s[0:1], s[0:1], s[8:9]
	s_and_b64 s[40:41], vcc, s[0:1]
	s_and_saveexec_b64 s[8:9], s[40:41]
	s_cbranch_execz .LBB168_15
; %bb.14:                               ;   in Loop: Header=BB168_13 Depth=1
	ds_write_b32 v16, v18
.LBB168_15:                             ;   in Loop: Header=BB168_13 Depth=1
	s_or_b64 exec, exec, s[8:9]
	s_xor_b64 s[0:1], s[0:1], -1
	s_and_saveexec_b64 s[8:9], s[0:1]
	s_cbranch_execz .LBB168_12
; %bb.16:                               ;   in Loop: Header=BB168_13 Depth=1
	global_load_dword v25, v[6:7], off
	s_waitcnt vmcnt(0)
	v_mad_i64_i32 v[26:27], s[0:1], v25, s47, v[4:5]
	v_lshl_add_u64 v[26:27], v[26:27], 0, v[2:3]
	global_load_ubyte v25, v[26:27], off
	global_load_ubyte v42, v[26:27], off offset:8
	global_load_ubyte v43, v[26:27], off offset:128
	;; [unrolled: 1-line block ×13, first 2 shown]
	v_cmp_lt_i32_e64 s[0:1], v21, v20
	ds_read2_b64 v[26:29], v12 offset1:1
	ds_read2_b64 v[32:35], v12 offset0:2 offset1:3
	ds_read2_b64 v[36:39], v12 offset0:4 offset1:5
	ds_read_b64 v[40:41], v12 offset:48
	v_cndmask_b32_e64 v55, v19, v21, s[0:1]
	s_load_dword s0, s[12:13], 0x0
	v_lshlrev_b32_e32 v55, 2, v55
	s_waitcnt vmcnt(13)
	v_cvt_f32_fp8_sdwa v25, v25 src0_sel:BYTE_0
	s_waitcnt vmcnt(12)
	v_cvt_f32_fp8_sdwa v42, v42 src0_sel:BYTE_0
	;; [unrolled: 2-line block ×5, first 2 shown]
	s_waitcnt lgkmcnt(0)
	v_mul_f32_e32 v42, s0, v42
	s_waitcnt vmcnt(8)
	v_cvt_f32_fp8_sdwa v46, v46 src0_sel:BYTE_0
	v_mul_f32_e32 v25, s0, v25
	v_mul_f32_e32 v27, v27, v42
	s_waitcnt vmcnt(7)
	v_cvt_f32_fp8_sdwa v47, v47 src0_sel:BYTE_0
	v_mul_f32_e32 v43, s0, v43
	v_fmac_f32_e32 v27, v26, v25
	s_waitcnt vmcnt(6)
	v_cvt_f32_fp8_sdwa v48, v48 src0_sel:BYTE_0
	v_mul_f32_e32 v44, s0, v44
	v_fmac_f32_e32 v27, v28, v43
	;; [unrolled: 4-line block ×8, first 2 shown]
	v_mul_f32_e32 v51, s0, v51
	v_fmac_f32_e32 v27, v37, v50
	v_mul_f32_e32 v52, s0, v52
	v_fmac_f32_e32 v27, v38, v51
	;; [unrolled: 2-line block ×4, first 2 shown]
	v_fmac_f32_e32 v27, v41, v54
	ds_bpermute_b32 v25, v55, v27
	v_cmp_lt_i32_e64 s[0:1], v22, v20
	s_waitcnt lgkmcnt(0)
	v_add_f32_e32 v25, v27, v25
	v_cndmask_b32_e64 v26, v19, v22, s[0:1]
	v_lshlrev_b32_e32 v26, 2, v26
	ds_bpermute_b32 v26, v26, v25
	v_cmp_lt_i32_e64 s[0:1], v23, v20
	s_waitcnt lgkmcnt(0)
	v_add_f32_e32 v25, v25, v26
	v_cndmask_b32_e64 v27, v19, v23, s[0:1]
	v_lshlrev_b32_e32 v27, 2, v27
	ds_bpermute_b32 v26, v27, v25
	s_and_saveexec_b64 s[40:41], vcc
	s_cbranch_execz .LBB168_11
; %bb.17:                               ;   in Loop: Header=BB168_13 Depth=1
	v_add_u32_e32 v27, v17, v15
	v_cvt_f32_i32_e32 v27, v27
	s_waitcnt lgkmcnt(0)
	v_add_f32_e32 v25, v25, v26
	v_add_u32_e32 v28, v11, v15
	v_cmp_gt_i32_e64 s[0:1], s33, v28
	v_mul_f32_e32 v26, s44, v27
	v_cndmask_b32_e64 v26, 0, v26, s[2:3]
	v_fmac_f32_e32 v26, s37, v25
	v_cndmask_b32_e64 v25, 0, v26, s[0:1]
	ds_write_b32 v16, v25
	v_max_f32_e32 v25, v13, v13
	v_max_f32_e32 v25, v25, v26
	v_cndmask_b32_e64 v13, v13, v25, s[0:1]
	s_branch .LBB168_11
.LBB168_18:
	s_or_b64 exec, exec, s[38:39]
.LBB168_19:
	s_or_b64 exec, exec, s[18:19]
	v_mbcnt_hi_u32_b32 v2, -1, v10
	v_and_b32_e32 v3, 64, v2
	v_add_u32_e32 v3, 64, v3
	v_xor_b32_e32 v4, 32, v2
	v_cmp_lt_i32_e32 vcc, v4, v3
	v_xor_b32_e32 v7, 16, v2
	v_max_f32_e32 v5, v13, v13
	v_cndmask_b32_e32 v4, v2, v4, vcc
	v_lshlrev_b32_e32 v6, 2, v4
	ds_bpermute_b32 v4, v6, v13
	v_cmp_lt_i32_e32 vcc, v7, v3
	v_xor_b32_e32 v11, 8, v2
	s_waitcnt lgkmcnt(0)
	v_max_f32_e32 v4, v4, v4
	v_max_f32_e32 v4, v5, v4
	v_cndmask_b32_e32 v5, v2, v7, vcc
	v_lshlrev_b32_e32 v10, 2, v5
	ds_bpermute_b32 v5, v10, v4
	v_cmp_lt_i32_e32 vcc, v11, v3
	s_waitcnt lgkmcnt(0)
	v_max_f32_e32 v5, v5, v5
	v_max_f32_e32 v7, v4, v5
	v_cndmask_b32_e32 v4, v2, v11, vcc
	v_lshlrev_b32_e32 v11, 2, v4
	ds_bpermute_b32 v12, v11, v7
	v_and_b32_e32 v4, 63, v0
	v_cmp_eq_u32_e32 vcc, 0, v4
	v_lshlrev_b32_e32 v5, 2, v30
	s_and_saveexec_b64 s[0:1], vcc
	s_cbranch_execz .LBB168_21
; %bb.20:
	s_waitcnt lgkmcnt(0)
	v_max_f32_e32 v12, v12, v12
	v_max_f32_e32 v7, v7, v7
	;; [unrolled: 1-line block ×3, first 2 shown]
	ds_write_b32 v5, v7 offset:448
.LBB168_21:
	s_or_b64 exec, exec, s[0:1]
	v_cmp_gt_u32_e64 s[0:1], 2, v4
	s_waitcnt lgkmcnt(0)
	v_mov_b32_e32 v12, 0xff7fffff
	v_lshlrev_b32_e32 v7, 2, v4
	s_barrier
	s_and_saveexec_b64 s[2:3], s[0:1]
	s_cbranch_execz .LBB168_23
; %bb.22:
	ds_read_b32 v12, v7 offset:448
.LBB168_23:
	s_or_b64 exec, exec, s[2:3]
	v_xor_b32_e32 v13, 1, v2
	v_cmp_lt_i32_e64 s[2:3], v13, v3
	v_lshlrev_b32_e32 v14, 2, v2
	s_nop 0
	v_cndmask_b32_e64 v13, v2, v13, s[2:3]
	v_lshlrev_b32_e32 v32, 2, v13
	s_waitcnt lgkmcnt(0)
	ds_bpermute_b32 v13, v32, v12
	v_max_f32_e32 v12, v12, v12
	s_lshl_b32 s2, s43, 3
	s_min_i32 s37, s2, s33
	v_cmp_gt_i32_e64 s[2:3], s37, v0
	s_waitcnt lgkmcnt(0)
	v_max_f32_e32 v13, v13, v13
	v_max_f32_e32 v13, v12, v13
	v_and_b32_e32 v12, 0x100, v14
	ds_bpermute_b32 v14, v12, v13
	v_mov_b32_e32 v13, 0
	s_and_saveexec_b64 s[12:13], s[2:3]
	s_cbranch_execz .LBB168_27
; %bb.24:
	v_mov_b32_e32 v13, 0x1d0
	v_lshl_add_u32 v15, v0, 2, v13
	s_mov_b64 s[18:19], 0
	v_mov_b32_e32 v13, 0
	v_mov_b32_e32 v16, v0
.LBB168_25:                             ; =>This Inner Loop Header: Depth=1
	ds_read_b32 v17, v15
	v_add_u32_e32 v16, 0x80, v16
	v_cmp_le_i32_e64 s[8:9], s37, v16
	s_or_b64 s[18:19], s[8:9], s[18:19]
	s_waitcnt lgkmcnt(0)
	v_sub_f32_e32 v17, v17, v14
	v_mul_f32_e32 v17, 0x3fb8aa3b, v17
	v_exp_f32_e32 v17, v17
	ds_write_b32 v15, v17
	v_add_f32_e32 v13, v13, v17
	v_add_u32_e32 v15, 0x200, v15
	s_andn2_b64 exec, exec, s[18:19]
	s_cbranch_execnz .LBB168_25
; %bb.26:
	s_or_b64 exec, exec, s[18:19]
.LBB168_27:
	s_or_b64 exec, exec, s[12:13]
	ds_bpermute_b32 v6, v6, v13
	s_waitcnt lgkmcnt(0)
	v_add_f32_e32 v6, v13, v6
	ds_bpermute_b32 v10, v10, v6
	s_waitcnt lgkmcnt(0)
	v_add_f32_e32 v6, v6, v10
	ds_bpermute_b32 v10, v11, v6
	v_xor_b32_e32 v11, 4, v2
	v_cmp_lt_i32_e64 s[8:9], v11, v3
	s_waitcnt lgkmcnt(0)
	v_add_f32_e32 v6, v6, v10
	v_cndmask_b32_e64 v11, v2, v11, s[8:9]
	v_lshlrev_b32_e32 v11, 2, v11
	ds_bpermute_b32 v10, v11, v6
	v_xor_b32_e32 v11, 2, v2
	v_cmp_lt_i32_e64 s[8:9], v11, v3
	s_waitcnt lgkmcnt(0)
	v_add_f32_e32 v3, v6, v10
	v_cndmask_b32_e64 v2, v2, v11, s[8:9]
	v_lshlrev_b32_e32 v2, 2, v2
	ds_bpermute_b32 v2, v2, v3
	s_waitcnt lgkmcnt(0)
	v_add_f32_e32 v2, v3, v2
	ds_bpermute_b32 v3, v32, v2
	s_waitcnt lgkmcnt(0)
	v_add_f32_e32 v2, v2, v3
	s_and_saveexec_b64 s[8:9], vcc
	s_cbranch_execz .LBB168_29
; %bb.28:
	ds_write_b32 v5, v2 offset:456
.LBB168_29:
	s_or_b64 exec, exec, s[8:9]
	s_waitcnt lgkmcnt(0)
	s_barrier
	s_and_saveexec_b64 s[8:9], s[0:1]
	s_cbranch_execz .LBB168_31
; %bb.30:
	ds_read_b32 v2, v7 offset:456
.LBB168_31:
	s_or_b64 exec, exec, s[8:9]
	s_waitcnt lgkmcnt(0)
	ds_bpermute_b32 v3, v32, v2
	s_waitcnt lgkmcnt(0)
	v_add_f32_e32 v2, v2, v3
	ds_bpermute_b32 v2, v12, v2
	s_and_saveexec_b64 s[0:1], s[2:3]
	s_cbranch_execz .LBB168_44
; %bb.32:
	s_waitcnt lgkmcnt(0)
	v_add_f32_e32 v2, 0x358637bd, v2
	v_div_scale_f32 v3, s[2:3], v2, v2, 1.0
	v_rcp_f32_e32 v5, v3
	v_div_scale_f32 v6, vcc, 1.0, v2, 1.0
	s_movk_i32 s2, 0x7f
	v_fma_f32 v7, -v3, v5, 1.0
	v_fmac_f32_e32 v5, v7, v5
	v_mul_f32_e32 v7, v6, v5
	v_fma_f32 v10, -v3, v7, v6
	v_fmac_f32_e32 v7, v10, v5
	v_fma_f32 v3, -v3, v7, v6
	v_div_fmas_f32 v3, v3, v5, v7
	v_xad_u32 v5, v0, -1, s37
	v_div_fixup_f32 v2, v3, v2, 1.0
	v_cmp_lt_u32_e32 vcc, s2, v5
	s_mov_b64 s[8:9], -1
	v_mov_b32_e32 v3, v0
	s_and_saveexec_b64 s[2:3], vcc
	s_cbranch_execz .LBB168_41
; %bb.33:
	v_lshrrev_b32_e32 v5, 7, v5
	v_add_u32_e32 v7, -1, v5
	v_lshrrev_b32_e32 v6, 1, v7
	v_mov_b32_e32 v3, v2
	v_add_u32_e32 v6, 1, v6
	v_cmp_lt_u32_e32 vcc, 13, v7
	v_mov_b32_e32 v11, 0
	s_and_saveexec_b64 s[8:9], vcc
	s_cbranch_execz .LBB168_37
; %bb.34:
	v_mov_b32_e32 v10, 0x1d0
	v_and_b32_e32 v7, -8, v6
	v_lshl_add_u32 v10, v0, 2, v10
	s_mov_b32 s18, 0
	s_mov_b64 s[12:13], 0
.LBB168_35:                             ; =>This Inner Loop Header: Depth=1
	ds_read2st64_b32 v[12:13], v10 offset1:2
	ds_read2st64_b32 v[14:15], v10 offset0:4 offset1:6
	ds_read2st64_b32 v[16:17], v10 offset0:8 offset1:10
	;; [unrolled: 1-line block ×3, first 2 shown]
	v_add_u32_e32 v7, -8, v7
	s_waitcnt lgkmcnt(3)
	v_pk_mul_f32 v[12:13], v[2:3], v[12:13]
	s_waitcnt lgkmcnt(2)
	v_pk_mul_f32 v[14:15], v[2:3], v[14:15]
	ds_write2st64_b32 v10, v12, v13 offset1:2
	ds_write2st64_b32 v10, v14, v15 offset0:4 offset1:6
	ds_read2st64_b32 v[14:15], v10 offset0:16 offset1:18
	s_waitcnt lgkmcnt(4)
	v_pk_mul_f32 v[12:13], v[2:3], v[16:17]
	ds_write2st64_b32 v10, v12, v13 offset0:8 offset1:10
	s_waitcnt lgkmcnt(4)
	v_pk_mul_f32 v[12:13], v[2:3], v[18:19]
	ds_write2st64_b32 v10, v12, v13 offset0:12 offset1:14
	ds_read2st64_b32 v[12:13], v10 offset0:20 offset1:22
	s_waitcnt lgkmcnt(3)
	v_pk_mul_f32 v[14:15], v[2:3], v[14:15]
	ds_read2st64_b32 v[16:17], v10 offset0:24 offset1:26
	ds_write2st64_b32 v10, v14, v15 offset0:16 offset1:18
	ds_read2st64_b32 v[14:15], v10 offset0:28 offset1:30
	s_waitcnt lgkmcnt(3)
	v_pk_mul_f32 v[12:13], v[2:3], v[12:13]
	ds_write2st64_b32 v10, v12, v13 offset0:20 offset1:22
	s_waitcnt lgkmcnt(3)
	v_pk_mul_f32 v[12:13], v[2:3], v[16:17]
	ds_write2st64_b32 v10, v12, v13 offset0:24 offset1:26
	s_waitcnt lgkmcnt(2)
	v_pk_mul_f32 v[12:13], v[2:3], v[14:15]
	s_add_i32 s18, s18, 16
	v_cmp_eq_u32_e32 vcc, 0, v7
	ds_write2st64_b32 v10, v12, v13 offset0:28 offset1:30
	v_add_u32_e32 v10, 0x2000, v10
	s_or_b64 s[12:13], vcc, s[12:13]
	v_mov_b32_e32 v11, s18
	s_andn2_b64 exec, exec, s[12:13]
	s_cbranch_execnz .LBB168_35
; %bb.36:
	s_or_b64 exec, exec, s[12:13]
.LBB168_37:
	s_or_b64 exec, exec, s[8:9]
	v_and_b32_e32 v6, 7, v6
	v_cmp_ne_u32_e32 vcc, 0, v6
	s_and_saveexec_b64 s[8:9], vcc
	s_cbranch_execz .LBB168_40
; %bb.38:
	v_lshlrev_b32_e32 v7, 9, v11
	s_movk_i32 s12, 0x1d0
	v_add3_u32 v7, v7, v8, s12
	s_mov_b64 s[12:13], 0
.LBB168_39:                             ; =>This Inner Loop Header: Depth=1
	ds_read2st64_b32 v[10:11], v7 offset1:2
	v_add_u32_e32 v6, -1, v6
	v_cmp_eq_u32_e32 vcc, 0, v6
	s_or_b64 s[12:13], vcc, s[12:13]
	s_waitcnt lgkmcnt(0)
	v_pk_mul_f32 v[10:11], v[2:3], v[10:11]
	ds_write2st64_b32 v7, v10, v11 offset1:2
	v_add_u32_e32 v7, 0x400, v7
	s_andn2_b64 exec, exec, s[12:13]
	s_cbranch_execnz .LBB168_39
.LBB168_40:
	s_or_b64 exec, exec, s[8:9]
	v_add_u32_e32 v5, 1, v5
	v_and_b32_e32 v6, 0x3fffffe, v5
	v_cmp_ne_u32_e32 vcc, v5, v6
	v_lshl_add_u32 v3, v6, 7, v0
	s_orn2_b64 s[8:9], vcc, exec
.LBB168_41:
	s_or_b64 exec, exec, s[2:3]
	s_and_b64 exec, exec, s[8:9]
	s_cbranch_execz .LBB168_44
; %bb.42:
	v_mov_b32_e32 v5, 0x1d0
	v_lshl_add_u32 v5, v3, 2, v5
	s_mov_b64 s[2:3], 0
.LBB168_43:                             ; =>This Inner Loop Header: Depth=1
	ds_read_b32 v6, v5
	v_add_u32_e32 v3, 0x80, v3
	v_cmp_le_i32_e32 vcc, s37, v3
	s_or_b64 s[2:3], vcc, s[2:3]
	s_waitcnt lgkmcnt(0)
	v_mul_f32_e32 v6, v2, v6
	ds_write_b32 v5, v6
	v_add_u32_e32 v5, 0x200, v5
	s_andn2_b64 exec, exec, s[2:3]
	s_cbranch_execnz .LBB168_43
.LBB168_44:
	s_or_b64 exec, exec, s[0:1]
	s_mov_b32 s0, 0
	v_mov_b32_e32 v5, 0
	v_lshrrev_b32_e32 v34, 1, v4
	v_and_b32_e32 v33, 1, v0
	v_mov_b32_e32 v4, 0
	v_mov_b32_e32 v3, 0
	s_waitcnt lgkmcnt(0)
	v_mov_b32_e32 v2, 0
	s_barrier
	s_and_saveexec_b64 s[8:9], s[6:7]
	s_cbranch_execz .LBB168_60
; %bb.45:
	s_sub_i32 s37, s16, s21
	s_ashr_i32 s1, s20, 31
	s_add_u32 s6, s34, s20
	s_addc_u32 s7, s35, s1
	s_abs_i32 s22, s22
	v_cvt_f32_u32_e32 v2, s22
	v_or_b32_e32 v3, 0x60, v34
	s_movk_i32 s1, 0x70
	v_and_b32_e32 v35, 4, v8
	v_rcp_iflag_f32_e32 v2, v2
	v_cmp_gt_u32_e32 vcc, s1, v3
	s_sub_i32 s1, 0, s22
	s_add_i32 s34, s43, -1
	v_mul_f32_e32 v2, 0x4f7ffffe, v2
	v_cvt_u32_f32_e32 v2, v2
	v_lshl_or_b32 v12, v3, 3, v35
	s_lshl_b64 s[2:3], s[30:31], 2
	v_mov_b32_e32 v11, 0
	v_mul_lo_u32 v3, s1, v2
	v_mul_hi_u32 v3, v2, v3
	s_add_u32 s2, s28, s2
	v_add_u32_e32 v36, v2, v3
	v_and_b32_e32 v2, 60, v9
	v_mov_b32_e32 v3, v11
	s_addc_u32 s3, s29, s3
	v_lshl_add_u64 v[14:15], s[2:3], 0, v[2:3]
	v_lshlrev_b32_e32 v2, 4, v33
	v_lshl_or_b32 v2, v30, 5, v2
	s_mov_b32 s2, s0
	s_mov_b32 s3, s0
	v_add_u32_e32 v37, 0x1d0, v2
	s_mov_b32 s1, s0
	v_mov_b64_e32 v[4:5], s[2:3]
	s_mov_b32 s38, s17
	v_lshl_or_b32 v10, v34, 3, v35
	v_mov_b32_e32 v13, v11
	s_mov_b64 s[12:13], 0
	v_mov_b64_e32 v[2:3], s[0:1]
	s_branch .LBB168_49
.LBB168_46:                             ;   in Loop: Header=BB168_49 Depth=1
	s_or_b64 exec, exec, s[18:19]
	v_mul_f32_e32 v7, v7, v19
	v_fmac_f32_e32 v7, v6, v18
	v_fmac_f32_e32 v7, v8, v16
	;; [unrolled: 1-line block ×3, first 2 shown]
	v_add_f32_e32 v5, v5, v7
.LBB168_47:                             ;   in Loop: Header=BB168_49 Depth=1
	s_or_b64 exec, exec, s[2:3]
.LBB168_48:                             ;   in Loop: Header=BB168_49 Depth=1
	s_or_b64 exec, exec, s[16:17]
	v_add_u32_e32 v30, 2, v30
	v_cmp_le_i32_e64 s[0:1], s43, v30
	v_lshl_add_u64 v[14:15], v[14:15], 0, 8
	v_add_u32_e32 v31, 16, v31
	s_or_b64 s[12:13], s[0:1], s[12:13]
	v_add_u32_e32 v37, 64, v37
	s_andn2_b64 exec, exec, s[12:13]
	s_cbranch_execz .LBB168_59
.LBB168_49:                             ; =>This Inner Loop Header: Depth=1
	v_mul_hi_u32 v6, v31, s42
	v_mul_lo_u32 v7, v6, s25
	v_sub_u32_e32 v7, v31, v7
	v_add_u32_e32 v8, 1, v6
	v_cmp_le_u32_e64 s[0:1], s25, v7
	s_nop 1
	v_cndmask_b32_e64 v6, v6, v8, s[0:1]
	v_subrev_u32_e32 v8, s25, v7
	v_cndmask_b32_e64 v7, v7, v8, s[0:1]
	v_add_u32_e32 v8, 1, v6
	v_cmp_le_u32_e64 s[0:1], s25, v7
	s_nop 1
	v_cndmask_b32_e64 v6, v6, v8, s[0:1]
	v_xor_b32_e32 v6, s23, v6
	v_subrev_u32_e32 v6, s23, v6
	v_add_u32_e32 v7, s36, v6
	v_sub_u32_e32 v9, 0, v7
	v_ashrrev_i32_e32 v8, 31, v7
	v_max_i32_e32 v7, v7, v9
	v_mul_hi_u32 v9, v7, v36
	v_mul_lo_u32 v9, v9, s22
	v_sub_u32_e32 v7, v7, v9
	v_subrev_u32_e32 v9, s22, v7
	v_cmp_le_u32_e64 s[0:1], s22, v7
	v_cmp_lt_i32_e64 s[2:3], s37, v6
	s_nop 0
	v_cndmask_b32_e64 v7, v7, v9, s[0:1]
	v_subrev_u32_e32 v9, s22, v7
	v_cmp_le_u32_e64 s[0:1], s22, v7
	s_nop 1
	v_cndmask_b32_e64 v7, v7, v9, s[0:1]
	v_xor_b32_e32 v7, v7, v8
	v_sub_u32_e32 v7, v7, v8
	v_cmp_eq_u32_e64 s[0:1], 0, v7
	s_or_b64 s[0:1], s[0:1], s[2:3]
	s_and_saveexec_b64 s[16:17], s[0:1]
	s_cbranch_execz .LBB168_48
; %bb.50:                               ;   in Loop: Header=BB168_49 Depth=1
	global_load_dword v8, v[14:15], off
	v_mov_b64_e32 v[6:7], s[6:7]
	s_load_dword s18, s[14:15], 0x0
	v_add_u32_e32 v38, v35, v31
	s_waitcnt vmcnt(0)
	v_mad_i64_i32 v[16:17], s[0:1], v8, s38, v[6:7]
	v_lshl_add_u64 v[22:23], v[16:17], 0, v[10:11]
	global_load_dword v18, v[22:23], off
	ds_read_b128 v[6:9], v37
	v_cmp_eq_u32_e64 s[0:1], s34, v30
	s_waitcnt vmcnt(0)
	v_and_b32_e32 v19, 0xffff, v18
	v_lshrrev_b32_e32 v20, 16, v18
	v_cvt_pk_f32_fp8_e32 v[18:19], v19
	v_cvt_pk_f32_fp8_e32 v[24:25], v20
	s_waitcnt lgkmcnt(0)
	v_pk_mul_f32 v[20:21], s[18:19], v[18:19] op_sel_hi:[0,1]
	v_pk_mul_f32 v[18:19], s[18:19], v[24:25] op_sel_hi:[0,1]
	s_and_saveexec_b64 s[20:21], s[0:1]
; %bb.51:                               ;   in Loop: Header=BB168_49 Depth=1
	v_cmp_gt_i32_e64 s[2:3], s33, v38
	v_add_u32_e32 v24, 1, v38
	s_nop 0
	v_cndmask_b32_e64 v20, 0, v20, s[2:3]
	v_cmp_gt_i32_e64 s[2:3], s33, v24
	v_add_u32_e32 v24, 2, v38
	s_nop 0
	v_cndmask_b32_e64 v21, 0, v21, s[2:3]
	;; [unrolled: 4-line block ×3, first 2 shown]
	v_cmp_gt_i32_e64 s[2:3], s33, v24
	s_nop 1
	v_cndmask_b32_e64 v19, 0, v19, s[2:3]
; %bb.52:                               ;   in Loop: Header=BB168_49 Depth=1
	s_or_b64 exec, exec, s[20:21]
	global_load_dword v24, v[22:23], off offset:256
	s_mov_b32 s19, s18
	s_waitcnt vmcnt(0)
	v_and_b32_e32 v25, 0xffff, v24
	v_lshrrev_b32_e32 v26, 16, v24
	v_cvt_pk_f32_fp8_e32 v[24:25], v25
	v_cvt_pk_f32_fp8_e32 v[28:29], v26
	v_pk_mul_f32 v[26:27], s[18:19], v[24:25]
	v_pk_mul_f32 v[24:25], s[18:19], v[28:29]
	s_and_saveexec_b64 s[20:21], s[0:1]
; %bb.53:                               ;   in Loop: Header=BB168_49 Depth=1
	v_cmp_gt_i32_e64 s[2:3], s33, v38
	v_add_u32_e32 v28, 1, v38
	s_nop 0
	v_cndmask_b32_e64 v26, 0, v26, s[2:3]
	v_cmp_gt_i32_e64 s[2:3], s33, v28
	v_add_u32_e32 v28, 2, v38
	s_nop 0
	v_cndmask_b32_e64 v27, 0, v27, s[2:3]
	;; [unrolled: 4-line block ×3, first 2 shown]
	v_cmp_gt_i32_e64 s[2:3], s33, v28
	s_nop 1
	v_cndmask_b32_e64 v25, 0, v25, s[2:3]
; %bb.54:                               ;   in Loop: Header=BB168_49 Depth=1
	s_or_b64 exec, exec, s[20:21]
	global_load_dword v22, v[22:23], off offset:512
	s_waitcnt vmcnt(0)
	v_and_b32_e32 v23, 0xffff, v22
	v_lshrrev_b32_e32 v28, 16, v22
	v_cvt_pk_f32_fp8_e32 v[22:23], v23
	v_cvt_pk_f32_fp8_e32 v[40:41], v28
	v_pk_mul_f32 v[28:29], s[18:19], v[22:23]
	v_pk_mul_f32 v[22:23], s[18:19], v[40:41]
	s_and_saveexec_b64 s[20:21], s[0:1]
; %bb.55:                               ;   in Loop: Header=BB168_49 Depth=1
	v_cmp_gt_i32_e64 s[2:3], s33, v38
	v_add_u32_e32 v39, 1, v38
	s_nop 0
	v_cndmask_b32_e64 v28, 0, v28, s[2:3]
	v_cmp_gt_i32_e64 s[2:3], s33, v39
	v_add_u32_e32 v39, 2, v38
	s_nop 0
	v_cndmask_b32_e64 v29, 0, v29, s[2:3]
	;; [unrolled: 4-line block ×3, first 2 shown]
	v_cmp_gt_i32_e64 s[2:3], s33, v39
	s_nop 1
	v_cndmask_b32_e64 v23, 0, v23, s[2:3]
; %bb.56:                               ;   in Loop: Header=BB168_49 Depth=1
	s_or_b64 exec, exec, s[20:21]
	v_mul_f32_e32 v21, v7, v21
	v_fmac_f32_e32 v21, v6, v20
	v_fmac_f32_e32 v21, v8, v18
	v_mul_f32_e32 v18, v7, v27
	v_fmac_f32_e32 v18, v6, v26
	v_fmac_f32_e32 v18, v8, v24
	;; [unrolled: 1-line block ×3, first 2 shown]
	v_add_f32_e32 v3, v3, v18
	v_mul_f32_e32 v18, v7, v29
	v_fmac_f32_e32 v18, v6, v28
	v_fmac_f32_e32 v18, v8, v22
	;; [unrolled: 1-line block ×4, first 2 shown]
	v_add_f32_e32 v2, v2, v21
	v_add_f32_e32 v4, v4, v18
	s_and_saveexec_b64 s[2:3], vcc
	s_cbranch_execz .LBB168_47
; %bb.57:                               ;   in Loop: Header=BB168_49 Depth=1
	v_lshl_add_u64 v[16:17], v[16:17], 0, v[12:13]
	global_load_dword v16, v[16:17], off
	s_waitcnt vmcnt(0)
	v_and_b32_e32 v17, 0xffff, v16
	v_lshrrev_b32_e32 v18, 16, v16
	v_cvt_pk_f32_fp8_e32 v[16:17], v17
	v_cvt_pk_f32_fp8_e32 v[20:21], v18
	v_pk_mul_f32 v[18:19], s[18:19], v[16:17]
	v_pk_mul_f32 v[16:17], s[18:19], v[20:21]
	s_and_saveexec_b64 s[18:19], s[0:1]
	s_cbranch_execz .LBB168_46
; %bb.58:                               ;   in Loop: Header=BB168_49 Depth=1
	v_cmp_gt_i32_e64 s[0:1], s33, v38
	v_add_u32_e32 v20, 1, v38
	s_nop 0
	v_cndmask_b32_e64 v18, 0, v18, s[0:1]
	v_cmp_gt_i32_e64 s[0:1], s33, v20
	v_add_u32_e32 v20, 2, v38
	s_nop 0
	v_cndmask_b32_e64 v19, 0, v19, s[0:1]
	;; [unrolled: 4-line block ×3, first 2 shown]
	v_cmp_gt_i32_e64 s[0:1], s33, v20
	s_nop 1
	v_cndmask_b32_e64 v17, 0, v17, s[0:1]
	s_branch .LBB168_46
.LBB168_59:
	s_or_b64 exec, exec, s[12:13]
.LBB168_60:
	s_or_b64 exec, exec, s[8:9]
	ds_bpermute_b32 v6, v32, v2
	ds_bpermute_b32 v7, v32, v3
	;; [unrolled: 1-line block ×4, first 2 shown]
	s_waitcnt lgkmcnt(0)
	s_barrier
	v_pk_add_f32 v[6:7], v[2:3], v[6:7]
	v_pk_add_f32 v[2:3], v[4:5], v[8:9]
	v_and_b32_e32 v4, 0x3c0, v0
	v_cmp_eq_u32_e32 vcc, 64, v4
	s_and_saveexec_b64 s[2:3], vcc
	s_cbranch_execz .LBB168_65
; %bb.61:
	v_cmp_eq_u32_e32 vcc, 0, v33
	s_and_saveexec_b64 s[0:1], vcc
	s_cbranch_execz .LBB168_63
; %bb.62:
	v_mov_b32_e32 v4, 0x1d0
	v_lshl_add_u32 v4, v34, 2, v4
	ds_write2_b32 v4, v6, v7 offset1:32
	ds_write_b32 v4, v2 offset:256
.LBB168_63:
	s_or_b64 exec, exec, s[0:1]
	v_or_b32_e32 v4, 0x60, v34
	s_movk_i32 s0, 0x70
	v_cmp_gt_u32_e64 s[0:1], s0, v4
	s_and_b64 s[0:1], vcc, s[0:1]
	s_and_b64 exec, exec, s[0:1]
	s_cbranch_execz .LBB168_65
; %bb.64:
	v_mov_b32_e32 v4, 0x1d0
	v_lshl_add_u32 v4, v34, 2, v4
	ds_write_b32 v4, v3 offset:384
.LBB168_65:
	s_or_b64 exec, exec, s[2:3]
	v_cmp_gt_u32_e32 vcc, 64, v0
	s_waitcnt lgkmcnt(0)
	s_barrier
	s_and_saveexec_b64 s[6:7], vcc
	s_cbranch_execz .LBB168_73
; %bb.66:
	v_cmp_eq_u32_e64 s[0:1], 0, v33
	s_and_saveexec_b64 s[2:3], s[0:1]
	s_cbranch_execnz .LBB168_79
; %bb.67:
	s_or_b64 exec, exec, s[2:3]
	s_and_saveexec_b64 s[2:3], s[0:1]
	s_cbranch_execnz .LBB168_80
.LBB168_68:
	s_or_b64 exec, exec, s[2:3]
	s_and_saveexec_b64 s[2:3], s[0:1]
	s_cbranch_execz .LBB168_70
.LBB168_69:
	v_mov_b32_e32 v0, 0x1d0
	v_lshl_add_u32 v0, v1, 2, v0
	ds_read_b32 v0, v0 offset:256
	s_waitcnt lgkmcnt(0)
	v_add_f32_e32 v2, v2, v0
.LBB168_70:
	s_or_b64 exec, exec, s[2:3]
	v_or_b32_e32 v0, 0x60, v1
	s_movk_i32 s2, 0x70
	v_cmp_gt_u32_e64 s[2:3], s2, v0
	s_and_b64 s[2:3], s[0:1], s[2:3]
	s_and_saveexec_b64 s[0:1], s[2:3]
	s_cbranch_execz .LBB168_72
; %bb.71:
	v_mov_b32_e32 v0, 0x1d0
	v_lshl_add_u32 v0, v1, 2, v0
	ds_read_b32 v0, v0 offset:384
	s_waitcnt lgkmcnt(0)
	v_add_f32_e32 v3, v3, v0
.LBB168_72:
	s_or_b64 exec, exec, s[0:1]
.LBB168_73:
	s_or_b64 exec, exec, s[6:7]
	s_barrier
	s_and_saveexec_b64 s[0:1], vcc
	s_cbranch_execz .LBB168_78
; %bb.74:
	s_mul_i32 s0, s10, s11
	s_mul_i32 s0, s0, s5
	s_mulk_i32 s0, 0x70
	s_ashr_i32 s1, s0, 31
	s_lshl_b64 s[0:1], s[0:1], 2
	s_add_u32 s2, s26, s0
	s_mul_i32 s0, s11, s24
	s_addc_u32 s3, s27, s1
	s_ashr_i32 s1, s0, 31
	s_lshl_b64 s[0:1], s[0:1], 2
	s_add_u32 s2, s2, s0
	s_mul_i32 s0, s4, 0x70
	s_addc_u32 s3, s3, s1
	s_ashr_i32 s1, s0, 31
	s_lshl_b64 s[0:1], s[0:1], 2
	s_add_u32 s2, s2, s0
	s_movk_i32 s5, 0x70
	s_addc_u32 s3, s3, s1
	v_cmp_eq_u32_e32 vcc, 0, v33
	v_lshlrev_b32_e32 v0, 2, v1
	s_and_saveexec_b64 s[0:1], vcc
	s_cbranch_execz .LBB168_76
; %bb.75:
	global_store_dword v0, v6, s[2:3]
	global_store_dword v0, v7, s[2:3] offset:128
	global_store_dword v0, v2, s[2:3] offset:256
.LBB168_76:
	s_or_b64 exec, exec, s[0:1]
	v_or_b32_e32 v1, 0x60, v1
	v_cmp_gt_u32_e64 s[0:1], s5, v1
	s_and_b64 s[0:1], vcc, s[0:1]
	s_and_b64 exec, exec, s[0:1]
	s_cbranch_execz .LBB168_78
; %bb.77:
	global_store_dword v0, v3, s[2:3] offset:384
.LBB168_78:
	s_endpgm
.LBB168_79:
	v_mov_b32_e32 v0, 0x1d0
	v_lshl_add_u32 v0, v1, 2, v0
	ds_read_b32 v0, v0
	s_waitcnt lgkmcnt(0)
	v_add_f32_e32 v6, v6, v0
	s_or_b64 exec, exec, s[2:3]
	s_and_saveexec_b64 s[2:3], s[0:1]
	s_cbranch_execz .LBB168_68
.LBB168_80:
	v_mov_b32_e32 v0, 0x1d0
	v_lshl_add_u32 v0, v1, 2, v0
	ds_read_b32 v0, v0 offset:128
	s_waitcnt lgkmcnt(0)
	v_add_f32_e32 v7, v7, v0
	s_or_b64 exec, exec, s[2:3]
	s_and_saveexec_b64 s[2:3], s[0:1]
	s_cbranch_execnz .LBB168_69
	s_branch .LBB168_70
	.section	.rodata,"a",@progbits
	.p2align	6, 0x0
	.amdhsa_kernel _ZN4vllm25paged_attention_v1_kernelIfhLi112ELi8ELi128ELNS_18Fp8KVCacheDataTypeE1ELb1EEEvPT_PKS2_PKT0_S8_ifPKiSA_iPKfiiiSC_SC_iiiii
		.amdhsa_group_segment_fixed_size 464
		.amdhsa_private_segment_fixed_size 0
		.amdhsa_kernarg_size 384
		.amdhsa_user_sgpr_count 2
		.amdhsa_user_sgpr_dispatch_ptr 0
		.amdhsa_user_sgpr_queue_ptr 0
		.amdhsa_user_sgpr_kernarg_segment_ptr 1
		.amdhsa_user_sgpr_dispatch_id 0
		.amdhsa_user_sgpr_kernarg_preload_length 0
		.amdhsa_user_sgpr_kernarg_preload_offset 0
		.amdhsa_user_sgpr_private_segment_size 0
		.amdhsa_uses_dynamic_stack 0
		.amdhsa_enable_private_segment 0
		.amdhsa_system_sgpr_workgroup_id_x 1
		.amdhsa_system_sgpr_workgroup_id_y 1
		.amdhsa_system_sgpr_workgroup_id_z 1
		.amdhsa_system_sgpr_workgroup_info 0
		.amdhsa_system_vgpr_workitem_id 0
		.amdhsa_next_free_vgpr 56
		.amdhsa_next_free_sgpr 48
		.amdhsa_accum_offset 56
		.amdhsa_reserve_vcc 1
		.amdhsa_float_round_mode_32 0
		.amdhsa_float_round_mode_16_64 0
		.amdhsa_float_denorm_mode_32 3
		.amdhsa_float_denorm_mode_16_64 3
		.amdhsa_dx10_clamp 1
		.amdhsa_ieee_mode 1
		.amdhsa_fp16_overflow 0
		.amdhsa_tg_split 0
		.amdhsa_exception_fp_ieee_invalid_op 0
		.amdhsa_exception_fp_denorm_src 0
		.amdhsa_exception_fp_ieee_div_zero 0
		.amdhsa_exception_fp_ieee_overflow 0
		.amdhsa_exception_fp_ieee_underflow 0
		.amdhsa_exception_fp_ieee_inexact 0
		.amdhsa_exception_int_div_zero 0
	.end_amdhsa_kernel
	.section	.text._ZN4vllm25paged_attention_v1_kernelIfhLi112ELi8ELi128ELNS_18Fp8KVCacheDataTypeE1ELb1EEEvPT_PKS2_PKT0_S8_ifPKiSA_iPKfiiiSC_SC_iiiii,"axG",@progbits,_ZN4vllm25paged_attention_v1_kernelIfhLi112ELi8ELi128ELNS_18Fp8KVCacheDataTypeE1ELb1EEEvPT_PKS2_PKT0_S8_ifPKiSA_iPKfiiiSC_SC_iiiii,comdat
.Lfunc_end168:
	.size	_ZN4vllm25paged_attention_v1_kernelIfhLi112ELi8ELi128ELNS_18Fp8KVCacheDataTypeE1ELb1EEEvPT_PKS2_PKT0_S8_ifPKiSA_iPKfiiiSC_SC_iiiii, .Lfunc_end168-_ZN4vllm25paged_attention_v1_kernelIfhLi112ELi8ELi128ELNS_18Fp8KVCacheDataTypeE1ELb1EEEvPT_PKS2_PKT0_S8_ifPKiSA_iPKfiiiSC_SC_iiiii
                                        ; -- End function
	.section	.AMDGPU.csdata,"",@progbits
; Kernel info:
; codeLenInByte = 5180
; NumSgprs: 54
; NumVgprs: 56
; NumAgprs: 0
; TotalNumVgprs: 56
; ScratchSize: 0
; MemoryBound: 0
; FloatMode: 240
; IeeeMode: 1
; LDSByteSize: 464 bytes/workgroup (compile time only)
; SGPRBlocks: 6
; VGPRBlocks: 6
; NumSGPRsForWavesPerEU: 54
; NumVGPRsForWavesPerEU: 56
; AccumOffset: 56
; Occupancy: 8
; WaveLimiterHint : 1
; COMPUTE_PGM_RSRC2:SCRATCH_EN: 0
; COMPUTE_PGM_RSRC2:USER_SGPR: 2
; COMPUTE_PGM_RSRC2:TRAP_HANDLER: 0
; COMPUTE_PGM_RSRC2:TGID_X_EN: 1
; COMPUTE_PGM_RSRC2:TGID_Y_EN: 1
; COMPUTE_PGM_RSRC2:TGID_Z_EN: 1
; COMPUTE_PGM_RSRC2:TIDIG_COMP_CNT: 0
; COMPUTE_PGM_RSRC3_GFX90A:ACCUM_OFFSET: 13
; COMPUTE_PGM_RSRC3_GFX90A:TG_SPLIT: 0
	.section	.text._ZN4vllm25paged_attention_v1_kernelIfhLi120ELi8ELi128ELNS_18Fp8KVCacheDataTypeE1ELb1EEEvPT_PKS2_PKT0_S8_ifPKiSA_iPKfiiiSC_SC_iiiii,"axG",@progbits,_ZN4vllm25paged_attention_v1_kernelIfhLi120ELi8ELi128ELNS_18Fp8KVCacheDataTypeE1ELb1EEEvPT_PKS2_PKT0_S8_ifPKiSA_iPKfiiiSC_SC_iiiii,comdat
	.protected	_ZN4vllm25paged_attention_v1_kernelIfhLi120ELi8ELi128ELNS_18Fp8KVCacheDataTypeE1ELb1EEEvPT_PKS2_PKT0_S8_ifPKiSA_iPKfiiiSC_SC_iiiii ; -- Begin function _ZN4vllm25paged_attention_v1_kernelIfhLi120ELi8ELi128ELNS_18Fp8KVCacheDataTypeE1ELb1EEEvPT_PKS2_PKT0_S8_ifPKiSA_iPKfiiiSC_SC_iiiii
	.globl	_ZN4vllm25paged_attention_v1_kernelIfhLi120ELi8ELi128ELNS_18Fp8KVCacheDataTypeE1ELb1EEEvPT_PKS2_PKT0_S8_ifPKiSA_iPKfiiiSC_SC_iiiii
	.p2align	8
	.type	_ZN4vllm25paged_attention_v1_kernelIfhLi120ELi8ELi128ELNS_18Fp8KVCacheDataTypeE1ELb1EEEvPT_PKS2_PKT0_S8_ifPKiSA_iPKfiiiSC_SC_iiiii,@function
_ZN4vllm25paged_attention_v1_kernelIfhLi120ELi8ELi128ELNS_18Fp8KVCacheDataTypeE1ELb1EEEvPT_PKS2_PKT0_S8_ifPKiSA_iPKfiiiSC_SC_iiiii: ; @_ZN4vllm25paged_attention_v1_kernelIfhLi120ELi8ELi128ELNS_18Fp8KVCacheDataTypeE1ELb1EEEvPT_PKS2_PKT0_S8_ifPKiSA_iPKfiiiSC_SC_iiiii
; %bb.0:
	s_load_dword s5, s[0:1], 0x80
	s_load_dwordx2 s[6:7], s[0:1], 0x30
	s_load_dwordx2 s[36:37], s[0:1], 0x20
	s_mov_b32 s10, s3
	s_ashr_i32 s11, s3, 31
	s_lshl_b64 s[8:9], s[10:11], 2
	s_waitcnt lgkmcnt(0)
	s_add_u32 s6, s6, s8
	s_addc_u32 s7, s7, s9
	s_abs_i32 s3, s36
	v_cvt_f32_u32_e32 v1, s3
	s_sub_i32 s11, 0, s3
	s_abs_i32 s9, s5
	s_xor_b32 s8, s5, s36
	v_rcp_iflag_f32_e32 v1, v1
	s_ashr_i32 s8, s8, 31
	s_mov_b32 s44, 0
	v_mul_f32_e32 v1, 0x4f7ffffe, v1
	v_cvt_u32_f32_e32 v1, v1
	s_nop 0
	v_readfirstlane_b32 s12, v1
	s_mul_i32 s11, s11, s12
	s_mul_hi_u32 s11, s12, s11
	s_add_i32 s12, s12, s11
	s_mul_hi_u32 s11, s9, s12
	s_mul_i32 s12, s11, s3
	s_sub_i32 s9, s9, s12
	s_add_i32 s12, s11, 1
	s_sub_i32 s13, s9, s3
	s_cmp_ge_u32 s9, s3
	s_cselect_b32 s11, s12, s11
	s_cselect_b32 s9, s13, s9
	s_add_i32 s12, s11, 1
	s_cmp_ge_u32 s9, s3
	s_cselect_b32 s3, s12, s11
	s_xor_b32 s3, s3, s8
	s_sub_i32 s14, s3, s8
	s_abs_i32 s11, s14
	v_cvt_f32_u32_e32 v1, s11
	s_load_dwordx2 s[8:9], s[0:1], 0x40
	s_sub_i32 s3, 0, s11
	s_abs_i32 s12, s2
	v_rcp_iflag_f32_e32 v1, v1
	s_nop 0
	v_mul_f32_e32 v1, 0x4f7ffffe, v1
	v_cvt_u32_f32_e32 v1, v1
	s_nop 0
	v_readfirstlane_b32 s13, v1
	s_mul_i32 s3, s3, s13
	s_mul_hi_u32 s3, s13, s3
	s_add_i32 s13, s13, s3
	s_waitcnt lgkmcnt(0)
	s_cmp_eq_u64 s[8:9], 0
	s_mul_hi_u32 s13, s12, s13
	s_cbranch_scc1 .LBB169_2
; %bb.1:
	s_ashr_i32 s3, s2, 31
	s_lshl_b64 s[16:17], s[2:3], 2
	s_add_u32 s8, s8, s16
	s_addc_u32 s9, s9, s17
	s_load_dword s44, s[8:9], 0x0
.LBB169_2:
	s_load_dword s33, s[6:7], 0x0
	s_load_dwordx4 s[16:19], s[0:1], 0x48
	s_movk_i32 s6, 0x78
	s_ashr_i32 s3, s2, 31
	s_ashr_i32 s9, s14, 31
	v_and_b32_e32 v2, 7, v0
	s_mul_i32 s24, s2, 0x78
	v_cmp_gt_u32_e32 vcc, s6, v0
	v_lshlrev_b32_e32 v8, 2, v0
	v_lshrrev_b32_e32 v1, 1, v0
	s_and_saveexec_b64 s[6:7], vcc
	s_cbranch_execz .LBB169_4
; %bb.3:
	s_load_dwordx2 s[14:15], s[0:1], 0x8
	s_waitcnt lgkmcnt(0)
	s_mul_i32 s20, s10, s16
	s_ashr_i32 s21, s20, 31
	s_lshl_b64 s[20:21], s[20:21], 2
	v_and_b32_e32 v4, 0x1fc, v1
	s_add_u32 s8, s14, s20
	s_addc_u32 s16, s15, s21
	s_ashr_i32 s25, s24, 31
	s_lshl_b64 s[14:15], s[24:25], 2
	s_add_u32 s14, s8, s14
	s_addc_u32 s15, s16, s15
	global_load_dword v3, v8, s[14:15]
	v_mad_u32_u24 v4, v2, 60, v4
	s_waitcnt vmcnt(0)
	ds_write_b32 v4, v3
.LBB169_4:
	s_or_b64 exec, exec, s[6:7]
	s_mul_i32 s6, s13, s11
	s_sub_i32 s6, s12, s6
	s_xor_b32 s3, s3, s9
	s_add_i32 s7, s13, 1
	s_sub_i32 s9, s6, s11
	s_load_dwordx4 s[20:23], s[0:1], 0x68
	s_load_dword s8, s[0:1], 0x78
	s_cmp_ge_u32 s6, s11
	s_cselect_b32 s7, s7, s13
	s_cselect_b32 s6, s9, s6
	s_add_i32 s9, s7, 1
	s_cmp_ge_u32 s6, s11
	s_cselect_b32 s6, s9, s7
	s_waitcnt lgkmcnt(0)
	s_abs_i32 s25, s23
	v_cvt_f32_u32_e32 v3, s25
	s_xor_b32 s6, s6, s3
	s_sub_i32 s3, s6, s3
	s_sub_i32 s6, 0, s25
	v_rcp_iflag_f32_e32 v3, v3
	s_add_i32 s11, s33, -1
	s_abs_i32 s9, s11
	v_mul_f32_e32 v3, 0x4f7ffffe, v3
	v_cvt_u32_f32_e32 v3, v3
	s_barrier
	v_readfirstlane_b32 s42, v3
	s_mul_i32 s6, s6, s42
	s_mul_hi_u32 s6, s42, s6
	s_add_i32 s42, s42, s6
	s_cmp_lt_i32 s8, 0
	s_mul_hi_u32 s16, s9, s42
	s_cbranch_scc0 .LBB169_6
; %bb.5:
	s_mul_i32 s6, s20, s36
	s_add_i32 s6, s3, s6
	s_mul_i32 s6, s6, s8
	s_sub_i32 s36, 1, s6
	s_mov_b64 s[6:7], 0
	s_branch .LBB169_7
.LBB169_6:
	s_mov_b64 s[6:7], -1
                                        ; implicit-def: $sgpr36
.LBB169_7:
	s_load_dwordx2 s[28:29], s[0:1], 0x28
	s_ashr_i32 s19, s11, 31
	s_andn2_b64 vcc, exec, s[6:7]
	s_ashr_i32 s23, s23, 31
	s_cbranch_vccnz .LBB169_9
; %bb.8:
	s_mul_i32 s6, s5, s20
	s_add_i32 s2, s6, s2
	s_mul_i32 s2, s2, s8
	s_add_i32 s36, s2, 1
.LBB169_9:
	s_load_dword s2, s[0:1], 0x38
	s_load_dwordx2 s[26:27], s[0:1], 0x0
	s_load_dwordx2 s[34:35], s[0:1], 0x18
	s_load_dword s11, s[0:1], 0x88
	s_load_dwordx4 s[12:15], s[0:1], 0x58
	s_mul_i32 s6, s16, s25
	s_waitcnt lgkmcnt(0)
	s_mul_i32 s30, s10, s2
	s_sub_i32 s6, s9, s6
	s_ashr_i32 s31, s30, 31
	s_xor_b32 s2, s19, s23
	s_add_i32 s7, s16, 1
	s_sub_i32 s8, s6, s25
	s_cmp_ge_u32 s6, s25
	s_cselect_b32 s7, s7, s16
	s_cselect_b32 s6, s8, s6
	s_add_i32 s8, s7, 1
	s_cmp_ge_u32 s6, s25
	s_cselect_b32 s6, s8, s7
	s_xor_b32 s6, s6, s2
	s_sub_i32 s16, s6, s2
	s_add_i32 s2, s33, 7
	s_ashr_i32 s6, s2, 31
	s_lshr_b32 s6, s6, 29
	s_add_i32 s2, s2, s6
	s_ashr_i32 s43, s2, 3
	v_lshrrev_b32_e32 v30, 6, v0
	v_cmp_gt_i32_e64 s[6:7], s43, v30
	v_mov_b32_e32 v13, 0xff7fffff
	s_mul_i32 s20, s3, s18
	v_lshrrev_b32_e32 v9, 4, v0
	v_lshlrev_b32_e32 v31, 3, v30
	v_mbcnt_lo_u32_b32 v10, -1, 0
	s_and_saveexec_b64 s[18:19], s[6:7]
	s_cbranch_execz .LBB169_19
; %bb.10:
	s_load_dwordx2 s[0:1], s[0:1], 0x10
	s_sub_i32 s45, s16, s21
	s_ashr_i32 s2, s20, 31
	v_bfe_u32 v11, v0, 3, 3
	v_mov_b32_e32 v7, 0
	s_waitcnt lgkmcnt(0)
	s_add_u32 s0, s0, s20
	s_addc_u32 s1, s1, s2
	s_abs_i32 s46, s22
	v_cvt_f32_u32_e32 v3, s46
	v_lshlrev_b32_e32 v6, 4, v11
	v_lshl_add_u64 v[4:5], s[0:1], 0, v[6:7]
	s_sub_i32 s0, 0, s46
	v_rcp_iflag_f32_e32 v3, v3
	v_mbcnt_hi_u32_b32 v19, -1, v10
	v_cmp_eq_u32_e32 vcc, 0, v2
	s_mov_b32 s47, s17
	v_mul_f32_e32 v3, 0x4f7ffffe, v3
	v_cvt_u32_f32_e32 v13, v3
	v_mul_u32_u24_e32 v12, 60, v2
	v_cmp_neq_f32_e64 s[2:3], s44, 0
	v_mov_b32_e32 v3, v7
	v_mul_lo_u32 v6, s0, v13
	v_mul_hi_u32 v6, v13, v6
	v_add_u32_e32 v14, v13, v6
	v_lshlrev_b32_e32 v13, 2, v11
	s_lshl_b64 s[0:1], s[30:31], 2
	v_lshl_or_b32 v13, v30, 5, v13
	s_add_u32 s0, s28, s0
	v_add_u32_e32 v16, 0x1f0, v13
	v_subrev_u32_e32 v13, s33, v11
	v_and_b32_e32 v6, 60, v9
	s_addc_u32 s1, s29, s1
	v_add_u32_e32 v17, 1, v13
	v_and_b32_e32 v13, 64, v19
	v_lshl_add_u64 v[6:7], s[0:1], 0, v[6:7]
	v_lshlrev_b32_e32 v15, 3, v30
	s_mov_b64 s[38:39], 0
	v_mov_b32_e32 v18, 0xff7fffff
	v_add_u32_e32 v20, 64, v13
	v_xor_b32_e32 v21, 4, v19
	v_xor_b32_e32 v22, 2, v19
	;; [unrolled: 1-line block ×3, first 2 shown]
	v_mov_b32_e32 v13, 0xff7fffff
	v_mov_b32_e32 v24, v30
	s_branch .LBB169_13
.LBB169_11:                             ;   in Loop: Header=BB169_13 Depth=1
	s_or_b64 exec, exec, s[40:41]
.LBB169_12:                             ;   in Loop: Header=BB169_13 Depth=1
	s_or_b64 exec, exec, s[8:9]
	v_add_u32_e32 v24, 2, v24
	v_cmp_le_i32_e64 s[0:1], s43, v24
	v_lshl_add_u64 v[6:7], v[6:7], 0, 8
	v_add_u32_e32 v15, 16, v15
	s_or_b64 s[38:39], s[0:1], s[38:39]
	v_add_u32_e32 v16, 64, v16
	s_andn2_b64 exec, exec, s[38:39]
	s_cbranch_execz .LBB169_18
.LBB169_13:                             ; =>This Inner Loop Header: Depth=1
	v_mul_hi_u32 v25, v15, s42
	s_waitcnt lgkmcnt(0)
	v_mul_lo_u32 v26, v25, s25
	v_sub_u32_e32 v26, v15, v26
	v_add_u32_e32 v27, 1, v25
	v_cmp_le_u32_e64 s[0:1], s25, v26
	s_nop 1
	v_cndmask_b32_e64 v25, v25, v27, s[0:1]
	v_subrev_u32_e32 v27, s25, v26
	v_cndmask_b32_e64 v26, v26, v27, s[0:1]
	v_add_u32_e32 v27, 1, v25
	v_cmp_le_u32_e64 s[0:1], s25, v26
	s_nop 1
	v_cndmask_b32_e64 v25, v25, v27, s[0:1]
	v_xor_b32_e32 v25, s23, v25
	v_subrev_u32_e32 v25, s23, v25
	v_add_u32_e32 v26, s36, v25
	v_sub_u32_e32 v28, 0, v26
	v_ashrrev_i32_e32 v27, 31, v26
	v_max_i32_e32 v26, v26, v28
	v_mul_hi_u32 v28, v26, v14
	v_mul_lo_u32 v28, v28, s46
	v_sub_u32_e32 v26, v26, v28
	v_subrev_u32_e32 v28, s46, v26
	v_cmp_le_u32_e64 s[0:1], s46, v26
	v_cmp_ge_i32_e64 s[8:9], s45, v25
	s_nop 0
	v_cndmask_b32_e64 v26, v26, v28, s[0:1]
	v_subrev_u32_e32 v28, s46, v26
	v_cmp_le_u32_e64 s[0:1], s46, v26
	s_nop 1
	v_cndmask_b32_e64 v26, v26, v28, s[0:1]
	v_xor_b32_e32 v26, v26, v27
	v_sub_u32_e32 v26, v26, v27
	v_cmp_ne_u32_e64 s[0:1], 0, v26
	s_and_b64 s[0:1], s[0:1], s[8:9]
	s_and_b64 s[40:41], vcc, s[0:1]
	s_and_saveexec_b64 s[8:9], s[40:41]
	s_cbranch_execz .LBB169_15
; %bb.14:                               ;   in Loop: Header=BB169_13 Depth=1
	ds_write_b32 v16, v18
.LBB169_15:                             ;   in Loop: Header=BB169_13 Depth=1
	s_or_b64 exec, exec, s[8:9]
	s_xor_b64 s[0:1], s[0:1], -1
	s_and_saveexec_b64 s[8:9], s[0:1]
	s_cbranch_execz .LBB169_12
; %bb.16:                               ;   in Loop: Header=BB169_13 Depth=1
	global_load_dword v25, v[6:7], off
	s_waitcnt vmcnt(0)
	v_mad_i64_i32 v[26:27], s[0:1], v25, s47, v[4:5]
	v_lshl_add_u64 v[26:27], v[26:27], 0, v[2:3]
	global_load_ubyte v25, v[26:27], off
	global_load_ubyte v42, v[26:27], off offset:8
	global_load_ubyte v43, v[26:27], off offset:128
	;; [unrolled: 1-line block ×14, first 2 shown]
	v_cmp_lt_i32_e64 s[0:1], v21, v20
	ds_read2_b32 v[26:27], v12 offset1:1
	ds_read2_b32 v[28:29], v12 offset0:2 offset1:3
	ds_read2_b32 v[32:33], v12 offset0:4 offset1:5
	;; [unrolled: 1-line block ×6, first 2 shown]
	ds_read_b32 v56, v12 offset:56
	v_cndmask_b32_e64 v57, v19, v21, s[0:1]
	s_load_dword s0, s[12:13], 0x0
	v_lshlrev_b32_e32 v57, 2, v57
	s_waitcnt vmcnt(14)
	v_cvt_f32_fp8_sdwa v25, v25 src0_sel:BYTE_0
	s_waitcnt vmcnt(13)
	v_cvt_f32_fp8_sdwa v42, v42 src0_sel:BYTE_0
	;; [unrolled: 2-line block ×5, first 2 shown]
	s_waitcnt lgkmcnt(0)
	v_mul_f32_e32 v42, s0, v42
	s_waitcnt vmcnt(9)
	v_cvt_f32_fp8_sdwa v46, v46 src0_sel:BYTE_0
	v_mul_f32_e32 v25, s0, v25
	v_mul_f32_e32 v27, v27, v42
	s_waitcnt vmcnt(8)
	v_cvt_f32_fp8_sdwa v47, v47 src0_sel:BYTE_0
	v_mul_f32_e32 v43, s0, v43
	v_fmac_f32_e32 v27, v26, v25
	s_waitcnt vmcnt(7)
	v_cvt_f32_fp8_sdwa v48, v48 src0_sel:BYTE_0
	v_mul_f32_e32 v44, s0, v44
	v_fmac_f32_e32 v27, v28, v43
	;; [unrolled: 4-line block ×9, first 2 shown]
	v_mul_f32_e32 v52, s0, v52
	v_fmac_f32_e32 v27, v38, v51
	v_mul_f32_e32 v53, s0, v53
	v_fmac_f32_e32 v27, v39, v52
	;; [unrolled: 2-line block ×4, first 2 shown]
	v_fmac_f32_e32 v27, v56, v55
	ds_bpermute_b32 v25, v57, v27
	v_cmp_lt_i32_e64 s[0:1], v22, v20
	s_waitcnt lgkmcnt(0)
	v_add_f32_e32 v25, v27, v25
	v_cndmask_b32_e64 v26, v19, v22, s[0:1]
	v_lshlrev_b32_e32 v26, 2, v26
	ds_bpermute_b32 v26, v26, v25
	v_cmp_lt_i32_e64 s[0:1], v23, v20
	s_waitcnt lgkmcnt(0)
	v_add_f32_e32 v25, v25, v26
	v_cndmask_b32_e64 v27, v19, v23, s[0:1]
	v_lshlrev_b32_e32 v27, 2, v27
	ds_bpermute_b32 v26, v27, v25
	s_and_saveexec_b64 s[40:41], vcc
	s_cbranch_execz .LBB169_11
; %bb.17:                               ;   in Loop: Header=BB169_13 Depth=1
	v_add_u32_e32 v27, v17, v15
	v_cvt_f32_i32_e32 v27, v27
	s_waitcnt lgkmcnt(0)
	v_add_f32_e32 v25, v25, v26
	v_add_u32_e32 v28, v11, v15
	v_cmp_gt_i32_e64 s[0:1], s33, v28
	v_mul_f32_e32 v26, s44, v27
	v_cndmask_b32_e64 v26, 0, v26, s[2:3]
	v_fmac_f32_e32 v26, s37, v25
	v_cndmask_b32_e64 v25, 0, v26, s[0:1]
	ds_write_b32 v16, v25
	v_max_f32_e32 v25, v13, v13
	v_max_f32_e32 v25, v25, v26
	v_cndmask_b32_e64 v13, v13, v25, s[0:1]
	s_branch .LBB169_11
.LBB169_18:
	s_or_b64 exec, exec, s[38:39]
.LBB169_19:
	s_or_b64 exec, exec, s[18:19]
	v_mbcnt_hi_u32_b32 v2, -1, v10
	v_and_b32_e32 v3, 64, v2
	v_add_u32_e32 v3, 64, v3
	v_xor_b32_e32 v4, 32, v2
	v_cmp_lt_i32_e32 vcc, v4, v3
	v_xor_b32_e32 v7, 16, v2
	v_max_f32_e32 v5, v13, v13
	v_cndmask_b32_e32 v4, v2, v4, vcc
	v_lshlrev_b32_e32 v6, 2, v4
	ds_bpermute_b32 v4, v6, v13
	v_cmp_lt_i32_e32 vcc, v7, v3
	v_xor_b32_e32 v11, 8, v2
	s_waitcnt lgkmcnt(0)
	v_max_f32_e32 v4, v4, v4
	v_max_f32_e32 v4, v5, v4
	v_cndmask_b32_e32 v5, v2, v7, vcc
	v_lshlrev_b32_e32 v10, 2, v5
	ds_bpermute_b32 v5, v10, v4
	v_cmp_lt_i32_e32 vcc, v11, v3
	s_waitcnt lgkmcnt(0)
	v_max_f32_e32 v5, v5, v5
	v_max_f32_e32 v7, v4, v5
	v_cndmask_b32_e32 v4, v2, v11, vcc
	v_lshlrev_b32_e32 v11, 2, v4
	ds_bpermute_b32 v12, v11, v7
	v_and_b32_e32 v4, 63, v0
	v_cmp_eq_u32_e32 vcc, 0, v4
	v_lshlrev_b32_e32 v5, 2, v30
	s_and_saveexec_b64 s[0:1], vcc
	s_cbranch_execz .LBB169_21
; %bb.20:
	s_waitcnt lgkmcnt(0)
	v_max_f32_e32 v12, v12, v12
	v_max_f32_e32 v7, v7, v7
	;; [unrolled: 1-line block ×3, first 2 shown]
	ds_write_b32 v5, v7 offset:480
.LBB169_21:
	s_or_b64 exec, exec, s[0:1]
	v_cmp_gt_u32_e64 s[0:1], 2, v4
	s_waitcnt lgkmcnt(0)
	v_mov_b32_e32 v12, 0xff7fffff
	v_lshlrev_b32_e32 v7, 2, v4
	s_barrier
	s_and_saveexec_b64 s[2:3], s[0:1]
	s_cbranch_execz .LBB169_23
; %bb.22:
	ds_read_b32 v12, v7 offset:480
.LBB169_23:
	s_or_b64 exec, exec, s[2:3]
	v_xor_b32_e32 v13, 1, v2
	v_cmp_lt_i32_e64 s[2:3], v13, v3
	v_lshlrev_b32_e32 v14, 2, v2
	s_nop 0
	v_cndmask_b32_e64 v13, v2, v13, s[2:3]
	v_lshlrev_b32_e32 v32, 2, v13
	s_waitcnt lgkmcnt(0)
	ds_bpermute_b32 v13, v32, v12
	v_max_f32_e32 v12, v12, v12
	s_lshl_b32 s2, s43, 3
	s_min_i32 s37, s2, s33
	v_cmp_gt_i32_e64 s[2:3], s37, v0
	s_waitcnt lgkmcnt(0)
	v_max_f32_e32 v13, v13, v13
	v_max_f32_e32 v13, v12, v13
	v_and_b32_e32 v12, 0x100, v14
	ds_bpermute_b32 v14, v12, v13
	v_mov_b32_e32 v13, 0
	s_and_saveexec_b64 s[12:13], s[2:3]
	s_cbranch_execz .LBB169_27
; %bb.24:
	v_mov_b32_e32 v13, 0x1f0
	v_lshl_add_u32 v15, v0, 2, v13
	s_mov_b64 s[18:19], 0
	v_mov_b32_e32 v13, 0
	v_mov_b32_e32 v16, v0
.LBB169_25:                             ; =>This Inner Loop Header: Depth=1
	ds_read_b32 v17, v15
	v_add_u32_e32 v16, 0x80, v16
	v_cmp_le_i32_e64 s[8:9], s37, v16
	s_or_b64 s[18:19], s[8:9], s[18:19]
	s_waitcnt lgkmcnt(0)
	v_sub_f32_e32 v17, v17, v14
	v_mul_f32_e32 v17, 0x3fb8aa3b, v17
	v_exp_f32_e32 v17, v17
	ds_write_b32 v15, v17
	v_add_f32_e32 v13, v13, v17
	v_add_u32_e32 v15, 0x200, v15
	s_andn2_b64 exec, exec, s[18:19]
	s_cbranch_execnz .LBB169_25
; %bb.26:
	s_or_b64 exec, exec, s[18:19]
.LBB169_27:
	s_or_b64 exec, exec, s[12:13]
	ds_bpermute_b32 v6, v6, v13
	s_waitcnt lgkmcnt(0)
	v_add_f32_e32 v6, v13, v6
	ds_bpermute_b32 v10, v10, v6
	s_waitcnt lgkmcnt(0)
	v_add_f32_e32 v6, v6, v10
	ds_bpermute_b32 v10, v11, v6
	v_xor_b32_e32 v11, 4, v2
	v_cmp_lt_i32_e64 s[8:9], v11, v3
	s_waitcnt lgkmcnt(0)
	v_add_f32_e32 v6, v6, v10
	v_cndmask_b32_e64 v11, v2, v11, s[8:9]
	v_lshlrev_b32_e32 v11, 2, v11
	ds_bpermute_b32 v10, v11, v6
	v_xor_b32_e32 v11, 2, v2
	v_cmp_lt_i32_e64 s[8:9], v11, v3
	s_waitcnt lgkmcnt(0)
	v_add_f32_e32 v3, v6, v10
	v_cndmask_b32_e64 v2, v2, v11, s[8:9]
	v_lshlrev_b32_e32 v2, 2, v2
	ds_bpermute_b32 v2, v2, v3
	s_waitcnt lgkmcnt(0)
	v_add_f32_e32 v2, v3, v2
	ds_bpermute_b32 v3, v32, v2
	s_waitcnt lgkmcnt(0)
	v_add_f32_e32 v2, v2, v3
	s_and_saveexec_b64 s[8:9], vcc
	s_cbranch_execz .LBB169_29
; %bb.28:
	ds_write_b32 v5, v2 offset:488
.LBB169_29:
	s_or_b64 exec, exec, s[8:9]
	s_waitcnt lgkmcnt(0)
	s_barrier
	s_and_saveexec_b64 s[8:9], s[0:1]
	s_cbranch_execz .LBB169_31
; %bb.30:
	ds_read_b32 v2, v7 offset:488
.LBB169_31:
	s_or_b64 exec, exec, s[8:9]
	s_waitcnt lgkmcnt(0)
	ds_bpermute_b32 v3, v32, v2
	s_waitcnt lgkmcnt(0)
	v_add_f32_e32 v2, v2, v3
	ds_bpermute_b32 v2, v12, v2
	s_and_saveexec_b64 s[0:1], s[2:3]
	s_cbranch_execz .LBB169_44
; %bb.32:
	s_waitcnt lgkmcnt(0)
	v_add_f32_e32 v2, 0x358637bd, v2
	v_div_scale_f32 v3, s[2:3], v2, v2, 1.0
	v_rcp_f32_e32 v5, v3
	v_div_scale_f32 v6, vcc, 1.0, v2, 1.0
	s_movk_i32 s2, 0x7f
	v_fma_f32 v7, -v3, v5, 1.0
	v_fmac_f32_e32 v5, v7, v5
	v_mul_f32_e32 v7, v6, v5
	v_fma_f32 v10, -v3, v7, v6
	v_fmac_f32_e32 v7, v10, v5
	v_fma_f32 v3, -v3, v7, v6
	v_div_fmas_f32 v3, v3, v5, v7
	v_xad_u32 v5, v0, -1, s37
	v_div_fixup_f32 v2, v3, v2, 1.0
	v_cmp_lt_u32_e32 vcc, s2, v5
	s_mov_b64 s[8:9], -1
	v_mov_b32_e32 v3, v0
	s_and_saveexec_b64 s[2:3], vcc
	s_cbranch_execz .LBB169_41
; %bb.33:
	v_lshrrev_b32_e32 v5, 7, v5
	v_add_u32_e32 v7, -1, v5
	v_lshrrev_b32_e32 v6, 1, v7
	v_mov_b32_e32 v3, v2
	v_add_u32_e32 v6, 1, v6
	v_cmp_lt_u32_e32 vcc, 13, v7
	v_mov_b32_e32 v11, 0
	s_and_saveexec_b64 s[8:9], vcc
	s_cbranch_execz .LBB169_37
; %bb.34:
	v_mov_b32_e32 v10, 0x1f0
	v_and_b32_e32 v7, -8, v6
	v_lshl_add_u32 v10, v0, 2, v10
	s_mov_b32 s18, 0
	s_mov_b64 s[12:13], 0
.LBB169_35:                             ; =>This Inner Loop Header: Depth=1
	ds_read2st64_b32 v[12:13], v10 offset1:2
	ds_read2st64_b32 v[14:15], v10 offset0:4 offset1:6
	ds_read2st64_b32 v[16:17], v10 offset0:8 offset1:10
	;; [unrolled: 1-line block ×3, first 2 shown]
	v_add_u32_e32 v7, -8, v7
	s_waitcnt lgkmcnt(3)
	v_pk_mul_f32 v[12:13], v[2:3], v[12:13]
	s_waitcnt lgkmcnt(2)
	v_pk_mul_f32 v[14:15], v[2:3], v[14:15]
	ds_write2st64_b32 v10, v12, v13 offset1:2
	ds_write2st64_b32 v10, v14, v15 offset0:4 offset1:6
	ds_read2st64_b32 v[14:15], v10 offset0:16 offset1:18
	s_waitcnt lgkmcnt(4)
	v_pk_mul_f32 v[12:13], v[2:3], v[16:17]
	ds_write2st64_b32 v10, v12, v13 offset0:8 offset1:10
	s_waitcnt lgkmcnt(4)
	v_pk_mul_f32 v[12:13], v[2:3], v[18:19]
	ds_write2st64_b32 v10, v12, v13 offset0:12 offset1:14
	ds_read2st64_b32 v[12:13], v10 offset0:20 offset1:22
	s_waitcnt lgkmcnt(3)
	v_pk_mul_f32 v[14:15], v[2:3], v[14:15]
	ds_read2st64_b32 v[16:17], v10 offset0:24 offset1:26
	ds_write2st64_b32 v10, v14, v15 offset0:16 offset1:18
	ds_read2st64_b32 v[14:15], v10 offset0:28 offset1:30
	s_waitcnt lgkmcnt(3)
	v_pk_mul_f32 v[12:13], v[2:3], v[12:13]
	ds_write2st64_b32 v10, v12, v13 offset0:20 offset1:22
	s_waitcnt lgkmcnt(3)
	v_pk_mul_f32 v[12:13], v[2:3], v[16:17]
	ds_write2st64_b32 v10, v12, v13 offset0:24 offset1:26
	s_waitcnt lgkmcnt(2)
	v_pk_mul_f32 v[12:13], v[2:3], v[14:15]
	s_add_i32 s18, s18, 16
	v_cmp_eq_u32_e32 vcc, 0, v7
	ds_write2st64_b32 v10, v12, v13 offset0:28 offset1:30
	v_add_u32_e32 v10, 0x2000, v10
	s_or_b64 s[12:13], vcc, s[12:13]
	v_mov_b32_e32 v11, s18
	s_andn2_b64 exec, exec, s[12:13]
	s_cbranch_execnz .LBB169_35
; %bb.36:
	s_or_b64 exec, exec, s[12:13]
.LBB169_37:
	s_or_b64 exec, exec, s[8:9]
	v_and_b32_e32 v6, 7, v6
	v_cmp_ne_u32_e32 vcc, 0, v6
	s_and_saveexec_b64 s[8:9], vcc
	s_cbranch_execz .LBB169_40
; %bb.38:
	v_lshlrev_b32_e32 v7, 9, v11
	s_movk_i32 s12, 0x1f0
	v_add3_u32 v7, v7, v8, s12
	s_mov_b64 s[12:13], 0
.LBB169_39:                             ; =>This Inner Loop Header: Depth=1
	ds_read2st64_b32 v[10:11], v7 offset1:2
	v_add_u32_e32 v6, -1, v6
	v_cmp_eq_u32_e32 vcc, 0, v6
	s_or_b64 s[12:13], vcc, s[12:13]
	s_waitcnt lgkmcnt(0)
	v_pk_mul_f32 v[10:11], v[2:3], v[10:11]
	ds_write2st64_b32 v7, v10, v11 offset1:2
	v_add_u32_e32 v7, 0x400, v7
	s_andn2_b64 exec, exec, s[12:13]
	s_cbranch_execnz .LBB169_39
.LBB169_40:
	s_or_b64 exec, exec, s[8:9]
	v_add_u32_e32 v5, 1, v5
	v_and_b32_e32 v6, 0x3fffffe, v5
	v_cmp_ne_u32_e32 vcc, v5, v6
	v_lshl_add_u32 v3, v6, 7, v0
	s_orn2_b64 s[8:9], vcc, exec
.LBB169_41:
	s_or_b64 exec, exec, s[2:3]
	s_and_b64 exec, exec, s[8:9]
	s_cbranch_execz .LBB169_44
; %bb.42:
	v_mov_b32_e32 v5, 0x1f0
	v_lshl_add_u32 v5, v3, 2, v5
	s_mov_b64 s[2:3], 0
.LBB169_43:                             ; =>This Inner Loop Header: Depth=1
	ds_read_b32 v6, v5
	v_add_u32_e32 v3, 0x80, v3
	v_cmp_le_i32_e32 vcc, s37, v3
	s_or_b64 s[2:3], vcc, s[2:3]
	s_waitcnt lgkmcnt(0)
	v_mul_f32_e32 v6, v2, v6
	ds_write_b32 v5, v6
	v_add_u32_e32 v5, 0x200, v5
	s_andn2_b64 exec, exec, s[2:3]
	s_cbranch_execnz .LBB169_43
.LBB169_44:
	s_or_b64 exec, exec, s[0:1]
	s_mov_b32 s0, 0
	v_mov_b32_e32 v5, 0
	v_lshrrev_b32_e32 v34, 1, v4
	v_and_b32_e32 v33, 1, v0
	v_mov_b32_e32 v4, 0
	v_mov_b32_e32 v3, 0
	s_waitcnt lgkmcnt(0)
	v_mov_b32_e32 v2, 0
	s_barrier
	s_and_saveexec_b64 s[8:9], s[6:7]
	s_cbranch_execz .LBB169_60
; %bb.45:
	s_sub_i32 s37, s16, s21
	s_ashr_i32 s1, s20, 31
	s_add_u32 s6, s34, s20
	s_addc_u32 s7, s35, s1
	s_abs_i32 s22, s22
	v_cvt_f32_u32_e32 v2, s22
	v_or_b32_e32 v3, 0x60, v34
	s_movk_i32 s1, 0x78
	v_and_b32_e32 v35, 4, v8
	v_rcp_iflag_f32_e32 v2, v2
	v_cmp_gt_u32_e32 vcc, s1, v3
	s_sub_i32 s1, 0, s22
	s_add_i32 s34, s43, -1
	v_mul_f32_e32 v2, 0x4f7ffffe, v2
	v_cvt_u32_f32_e32 v2, v2
	v_lshl_or_b32 v12, v3, 3, v35
	s_lshl_b64 s[2:3], s[30:31], 2
	v_mov_b32_e32 v11, 0
	v_mul_lo_u32 v3, s1, v2
	v_mul_hi_u32 v3, v2, v3
	s_add_u32 s2, s28, s2
	v_add_u32_e32 v36, v2, v3
	v_and_b32_e32 v2, 60, v9
	v_mov_b32_e32 v3, v11
	s_addc_u32 s3, s29, s3
	v_lshl_add_u64 v[14:15], s[2:3], 0, v[2:3]
	v_lshlrev_b32_e32 v2, 4, v33
	v_lshl_or_b32 v2, v30, 5, v2
	s_mov_b32 s2, s0
	s_mov_b32 s3, s0
	v_add_u32_e32 v37, 0x1f0, v2
	s_mov_b32 s1, s0
	v_mov_b64_e32 v[4:5], s[2:3]
	s_mov_b32 s38, s17
	v_lshl_or_b32 v10, v34, 3, v35
	v_mov_b32_e32 v13, v11
	s_mov_b64 s[12:13], 0
	v_mov_b64_e32 v[2:3], s[0:1]
	s_branch .LBB169_49
.LBB169_46:                             ;   in Loop: Header=BB169_49 Depth=1
	s_or_b64 exec, exec, s[18:19]
	v_mul_f32_e32 v7, v7, v19
	v_fmac_f32_e32 v7, v6, v18
	v_fmac_f32_e32 v7, v8, v16
	;; [unrolled: 1-line block ×3, first 2 shown]
	v_add_f32_e32 v5, v5, v7
.LBB169_47:                             ;   in Loop: Header=BB169_49 Depth=1
	s_or_b64 exec, exec, s[2:3]
.LBB169_48:                             ;   in Loop: Header=BB169_49 Depth=1
	s_or_b64 exec, exec, s[16:17]
	v_add_u32_e32 v30, 2, v30
	v_cmp_le_i32_e64 s[0:1], s43, v30
	v_lshl_add_u64 v[14:15], v[14:15], 0, 8
	v_add_u32_e32 v31, 16, v31
	s_or_b64 s[12:13], s[0:1], s[12:13]
	v_add_u32_e32 v37, 64, v37
	s_andn2_b64 exec, exec, s[12:13]
	s_cbranch_execz .LBB169_59
.LBB169_49:                             ; =>This Inner Loop Header: Depth=1
	v_mul_hi_u32 v6, v31, s42
	v_mul_lo_u32 v7, v6, s25
	v_sub_u32_e32 v7, v31, v7
	v_add_u32_e32 v8, 1, v6
	v_cmp_le_u32_e64 s[0:1], s25, v7
	s_nop 1
	v_cndmask_b32_e64 v6, v6, v8, s[0:1]
	v_subrev_u32_e32 v8, s25, v7
	v_cndmask_b32_e64 v7, v7, v8, s[0:1]
	v_add_u32_e32 v8, 1, v6
	v_cmp_le_u32_e64 s[0:1], s25, v7
	s_nop 1
	v_cndmask_b32_e64 v6, v6, v8, s[0:1]
	v_xor_b32_e32 v6, s23, v6
	v_subrev_u32_e32 v6, s23, v6
	v_add_u32_e32 v7, s36, v6
	v_sub_u32_e32 v9, 0, v7
	v_ashrrev_i32_e32 v8, 31, v7
	v_max_i32_e32 v7, v7, v9
	v_mul_hi_u32 v9, v7, v36
	v_mul_lo_u32 v9, v9, s22
	v_sub_u32_e32 v7, v7, v9
	v_subrev_u32_e32 v9, s22, v7
	v_cmp_le_u32_e64 s[0:1], s22, v7
	v_cmp_lt_i32_e64 s[2:3], s37, v6
	s_nop 0
	v_cndmask_b32_e64 v7, v7, v9, s[0:1]
	v_subrev_u32_e32 v9, s22, v7
	v_cmp_le_u32_e64 s[0:1], s22, v7
	s_nop 1
	v_cndmask_b32_e64 v7, v7, v9, s[0:1]
	v_xor_b32_e32 v7, v7, v8
	v_sub_u32_e32 v7, v7, v8
	v_cmp_eq_u32_e64 s[0:1], 0, v7
	s_or_b64 s[0:1], s[0:1], s[2:3]
	s_and_saveexec_b64 s[16:17], s[0:1]
	s_cbranch_execz .LBB169_48
; %bb.50:                               ;   in Loop: Header=BB169_49 Depth=1
	global_load_dword v8, v[14:15], off
	v_mov_b64_e32 v[6:7], s[6:7]
	s_load_dword s18, s[14:15], 0x0
	v_add_u32_e32 v38, v35, v31
	s_waitcnt vmcnt(0)
	v_mad_i64_i32 v[16:17], s[0:1], v8, s38, v[6:7]
	v_lshl_add_u64 v[22:23], v[16:17], 0, v[10:11]
	global_load_dword v18, v[22:23], off
	ds_read_b128 v[6:9], v37
	v_cmp_eq_u32_e64 s[0:1], s34, v30
	s_waitcnt vmcnt(0)
	v_and_b32_e32 v19, 0xffff, v18
	v_lshrrev_b32_e32 v20, 16, v18
	v_cvt_pk_f32_fp8_e32 v[18:19], v19
	v_cvt_pk_f32_fp8_e32 v[24:25], v20
	s_waitcnt lgkmcnt(0)
	v_pk_mul_f32 v[20:21], s[18:19], v[18:19] op_sel_hi:[0,1]
	v_pk_mul_f32 v[18:19], s[18:19], v[24:25] op_sel_hi:[0,1]
	s_and_saveexec_b64 s[20:21], s[0:1]
; %bb.51:                               ;   in Loop: Header=BB169_49 Depth=1
	v_cmp_gt_i32_e64 s[2:3], s33, v38
	v_add_u32_e32 v24, 1, v38
	s_nop 0
	v_cndmask_b32_e64 v20, 0, v20, s[2:3]
	v_cmp_gt_i32_e64 s[2:3], s33, v24
	v_add_u32_e32 v24, 2, v38
	s_nop 0
	v_cndmask_b32_e64 v21, 0, v21, s[2:3]
	;; [unrolled: 4-line block ×3, first 2 shown]
	v_cmp_gt_i32_e64 s[2:3], s33, v24
	s_nop 1
	v_cndmask_b32_e64 v19, 0, v19, s[2:3]
; %bb.52:                               ;   in Loop: Header=BB169_49 Depth=1
	s_or_b64 exec, exec, s[20:21]
	global_load_dword v24, v[22:23], off offset:256
	s_mov_b32 s19, s18
	s_waitcnt vmcnt(0)
	v_and_b32_e32 v25, 0xffff, v24
	v_lshrrev_b32_e32 v26, 16, v24
	v_cvt_pk_f32_fp8_e32 v[24:25], v25
	v_cvt_pk_f32_fp8_e32 v[28:29], v26
	v_pk_mul_f32 v[26:27], s[18:19], v[24:25]
	v_pk_mul_f32 v[24:25], s[18:19], v[28:29]
	s_and_saveexec_b64 s[20:21], s[0:1]
; %bb.53:                               ;   in Loop: Header=BB169_49 Depth=1
	v_cmp_gt_i32_e64 s[2:3], s33, v38
	v_add_u32_e32 v28, 1, v38
	s_nop 0
	v_cndmask_b32_e64 v26, 0, v26, s[2:3]
	v_cmp_gt_i32_e64 s[2:3], s33, v28
	v_add_u32_e32 v28, 2, v38
	s_nop 0
	v_cndmask_b32_e64 v27, 0, v27, s[2:3]
	;; [unrolled: 4-line block ×3, first 2 shown]
	v_cmp_gt_i32_e64 s[2:3], s33, v28
	s_nop 1
	v_cndmask_b32_e64 v25, 0, v25, s[2:3]
; %bb.54:                               ;   in Loop: Header=BB169_49 Depth=1
	s_or_b64 exec, exec, s[20:21]
	global_load_dword v22, v[22:23], off offset:512
	s_waitcnt vmcnt(0)
	v_and_b32_e32 v23, 0xffff, v22
	v_lshrrev_b32_e32 v28, 16, v22
	v_cvt_pk_f32_fp8_e32 v[22:23], v23
	v_cvt_pk_f32_fp8_e32 v[40:41], v28
	v_pk_mul_f32 v[28:29], s[18:19], v[22:23]
	v_pk_mul_f32 v[22:23], s[18:19], v[40:41]
	s_and_saveexec_b64 s[20:21], s[0:1]
; %bb.55:                               ;   in Loop: Header=BB169_49 Depth=1
	v_cmp_gt_i32_e64 s[2:3], s33, v38
	v_add_u32_e32 v39, 1, v38
	s_nop 0
	v_cndmask_b32_e64 v28, 0, v28, s[2:3]
	v_cmp_gt_i32_e64 s[2:3], s33, v39
	v_add_u32_e32 v39, 2, v38
	s_nop 0
	v_cndmask_b32_e64 v29, 0, v29, s[2:3]
	;; [unrolled: 4-line block ×3, first 2 shown]
	v_cmp_gt_i32_e64 s[2:3], s33, v39
	s_nop 1
	v_cndmask_b32_e64 v23, 0, v23, s[2:3]
; %bb.56:                               ;   in Loop: Header=BB169_49 Depth=1
	s_or_b64 exec, exec, s[20:21]
	v_mul_f32_e32 v21, v7, v21
	v_fmac_f32_e32 v21, v6, v20
	v_fmac_f32_e32 v21, v8, v18
	v_mul_f32_e32 v18, v7, v27
	v_fmac_f32_e32 v18, v6, v26
	v_fmac_f32_e32 v18, v8, v24
	;; [unrolled: 1-line block ×3, first 2 shown]
	v_add_f32_e32 v3, v3, v18
	v_mul_f32_e32 v18, v7, v29
	v_fmac_f32_e32 v18, v6, v28
	v_fmac_f32_e32 v18, v8, v22
	;; [unrolled: 1-line block ×4, first 2 shown]
	v_add_f32_e32 v2, v2, v21
	v_add_f32_e32 v4, v4, v18
	s_and_saveexec_b64 s[2:3], vcc
	s_cbranch_execz .LBB169_47
; %bb.57:                               ;   in Loop: Header=BB169_49 Depth=1
	v_lshl_add_u64 v[16:17], v[16:17], 0, v[12:13]
	global_load_dword v16, v[16:17], off
	s_waitcnt vmcnt(0)
	v_and_b32_e32 v17, 0xffff, v16
	v_lshrrev_b32_e32 v18, 16, v16
	v_cvt_pk_f32_fp8_e32 v[16:17], v17
	v_cvt_pk_f32_fp8_e32 v[20:21], v18
	v_pk_mul_f32 v[18:19], s[18:19], v[16:17]
	v_pk_mul_f32 v[16:17], s[18:19], v[20:21]
	s_and_saveexec_b64 s[18:19], s[0:1]
	s_cbranch_execz .LBB169_46
; %bb.58:                               ;   in Loop: Header=BB169_49 Depth=1
	v_cmp_gt_i32_e64 s[0:1], s33, v38
	v_add_u32_e32 v20, 1, v38
	s_nop 0
	v_cndmask_b32_e64 v18, 0, v18, s[0:1]
	v_cmp_gt_i32_e64 s[0:1], s33, v20
	v_add_u32_e32 v20, 2, v38
	s_nop 0
	v_cndmask_b32_e64 v19, 0, v19, s[0:1]
	v_cmp_gt_i32_e64 s[0:1], s33, v20
	v_add_u32_e32 v20, 3, v38
	s_nop 0
	v_cndmask_b32_e64 v16, 0, v16, s[0:1]
	v_cmp_gt_i32_e64 s[0:1], s33, v20
	s_nop 1
	v_cndmask_b32_e64 v17, 0, v17, s[0:1]
	s_branch .LBB169_46
.LBB169_59:
	s_or_b64 exec, exec, s[12:13]
.LBB169_60:
	s_or_b64 exec, exec, s[8:9]
	ds_bpermute_b32 v6, v32, v2
	ds_bpermute_b32 v7, v32, v3
	ds_bpermute_b32 v8, v32, v4
	ds_bpermute_b32 v9, v32, v5
	s_waitcnt lgkmcnt(0)
	s_barrier
	v_pk_add_f32 v[6:7], v[2:3], v[6:7]
	v_pk_add_f32 v[2:3], v[4:5], v[8:9]
	v_and_b32_e32 v4, 0x3c0, v0
	v_cmp_eq_u32_e32 vcc, 64, v4
	s_and_saveexec_b64 s[2:3], vcc
	s_cbranch_execz .LBB169_65
; %bb.61:
	v_cmp_eq_u32_e32 vcc, 0, v33
	s_and_saveexec_b64 s[0:1], vcc
	s_cbranch_execz .LBB169_63
; %bb.62:
	v_mov_b32_e32 v4, 0x1f0
	v_lshl_add_u32 v4, v34, 2, v4
	ds_write2_b32 v4, v6, v7 offset1:32
	ds_write_b32 v4, v2 offset:256
.LBB169_63:
	s_or_b64 exec, exec, s[0:1]
	v_or_b32_e32 v4, 0x60, v34
	s_movk_i32 s0, 0x78
	v_cmp_gt_u32_e64 s[0:1], s0, v4
	s_and_b64 s[0:1], vcc, s[0:1]
	s_and_b64 exec, exec, s[0:1]
	s_cbranch_execz .LBB169_65
; %bb.64:
	v_mov_b32_e32 v4, 0x1f0
	v_lshl_add_u32 v4, v34, 2, v4
	ds_write_b32 v4, v3 offset:384
.LBB169_65:
	s_or_b64 exec, exec, s[2:3]
	v_cmp_gt_u32_e32 vcc, 64, v0
	s_waitcnt lgkmcnt(0)
	s_barrier
	s_and_saveexec_b64 s[6:7], vcc
	s_cbranch_execz .LBB169_73
; %bb.66:
	v_cmp_eq_u32_e64 s[0:1], 0, v33
	s_and_saveexec_b64 s[2:3], s[0:1]
	s_cbranch_execnz .LBB169_79
; %bb.67:
	s_or_b64 exec, exec, s[2:3]
	s_and_saveexec_b64 s[2:3], s[0:1]
	s_cbranch_execnz .LBB169_80
.LBB169_68:
	s_or_b64 exec, exec, s[2:3]
	s_and_saveexec_b64 s[2:3], s[0:1]
	s_cbranch_execz .LBB169_70
.LBB169_69:
	v_mov_b32_e32 v0, 0x1f0
	v_lshl_add_u32 v0, v1, 2, v0
	ds_read_b32 v0, v0 offset:256
	s_waitcnt lgkmcnt(0)
	v_add_f32_e32 v2, v2, v0
.LBB169_70:
	s_or_b64 exec, exec, s[2:3]
	v_or_b32_e32 v0, 0x60, v1
	s_movk_i32 s2, 0x78
	v_cmp_gt_u32_e64 s[2:3], s2, v0
	s_and_b64 s[2:3], s[0:1], s[2:3]
	s_and_saveexec_b64 s[0:1], s[2:3]
	s_cbranch_execz .LBB169_72
; %bb.71:
	v_mov_b32_e32 v0, 0x1f0
	v_lshl_add_u32 v0, v1, 2, v0
	ds_read_b32 v0, v0 offset:384
	s_waitcnt lgkmcnt(0)
	v_add_f32_e32 v3, v3, v0
.LBB169_72:
	s_or_b64 exec, exec, s[0:1]
.LBB169_73:
	s_or_b64 exec, exec, s[6:7]
	s_barrier
	s_and_saveexec_b64 s[0:1], vcc
	s_cbranch_execz .LBB169_78
; %bb.74:
	s_mul_i32 s0, s10, s11
	s_mul_i32 s0, s0, s5
	s_mulk_i32 s0, 0x78
	s_ashr_i32 s1, s0, 31
	s_lshl_b64 s[0:1], s[0:1], 2
	s_add_u32 s2, s26, s0
	s_mul_i32 s0, s11, s24
	s_addc_u32 s3, s27, s1
	s_ashr_i32 s1, s0, 31
	s_lshl_b64 s[0:1], s[0:1], 2
	s_add_u32 s2, s2, s0
	s_mul_i32 s0, s4, 0x78
	s_addc_u32 s3, s3, s1
	s_ashr_i32 s1, s0, 31
	s_lshl_b64 s[0:1], s[0:1], 2
	s_add_u32 s2, s2, s0
	s_movk_i32 s5, 0x78
	s_addc_u32 s3, s3, s1
	v_cmp_eq_u32_e32 vcc, 0, v33
	v_lshlrev_b32_e32 v0, 2, v1
	s_and_saveexec_b64 s[0:1], vcc
	s_cbranch_execz .LBB169_76
; %bb.75:
	global_store_dword v0, v6, s[2:3]
	global_store_dword v0, v7, s[2:3] offset:128
	global_store_dword v0, v2, s[2:3] offset:256
.LBB169_76:
	s_or_b64 exec, exec, s[0:1]
	v_or_b32_e32 v1, 0x60, v1
	v_cmp_gt_u32_e64 s[0:1], s5, v1
	s_and_b64 s[0:1], vcc, s[0:1]
	s_and_b64 exec, exec, s[0:1]
	s_cbranch_execz .LBB169_78
; %bb.77:
	global_store_dword v0, v3, s[2:3] offset:384
.LBB169_78:
	s_endpgm
.LBB169_79:
	v_mov_b32_e32 v0, 0x1f0
	v_lshl_add_u32 v0, v1, 2, v0
	ds_read_b32 v0, v0
	s_waitcnt lgkmcnt(0)
	v_add_f32_e32 v6, v6, v0
	s_or_b64 exec, exec, s[2:3]
	s_and_saveexec_b64 s[2:3], s[0:1]
	s_cbranch_execz .LBB169_68
.LBB169_80:
	v_mov_b32_e32 v0, 0x1f0
	v_lshl_add_u32 v0, v1, 2, v0
	ds_read_b32 v0, v0 offset:128
	s_waitcnt lgkmcnt(0)
	v_add_f32_e32 v7, v7, v0
	s_or_b64 exec, exec, s[2:3]
	s_and_saveexec_b64 s[2:3], s[0:1]
	s_cbranch_execnz .LBB169_69
	s_branch .LBB169_70
	.section	.rodata,"a",@progbits
	.p2align	6, 0x0
	.amdhsa_kernel _ZN4vllm25paged_attention_v1_kernelIfhLi120ELi8ELi128ELNS_18Fp8KVCacheDataTypeE1ELb1EEEvPT_PKS2_PKT0_S8_ifPKiSA_iPKfiiiSC_SC_iiiii
		.amdhsa_group_segment_fixed_size 496
		.amdhsa_private_segment_fixed_size 0
		.amdhsa_kernarg_size 384
		.amdhsa_user_sgpr_count 2
		.amdhsa_user_sgpr_dispatch_ptr 0
		.amdhsa_user_sgpr_queue_ptr 0
		.amdhsa_user_sgpr_kernarg_segment_ptr 1
		.amdhsa_user_sgpr_dispatch_id 0
		.amdhsa_user_sgpr_kernarg_preload_length 0
		.amdhsa_user_sgpr_kernarg_preload_offset 0
		.amdhsa_user_sgpr_private_segment_size 0
		.amdhsa_uses_dynamic_stack 0
		.amdhsa_enable_private_segment 0
		.amdhsa_system_sgpr_workgroup_id_x 1
		.amdhsa_system_sgpr_workgroup_id_y 1
		.amdhsa_system_sgpr_workgroup_id_z 1
		.amdhsa_system_sgpr_workgroup_info 0
		.amdhsa_system_vgpr_workitem_id 0
		.amdhsa_next_free_vgpr 58
		.amdhsa_next_free_sgpr 48
		.amdhsa_accum_offset 60
		.amdhsa_reserve_vcc 1
		.amdhsa_float_round_mode_32 0
		.amdhsa_float_round_mode_16_64 0
		.amdhsa_float_denorm_mode_32 3
		.amdhsa_float_denorm_mode_16_64 3
		.amdhsa_dx10_clamp 1
		.amdhsa_ieee_mode 1
		.amdhsa_fp16_overflow 0
		.amdhsa_tg_split 0
		.amdhsa_exception_fp_ieee_invalid_op 0
		.amdhsa_exception_fp_denorm_src 0
		.amdhsa_exception_fp_ieee_div_zero 0
		.amdhsa_exception_fp_ieee_overflow 0
		.amdhsa_exception_fp_ieee_underflow 0
		.amdhsa_exception_fp_ieee_inexact 0
		.amdhsa_exception_int_div_zero 0
	.end_amdhsa_kernel
	.section	.text._ZN4vllm25paged_attention_v1_kernelIfhLi120ELi8ELi128ELNS_18Fp8KVCacheDataTypeE1ELb1EEEvPT_PKS2_PKT0_S8_ifPKiSA_iPKfiiiSC_SC_iiiii,"axG",@progbits,_ZN4vllm25paged_attention_v1_kernelIfhLi120ELi8ELi128ELNS_18Fp8KVCacheDataTypeE1ELb1EEEvPT_PKS2_PKT0_S8_ifPKiSA_iPKfiiiSC_SC_iiiii,comdat
.Lfunc_end169:
	.size	_ZN4vllm25paged_attention_v1_kernelIfhLi120ELi8ELi128ELNS_18Fp8KVCacheDataTypeE1ELb1EEEvPT_PKS2_PKT0_S8_ifPKiSA_iPKfiiiSC_SC_iiiii, .Lfunc_end169-_ZN4vllm25paged_attention_v1_kernelIfhLi120ELi8ELi128ELNS_18Fp8KVCacheDataTypeE1ELb1EEEvPT_PKS2_PKT0_S8_ifPKiSA_iPKfiiiSC_SC_iiiii
                                        ; -- End function
	.section	.AMDGPU.csdata,"",@progbits
; Kernel info:
; codeLenInByte = 5240
; NumSgprs: 54
; NumVgprs: 58
; NumAgprs: 0
; TotalNumVgprs: 58
; ScratchSize: 0
; MemoryBound: 0
; FloatMode: 240
; IeeeMode: 1
; LDSByteSize: 496 bytes/workgroup (compile time only)
; SGPRBlocks: 6
; VGPRBlocks: 7
; NumSGPRsForWavesPerEU: 54
; NumVGPRsForWavesPerEU: 58
; AccumOffset: 60
; Occupancy: 8
; WaveLimiterHint : 1
; COMPUTE_PGM_RSRC2:SCRATCH_EN: 0
; COMPUTE_PGM_RSRC2:USER_SGPR: 2
; COMPUTE_PGM_RSRC2:TRAP_HANDLER: 0
; COMPUTE_PGM_RSRC2:TGID_X_EN: 1
; COMPUTE_PGM_RSRC2:TGID_Y_EN: 1
; COMPUTE_PGM_RSRC2:TGID_Z_EN: 1
; COMPUTE_PGM_RSRC2:TIDIG_COMP_CNT: 0
; COMPUTE_PGM_RSRC3_GFX90A:ACCUM_OFFSET: 14
; COMPUTE_PGM_RSRC3_GFX90A:TG_SPLIT: 0
	.section	.text._ZN4vllm25paged_attention_v1_kernelIfhLi128ELi8ELi128ELNS_18Fp8KVCacheDataTypeE1ELb1EEEvPT_PKS2_PKT0_S8_ifPKiSA_iPKfiiiSC_SC_iiiii,"axG",@progbits,_ZN4vllm25paged_attention_v1_kernelIfhLi128ELi8ELi128ELNS_18Fp8KVCacheDataTypeE1ELb1EEEvPT_PKS2_PKT0_S8_ifPKiSA_iPKfiiiSC_SC_iiiii,comdat
	.protected	_ZN4vllm25paged_attention_v1_kernelIfhLi128ELi8ELi128ELNS_18Fp8KVCacheDataTypeE1ELb1EEEvPT_PKS2_PKT0_S8_ifPKiSA_iPKfiiiSC_SC_iiiii ; -- Begin function _ZN4vllm25paged_attention_v1_kernelIfhLi128ELi8ELi128ELNS_18Fp8KVCacheDataTypeE1ELb1EEEvPT_PKS2_PKT0_S8_ifPKiSA_iPKfiiiSC_SC_iiiii
	.globl	_ZN4vllm25paged_attention_v1_kernelIfhLi128ELi8ELi128ELNS_18Fp8KVCacheDataTypeE1ELb1EEEvPT_PKS2_PKT0_S8_ifPKiSA_iPKfiiiSC_SC_iiiii
	.p2align	8
	.type	_ZN4vllm25paged_attention_v1_kernelIfhLi128ELi8ELi128ELNS_18Fp8KVCacheDataTypeE1ELb1EEEvPT_PKS2_PKT0_S8_ifPKiSA_iPKfiiiSC_SC_iiiii,@function
_ZN4vllm25paged_attention_v1_kernelIfhLi128ELi8ELi128ELNS_18Fp8KVCacheDataTypeE1ELb1EEEvPT_PKS2_PKT0_S8_ifPKiSA_iPKfiiiSC_SC_iiiii: ; @_ZN4vllm25paged_attention_v1_kernelIfhLi128ELi8ELi128ELNS_18Fp8KVCacheDataTypeE1ELb1EEEvPT_PKS2_PKT0_S8_ifPKiSA_iPKfiiiSC_SC_iiiii
; %bb.0:
	s_load_dword s5, s[0:1], 0x80
	s_load_dwordx2 s[6:7], s[0:1], 0x30
	s_load_dwordx2 s[36:37], s[0:1], 0x20
	s_mov_b32 s10, s3
	s_ashr_i32 s11, s3, 31
	s_lshl_b64 s[8:9], s[10:11], 2
	s_waitcnt lgkmcnt(0)
	s_add_u32 s6, s6, s8
	s_addc_u32 s7, s7, s9
	s_abs_i32 s3, s36
	v_cvt_f32_u32_e32 v1, s3
	s_sub_i32 s11, 0, s3
	s_abs_i32 s9, s5
	s_xor_b32 s8, s5, s36
	v_rcp_iflag_f32_e32 v1, v1
	s_ashr_i32 s8, s8, 31
	s_mov_b32 s44, 0
	v_mul_f32_e32 v1, 0x4f7ffffe, v1
	v_cvt_u32_f32_e32 v1, v1
	s_nop 0
	v_readfirstlane_b32 s12, v1
	s_mul_i32 s11, s11, s12
	s_mul_hi_u32 s11, s12, s11
	s_add_i32 s12, s12, s11
	s_mul_hi_u32 s11, s9, s12
	s_mul_i32 s12, s11, s3
	s_sub_i32 s9, s9, s12
	s_add_i32 s12, s11, 1
	s_sub_i32 s13, s9, s3
	s_cmp_ge_u32 s9, s3
	s_cselect_b32 s11, s12, s11
	s_cselect_b32 s9, s13, s9
	s_add_i32 s12, s11, 1
	s_cmp_ge_u32 s9, s3
	s_cselect_b32 s3, s12, s11
	s_xor_b32 s3, s3, s8
	s_sub_i32 s14, s3, s8
	s_abs_i32 s11, s14
	v_cvt_f32_u32_e32 v1, s11
	s_load_dwordx2 s[8:9], s[0:1], 0x40
	s_sub_i32 s3, 0, s11
	s_abs_i32 s12, s2
	v_rcp_iflag_f32_e32 v1, v1
	s_nop 0
	v_mul_f32_e32 v1, 0x4f7ffffe, v1
	v_cvt_u32_f32_e32 v1, v1
	s_nop 0
	v_readfirstlane_b32 s13, v1
	s_mul_i32 s3, s3, s13
	s_mul_hi_u32 s3, s13, s3
	s_add_i32 s13, s13, s3
	s_waitcnt lgkmcnt(0)
	s_cmp_eq_u64 s[8:9], 0
	s_mul_hi_u32 s13, s12, s13
	s_cbranch_scc1 .LBB170_2
; %bb.1:
	s_ashr_i32 s3, s2, 31
	s_lshl_b64 s[16:17], s[2:3], 2
	s_add_u32 s8, s8, s16
	s_addc_u32 s9, s9, s17
	s_load_dword s44, s[8:9], 0x0
.LBB170_2:
	s_load_dword s33, s[6:7], 0x0
	s_load_dwordx4 s[16:19], s[0:1], 0x48
	s_movk_i32 s3, 0x80
	s_ashr_i32 s8, s2, 31
	s_ashr_i32 s9, s14, 31
	v_and_b32_e32 v2, 7, v0
	s_lshl_b32 s24, s2, 7
	v_cmp_gt_u32_e32 vcc, s3, v0
	v_lshlrev_b32_e32 v8, 2, v0
	v_lshrrev_b32_e32 v1, 1, v0
	s_and_saveexec_b64 s[6:7], vcc
	s_cbranch_execz .LBB170_4
; %bb.3:
	s_load_dwordx2 s[14:15], s[0:1], 0x8
	s_waitcnt lgkmcnt(0)
	s_mul_i32 s20, s10, s16
	s_ashr_i32 s21, s20, 31
	s_lshl_b64 s[20:21], s[20:21], 2
	v_and_b32_e32 v4, 0x1fc, v1
	s_add_u32 s3, s14, s20
	s_addc_u32 s16, s15, s21
	s_ashr_i32 s25, s24, 31
	s_lshl_b64 s[14:15], s[24:25], 2
	s_add_u32 s14, s3, s14
	s_addc_u32 s15, s16, s15
	global_load_dword v3, v8, s[14:15]
	v_lshl_add_u32 v4, v2, 6, v4
	s_waitcnt vmcnt(0)
	ds_write_b32 v4, v3
.LBB170_4:
	s_or_b64 exec, exec, s[6:7]
	s_mul_i32 s7, s13, s11
	s_sub_i32 s7, s12, s7
	s_xor_b32 s6, s8, s9
	s_add_i32 s8, s13, 1
	s_sub_i32 s9, s7, s11
	s_load_dwordx4 s[20:23], s[0:1], 0x68
	s_load_dword s3, s[0:1], 0x78
	s_cmp_ge_u32 s7, s11
	s_cselect_b32 s8, s8, s13
	s_cselect_b32 s7, s9, s7
	s_add_i32 s9, s8, 1
	s_cmp_ge_u32 s7, s11
	s_cselect_b32 s7, s9, s8
	s_waitcnt lgkmcnt(0)
	s_abs_i32 s25, s23
	v_cvt_f32_u32_e32 v3, s25
	s_xor_b32 s7, s7, s6
	s_sub_i32 s43, s7, s6
	s_sub_i32 s6, 0, s25
	v_rcp_iflag_f32_e32 v3, v3
	s_add_i32 s11, s33, -1
	s_abs_i32 s8, s11
	v_mul_f32_e32 v3, 0x4f7ffffe, v3
	v_cvt_u32_f32_e32 v3, v3
	s_barrier
	v_readfirstlane_b32 s42, v3
	s_mul_i32 s6, s6, s42
	s_mul_hi_u32 s6, s42, s6
	s_add_i32 s42, s42, s6
	s_cmp_lt_i32 s3, 0
	s_mul_hi_u32 s9, s8, s42
	s_cbranch_scc0 .LBB170_6
; %bb.5:
	s_mul_i32 s6, s20, s36
	s_add_i32 s6, s43, s6
	s_mul_i32 s6, s6, s3
	s_sub_i32 s36, 1, s6
	s_mov_b64 s[6:7], 0
	s_branch .LBB170_7
.LBB170_6:
	s_mov_b64 s[6:7], -1
                                        ; implicit-def: $sgpr36
.LBB170_7:
	s_load_dwordx2 s[28:29], s[0:1], 0x28
	s_ashr_i32 s16, s11, 31
	s_andn2_b64 vcc, exec, s[6:7]
	s_ashr_i32 s23, s23, 31
	s_cbranch_vccnz .LBB170_9
; %bb.8:
	s_mul_i32 s6, s5, s20
	s_add_i32 s2, s6, s2
	s_mul_i32 s2, s2, s3
	s_add_i32 s36, s2, 1
.LBB170_9:
	s_load_dword s2, s[0:1], 0x38
	s_load_dwordx2 s[26:27], s[0:1], 0x0
	s_load_dwordx2 s[34:35], s[0:1], 0x18
	s_load_dword s11, s[0:1], 0x88
	s_load_dwordx4 s[12:15], s[0:1], 0x58
	s_mul_i32 s3, s9, s25
	s_waitcnt lgkmcnt(0)
	s_mul_i32 s30, s10, s2
	s_sub_i32 s3, s8, s3
	s_ashr_i32 s31, s30, 31
	s_xor_b32 s2, s16, s23
	s_add_i32 s6, s9, 1
	s_sub_i32 s7, s3, s25
	s_cmp_ge_u32 s3, s25
	s_cselect_b32 s6, s6, s9
	s_cselect_b32 s3, s7, s3
	s_add_i32 s7, s6, 1
	s_cmp_ge_u32 s3, s25
	s_cselect_b32 s3, s7, s6
	s_xor_b32 s3, s3, s2
	s_sub_i32 s16, s3, s2
	s_add_i32 s2, s33, 7
	s_ashr_i32 s3, s2, 31
	s_lshr_b32 s3, s3, 29
	s_add_i32 s2, s2, s3
	s_ashr_i32 s20, s2, 3
	v_lshrrev_b32_e32 v30, 6, v0
	v_cmp_gt_i32_e64 s[6:7], s20, v30
	v_mov_b32_e32 v13, 0xff7fffff
	s_mul_i32 s43, s43, s18
	v_lshrrev_b32_e32 v9, 4, v0
	v_lshlrev_b32_e32 v31, 3, v30
	v_mbcnt_lo_u32_b32 v10, -1, 0
	s_and_saveexec_b64 s[18:19], s[6:7]
	s_cbranch_execz .LBB170_19
; %bb.10:
	s_load_dwordx2 s[0:1], s[0:1], 0x10
	s_sub_i32 s45, s16, s21
	s_ashr_i32 s2, s43, 31
	v_bfe_u32 v11, v0, 3, 3
	v_mov_b32_e32 v7, 0
	s_waitcnt lgkmcnt(0)
	s_add_u32 s0, s0, s43
	s_addc_u32 s1, s1, s2
	s_abs_i32 s46, s22
	v_cvt_f32_u32_e32 v3, s46
	v_lshlrev_b32_e32 v6, 4, v11
	v_lshl_add_u64 v[4:5], s[0:1], 0, v[6:7]
	s_sub_i32 s0, 0, s46
	v_rcp_iflag_f32_e32 v3, v3
	v_mbcnt_hi_u32_b32 v19, -1, v10
	v_cmp_eq_u32_e32 vcc, 0, v2
	s_mov_b32 s47, s17
	v_mul_f32_e32 v3, 0x4f7ffffe, v3
	v_cvt_u32_f32_e32 v13, v3
	v_lshlrev_b32_e32 v12, 6, v2
	v_cmp_neq_f32_e64 s[2:3], s44, 0
	v_mov_b32_e32 v3, v7
	v_mul_lo_u32 v6, s0, v13
	v_mul_hi_u32 v6, v13, v6
	v_add_u32_e32 v14, v13, v6
	v_lshlrev_b32_e32 v13, 2, v11
	s_lshl_b64 s[0:1], s[30:31], 2
	v_lshl_or_b32 v13, v30, 5, v13
	s_add_u32 s0, s28, s0
	v_add_u32_e32 v16, 0x210, v13
	v_subrev_u32_e32 v13, s33, v11
	v_and_b32_e32 v6, 60, v9
	s_addc_u32 s1, s29, s1
	v_add_u32_e32 v17, 1, v13
	v_and_b32_e32 v13, 64, v19
	v_lshl_add_u64 v[6:7], s[0:1], 0, v[6:7]
	v_lshlrev_b32_e32 v15, 3, v30
	s_mov_b64 s[38:39], 0
	v_mov_b32_e32 v18, 0xff7fffff
	v_add_u32_e32 v20, 64, v13
	v_xor_b32_e32 v21, 4, v19
	v_xor_b32_e32 v22, 2, v19
	;; [unrolled: 1-line block ×3, first 2 shown]
	v_mov_b32_e32 v13, 0xff7fffff
	v_mov_b32_e32 v24, v30
	s_branch .LBB170_13
.LBB170_11:                             ;   in Loop: Header=BB170_13 Depth=1
	s_or_b64 exec, exec, s[40:41]
.LBB170_12:                             ;   in Loop: Header=BB170_13 Depth=1
	s_or_b64 exec, exec, s[8:9]
	v_add_u32_e32 v24, 2, v24
	v_cmp_le_i32_e64 s[0:1], s20, v24
	v_lshl_add_u64 v[6:7], v[6:7], 0, 8
	v_add_u32_e32 v15, 16, v15
	s_or_b64 s[38:39], s[0:1], s[38:39]
	v_add_u32_e32 v16, 64, v16
	s_andn2_b64 exec, exec, s[38:39]
	s_cbranch_execz .LBB170_18
.LBB170_13:                             ; =>This Inner Loop Header: Depth=1
	v_mul_hi_u32 v25, v15, s42
	s_waitcnt lgkmcnt(0)
	v_mul_lo_u32 v26, v25, s25
	v_sub_u32_e32 v26, v15, v26
	v_add_u32_e32 v27, 1, v25
	v_cmp_le_u32_e64 s[0:1], s25, v26
	s_nop 1
	v_cndmask_b32_e64 v25, v25, v27, s[0:1]
	v_subrev_u32_e32 v27, s25, v26
	v_cndmask_b32_e64 v26, v26, v27, s[0:1]
	v_add_u32_e32 v27, 1, v25
	v_cmp_le_u32_e64 s[0:1], s25, v26
	s_nop 1
	v_cndmask_b32_e64 v25, v25, v27, s[0:1]
	v_xor_b32_e32 v25, s23, v25
	v_subrev_u32_e32 v25, s23, v25
	v_add_u32_e32 v26, s36, v25
	v_sub_u32_e32 v28, 0, v26
	v_ashrrev_i32_e32 v27, 31, v26
	v_max_i32_e32 v26, v26, v28
	v_mul_hi_u32 v28, v26, v14
	v_mul_lo_u32 v28, v28, s46
	v_sub_u32_e32 v26, v26, v28
	v_subrev_u32_e32 v28, s46, v26
	v_cmp_le_u32_e64 s[0:1], s46, v26
	v_cmp_ge_i32_e64 s[8:9], s45, v25
	s_nop 0
	v_cndmask_b32_e64 v26, v26, v28, s[0:1]
	v_subrev_u32_e32 v28, s46, v26
	v_cmp_le_u32_e64 s[0:1], s46, v26
	s_nop 1
	v_cndmask_b32_e64 v26, v26, v28, s[0:1]
	v_xor_b32_e32 v26, v26, v27
	v_sub_u32_e32 v26, v26, v27
	v_cmp_ne_u32_e64 s[0:1], 0, v26
	s_and_b64 s[0:1], s[0:1], s[8:9]
	s_and_b64 s[40:41], vcc, s[0:1]
	s_and_saveexec_b64 s[8:9], s[40:41]
	s_cbranch_execz .LBB170_15
; %bb.14:                               ;   in Loop: Header=BB170_13 Depth=1
	ds_write_b32 v16, v18
.LBB170_15:                             ;   in Loop: Header=BB170_13 Depth=1
	s_or_b64 exec, exec, s[8:9]
	s_xor_b64 s[0:1], s[0:1], -1
	s_and_saveexec_b64 s[8:9], s[0:1]
	s_cbranch_execz .LBB170_12
; %bb.16:                               ;   in Loop: Header=BB170_13 Depth=1
	global_load_dword v25, v[6:7], off
	s_waitcnt vmcnt(0)
	v_mad_i64_i32 v[26:27], s[0:1], v25, s47, v[4:5]
	v_lshl_add_u64 v[26:27], v[26:27], 0, v[2:3]
	global_load_ubyte v25, v[26:27], off
	global_load_ubyte v44, v[26:27], off offset:8
	global_load_ubyte v45, v[26:27], off offset:128
	;; [unrolled: 1-line block ×15, first 2 shown]
	v_cmp_lt_i32_e64 s[0:1], v21, v20
	ds_read_b128 v[26:29], v12
	ds_read_b128 v[32:35], v12 offset:16
	ds_read_b128 v[36:39], v12 offset:32
	;; [unrolled: 1-line block ×3, first 2 shown]
	v_cndmask_b32_e64 v59, v19, v21, s[0:1]
	s_load_dword s0, s[12:13], 0x0
	v_lshlrev_b32_e32 v59, 2, v59
	s_waitcnt vmcnt(15)
	v_cvt_f32_fp8_sdwa v25, v25 src0_sel:BYTE_0
	s_waitcnt vmcnt(14)
	v_cvt_f32_fp8_sdwa v44, v44 src0_sel:BYTE_0
	;; [unrolled: 2-line block ×5, first 2 shown]
	s_waitcnt lgkmcnt(0)
	v_mul_f32_e32 v44, s0, v44
	s_waitcnt vmcnt(10)
	v_cvt_f32_fp8_sdwa v48, v48 src0_sel:BYTE_0
	v_mul_f32_e32 v25, s0, v25
	v_mul_f32_e32 v27, v27, v44
	s_waitcnt vmcnt(9)
	v_cvt_f32_fp8_sdwa v49, v49 src0_sel:BYTE_0
	v_mul_f32_e32 v45, s0, v45
	v_fmac_f32_e32 v27, v26, v25
	s_waitcnt vmcnt(8)
	v_cvt_f32_fp8_sdwa v50, v50 src0_sel:BYTE_0
	v_mul_f32_e32 v46, s0, v46
	v_fmac_f32_e32 v27, v28, v45
	;; [unrolled: 4-line block ×10, first 2 shown]
	v_mul_f32_e32 v55, s0, v55
	v_fmac_f32_e32 v27, v39, v54
	v_mul_f32_e32 v56, s0, v56
	v_fmac_f32_e32 v27, v40, v55
	;; [unrolled: 2-line block ×4, first 2 shown]
	v_fmac_f32_e32 v27, v43, v58
	ds_bpermute_b32 v25, v59, v27
	v_cmp_lt_i32_e64 s[0:1], v22, v20
	s_waitcnt lgkmcnt(0)
	v_add_f32_e32 v25, v27, v25
	v_cndmask_b32_e64 v26, v19, v22, s[0:1]
	v_lshlrev_b32_e32 v26, 2, v26
	ds_bpermute_b32 v26, v26, v25
	v_cmp_lt_i32_e64 s[0:1], v23, v20
	s_waitcnt lgkmcnt(0)
	v_add_f32_e32 v25, v25, v26
	v_cndmask_b32_e64 v27, v19, v23, s[0:1]
	v_lshlrev_b32_e32 v27, 2, v27
	ds_bpermute_b32 v26, v27, v25
	s_and_saveexec_b64 s[40:41], vcc
	s_cbranch_execz .LBB170_11
; %bb.17:                               ;   in Loop: Header=BB170_13 Depth=1
	v_add_u32_e32 v27, v17, v15
	v_cvt_f32_i32_e32 v27, v27
	s_waitcnt lgkmcnt(0)
	v_add_f32_e32 v25, v25, v26
	v_add_u32_e32 v28, v11, v15
	v_cmp_gt_i32_e64 s[0:1], s33, v28
	v_mul_f32_e32 v26, s44, v27
	v_cndmask_b32_e64 v26, 0, v26, s[2:3]
	v_fmac_f32_e32 v26, s37, v25
	v_cndmask_b32_e64 v25, 0, v26, s[0:1]
	ds_write_b32 v16, v25
	v_max_f32_e32 v25, v13, v13
	v_max_f32_e32 v25, v25, v26
	v_cndmask_b32_e64 v13, v13, v25, s[0:1]
	s_branch .LBB170_11
.LBB170_18:
	s_or_b64 exec, exec, s[38:39]
.LBB170_19:
	s_or_b64 exec, exec, s[18:19]
	v_mbcnt_hi_u32_b32 v2, -1, v10
	v_and_b32_e32 v3, 64, v2
	v_add_u32_e32 v3, 64, v3
	v_xor_b32_e32 v4, 32, v2
	v_cmp_lt_i32_e32 vcc, v4, v3
	v_xor_b32_e32 v7, 16, v2
	v_max_f32_e32 v6, v13, v13
	v_cndmask_b32_e32 v4, v2, v4, vcc
	v_lshlrev_b32_e32 v5, 2, v4
	ds_bpermute_b32 v4, v5, v13
	v_cmp_lt_i32_e32 vcc, v7, v3
	v_xor_b32_e32 v10, 8, v2
	v_and_b32_e32 v32, 63, v0
	s_waitcnt lgkmcnt(0)
	v_max_f32_e32 v4, v4, v4
	v_max_f32_e32 v4, v6, v4
	v_cndmask_b32_e32 v6, v2, v7, vcc
	v_lshlrev_b32_e32 v7, 2, v6
	ds_bpermute_b32 v6, v7, v4
	v_cmp_lt_i32_e32 vcc, v10, v3
	s_waitcnt lgkmcnt(0)
	v_max_f32_e32 v6, v6, v6
	v_max_f32_e32 v6, v4, v6
	v_cndmask_b32_e32 v4, v2, v10, vcc
	v_lshlrev_b32_e32 v10, 2, v4
	ds_bpermute_b32 v11, v10, v6
	v_cmp_eq_u32_e32 vcc, 0, v32
	v_lshlrev_b32_e32 v4, 2, v30
	s_and_saveexec_b64 s[0:1], vcc
	s_cbranch_execz .LBB170_21
; %bb.20:
	s_waitcnt lgkmcnt(0)
	v_max_f32_e32 v11, v11, v11
	v_max_f32_e32 v6, v6, v6
	;; [unrolled: 1-line block ×3, first 2 shown]
	ds_write_b32 v4, v6 offset:512
.LBB170_21:
	s_or_b64 exec, exec, s[0:1]
	v_cmp_gt_u32_e64 s[0:1], 2, v32
	s_waitcnt lgkmcnt(0)
	v_mov_b32_e32 v11, 0xff7fffff
	v_lshlrev_b32_e32 v6, 2, v32
	s_barrier
	s_and_saveexec_b64 s[2:3], s[0:1]
	s_cbranch_execz .LBB170_23
; %bb.22:
	ds_read_b32 v11, v6 offset:512
.LBB170_23:
	s_or_b64 exec, exec, s[2:3]
	v_xor_b32_e32 v12, 1, v2
	v_cmp_lt_i32_e64 s[2:3], v12, v3
	v_lshlrev_b32_e32 v13, 2, v2
	s_nop 0
	v_cndmask_b32_e64 v12, v2, v12, s[2:3]
	v_lshlrev_b32_e32 v33, 2, v12
	s_waitcnt lgkmcnt(0)
	ds_bpermute_b32 v12, v33, v11
	v_max_f32_e32 v11, v11, v11
	s_lshl_b32 s2, s20, 3
	s_min_i32 s37, s2, s33
	v_cmp_gt_i32_e64 s[2:3], s37, v0
	s_waitcnt lgkmcnt(0)
	v_max_f32_e32 v12, v12, v12
	v_max_f32_e32 v12, v11, v12
	v_and_b32_e32 v11, 0x100, v13
	ds_bpermute_b32 v13, v11, v12
	v_mov_b32_e32 v12, 0
	s_and_saveexec_b64 s[12:13], s[2:3]
	s_cbranch_execz .LBB170_27
; %bb.24:
	v_mov_b32_e32 v12, 0x210
	v_lshl_add_u32 v14, v0, 2, v12
	s_mov_b64 s[18:19], 0
	v_mov_b32_e32 v12, 0
	v_mov_b32_e32 v15, v0
.LBB170_25:                             ; =>This Inner Loop Header: Depth=1
	ds_read_b32 v16, v14
	v_add_u32_e32 v15, 0x80, v15
	v_cmp_le_i32_e64 s[8:9], s37, v15
	s_or_b64 s[18:19], s[8:9], s[18:19]
	s_waitcnt lgkmcnt(0)
	v_sub_f32_e32 v16, v16, v13
	v_mul_f32_e32 v16, 0x3fb8aa3b, v16
	v_exp_f32_e32 v16, v16
	ds_write_b32 v14, v16
	v_add_f32_e32 v12, v12, v16
	v_add_u32_e32 v14, 0x200, v14
	s_andn2_b64 exec, exec, s[18:19]
	s_cbranch_execnz .LBB170_25
; %bb.26:
	s_or_b64 exec, exec, s[18:19]
.LBB170_27:
	s_or_b64 exec, exec, s[12:13]
	ds_bpermute_b32 v5, v5, v12
	s_waitcnt lgkmcnt(0)
	v_add_f32_e32 v5, v12, v5
	ds_bpermute_b32 v7, v7, v5
	s_waitcnt lgkmcnt(0)
	v_add_f32_e32 v5, v5, v7
	ds_bpermute_b32 v7, v10, v5
	v_xor_b32_e32 v10, 4, v2
	v_cmp_lt_i32_e64 s[8:9], v10, v3
	s_waitcnt lgkmcnt(0)
	v_add_f32_e32 v5, v5, v7
	v_cndmask_b32_e64 v10, v2, v10, s[8:9]
	v_lshlrev_b32_e32 v10, 2, v10
	ds_bpermute_b32 v7, v10, v5
	v_xor_b32_e32 v10, 2, v2
	v_cmp_lt_i32_e64 s[8:9], v10, v3
	s_waitcnt lgkmcnt(0)
	v_add_f32_e32 v3, v5, v7
	v_cndmask_b32_e64 v2, v2, v10, s[8:9]
	v_lshlrev_b32_e32 v2, 2, v2
	ds_bpermute_b32 v2, v2, v3
	s_waitcnt lgkmcnt(0)
	v_add_f32_e32 v2, v3, v2
	ds_bpermute_b32 v3, v33, v2
	s_waitcnt lgkmcnt(0)
	v_add_f32_e32 v2, v2, v3
	s_and_saveexec_b64 s[8:9], vcc
	s_cbranch_execz .LBB170_29
; %bb.28:
	ds_write_b32 v4, v2 offset:520
.LBB170_29:
	s_or_b64 exec, exec, s[8:9]
	s_waitcnt lgkmcnt(0)
	s_barrier
	s_and_saveexec_b64 s[8:9], s[0:1]
	s_cbranch_execz .LBB170_31
; %bb.30:
	ds_read_b32 v2, v6 offset:520
.LBB170_31:
	s_or_b64 exec, exec, s[8:9]
	s_waitcnt lgkmcnt(0)
	ds_bpermute_b32 v3, v33, v2
	s_waitcnt lgkmcnt(0)
	v_add_f32_e32 v2, v2, v3
	ds_bpermute_b32 v2, v11, v2
	s_and_saveexec_b64 s[0:1], s[2:3]
	s_cbranch_execz .LBB170_44
; %bb.32:
	s_waitcnt lgkmcnt(0)
	v_add_f32_e32 v2, 0x358637bd, v2
	v_div_scale_f32 v3, s[2:3], v2, v2, 1.0
	v_rcp_f32_e32 v4, v3
	v_div_scale_f32 v5, vcc, 1.0, v2, 1.0
	s_movk_i32 s2, 0x7f
	v_fma_f32 v6, -v3, v4, 1.0
	v_fmac_f32_e32 v4, v6, v4
	v_mul_f32_e32 v6, v5, v4
	v_fma_f32 v7, -v3, v6, v5
	v_fmac_f32_e32 v6, v7, v4
	v_fma_f32 v3, -v3, v6, v5
	v_div_fmas_f32 v3, v3, v4, v6
	v_xad_u32 v4, v0, -1, s37
	v_div_fixup_f32 v2, v3, v2, 1.0
	v_cmp_lt_u32_e32 vcc, s2, v4
	s_mov_b64 s[8:9], -1
	v_mov_b32_e32 v3, v0
	s_and_saveexec_b64 s[2:3], vcc
	s_cbranch_execz .LBB170_41
; %bb.33:
	v_lshrrev_b32_e32 v4, 7, v4
	v_add_u32_e32 v6, -1, v4
	v_lshrrev_b32_e32 v5, 1, v6
	v_mov_b32_e32 v3, v2
	v_add_u32_e32 v5, 1, v5
	v_cmp_lt_u32_e32 vcc, 13, v6
	v_mov_b32_e32 v10, 0
	s_and_saveexec_b64 s[8:9], vcc
	s_cbranch_execz .LBB170_37
; %bb.34:
	v_mov_b32_e32 v7, 0x210
	v_and_b32_e32 v6, -8, v5
	v_lshl_add_u32 v7, v0, 2, v7
	s_mov_b32 s18, 0
	s_mov_b64 s[12:13], 0
.LBB170_35:                             ; =>This Inner Loop Header: Depth=1
	ds_read2st64_b32 v[10:11], v7 offset1:2
	ds_read2st64_b32 v[12:13], v7 offset0:4 offset1:6
	ds_read2st64_b32 v[14:15], v7 offset0:8 offset1:10
	;; [unrolled: 1-line block ×3, first 2 shown]
	v_add_u32_e32 v6, -8, v6
	s_waitcnt lgkmcnt(3)
	v_pk_mul_f32 v[10:11], v[2:3], v[10:11]
	s_waitcnt lgkmcnt(2)
	v_pk_mul_f32 v[12:13], v[2:3], v[12:13]
	ds_write2st64_b32 v7, v10, v11 offset1:2
	ds_write2st64_b32 v7, v12, v13 offset0:4 offset1:6
	ds_read2st64_b32 v[12:13], v7 offset0:16 offset1:18
	s_waitcnt lgkmcnt(4)
	v_pk_mul_f32 v[10:11], v[2:3], v[14:15]
	ds_write2st64_b32 v7, v10, v11 offset0:8 offset1:10
	s_waitcnt lgkmcnt(4)
	v_pk_mul_f32 v[10:11], v[2:3], v[16:17]
	ds_write2st64_b32 v7, v10, v11 offset0:12 offset1:14
	ds_read2st64_b32 v[10:11], v7 offset0:20 offset1:22
	s_waitcnt lgkmcnt(3)
	v_pk_mul_f32 v[12:13], v[2:3], v[12:13]
	ds_read2st64_b32 v[14:15], v7 offset0:24 offset1:26
	ds_write2st64_b32 v7, v12, v13 offset0:16 offset1:18
	ds_read2st64_b32 v[12:13], v7 offset0:28 offset1:30
	s_waitcnt lgkmcnt(3)
	v_pk_mul_f32 v[10:11], v[2:3], v[10:11]
	ds_write2st64_b32 v7, v10, v11 offset0:20 offset1:22
	s_waitcnt lgkmcnt(3)
	v_pk_mul_f32 v[10:11], v[2:3], v[14:15]
	ds_write2st64_b32 v7, v10, v11 offset0:24 offset1:26
	s_waitcnt lgkmcnt(2)
	v_pk_mul_f32 v[10:11], v[2:3], v[12:13]
	s_add_i32 s18, s18, 16
	v_cmp_eq_u32_e32 vcc, 0, v6
	ds_write2st64_b32 v7, v10, v11 offset0:28 offset1:30
	v_add_u32_e32 v7, 0x2000, v7
	s_or_b64 s[12:13], vcc, s[12:13]
	v_mov_b32_e32 v10, s18
	s_andn2_b64 exec, exec, s[12:13]
	s_cbranch_execnz .LBB170_35
; %bb.36:
	s_or_b64 exec, exec, s[12:13]
.LBB170_37:
	s_or_b64 exec, exec, s[8:9]
	v_and_b32_e32 v5, 7, v5
	v_cmp_ne_u32_e32 vcc, 0, v5
	s_and_saveexec_b64 s[8:9], vcc
	s_cbranch_execz .LBB170_40
; %bb.38:
	v_lshlrev_b32_e32 v6, 9, v10
	s_movk_i32 s12, 0x210
	v_add3_u32 v6, v6, v8, s12
	s_mov_b64 s[12:13], 0
.LBB170_39:                             ; =>This Inner Loop Header: Depth=1
	ds_read2st64_b32 v[10:11], v6 offset1:2
	v_add_u32_e32 v5, -1, v5
	v_cmp_eq_u32_e32 vcc, 0, v5
	s_or_b64 s[12:13], vcc, s[12:13]
	s_waitcnt lgkmcnt(0)
	v_pk_mul_f32 v[10:11], v[2:3], v[10:11]
	ds_write2st64_b32 v6, v10, v11 offset1:2
	v_add_u32_e32 v6, 0x400, v6
	s_andn2_b64 exec, exec, s[12:13]
	s_cbranch_execnz .LBB170_39
.LBB170_40:
	s_or_b64 exec, exec, s[8:9]
	v_add_u32_e32 v4, 1, v4
	v_and_b32_e32 v5, 0x3fffffe, v4
	v_cmp_ne_u32_e32 vcc, v4, v5
	v_lshl_add_u32 v3, v5, 7, v0
	s_orn2_b64 s[8:9], vcc, exec
.LBB170_41:
	s_or_b64 exec, exec, s[2:3]
	s_and_b64 exec, exec, s[8:9]
	s_cbranch_execz .LBB170_44
; %bb.42:
	v_mov_b32_e32 v4, 0x210
	v_lshl_add_u32 v4, v3, 2, v4
	s_mov_b64 s[2:3], 0
.LBB170_43:                             ; =>This Inner Loop Header: Depth=1
	ds_read_b32 v5, v4
	v_add_u32_e32 v3, 0x80, v3
	v_cmp_le_i32_e32 vcc, s37, v3
	s_or_b64 s[2:3], vcc, s[2:3]
	s_waitcnt lgkmcnt(0)
	v_mul_f32_e32 v5, v2, v5
	ds_write_b32 v4, v5
	v_add_u32_e32 v4, 0x200, v4
	s_andn2_b64 exec, exec, s[2:3]
	s_cbranch_execnz .LBB170_43
.LBB170_44:
	s_or_b64 exec, exec, s[0:1]
	s_mov_b32 s0, 0
	v_mov_b32_e32 v5, 0
	v_and_b32_e32 v34, 1, v0
	v_mov_b32_e32 v4, 0
	v_mov_b32_e32 v3, 0
	s_waitcnt lgkmcnt(0)
	v_mov_b32_e32 v2, 0
	s_barrier
	s_and_saveexec_b64 s[8:9], s[6:7]
	s_cbranch_execz .LBB170_58
; %bb.45:
	s_sub_i32 s18, s16, s21
	s_ashr_i32 s1, s43, 31
	s_add_u32 s2, s34, s43
	s_addc_u32 s3, s35, s1
	s_abs_i32 s19, s22
	v_cvt_f32_u32_e32 v2, s19
	v_mov_b32_e32 v3, 0
	s_sub_i32 s1, 0, s19
	s_add_i32 s22, s20, -1
	v_rcp_iflag_f32_e32 v4, v2
	v_and_b32_e32 v2, 0xfc, v8
	v_lshl_add_u64 v[10:11], s[2:3], 0, v[2:3]
	s_lshl_b64 s[2:3], s[30:31], 2
	v_mul_f32_e32 v4, 0x4f7ffffe, v4
	v_cvt_u32_f32_e32 v4, v4
	s_add_u32 s2, s28, s2
	s_addc_u32 s3, s29, s3
	v_and_b32_e32 v35, 4, v8
	v_mul_lo_u32 v2, s1, v4
	v_mul_hi_u32 v2, v4, v2
	v_add_u32_e32 v36, v4, v2
	v_and_b32_e32 v2, 60, v9
	v_lshl_add_u64 v[12:13], s[2:3], 0, v[2:3]
	v_lshlrev_b32_e32 v2, 4, v34
	v_lshl_or_b32 v2, v30, 5, v2
	s_mov_b32 s2, s0
	s_mov_b32 s3, s0
	v_add_u32_e32 v37, 0x210, v2
	s_mov_b32 s1, s0
	v_mov_b64_e32 v[4:5], s[2:3]
	s_mov_b32 s21, s17
	s_mov_b64 s[6:7], 0
	v_mov_b64_e32 v[2:3], s[0:1]
	s_branch .LBB170_48
.LBB170_46:                             ;   in Loop: Header=BB170_48 Depth=1
	s_or_b64 exec, exec, s[0:1]
	v_mul_f32_e32 v17, v7, v17
	v_fmac_f32_e32 v17, v6, v16
	v_fmac_f32_e32 v17, v8, v14
	v_mul_f32_e32 v14, v7, v23
	v_fmac_f32_e32 v14, v6, v22
	v_fmac_f32_e32 v14, v8, v20
	;; [unrolled: 1-line block ×3, first 2 shown]
	v_add_f32_e32 v3, v3, v14
	v_mul_f32_e32 v14, v7, v27
	v_mul_f32_e32 v7, v7, v29
	v_fmac_f32_e32 v14, v6, v26
	v_fmac_f32_e32 v7, v6, v28
	;; [unrolled: 1-line block ×7, first 2 shown]
	v_add_f32_e32 v2, v2, v17
	v_add_f32_e32 v4, v4, v14
	v_add_f32_e32 v5, v5, v7
.LBB170_47:                             ;   in Loop: Header=BB170_48 Depth=1
	s_or_b64 exec, exec, s[2:3]
	v_add_u32_e32 v30, 2, v30
	v_cmp_le_i32_e32 vcc, s20, v30
	v_lshl_add_u64 v[12:13], v[12:13], 0, 8
	v_add_u32_e32 v31, 16, v31
	s_or_b64 s[6:7], vcc, s[6:7]
	v_add_u32_e32 v37, 64, v37
	s_andn2_b64 exec, exec, s[6:7]
	s_cbranch_execz .LBB170_57
.LBB170_48:                             ; =>This Inner Loop Header: Depth=1
	v_mul_hi_u32 v6, v31, s42
	v_mul_lo_u32 v7, v6, s25
	v_sub_u32_e32 v7, v31, v7
	v_add_u32_e32 v8, 1, v6
	v_cmp_le_u32_e32 vcc, s25, v7
	s_nop 1
	v_cndmask_b32_e32 v6, v6, v8, vcc
	v_subrev_u32_e32 v8, s25, v7
	v_cndmask_b32_e32 v7, v7, v8, vcc
	v_add_u32_e32 v8, 1, v6
	v_cmp_le_u32_e32 vcc, s25, v7
	s_nop 1
	v_cndmask_b32_e32 v6, v6, v8, vcc
	v_xor_b32_e32 v6, s23, v6
	v_subrev_u32_e32 v6, s23, v6
	v_add_u32_e32 v7, s36, v6
	v_sub_u32_e32 v9, 0, v7
	v_ashrrev_i32_e32 v8, 31, v7
	v_max_i32_e32 v7, v7, v9
	v_mul_hi_u32 v9, v7, v36
	v_mul_lo_u32 v9, v9, s19
	v_sub_u32_e32 v7, v7, v9
	v_subrev_u32_e32 v9, s19, v7
	v_cmp_le_u32_e32 vcc, s19, v7
	v_cmp_lt_i32_e64 s[0:1], s18, v6
	s_nop 0
	v_cndmask_b32_e32 v7, v7, v9, vcc
	v_subrev_u32_e32 v9, s19, v7
	v_cmp_le_u32_e32 vcc, s19, v7
	s_nop 1
	v_cndmask_b32_e32 v7, v7, v9, vcc
	v_xor_b32_e32 v7, v7, v8
	v_sub_u32_e32 v7, v7, v8
	v_cmp_eq_u32_e32 vcc, 0, v7
	s_or_b64 s[0:1], vcc, s[0:1]
	s_and_saveexec_b64 s[2:3], s[0:1]
	s_cbranch_execz .LBB170_47
; %bb.49:                               ;   in Loop: Header=BB170_48 Depth=1
	global_load_dword v6, v[12:13], off
	s_load_dword s12, s[14:15], 0x0
	v_add_u32_e32 v38, v35, v31
	v_cmp_eq_u32_e32 vcc, s22, v30
	v_add_u32_e32 v40, 1, v38
	v_add_u32_e32 v39, 2, v38
	;; [unrolled: 1-line block ×3, first 2 shown]
	s_waitcnt vmcnt(0)
	v_mad_i64_i32 v[18:19], s[0:1], v6, s21, v[10:11]
	global_load_dword v14, v[18:19], off
	ds_read_b128 v[6:9], v37
	s_waitcnt vmcnt(0)
	v_and_b32_e32 v15, 0xffff, v14
	v_lshrrev_b32_e32 v16, 16, v14
	v_cvt_pk_f32_fp8_e32 v[14:15], v15
	v_cvt_pk_f32_fp8_e32 v[20:21], v16
	s_waitcnt lgkmcnt(0)
	v_pk_mul_f32 v[16:17], s[12:13], v[14:15] op_sel_hi:[0,1]
	v_pk_mul_f32 v[14:15], s[12:13], v[20:21] op_sel_hi:[0,1]
	s_and_saveexec_b64 s[16:17], vcc
; %bb.50:                               ;   in Loop: Header=BB170_48 Depth=1
	v_cmp_gt_i32_e64 s[0:1], s33, v38
	s_nop 1
	v_cndmask_b32_e64 v16, 0, v16, s[0:1]
	v_cmp_gt_i32_e64 s[0:1], s33, v40
	s_nop 1
	v_cndmask_b32_e64 v17, 0, v17, s[0:1]
	;; [unrolled: 3-line block ×4, first 2 shown]
; %bb.51:                               ;   in Loop: Header=BB170_48 Depth=1
	s_or_b64 exec, exec, s[16:17]
	global_load_dword v20, v[18:19], off offset:256
	s_mov_b32 s13, s12
	s_waitcnt vmcnt(0)
	v_and_b32_e32 v21, 0xffff, v20
	v_lshrrev_b32_e32 v22, 16, v20
	v_cvt_pk_f32_fp8_e32 v[20:21], v21
	v_cvt_pk_f32_fp8_e32 v[24:25], v22
	v_pk_mul_f32 v[22:23], s[12:13], v[20:21]
	v_pk_mul_f32 v[20:21], s[12:13], v[24:25]
	s_and_saveexec_b64 s[16:17], vcc
; %bb.52:                               ;   in Loop: Header=BB170_48 Depth=1
	v_cmp_gt_i32_e64 s[0:1], s33, v38
	s_nop 1
	v_cndmask_b32_e64 v22, 0, v22, s[0:1]
	v_cmp_gt_i32_e64 s[0:1], s33, v40
	s_nop 1
	v_cndmask_b32_e64 v23, 0, v23, s[0:1]
	;; [unrolled: 3-line block ×4, first 2 shown]
; %bb.53:                               ;   in Loop: Header=BB170_48 Depth=1
	s_or_b64 exec, exec, s[16:17]
	global_load_dword v24, v[18:19], off offset:512
	s_waitcnt vmcnt(0)
	v_and_b32_e32 v25, 0xffff, v24
	v_lshrrev_b32_e32 v26, 16, v24
	v_cvt_pk_f32_fp8_e32 v[24:25], v25
	v_cvt_pk_f32_fp8_e32 v[28:29], v26
	v_pk_mul_f32 v[26:27], s[12:13], v[24:25]
	v_pk_mul_f32 v[24:25], s[12:13], v[28:29]
	s_and_saveexec_b64 s[16:17], vcc
; %bb.54:                               ;   in Loop: Header=BB170_48 Depth=1
	v_cmp_gt_i32_e64 s[0:1], s33, v38
	s_nop 1
	v_cndmask_b32_e64 v26, 0, v26, s[0:1]
	v_cmp_gt_i32_e64 s[0:1], s33, v40
	s_nop 1
	v_cndmask_b32_e64 v27, 0, v27, s[0:1]
	;; [unrolled: 3-line block ×4, first 2 shown]
; %bb.55:                               ;   in Loop: Header=BB170_48 Depth=1
	s_or_b64 exec, exec, s[16:17]
	global_load_dword v18, v[18:19], off offset:768
	s_waitcnt vmcnt(0)
	v_and_b32_e32 v19, 0xffff, v18
	v_lshrrev_b32_e32 v28, 16, v18
	v_cvt_pk_f32_fp8_e32 v[18:19], v19
	v_cvt_pk_f32_fp8_e32 v[42:43], v28
	v_pk_mul_f32 v[28:29], s[12:13], v[18:19]
	v_pk_mul_f32 v[18:19], s[12:13], v[42:43]
	s_and_saveexec_b64 s[0:1], vcc
	s_cbranch_execz .LBB170_46
; %bb.56:                               ;   in Loop: Header=BB170_48 Depth=1
	v_cmp_gt_i32_e32 vcc, s33, v38
	s_nop 1
	v_cndmask_b32_e32 v28, 0, v28, vcc
	v_cmp_gt_i32_e32 vcc, s33, v40
	s_nop 1
	v_cndmask_b32_e32 v29, 0, v29, vcc
	;; [unrolled: 3-line block ×4, first 2 shown]
	s_branch .LBB170_46
.LBB170_57:
	s_or_b64 exec, exec, s[6:7]
.LBB170_58:
	s_or_b64 exec, exec, s[8:9]
	ds_bpermute_b32 v6, v33, v2
	ds_bpermute_b32 v7, v33, v3
	ds_bpermute_b32 v8, v33, v4
	ds_bpermute_b32 v9, v33, v5
	s_waitcnt lgkmcnt(0)
	s_barrier
	v_pk_add_f32 v[2:3], v[2:3], v[6:7]
	v_and_b32_e32 v6, 0x3c1, v0
	v_pk_add_f32 v[4:5], v[4:5], v[8:9]
	v_cmp_eq_u32_e32 vcc, 64, v6
	s_and_saveexec_b64 s[0:1], vcc
	s_cbranch_execz .LBB170_60
; %bb.59:
	v_mov_b32_e32 v7, 0x210
	v_lshl_add_u32 v7, v32, 1, v7
	ds_write2_b32 v7, v2, v3 offset1:32
	ds_write2_b32 v7, v4, v5 offset0:64 offset1:96
.LBB170_60:
	s_or_b64 exec, exec, s[0:1]
	v_cmp_gt_u32_e32 vcc, 64, v0
	s_waitcnt lgkmcnt(0)
	s_barrier
	s_and_saveexec_b64 s[0:1], vcc
	s_cbranch_execz .LBB170_67
; %bb.61:
	v_cmp_eq_u32_e32 vcc, 0, v34
	s_and_saveexec_b64 s[2:3], vcc
	s_cbranch_execnz .LBB170_70
; %bb.62:
	s_or_b64 exec, exec, s[2:3]
	s_and_saveexec_b64 s[2:3], vcc
	s_cbranch_execnz .LBB170_71
.LBB170_63:
	s_or_b64 exec, exec, s[2:3]
	s_and_saveexec_b64 s[2:3], vcc
	s_cbranch_execnz .LBB170_72
.LBB170_64:
	s_or_b64 exec, exec, s[2:3]
	s_and_saveexec_b64 s[2:3], vcc
	s_cbranch_execz .LBB170_66
.LBB170_65:
	v_mov_b32_e32 v7, 0x210
	v_lshl_add_u32 v1, v1, 2, v7
	ds_read_b32 v1, v1 offset:384
	s_waitcnt lgkmcnt(0)
	v_add_f32_e32 v5, v5, v1
.LBB170_66:
	s_or_b64 exec, exec, s[2:3]
.LBB170_67:
	s_or_b64 exec, exec, s[0:1]
	v_cmp_eq_u32_e32 vcc, 0, v6
	s_barrier
	s_and_saveexec_b64 s[0:1], vcc
	s_cbranch_execz .LBB170_69
; %bb.68:
	s_mul_i32 s0, s10, s11
	s_mul_i32 s0, s0, s5
	s_lshl_b32 s0, s0, 7
	s_ashr_i32 s1, s0, 31
	s_lshl_b64 s[0:1], s[0:1], 2
	s_add_u32 s2, s26, s0
	s_mul_i32 s0, s11, s24
	s_addc_u32 s3, s27, s1
	s_ashr_i32 s1, s0, 31
	s_lshl_b64 s[0:1], s[0:1], 2
	s_add_u32 s2, s2, s0
	s_addc_u32 s3, s3, s1
	s_lshl_b32 s0, s4, 7
	s_ashr_i32 s1, s0, 31
	s_lshl_b64 s[0:1], s[0:1], 2
	s_add_u32 s0, s2, s0
	s_addc_u32 s1, s3, s1
	v_lshlrev_b32_e32 v0, 1, v0
	global_store_dword v0, v2, s[0:1]
	global_store_dword v0, v3, s[0:1] offset:128
	global_store_dword v0, v4, s[0:1] offset:256
	;; [unrolled: 1-line block ×3, first 2 shown]
.LBB170_69:
	s_endpgm
.LBB170_70:
	v_mov_b32_e32 v7, 0x210
	v_lshl_add_u32 v7, v1, 2, v7
	ds_read_b32 v7, v7
	s_waitcnt lgkmcnt(0)
	v_add_f32_e32 v2, v2, v7
	s_or_b64 exec, exec, s[2:3]
	s_and_saveexec_b64 s[2:3], vcc
	s_cbranch_execz .LBB170_63
.LBB170_71:
	v_mov_b32_e32 v7, 0x210
	v_lshl_add_u32 v7, v1, 2, v7
	ds_read_b32 v7, v7 offset:128
	s_waitcnt lgkmcnt(0)
	v_add_f32_e32 v3, v3, v7
	s_or_b64 exec, exec, s[2:3]
	s_and_saveexec_b64 s[2:3], vcc
	s_cbranch_execz .LBB170_64
.LBB170_72:
	v_mov_b32_e32 v7, 0x210
	v_lshl_add_u32 v7, v1, 2, v7
	ds_read_b32 v7, v7 offset:256
	s_waitcnt lgkmcnt(0)
	v_add_f32_e32 v4, v4, v7
	s_or_b64 exec, exec, s[2:3]
	s_and_saveexec_b64 s[2:3], vcc
	s_cbranch_execnz .LBB170_65
	s_branch .LBB170_66
	.section	.rodata,"a",@progbits
	.p2align	6, 0x0
	.amdhsa_kernel _ZN4vllm25paged_attention_v1_kernelIfhLi128ELi8ELi128ELNS_18Fp8KVCacheDataTypeE1ELb1EEEvPT_PKS2_PKT0_S8_ifPKiSA_iPKfiiiSC_SC_iiiii
		.amdhsa_group_segment_fixed_size 528
		.amdhsa_private_segment_fixed_size 0
		.amdhsa_kernarg_size 384
		.amdhsa_user_sgpr_count 2
		.amdhsa_user_sgpr_dispatch_ptr 0
		.amdhsa_user_sgpr_queue_ptr 0
		.amdhsa_user_sgpr_kernarg_segment_ptr 1
		.amdhsa_user_sgpr_dispatch_id 0
		.amdhsa_user_sgpr_kernarg_preload_length 0
		.amdhsa_user_sgpr_kernarg_preload_offset 0
		.amdhsa_user_sgpr_private_segment_size 0
		.amdhsa_uses_dynamic_stack 0
		.amdhsa_enable_private_segment 0
		.amdhsa_system_sgpr_workgroup_id_x 1
		.amdhsa_system_sgpr_workgroup_id_y 1
		.amdhsa_system_sgpr_workgroup_id_z 1
		.amdhsa_system_sgpr_workgroup_info 0
		.amdhsa_system_vgpr_workitem_id 0
		.amdhsa_next_free_vgpr 60
		.amdhsa_next_free_sgpr 48
		.amdhsa_accum_offset 60
		.amdhsa_reserve_vcc 1
		.amdhsa_float_round_mode_32 0
		.amdhsa_float_round_mode_16_64 0
		.amdhsa_float_denorm_mode_32 3
		.amdhsa_float_denorm_mode_16_64 3
		.amdhsa_dx10_clamp 1
		.amdhsa_ieee_mode 1
		.amdhsa_fp16_overflow 0
		.amdhsa_tg_split 0
		.amdhsa_exception_fp_ieee_invalid_op 0
		.amdhsa_exception_fp_denorm_src 0
		.amdhsa_exception_fp_ieee_div_zero 0
		.amdhsa_exception_fp_ieee_overflow 0
		.amdhsa_exception_fp_ieee_underflow 0
		.amdhsa_exception_fp_ieee_inexact 0
		.amdhsa_exception_int_div_zero 0
	.end_amdhsa_kernel
	.section	.text._ZN4vllm25paged_attention_v1_kernelIfhLi128ELi8ELi128ELNS_18Fp8KVCacheDataTypeE1ELb1EEEvPT_PKS2_PKT0_S8_ifPKiSA_iPKfiiiSC_SC_iiiii,"axG",@progbits,_ZN4vllm25paged_attention_v1_kernelIfhLi128ELi8ELi128ELNS_18Fp8KVCacheDataTypeE1ELb1EEEvPT_PKS2_PKT0_S8_ifPKiSA_iPKfiiiSC_SC_iiiii,comdat
.Lfunc_end170:
	.size	_ZN4vllm25paged_attention_v1_kernelIfhLi128ELi8ELi128ELNS_18Fp8KVCacheDataTypeE1ELb1EEEvPT_PKS2_PKT0_S8_ifPKiSA_iPKfiiiSC_SC_iiiii, .Lfunc_end170-_ZN4vllm25paged_attention_v1_kernelIfhLi128ELi8ELi128ELNS_18Fp8KVCacheDataTypeE1ELb1EEEvPT_PKS2_PKT0_S8_ifPKiSA_iPKfiiiSC_SC_iiiii
                                        ; -- End function
	.section	.AMDGPU.csdata,"",@progbits
; Kernel info:
; codeLenInByte = 4920
; NumSgprs: 54
; NumVgprs: 60
; NumAgprs: 0
; TotalNumVgprs: 60
; ScratchSize: 0
; MemoryBound: 0
; FloatMode: 240
; IeeeMode: 1
; LDSByteSize: 528 bytes/workgroup (compile time only)
; SGPRBlocks: 6
; VGPRBlocks: 7
; NumSGPRsForWavesPerEU: 54
; NumVGPRsForWavesPerEU: 60
; AccumOffset: 60
; Occupancy: 8
; WaveLimiterHint : 1
; COMPUTE_PGM_RSRC2:SCRATCH_EN: 0
; COMPUTE_PGM_RSRC2:USER_SGPR: 2
; COMPUTE_PGM_RSRC2:TRAP_HANDLER: 0
; COMPUTE_PGM_RSRC2:TGID_X_EN: 1
; COMPUTE_PGM_RSRC2:TGID_Y_EN: 1
; COMPUTE_PGM_RSRC2:TGID_Z_EN: 1
; COMPUTE_PGM_RSRC2:TIDIG_COMP_CNT: 0
; COMPUTE_PGM_RSRC3_GFX90A:ACCUM_OFFSET: 14
; COMPUTE_PGM_RSRC3_GFX90A:TG_SPLIT: 0
	.section	.text._ZN4vllm25paged_attention_v1_kernelIfhLi192ELi8ELi128ELNS_18Fp8KVCacheDataTypeE1ELb1EEEvPT_PKS2_PKT0_S8_ifPKiSA_iPKfiiiSC_SC_iiiii,"axG",@progbits,_ZN4vllm25paged_attention_v1_kernelIfhLi192ELi8ELi128ELNS_18Fp8KVCacheDataTypeE1ELb1EEEvPT_PKS2_PKT0_S8_ifPKiSA_iPKfiiiSC_SC_iiiii,comdat
	.protected	_ZN4vllm25paged_attention_v1_kernelIfhLi192ELi8ELi128ELNS_18Fp8KVCacheDataTypeE1ELb1EEEvPT_PKS2_PKT0_S8_ifPKiSA_iPKfiiiSC_SC_iiiii ; -- Begin function _ZN4vllm25paged_attention_v1_kernelIfhLi192ELi8ELi128ELNS_18Fp8KVCacheDataTypeE1ELb1EEEvPT_PKS2_PKT0_S8_ifPKiSA_iPKfiiiSC_SC_iiiii
	.globl	_ZN4vllm25paged_attention_v1_kernelIfhLi192ELi8ELi128ELNS_18Fp8KVCacheDataTypeE1ELb1EEEvPT_PKS2_PKT0_S8_ifPKiSA_iPKfiiiSC_SC_iiiii
	.p2align	8
	.type	_ZN4vllm25paged_attention_v1_kernelIfhLi192ELi8ELi128ELNS_18Fp8KVCacheDataTypeE1ELb1EEEvPT_PKS2_PKT0_S8_ifPKiSA_iPKfiiiSC_SC_iiiii,@function
_ZN4vllm25paged_attention_v1_kernelIfhLi192ELi8ELi128ELNS_18Fp8KVCacheDataTypeE1ELb1EEEvPT_PKS2_PKT0_S8_ifPKiSA_iPKfiiiSC_SC_iiiii: ; @_ZN4vllm25paged_attention_v1_kernelIfhLi192ELi8ELi128ELNS_18Fp8KVCacheDataTypeE1ELb1EEEvPT_PKS2_PKT0_S8_ifPKiSA_iPKfiiiSC_SC_iiiii
; %bb.0:
	s_load_dword s5, s[0:1], 0x80
	s_load_dwordx2 s[6:7], s[0:1], 0x30
	s_load_dwordx2 s[36:37], s[0:1], 0x20
	s_mov_b32 s24, s3
	s_ashr_i32 s25, s3, 31
	s_lshl_b64 s[8:9], s[24:25], 2
	s_waitcnt lgkmcnt(0)
	s_add_u32 s6, s6, s8
	s_addc_u32 s7, s7, s9
	s_abs_i32 s3, s36
	v_cvt_f32_u32_e32 v1, s3
	s_sub_i32 s10, 0, s3
	s_abs_i32 s9, s5
	s_xor_b32 s8, s5, s36
	v_rcp_iflag_f32_e32 v1, v1
	s_ashr_i32 s8, s8, 31
	s_mov_b32 s44, 0
	v_mul_f32_e32 v1, 0x4f7ffffe, v1
	v_cvt_u32_f32_e32 v1, v1
	s_nop 0
	v_readfirstlane_b32 s11, v1
	s_mul_i32 s10, s10, s11
	s_mul_hi_u32 s10, s11, s10
	s_add_i32 s11, s11, s10
	s_mul_hi_u32 s10, s9, s11
	s_mul_i32 s11, s10, s3
	s_sub_i32 s9, s9, s11
	s_add_i32 s11, s10, 1
	s_sub_i32 s12, s9, s3
	s_cmp_ge_u32 s9, s3
	s_cselect_b32 s10, s11, s10
	s_cselect_b32 s9, s12, s9
	s_add_i32 s11, s10, 1
	s_cmp_ge_u32 s9, s3
	s_cselect_b32 s3, s11, s10
	s_xor_b32 s3, s3, s8
	s_sub_i32 s20, s3, s8
	s_abs_i32 s34, s20
	v_cvt_f32_u32_e32 v1, s34
	s_load_dwordx2 s[8:9], s[0:1], 0x40
	s_sub_i32 s3, 0, s34
	s_abs_i32 s35, s2
	v_rcp_iflag_f32_e32 v1, v1
	s_nop 0
	v_mul_f32_e32 v1, 0x4f7ffffe, v1
	v_cvt_u32_f32_e32 v1, v1
	s_nop 0
	v_readfirstlane_b32 s12, v1
	s_mul_i32 s3, s3, s12
	s_mul_hi_u32 s3, s12, s3
	s_add_i32 s12, s12, s3
	s_waitcnt lgkmcnt(0)
	s_cmp_eq_u64 s[8:9], 0
	s_cbranch_scc1 .LBB171_2
; %bb.1:
	s_ashr_i32 s3, s2, 31
	s_lshl_b64 s[10:11], s[2:3], 2
	s_add_u32 s8, s8, s10
	s_addc_u32 s9, s9, s11
	s_load_dword s44, s[8:9], 0x0
.LBB171_2:
	s_load_dwordx2 s[26:27], s[0:1], 0x0
	s_nop 0
	s_load_dwordx4 s[8:11], s[0:1], 0x10
	s_load_dword s25, s[0:1], 0x88
	s_load_dword s33, s[6:7], 0x0
	s_load_dwordx2 s[30:31], s[0:1], 0x28
	s_load_dwordx4 s[16:19], s[0:1], 0x48
	s_movk_i32 s6, 0xc0
	s_mul_i32 s28, s2, 0xc0
	s_mul_hi_u32 s3, s35, s12
	v_and_b32_e32 v2, 7, v0
	s_ashr_i32 s29, s28, 31
	v_cmp_gt_u32_e32 vcc, s6, v0
	s_and_saveexec_b64 s[6:7], vcc
	s_cbranch_execz .LBB171_5
; %bb.3:
	s_load_dwordx2 s[12:13], s[0:1], 0x8
	s_waitcnt lgkmcnt(0)
	s_mul_i32 s14, s24, s16
	s_ashr_i32 s15, s14, 31
	s_lshl_b64 s[14:15], s[14:15], 2
	s_lshl_b64 s[22:23], s[28:29], 2
	s_add_u32 s14, s14, s22
	s_addc_u32 s15, s15, s23
	v_lshrrev_b32_e32 v4, 3, v0
	v_lshlrev_b32_e32 v5, 2, v2
	s_add_u32 s12, s12, s14
	v_add_u32_e32 v1, -16, v4
	v_lshlrev_b32_e32 v3, 2, v4
	s_movk_i32 s16, 0x60
	v_lshl_or_b32 v4, v4, 5, v5
	v_mov_b32_e32 v5, 0
	s_addc_u32 s13, s13, s15
	v_mad_u32_u24 v3, v2, s16, v3
	v_lshl_add_u64 v[4:5], s[12:13], 0, v[4:5]
	s_mov_b64 s[12:13], 0
	s_mov_b64 s[14:15], 0x200
.LBB171_4:                              ; =>This Inner Loop Header: Depth=1
	global_load_dword v6, v[4:5], off
	v_add_u32_e32 v1, 16, v1
	v_cmp_lt_u32_e32 vcc, 7, v1
	v_lshl_add_u64 v[4:5], v[4:5], 0, s[14:15]
	s_or_b64 s[12:13], vcc, s[12:13]
	s_waitcnt vmcnt(0)
	ds_write_b32 v3, v6
	v_add_u32_e32 v3, 64, v3
	s_andn2_b64 exec, exec, s[12:13]
	s_cbranch_execnz .LBB171_4
.LBB171_5:
	s_or_b64 exec, exec, s[6:7]
	s_ashr_i32 s6, s2, 31
	s_ashr_i32 s7, s20, 31
	s_xor_b32 s6, s6, s7
	s_mul_i32 s7, s3, s34
	s_sub_i32 s7, s35, s7
	s_add_i32 s13, s3, 1
	s_sub_i32 s14, s7, s34
	s_load_dwordx4 s[20:23], s[0:1], 0x68
	s_load_dword s12, s[0:1], 0x78
	s_cmp_ge_u32 s7, s34
	s_cselect_b32 s3, s13, s3
	s_cselect_b32 s7, s14, s7
	s_add_i32 s13, s3, 1
	s_cmp_ge_u32 s7, s34
	s_cselect_b32 s3, s13, s3
	s_waitcnt lgkmcnt(0)
	s_abs_i32 s16, s23
	v_cvt_f32_u32_e32 v1, s16
	s_xor_b32 s3, s3, s6
	s_sub_i32 s43, s3, s6
	s_sub_i32 s6, 0, s16
	v_rcp_iflag_f32_e32 v1, v1
	s_add_i32 s13, s33, -1
	s_abs_i32 s3, s13
	v_mul_f32_e32 v1, 0x4f7ffffe, v1
	v_cvt_u32_f32_e32 v1, v1
	s_barrier
	v_readfirstlane_b32 s29, v1
	s_mul_i32 s6, s6, s29
	s_mul_hi_u32 s6, s29, s6
	s_add_i32 s29, s29, s6
	s_cmp_lt_i32 s12, 0
	s_mul_hi_u32 s19, s3, s29
	s_cbranch_scc0 .LBB171_7
; %bb.6:
	s_mul_i32 s6, s20, s36
	s_add_i32 s6, s43, s6
	s_mul_i32 s6, s6, s12
	s_sub_i32 s36, 1, s6
	s_ashr_i32 s34, s13, 31
	s_ashr_i32 s23, s23, 31
	s_cbranch_execz .LBB171_8
	s_branch .LBB171_9
.LBB171_7:
                                        ; implicit-def: $sgpr36
	s_ashr_i32 s34, s13, 31
	s_ashr_i32 s23, s23, 31
.LBB171_8:
	s_mul_i32 s6, s5, s20
	s_add_i32 s2, s6, s2
	s_mul_i32 s2, s2, s12
	s_add_i32 s36, s2, 1
.LBB171_9:
	s_load_dword s2, s[0:1], 0x38
	s_load_dwordx4 s[12:15], s[0:1], 0x58
	s_mul_i32 s1, s19, s16
	s_xor_b32 s0, s34, s23
	s_sub_i32 s1, s3, s1
	s_waitcnt lgkmcnt(0)
	s_mul_i32 s34, s24, s2
	s_ashr_i32 s35, s34, 31
	s_add_i32 s2, s19, 1
	s_sub_i32 s3, s1, s16
	s_cmp_ge_u32 s1, s16
	s_cselect_b32 s2, s2, s19
	s_cselect_b32 s1, s3, s1
	s_add_i32 s3, s2, 1
	s_cmp_ge_u32 s1, s16
	s_cselect_b32 s1, s3, s2
	s_xor_b32 s1, s1, s0
	s_sub_i32 s42, s1, s0
	s_add_i32 s0, s33, 7
	s_ashr_i32 s1, s0, 31
	s_lshr_b32 s1, s1, 29
	s_add_i32 s0, s0, s1
	s_ashr_i32 s20, s0, 3
	v_lshrrev_b32_e32 v1, 6, v0
	v_cmp_gt_i32_e64 s[0:1], s20, v1
	v_mov_b32_e32 v12, 0xff7fffff
	s_mul_i32 s43, s43, s18
	v_lshrrev_b32_e32 v8, 4, v0
	v_lshlrev_b32_e32 v40, 3, v1
	v_mbcnt_lo_u32_b32 v9, -1, 0
	s_and_saveexec_b64 s[18:19], s[0:1]
	s_cbranch_execz .LBB171_19
; %bb.10:
	s_sub_i32 s45, s42, s21
	s_ashr_i32 s3, s43, 31
	s_add_u32 s2, s8, s43
	s_addc_u32 s3, s9, s3
	s_abs_i32 s46, s22
	v_cvt_f32_u32_e32 v3, s46
	v_bfe_u32 v10, v0, 3, 3
	v_lshlrev_b32_e32 v6, 4, v10
	v_mov_b32_e32 v7, 0
	v_rcp_iflag_f32_e32 v3, v3
	v_lshl_add_u64 v[4:5], s[2:3], 0, v[6:7]
	s_sub_i32 s6, 0, s46
	v_mbcnt_hi_u32_b32 v18, -1, v9
	v_mul_f32_e32 v3, 0x4f7ffffe, v3
	v_cvt_u32_f32_e32 v6, v3
	v_cmp_eq_u32_e32 vcc, 0, v2
	s_mov_b32 s47, s17
	v_mul_u32_u24_e32 v11, 0x60, v2
	v_mul_lo_u32 v12, s6, v6
	v_mul_hi_u32 v12, v6, v12
	v_add_u32_e32 v13, v6, v12
	v_lshlrev_b32_e32 v12, 2, v10
	s_lshl_b64 s[6:7], s[34:35], 2
	v_lshl_or_b32 v12, v1, 5, v12
	s_add_u32 s6, s30, s6
	v_add_u32_e32 v15, 0x310, v12
	v_subrev_u32_e32 v12, s33, v10
	v_and_b32_e32 v6, 60, v8
	s_addc_u32 s7, s31, s7
	v_add_u32_e32 v16, 1, v12
	v_and_b32_e32 v12, 64, v18
	v_cmp_neq_f32_e64 s[2:3], s44, 0
	v_mov_b32_e32 v3, v7
	v_lshl_add_u64 v[6:7], s[6:7], 0, v[6:7]
	v_lshlrev_b32_e32 v14, 3, v1
	s_mov_b64 s[38:39], 0
	v_mov_b32_e32 v17, 0xff7fffff
	v_add_u32_e32 v19, 64, v12
	v_xor_b32_e32 v20, 4, v18
	v_xor_b32_e32 v21, 2, v18
	;; [unrolled: 1-line block ×3, first 2 shown]
	v_mov_b32_e32 v12, 0xff7fffff
	v_mov_b32_e32 v23, v1
	s_branch .LBB171_13
.LBB171_11:                             ;   in Loop: Header=BB171_13 Depth=1
	s_or_b64 exec, exec, s[40:41]
.LBB171_12:                             ;   in Loop: Header=BB171_13 Depth=1
	s_or_b64 exec, exec, s[8:9]
	v_add_u32_e32 v23, 2, v23
	v_cmp_le_i32_e64 s[6:7], s20, v23
	v_lshl_add_u64 v[6:7], v[6:7], 0, 8
	v_add_u32_e32 v14, 16, v14
	s_or_b64 s[38:39], s[6:7], s[38:39]
	v_add_u32_e32 v15, 64, v15
	s_andn2_b64 exec, exec, s[38:39]
	s_cbranch_execz .LBB171_18
.LBB171_13:                             ; =>This Inner Loop Header: Depth=1
	v_mul_hi_u32 v24, v14, s29
	s_waitcnt lgkmcnt(0)
	v_mul_lo_u32 v25, v24, s16
	v_sub_u32_e32 v25, v14, v25
	v_add_u32_e32 v26, 1, v24
	v_cmp_le_u32_e64 s[6:7], s16, v25
	s_nop 1
	v_cndmask_b32_e64 v24, v24, v26, s[6:7]
	v_subrev_u32_e32 v26, s16, v25
	v_cndmask_b32_e64 v25, v25, v26, s[6:7]
	v_add_u32_e32 v26, 1, v24
	v_cmp_le_u32_e64 s[6:7], s16, v25
	s_nop 1
	v_cndmask_b32_e64 v24, v24, v26, s[6:7]
	v_xor_b32_e32 v24, s23, v24
	v_subrev_u32_e32 v24, s23, v24
	v_add_u32_e32 v25, s36, v24
	v_sub_u32_e32 v27, 0, v25
	v_ashrrev_i32_e32 v26, 31, v25
	v_max_i32_e32 v25, v25, v27
	v_mul_hi_u32 v27, v25, v13
	v_mul_lo_u32 v27, v27, s46
	v_sub_u32_e32 v25, v25, v27
	v_subrev_u32_e32 v27, s46, v25
	v_cmp_le_u32_e64 s[6:7], s46, v25
	v_cmp_ge_i32_e64 s[8:9], s45, v24
	s_nop 0
	v_cndmask_b32_e64 v25, v25, v27, s[6:7]
	v_subrev_u32_e32 v27, s46, v25
	v_cmp_le_u32_e64 s[6:7], s46, v25
	s_nop 1
	v_cndmask_b32_e64 v25, v25, v27, s[6:7]
	v_xor_b32_e32 v25, v25, v26
	v_sub_u32_e32 v25, v25, v26
	v_cmp_ne_u32_e64 s[6:7], 0, v25
	s_and_b64 s[6:7], s[6:7], s[8:9]
	s_and_b64 s[40:41], vcc, s[6:7]
	s_and_saveexec_b64 s[8:9], s[40:41]
	s_cbranch_execz .LBB171_15
; %bb.14:                               ;   in Loop: Header=BB171_13 Depth=1
	ds_write_b32 v15, v17
.LBB171_15:                             ;   in Loop: Header=BB171_13 Depth=1
	s_or_b64 exec, exec, s[8:9]
	s_xor_b64 s[6:7], s[6:7], -1
	s_and_saveexec_b64 s[8:9], s[6:7]
	s_cbranch_execz .LBB171_12
; %bb.16:                               ;   in Loop: Header=BB171_13 Depth=1
	global_load_dword v24, v[6:7], off
	s_waitcnt vmcnt(0)
	v_mad_i64_i32 v[24:25], s[6:7], v24, s47, v[4:5]
	v_lshl_add_u64 v[24:25], v[24:25], 0, v[2:3]
	global_load_ubyte v41, v[24:25], off
	global_load_ubyte v50, v[24:25], off offset:8
	global_load_ubyte v51, v[24:25], off offset:128
	;; [unrolled: 1-line block ×23, first 2 shown]
	ds_read_b128 v[24:27], v11
	ds_read_b128 v[28:31], v11 offset:16
	ds_read_b128 v[32:35], v11 offset:32
	;; [unrolled: 1-line block ×3, first 2 shown]
	s_load_dword s40, s[12:13], 0x0
	ds_read_b128 v[42:45], v11 offset:64
	ds_read_b128 v[46:49], v11 offset:80
	v_cmp_lt_i32_e64 s[6:7], v20, v19
	s_waitcnt vmcnt(23)
	v_cvt_f32_fp8_sdwa v41, v41 src0_sel:BYTE_0
	s_waitcnt vmcnt(22)
	v_cvt_f32_fp8_sdwa v50, v50 src0_sel:BYTE_0
	;; [unrolled: 2-line block ×5, first 2 shown]
	s_waitcnt lgkmcnt(0)
	v_mul_f32_e32 v50, s40, v50
	s_waitcnt vmcnt(18)
	v_cvt_f32_fp8_sdwa v54, v54 src0_sel:BYTE_0
	v_mul_f32_e32 v41, s40, v41
	v_mul_f32_e32 v25, v25, v50
	s_waitcnt vmcnt(17)
	v_cvt_f32_fp8_sdwa v55, v55 src0_sel:BYTE_0
	v_mul_f32_e32 v51, s40, v51
	v_fmac_f32_e32 v25, v24, v41
	s_waitcnt vmcnt(16)
	v_cvt_f32_fp8_sdwa v56, v56 src0_sel:BYTE_0
	v_mul_f32_e32 v52, s40, v52
	v_fmac_f32_e32 v25, v26, v51
	;; [unrolled: 4-line block ×18, first 2 shown]
	v_mul_f32_e32 v69, s40, v69
	v_fmac_f32_e32 v25, v45, v68
	v_mul_f32_e32 v70, s40, v70
	v_fmac_f32_e32 v25, v46, v69
	v_mul_f32_e32 v71, s40, v71
	v_fmac_f32_e32 v25, v47, v70
	v_cndmask_b32_e64 v73, v18, v20, s[6:7]
	v_mul_f32_e32 v72, s40, v72
	v_fmac_f32_e32 v25, v48, v71
	v_lshlrev_b32_e32 v24, 2, v73
	v_fmac_f32_e32 v25, v49, v72
	ds_bpermute_b32 v24, v24, v25
	v_cmp_lt_i32_e64 s[6:7], v21, v19
	s_waitcnt lgkmcnt(0)
	v_add_f32_e32 v24, v25, v24
	v_cndmask_b32_e64 v26, v18, v21, s[6:7]
	v_lshlrev_b32_e32 v26, 2, v26
	ds_bpermute_b32 v25, v26, v24
	v_cmp_lt_i32_e64 s[6:7], v22, v19
	s_waitcnt lgkmcnt(0)
	v_add_f32_e32 v24, v24, v25
	v_cndmask_b32_e64 v26, v18, v22, s[6:7]
	v_lshlrev_b32_e32 v26, 2, v26
	ds_bpermute_b32 v25, v26, v24
	s_and_saveexec_b64 s[40:41], vcc
	s_cbranch_execz .LBB171_11
; %bb.17:                               ;   in Loop: Header=BB171_13 Depth=1
	v_add_u32_e32 v26, v16, v14
	v_cvt_f32_i32_e32 v26, v26
	s_waitcnt lgkmcnt(0)
	v_add_f32_e32 v24, v24, v25
	v_add_u32_e32 v27, v10, v14
	v_cmp_gt_i32_e64 s[6:7], s33, v27
	v_mul_f32_e32 v25, s44, v26
	v_cndmask_b32_e64 v25, 0, v25, s[2:3]
	v_fmac_f32_e32 v25, s37, v24
	v_cndmask_b32_e64 v24, 0, v25, s[6:7]
	ds_write_b32 v15, v24
	v_max_f32_e32 v24, v12, v12
	v_max_f32_e32 v24, v24, v25
	v_cndmask_b32_e64 v12, v12, v24, s[6:7]
	s_branch .LBB171_11
.LBB171_18:
	s_or_b64 exec, exec, s[38:39]
.LBB171_19:
	s_or_b64 exec, exec, s[18:19]
	v_mbcnt_hi_u32_b32 v2, -1, v9
	v_and_b32_e32 v3, 64, v2
	v_add_u32_e32 v3, 64, v3
	v_xor_b32_e32 v4, 32, v2
	v_cmp_lt_i32_e32 vcc, v4, v3
	v_xor_b32_e32 v7, 16, v2
	v_max_f32_e32 v6, v12, v12
	v_cndmask_b32_e32 v4, v2, v4, vcc
	v_lshlrev_b32_e32 v5, 2, v4
	ds_bpermute_b32 v4, v5, v12
	v_cmp_lt_i32_e32 vcc, v7, v3
	v_xor_b32_e32 v9, 8, v2
	v_and_b32_e32 v41, 63, v0
	s_waitcnt lgkmcnt(0)
	v_max_f32_e32 v4, v4, v4
	v_max_f32_e32 v4, v6, v4
	v_cndmask_b32_e32 v6, v2, v7, vcc
	v_lshlrev_b32_e32 v7, 2, v6
	ds_bpermute_b32 v6, v7, v4
	v_cmp_lt_i32_e32 vcc, v9, v3
	s_waitcnt lgkmcnt(0)
	v_max_f32_e32 v6, v6, v6
	v_max_f32_e32 v6, v4, v6
	v_cndmask_b32_e32 v4, v2, v9, vcc
	v_lshlrev_b32_e32 v9, 2, v4
	ds_bpermute_b32 v10, v9, v6
	v_cmp_eq_u32_e32 vcc, 0, v41
	v_lshlrev_b32_e32 v4, 2, v1
	s_and_saveexec_b64 s[2:3], vcc
	s_cbranch_execz .LBB171_21
; %bb.20:
	s_waitcnt lgkmcnt(0)
	v_max_f32_e32 v10, v10, v10
	v_max_f32_e32 v6, v6, v6
	;; [unrolled: 1-line block ×3, first 2 shown]
	ds_write_b32 v4, v6 offset:768
.LBB171_21:
	s_or_b64 exec, exec, s[2:3]
	v_cmp_gt_u32_e64 s[2:3], 2, v41
	s_waitcnt lgkmcnt(0)
	v_mov_b32_e32 v10, 0xff7fffff
	v_lshlrev_b32_e32 v6, 2, v41
	s_barrier
	s_and_saveexec_b64 s[6:7], s[2:3]
	s_cbranch_execz .LBB171_23
; %bb.22:
	ds_read_b32 v10, v6 offset:768
.LBB171_23:
	s_or_b64 exec, exec, s[6:7]
	v_xor_b32_e32 v11, 1, v2
	v_cmp_lt_i32_e64 s[6:7], v11, v3
	v_lshlrev_b32_e32 v12, 2, v2
	s_nop 0
	v_cndmask_b32_e64 v11, v2, v11, s[6:7]
	v_lshlrev_b32_e32 v42, 2, v11
	s_waitcnt lgkmcnt(0)
	ds_bpermute_b32 v11, v42, v10
	v_max_f32_e32 v10, v10, v10
	s_lshl_b32 s6, s20, 3
	s_min_i32 s37, s6, s33
	v_cmp_gt_i32_e64 s[6:7], s37, v0
	s_waitcnt lgkmcnt(0)
	v_max_f32_e32 v11, v11, v11
	v_max_f32_e32 v11, v10, v11
	v_and_b32_e32 v10, 0x100, v12
	ds_bpermute_b32 v12, v10, v11
	v_mov_b32_e32 v11, 0
	s_and_saveexec_b64 s[12:13], s[6:7]
	s_cbranch_execz .LBB171_27
; %bb.24:
	v_mov_b32_e32 v11, 0x310
	v_lshl_add_u32 v13, v0, 2, v11
	s_mov_b64 s[18:19], 0
	v_mov_b32_e32 v11, 0
	v_mov_b32_e32 v14, v0
.LBB171_25:                             ; =>This Inner Loop Header: Depth=1
	ds_read_b32 v15, v13
	v_add_u32_e32 v14, 0x80, v14
	v_cmp_le_i32_e64 s[8:9], s37, v14
	s_or_b64 s[18:19], s[8:9], s[18:19]
	s_waitcnt lgkmcnt(0)
	v_sub_f32_e32 v15, v15, v12
	v_mul_f32_e32 v15, 0x3fb8aa3b, v15
	v_exp_f32_e32 v15, v15
	ds_write_b32 v13, v15
	v_add_f32_e32 v11, v11, v15
	v_add_u32_e32 v13, 0x200, v13
	s_andn2_b64 exec, exec, s[18:19]
	s_cbranch_execnz .LBB171_25
; %bb.26:
	s_or_b64 exec, exec, s[18:19]
.LBB171_27:
	s_or_b64 exec, exec, s[12:13]
	ds_bpermute_b32 v5, v5, v11
	s_waitcnt lgkmcnt(0)
	v_add_f32_e32 v5, v11, v5
	ds_bpermute_b32 v7, v7, v5
	s_waitcnt lgkmcnt(0)
	v_add_f32_e32 v5, v5, v7
	ds_bpermute_b32 v7, v9, v5
	v_xor_b32_e32 v9, 4, v2
	v_cmp_lt_i32_e64 s[8:9], v9, v3
	s_waitcnt lgkmcnt(0)
	v_add_f32_e32 v5, v5, v7
	v_cndmask_b32_e64 v9, v2, v9, s[8:9]
	v_lshlrev_b32_e32 v9, 2, v9
	ds_bpermute_b32 v7, v9, v5
	v_xor_b32_e32 v9, 2, v2
	v_cmp_lt_i32_e64 s[8:9], v9, v3
	s_waitcnt lgkmcnt(0)
	v_add_f32_e32 v3, v5, v7
	v_cndmask_b32_e64 v2, v2, v9, s[8:9]
	v_lshlrev_b32_e32 v2, 2, v2
	ds_bpermute_b32 v2, v2, v3
	s_waitcnt lgkmcnt(0)
	v_add_f32_e32 v2, v3, v2
	ds_bpermute_b32 v3, v42, v2
	s_waitcnt lgkmcnt(0)
	v_add_f32_e32 v2, v2, v3
	s_and_saveexec_b64 s[8:9], vcc
	s_cbranch_execz .LBB171_29
; %bb.28:
	ds_write_b32 v4, v2 offset:776
.LBB171_29:
	s_or_b64 exec, exec, s[8:9]
	s_waitcnt lgkmcnt(0)
	s_barrier
	s_and_saveexec_b64 s[8:9], s[2:3]
	s_cbranch_execz .LBB171_31
; %bb.30:
	ds_read_b32 v2, v6 offset:776
.LBB171_31:
	s_or_b64 exec, exec, s[8:9]
	s_waitcnt lgkmcnt(0)
	ds_bpermute_b32 v3, v42, v2
	s_waitcnt lgkmcnt(0)
	v_add_f32_e32 v2, v2, v3
	ds_bpermute_b32 v2, v10, v2
	s_and_saveexec_b64 s[2:3], s[6:7]
	s_cbranch_execz .LBB171_44
; %bb.32:
	s_waitcnt lgkmcnt(0)
	v_add_f32_e32 v2, 0x358637bd, v2
	v_div_scale_f32 v3, s[6:7], v2, v2, 1.0
	v_rcp_f32_e32 v4, v3
	v_div_scale_f32 v5, vcc, 1.0, v2, 1.0
	s_movk_i32 s6, 0x7f
	v_fma_f32 v6, -v3, v4, 1.0
	v_fmac_f32_e32 v4, v6, v4
	v_mul_f32_e32 v6, v5, v4
	v_fma_f32 v7, -v3, v6, v5
	v_fmac_f32_e32 v6, v7, v4
	v_fma_f32 v3, -v3, v6, v5
	v_div_fmas_f32 v3, v3, v4, v6
	v_xad_u32 v4, v0, -1, s37
	v_div_fixup_f32 v2, v3, v2, 1.0
	v_cmp_lt_u32_e32 vcc, s6, v4
	s_mov_b64 s[8:9], -1
	v_mov_b32_e32 v3, v0
	s_and_saveexec_b64 s[6:7], vcc
	s_cbranch_execz .LBB171_41
; %bb.33:
	v_lshrrev_b32_e32 v4, 7, v4
	v_add_u32_e32 v6, -1, v4
	v_lshrrev_b32_e32 v5, 1, v6
	v_mov_b32_e32 v3, v2
	v_add_u32_e32 v5, 1, v5
	v_cmp_lt_u32_e32 vcc, 13, v6
	v_mov_b32_e32 v9, 0
	s_and_saveexec_b64 s[8:9], vcc
	s_cbranch_execz .LBB171_37
; %bb.34:
	v_mov_b32_e32 v7, 0x310
	v_and_b32_e32 v6, -8, v5
	v_lshl_add_u32 v7, v0, 2, v7
	s_mov_b32 s18, 0
	s_mov_b64 s[12:13], 0
.LBB171_35:                             ; =>This Inner Loop Header: Depth=1
	ds_read2st64_b32 v[10:11], v7 offset1:2
	ds_read2st64_b32 v[12:13], v7 offset0:4 offset1:6
	ds_read2st64_b32 v[14:15], v7 offset0:8 offset1:10
	;; [unrolled: 1-line block ×3, first 2 shown]
	v_add_u32_e32 v6, -8, v6
	s_waitcnt lgkmcnt(3)
	v_pk_mul_f32 v[10:11], v[2:3], v[10:11]
	s_waitcnt lgkmcnt(2)
	v_pk_mul_f32 v[12:13], v[2:3], v[12:13]
	ds_write2st64_b32 v7, v10, v11 offset1:2
	ds_write2st64_b32 v7, v12, v13 offset0:4 offset1:6
	ds_read2st64_b32 v[12:13], v7 offset0:16 offset1:18
	s_waitcnt lgkmcnt(4)
	v_pk_mul_f32 v[10:11], v[2:3], v[14:15]
	ds_write2st64_b32 v7, v10, v11 offset0:8 offset1:10
	s_waitcnt lgkmcnt(4)
	v_pk_mul_f32 v[10:11], v[2:3], v[16:17]
	ds_write2st64_b32 v7, v10, v11 offset0:12 offset1:14
	ds_read2st64_b32 v[10:11], v7 offset0:20 offset1:22
	s_waitcnt lgkmcnt(3)
	v_pk_mul_f32 v[12:13], v[2:3], v[12:13]
	ds_read2st64_b32 v[14:15], v7 offset0:24 offset1:26
	ds_write2st64_b32 v7, v12, v13 offset0:16 offset1:18
	ds_read2st64_b32 v[12:13], v7 offset0:28 offset1:30
	s_waitcnt lgkmcnt(3)
	v_pk_mul_f32 v[10:11], v[2:3], v[10:11]
	ds_write2st64_b32 v7, v10, v11 offset0:20 offset1:22
	s_waitcnt lgkmcnt(3)
	v_pk_mul_f32 v[10:11], v[2:3], v[14:15]
	ds_write2st64_b32 v7, v10, v11 offset0:24 offset1:26
	s_waitcnt lgkmcnt(2)
	v_pk_mul_f32 v[10:11], v[2:3], v[12:13]
	s_add_i32 s18, s18, 16
	v_cmp_eq_u32_e32 vcc, 0, v6
	ds_write2st64_b32 v7, v10, v11 offset0:28 offset1:30
	v_add_u32_e32 v7, 0x2000, v7
	s_or_b64 s[12:13], vcc, s[12:13]
	v_mov_b32_e32 v9, s18
	s_andn2_b64 exec, exec, s[12:13]
	s_cbranch_execnz .LBB171_35
; %bb.36:
	s_or_b64 exec, exec, s[12:13]
.LBB171_37:
	s_or_b64 exec, exec, s[8:9]
	v_and_b32_e32 v5, 7, v5
	v_cmp_ne_u32_e32 vcc, 0, v5
	s_and_saveexec_b64 s[8:9], vcc
	s_cbranch_execz .LBB171_40
; %bb.38:
	v_lshlrev_b32_e32 v6, 9, v9
	v_lshlrev_b32_e32 v7, 2, v0
	s_movk_i32 s12, 0x310
	v_add3_u32 v6, v6, v7, s12
	s_mov_b64 s[12:13], 0
.LBB171_39:                             ; =>This Inner Loop Header: Depth=1
	ds_read2st64_b32 v[10:11], v6 offset1:2
	v_add_u32_e32 v5, -1, v5
	v_cmp_eq_u32_e32 vcc, 0, v5
	s_or_b64 s[12:13], vcc, s[12:13]
	s_waitcnt lgkmcnt(0)
	v_pk_mul_f32 v[10:11], v[2:3], v[10:11]
	ds_write2st64_b32 v6, v10, v11 offset1:2
	v_add_u32_e32 v6, 0x400, v6
	s_andn2_b64 exec, exec, s[12:13]
	s_cbranch_execnz .LBB171_39
.LBB171_40:
	s_or_b64 exec, exec, s[8:9]
	v_add_u32_e32 v4, 1, v4
	v_and_b32_e32 v5, 0x3fffffe, v4
	v_cmp_ne_u32_e32 vcc, v4, v5
	v_lshl_add_u32 v3, v5, 7, v0
	s_orn2_b64 s[8:9], vcc, exec
.LBB171_41:
	s_or_b64 exec, exec, s[6:7]
	s_and_b64 exec, exec, s[8:9]
	s_cbranch_execz .LBB171_44
; %bb.42:
	v_mov_b32_e32 v4, 0x310
	v_lshl_add_u32 v4, v3, 2, v4
	s_mov_b64 s[6:7], 0
.LBB171_43:                             ; =>This Inner Loop Header: Depth=1
	ds_read_b32 v5, v4
	v_add_u32_e32 v3, 0x80, v3
	v_cmp_le_i32_e32 vcc, s37, v3
	s_or_b64 s[6:7], vcc, s[6:7]
	s_waitcnt lgkmcnt(0)
	v_mul_f32_e32 v5, v2, v5
	ds_write_b32 v4, v5
	v_add_u32_e32 v4, 0x200, v4
	s_andn2_b64 exec, exec, s[6:7]
	s_cbranch_execnz .LBB171_43
.LBB171_44:
	s_or_b64 exec, exec, s[2:3]
	s_mov_b32 s8, 0
	v_mov_b32_e32 v7, 0
	v_and_b32_e32 v43, 1, v0
	v_mov_b32_e32 v6, 0
	v_mov_b32_e32 v5, 0
	;; [unrolled: 1-line block ×4, first 2 shown]
	s_waitcnt lgkmcnt(0)
	v_mov_b32_e32 v2, 0
	s_barrier
	s_and_saveexec_b64 s[2:3], s[0:1]
	s_cbranch_execz .LBB171_62
; %bb.45:
	s_sub_i32 s18, s42, s21
	s_ashr_i32 s1, s43, 31
	s_add_u32 s0, s10, s43
	s_addc_u32 s1, s11, s1
	s_abs_i32 s19, s22
	v_cvt_f32_u32_e32 v2, s19
	v_lshlrev_b32_e32 v4, 2, v0
	v_mov_b32_e32 v3, 0
	s_add_i32 s21, s20, -1
	v_rcp_iflag_f32_e32 v2, v2
	s_sub_i32 s6, 0, s19
	v_and_b32_e32 v44, 4, v4
	s_mov_b32 s9, s8
	v_mul_f32_e32 v2, 0x4f7ffffe, v2
	v_cvt_u32_f32_e32 v5, v2
	v_and_b32_e32 v2, 0xfc, v4
	v_lshl_add_u64 v[12:13], s[0:1], 0, v[2:3]
	s_lshl_b64 s[0:1], s[34:35], 2
	s_add_u32 s0, s30, s0
	v_and_b32_e32 v2, 60, v8
	s_addc_u32 s1, s31, s1
	v_mul_lo_u32 v4, s6, v5
	v_lshl_add_u64 v[14:15], s[0:1], 0, v[2:3]
	v_lshlrev_b32_e32 v2, 4, v43
	v_mul_hi_u32 v4, v5, v4
	v_lshl_or_b32 v2, v1, 5, v2
	v_add_u32_e32 v45, v5, v4
	v_add_u32_e32 v46, 0x310, v2
	s_mov_b32 s10, s8
	s_mov_b32 s11, s8
	;; [unrolled: 1-line block ×4, first 2 shown]
	v_mov_b64_e32 v[2:3], s[8:9]
	s_mov_b64 s[6:7], 0
	v_mov_b64_e32 v[4:5], s[10:11]
	v_mov_b64_e32 v[6:7], s[12:13]
	s_branch .LBB171_48
.LBB171_46:                             ;   in Loop: Header=BB171_48 Depth=1
	s_or_b64 exec, exec, s[0:1]
	v_mul_f32_e32 v19, v9, v19
	v_fmac_f32_e32 v19, v8, v18
	v_fmac_f32_e32 v19, v10, v16
	v_mul_f32_e32 v16, v9, v25
	v_fmac_f32_e32 v16, v8, v24
	v_fmac_f32_e32 v16, v10, v22
	v_fmac_f32_e32 v16, v11, v23
	v_add_f32_e32 v3, v3, v16
	v_mul_f32_e32 v16, v9, v29
	v_fmac_f32_e32 v16, v8, v28
	v_fmac_f32_e32 v16, v10, v26
	v_fmac_f32_e32 v16, v11, v27
	v_add_f32_e32 v4, v4, v16
	;; [unrolled: 5-line block ×3, first 2 shown]
	v_mul_f32_e32 v16, v9, v37
	v_mul_f32_e32 v9, v9, v39
	v_fmac_f32_e32 v16, v8, v36
	v_fmac_f32_e32 v9, v8, v38
	;; [unrolled: 1-line block ×7, first 2 shown]
	v_add_f32_e32 v2, v2, v19
	v_add_f32_e32 v6, v6, v16
	;; [unrolled: 1-line block ×3, first 2 shown]
.LBB171_47:                             ;   in Loop: Header=BB171_48 Depth=1
	s_or_b64 exec, exec, s[8:9]
	v_add_u32_e32 v1, 2, v1
	v_cmp_le_i32_e32 vcc, s20, v1
	v_lshl_add_u64 v[14:15], v[14:15], 0, 8
	v_add_u32_e32 v40, 16, v40
	s_or_b64 s[6:7], vcc, s[6:7]
	v_add_u32_e32 v46, 64, v46
	s_andn2_b64 exec, exec, s[6:7]
	s_cbranch_execz .LBB171_61
.LBB171_48:                             ; =>This Inner Loop Header: Depth=1
	v_mul_hi_u32 v8, v40, s29
	v_mul_lo_u32 v9, v8, s16
	v_sub_u32_e32 v9, v40, v9
	v_add_u32_e32 v10, 1, v8
	v_cmp_le_u32_e32 vcc, s16, v9
	s_nop 1
	v_cndmask_b32_e32 v8, v8, v10, vcc
	v_subrev_u32_e32 v10, s16, v9
	v_cndmask_b32_e32 v9, v9, v10, vcc
	v_add_u32_e32 v10, 1, v8
	v_cmp_le_u32_e32 vcc, s16, v9
	s_nop 1
	v_cndmask_b32_e32 v8, v8, v10, vcc
	v_xor_b32_e32 v8, s23, v8
	v_subrev_u32_e32 v8, s23, v8
	v_add_u32_e32 v9, s36, v8
	v_sub_u32_e32 v11, 0, v9
	v_ashrrev_i32_e32 v10, 31, v9
	v_max_i32_e32 v9, v9, v11
	v_mul_hi_u32 v11, v9, v45
	v_mul_lo_u32 v11, v11, s19
	v_sub_u32_e32 v9, v9, v11
	v_subrev_u32_e32 v11, s19, v9
	v_cmp_le_u32_e32 vcc, s19, v9
	v_cmp_lt_i32_e64 s[0:1], s18, v8
	s_nop 0
	v_cndmask_b32_e32 v9, v9, v11, vcc
	v_subrev_u32_e32 v11, s19, v9
	v_cmp_le_u32_e32 vcc, s19, v9
	s_nop 1
	v_cndmask_b32_e32 v9, v9, v11, vcc
	v_xor_b32_e32 v9, v9, v10
	v_sub_u32_e32 v9, v9, v10
	v_cmp_eq_u32_e32 vcc, 0, v9
	s_or_b64 s[0:1], vcc, s[0:1]
	s_and_saveexec_b64 s[8:9], s[0:1]
	s_cbranch_execz .LBB171_47
; %bb.49:                               ;   in Loop: Header=BB171_48 Depth=1
	global_load_dword v8, v[14:15], off
	s_load_dword s10, s[14:15], 0x0
	v_add_u32_e32 v47, v44, v40
	v_cmp_eq_u32_e32 vcc, s21, v1
	v_add_u32_e32 v49, 1, v47
	v_add_u32_e32 v48, 2, v47
	v_add_u32_e32 v50, 3, v47
	s_waitcnt vmcnt(0)
	v_mad_i64_i32 v[20:21], s[0:1], v8, s17, v[12:13]
	global_load_dword v16, v[20:21], off
	ds_read_b128 v[8:11], v46
	s_waitcnt vmcnt(0)
	v_and_b32_e32 v17, 0xffff, v16
	v_lshrrev_b32_e32 v18, 16, v16
	v_cvt_pk_f32_fp8_e32 v[16:17], v17
	v_cvt_pk_f32_fp8_e32 v[22:23], v18
	s_waitcnt lgkmcnt(0)
	v_pk_mul_f32 v[18:19], s[10:11], v[16:17] op_sel_hi:[0,1]
	v_pk_mul_f32 v[16:17], s[10:11], v[22:23] op_sel_hi:[0,1]
	s_and_saveexec_b64 s[12:13], vcc
; %bb.50:                               ;   in Loop: Header=BB171_48 Depth=1
	v_cmp_gt_i32_e64 s[0:1], s33, v47
	s_nop 1
	v_cndmask_b32_e64 v18, 0, v18, s[0:1]
	v_cmp_gt_i32_e64 s[0:1], s33, v49
	s_nop 1
	v_cndmask_b32_e64 v19, 0, v19, s[0:1]
	;; [unrolled: 3-line block ×4, first 2 shown]
; %bb.51:                               ;   in Loop: Header=BB171_48 Depth=1
	s_or_b64 exec, exec, s[12:13]
	global_load_dword v22, v[20:21], off offset:256
	s_mov_b32 s11, s10
	s_waitcnt vmcnt(0)
	v_and_b32_e32 v23, 0xffff, v22
	v_lshrrev_b32_e32 v24, 16, v22
	v_cvt_pk_f32_fp8_e32 v[22:23], v23
	v_cvt_pk_f32_fp8_e32 v[26:27], v24
	v_pk_mul_f32 v[24:25], s[10:11], v[22:23]
	v_pk_mul_f32 v[22:23], s[10:11], v[26:27]
	s_and_saveexec_b64 s[12:13], vcc
; %bb.52:                               ;   in Loop: Header=BB171_48 Depth=1
	v_cmp_gt_i32_e64 s[0:1], s33, v47
	s_nop 1
	v_cndmask_b32_e64 v24, 0, v24, s[0:1]
	v_cmp_gt_i32_e64 s[0:1], s33, v49
	s_nop 1
	v_cndmask_b32_e64 v25, 0, v25, s[0:1]
	v_cmp_gt_i32_e64 s[0:1], s33, v48
	s_nop 1
	v_cndmask_b32_e64 v22, 0, v22, s[0:1]
	v_cmp_gt_i32_e64 s[0:1], s33, v50
	s_nop 1
	v_cndmask_b32_e64 v23, 0, v23, s[0:1]
; %bb.53:                               ;   in Loop: Header=BB171_48 Depth=1
	s_or_b64 exec, exec, s[12:13]
	global_load_dword v26, v[20:21], off offset:512
	s_waitcnt vmcnt(0)
	v_and_b32_e32 v27, 0xffff, v26
	v_lshrrev_b32_e32 v28, 16, v26
	v_cvt_pk_f32_fp8_e32 v[26:27], v27
	v_cvt_pk_f32_fp8_e32 v[30:31], v28
	v_pk_mul_f32 v[28:29], s[10:11], v[26:27]
	v_pk_mul_f32 v[26:27], s[10:11], v[30:31]
	s_and_saveexec_b64 s[12:13], vcc
; %bb.54:                               ;   in Loop: Header=BB171_48 Depth=1
	v_cmp_gt_i32_e64 s[0:1], s33, v47
	s_nop 1
	v_cndmask_b32_e64 v28, 0, v28, s[0:1]
	v_cmp_gt_i32_e64 s[0:1], s33, v49
	s_nop 1
	v_cndmask_b32_e64 v29, 0, v29, s[0:1]
	v_cmp_gt_i32_e64 s[0:1], s33, v48
	s_nop 1
	v_cndmask_b32_e64 v26, 0, v26, s[0:1]
	v_cmp_gt_i32_e64 s[0:1], s33, v50
	s_nop 1
	v_cndmask_b32_e64 v27, 0, v27, s[0:1]
; %bb.55:                               ;   in Loop: Header=BB171_48 Depth=1
	s_or_b64 exec, exec, s[12:13]
	global_load_dword v30, v[20:21], off offset:768
	;; [unrolled: 24-line block ×4, first 2 shown]
	s_waitcnt vmcnt(0)
	v_and_b32_e32 v21, 0xffff, v20
	v_lshrrev_b32_e32 v38, 16, v20
	v_cvt_pk_f32_fp8_e32 v[20:21], v21
	v_cvt_pk_f32_fp8_e32 v[52:53], v38
	v_pk_mul_f32 v[38:39], s[10:11], v[20:21]
	v_pk_mul_f32 v[20:21], s[10:11], v[52:53]
	s_and_saveexec_b64 s[0:1], vcc
	s_cbranch_execz .LBB171_46
; %bb.60:                               ;   in Loop: Header=BB171_48 Depth=1
	v_cmp_gt_i32_e32 vcc, s33, v47
	s_nop 1
	v_cndmask_b32_e32 v38, 0, v38, vcc
	v_cmp_gt_i32_e32 vcc, s33, v49
	s_nop 1
	v_cndmask_b32_e32 v39, 0, v39, vcc
	;; [unrolled: 3-line block ×4, first 2 shown]
	s_branch .LBB171_46
.LBB171_61:
	s_or_b64 exec, exec, s[6:7]
.LBB171_62:
	s_or_b64 exec, exec, s[2:3]
	ds_bpermute_b32 v8, v42, v2
	ds_bpermute_b32 v9, v42, v3
	ds_bpermute_b32 v10, v42, v4
	ds_bpermute_b32 v11, v42, v5
	ds_bpermute_b32 v12, v42, v6
	ds_bpermute_b32 v13, v42, v7
	v_and_b32_e32 v1, 0x3c1, v0
	s_waitcnt lgkmcnt(4)
	v_pk_add_f32 v[8:9], v[2:3], v[8:9]
	s_waitcnt lgkmcnt(2)
	v_pk_add_f32 v[2:3], v[4:5], v[10:11]
	v_cmp_eq_u32_e32 vcc, 64, v1
	s_waitcnt lgkmcnt(0)
	v_pk_add_f32 v[4:5], v[6:7], v[12:13]
	s_barrier
	s_and_saveexec_b64 s[0:1], vcc
	s_cbranch_execz .LBB171_64
; %bb.63:
	v_mov_b32_e32 v6, 0x310
	v_lshl_add_u32 v6, v41, 1, v6
	ds_write2_b32 v6, v8, v9 offset1:32
	ds_write2_b32 v6, v2, v3 offset0:64 offset1:96
	ds_write2_b32 v6, v4, v5 offset0:128 offset1:160
.LBB171_64:
	s_or_b64 exec, exec, s[0:1]
	v_cmp_gt_u32_e32 vcc, 64, v0
	s_waitcnt lgkmcnt(0)
	s_barrier
	s_and_saveexec_b64 s[0:1], vcc
	s_cbranch_execz .LBB171_73
; %bb.65:
	v_cmp_eq_u32_e32 vcc, 0, v43
	v_lshrrev_b32_e32 v6, 1, v0
	s_and_saveexec_b64 s[2:3], vcc
	s_cbranch_execnz .LBB171_76
; %bb.66:
	s_or_b64 exec, exec, s[2:3]
	s_and_saveexec_b64 s[2:3], vcc
	s_cbranch_execnz .LBB171_77
.LBB171_67:
	s_or_b64 exec, exec, s[2:3]
	s_and_saveexec_b64 s[2:3], vcc
	s_cbranch_execnz .LBB171_78
.LBB171_68:
	s_or_b64 exec, exec, s[2:3]
	s_and_saveexec_b64 s[2:3], vcc
	s_cbranch_execnz .LBB171_79
.LBB171_69:
	s_or_b64 exec, exec, s[2:3]
	s_and_saveexec_b64 s[2:3], vcc
	s_cbranch_execnz .LBB171_80
.LBB171_70:
	s_or_b64 exec, exec, s[2:3]
	s_and_saveexec_b64 s[2:3], vcc
	s_cbranch_execz .LBB171_72
.LBB171_71:
	v_mov_b32_e32 v7, 0x310
	v_lshl_add_u32 v6, v6, 2, v7
	ds_read_b32 v6, v6 offset:640
	s_waitcnt lgkmcnt(0)
	v_add_f32_e32 v5, v5, v6
.LBB171_72:
	s_or_b64 exec, exec, s[2:3]
.LBB171_73:
	s_or_b64 exec, exec, s[0:1]
	v_cmp_eq_u32_e32 vcc, 0, v1
	s_barrier
	s_and_saveexec_b64 s[0:1], vcc
	s_cbranch_execz .LBB171_75
; %bb.74:
	s_mul_i32 s0, s24, s25
	s_mul_i32 s0, s0, s5
	s_mulk_i32 s0, 0xc0
	s_ashr_i32 s1, s0, 31
	s_lshl_b64 s[0:1], s[0:1], 2
	s_add_u32 s2, s26, s0
	s_mul_i32 s0, s25, s28
	s_addc_u32 s3, s27, s1
	s_ashr_i32 s1, s0, 31
	s_lshl_b64 s[0:1], s[0:1], 2
	s_add_u32 s2, s2, s0
	s_mul_i32 s0, s4, 0xc0
	s_addc_u32 s3, s3, s1
	s_ashr_i32 s1, s0, 31
	s_lshl_b64 s[0:1], s[0:1], 2
	s_add_u32 s0, s2, s0
	s_addc_u32 s1, s3, s1
	v_lshlrev_b32_e32 v0, 1, v0
	global_store_dword v0, v8, s[0:1]
	global_store_dword v0, v9, s[0:1] offset:128
	global_store_dword v0, v2, s[0:1] offset:256
	;; [unrolled: 1-line block ×5, first 2 shown]
.LBB171_75:
	s_endpgm
.LBB171_76:
	v_mov_b32_e32 v7, 0x310
	v_lshl_add_u32 v7, v6, 2, v7
	ds_read_b32 v7, v7
	s_waitcnt lgkmcnt(0)
	v_add_f32_e32 v8, v8, v7
	s_or_b64 exec, exec, s[2:3]
	s_and_saveexec_b64 s[2:3], vcc
	s_cbranch_execz .LBB171_67
.LBB171_77:
	v_mov_b32_e32 v7, 0x310
	v_lshl_add_u32 v7, v6, 2, v7
	ds_read_b32 v7, v7 offset:128
	s_waitcnt lgkmcnt(0)
	v_add_f32_e32 v9, v9, v7
	s_or_b64 exec, exec, s[2:3]
	s_and_saveexec_b64 s[2:3], vcc
	s_cbranch_execz .LBB171_68
.LBB171_78:
	v_mov_b32_e32 v7, 0x310
	v_lshl_add_u32 v7, v6, 2, v7
	ds_read_b32 v7, v7 offset:256
	s_waitcnt lgkmcnt(0)
	v_add_f32_e32 v2, v2, v7
	s_or_b64 exec, exec, s[2:3]
	s_and_saveexec_b64 s[2:3], vcc
	s_cbranch_execz .LBB171_69
.LBB171_79:
	v_mov_b32_e32 v7, 0x310
	v_lshl_add_u32 v7, v6, 2, v7
	ds_read_b32 v7, v7 offset:384
	s_waitcnt lgkmcnt(0)
	v_add_f32_e32 v3, v3, v7
	s_or_b64 exec, exec, s[2:3]
	s_and_saveexec_b64 s[2:3], vcc
	s_cbranch_execz .LBB171_70
.LBB171_80:
	v_mov_b32_e32 v7, 0x310
	v_lshl_add_u32 v7, v6, 2, v7
	ds_read_b32 v7, v7 offset:512
	s_waitcnt lgkmcnt(0)
	v_add_f32_e32 v4, v4, v7
	s_or_b64 exec, exec, s[2:3]
	s_and_saveexec_b64 s[2:3], vcc
	s_cbranch_execnz .LBB171_71
	s_branch .LBB171_72
	.section	.rodata,"a",@progbits
	.p2align	6, 0x0
	.amdhsa_kernel _ZN4vllm25paged_attention_v1_kernelIfhLi192ELi8ELi128ELNS_18Fp8KVCacheDataTypeE1ELb1EEEvPT_PKS2_PKT0_S8_ifPKiSA_iPKfiiiSC_SC_iiiii
		.amdhsa_group_segment_fixed_size 784
		.amdhsa_private_segment_fixed_size 0
		.amdhsa_kernarg_size 384
		.amdhsa_user_sgpr_count 2
		.amdhsa_user_sgpr_dispatch_ptr 0
		.amdhsa_user_sgpr_queue_ptr 0
		.amdhsa_user_sgpr_kernarg_segment_ptr 1
		.amdhsa_user_sgpr_dispatch_id 0
		.amdhsa_user_sgpr_kernarg_preload_length 0
		.amdhsa_user_sgpr_kernarg_preload_offset 0
		.amdhsa_user_sgpr_private_segment_size 0
		.amdhsa_uses_dynamic_stack 0
		.amdhsa_enable_private_segment 0
		.amdhsa_system_sgpr_workgroup_id_x 1
		.amdhsa_system_sgpr_workgroup_id_y 1
		.amdhsa_system_sgpr_workgroup_id_z 1
		.amdhsa_system_sgpr_workgroup_info 0
		.amdhsa_system_vgpr_workitem_id 0
		.amdhsa_next_free_vgpr 74
		.amdhsa_next_free_sgpr 48
		.amdhsa_accum_offset 76
		.amdhsa_reserve_vcc 1
		.amdhsa_float_round_mode_32 0
		.amdhsa_float_round_mode_16_64 0
		.amdhsa_float_denorm_mode_32 3
		.amdhsa_float_denorm_mode_16_64 3
		.amdhsa_dx10_clamp 1
		.amdhsa_ieee_mode 1
		.amdhsa_fp16_overflow 0
		.amdhsa_tg_split 0
		.amdhsa_exception_fp_ieee_invalid_op 0
		.amdhsa_exception_fp_denorm_src 0
		.amdhsa_exception_fp_ieee_div_zero 0
		.amdhsa_exception_fp_ieee_overflow 0
		.amdhsa_exception_fp_ieee_underflow 0
		.amdhsa_exception_fp_ieee_inexact 0
		.amdhsa_exception_int_div_zero 0
	.end_amdhsa_kernel
	.section	.text._ZN4vllm25paged_attention_v1_kernelIfhLi192ELi8ELi128ELNS_18Fp8KVCacheDataTypeE1ELb1EEEvPT_PKS2_PKT0_S8_ifPKiSA_iPKfiiiSC_SC_iiiii,"axG",@progbits,_ZN4vllm25paged_attention_v1_kernelIfhLi192ELi8ELi128ELNS_18Fp8KVCacheDataTypeE1ELb1EEEvPT_PKS2_PKT0_S8_ifPKiSA_iPKfiiiSC_SC_iiiii,comdat
.Lfunc_end171:
	.size	_ZN4vllm25paged_attention_v1_kernelIfhLi192ELi8ELi128ELNS_18Fp8KVCacheDataTypeE1ELb1EEEvPT_PKS2_PKT0_S8_ifPKiSA_iPKfiiiSC_SC_iiiii, .Lfunc_end171-_ZN4vllm25paged_attention_v1_kernelIfhLi192ELi8ELi128ELNS_18Fp8KVCacheDataTypeE1ELb1EEEvPT_PKS2_PKT0_S8_ifPKiSA_iPKfiiiSC_SC_iiiii
                                        ; -- End function
	.section	.AMDGPU.csdata,"",@progbits
; Kernel info:
; codeLenInByte = 5736
; NumSgprs: 54
; NumVgprs: 74
; NumAgprs: 0
; TotalNumVgprs: 74
; ScratchSize: 0
; MemoryBound: 0
; FloatMode: 240
; IeeeMode: 1
; LDSByteSize: 784 bytes/workgroup (compile time only)
; SGPRBlocks: 6
; VGPRBlocks: 9
; NumSGPRsForWavesPerEU: 54
; NumVGPRsForWavesPerEU: 74
; AccumOffset: 76
; Occupancy: 6
; WaveLimiterHint : 1
; COMPUTE_PGM_RSRC2:SCRATCH_EN: 0
; COMPUTE_PGM_RSRC2:USER_SGPR: 2
; COMPUTE_PGM_RSRC2:TRAP_HANDLER: 0
; COMPUTE_PGM_RSRC2:TGID_X_EN: 1
; COMPUTE_PGM_RSRC2:TGID_Y_EN: 1
; COMPUTE_PGM_RSRC2:TGID_Z_EN: 1
; COMPUTE_PGM_RSRC2:TIDIG_COMP_CNT: 0
; COMPUTE_PGM_RSRC3_GFX90A:ACCUM_OFFSET: 18
; COMPUTE_PGM_RSRC3_GFX90A:TG_SPLIT: 0
	.section	.text._ZN4vllm25paged_attention_v1_kernelIfhLi256ELi8ELi128ELNS_18Fp8KVCacheDataTypeE1ELb1EEEvPT_PKS2_PKT0_S8_ifPKiSA_iPKfiiiSC_SC_iiiii,"axG",@progbits,_ZN4vllm25paged_attention_v1_kernelIfhLi256ELi8ELi128ELNS_18Fp8KVCacheDataTypeE1ELb1EEEvPT_PKS2_PKT0_S8_ifPKiSA_iPKfiiiSC_SC_iiiii,comdat
	.protected	_ZN4vllm25paged_attention_v1_kernelIfhLi256ELi8ELi128ELNS_18Fp8KVCacheDataTypeE1ELb1EEEvPT_PKS2_PKT0_S8_ifPKiSA_iPKfiiiSC_SC_iiiii ; -- Begin function _ZN4vllm25paged_attention_v1_kernelIfhLi256ELi8ELi128ELNS_18Fp8KVCacheDataTypeE1ELb1EEEvPT_PKS2_PKT0_S8_ifPKiSA_iPKfiiiSC_SC_iiiii
	.globl	_ZN4vllm25paged_attention_v1_kernelIfhLi256ELi8ELi128ELNS_18Fp8KVCacheDataTypeE1ELb1EEEvPT_PKS2_PKT0_S8_ifPKiSA_iPKfiiiSC_SC_iiiii
	.p2align	8
	.type	_ZN4vllm25paged_attention_v1_kernelIfhLi256ELi8ELi128ELNS_18Fp8KVCacheDataTypeE1ELb1EEEvPT_PKS2_PKT0_S8_ifPKiSA_iPKfiiiSC_SC_iiiii,@function
_ZN4vllm25paged_attention_v1_kernelIfhLi256ELi8ELi128ELNS_18Fp8KVCacheDataTypeE1ELb1EEEvPT_PKS2_PKT0_S8_ifPKiSA_iPKfiiiSC_SC_iiiii: ; @_ZN4vllm25paged_attention_v1_kernelIfhLi256ELi8ELi128ELNS_18Fp8KVCacheDataTypeE1ELb1EEEvPT_PKS2_PKT0_S8_ifPKiSA_iPKfiiiSC_SC_iiiii
; %bb.0:
	s_load_dword s5, s[0:1], 0x80
	s_load_dwordx2 s[6:7], s[0:1], 0x30
	s_load_dwordx2 s[36:37], s[0:1], 0x20
	s_mov_b32 s24, s3
	s_ashr_i32 s25, s3, 31
	s_lshl_b64 s[8:9], s[24:25], 2
	s_waitcnt lgkmcnt(0)
	s_add_u32 s6, s6, s8
	s_addc_u32 s7, s7, s9
	s_abs_i32 s3, s36
	v_cvt_f32_u32_e32 v1, s3
	s_sub_i32 s10, 0, s3
	s_abs_i32 s9, s5
	s_xor_b32 s8, s5, s36
	v_rcp_iflag_f32_e32 v1, v1
	s_ashr_i32 s8, s8, 31
	s_mov_b32 s44, 0
	v_mul_f32_e32 v1, 0x4f7ffffe, v1
	v_cvt_u32_f32_e32 v1, v1
	s_nop 0
	v_readfirstlane_b32 s11, v1
	s_mul_i32 s10, s10, s11
	s_mul_hi_u32 s10, s11, s10
	s_add_i32 s11, s11, s10
	s_mul_hi_u32 s10, s9, s11
	s_mul_i32 s11, s10, s3
	s_sub_i32 s9, s9, s11
	s_add_i32 s11, s10, 1
	s_sub_i32 s12, s9, s3
	s_cmp_ge_u32 s9, s3
	s_cselect_b32 s10, s11, s10
	s_cselect_b32 s9, s12, s9
	s_add_i32 s11, s10, 1
	s_cmp_ge_u32 s9, s3
	s_cselect_b32 s3, s11, s10
	s_xor_b32 s3, s3, s8
	s_sub_i32 s20, s3, s8
	s_abs_i32 s34, s20
	v_cvt_f32_u32_e32 v1, s34
	s_load_dwordx2 s[8:9], s[0:1], 0x40
	s_sub_i32 s3, 0, s34
	s_abs_i32 s35, s2
	v_rcp_iflag_f32_e32 v1, v1
	s_nop 0
	v_mul_f32_e32 v1, 0x4f7ffffe, v1
	v_cvt_u32_f32_e32 v1, v1
	s_nop 0
	v_readfirstlane_b32 s12, v1
	s_mul_i32 s3, s3, s12
	s_mul_hi_u32 s3, s12, s3
	s_add_i32 s12, s12, s3
	s_waitcnt lgkmcnt(0)
	s_cmp_eq_u64 s[8:9], 0
	s_cbranch_scc1 .LBB172_2
; %bb.1:
	s_ashr_i32 s3, s2, 31
	s_lshl_b64 s[10:11], s[2:3], 2
	s_add_u32 s8, s8, s10
	s_addc_u32 s9, s9, s11
	s_load_dword s44, s[8:9], 0x0
.LBB172_2:
	s_load_dwordx2 s[26:27], s[0:1], 0x0
	s_nop 0
	s_load_dwordx4 s[8:11], s[0:1], 0x10
	s_mul_hi_u32 s3, s35, s12
	s_load_dword s25, s[0:1], 0x88
	s_load_dword s33, s[6:7], 0x0
	s_load_dwordx2 s[30:31], s[0:1], 0x28
	s_load_dwordx4 s[12:15], s[0:1], 0x48
	s_lshl_b32 s28, s2, 8
	s_movk_i32 s6, 0x100
	v_and_b32_e32 v22, 7, v0
	s_ashr_i32 s29, s28, 31
	v_cmp_gt_u32_e32 vcc, s6, v0
	s_and_saveexec_b64 s[6:7], vcc
	s_cbranch_execz .LBB172_5
; %bb.3:
	s_load_dwordx2 s[16:17], s[0:1], 0x8
	s_waitcnt lgkmcnt(0)
	s_mul_i32 s18, s24, s12
	s_ashr_i32 s19, s18, 31
	s_lshl_b64 s[18:19], s[18:19], 2
	s_lshl_b64 s[22:23], s[28:29], 2
	v_lshrrev_b32_e32 v2, 3, v0
	s_add_u32 s12, s18, s22
	v_lshlrev_b32_e32 v3, 2, v2
	s_addc_u32 s15, s19, s23
	v_lshl_add_u32 v4, v22, 7, v3
	v_lshlrev_b32_e32 v3, 2, v22
	s_add_u32 s16, s16, s12
	v_add_u32_e32 v1, -16, v2
	v_lshl_or_b32 v2, v2, 5, v3
	v_mov_b32_e32 v3, 0
	s_addc_u32 s17, s17, s15
	v_lshl_add_u64 v[2:3], s[16:17], 0, v[2:3]
	s_mov_b64 s[16:17], 0
	s_mov_b64 s[18:19], 0x200
.LBB172_4:                              ; =>This Inner Loop Header: Depth=1
	global_load_dword v5, v[2:3], off
	v_add_co_u32_e32 v1, vcc, 16, v1
	s_xor_b64 s[22:23], vcc, -1
	s_and_b64 s[22:23], exec, s[22:23]
	v_lshl_add_u64 v[2:3], v[2:3], 0, s[18:19]
	s_or_b64 s[16:17], s[22:23], s[16:17]
	s_waitcnt vmcnt(0)
	ds_write_b32 v4, v5
	v_add_u32_e32 v4, 64, v4
	s_andn2_b64 exec, exec, s[16:17]
	s_cbranch_execnz .LBB172_4
.LBB172_5:
	s_or_b64 exec, exec, s[6:7]
	s_ashr_i32 s6, s2, 31
	s_ashr_i32 s7, s20, 31
	s_xor_b32 s6, s6, s7
	s_mul_i32 s7, s3, s34
	s_sub_i32 s7, s35, s7
	s_waitcnt lgkmcnt(0)
	s_add_i32 s15, s3, 1
	s_sub_i32 s16, s7, s34
	s_load_dwordx4 s[20:23], s[0:1], 0x68
	s_load_dword s12, s[0:1], 0x78
	s_cmp_ge_u32 s7, s34
	s_cselect_b32 s3, s15, s3
	s_cselect_b32 s7, s16, s7
	s_add_i32 s15, s3, 1
	s_cmp_ge_u32 s7, s34
	s_cselect_b32 s3, s15, s3
	s_waitcnt lgkmcnt(0)
	s_abs_i32 s29, s23
	v_cvt_f32_u32_e32 v1, s29
	s_xor_b32 s3, s3, s6
	s_sub_i32 s43, s3, s6
	s_sub_i32 s6, 0, s29
	v_rcp_iflag_f32_e32 v1, v1
	s_add_i32 s16, s33, -1
	s_abs_i32 s3, s16
	v_mul_f32_e32 v1, 0x4f7ffffe, v1
	v_cvt_u32_f32_e32 v1, v1
	s_barrier
	v_readfirstlane_b32 s42, v1
	s_mul_i32 s6, s6, s42
	s_mul_hi_u32 s6, s42, s6
	s_add_i32 s42, s42, s6
	s_cmp_lt_i32 s12, 0
	s_mul_hi_u32 s15, s3, s42
	s_cbranch_scc0 .LBB172_7
; %bb.6:
	s_mul_i32 s6, s20, s36
	s_add_i32 s6, s43, s6
	s_mul_i32 s6, s6, s12
	s_sub_i32 s36, 1, s6
	s_ashr_i32 s34, s16, 31
	s_ashr_i32 s23, s23, 31
	s_cbranch_execz .LBB172_8
	s_branch .LBB172_9
.LBB172_7:
                                        ; implicit-def: $sgpr36
	s_ashr_i32 s34, s16, 31
	s_ashr_i32 s23, s23, 31
.LBB172_8:
	s_mul_i32 s6, s5, s20
	s_add_i32 s2, s6, s2
	s_mul_i32 s2, s2, s12
	s_add_i32 s36, s2, 1
.LBB172_9:
	s_load_dword s2, s[0:1], 0x38
	s_load_dwordx4 s[16:19], s[0:1], 0x58
	s_mul_i32 s1, s15, s29
	s_xor_b32 s0, s34, s23
	s_sub_i32 s1, s3, s1
	s_waitcnt lgkmcnt(0)
	s_mul_i32 s34, s24, s2
	s_ashr_i32 s35, s34, 31
	s_add_i32 s2, s15, 1
	s_sub_i32 s3, s1, s29
	s_cmp_ge_u32 s1, s29
	s_cselect_b32 s2, s2, s15
	s_cselect_b32 s1, s3, s1
	s_add_i32 s3, s2, 1
	s_cmp_ge_u32 s1, s29
	s_cselect_b32 s1, s3, s2
	s_xor_b32 s1, s1, s0
	s_sub_i32 s12, s1, s0
	s_add_i32 s0, s33, 7
	s_ashr_i32 s1, s0, 31
	s_lshr_b32 s1, s1, 29
	s_add_i32 s0, s0, s1
	s_ashr_i32 s20, s0, 3
	v_lshrrev_b32_e32 v1, 6, v0
	v_cmp_gt_i32_e64 s[0:1], s20, v1
	v_mov_b32_e32 v32, 0xff7fffff
	s_mul_i32 s43, s43, s14
	v_lshrrev_b32_e32 v28, 4, v0
	v_lshlrev_b32_e32 v50, 3, v1
	v_mbcnt_lo_u32_b32 v29, -1, 0
	s_and_saveexec_b64 s[14:15], s[0:1]
	s_cbranch_execz .LBB172_19
; %bb.10:
	s_sub_i32 s45, s12, s21
	s_ashr_i32 s3, s43, 31
	s_add_u32 s2, s8, s43
	s_addc_u32 s3, s9, s3
	s_abs_i32 s46, s22
	v_cvt_f32_u32_e32 v3, s46
	v_bfe_u32 v30, v0, 3, 3
	v_lshlrev_b32_e32 v2, 4, v30
	s_sub_i32 s6, 0, s46
	v_rcp_iflag_f32_e32 v4, v3
	v_mov_b32_e32 v3, 0
	v_lshl_add_u64 v[24:25], s[2:3], 0, v[2:3]
	v_mbcnt_hi_u32_b32 v38, -1, v29
	v_mul_f32_e32 v2, 0x4f7ffffe, v4
	v_cvt_u32_f32_e32 v2, v2
	v_cmp_eq_u32_e32 vcc, 0, v22
	s_mov_b32 s47, s13
	v_lshlrev_b32_e32 v31, 7, v22
	v_mul_lo_u32 v4, s6, v2
	s_lshl_b64 s[6:7], s[34:35], 2
	v_mul_hi_u32 v4, v2, v4
	s_add_u32 s6, s30, s6
	v_add_u32_e32 v33, v2, v4
	v_and_b32_e32 v2, 60, v28
	s_addc_u32 s7, s31, s7
	v_lshl_add_u64 v[26:27], s[6:7], 0, v[2:3]
	v_lshlrev_b32_e32 v2, 2, v30
	v_lshl_or_b32 v2, v1, 5, v2
	v_add_u32_e32 v35, 0x410, v2
	v_subrev_u32_e32 v2, s33, v30
	v_add_u32_e32 v36, 1, v2
	v_and_b32_e32 v2, 64, v38
	v_cmp_neq_f32_e64 s[2:3], s44, 0
	v_mov_b32_e32 v23, v3
	v_lshlrev_b32_e32 v34, 3, v1
	s_mov_b64 s[38:39], 0
	v_mov_b32_e32 v37, 0xff7fffff
	v_add_u32_e32 v39, 64, v2
	v_xor_b32_e32 v40, 4, v38
	v_xor_b32_e32 v41, 2, v38
	;; [unrolled: 1-line block ×3, first 2 shown]
	v_mov_b32_e32 v32, 0xff7fffff
	v_mov_b32_e32 v43, v1
	s_branch .LBB172_13
.LBB172_11:                             ;   in Loop: Header=BB172_13 Depth=1
	s_or_b64 exec, exec, s[40:41]
.LBB172_12:                             ;   in Loop: Header=BB172_13 Depth=1
	s_or_b64 exec, exec, s[8:9]
	v_add_u32_e32 v43, 2, v43
	v_cmp_le_i32_e64 s[6:7], s20, v43
	v_lshl_add_u64 v[26:27], v[26:27], 0, 8
	v_add_u32_e32 v34, 16, v34
	s_or_b64 s[38:39], s[6:7], s[38:39]
	v_add_u32_e32 v35, 64, v35
	s_andn2_b64 exec, exec, s[38:39]
	s_cbranch_execz .LBB172_18
.LBB172_13:                             ; =>This Inner Loop Header: Depth=1
	v_mul_hi_u32 v2, v34, s42
	s_waitcnt lgkmcnt(0)
	v_mul_lo_u32 v3, v2, s29
	v_sub_u32_e32 v3, v34, v3
	v_add_u32_e32 v4, 1, v2
	v_cmp_le_u32_e64 s[6:7], s29, v3
	s_nop 1
	v_cndmask_b32_e64 v2, v2, v4, s[6:7]
	v_subrev_u32_e32 v4, s29, v3
	v_cndmask_b32_e64 v3, v3, v4, s[6:7]
	v_add_u32_e32 v4, 1, v2
	v_cmp_le_u32_e64 s[6:7], s29, v3
	s_nop 1
	v_cndmask_b32_e64 v2, v2, v4, s[6:7]
	v_xor_b32_e32 v2, s23, v2
	v_subrev_u32_e32 v2, s23, v2
	v_add_u32_e32 v3, s36, v2
	v_sub_u32_e32 v5, 0, v3
	v_ashrrev_i32_e32 v4, 31, v3
	v_max_i32_e32 v3, v3, v5
	v_mul_hi_u32 v5, v3, v33
	v_mul_lo_u32 v5, v5, s46
	v_sub_u32_e32 v3, v3, v5
	v_subrev_u32_e32 v5, s46, v3
	v_cmp_le_u32_e64 s[6:7], s46, v3
	v_cmp_ge_i32_e64 s[8:9], s45, v2
	s_nop 0
	v_cndmask_b32_e64 v3, v3, v5, s[6:7]
	v_subrev_u32_e32 v5, s46, v3
	v_cmp_le_u32_e64 s[6:7], s46, v3
	s_nop 1
	v_cndmask_b32_e64 v3, v3, v5, s[6:7]
	v_xor_b32_e32 v3, v3, v4
	v_sub_u32_e32 v3, v3, v4
	v_cmp_ne_u32_e64 s[6:7], 0, v3
	s_and_b64 s[6:7], s[6:7], s[8:9]
	s_and_b64 s[40:41], vcc, s[6:7]
	s_and_saveexec_b64 s[8:9], s[40:41]
	s_cbranch_execz .LBB172_15
; %bb.14:                               ;   in Loop: Header=BB172_13 Depth=1
	ds_write_b32 v35, v37
.LBB172_15:                             ;   in Loop: Header=BB172_13 Depth=1
	s_or_b64 exec, exec, s[8:9]
	s_xor_b64 s[6:7], s[6:7], -1
	s_and_saveexec_b64 s[8:9], s[6:7]
	s_cbranch_execz .LBB172_12
; %bb.16:                               ;   in Loop: Header=BB172_13 Depth=1
	global_load_dword v2, v[26:27], off
	s_waitcnt vmcnt(0)
	v_mad_i64_i32 v[2:3], s[6:7], v2, s47, v[24:25]
	v_lshl_add_u64 v[2:3], v[2:3], 0, v[22:23]
	global_load_ubyte v48, v[2:3], off
	global_load_ubyte v49, v[2:3], off offset:8
	global_load_ubyte v51, v[2:3], off offset:128
	;; [unrolled: 1-line block ×31, first 2 shown]
	ds_read_b128 v[18:21], v31
	ds_read_b128 v[14:17], v31 offset:16
	ds_read_b128 v[6:9], v31 offset:32
	ds_read_b128 v[2:5], v31 offset:48
	s_load_dword s40, s[16:17], 0x0
	ds_read_b128 v[44:47], v31 offset:64
	ds_read_b128 v[10:13], v31 offset:80
	;; [unrolled: 1-line block ×4, first 2 shown]
	v_cmp_lt_i32_e64 s[6:7], v40, v39
	s_waitcnt vmcnt(31)
	v_cvt_f32_fp8_sdwa v48, v48 src0_sel:BYTE_0
	s_waitcnt vmcnt(30)
	v_cvt_f32_fp8_sdwa v49, v49 src0_sel:BYTE_0
	s_waitcnt lgkmcnt(0)
	v_mul_f32_e32 v48, s40, v48
	v_mul_f32_e32 v49, s40, v49
	;; [unrolled: 1-line block ×3, first 2 shown]
	v_fmac_f32_e32 v19, v18, v48
	s_waitcnt vmcnt(29)
	v_cvt_f32_fp8_sdwa v48, v51 src0_sel:BYTE_0
	s_waitcnt vmcnt(28)
	v_cvt_f32_fp8_sdwa v49, v60 src0_sel:BYTE_0
	;; [unrolled: 2-line block ×5, first 2 shown]
	v_mul_f32_e32 v48, s40, v48
	s_waitcnt vmcnt(24)
	v_cvt_f32_fp8_sdwa v62, v64 src0_sel:BYTE_0
	v_mul_f32_e32 v49, s40, v49
	v_fmac_f32_e32 v19, v20, v48
	s_waitcnt vmcnt(23)
	v_cvt_f32_fp8_sdwa v63, v65 src0_sel:BYTE_0
	v_mul_f32_e32 v51, s40, v51
	v_fmac_f32_e32 v19, v21, v49
	s_waitcnt vmcnt(22)
	v_cvt_f32_fp8_sdwa v64, v66 src0_sel:BYTE_0
	v_mul_f32_e32 v60, s40, v60
	v_fmac_f32_e32 v19, v14, v51
	s_waitcnt vmcnt(21)
	v_cvt_f32_fp8_sdwa v65, v67 src0_sel:BYTE_0
	v_mul_f32_e32 v61, s40, v61
	v_fmac_f32_e32 v19, v15, v60
	s_waitcnt vmcnt(20)
	v_cvt_f32_fp8_sdwa v66, v68 src0_sel:BYTE_0
	v_mul_f32_e32 v62, s40, v62
	v_fmac_f32_e32 v19, v16, v61
	s_waitcnt vmcnt(19)
	v_cvt_f32_fp8_sdwa v67, v69 src0_sel:BYTE_0
	v_mul_f32_e32 v63, s40, v63
	v_fmac_f32_e32 v19, v17, v62
	s_waitcnt vmcnt(18)
	v_cvt_f32_fp8_sdwa v68, v70 src0_sel:BYTE_0
	v_mul_f32_e32 v64, s40, v64
	v_fmac_f32_e32 v19, v6, v63
	s_waitcnt vmcnt(17)
	v_cvt_f32_fp8_sdwa v69, v71 src0_sel:BYTE_0
	v_mul_f32_e32 v65, s40, v65
	v_fmac_f32_e32 v19, v7, v64
	s_waitcnt vmcnt(16)
	v_cvt_f32_fp8_sdwa v70, v72 src0_sel:BYTE_0
	v_mul_f32_e32 v66, s40, v66
	v_fmac_f32_e32 v19, v8, v65
	s_waitcnt vmcnt(15)
	v_cvt_f32_fp8_sdwa v71, v73 src0_sel:BYTE_0
	v_mul_f32_e32 v67, s40, v67
	v_fmac_f32_e32 v19, v9, v66
	s_waitcnt vmcnt(14)
	v_cvt_f32_fp8_sdwa v72, v74 src0_sel:BYTE_0
	v_mul_f32_e32 v68, s40, v68
	v_fmac_f32_e32 v19, v2, v67
	s_waitcnt vmcnt(13)
	v_cvt_f32_fp8_sdwa v73, v75 src0_sel:BYTE_0
	v_mul_f32_e32 v69, s40, v69
	v_fmac_f32_e32 v19, v3, v68
	s_waitcnt vmcnt(12)
	v_cvt_f32_fp8_sdwa v74, v76 src0_sel:BYTE_0
	v_mul_f32_e32 v70, s40, v70
	v_fmac_f32_e32 v19, v4, v69
	s_waitcnt vmcnt(11)
	v_cvt_f32_fp8_sdwa v75, v77 src0_sel:BYTE_0
	v_mul_f32_e32 v71, s40, v71
	v_fmac_f32_e32 v19, v5, v70
	s_waitcnt vmcnt(10)
	v_cvt_f32_fp8_sdwa v76, v78 src0_sel:BYTE_0
	v_mul_f32_e32 v72, s40, v72
	v_fmac_f32_e32 v19, v44, v71
	s_waitcnt vmcnt(9)
	v_cvt_f32_fp8_sdwa v77, v79 src0_sel:BYTE_0
	v_mul_f32_e32 v73, s40, v73
	v_fmac_f32_e32 v19, v45, v72
	s_waitcnt vmcnt(8)
	v_cvt_f32_fp8_sdwa v78, v80 src0_sel:BYTE_0
	v_mul_f32_e32 v74, s40, v74
	v_fmac_f32_e32 v19, v46, v73
	s_waitcnt vmcnt(7)
	v_cvt_f32_fp8_sdwa v79, v81 src0_sel:BYTE_0
	v_mul_f32_e32 v75, s40, v75
	v_fmac_f32_e32 v19, v47, v74
	s_waitcnt vmcnt(6)
	v_cvt_f32_fp8_sdwa v80, v82 src0_sel:BYTE_0
	v_mul_f32_e32 v76, s40, v76
	v_fmac_f32_e32 v19, v10, v75
	s_waitcnt vmcnt(5)
	v_cvt_f32_fp8_sdwa v81, v83 src0_sel:BYTE_0
	v_mul_f32_e32 v77, s40, v77
	v_fmac_f32_e32 v19, v11, v76
	s_waitcnt vmcnt(4)
	v_cvt_f32_fp8_sdwa v82, v84 src0_sel:BYTE_0
	v_mul_f32_e32 v78, s40, v78
	v_fmac_f32_e32 v19, v12, v77
	s_waitcnt vmcnt(3)
	v_cvt_f32_fp8_sdwa v83, v85 src0_sel:BYTE_0
	v_mul_f32_e32 v79, s40, v79
	v_fmac_f32_e32 v19, v13, v78
	s_waitcnt vmcnt(2)
	v_cvt_f32_fp8_sdwa v84, v86 src0_sel:BYTE_0
	v_mul_f32_e32 v80, s40, v80
	v_fmac_f32_e32 v19, v52, v79
	s_waitcnt vmcnt(1)
	v_cvt_f32_fp8_sdwa v85, v87 src0_sel:BYTE_0
	v_mul_f32_e32 v81, s40, v81
	v_fmac_f32_e32 v19, v53, v80
	s_waitcnt vmcnt(0)
	v_cvt_f32_fp8_sdwa v86, v88 src0_sel:BYTE_0
	v_mul_f32_e32 v82, s40, v82
	v_fmac_f32_e32 v19, v54, v81
	v_mul_f32_e32 v83, s40, v83
	v_fmac_f32_e32 v19, v55, v82
	v_mul_f32_e32 v84, s40, v84
	v_fmac_f32_e32 v19, v56, v83
	;; [unrolled: 2-line block ×3, first 2 shown]
	v_cndmask_b32_e64 v18, v38, v40, s[6:7]
	v_mul_f32_e32 v86, s40, v86
	v_fmac_f32_e32 v19, v58, v85
	v_lshlrev_b32_e32 v6, 2, v18
	v_fmac_f32_e32 v19, v59, v86
	ds_bpermute_b32 v2, v6, v19
	v_cmp_lt_i32_e64 s[6:7], v41, v39
	s_waitcnt lgkmcnt(0)
	v_add_f32_e32 v2, v19, v2
	v_cndmask_b32_e64 v3, v38, v41, s[6:7]
	v_lshlrev_b32_e32 v3, 2, v3
	ds_bpermute_b32 v3, v3, v2
	v_cmp_lt_i32_e64 s[6:7], v42, v39
	s_waitcnt lgkmcnt(0)
	v_add_f32_e32 v2, v2, v3
	v_cndmask_b32_e64 v4, v38, v42, s[6:7]
	v_lshlrev_b32_e32 v4, 2, v4
	ds_bpermute_b32 v3, v4, v2
	s_and_saveexec_b64 s[40:41], vcc
	s_cbranch_execz .LBB172_11
; %bb.17:                               ;   in Loop: Header=BB172_13 Depth=1
	v_add_u32_e32 v4, v36, v34
	v_cvt_f32_i32_e32 v4, v4
	s_waitcnt lgkmcnt(0)
	v_add_f32_e32 v2, v2, v3
	v_add_u32_e32 v5, v30, v34
	v_cmp_gt_i32_e64 s[6:7], s33, v5
	v_mul_f32_e32 v3, s44, v4
	v_cndmask_b32_e64 v3, 0, v3, s[2:3]
	v_fmac_f32_e32 v3, s37, v2
	v_cndmask_b32_e64 v2, 0, v3, s[6:7]
	ds_write_b32 v35, v2
	v_max_f32_e32 v2, v32, v32
	v_max_f32_e32 v2, v2, v3
	v_cndmask_b32_e64 v32, v32, v2, s[6:7]
	s_branch .LBB172_11
.LBB172_18:
	s_or_b64 exec, exec, s[38:39]
.LBB172_19:
	s_or_b64 exec, exec, s[14:15]
	v_mbcnt_hi_u32_b32 v2, -1, v29
	s_waitcnt lgkmcnt(0)
	v_and_b32_e32 v3, 64, v2
	v_add_u32_e32 v3, 64, v3
	v_xor_b32_e32 v4, 32, v2
	v_cmp_lt_i32_e32 vcc, v4, v3
	v_xor_b32_e32 v7, 16, v2
	v_max_f32_e32 v6, v32, v32
	v_cndmask_b32_e32 v4, v2, v4, vcc
	v_lshlrev_b32_e32 v5, 2, v4
	ds_bpermute_b32 v4, v5, v32
	v_cmp_lt_i32_e32 vcc, v7, v3
	v_xor_b32_e32 v8, 8, v2
	v_and_b32_e32 v51, 63, v0
	s_waitcnt lgkmcnt(0)
	v_max_f32_e32 v4, v4, v4
	v_max_f32_e32 v4, v6, v4
	v_cndmask_b32_e32 v6, v2, v7, vcc
	v_lshlrev_b32_e32 v7, 2, v6
	ds_bpermute_b32 v6, v7, v4
	v_cmp_lt_i32_e32 vcc, v8, v3
	s_waitcnt lgkmcnt(0)
	v_max_f32_e32 v6, v6, v6
	v_max_f32_e32 v6, v4, v6
	v_cndmask_b32_e32 v4, v2, v8, vcc
	v_lshlrev_b32_e32 v8, 2, v4
	ds_bpermute_b32 v9, v8, v6
	v_cmp_eq_u32_e32 vcc, 0, v51
	v_lshlrev_b32_e32 v4, 2, v1
	s_and_saveexec_b64 s[2:3], vcc
	s_cbranch_execz .LBB172_21
; %bb.20:
	s_waitcnt lgkmcnt(0)
	v_max_f32_e32 v9, v9, v9
	v_max_f32_e32 v6, v6, v6
	;; [unrolled: 1-line block ×3, first 2 shown]
	ds_write_b32 v4, v6 offset:1024
.LBB172_21:
	s_or_b64 exec, exec, s[2:3]
	v_cmp_gt_u32_e64 s[2:3], 2, v51
	s_waitcnt lgkmcnt(0)
	v_mov_b32_e32 v9, 0xff7fffff
	v_lshlrev_b32_e32 v6, 2, v51
	s_barrier
	s_and_saveexec_b64 s[6:7], s[2:3]
	s_cbranch_execz .LBB172_23
; %bb.22:
	ds_read_b32 v9, v6 offset:1024
.LBB172_23:
	s_or_b64 exec, exec, s[6:7]
	v_xor_b32_e32 v10, 1, v2
	v_cmp_lt_i32_e64 s[6:7], v10, v3
	v_lshlrev_b32_e32 v11, 2, v2
	s_nop 0
	v_cndmask_b32_e64 v10, v2, v10, s[6:7]
	v_lshlrev_b32_e32 v52, 2, v10
	s_waitcnt lgkmcnt(0)
	ds_bpermute_b32 v10, v52, v9
	v_max_f32_e32 v9, v9, v9
	s_lshl_b32 s6, s20, 3
	s_min_i32 s37, s6, s33
	v_cmp_gt_i32_e64 s[6:7], s37, v0
	s_waitcnt lgkmcnt(0)
	v_max_f32_e32 v10, v10, v10
	v_max_f32_e32 v10, v9, v10
	v_and_b32_e32 v9, 0x100, v11
	ds_bpermute_b32 v11, v9, v10
	v_mov_b32_e32 v10, 0
	s_and_saveexec_b64 s[14:15], s[6:7]
	s_cbranch_execz .LBB172_27
; %bb.24:
	v_mov_b32_e32 v10, 0x410
	v_lshl_add_u32 v12, v0, 2, v10
	s_mov_b64 s[16:17], 0
	v_mov_b32_e32 v10, 0
	v_mov_b32_e32 v13, v0
.LBB172_25:                             ; =>This Inner Loop Header: Depth=1
	ds_read_b32 v14, v12
	v_add_u32_e32 v13, 0x80, v13
	v_cmp_le_i32_e64 s[8:9], s37, v13
	s_or_b64 s[16:17], s[8:9], s[16:17]
	s_waitcnt lgkmcnt(0)
	v_sub_f32_e32 v14, v14, v11
	v_mul_f32_e32 v14, 0x3fb8aa3b, v14
	v_exp_f32_e32 v14, v14
	ds_write_b32 v12, v14
	v_add_f32_e32 v10, v10, v14
	v_add_u32_e32 v12, 0x200, v12
	s_andn2_b64 exec, exec, s[16:17]
	s_cbranch_execnz .LBB172_25
; %bb.26:
	s_or_b64 exec, exec, s[16:17]
.LBB172_27:
	s_or_b64 exec, exec, s[14:15]
	ds_bpermute_b32 v5, v5, v10
	s_waitcnt lgkmcnt(0)
	v_add_f32_e32 v5, v10, v5
	ds_bpermute_b32 v7, v7, v5
	s_waitcnt lgkmcnt(0)
	v_add_f32_e32 v5, v5, v7
	ds_bpermute_b32 v7, v8, v5
	v_xor_b32_e32 v8, 4, v2
	v_cmp_lt_i32_e64 s[8:9], v8, v3
	s_waitcnt lgkmcnt(0)
	v_add_f32_e32 v5, v5, v7
	v_cndmask_b32_e64 v8, v2, v8, s[8:9]
	v_lshlrev_b32_e32 v8, 2, v8
	ds_bpermute_b32 v7, v8, v5
	v_xor_b32_e32 v8, 2, v2
	v_cmp_lt_i32_e64 s[8:9], v8, v3
	s_waitcnt lgkmcnt(0)
	v_add_f32_e32 v3, v5, v7
	v_cndmask_b32_e64 v2, v2, v8, s[8:9]
	v_lshlrev_b32_e32 v2, 2, v2
	ds_bpermute_b32 v2, v2, v3
	s_waitcnt lgkmcnt(0)
	v_add_f32_e32 v2, v3, v2
	ds_bpermute_b32 v3, v52, v2
	s_waitcnt lgkmcnt(0)
	v_add_f32_e32 v2, v2, v3
	s_and_saveexec_b64 s[8:9], vcc
	s_cbranch_execz .LBB172_29
; %bb.28:
	ds_write_b32 v4, v2 offset:1032
.LBB172_29:
	s_or_b64 exec, exec, s[8:9]
	s_waitcnt lgkmcnt(0)
	s_barrier
	s_and_saveexec_b64 s[8:9], s[2:3]
	s_cbranch_execz .LBB172_31
; %bb.30:
	ds_read_b32 v2, v6 offset:1032
.LBB172_31:
	s_or_b64 exec, exec, s[8:9]
	s_waitcnt lgkmcnt(0)
	ds_bpermute_b32 v3, v52, v2
	s_waitcnt lgkmcnt(0)
	v_add_f32_e32 v2, v2, v3
	ds_bpermute_b32 v2, v9, v2
	s_and_saveexec_b64 s[2:3], s[6:7]
	s_cbranch_execz .LBB172_44
; %bb.32:
	s_waitcnt lgkmcnt(0)
	v_add_f32_e32 v2, 0x358637bd, v2
	v_div_scale_f32 v3, s[6:7], v2, v2, 1.0
	v_rcp_f32_e32 v4, v3
	v_div_scale_f32 v5, vcc, 1.0, v2, 1.0
	s_movk_i32 s6, 0x7f
	v_fma_f32 v6, -v3, v4, 1.0
	v_fmac_f32_e32 v4, v6, v4
	v_mul_f32_e32 v6, v5, v4
	v_fma_f32 v7, -v3, v6, v5
	v_fmac_f32_e32 v6, v7, v4
	v_fma_f32 v3, -v3, v6, v5
	v_div_fmas_f32 v3, v3, v4, v6
	v_xad_u32 v4, v0, -1, s37
	v_div_fixup_f32 v2, v3, v2, 1.0
	v_cmp_lt_u32_e32 vcc, s6, v4
	s_mov_b64 s[8:9], -1
	v_mov_b32_e32 v3, v0
	s_and_saveexec_b64 s[6:7], vcc
	s_cbranch_execz .LBB172_41
; %bb.33:
	v_lshrrev_b32_e32 v4, 7, v4
	v_add_u32_e32 v6, -1, v4
	v_lshrrev_b32_e32 v5, 1, v6
	v_mov_b32_e32 v3, v2
	v_add_u32_e32 v5, 1, v5
	v_cmp_lt_u32_e32 vcc, 13, v6
	v_mov_b32_e32 v8, 0
	s_and_saveexec_b64 s[8:9], vcc
	s_cbranch_execz .LBB172_37
; %bb.34:
	v_mov_b32_e32 v7, 0x410
	v_and_b32_e32 v6, -8, v5
	v_lshl_add_u32 v7, v0, 2, v7
	s_mov_b32 s16, 0
	s_mov_b64 s[14:15], 0
.LBB172_35:                             ; =>This Inner Loop Header: Depth=1
	ds_read2st64_b32 v[8:9], v7 offset1:2
	ds_read2st64_b32 v[10:11], v7 offset0:4 offset1:6
	ds_read2st64_b32 v[12:13], v7 offset0:8 offset1:10
	;; [unrolled: 1-line block ×3, first 2 shown]
	v_add_u32_e32 v6, -8, v6
	s_waitcnt lgkmcnt(3)
	v_pk_mul_f32 v[8:9], v[2:3], v[8:9]
	s_waitcnt lgkmcnt(2)
	v_pk_mul_f32 v[10:11], v[2:3], v[10:11]
	ds_write2st64_b32 v7, v8, v9 offset1:2
	ds_write2st64_b32 v7, v10, v11 offset0:4 offset1:6
	ds_read2st64_b32 v[10:11], v7 offset0:16 offset1:18
	s_waitcnt lgkmcnt(4)
	v_pk_mul_f32 v[8:9], v[2:3], v[12:13]
	ds_write2st64_b32 v7, v8, v9 offset0:8 offset1:10
	s_waitcnt lgkmcnt(4)
	v_pk_mul_f32 v[8:9], v[2:3], v[14:15]
	ds_write2st64_b32 v7, v8, v9 offset0:12 offset1:14
	ds_read2st64_b32 v[8:9], v7 offset0:20 offset1:22
	s_waitcnt lgkmcnt(3)
	v_pk_mul_f32 v[10:11], v[2:3], v[10:11]
	ds_read2st64_b32 v[12:13], v7 offset0:24 offset1:26
	ds_write2st64_b32 v7, v10, v11 offset0:16 offset1:18
	ds_read2st64_b32 v[10:11], v7 offset0:28 offset1:30
	s_waitcnt lgkmcnt(3)
	v_pk_mul_f32 v[8:9], v[2:3], v[8:9]
	ds_write2st64_b32 v7, v8, v9 offset0:20 offset1:22
	s_waitcnt lgkmcnt(3)
	v_pk_mul_f32 v[8:9], v[2:3], v[12:13]
	ds_write2st64_b32 v7, v8, v9 offset0:24 offset1:26
	s_waitcnt lgkmcnt(2)
	v_pk_mul_f32 v[8:9], v[2:3], v[10:11]
	s_add_i32 s16, s16, 16
	v_cmp_eq_u32_e32 vcc, 0, v6
	ds_write2st64_b32 v7, v8, v9 offset0:28 offset1:30
	v_add_u32_e32 v7, 0x2000, v7
	s_or_b64 s[14:15], vcc, s[14:15]
	v_mov_b32_e32 v8, s16
	s_andn2_b64 exec, exec, s[14:15]
	s_cbranch_execnz .LBB172_35
; %bb.36:
	s_or_b64 exec, exec, s[14:15]
.LBB172_37:
	s_or_b64 exec, exec, s[8:9]
	v_and_b32_e32 v5, 7, v5
	v_cmp_ne_u32_e32 vcc, 0, v5
	s_and_saveexec_b64 s[8:9], vcc
	s_cbranch_execz .LBB172_40
; %bb.38:
	v_lshlrev_b32_e32 v6, 9, v8
	v_lshlrev_b32_e32 v7, 2, v0
	s_movk_i32 s14, 0x410
	v_add3_u32 v6, v6, v7, s14
	s_mov_b64 s[14:15], 0
.LBB172_39:                             ; =>This Inner Loop Header: Depth=1
	ds_read2st64_b32 v[8:9], v6 offset1:2
	v_add_u32_e32 v5, -1, v5
	v_cmp_eq_u32_e32 vcc, 0, v5
	s_or_b64 s[14:15], vcc, s[14:15]
	s_waitcnt lgkmcnt(0)
	v_pk_mul_f32 v[8:9], v[2:3], v[8:9]
	ds_write2st64_b32 v6, v8, v9 offset1:2
	v_add_u32_e32 v6, 0x400, v6
	s_andn2_b64 exec, exec, s[14:15]
	s_cbranch_execnz .LBB172_39
.LBB172_40:
	s_or_b64 exec, exec, s[8:9]
	v_add_u32_e32 v4, 1, v4
	v_and_b32_e32 v5, 0x3fffffe, v4
	v_cmp_ne_u32_e32 vcc, v4, v5
	v_lshl_add_u32 v3, v5, 7, v0
	s_orn2_b64 s[8:9], vcc, exec
.LBB172_41:
	s_or_b64 exec, exec, s[6:7]
	s_and_b64 exec, exec, s[8:9]
	s_cbranch_execz .LBB172_44
; %bb.42:
	v_mov_b32_e32 v4, 0x410
	v_lshl_add_u32 v4, v3, 2, v4
	s_mov_b64 s[6:7], 0
.LBB172_43:                             ; =>This Inner Loop Header: Depth=1
	ds_read_b32 v5, v4
	v_add_u32_e32 v3, 0x80, v3
	v_cmp_le_i32_e32 vcc, s37, v3
	s_or_b64 s[6:7], vcc, s[6:7]
	s_waitcnt lgkmcnt(0)
	v_mul_f32_e32 v5, v2, v5
	ds_write_b32 v4, v5
	v_add_u32_e32 v4, 0x200, v4
	s_andn2_b64 exec, exec, s[6:7]
	s_cbranch_execnz .LBB172_43
.LBB172_44:
	s_or_b64 exec, exec, s[2:3]
	s_mov_b32 s8, 0
	v_mov_b32_e32 v9, 0
	v_and_b32_e32 v53, 1, v0
	v_mov_b32_e32 v8, 0
	v_mov_b32_e32 v7, 0
	;; [unrolled: 1-line block ×6, first 2 shown]
	s_waitcnt lgkmcnt(0)
	v_mov_b32_e32 v2, 0
	s_barrier
	s_and_saveexec_b64 s[2:3], s[0:1]
	s_cbranch_execz .LBB172_66
; %bb.45:
	s_sub_i32 s16, s12, s21
	s_ashr_i32 s1, s43, 31
	s_add_u32 s0, s10, s43
	s_addc_u32 s1, s11, s1
	s_abs_i32 s17, s22
	v_cvt_f32_u32_e32 v2, s17
	v_lshlrev_b32_e32 v4, 2, v0
	v_mov_b32_e32 v3, 0
	s_add_i32 s22, s20, -1
	v_rcp_iflag_f32_e32 v2, v2
	s_sub_i32 s6, 0, s17
	v_and_b32_e32 v54, 4, v4
	s_mov_b32 s9, s8
	v_mul_f32_e32 v2, 0x4f7ffffe, v2
	v_cvt_u32_f32_e32 v5, v2
	v_and_b32_e32 v2, 0xfc, v4
	v_lshl_add_u64 v[14:15], s[0:1], 0, v[2:3]
	s_lshl_b64 s[0:1], s[34:35], 2
	s_add_u32 s0, s30, s0
	v_and_b32_e32 v2, 60, v28
	s_addc_u32 s1, s31, s1
	v_mul_lo_u32 v4, s6, v5
	v_lshl_add_u64 v[16:17], s[0:1], 0, v[2:3]
	v_lshlrev_b32_e32 v2, 4, v53
	v_mul_hi_u32 v4, v5, v4
	v_lshl_or_b32 v2, v1, 5, v2
	s_mov_b32 s21, s13
	v_add_u32_e32 v55, v5, v4
	v_add_u32_e32 v56, 0x410, v2
	s_mov_b32 s10, s8
	s_mov_b32 s11, s8
	;; [unrolled: 1-line block ×6, first 2 shown]
	v_mov_b64_e32 v[2:3], s[8:9]
	s_mov_b64 s[6:7], 0
	v_mov_b64_e32 v[4:5], s[10:11]
	v_mov_b64_e32 v[6:7], s[12:13]
	;; [unrolled: 1-line block ×3, first 2 shown]
	s_branch .LBB172_48
.LBB172_46:                             ;   in Loop: Header=BB172_48 Depth=1
	s_or_b64 exec, exec, s[0:1]
	v_mul_f32_e32 v21, v11, v21
	v_fmac_f32_e32 v21, v10, v20
	v_fmac_f32_e32 v21, v12, v18
	v_mul_f32_e32 v18, v11, v27
	v_fmac_f32_e32 v18, v10, v26
	v_fmac_f32_e32 v18, v12, v24
	v_fmac_f32_e32 v18, v13, v25
	v_add_f32_e32 v3, v3, v18
	v_mul_f32_e32 v18, v11, v31
	v_fmac_f32_e32 v18, v10, v30
	v_fmac_f32_e32 v18, v12, v28
	v_fmac_f32_e32 v18, v13, v29
	v_add_f32_e32 v4, v4, v18
	;; [unrolled: 5-line block ×5, first 2 shown]
	v_mul_f32_e32 v18, v11, v47
	v_mul_f32_e32 v11, v11, v49
	v_fmac_f32_e32 v18, v10, v46
	v_fmac_f32_e32 v11, v10, v48
	;; [unrolled: 1-line block ×7, first 2 shown]
	v_add_f32_e32 v2, v2, v21
	v_add_f32_e32 v8, v8, v18
	;; [unrolled: 1-line block ×3, first 2 shown]
.LBB172_47:                             ;   in Loop: Header=BB172_48 Depth=1
	s_or_b64 exec, exec, s[8:9]
	v_add_u32_e32 v1, 2, v1
	v_cmp_le_i32_e32 vcc, s20, v1
	v_lshl_add_u64 v[16:17], v[16:17], 0, 8
	v_add_u32_e32 v50, 16, v50
	s_or_b64 s[6:7], vcc, s[6:7]
	v_add_u32_e32 v56, 64, v56
	s_andn2_b64 exec, exec, s[6:7]
	s_cbranch_execz .LBB172_65
.LBB172_48:                             ; =>This Inner Loop Header: Depth=1
	v_mul_hi_u32 v10, v50, s42
	v_mul_lo_u32 v11, v10, s29
	v_sub_u32_e32 v11, v50, v11
	v_add_u32_e32 v12, 1, v10
	v_cmp_le_u32_e32 vcc, s29, v11
	s_nop 1
	v_cndmask_b32_e32 v10, v10, v12, vcc
	v_subrev_u32_e32 v12, s29, v11
	v_cndmask_b32_e32 v11, v11, v12, vcc
	v_add_u32_e32 v12, 1, v10
	v_cmp_le_u32_e32 vcc, s29, v11
	s_nop 1
	v_cndmask_b32_e32 v10, v10, v12, vcc
	v_xor_b32_e32 v10, s23, v10
	v_subrev_u32_e32 v10, s23, v10
	v_add_u32_e32 v11, s36, v10
	v_sub_u32_e32 v13, 0, v11
	v_ashrrev_i32_e32 v12, 31, v11
	v_max_i32_e32 v11, v11, v13
	v_mul_hi_u32 v13, v11, v55
	v_mul_lo_u32 v13, v13, s17
	v_sub_u32_e32 v11, v11, v13
	v_subrev_u32_e32 v13, s17, v11
	v_cmp_le_u32_e32 vcc, s17, v11
	v_cmp_lt_i32_e64 s[0:1], s16, v10
	s_nop 0
	v_cndmask_b32_e32 v11, v11, v13, vcc
	v_subrev_u32_e32 v13, s17, v11
	v_cmp_le_u32_e32 vcc, s17, v11
	s_nop 1
	v_cndmask_b32_e32 v11, v11, v13, vcc
	v_xor_b32_e32 v11, v11, v12
	v_sub_u32_e32 v11, v11, v12
	v_cmp_eq_u32_e32 vcc, 0, v11
	s_or_b64 s[0:1], vcc, s[0:1]
	s_and_saveexec_b64 s[8:9], s[0:1]
	s_cbranch_execz .LBB172_47
; %bb.49:                               ;   in Loop: Header=BB172_48 Depth=1
	global_load_dword v10, v[16:17], off
	s_load_dword s10, s[18:19], 0x0
	v_add_u32_e32 v57, v54, v50
	v_cmp_eq_u32_e32 vcc, s22, v1
	v_add_u32_e32 v59, 1, v57
	v_add_u32_e32 v58, 2, v57
	;; [unrolled: 1-line block ×3, first 2 shown]
	s_waitcnt vmcnt(0)
	v_mad_i64_i32 v[22:23], s[0:1], v10, s21, v[14:15]
	global_load_dword v18, v[22:23], off
	ds_read_b128 v[10:13], v56
	s_waitcnt vmcnt(0)
	v_and_b32_e32 v19, 0xffff, v18
	v_lshrrev_b32_e32 v20, 16, v18
	v_cvt_pk_f32_fp8_e32 v[18:19], v19
	v_cvt_pk_f32_fp8_e32 v[24:25], v20
	s_waitcnt lgkmcnt(0)
	v_pk_mul_f32 v[20:21], s[10:11], v[18:19] op_sel_hi:[0,1]
	v_pk_mul_f32 v[18:19], s[10:11], v[24:25] op_sel_hi:[0,1]
	s_and_saveexec_b64 s[12:13], vcc
; %bb.50:                               ;   in Loop: Header=BB172_48 Depth=1
	v_cmp_gt_i32_e64 s[0:1], s33, v57
	s_nop 1
	v_cndmask_b32_e64 v20, 0, v20, s[0:1]
	v_cmp_gt_i32_e64 s[0:1], s33, v59
	s_nop 1
	v_cndmask_b32_e64 v21, 0, v21, s[0:1]
	;; [unrolled: 3-line block ×4, first 2 shown]
; %bb.51:                               ;   in Loop: Header=BB172_48 Depth=1
	s_or_b64 exec, exec, s[12:13]
	global_load_dword v24, v[22:23], off offset:256
	s_mov_b32 s11, s10
	s_waitcnt vmcnt(0)
	v_and_b32_e32 v25, 0xffff, v24
	v_lshrrev_b32_e32 v26, 16, v24
	v_cvt_pk_f32_fp8_e32 v[24:25], v25
	v_cvt_pk_f32_fp8_e32 v[28:29], v26
	v_pk_mul_f32 v[26:27], s[10:11], v[24:25]
	v_pk_mul_f32 v[24:25], s[10:11], v[28:29]
	s_and_saveexec_b64 s[12:13], vcc
; %bb.52:                               ;   in Loop: Header=BB172_48 Depth=1
	v_cmp_gt_i32_e64 s[0:1], s33, v57
	s_nop 1
	v_cndmask_b32_e64 v26, 0, v26, s[0:1]
	v_cmp_gt_i32_e64 s[0:1], s33, v59
	s_nop 1
	v_cndmask_b32_e64 v27, 0, v27, s[0:1]
	v_cmp_gt_i32_e64 s[0:1], s33, v58
	s_nop 1
	v_cndmask_b32_e64 v24, 0, v24, s[0:1]
	v_cmp_gt_i32_e64 s[0:1], s33, v60
	s_nop 1
	v_cndmask_b32_e64 v25, 0, v25, s[0:1]
; %bb.53:                               ;   in Loop: Header=BB172_48 Depth=1
	s_or_b64 exec, exec, s[12:13]
	global_load_dword v28, v[22:23], off offset:512
	s_waitcnt vmcnt(0)
	v_and_b32_e32 v29, 0xffff, v28
	v_lshrrev_b32_e32 v30, 16, v28
	v_cvt_pk_f32_fp8_e32 v[28:29], v29
	v_cvt_pk_f32_fp8_e32 v[32:33], v30
	v_pk_mul_f32 v[30:31], s[10:11], v[28:29]
	v_pk_mul_f32 v[28:29], s[10:11], v[32:33]
	s_and_saveexec_b64 s[12:13], vcc
; %bb.54:                               ;   in Loop: Header=BB172_48 Depth=1
	v_cmp_gt_i32_e64 s[0:1], s33, v57
	s_nop 1
	v_cndmask_b32_e64 v30, 0, v30, s[0:1]
	v_cmp_gt_i32_e64 s[0:1], s33, v59
	s_nop 1
	v_cndmask_b32_e64 v31, 0, v31, s[0:1]
	v_cmp_gt_i32_e64 s[0:1], s33, v58
	s_nop 1
	v_cndmask_b32_e64 v28, 0, v28, s[0:1]
	v_cmp_gt_i32_e64 s[0:1], s33, v60
	s_nop 1
	v_cndmask_b32_e64 v29, 0, v29, s[0:1]
; %bb.55:                               ;   in Loop: Header=BB172_48 Depth=1
	s_or_b64 exec, exec, s[12:13]
	global_load_dword v32, v[22:23], off offset:768
	;; [unrolled: 24-line block ×6, first 2 shown]
	s_waitcnt vmcnt(0)
	v_and_b32_e32 v23, 0xffff, v22
	v_lshrrev_b32_e32 v48, 16, v22
	v_cvt_pk_f32_fp8_e32 v[22:23], v23
	v_cvt_pk_f32_fp8_e32 v[62:63], v48
	v_pk_mul_f32 v[48:49], s[10:11], v[22:23]
	v_pk_mul_f32 v[22:23], s[10:11], v[62:63]
	s_and_saveexec_b64 s[0:1], vcc
	s_cbranch_execz .LBB172_46
; %bb.64:                               ;   in Loop: Header=BB172_48 Depth=1
	v_cmp_gt_i32_e32 vcc, s33, v57
	s_nop 1
	v_cndmask_b32_e32 v48, 0, v48, vcc
	v_cmp_gt_i32_e32 vcc, s33, v59
	s_nop 1
	v_cndmask_b32_e32 v49, 0, v49, vcc
	;; [unrolled: 3-line block ×4, first 2 shown]
	s_branch .LBB172_46
.LBB172_65:
	s_or_b64 exec, exec, s[6:7]
.LBB172_66:
	s_or_b64 exec, exec, s[2:3]
	ds_bpermute_b32 v10, v52, v2
	ds_bpermute_b32 v11, v52, v3
	;; [unrolled: 1-line block ×8, first 2 shown]
	v_and_b32_e32 v1, 0x3c1, v0
	s_waitcnt lgkmcnt(6)
	v_pk_add_f32 v[10:11], v[2:3], v[10:11]
	s_waitcnt lgkmcnt(4)
	v_pk_add_f32 v[4:5], v[4:5], v[12:13]
	;; [unrolled: 2-line block ×4, first 2 shown]
	v_cmp_eq_u32_e32 vcc, 64, v1
	s_barrier
	s_and_saveexec_b64 s[0:1], vcc
	s_cbranch_execz .LBB172_68
; %bb.67:
	v_mov_b32_e32 v8, 0x410
	v_lshl_add_u32 v8, v51, 1, v8
	ds_write2_b32 v8, v10, v11 offset1:32
	ds_write2_b32 v8, v4, v5 offset0:64 offset1:96
	ds_write2_b32 v8, v2, v3 offset0:128 offset1:160
	;; [unrolled: 1-line block ×3, first 2 shown]
.LBB172_68:
	s_or_b64 exec, exec, s[0:1]
	v_cmp_gt_u32_e32 vcc, 64, v0
	s_waitcnt lgkmcnt(0)
	s_barrier
	s_and_saveexec_b64 s[0:1], vcc
	s_cbranch_execz .LBB172_79
; %bb.69:
	v_cmp_eq_u32_e32 vcc, 0, v53
	v_lshrrev_b32_e32 v8, 1, v0
	s_and_saveexec_b64 s[2:3], vcc
	s_cbranch_execnz .LBB172_82
; %bb.70:
	s_or_b64 exec, exec, s[2:3]
	s_and_saveexec_b64 s[2:3], vcc
	s_cbranch_execnz .LBB172_83
.LBB172_71:
	s_or_b64 exec, exec, s[2:3]
	s_and_saveexec_b64 s[2:3], vcc
	s_cbranch_execnz .LBB172_84
.LBB172_72:
	s_or_b64 exec, exec, s[2:3]
	s_and_saveexec_b64 s[2:3], vcc
	s_cbranch_execnz .LBB172_85
.LBB172_73:
	s_or_b64 exec, exec, s[2:3]
	s_and_saveexec_b64 s[2:3], vcc
	s_cbranch_execnz .LBB172_86
.LBB172_74:
	s_or_b64 exec, exec, s[2:3]
	s_and_saveexec_b64 s[2:3], vcc
	s_cbranch_execnz .LBB172_87
.LBB172_75:
	s_or_b64 exec, exec, s[2:3]
	s_and_saveexec_b64 s[2:3], vcc
	s_cbranch_execnz .LBB172_88
.LBB172_76:
	s_or_b64 exec, exec, s[2:3]
	s_and_saveexec_b64 s[2:3], vcc
	s_cbranch_execz .LBB172_78
.LBB172_77:
	v_mov_b32_e32 v9, 0x410
	v_lshl_add_u32 v8, v8, 2, v9
	ds_read_b32 v8, v8 offset:896
	s_waitcnt lgkmcnt(0)
	v_add_f32_e32 v7, v7, v8
.LBB172_78:
	s_or_b64 exec, exec, s[2:3]
.LBB172_79:
	s_or_b64 exec, exec, s[0:1]
	v_cmp_eq_u32_e32 vcc, 0, v1
	s_barrier
	s_and_saveexec_b64 s[0:1], vcc
	s_cbranch_execz .LBB172_81
; %bb.80:
	s_mul_i32 s0, s24, s25
	s_mul_i32 s0, s0, s5
	s_lshl_b32 s0, s0, 8
	s_ashr_i32 s1, s0, 31
	s_lshl_b64 s[0:1], s[0:1], 2
	s_add_u32 s2, s26, s0
	s_mul_i32 s0, s25, s28
	s_addc_u32 s3, s27, s1
	s_ashr_i32 s1, s0, 31
	s_lshl_b64 s[0:1], s[0:1], 2
	s_add_u32 s2, s2, s0
	s_addc_u32 s3, s3, s1
	s_lshl_b32 s0, s4, 8
	s_ashr_i32 s1, s0, 31
	s_lshl_b64 s[0:1], s[0:1], 2
	s_add_u32 s0, s2, s0
	s_addc_u32 s1, s3, s1
	v_lshlrev_b32_e32 v0, 1, v0
	global_store_dword v0, v10, s[0:1]
	global_store_dword v0, v11, s[0:1] offset:128
	global_store_dword v0, v4, s[0:1] offset:256
	;; [unrolled: 1-line block ×7, first 2 shown]
.LBB172_81:
	s_endpgm
.LBB172_82:
	v_mov_b32_e32 v9, 0x410
	v_lshl_add_u32 v9, v8, 2, v9
	ds_read_b32 v9, v9
	s_waitcnt lgkmcnt(0)
	v_add_f32_e32 v10, v10, v9
	s_or_b64 exec, exec, s[2:3]
	s_and_saveexec_b64 s[2:3], vcc
	s_cbranch_execz .LBB172_71
.LBB172_83:
	v_mov_b32_e32 v9, 0x410
	v_lshl_add_u32 v9, v8, 2, v9
	ds_read_b32 v9, v9 offset:128
	s_waitcnt lgkmcnt(0)
	v_add_f32_e32 v11, v11, v9
	s_or_b64 exec, exec, s[2:3]
	s_and_saveexec_b64 s[2:3], vcc
	s_cbranch_execz .LBB172_72
.LBB172_84:
	v_mov_b32_e32 v9, 0x410
	v_lshl_add_u32 v9, v8, 2, v9
	ds_read_b32 v9, v9 offset:256
	s_waitcnt lgkmcnt(0)
	v_add_f32_e32 v4, v4, v9
	s_or_b64 exec, exec, s[2:3]
	s_and_saveexec_b64 s[2:3], vcc
	s_cbranch_execz .LBB172_73
.LBB172_85:
	v_mov_b32_e32 v9, 0x410
	v_lshl_add_u32 v9, v8, 2, v9
	ds_read_b32 v9, v9 offset:384
	s_waitcnt lgkmcnt(0)
	v_add_f32_e32 v5, v5, v9
	s_or_b64 exec, exec, s[2:3]
	s_and_saveexec_b64 s[2:3], vcc
	s_cbranch_execz .LBB172_74
.LBB172_86:
	v_mov_b32_e32 v9, 0x410
	v_lshl_add_u32 v9, v8, 2, v9
	ds_read_b32 v9, v9 offset:512
	s_waitcnt lgkmcnt(0)
	v_add_f32_e32 v2, v2, v9
	s_or_b64 exec, exec, s[2:3]
	s_and_saveexec_b64 s[2:3], vcc
	s_cbranch_execz .LBB172_75
.LBB172_87:
	v_mov_b32_e32 v9, 0x410
	v_lshl_add_u32 v9, v8, 2, v9
	ds_read_b32 v9, v9 offset:640
	s_waitcnt lgkmcnt(0)
	v_add_f32_e32 v3, v3, v9
	s_or_b64 exec, exec, s[2:3]
	s_and_saveexec_b64 s[2:3], vcc
	s_cbranch_execz .LBB172_76
.LBB172_88:
	v_mov_b32_e32 v9, 0x410
	v_lshl_add_u32 v9, v8, 2, v9
	ds_read_b32 v9, v9 offset:768
	s_waitcnt lgkmcnt(0)
	v_add_f32_e32 v6, v6, v9
	s_or_b64 exec, exec, s[2:3]
	s_and_saveexec_b64 s[2:3], vcc
	s_cbranch_execnz .LBB172_77
	s_branch .LBB172_78
	.section	.rodata,"a",@progbits
	.p2align	6, 0x0
	.amdhsa_kernel _ZN4vllm25paged_attention_v1_kernelIfhLi256ELi8ELi128ELNS_18Fp8KVCacheDataTypeE1ELb1EEEvPT_PKS2_PKT0_S8_ifPKiSA_iPKfiiiSC_SC_iiiii
		.amdhsa_group_segment_fixed_size 1040
		.amdhsa_private_segment_fixed_size 0
		.amdhsa_kernarg_size 384
		.amdhsa_user_sgpr_count 2
		.amdhsa_user_sgpr_dispatch_ptr 0
		.amdhsa_user_sgpr_queue_ptr 0
		.amdhsa_user_sgpr_kernarg_segment_ptr 1
		.amdhsa_user_sgpr_dispatch_id 0
		.amdhsa_user_sgpr_kernarg_preload_length 0
		.amdhsa_user_sgpr_kernarg_preload_offset 0
		.amdhsa_user_sgpr_private_segment_size 0
		.amdhsa_uses_dynamic_stack 0
		.amdhsa_enable_private_segment 0
		.amdhsa_system_sgpr_workgroup_id_x 1
		.amdhsa_system_sgpr_workgroup_id_y 1
		.amdhsa_system_sgpr_workgroup_id_z 1
		.amdhsa_system_sgpr_workgroup_info 0
		.amdhsa_system_vgpr_workitem_id 0
		.amdhsa_next_free_vgpr 89
		.amdhsa_next_free_sgpr 48
		.amdhsa_accum_offset 92
		.amdhsa_reserve_vcc 1
		.amdhsa_float_round_mode_32 0
		.amdhsa_float_round_mode_16_64 0
		.amdhsa_float_denorm_mode_32 3
		.amdhsa_float_denorm_mode_16_64 3
		.amdhsa_dx10_clamp 1
		.amdhsa_ieee_mode 1
		.amdhsa_fp16_overflow 0
		.amdhsa_tg_split 0
		.amdhsa_exception_fp_ieee_invalid_op 0
		.amdhsa_exception_fp_denorm_src 0
		.amdhsa_exception_fp_ieee_div_zero 0
		.amdhsa_exception_fp_ieee_overflow 0
		.amdhsa_exception_fp_ieee_underflow 0
		.amdhsa_exception_fp_ieee_inexact 0
		.amdhsa_exception_int_div_zero 0
	.end_amdhsa_kernel
	.section	.text._ZN4vllm25paged_attention_v1_kernelIfhLi256ELi8ELi128ELNS_18Fp8KVCacheDataTypeE1ELb1EEEvPT_PKS2_PKT0_S8_ifPKiSA_iPKfiiiSC_SC_iiiii,"axG",@progbits,_ZN4vllm25paged_attention_v1_kernelIfhLi256ELi8ELi128ELNS_18Fp8KVCacheDataTypeE1ELb1EEEvPT_PKS2_PKT0_S8_ifPKiSA_iPKfiiiSC_SC_iiiii,comdat
.Lfunc_end172:
	.size	_ZN4vllm25paged_attention_v1_kernelIfhLi256ELi8ELi128ELNS_18Fp8KVCacheDataTypeE1ELb1EEEvPT_PKS2_PKT0_S8_ifPKiSA_iPKfiiiSC_SC_iiiii, .Lfunc_end172-_ZN4vllm25paged_attention_v1_kernelIfhLi256ELi8ELi128ELNS_18Fp8KVCacheDataTypeE1ELb1EEEvPT_PKS2_PKT0_S8_ifPKiSA_iPKfiiiSC_SC_iiiii
                                        ; -- End function
	.section	.AMDGPU.csdata,"",@progbits
; Kernel info:
; codeLenInByte = 6472
; NumSgprs: 54
; NumVgprs: 89
; NumAgprs: 0
; TotalNumVgprs: 89
; ScratchSize: 0
; MemoryBound: 0
; FloatMode: 240
; IeeeMode: 1
; LDSByteSize: 1040 bytes/workgroup (compile time only)
; SGPRBlocks: 6
; VGPRBlocks: 11
; NumSGPRsForWavesPerEU: 54
; NumVGPRsForWavesPerEU: 89
; AccumOffset: 92
; Occupancy: 5
; WaveLimiterHint : 1
; COMPUTE_PGM_RSRC2:SCRATCH_EN: 0
; COMPUTE_PGM_RSRC2:USER_SGPR: 2
; COMPUTE_PGM_RSRC2:TRAP_HANDLER: 0
; COMPUTE_PGM_RSRC2:TGID_X_EN: 1
; COMPUTE_PGM_RSRC2:TGID_Y_EN: 1
; COMPUTE_PGM_RSRC2:TGID_Z_EN: 1
; COMPUTE_PGM_RSRC2:TIDIG_COMP_CNT: 0
; COMPUTE_PGM_RSRC3_GFX90A:ACCUM_OFFSET: 22
; COMPUTE_PGM_RSRC3_GFX90A:TG_SPLIT: 0
	.section	.text._ZN4vllm25paged_attention_v1_kernelIfhLi32ELi8ELi128ELNS_18Fp8KVCacheDataTypeE1ELb0EEEvPT_PKS2_PKT0_S8_ifPKiSA_iPKfiiiSC_SC_iiiii,"axG",@progbits,_ZN4vllm25paged_attention_v1_kernelIfhLi32ELi8ELi128ELNS_18Fp8KVCacheDataTypeE1ELb0EEEvPT_PKS2_PKT0_S8_ifPKiSA_iPKfiiiSC_SC_iiiii,comdat
	.protected	_ZN4vllm25paged_attention_v1_kernelIfhLi32ELi8ELi128ELNS_18Fp8KVCacheDataTypeE1ELb0EEEvPT_PKS2_PKT0_S8_ifPKiSA_iPKfiiiSC_SC_iiiii ; -- Begin function _ZN4vllm25paged_attention_v1_kernelIfhLi32ELi8ELi128ELNS_18Fp8KVCacheDataTypeE1ELb0EEEvPT_PKS2_PKT0_S8_ifPKiSA_iPKfiiiSC_SC_iiiii
	.globl	_ZN4vllm25paged_attention_v1_kernelIfhLi32ELi8ELi128ELNS_18Fp8KVCacheDataTypeE1ELb0EEEvPT_PKS2_PKT0_S8_ifPKiSA_iPKfiiiSC_SC_iiiii
	.p2align	8
	.type	_ZN4vllm25paged_attention_v1_kernelIfhLi32ELi8ELi128ELNS_18Fp8KVCacheDataTypeE1ELb0EEEvPT_PKS2_PKT0_S8_ifPKiSA_iPKfiiiSC_SC_iiiii,@function
_ZN4vllm25paged_attention_v1_kernelIfhLi32ELi8ELi128ELNS_18Fp8KVCacheDataTypeE1ELb0EEEvPT_PKS2_PKT0_S8_ifPKiSA_iPKfiiiSC_SC_iiiii: ; @_ZN4vllm25paged_attention_v1_kernelIfhLi32ELi8ELi128ELNS_18Fp8KVCacheDataTypeE1ELb0EEEvPT_PKS2_PKT0_S8_ifPKiSA_iPKfiiiSC_SC_iiiii
; %bb.0:
	s_load_dword s5, s[0:1], 0x80
	s_load_dwordx2 s[6:7], s[0:1], 0x30
	s_load_dwordx2 s[28:29], s[0:1], 0x20
	s_mov_b32 s16, s3
	s_ashr_i32 s17, s3, 31
	s_lshl_b64 s[8:9], s[16:17], 2
	s_waitcnt lgkmcnt(0)
	s_add_u32 s6, s6, s8
	s_addc_u32 s7, s7, s9
	s_abs_i32 s3, s28
	v_cvt_f32_u32_e32 v1, s3
	s_sub_i32 s10, 0, s3
	s_abs_i32 s9, s5
	s_xor_b32 s8, s5, s28
	v_rcp_iflag_f32_e32 v1, v1
	s_ashr_i32 s8, s8, 31
	s_mov_b32 s28, 0
	v_mul_f32_e32 v1, 0x4f7ffffe, v1
	v_cvt_u32_f32_e32 v1, v1
	s_nop 0
	v_readfirstlane_b32 s11, v1
	s_mul_i32 s10, s10, s11
	s_mul_hi_u32 s10, s11, s10
	s_add_i32 s11, s11, s10
	s_mul_hi_u32 s10, s9, s11
	s_mul_i32 s11, s10, s3
	s_sub_i32 s9, s9, s11
	s_add_i32 s11, s10, 1
	s_sub_i32 s12, s9, s3
	s_cmp_ge_u32 s9, s3
	s_cselect_b32 s10, s11, s10
	s_cselect_b32 s9, s12, s9
	s_add_i32 s11, s10, 1
	s_cmp_ge_u32 s9, s3
	s_cselect_b32 s3, s11, s10
	s_xor_b32 s3, s3, s8
	s_sub_i32 s12, s3, s8
	s_abs_i32 s10, s12
	v_cvt_f32_u32_e32 v1, s10
	s_load_dwordx2 s[8:9], s[0:1], 0x40
	s_sub_i32 s3, 0, s10
	s_abs_i32 s11, s2
	v_rcp_iflag_f32_e32 v1, v1
	s_nop 0
	v_mul_f32_e32 v1, 0x4f7ffffe, v1
	v_cvt_u32_f32_e32 v1, v1
	s_nop 0
	v_readfirstlane_b32 s13, v1
	s_mul_i32 s3, s3, s13
	s_mul_hi_u32 s3, s13, s3
	s_add_i32 s13, s13, s3
	s_waitcnt lgkmcnt(0)
	s_cmp_eq_u64 s[8:9], 0
	s_mul_hi_u32 s20, s11, s13
	s_cbranch_scc1 .LBB173_2
; %bb.1:
	s_ashr_i32 s3, s2, 31
	s_lshl_b64 s[14:15], s[2:3], 2
	s_add_u32 s8, s8, s14
	s_addc_u32 s9, s9, s15
	s_load_dword s28, s[8:9], 0x0
.LBB173_2:
	s_load_dword s17, s[6:7], 0x0
	s_ashr_i32 s7, s12, 31
	s_load_dwordx4 s[12:15], s[0:1], 0x48
	s_ashr_i32 s6, s2, 31
	v_and_b32_e32 v6, 7, v0
	s_lshl_b32 s18, s2, 5
	v_cmp_gt_u32_e32 vcc, 32, v0
	v_lshlrev_b32_e32 v12, 2, v0
	s_and_saveexec_b64 s[2:3], vcc
	s_cbranch_execz .LBB173_4
; %bb.3:
	s_load_dwordx2 s[8:9], s[0:1], 0x8
	s_waitcnt lgkmcnt(0)
	s_mul_i32 s22, s16, s12
	s_ashr_i32 s23, s22, 31
	s_lshl_b64 s[22:23], s[22:23], 2
	v_lshrrev_b32_e32 v2, 1, v0
	s_add_u32 s12, s8, s22
	s_addc_u32 s15, s9, s23
	s_ashr_i32 s19, s18, 31
	s_lshl_b64 s[8:9], s[18:19], 2
	s_add_u32 s8, s12, s8
	s_addc_u32 s9, s15, s9
	global_load_dword v1, v12, s[8:9]
	v_and_b32_e32 v2, 0x1fc, v2
	v_lshl_add_u32 v2, v6, 4, v2
	s_waitcnt vmcnt(0)
	ds_write_b32 v2, v1
.LBB173_4:
	s_or_b64 exec, exec, s[2:3]
	s_waitcnt lgkmcnt(0)
	s_add_i32 s3, s17, 7
	s_ashr_i32 s8, s3, 31
	s_lshr_b32 s8, s8, 29
	s_add_i32 s3, s3, s8
	s_ashr_i32 s19, s3, 3
	s_xor_b32 s3, s6, s7
	s_mul_i32 s6, s20, s10
	s_sub_i32 s6, s11, s6
	s_add_i32 s7, s20, 1
	s_sub_i32 s8, s6, s10
	s_load_dwordx2 s[22:23], s[0:1], 0x28
	s_load_dword s2, s[0:1], 0x38
	s_cmp_ge_u32 s6, s10
	s_cselect_b32 s7, s7, s20
	s_cselect_b32 s6, s8, s6
	s_add_i32 s8, s7, 1
	s_cmp_ge_u32 s6, s10
	s_cselect_b32 s6, s8, s7
	v_lshrrev_b32_e32 v1, 6, v0
	s_xor_b32 s6, s6, s3
	s_waitcnt lgkmcnt(0)
	s_mul_i32 s24, s16, s2
	s_sub_i32 s33, s6, s3
	s_ashr_i32 s25, s24, 31
	v_cmp_gt_i32_e64 s[2:3], s19, v1
	v_cmp_le_i32_e32 vcc, s19, v1
	v_mbcnt_lo_u32_b32 v7, -1, 0
	s_barrier
	s_waitcnt lgkmcnt(0)
                                        ; implicit-def: $sgpr15
                                        ; implicit-def: $vgpr14
                                        ; implicit-def: $vgpr15
	s_and_saveexec_b64 s[6:7], vcc
	s_xor_b64 s[6:7], exec, s[6:7]
; %bb.5:
	v_mbcnt_hi_u32_b32 v14, -1, v7
	v_and_b32_e32 v2, 64, v14
	v_add_u32_e32 v15, 64, v2
	s_mov_b32 s15, 0xff7fffff
                                        ; implicit-def: $vgpr6
                                        ; implicit-def: $vgpr7
; %bb.6:
	s_or_saveexec_b64 s[30:31], s[6:7]
	s_load_dwordx2 s[20:21], s[0:1], 0x0
	s_load_dwordx2 s[26:27], s[0:1], 0x18
	s_load_dword s12, s[0:1], 0x88
	s_load_dwordx4 s[8:11], s[0:1], 0x58
	v_mov_b32_e32 v16, s15
	s_mul_i32 s33, s33, s14
	v_lshrrev_b32_e32 v13, 4, v0
	s_xor_b64 exec, exec, s[30:31]
	s_cbranch_execz .LBB173_12
; %bb.7:
	v_mbcnt_hi_u32_b32 v14, -1, v7
	s_load_dwordx2 s[0:1], s[0:1], 0x10
	v_and_b32_e32 v7, 64, v14
	v_add_u32_e32 v15, 64, v7
	v_xor_b32_e32 v7, 4, v14
	v_cmp_lt_i32_e32 vcc, v7, v15
	s_ashr_i32 s6, s33, 31
	v_bfe_u32 v16, v0, 3, 3
	v_cndmask_b32_e32 v7, v14, v7, vcc
	v_lshlrev_b32_e32 v17, 2, v7
	v_xor_b32_e32 v7, 2, v14
	s_waitcnt lgkmcnt(0)
	s_add_u32 s0, s0, s33
	v_lshlrev_b32_e32 v2, 4, v6
	v_cmp_lt_i32_e32 vcc, v7, v15
	v_lshlrev_b32_e32 v10, 4, v16
	s_addc_u32 s1, s1, s6
	v_mov_b32_e32 v11, 0
	ds_read_b128 v[2:5], v2
	v_cndmask_b32_e32 v7, v14, v7, vcc
	s_load_dword s35, s[8:9], 0x0
	v_lshl_add_u64 v[8:9], s[0:1], 0, v[10:11]
	v_lshlrev_b32_e32 v18, 2, v7
	v_xor_b32_e32 v7, 1, v14
	s_sub_i32 s36, 1, s17
	v_lshlrev_b32_e32 v10, 2, v16
	s_lshl_b64 s[6:7], s[24:25], 2
	v_cmp_lt_i32_e32 vcc, v7, v15
	v_lshl_or_b32 v10, v1, 5, v10
	s_add_u32 s6, s22, s6
	v_cndmask_b32_e32 v7, v14, v7, vcc
	v_add_u32_e32 v21, 0x90, v10
	v_and_b32_e32 v10, 60, v13
	s_addc_u32 s7, s23, s7
	s_mov_b32 s34, s13
	v_lshlrev_b32_e32 v19, 2, v7
	v_cmp_eq_u32_e32 vcc, 0, v6
	v_cmp_neq_f32_e64 s[0:1], s28, 0
	v_mov_b32_e32 v7, v11
	v_lshl_or_b32 v20, v1, 3, v16
	v_lshl_add_u64 v[10:11], s[6:7], 0, v[10:11]
	s_mov_b64 s[8:9], 0
	v_mov_b32_e32 v16, 0xff7fffff
	v_mov_b32_e32 v22, v1
	s_branch .LBB173_9
.LBB173_8:                              ;   in Loop: Header=BB173_9 Depth=1
	s_or_b64 exec, exec, s[14:15]
	v_add_u32_e32 v22, 2, v22
	v_cmp_le_i32_e64 s[6:7], s19, v22
	v_add_u32_e32 v20, 16, v20
	v_add_u32_e32 v21, 64, v21
	s_or_b64 s[8:9], s[6:7], s[8:9]
	v_lshl_add_u64 v[10:11], v[10:11], 0, 8
	s_andn2_b64 exec, exec, s[8:9]
	s_cbranch_execz .LBB173_11
.LBB173_9:                              ; =>This Inner Loop Header: Depth=1
	global_load_dword v23, v[10:11], off
	s_waitcnt vmcnt(0) lgkmcnt(0)
	v_mad_i64_i32 v[24:25], s[6:7], v23, s34, v[8:9]
	v_lshl_add_u64 v[24:25], v[24:25], 0, v[6:7]
	global_load_ubyte v23, v[24:25], off
	global_load_ubyte v26, v[24:25], off offset:8
	global_load_ubyte v27, v[24:25], off offset:128
	global_load_ubyte v28, v[24:25], off offset:136
	s_waitcnt vmcnt(3)
	v_cvt_f32_fp8_sdwa v23, v23 src0_sel:BYTE_0
	s_waitcnt vmcnt(2)
	v_cvt_f32_fp8_sdwa v24, v26 src0_sel:BYTE_0
	;; [unrolled: 2-line block ×4, first 2 shown]
	s_waitcnt lgkmcnt(0)
	v_mul_f32_e32 v23, s35, v23
	v_mul_f32_e32 v24, s35, v24
	v_mul_f32_e32 v24, v3, v24
	v_mul_f32_e32 v25, s35, v25
	v_fmac_f32_e32 v24, v2, v23
	v_mul_f32_e32 v26, s35, v26
	v_fmac_f32_e32 v24, v4, v25
	v_fmac_f32_e32 v24, v5, v26
	ds_bpermute_b32 v23, v17, v24
	s_waitcnt lgkmcnt(0)
	v_add_f32_e32 v23, v24, v23
	ds_bpermute_b32 v24, v18, v23
	s_waitcnt lgkmcnt(0)
	v_add_f32_e32 v23, v23, v24
	ds_bpermute_b32 v24, v19, v23
	s_and_saveexec_b64 s[14:15], vcc
	s_cbranch_execz .LBB173_8
; %bb.10:                               ;   in Loop: Header=BB173_9 Depth=1
	v_add_u32_e32 v25, s36, v20
	v_cvt_f32_i32_e32 v25, v25
	s_waitcnt lgkmcnt(0)
	v_add_f32_e32 v23, v23, v24
	v_cmp_gt_i32_e64 s[6:7], s17, v20
	v_max_f32_e32 v24, v16, v16
	v_mul_f32_e32 v25, s28, v25
	v_cndmask_b32_e64 v25, 0, v25, s[0:1]
	v_fmac_f32_e32 v25, s29, v23
	v_cndmask_b32_e64 v23, 0, v25, s[6:7]
	ds_write_b32 v21, v23
	v_max_f32_e32 v23, v24, v25
	v_cndmask_b32_e64 v16, v16, v23, s[6:7]
	s_branch .LBB173_8
.LBB173_11:
	s_or_b64 exec, exec, s[8:9]
.LBB173_12:
	s_or_b64 exec, exec, s[30:31]
	v_xor_b32_e32 v2, 32, v14
	v_cmp_lt_i32_e32 vcc, v2, v15
	v_xor_b32_e32 v5, 16, v14
	v_max_f32_e32 v4, v16, v16
	v_cndmask_b32_e32 v2, v14, v2, vcc
	v_lshlrev_b32_e32 v3, 2, v2
	ds_bpermute_b32 v2, v3, v16
	v_cmp_lt_i32_e32 vcc, v5, v15
	v_xor_b32_e32 v6, 8, v14
	v_and_b32_e32 v16, 63, v0
	s_waitcnt lgkmcnt(0)
	v_max_f32_e32 v2, v2, v2
	v_max_f32_e32 v2, v4, v2
	v_cndmask_b32_e32 v4, v14, v5, vcc
	v_lshlrev_b32_e32 v5, 2, v4
	ds_bpermute_b32 v4, v5, v2
	v_cmp_lt_i32_e32 vcc, v6, v15
	s_waitcnt lgkmcnt(0)
	v_max_f32_e32 v4, v4, v4
	v_max_f32_e32 v4, v2, v4
	v_cndmask_b32_e32 v2, v14, v6, vcc
	v_lshlrev_b32_e32 v6, 2, v2
	ds_bpermute_b32 v7, v6, v4
	v_cmp_eq_u32_e32 vcc, 0, v16
	v_lshlrev_b32_e32 v2, 2, v1
	s_and_saveexec_b64 s[0:1], vcc
	s_cbranch_execz .LBB173_14
; %bb.13:
	s_waitcnt lgkmcnt(0)
	v_max_f32_e32 v7, v7, v7
	v_max_f32_e32 v4, v4, v4
	;; [unrolled: 1-line block ×3, first 2 shown]
	ds_write_b32 v2, v4 offset:128
.LBB173_14:
	s_or_b64 exec, exec, s[0:1]
	v_cmp_gt_u32_e64 s[0:1], 2, v16
	s_waitcnt lgkmcnt(0)
	v_mov_b32_e32 v7, 0xff7fffff
	v_lshlrev_b32_e32 v4, 2, v16
	s_barrier
	s_and_saveexec_b64 s[6:7], s[0:1]
	s_cbranch_execz .LBB173_16
; %bb.15:
	ds_read_b32 v7, v4 offset:128
.LBB173_16:
	s_or_b64 exec, exec, s[6:7]
	v_xor_b32_e32 v8, 1, v14
	v_cmp_lt_i32_e64 s[6:7], v8, v15
	v_lshlrev_b32_e32 v9, 2, v14
	s_nop 0
	v_cndmask_b32_e64 v8, v14, v8, s[6:7]
	v_lshlrev_b32_e32 v17, 2, v8
	s_waitcnt lgkmcnt(0)
	ds_bpermute_b32 v8, v17, v7
	v_max_f32_e32 v7, v7, v7
	s_lshl_b32 s6, s19, 3
	s_min_i32 s30, s6, s17
	v_cmp_gt_i32_e64 s[6:7], s30, v0
	s_waitcnt lgkmcnt(0)
	v_max_f32_e32 v8, v8, v8
	v_max_f32_e32 v8, v7, v8
	v_and_b32_e32 v7, 0xffffff00, v9
	ds_bpermute_b32 v9, v7, v8
	v_mov_b32_e32 v8, 0
	s_and_saveexec_b64 s[14:15], s[6:7]
	s_cbranch_execz .LBB173_20
; %bb.17:
	v_mov_b32_e32 v8, 0x90
	v_lshl_add_u32 v10, v0, 2, v8
	s_mov_b64 s[28:29], 0
	v_mov_b32_e32 v8, 0
	v_mov_b32_e32 v11, v0
.LBB173_18:                             ; =>This Inner Loop Header: Depth=1
	ds_read_b32 v18, v10
	v_add_u32_e32 v11, 0x80, v11
	v_cmp_le_i32_e64 s[8:9], s30, v11
	s_or_b64 s[28:29], s[8:9], s[28:29]
	s_waitcnt lgkmcnt(0)
	v_sub_f32_e32 v18, v18, v9
	v_mul_f32_e32 v18, 0x3fb8aa3b, v18
	v_exp_f32_e32 v18, v18
	ds_write_b32 v10, v18
	v_add_f32_e32 v8, v8, v18
	v_add_u32_e32 v10, 0x200, v10
	s_andn2_b64 exec, exec, s[28:29]
	s_cbranch_execnz .LBB173_18
; %bb.19:
	s_or_b64 exec, exec, s[28:29]
.LBB173_20:
	s_or_b64 exec, exec, s[14:15]
	ds_bpermute_b32 v3, v3, v8
	s_waitcnt lgkmcnt(0)
	v_add_f32_e32 v3, v8, v3
	ds_bpermute_b32 v5, v5, v3
	s_waitcnt lgkmcnt(0)
	v_add_f32_e32 v3, v3, v5
	ds_bpermute_b32 v5, v6, v3
	v_xor_b32_e32 v6, 4, v14
	v_cmp_lt_i32_e64 s[8:9], v6, v15
	s_waitcnt lgkmcnt(0)
	v_add_f32_e32 v3, v3, v5
	v_cndmask_b32_e64 v6, v14, v6, s[8:9]
	v_lshlrev_b32_e32 v6, 2, v6
	ds_bpermute_b32 v5, v6, v3
	v_xor_b32_e32 v6, 2, v14
	v_cmp_lt_i32_e64 s[8:9], v6, v15
	s_waitcnt lgkmcnt(0)
	v_add_f32_e32 v3, v3, v5
	v_cndmask_b32_e64 v6, v14, v6, s[8:9]
	v_lshlrev_b32_e32 v5, 2, v6
	ds_bpermute_b32 v5, v5, v3
	s_waitcnt lgkmcnt(0)
	v_add_f32_e32 v3, v3, v5
	ds_bpermute_b32 v5, v17, v3
	s_waitcnt lgkmcnt(0)
	v_add_f32_e32 v3, v3, v5
	s_and_saveexec_b64 s[8:9], vcc
	s_cbranch_execz .LBB173_22
; %bb.21:
	ds_write_b32 v2, v3 offset:136
.LBB173_22:
	s_or_b64 exec, exec, s[8:9]
	s_waitcnt lgkmcnt(0)
	s_barrier
	s_and_saveexec_b64 s[8:9], s[0:1]
	s_cbranch_execz .LBB173_24
; %bb.23:
	ds_read_b32 v3, v4 offset:136
.LBB173_24:
	s_or_b64 exec, exec, s[8:9]
	s_waitcnt lgkmcnt(0)
	ds_bpermute_b32 v2, v17, v3
	s_waitcnt lgkmcnt(0)
	v_add_f32_e32 v2, v3, v2
	ds_bpermute_b32 v2, v7, v2
	s_and_saveexec_b64 s[0:1], s[6:7]
	s_cbranch_execz .LBB173_37
; %bb.25:
	s_waitcnt lgkmcnt(0)
	v_add_f32_e32 v2, 0x358637bd, v2
	v_div_scale_f32 v3, s[6:7], v2, v2, 1.0
	v_rcp_f32_e32 v4, v3
	v_div_scale_f32 v5, vcc, 1.0, v2, 1.0
	s_movk_i32 s6, 0x7f
	v_fma_f32 v6, -v3, v4, 1.0
	v_fmac_f32_e32 v4, v6, v4
	v_mul_f32_e32 v6, v5, v4
	v_fma_f32 v7, -v3, v6, v5
	v_fmac_f32_e32 v6, v7, v4
	v_fma_f32 v3, -v3, v6, v5
	v_div_fmas_f32 v3, v3, v4, v6
	v_xad_u32 v4, v0, -1, s30
	v_div_fixup_f32 v2, v3, v2, 1.0
	v_cmp_lt_u32_e32 vcc, s6, v4
	s_mov_b64 s[8:9], -1
	v_mov_b32_e32 v3, v0
	s_and_saveexec_b64 s[6:7], vcc
	s_cbranch_execz .LBB173_34
; %bb.26:
	v_lshrrev_b32_e32 v4, 7, v4
	v_add_u32_e32 v6, -1, v4
	v_lshrrev_b32_e32 v5, 1, v6
	v_mov_b32_e32 v3, v2
	v_add_u32_e32 v5, 1, v5
	v_cmp_lt_u32_e32 vcc, 13, v6
	v_mov_b32_e32 v8, 0
	s_and_saveexec_b64 s[8:9], vcc
	s_cbranch_execz .LBB173_30
; %bb.27:
	v_mov_b32_e32 v7, 0x90
	v_and_b32_e32 v6, -8, v5
	v_lshl_add_u32 v7, v0, 2, v7
	s_mov_b32 s28, 0
	s_mov_b64 s[14:15], 0
.LBB173_28:                             ; =>This Inner Loop Header: Depth=1
	ds_read2st64_b32 v[8:9], v7 offset1:2
	ds_read2st64_b32 v[10:11], v7 offset0:4 offset1:6
	ds_read2st64_b32 v[14:15], v7 offset0:8 offset1:10
	;; [unrolled: 1-line block ×3, first 2 shown]
	v_add_u32_e32 v6, -8, v6
	s_waitcnt lgkmcnt(3)
	v_pk_mul_f32 v[8:9], v[2:3], v[8:9]
	s_waitcnt lgkmcnt(2)
	v_pk_mul_f32 v[10:11], v[2:3], v[10:11]
	ds_write2st64_b32 v7, v8, v9 offset1:2
	ds_write2st64_b32 v7, v10, v11 offset0:4 offset1:6
	ds_read2st64_b32 v[10:11], v7 offset0:16 offset1:18
	s_waitcnt lgkmcnt(4)
	v_pk_mul_f32 v[8:9], v[2:3], v[14:15]
	ds_write2st64_b32 v7, v8, v9 offset0:8 offset1:10
	s_waitcnt lgkmcnt(4)
	v_pk_mul_f32 v[8:9], v[2:3], v[18:19]
	ds_write2st64_b32 v7, v8, v9 offset0:12 offset1:14
	ds_read2st64_b32 v[8:9], v7 offset0:20 offset1:22
	s_waitcnt lgkmcnt(3)
	v_pk_mul_f32 v[10:11], v[2:3], v[10:11]
	ds_read2st64_b32 v[14:15], v7 offset0:24 offset1:26
	ds_write2st64_b32 v7, v10, v11 offset0:16 offset1:18
	ds_read2st64_b32 v[10:11], v7 offset0:28 offset1:30
	s_waitcnt lgkmcnt(3)
	v_pk_mul_f32 v[8:9], v[2:3], v[8:9]
	ds_write2st64_b32 v7, v8, v9 offset0:20 offset1:22
	s_waitcnt lgkmcnt(3)
	v_pk_mul_f32 v[8:9], v[2:3], v[14:15]
	ds_write2st64_b32 v7, v8, v9 offset0:24 offset1:26
	s_waitcnt lgkmcnt(2)
	v_pk_mul_f32 v[8:9], v[2:3], v[10:11]
	s_add_i32 s28, s28, 16
	v_cmp_eq_u32_e32 vcc, 0, v6
	ds_write2st64_b32 v7, v8, v9 offset0:28 offset1:30
	v_add_u32_e32 v7, 0x2000, v7
	s_or_b64 s[14:15], vcc, s[14:15]
	v_mov_b32_e32 v8, s28
	s_andn2_b64 exec, exec, s[14:15]
	s_cbranch_execnz .LBB173_28
; %bb.29:
	s_or_b64 exec, exec, s[14:15]
.LBB173_30:
	s_or_b64 exec, exec, s[8:9]
	v_and_b32_e32 v5, 7, v5
	v_cmp_ne_u32_e32 vcc, 0, v5
	s_and_saveexec_b64 s[8:9], vcc
	s_cbranch_execz .LBB173_33
; %bb.31:
	v_lshlrev_b32_e32 v6, 9, v8
	s_movk_i32 s14, 0x90
	v_add3_u32 v6, v6, v12, s14
	s_mov_b64 s[14:15], 0
.LBB173_32:                             ; =>This Inner Loop Header: Depth=1
	ds_read2st64_b32 v[8:9], v6 offset1:2
	v_add_u32_e32 v5, -1, v5
	v_cmp_eq_u32_e32 vcc, 0, v5
	s_or_b64 s[14:15], vcc, s[14:15]
	s_waitcnt lgkmcnt(0)
	v_pk_mul_f32 v[8:9], v[2:3], v[8:9]
	ds_write2st64_b32 v6, v8, v9 offset1:2
	v_add_u32_e32 v6, 0x400, v6
	s_andn2_b64 exec, exec, s[14:15]
	s_cbranch_execnz .LBB173_32
.LBB173_33:
	s_or_b64 exec, exec, s[8:9]
	v_add_u32_e32 v4, 1, v4
	v_and_b32_e32 v5, 0x3fffffe, v4
	v_cmp_ne_u32_e32 vcc, v4, v5
	v_lshl_add_u32 v3, v5, 7, v0
	s_orn2_b64 s[8:9], vcc, exec
.LBB173_34:
	s_or_b64 exec, exec, s[6:7]
	s_and_b64 exec, exec, s[8:9]
	s_cbranch_execz .LBB173_37
; %bb.35:
	v_mov_b32_e32 v4, 0x90
	v_lshl_add_u32 v4, v3, 2, v4
	s_mov_b64 s[6:7], 0
.LBB173_36:                             ; =>This Inner Loop Header: Depth=1
	ds_read_b32 v5, v4
	v_add_u32_e32 v3, 0x80, v3
	v_cmp_le_i32_e32 vcc, s30, v3
	s_or_b64 s[6:7], vcc, s[6:7]
	s_waitcnt lgkmcnt(0)
	v_mul_f32_e32 v5, v2, v5
	ds_write_b32 v4, v5
	v_add_u32_e32 v4, 0x200, v4
	s_andn2_b64 exec, exec, s[6:7]
	s_cbranch_execnz .LBB173_36
.LBB173_37:
	s_or_b64 exec, exec, s[0:1]
	v_mov_b32_e32 v7, 0
	s_waitcnt lgkmcnt(0)
	s_barrier
	s_and_saveexec_b64 s[0:1], s[2:3]
	s_cbranch_execz .LBB173_43
; %bb.38:
	s_ashr_i32 s3, s33, 31
	s_add_u32 s6, s26, s33
	s_load_dword s2, s[10:11], 0x0
	v_and_b32_e32 v2, 4, v12
	s_addc_u32 s7, s27, s3
	v_and_b32_e32 v6, 0xfc, v12
	v_mov_b32_e32 v7, 0
	v_lshlrev_b32_e32 v3, 3, v1
	v_lshl_add_u64 v[8:9], s[6:7], 0, v[6:7]
	s_add_i32 s10, s19, -1
	v_or3_b32 v18, v3, v2, 3
	v_and_b32_e32 v2, 1, v0
	s_lshl_b64 s[6:7], s[24:25], 2
	v_lshlrev_b32_e32 v2, 4, v2
	s_add_u32 s6, s22, s6
	v_lshl_or_b32 v2, v1, 5, v2
	v_and_b32_e32 v6, 60, v13
	s_addc_u32 s7, s23, s7
	s_waitcnt lgkmcnt(0)
	s_mov_b32 s3, s2
	v_add_u32_e32 v19, 0x90, v2
	v_lshl_add_u64 v[10:11], s[6:7], 0, v[6:7]
	s_mov_b64 s[6:7], 0
	s_branch .LBB173_40
.LBB173_39:                             ;   in Loop: Header=BB173_40 Depth=1
	s_or_b64 exec, exec, s[8:9]
	s_waitcnt lgkmcnt(0)
	v_mul_f32_e32 v3, v3, v15
	v_fmac_f32_e32 v3, v2, v14
	v_fmac_f32_e32 v3, v4, v12
	v_add_u32_e32 v1, 2, v1
	v_fmac_f32_e32 v3, v5, v13
	v_cmp_le_i32_e32 vcc, s19, v1
	v_add_f32_e32 v7, v7, v3
	v_add_u32_e32 v18, 16, v18
	v_add_u32_e32 v19, 64, v19
	s_or_b64 s[6:7], vcc, s[6:7]
	v_lshl_add_u64 v[10:11], v[10:11], 0, 8
	s_andn2_b64 exec, exec, s[6:7]
	s_cbranch_execz .LBB173_42
.LBB173_40:                             ; =>This Inner Loop Header: Depth=1
	global_load_dword v2, v[10:11], off
	v_cmp_eq_u32_e32 vcc, s10, v1
	s_waitcnt vmcnt(0)
	v_mad_i64_i32 v[2:3], s[8:9], v2, s13, v[8:9]
	global_load_dword v2, v[2:3], off
	s_waitcnt vmcnt(0)
	v_and_b32_e32 v3, 0xffff, v2
	v_lshrrev_b32_e32 v2, 16, v2
	v_cvt_pk_f32_fp8_e32 v[12:13], v3
	v_cvt_pk_f32_fp8_e32 v[20:21], v2
	ds_read_b128 v[2:5], v19
	v_pk_mul_f32 v[14:15], s[2:3], v[12:13]
	v_pk_mul_f32 v[12:13], s[2:3], v[20:21]
	s_and_saveexec_b64 s[8:9], vcc
	s_cbranch_execz .LBB173_39
; %bb.41:                               ;   in Loop: Header=BB173_40 Depth=1
	v_add_u32_e32 v6, -3, v18
	v_cmp_gt_i32_e32 vcc, s17, v6
	v_add_u32_e32 v6, -2, v18
	s_nop 0
	v_cndmask_b32_e32 v14, 0, v14, vcc
	v_cmp_gt_i32_e32 vcc, s17, v6
	v_add_u32_e32 v6, -1, v18
	s_nop 0
	v_cndmask_b32_e32 v15, 0, v15, vcc
	v_cmp_gt_i32_e32 vcc, s17, v6
	s_nop 1
	v_cndmask_b32_e32 v12, 0, v12, vcc
	v_cmp_gt_i32_e32 vcc, s17, v18
	s_nop 1
	v_cndmask_b32_e32 v13, 0, v13, vcc
	s_branch .LBB173_39
.LBB173_42:
	s_or_b64 exec, exec, s[6:7]
.LBB173_43:
	s_or_b64 exec, exec, s[0:1]
	ds_bpermute_b32 v1, v17, v7
	v_and_b32_e32 v2, 0x3c1, v0
	v_cmp_eq_u32_e32 vcc, 64, v2
	s_waitcnt lgkmcnt(0)
	s_barrier
	v_add_f32_e32 v1, v7, v1
	s_and_saveexec_b64 s[0:1], vcc
	s_cbranch_execz .LBB173_45
; %bb.44:
	v_mov_b32_e32 v3, 0x90
	v_lshl_add_u32 v3, v16, 1, v3
	ds_write_b32 v3, v1
.LBB173_45:
	s_or_b64 exec, exec, s[0:1]
	v_cmp_eq_u32_e32 vcc, 0, v2
	s_waitcnt lgkmcnt(0)
	s_barrier
	s_and_saveexec_b64 s[0:1], vcc
	s_cbranch_execz .LBB173_47
; %bb.46:
	v_mov_b32_e32 v2, 0x90
	v_lshl_add_u32 v2, v0, 1, v2
	ds_read_b32 v2, v2
	s_waitcnt lgkmcnt(0)
	v_add_f32_e32 v1, v1, v2
.LBB173_47:
	s_or_b64 exec, exec, s[0:1]
	s_barrier
	s_and_saveexec_b64 s[0:1], vcc
	s_cbranch_execz .LBB173_49
; %bb.48:
	s_mul_i32 s0, s16, s12
	s_mul_i32 s0, s0, s5
	s_lshl_b32 s0, s0, 5
	s_ashr_i32 s1, s0, 31
	s_lshl_b64 s[0:1], s[0:1], 2
	s_add_u32 s2, s20, s0
	s_mul_i32 s0, s12, s18
	s_addc_u32 s3, s21, s1
	s_ashr_i32 s1, s0, 31
	s_lshl_b64 s[0:1], s[0:1], 2
	s_add_u32 s2, s2, s0
	s_addc_u32 s3, s3, s1
	s_lshl_b32 s0, s4, 5
	s_ashr_i32 s1, s0, 31
	s_lshl_b64 s[0:1], s[0:1], 2
	s_add_u32 s0, s2, s0
	s_addc_u32 s1, s3, s1
	v_lshlrev_b32_e32 v0, 1, v0
	global_store_dword v0, v1, s[0:1]
.LBB173_49:
	s_endpgm
	.section	.rodata,"a",@progbits
	.p2align	6, 0x0
	.amdhsa_kernel _ZN4vllm25paged_attention_v1_kernelIfhLi32ELi8ELi128ELNS_18Fp8KVCacheDataTypeE1ELb0EEEvPT_PKS2_PKT0_S8_ifPKiSA_iPKfiiiSC_SC_iiiii
		.amdhsa_group_segment_fixed_size 144
		.amdhsa_private_segment_fixed_size 0
		.amdhsa_kernarg_size 384
		.amdhsa_user_sgpr_count 2
		.amdhsa_user_sgpr_dispatch_ptr 0
		.amdhsa_user_sgpr_queue_ptr 0
		.amdhsa_user_sgpr_kernarg_segment_ptr 1
		.amdhsa_user_sgpr_dispatch_id 0
		.amdhsa_user_sgpr_kernarg_preload_length 0
		.amdhsa_user_sgpr_kernarg_preload_offset 0
		.amdhsa_user_sgpr_private_segment_size 0
		.amdhsa_uses_dynamic_stack 0
		.amdhsa_enable_private_segment 0
		.amdhsa_system_sgpr_workgroup_id_x 1
		.amdhsa_system_sgpr_workgroup_id_y 1
		.amdhsa_system_sgpr_workgroup_id_z 1
		.amdhsa_system_sgpr_workgroup_info 0
		.amdhsa_system_vgpr_workitem_id 0
		.amdhsa_next_free_vgpr 29
		.amdhsa_next_free_sgpr 37
		.amdhsa_accum_offset 32
		.amdhsa_reserve_vcc 1
		.amdhsa_float_round_mode_32 0
		.amdhsa_float_round_mode_16_64 0
		.amdhsa_float_denorm_mode_32 3
		.amdhsa_float_denorm_mode_16_64 3
		.amdhsa_dx10_clamp 1
		.amdhsa_ieee_mode 1
		.amdhsa_fp16_overflow 0
		.amdhsa_tg_split 0
		.amdhsa_exception_fp_ieee_invalid_op 0
		.amdhsa_exception_fp_denorm_src 0
		.amdhsa_exception_fp_ieee_div_zero 0
		.amdhsa_exception_fp_ieee_overflow 0
		.amdhsa_exception_fp_ieee_underflow 0
		.amdhsa_exception_fp_ieee_inexact 0
		.amdhsa_exception_int_div_zero 0
	.end_amdhsa_kernel
	.section	.text._ZN4vllm25paged_attention_v1_kernelIfhLi32ELi8ELi128ELNS_18Fp8KVCacheDataTypeE1ELb0EEEvPT_PKS2_PKT0_S8_ifPKiSA_iPKfiiiSC_SC_iiiii,"axG",@progbits,_ZN4vllm25paged_attention_v1_kernelIfhLi32ELi8ELi128ELNS_18Fp8KVCacheDataTypeE1ELb0EEEvPT_PKS2_PKT0_S8_ifPKiSA_iPKfiiiSC_SC_iiiii,comdat
.Lfunc_end173:
	.size	_ZN4vllm25paged_attention_v1_kernelIfhLi32ELi8ELi128ELNS_18Fp8KVCacheDataTypeE1ELb0EEEvPT_PKS2_PKT0_S8_ifPKiSA_iPKfiiiSC_SC_iiiii, .Lfunc_end173-_ZN4vllm25paged_attention_v1_kernelIfhLi32ELi8ELi128ELNS_18Fp8KVCacheDataTypeE1ELb0EEEvPT_PKS2_PKT0_S8_ifPKiSA_iPKfiiiSC_SC_iiiii
                                        ; -- End function
	.section	.AMDGPU.csdata,"",@progbits
; Kernel info:
; codeLenInByte = 3072
; NumSgprs: 43
; NumVgprs: 29
; NumAgprs: 0
; TotalNumVgprs: 29
; ScratchSize: 0
; MemoryBound: 0
; FloatMode: 240
; IeeeMode: 1
; LDSByteSize: 144 bytes/workgroup (compile time only)
; SGPRBlocks: 5
; VGPRBlocks: 3
; NumSGPRsForWavesPerEU: 43
; NumVGPRsForWavesPerEU: 29
; AccumOffset: 32
; Occupancy: 8
; WaveLimiterHint : 1
; COMPUTE_PGM_RSRC2:SCRATCH_EN: 0
; COMPUTE_PGM_RSRC2:USER_SGPR: 2
; COMPUTE_PGM_RSRC2:TRAP_HANDLER: 0
; COMPUTE_PGM_RSRC2:TGID_X_EN: 1
; COMPUTE_PGM_RSRC2:TGID_Y_EN: 1
; COMPUTE_PGM_RSRC2:TGID_Z_EN: 1
; COMPUTE_PGM_RSRC2:TIDIG_COMP_CNT: 0
; COMPUTE_PGM_RSRC3_GFX90A:ACCUM_OFFSET: 7
; COMPUTE_PGM_RSRC3_GFX90A:TG_SPLIT: 0
	.section	.text._ZN4vllm25paged_attention_v1_kernelIfhLi64ELi8ELi128ELNS_18Fp8KVCacheDataTypeE1ELb0EEEvPT_PKS2_PKT0_S8_ifPKiSA_iPKfiiiSC_SC_iiiii,"axG",@progbits,_ZN4vllm25paged_attention_v1_kernelIfhLi64ELi8ELi128ELNS_18Fp8KVCacheDataTypeE1ELb0EEEvPT_PKS2_PKT0_S8_ifPKiSA_iPKfiiiSC_SC_iiiii,comdat
	.protected	_ZN4vllm25paged_attention_v1_kernelIfhLi64ELi8ELi128ELNS_18Fp8KVCacheDataTypeE1ELb0EEEvPT_PKS2_PKT0_S8_ifPKiSA_iPKfiiiSC_SC_iiiii ; -- Begin function _ZN4vllm25paged_attention_v1_kernelIfhLi64ELi8ELi128ELNS_18Fp8KVCacheDataTypeE1ELb0EEEvPT_PKS2_PKT0_S8_ifPKiSA_iPKfiiiSC_SC_iiiii
	.globl	_ZN4vllm25paged_attention_v1_kernelIfhLi64ELi8ELi128ELNS_18Fp8KVCacheDataTypeE1ELb0EEEvPT_PKS2_PKT0_S8_ifPKiSA_iPKfiiiSC_SC_iiiii
	.p2align	8
	.type	_ZN4vllm25paged_attention_v1_kernelIfhLi64ELi8ELi128ELNS_18Fp8KVCacheDataTypeE1ELb0EEEvPT_PKS2_PKT0_S8_ifPKiSA_iPKfiiiSC_SC_iiiii,@function
_ZN4vllm25paged_attention_v1_kernelIfhLi64ELi8ELi128ELNS_18Fp8KVCacheDataTypeE1ELb0EEEvPT_PKS2_PKT0_S8_ifPKiSA_iPKfiiiSC_SC_iiiii: ; @_ZN4vllm25paged_attention_v1_kernelIfhLi64ELi8ELi128ELNS_18Fp8KVCacheDataTypeE1ELb0EEEvPT_PKS2_PKT0_S8_ifPKiSA_iPKfiiiSC_SC_iiiii
; %bb.0:
	s_load_dword s5, s[0:1], 0x80
	s_load_dwordx2 s[6:7], s[0:1], 0x30
	s_load_dwordx2 s[10:11], s[0:1], 0x20
	s_mov_b32 s20, s3
	s_ashr_i32 s21, s3, 31
	s_lshl_b64 s[8:9], s[20:21], 2
	s_waitcnt lgkmcnt(0)
	s_add_u32 s6, s6, s8
	s_addc_u32 s7, s7, s9
	s_abs_i32 s3, s10
	v_cvt_f32_u32_e32 v1, s3
	s_xor_b32 s8, s5, s10
	s_sub_i32 s10, 0, s3
	s_abs_i32 s9, s5
	v_rcp_iflag_f32_e32 v1, v1
	s_ashr_i32 s8, s8, 31
	v_mul_f32_e32 v1, 0x4f7ffffe, v1
	v_cvt_u32_f32_e32 v1, v1
	s_nop 0
	v_readfirstlane_b32 s12, v1
	s_mul_i32 s10, s10, s12
	s_mul_hi_u32 s10, s12, s10
	s_add_i32 s12, s12, s10
	s_mul_hi_u32 s10, s9, s12
	s_mul_i32 s12, s10, s3
	s_sub_i32 s9, s9, s12
	s_add_i32 s12, s10, 1
	s_sub_i32 s13, s9, s3
	s_cmp_ge_u32 s9, s3
	s_cselect_b32 s10, s12, s10
	s_cselect_b32 s9, s13, s9
	s_add_i32 s12, s10, 1
	s_cmp_ge_u32 s9, s3
	s_cselect_b32 s3, s12, s10
	s_xor_b32 s3, s3, s8
	s_sub_i32 s12, s3, s8
	s_abs_i32 s16, s12
	v_cvt_f32_u32_e32 v1, s16
	s_load_dwordx2 s[8:9], s[0:1], 0x40
	s_sub_i32 s3, 0, s16
	s_abs_i32 s17, s2
	v_rcp_iflag_f32_e32 v1, v1
	s_mov_b32 s10, 0
	v_mul_f32_e32 v1, 0x4f7ffffe, v1
	v_cvt_u32_f32_e32 v1, v1
	s_nop 0
	v_readfirstlane_b32 s13, v1
	s_mul_i32 s3, s3, s13
	s_mul_hi_u32 s3, s13, s3
	s_add_i32 s13, s13, s3
	s_waitcnt lgkmcnt(0)
	s_cmp_eq_u64 s[8:9], 0
	s_mul_hi_u32 s18, s17, s13
	s_cbranch_scc1 .LBB174_2
; %bb.1:
	s_ashr_i32 s3, s2, 31
	s_lshl_b64 s[14:15], s[2:3], 2
	s_add_u32 s8, s8, s14
	s_addc_u32 s9, s9, s15
	s_load_dword s10, s[8:9], 0x0
.LBB174_2:
	s_load_dword s33, s[6:7], 0x0
	s_ashr_i32 s7, s12, 31
	s_load_dwordx4 s[12:15], s[0:1], 0x48
	s_ashr_i32 s6, s2, 31
	v_and_b32_e32 v10, 7, v0
	s_lshl_b32 s22, s2, 6
	v_cmp_gt_u32_e64 s[8:9], 64, v0
	v_lshlrev_b32_e32 v16, 2, v0
	v_lshrrev_b32_e32 v1, 1, v0
	s_and_saveexec_b64 s[2:3], s[8:9]
	s_cbranch_execz .LBB174_4
; %bb.3:
	s_load_dwordx2 s[24:25], s[0:1], 0x8
	s_waitcnt lgkmcnt(0)
	s_mul_i32 s26, s20, s12
	s_ashr_i32 s27, s26, 31
	s_lshl_b64 s[26:27], s[26:27], 2
	v_and_b32_e32 v3, 0x1fc, v1
	s_add_u32 s12, s24, s26
	s_addc_u32 s15, s25, s27
	s_ashr_i32 s23, s22, 31
	s_lshl_b64 s[24:25], s[22:23], 2
	s_add_u32 s24, s12, s24
	s_addc_u32 s25, s15, s25
	global_load_dword v2, v16, s[24:25]
	v_lshl_add_u32 v3, v10, 5, v3
	s_waitcnt vmcnt(0)
	ds_write_b32 v3, v2
.LBB174_4:
	s_or_b64 exec, exec, s[2:3]
	s_waitcnt lgkmcnt(0)
	s_add_i32 s3, s33, 7
	s_ashr_i32 s12, s3, 31
	s_lshr_b32 s12, s12, 29
	s_add_i32 s3, s3, s12
	s_ashr_i32 s23, s3, 3
	s_xor_b32 s3, s6, s7
	s_mul_i32 s6, s18, s16
	s_sub_i32 s6, s17, s6
	s_add_i32 s7, s18, 1
	s_sub_i32 s12, s6, s16
	s_load_dwordx2 s[26:27], s[0:1], 0x28
	s_load_dword s2, s[0:1], 0x38
	s_cmp_ge_u32 s6, s16
	s_cselect_b32 s7, s7, s18
	s_cselect_b32 s6, s12, s6
	s_add_i32 s12, s7, 1
	s_cmp_ge_u32 s6, s16
	s_cselect_b32 s6, s12, s7
	v_lshrrev_b32_e32 v20, 6, v0
	s_xor_b32 s6, s6, s3
	s_waitcnt lgkmcnt(0)
	s_mul_i32 s28, s20, s2
	s_sub_i32 s12, s6, s3
	s_ashr_i32 s29, s28, 31
	v_cmp_gt_i32_e64 s[2:3], s23, v20
	v_cmp_le_i32_e32 vcc, s23, v20
	v_mbcnt_lo_u32_b32 v11, -1, 0
	s_barrier
	s_waitcnt lgkmcnt(0)
                                        ; implicit-def: $sgpr15
                                        ; implicit-def: $vgpr18
                                        ; implicit-def: $vgpr19
	s_and_saveexec_b64 s[6:7], vcc
	s_xor_b64 s[6:7], exec, s[6:7]
; %bb.5:
	v_mbcnt_hi_u32_b32 v18, -1, v11
	v_and_b32_e32 v2, 64, v18
	v_add_u32_e32 v19, 64, v2
	s_mov_b32 s15, 0xff7fffff
                                        ; implicit-def: $vgpr10
                                        ; implicit-def: $vgpr11
; %bb.6:
	s_or_saveexec_b64 s[34:35], s[6:7]
	s_load_dwordx2 s[24:25], s[0:1], 0x0
	s_load_dwordx2 s[30:31], s[0:1], 0x18
	s_load_dword s21, s[0:1], 0x88
	s_load_dwordx4 s[16:19], s[0:1], 0x58
	v_mov_b32_e32 v21, s15
	s_mul_i32 s12, s12, s14
	v_lshrrev_b32_e32 v17, 4, v0
	s_xor_b64 exec, exec, s[34:35]
	s_cbranch_execz .LBB174_12
; %bb.7:
	v_mbcnt_hi_u32_b32 v18, -1, v11
	s_load_dwordx2 s[0:1], s[0:1], 0x10
	v_and_b32_e32 v11, 64, v18
	v_add_u32_e32 v19, 64, v11
	v_xor_b32_e32 v11, 4, v18
	v_cmp_lt_i32_e32 vcc, v11, v19
	s_ashr_i32 s6, s12, 31
	v_bfe_u32 v21, v0, 3, 3
	v_cndmask_b32_e32 v11, v18, v11, vcc
	v_lshlrev_b32_e32 v22, 2, v11
	v_xor_b32_e32 v11, 2, v18
	s_waitcnt lgkmcnt(0)
	s_add_u32 s0, s0, s12
	v_lshlrev_b32_e32 v6, 5, v10
	v_cmp_lt_i32_e32 vcc, v11, v19
	v_lshlrev_b32_e32 v14, 4, v21
	s_addc_u32 s1, s1, s6
	v_mov_b32_e32 v15, 0
	ds_read_b128 v[2:5], v6
	ds_read_b128 v[6:9], v6 offset:16
	v_cndmask_b32_e32 v11, v18, v11, vcc
	s_load_dword s37, s[16:17], 0x0
	v_lshl_add_u64 v[12:13], s[0:1], 0, v[14:15]
	v_lshlrev_b32_e32 v23, 2, v11
	v_xor_b32_e32 v11, 1, v18
	s_sub_i32 s38, 1, s33
	v_lshlrev_b32_e32 v14, 2, v21
	s_lshl_b64 s[6:7], s[28:29], 2
	v_cmp_lt_i32_e32 vcc, v11, v19
	v_lshl_or_b32 v14, v20, 5, v14
	s_add_u32 s6, s26, s6
	v_cndmask_b32_e32 v11, v18, v11, vcc
	v_add_u32_e32 v26, 0x110, v14
	v_and_b32_e32 v14, 60, v17
	s_addc_u32 s7, s27, s7
	s_mov_b32 s36, s13
	v_lshlrev_b32_e32 v24, 2, v11
	v_cmp_eq_u32_e32 vcc, 0, v10
	v_cmp_neq_f32_e64 s[0:1], s10, 0
	v_mov_b32_e32 v11, v15
	v_lshl_or_b32 v25, v20, 3, v21
	v_lshl_add_u64 v[14:15], s[6:7], 0, v[14:15]
	s_mov_b64 s[14:15], 0
	v_mov_b32_e32 v21, 0xff7fffff
	v_mov_b32_e32 v27, v20
	s_branch .LBB174_9
.LBB174_8:                              ;   in Loop: Header=BB174_9 Depth=1
	s_or_b64 exec, exec, s[16:17]
	v_add_u32_e32 v27, 2, v27
	v_cmp_le_i32_e64 s[6:7], s23, v27
	v_add_u32_e32 v25, 16, v25
	v_add_u32_e32 v26, 64, v26
	s_or_b64 s[14:15], s[6:7], s[14:15]
	v_lshl_add_u64 v[14:15], v[14:15], 0, 8
	s_andn2_b64 exec, exec, s[14:15]
	s_cbranch_execz .LBB174_11
.LBB174_9:                              ; =>This Inner Loop Header: Depth=1
	global_load_dword v28, v[14:15], off
	s_waitcnt vmcnt(0) lgkmcnt(0)
	v_mad_i64_i32 v[28:29], s[6:7], v28, s36, v[12:13]
	v_lshl_add_u64 v[28:29], v[28:29], 0, v[10:11]
	global_load_ubyte v30, v[28:29], off
	global_load_ubyte v31, v[28:29], off offset:8
	global_load_ubyte v32, v[28:29], off offset:128
	;; [unrolled: 1-line block ×7, first 2 shown]
	s_waitcnt vmcnt(7)
	v_cvt_f32_fp8_sdwa v28, v30 src0_sel:BYTE_0
	s_waitcnt vmcnt(6)
	v_cvt_f32_fp8_sdwa v29, v31 src0_sel:BYTE_0
	;; [unrolled: 2-line block ×5, first 2 shown]
	s_waitcnt lgkmcnt(0)
	v_mul_f32_e32 v29, s37, v29
	s_waitcnt vmcnt(2)
	v_cvt_f32_fp8_sdwa v33, v35 src0_sel:BYTE_0
	v_mul_f32_e32 v28, s37, v28
	v_mul_f32_e32 v29, v3, v29
	s_waitcnt vmcnt(1)
	v_cvt_f32_fp8_sdwa v34, v36 src0_sel:BYTE_0
	v_mul_f32_e32 v30, s37, v30
	v_fmac_f32_e32 v29, v2, v28
	s_waitcnt vmcnt(0)
	v_cvt_f32_fp8_sdwa v35, v37 src0_sel:BYTE_0
	v_mul_f32_e32 v31, s37, v31
	v_fmac_f32_e32 v29, v4, v30
	v_mul_f32_e32 v32, s37, v32
	v_fmac_f32_e32 v29, v5, v31
	;; [unrolled: 2-line block ×5, first 2 shown]
	v_fmac_f32_e32 v29, v9, v35
	ds_bpermute_b32 v28, v22, v29
	s_waitcnt lgkmcnt(0)
	v_add_f32_e32 v28, v29, v28
	ds_bpermute_b32 v29, v23, v28
	s_waitcnt lgkmcnt(0)
	v_add_f32_e32 v28, v28, v29
	ds_bpermute_b32 v29, v24, v28
	s_and_saveexec_b64 s[16:17], vcc
	s_cbranch_execz .LBB174_8
; %bb.10:                               ;   in Loop: Header=BB174_9 Depth=1
	v_add_u32_e32 v30, s38, v25
	v_cvt_f32_i32_e32 v30, v30
	s_waitcnt lgkmcnt(0)
	v_add_f32_e32 v28, v28, v29
	v_cmp_gt_i32_e64 s[6:7], s33, v25
	v_max_f32_e32 v29, v21, v21
	v_mul_f32_e32 v30, s10, v30
	v_cndmask_b32_e64 v30, 0, v30, s[0:1]
	v_fmac_f32_e32 v30, s11, v28
	v_cndmask_b32_e64 v28, 0, v30, s[6:7]
	ds_write_b32 v26, v28
	v_max_f32_e32 v28, v29, v30
	v_cndmask_b32_e64 v21, v21, v28, s[6:7]
	s_branch .LBB174_8
.LBB174_11:
	s_or_b64 exec, exec, s[14:15]
.LBB174_12:
	s_or_b64 exec, exec, s[34:35]
	v_xor_b32_e32 v2, 32, v18
	v_cmp_lt_i32_e32 vcc, v2, v19
	v_xor_b32_e32 v5, 16, v18
	v_max_f32_e32 v4, v21, v21
	v_cndmask_b32_e32 v2, v18, v2, vcc
	v_lshlrev_b32_e32 v3, 2, v2
	ds_bpermute_b32 v2, v3, v21
	v_cmp_lt_i32_e32 vcc, v5, v19
	v_xor_b32_e32 v6, 8, v18
	v_and_b32_e32 v21, 63, v0
	s_waitcnt lgkmcnt(0)
	v_max_f32_e32 v2, v2, v2
	v_max_f32_e32 v2, v4, v2
	v_cndmask_b32_e32 v4, v18, v5, vcc
	v_lshlrev_b32_e32 v5, 2, v4
	ds_bpermute_b32 v4, v5, v2
	v_cmp_lt_i32_e32 vcc, v6, v19
	s_waitcnt lgkmcnt(0)
	v_max_f32_e32 v4, v4, v4
	v_max_f32_e32 v4, v2, v4
	v_cndmask_b32_e32 v2, v18, v6, vcc
	v_lshlrev_b32_e32 v6, 2, v2
	ds_bpermute_b32 v7, v6, v4
	v_cmp_eq_u32_e32 vcc, 0, v21
	v_lshlrev_b32_e32 v2, 2, v20
	s_and_saveexec_b64 s[0:1], vcc
	s_cbranch_execz .LBB174_14
; %bb.13:
	s_waitcnt lgkmcnt(0)
	v_max_f32_e32 v7, v7, v7
	v_max_f32_e32 v4, v4, v4
	;; [unrolled: 1-line block ×3, first 2 shown]
	ds_write_b32 v2, v4 offset:256
.LBB174_14:
	s_or_b64 exec, exec, s[0:1]
	v_cmp_gt_u32_e64 s[0:1], 2, v21
	s_waitcnt lgkmcnt(0)
	v_mov_b32_e32 v7, 0xff7fffff
	v_lshlrev_b32_e32 v4, 2, v21
	s_barrier
	s_and_saveexec_b64 s[6:7], s[0:1]
	s_cbranch_execz .LBB174_16
; %bb.15:
	ds_read_b32 v7, v4 offset:256
.LBB174_16:
	s_or_b64 exec, exec, s[6:7]
	v_xor_b32_e32 v8, 1, v18
	v_cmp_lt_i32_e64 s[6:7], v8, v19
	v_lshlrev_b32_e32 v9, 2, v18
	s_nop 0
	v_cndmask_b32_e64 v8, v18, v8, s[6:7]
	v_lshlrev_b32_e32 v22, 2, v8
	s_waitcnt lgkmcnt(0)
	ds_bpermute_b32 v8, v22, v7
	v_max_f32_e32 v7, v7, v7
	s_lshl_b32 s6, s23, 3
	s_min_i32 s34, s6, s33
	v_cmp_gt_i32_e64 s[6:7], s34, v0
	s_waitcnt lgkmcnt(0)
	v_max_f32_e32 v8, v8, v8
	v_max_f32_e32 v8, v7, v8
	v_and_b32_e32 v7, 0xffffff00, v9
	ds_bpermute_b32 v9, v7, v8
	v_mov_b32_e32 v8, 0
	s_and_saveexec_b64 s[14:15], s[6:7]
	s_cbranch_execz .LBB174_20
; %bb.17:
	v_mov_b32_e32 v8, 0x110
	v_lshl_add_u32 v10, v0, 2, v8
	s_mov_b64 s[16:17], 0
	v_mov_b32_e32 v8, 0
	v_mov_b32_e32 v11, v0
.LBB174_18:                             ; =>This Inner Loop Header: Depth=1
	ds_read_b32 v12, v10
	v_add_u32_e32 v11, 0x80, v11
	v_cmp_le_i32_e64 s[10:11], s34, v11
	s_or_b64 s[16:17], s[10:11], s[16:17]
	s_waitcnt lgkmcnt(0)
	v_sub_f32_e32 v12, v12, v9
	v_mul_f32_e32 v12, 0x3fb8aa3b, v12
	v_exp_f32_e32 v12, v12
	ds_write_b32 v10, v12
	v_add_f32_e32 v8, v8, v12
	v_add_u32_e32 v10, 0x200, v10
	s_andn2_b64 exec, exec, s[16:17]
	s_cbranch_execnz .LBB174_18
; %bb.19:
	s_or_b64 exec, exec, s[16:17]
.LBB174_20:
	s_or_b64 exec, exec, s[14:15]
	ds_bpermute_b32 v3, v3, v8
	s_waitcnt lgkmcnt(0)
	v_add_f32_e32 v3, v8, v3
	ds_bpermute_b32 v5, v5, v3
	s_waitcnt lgkmcnt(0)
	v_add_f32_e32 v3, v3, v5
	ds_bpermute_b32 v5, v6, v3
	v_xor_b32_e32 v6, 4, v18
	v_cmp_lt_i32_e64 s[10:11], v6, v19
	s_waitcnt lgkmcnt(0)
	v_add_f32_e32 v3, v3, v5
	v_cndmask_b32_e64 v6, v18, v6, s[10:11]
	v_lshlrev_b32_e32 v6, 2, v6
	ds_bpermute_b32 v5, v6, v3
	v_xor_b32_e32 v6, 2, v18
	v_cmp_lt_i32_e64 s[10:11], v6, v19
	s_waitcnt lgkmcnt(0)
	v_add_f32_e32 v3, v3, v5
	v_cndmask_b32_e64 v6, v18, v6, s[10:11]
	v_lshlrev_b32_e32 v5, 2, v6
	ds_bpermute_b32 v5, v5, v3
	s_waitcnt lgkmcnt(0)
	v_add_f32_e32 v3, v3, v5
	ds_bpermute_b32 v5, v22, v3
	s_waitcnt lgkmcnt(0)
	v_add_f32_e32 v3, v3, v5
	s_and_saveexec_b64 s[10:11], vcc
	s_cbranch_execz .LBB174_22
; %bb.21:
	ds_write_b32 v2, v3 offset:264
.LBB174_22:
	s_or_b64 exec, exec, s[10:11]
	s_waitcnt lgkmcnt(0)
	s_barrier
	s_and_saveexec_b64 s[10:11], s[0:1]
	s_cbranch_execz .LBB174_24
; %bb.23:
	ds_read_b32 v3, v4 offset:264
.LBB174_24:
	s_or_b64 exec, exec, s[10:11]
	s_waitcnt lgkmcnt(0)
	ds_bpermute_b32 v2, v22, v3
	s_waitcnt lgkmcnt(0)
	v_add_f32_e32 v2, v3, v2
	ds_bpermute_b32 v2, v7, v2
	s_and_saveexec_b64 s[0:1], s[6:7]
	s_cbranch_execz .LBB174_37
; %bb.25:
	s_waitcnt lgkmcnt(0)
	v_add_f32_e32 v2, 0x358637bd, v2
	v_div_scale_f32 v3, s[6:7], v2, v2, 1.0
	v_rcp_f32_e32 v4, v3
	v_div_scale_f32 v5, vcc, 1.0, v2, 1.0
	s_movk_i32 s6, 0x7f
	v_fma_f32 v6, -v3, v4, 1.0
	v_fmac_f32_e32 v4, v6, v4
	v_mul_f32_e32 v6, v5, v4
	v_fma_f32 v7, -v3, v6, v5
	v_fmac_f32_e32 v6, v7, v4
	v_fma_f32 v3, -v3, v6, v5
	v_div_fmas_f32 v3, v3, v4, v6
	v_xad_u32 v4, v0, -1, s34
	v_div_fixup_f32 v2, v3, v2, 1.0
	v_cmp_lt_u32_e32 vcc, s6, v4
	s_mov_b64 s[10:11], -1
	v_mov_b32_e32 v3, v0
	s_and_saveexec_b64 s[6:7], vcc
	s_cbranch_execz .LBB174_34
; %bb.26:
	v_lshrrev_b32_e32 v4, 7, v4
	v_add_u32_e32 v6, -1, v4
	v_lshrrev_b32_e32 v5, 1, v6
	v_mov_b32_e32 v3, v2
	v_add_u32_e32 v5, 1, v5
	v_cmp_lt_u32_e32 vcc, 13, v6
	v_mov_b32_e32 v8, 0
	s_and_saveexec_b64 s[10:11], vcc
	s_cbranch_execz .LBB174_30
; %bb.27:
	v_mov_b32_e32 v7, 0x110
	v_and_b32_e32 v6, -8, v5
	v_lshl_add_u32 v7, v0, 2, v7
	s_mov_b32 s16, 0
	s_mov_b64 s[14:15], 0
.LBB174_28:                             ; =>This Inner Loop Header: Depth=1
	ds_read2st64_b32 v[8:9], v7 offset1:2
	ds_read2st64_b32 v[10:11], v7 offset0:4 offset1:6
	ds_read2st64_b32 v[12:13], v7 offset0:8 offset1:10
	;; [unrolled: 1-line block ×3, first 2 shown]
	v_add_u32_e32 v6, -8, v6
	s_waitcnt lgkmcnt(3)
	v_pk_mul_f32 v[8:9], v[2:3], v[8:9]
	s_waitcnt lgkmcnt(2)
	v_pk_mul_f32 v[10:11], v[2:3], v[10:11]
	ds_write2st64_b32 v7, v8, v9 offset1:2
	ds_write2st64_b32 v7, v10, v11 offset0:4 offset1:6
	ds_read2st64_b32 v[10:11], v7 offset0:16 offset1:18
	s_waitcnt lgkmcnt(4)
	v_pk_mul_f32 v[8:9], v[2:3], v[12:13]
	ds_write2st64_b32 v7, v8, v9 offset0:8 offset1:10
	s_waitcnt lgkmcnt(4)
	v_pk_mul_f32 v[8:9], v[2:3], v[14:15]
	ds_write2st64_b32 v7, v8, v9 offset0:12 offset1:14
	ds_read2st64_b32 v[8:9], v7 offset0:20 offset1:22
	s_waitcnt lgkmcnt(3)
	v_pk_mul_f32 v[10:11], v[2:3], v[10:11]
	ds_read2st64_b32 v[12:13], v7 offset0:24 offset1:26
	ds_write2st64_b32 v7, v10, v11 offset0:16 offset1:18
	ds_read2st64_b32 v[10:11], v7 offset0:28 offset1:30
	s_waitcnt lgkmcnt(3)
	v_pk_mul_f32 v[8:9], v[2:3], v[8:9]
	ds_write2st64_b32 v7, v8, v9 offset0:20 offset1:22
	s_waitcnt lgkmcnt(3)
	v_pk_mul_f32 v[8:9], v[2:3], v[12:13]
	ds_write2st64_b32 v7, v8, v9 offset0:24 offset1:26
	s_waitcnt lgkmcnt(2)
	v_pk_mul_f32 v[8:9], v[2:3], v[10:11]
	s_add_i32 s16, s16, 16
	v_cmp_eq_u32_e32 vcc, 0, v6
	ds_write2st64_b32 v7, v8, v9 offset0:28 offset1:30
	v_add_u32_e32 v7, 0x2000, v7
	s_or_b64 s[14:15], vcc, s[14:15]
	v_mov_b32_e32 v8, s16
	s_andn2_b64 exec, exec, s[14:15]
	s_cbranch_execnz .LBB174_28
; %bb.29:
	s_or_b64 exec, exec, s[14:15]
.LBB174_30:
	s_or_b64 exec, exec, s[10:11]
	v_and_b32_e32 v5, 7, v5
	v_cmp_ne_u32_e32 vcc, 0, v5
	s_and_saveexec_b64 s[10:11], vcc
	s_cbranch_execz .LBB174_33
; %bb.31:
	v_lshlrev_b32_e32 v6, 9, v8
	s_movk_i32 s14, 0x110
	v_add3_u32 v6, v6, v16, s14
	s_mov_b64 s[14:15], 0
.LBB174_32:                             ; =>This Inner Loop Header: Depth=1
	ds_read2st64_b32 v[8:9], v6 offset1:2
	v_add_u32_e32 v5, -1, v5
	v_cmp_eq_u32_e32 vcc, 0, v5
	s_or_b64 s[14:15], vcc, s[14:15]
	s_waitcnt lgkmcnt(0)
	v_pk_mul_f32 v[8:9], v[2:3], v[8:9]
	ds_write2st64_b32 v6, v8, v9 offset1:2
	v_add_u32_e32 v6, 0x400, v6
	s_andn2_b64 exec, exec, s[14:15]
	s_cbranch_execnz .LBB174_32
.LBB174_33:
	s_or_b64 exec, exec, s[10:11]
	v_add_u32_e32 v4, 1, v4
	v_and_b32_e32 v5, 0x3fffffe, v4
	v_cmp_ne_u32_e32 vcc, v4, v5
	v_lshl_add_u32 v3, v5, 7, v0
	s_orn2_b64 s[10:11], vcc, exec
.LBB174_34:
	s_or_b64 exec, exec, s[6:7]
	s_and_b64 exec, exec, s[10:11]
	s_cbranch_execz .LBB174_37
; %bb.35:
	v_mov_b32_e32 v4, 0x110
	v_lshl_add_u32 v4, v3, 2, v4
	s_mov_b64 s[6:7], 0
.LBB174_36:                             ; =>This Inner Loop Header: Depth=1
	ds_read_b32 v5, v4
	v_add_u32_e32 v3, 0x80, v3
	v_cmp_le_i32_e32 vcc, s34, v3
	s_or_b64 s[6:7], vcc, s[6:7]
	s_waitcnt lgkmcnt(0)
	v_mul_f32_e32 v5, v2, v5
	ds_write_b32 v4, v5
	v_add_u32_e32 v4, 0x200, v4
	s_andn2_b64 exec, exec, s[6:7]
	s_cbranch_execnz .LBB174_36
.LBB174_37:
	s_or_b64 exec, exec, s[0:1]
	v_mov_b32_e32 v7, 0
	v_and_b32_e32 v23, 1, v0
	v_mov_b32_e32 v6, 0
	s_waitcnt lgkmcnt(0)
	s_barrier
	s_and_saveexec_b64 s[6:7], s[2:3]
	s_cbranch_execz .LBB174_45
; %bb.38:
	s_ashr_i32 s1, s12, 31
	s_load_dword s2, s[18:19], 0x0
	s_add_u32 s0, s30, s12
	s_addc_u32 s1, s31, s1
	v_and_b32_e32 v6, 0xfc, v16
	v_mov_b32_e32 v7, 0
	v_and_b32_e32 v2, 4, v16
	s_add_i32 s15, s23, -1
	v_lshl_add_u64 v[8:9], s[0:1], 0, v[6:7]
	v_lshlrev_b32_e32 v3, 3, v20
	s_lshl_b64 s[0:1], s[28:29], 2
	v_or3_b32 v24, v3, v2, 3
	v_lshlrev_b32_e32 v2, 4, v23
	s_add_u32 s0, s26, s0
	v_lshl_or_b32 v2, v20, 5, v2
	v_and_b32_e32 v6, 60, v17
	s_addc_u32 s1, s27, s1
	s_mov_b32 s14, s13
	s_waitcnt lgkmcnt(0)
	s_mov_b32 s3, s2
	v_add_u32_e32 v25, 0x110, v2
	v_lshl_add_u64 v[10:11], s[0:1], 0, v[6:7]
	s_mov_b64 s[10:11], 0
	v_mov_b32_e32 v6, v7
	s_branch .LBB174_40
.LBB174_39:                             ;   in Loop: Header=BB174_40 Depth=1
	s_or_b64 exec, exec, s[0:1]
	s_waitcnt lgkmcnt(0)
	v_mul_f32_e32 v15, v3, v15
	v_mul_f32_e32 v3, v3, v19
	v_fmac_f32_e32 v15, v2, v14
	v_fmac_f32_e32 v3, v2, v18
	;; [unrolled: 1-line block ×4, first 2 shown]
	v_add_u32_e32 v20, 2, v20
	v_fmac_f32_e32 v15, v5, v13
	v_fmac_f32_e32 v3, v5, v17
	v_cmp_le_i32_e32 vcc, s23, v20
	v_add_f32_e32 v6, v6, v15
	v_add_f32_e32 v7, v7, v3
	v_add_u32_e32 v24, 16, v24
	v_add_u32_e32 v25, 64, v25
	s_or_b64 s[10:11], vcc, s[10:11]
	v_lshl_add_u64 v[10:11], v[10:11], 0, 8
	s_andn2_b64 exec, exec, s[10:11]
	s_cbranch_execz .LBB174_44
.LBB174_40:                             ; =>This Inner Loop Header: Depth=1
	global_load_dword v2, v[10:11], off
	v_add_u32_e32 v26, -3, v24
	v_cmp_eq_u32_e32 vcc, s15, v20
	v_add_u32_e32 v27, -2, v24
	v_add_u32_e32 v28, -1, v24
	s_waitcnt vmcnt(0)
	v_mad_i64_i32 v[16:17], s[0:1], v2, s14, v[8:9]
	global_load_dword v12, v[16:17], off
	ds_read_b128 v[2:5], v25
	s_waitcnt vmcnt(0)
	v_and_b32_e32 v13, 0xffff, v12
	v_lshrrev_b32_e32 v14, 16, v12
	v_cvt_pk_f32_fp8_e32 v[12:13], v13
	v_cvt_pk_f32_fp8_e32 v[18:19], v14
	v_pk_mul_f32 v[14:15], s[2:3], v[12:13]
	v_pk_mul_f32 v[12:13], s[2:3], v[18:19]
	s_and_saveexec_b64 s[12:13], vcc
; %bb.41:                               ;   in Loop: Header=BB174_40 Depth=1
	v_cmp_gt_i32_e64 s[0:1], s33, v26
	s_nop 1
	v_cndmask_b32_e64 v14, 0, v14, s[0:1]
	v_cmp_gt_i32_e64 s[0:1], s33, v27
	s_nop 1
	v_cndmask_b32_e64 v15, 0, v15, s[0:1]
	;; [unrolled: 3-line block ×4, first 2 shown]
; %bb.42:                               ;   in Loop: Header=BB174_40 Depth=1
	s_or_b64 exec, exec, s[12:13]
	global_load_dword v16, v[16:17], off offset:256
	s_waitcnt vmcnt(0)
	v_and_b32_e32 v17, 0xffff, v16
	v_lshrrev_b32_e32 v18, 16, v16
	v_cvt_pk_f32_fp8_e32 v[16:17], v17
	v_cvt_pk_f32_fp8_e32 v[30:31], v18
	v_pk_mul_f32 v[18:19], s[2:3], v[16:17]
	v_pk_mul_f32 v[16:17], s[2:3], v[30:31]
	s_and_saveexec_b64 s[0:1], vcc
	s_cbranch_execz .LBB174_39
; %bb.43:                               ;   in Loop: Header=BB174_40 Depth=1
	v_cmp_gt_i32_e32 vcc, s33, v26
	s_nop 1
	v_cndmask_b32_e32 v18, 0, v18, vcc
	v_cmp_gt_i32_e32 vcc, s33, v27
	s_nop 1
	v_cndmask_b32_e32 v19, 0, v19, vcc
	;; [unrolled: 3-line block ×4, first 2 shown]
	s_branch .LBB174_39
.LBB174_44:
	s_or_b64 exec, exec, s[10:11]
.LBB174_45:
	s_or_b64 exec, exec, s[6:7]
	ds_bpermute_b32 v2, v22, v6
	ds_bpermute_b32 v3, v22, v7
	v_and_b32_e32 v4, 0x3c1, v0
	v_cmp_eq_u32_e32 vcc, 64, v4
	s_waitcnt lgkmcnt(0)
	s_barrier
	v_pk_add_f32 v[2:3], v[6:7], v[2:3]
	s_and_saveexec_b64 s[0:1], vcc
	s_cbranch_execz .LBB174_47
; %bb.46:
	v_mov_b32_e32 v5, 0x110
	v_lshl_add_u32 v5, v21, 1, v5
	ds_write2_b32 v5, v2, v3 offset1:32
.LBB174_47:
	s_or_b64 exec, exec, s[0:1]
	s_waitcnt lgkmcnt(0)
	s_barrier
	s_and_saveexec_b64 s[0:1], s[8:9]
	s_cbranch_execz .LBB174_53
; %bb.48:
	v_cmp_eq_u32_e32 vcc, 0, v23
	s_and_saveexec_b64 s[2:3], vcc
	s_cbranch_execz .LBB174_50
; %bb.49:
	v_mov_b32_e32 v5, 0x110
	v_lshl_add_u32 v5, v1, 2, v5
	ds_read_b32 v5, v5
	s_waitcnt lgkmcnt(0)
	v_add_f32_e32 v2, v2, v5
.LBB174_50:
	s_or_b64 exec, exec, s[2:3]
	s_and_saveexec_b64 s[2:3], vcc
	s_cbranch_execz .LBB174_52
; %bb.51:
	v_mov_b32_e32 v5, 0x110
	v_lshl_add_u32 v1, v1, 2, v5
	ds_read_b32 v1, v1 offset:128
	s_waitcnt lgkmcnt(0)
	v_add_f32_e32 v3, v3, v1
.LBB174_52:
	s_or_b64 exec, exec, s[2:3]
.LBB174_53:
	s_or_b64 exec, exec, s[0:1]
	v_cmp_eq_u32_e32 vcc, 0, v4
	s_barrier
	s_and_saveexec_b64 s[0:1], vcc
	s_cbranch_execz .LBB174_55
; %bb.54:
	s_mul_i32 s0, s20, s21
	s_mul_i32 s0, s0, s5
	s_lshl_b32 s0, s0, 6
	s_ashr_i32 s1, s0, 31
	s_lshl_b64 s[0:1], s[0:1], 2
	s_add_u32 s2, s24, s0
	s_mul_i32 s0, s21, s22
	s_addc_u32 s3, s25, s1
	s_ashr_i32 s1, s0, 31
	s_lshl_b64 s[0:1], s[0:1], 2
	s_add_u32 s2, s2, s0
	s_addc_u32 s3, s3, s1
	s_lshl_b32 s0, s4, 6
	s_ashr_i32 s1, s0, 31
	s_lshl_b64 s[0:1], s[0:1], 2
	s_add_u32 s0, s2, s0
	s_addc_u32 s1, s3, s1
	v_lshlrev_b32_e32 v0, 1, v0
	global_store_dword v0, v2, s[0:1]
	global_store_dword v0, v3, s[0:1] offset:128
.LBB174_55:
	s_endpgm
	.section	.rodata,"a",@progbits
	.p2align	6, 0x0
	.amdhsa_kernel _ZN4vllm25paged_attention_v1_kernelIfhLi64ELi8ELi128ELNS_18Fp8KVCacheDataTypeE1ELb0EEEvPT_PKS2_PKT0_S8_ifPKiSA_iPKfiiiSC_SC_iiiii
		.amdhsa_group_segment_fixed_size 272
		.amdhsa_private_segment_fixed_size 0
		.amdhsa_kernarg_size 384
		.amdhsa_user_sgpr_count 2
		.amdhsa_user_sgpr_dispatch_ptr 0
		.amdhsa_user_sgpr_queue_ptr 0
		.amdhsa_user_sgpr_kernarg_segment_ptr 1
		.amdhsa_user_sgpr_dispatch_id 0
		.amdhsa_user_sgpr_kernarg_preload_length 0
		.amdhsa_user_sgpr_kernarg_preload_offset 0
		.amdhsa_user_sgpr_private_segment_size 0
		.amdhsa_uses_dynamic_stack 0
		.amdhsa_enable_private_segment 0
		.amdhsa_system_sgpr_workgroup_id_x 1
		.amdhsa_system_sgpr_workgroup_id_y 1
		.amdhsa_system_sgpr_workgroup_id_z 1
		.amdhsa_system_sgpr_workgroup_info 0
		.amdhsa_system_vgpr_workitem_id 0
		.amdhsa_next_free_vgpr 38
		.amdhsa_next_free_sgpr 39
		.amdhsa_accum_offset 40
		.amdhsa_reserve_vcc 1
		.amdhsa_float_round_mode_32 0
		.amdhsa_float_round_mode_16_64 0
		.amdhsa_float_denorm_mode_32 3
		.amdhsa_float_denorm_mode_16_64 3
		.amdhsa_dx10_clamp 1
		.amdhsa_ieee_mode 1
		.amdhsa_fp16_overflow 0
		.amdhsa_tg_split 0
		.amdhsa_exception_fp_ieee_invalid_op 0
		.amdhsa_exception_fp_denorm_src 0
		.amdhsa_exception_fp_ieee_div_zero 0
		.amdhsa_exception_fp_ieee_overflow 0
		.amdhsa_exception_fp_ieee_underflow 0
		.amdhsa_exception_fp_ieee_inexact 0
		.amdhsa_exception_int_div_zero 0
	.end_amdhsa_kernel
	.section	.text._ZN4vllm25paged_attention_v1_kernelIfhLi64ELi8ELi128ELNS_18Fp8KVCacheDataTypeE1ELb0EEEvPT_PKS2_PKT0_S8_ifPKiSA_iPKfiiiSC_SC_iiiii,"axG",@progbits,_ZN4vllm25paged_attention_v1_kernelIfhLi64ELi8ELi128ELNS_18Fp8KVCacheDataTypeE1ELb0EEEvPT_PKS2_PKT0_S8_ifPKiSA_iPKfiiiSC_SC_iiiii,comdat
.Lfunc_end174:
	.size	_ZN4vllm25paged_attention_v1_kernelIfhLi64ELi8ELi128ELNS_18Fp8KVCacheDataTypeE1ELb0EEEvPT_PKS2_PKT0_S8_ifPKiSA_iPKfiiiSC_SC_iiiii, .Lfunc_end174-_ZN4vllm25paged_attention_v1_kernelIfhLi64ELi8ELi128ELNS_18Fp8KVCacheDataTypeE1ELb0EEEvPT_PKS2_PKT0_S8_ifPKiSA_iPKfiiiSC_SC_iiiii
                                        ; -- End function
	.section	.AMDGPU.csdata,"",@progbits
; Kernel info:
; codeLenInByte = 3440
; NumSgprs: 45
; NumVgprs: 38
; NumAgprs: 0
; TotalNumVgprs: 38
; ScratchSize: 0
; MemoryBound: 0
; FloatMode: 240
; IeeeMode: 1
; LDSByteSize: 272 bytes/workgroup (compile time only)
; SGPRBlocks: 5
; VGPRBlocks: 4
; NumSGPRsForWavesPerEU: 45
; NumVGPRsForWavesPerEU: 38
; AccumOffset: 40
; Occupancy: 8
; WaveLimiterHint : 1
; COMPUTE_PGM_RSRC2:SCRATCH_EN: 0
; COMPUTE_PGM_RSRC2:USER_SGPR: 2
; COMPUTE_PGM_RSRC2:TRAP_HANDLER: 0
; COMPUTE_PGM_RSRC2:TGID_X_EN: 1
; COMPUTE_PGM_RSRC2:TGID_Y_EN: 1
; COMPUTE_PGM_RSRC2:TGID_Z_EN: 1
; COMPUTE_PGM_RSRC2:TIDIG_COMP_CNT: 0
; COMPUTE_PGM_RSRC3_GFX90A:ACCUM_OFFSET: 9
; COMPUTE_PGM_RSRC3_GFX90A:TG_SPLIT: 0
	.section	.text._ZN4vllm25paged_attention_v1_kernelIfhLi80ELi8ELi128ELNS_18Fp8KVCacheDataTypeE1ELb0EEEvPT_PKS2_PKT0_S8_ifPKiSA_iPKfiiiSC_SC_iiiii,"axG",@progbits,_ZN4vllm25paged_attention_v1_kernelIfhLi80ELi8ELi128ELNS_18Fp8KVCacheDataTypeE1ELb0EEEvPT_PKS2_PKT0_S8_ifPKiSA_iPKfiiiSC_SC_iiiii,comdat
	.protected	_ZN4vllm25paged_attention_v1_kernelIfhLi80ELi8ELi128ELNS_18Fp8KVCacheDataTypeE1ELb0EEEvPT_PKS2_PKT0_S8_ifPKiSA_iPKfiiiSC_SC_iiiii ; -- Begin function _ZN4vllm25paged_attention_v1_kernelIfhLi80ELi8ELi128ELNS_18Fp8KVCacheDataTypeE1ELb0EEEvPT_PKS2_PKT0_S8_ifPKiSA_iPKfiiiSC_SC_iiiii
	.globl	_ZN4vllm25paged_attention_v1_kernelIfhLi80ELi8ELi128ELNS_18Fp8KVCacheDataTypeE1ELb0EEEvPT_PKS2_PKT0_S8_ifPKiSA_iPKfiiiSC_SC_iiiii
	.p2align	8
	.type	_ZN4vllm25paged_attention_v1_kernelIfhLi80ELi8ELi128ELNS_18Fp8KVCacheDataTypeE1ELb0EEEvPT_PKS2_PKT0_S8_ifPKiSA_iPKfiiiSC_SC_iiiii,@function
_ZN4vllm25paged_attention_v1_kernelIfhLi80ELi8ELi128ELNS_18Fp8KVCacheDataTypeE1ELb0EEEvPT_PKS2_PKT0_S8_ifPKiSA_iPKfiiiSC_SC_iiiii: ; @_ZN4vllm25paged_attention_v1_kernelIfhLi80ELi8ELi128ELNS_18Fp8KVCacheDataTypeE1ELb0EEEvPT_PKS2_PKT0_S8_ifPKiSA_iPKfiiiSC_SC_iiiii
; %bb.0:
	s_load_dword s5, s[0:1], 0x80
	s_load_dwordx2 s[6:7], s[0:1], 0x30
	s_load_dwordx2 s[28:29], s[0:1], 0x20
	s_mov_b32 s16, s3
	s_ashr_i32 s17, s3, 31
	s_lshl_b64 s[8:9], s[16:17], 2
	s_waitcnt lgkmcnt(0)
	s_add_u32 s6, s6, s8
	s_addc_u32 s7, s7, s9
	s_abs_i32 s3, s28
	v_cvt_f32_u32_e32 v1, s3
	s_sub_i32 s10, 0, s3
	s_abs_i32 s9, s5
	s_xor_b32 s8, s5, s28
	v_rcp_iflag_f32_e32 v1, v1
	s_ashr_i32 s8, s8, 31
	s_mov_b32 s28, 0
	v_mul_f32_e32 v1, 0x4f7ffffe, v1
	v_cvt_u32_f32_e32 v1, v1
	s_nop 0
	v_readfirstlane_b32 s11, v1
	s_mul_i32 s10, s10, s11
	s_mul_hi_u32 s10, s11, s10
	s_add_i32 s11, s11, s10
	s_mul_hi_u32 s10, s9, s11
	s_mul_i32 s11, s10, s3
	s_sub_i32 s9, s9, s11
	s_add_i32 s11, s10, 1
	s_sub_i32 s12, s9, s3
	s_cmp_ge_u32 s9, s3
	s_cselect_b32 s10, s11, s10
	s_cselect_b32 s9, s12, s9
	s_add_i32 s11, s10, 1
	s_cmp_ge_u32 s9, s3
	s_cselect_b32 s3, s11, s10
	s_xor_b32 s3, s3, s8
	s_sub_i32 s12, s3, s8
	s_abs_i32 s10, s12
	v_cvt_f32_u32_e32 v1, s10
	s_load_dwordx2 s[8:9], s[0:1], 0x40
	s_sub_i32 s3, 0, s10
	s_abs_i32 s11, s2
	v_rcp_iflag_f32_e32 v1, v1
	s_nop 0
	v_mul_f32_e32 v1, 0x4f7ffffe, v1
	v_cvt_u32_f32_e32 v1, v1
	s_nop 0
	v_readfirstlane_b32 s13, v1
	s_mul_i32 s3, s3, s13
	s_mul_hi_u32 s3, s13, s3
	s_add_i32 s13, s13, s3
	s_waitcnt lgkmcnt(0)
	s_cmp_eq_u64 s[8:9], 0
	s_mul_hi_u32 s17, s11, s13
	s_cbranch_scc1 .LBB175_2
; %bb.1:
	s_ashr_i32 s3, s2, 31
	s_lshl_b64 s[14:15], s[2:3], 2
	s_add_u32 s8, s8, s14
	s_addc_u32 s9, s9, s15
	s_load_dword s28, s[8:9], 0x0
.LBB175_2:
	s_load_dword s33, s[6:7], 0x0
	s_ashr_i32 s7, s12, 31
	s_load_dwordx4 s[12:15], s[0:1], 0x48
	s_movk_i32 s3, 0x50
	s_ashr_i32 s6, s2, 31
	v_and_b32_e32 v10, 7, v0
	s_mul_i32 s18, s2, 0x50
	v_cmp_gt_u32_e32 vcc, s3, v0
	v_lshlrev_b32_e32 v18, 2, v0
	v_lshrrev_b32_e32 v1, 1, v0
	s_and_saveexec_b64 s[2:3], vcc
	s_cbranch_execz .LBB175_4
; %bb.3:
	s_load_dwordx2 s[8:9], s[0:1], 0x8
	s_waitcnt lgkmcnt(0)
	s_mul_i32 s20, s16, s12
	s_ashr_i32 s21, s20, 31
	s_lshl_b64 s[20:21], s[20:21], 2
	v_and_b32_e32 v3, 0x1fc, v1
	s_add_u32 s12, s8, s20
	s_addc_u32 s15, s9, s21
	s_ashr_i32 s19, s18, 31
	s_lshl_b64 s[8:9], s[18:19], 2
	s_add_u32 s8, s12, s8
	s_addc_u32 s9, s15, s9
	global_load_dword v2, v18, s[8:9]
	v_mad_u32_u24 v3, v10, 40, v3
	s_waitcnt vmcnt(0)
	ds_write_b32 v3, v2
.LBB175_4:
	s_or_b64 exec, exec, s[2:3]
	s_waitcnt lgkmcnt(0)
	s_add_i32 s3, s33, 7
	s_ashr_i32 s8, s3, 31
	s_lshr_b32 s8, s8, 29
	s_add_i32 s3, s3, s8
	s_ashr_i32 s19, s3, 3
	s_xor_b32 s3, s6, s7
	s_mul_i32 s6, s17, s10
	s_sub_i32 s6, s11, s6
	s_add_i32 s7, s17, 1
	s_sub_i32 s8, s6, s10
	s_load_dwordx2 s[22:23], s[0:1], 0x28
	s_load_dword s2, s[0:1], 0x38
	s_cmp_ge_u32 s6, s10
	s_cselect_b32 s7, s7, s17
	s_cselect_b32 s6, s8, s6
	s_add_i32 s8, s7, 1
	s_cmp_ge_u32 s6, s10
	s_cselect_b32 s6, s8, s7
	v_lshrrev_b32_e32 v28, 6, v0
	s_xor_b32 s6, s6, s3
	s_waitcnt lgkmcnt(0)
	s_mul_i32 s24, s16, s2
	s_sub_i32 s12, s6, s3
	s_ashr_i32 s25, s24, 31
	v_cmp_gt_i32_e64 s[2:3], s19, v28
	v_cmp_le_i32_e32 vcc, s19, v28
	v_mbcnt_lo_u32_b32 v11, -1, 0
	s_barrier
	s_waitcnt lgkmcnt(0)
                                        ; implicit-def: $sgpr15
                                        ; implicit-def: $vgpr20
                                        ; implicit-def: $vgpr21
	s_and_saveexec_b64 s[6:7], vcc
	s_xor_b64 s[6:7], exec, s[6:7]
; %bb.5:
	v_mbcnt_hi_u32_b32 v20, -1, v11
	v_and_b32_e32 v2, 64, v20
	v_add_u32_e32 v21, 64, v2
	s_mov_b32 s15, 0xff7fffff
                                        ; implicit-def: $vgpr10
                                        ; implicit-def: $vgpr11
; %bb.6:
	s_or_saveexec_b64 s[30:31], s[6:7]
	s_load_dwordx2 s[20:21], s[0:1], 0x0
	s_load_dwordx2 s[26:27], s[0:1], 0x18
	s_load_dword s17, s[0:1], 0x88
	s_load_dwordx4 s[8:11], s[0:1], 0x58
	v_mov_b32_e32 v22, s15
	s_mul_i32 s12, s12, s14
	v_lshrrev_b32_e32 v19, 4, v0
	s_xor_b64 exec, exec, s[30:31]
	s_cbranch_execz .LBB175_12
; %bb.7:
	v_mbcnt_hi_u32_b32 v20, -1, v11
	s_load_dwordx2 s[0:1], s[0:1], 0x10
	v_and_b32_e32 v11, 64, v20
	v_add_u32_e32 v21, 64, v11
	v_xor_b32_e32 v11, 4, v20
	v_cmp_lt_i32_e32 vcc, v11, v21
	s_ashr_i32 s6, s12, 31
	v_mul_u32_u24_e32 v14, 40, v10
	v_cndmask_b32_e32 v11, v20, v11, vcc
	v_lshlrev_b32_e32 v23, 2, v11
	v_xor_b32_e32 v11, 2, v20
	v_bfe_u32 v22, v0, 3, 3
	s_waitcnt lgkmcnt(0)
	s_add_u32 s0, s0, s12
	ds_read2_b64 v[2:5], v14 offset1:1
	ds_read2_b64 v[6:9], v14 offset0:2 offset1:3
	ds_read_b64 v[14:15], v14 offset:32
	v_cmp_lt_i32_e32 vcc, v11, v21
	v_lshlrev_b32_e32 v16, 4, v22
	s_addc_u32 s1, s1, s6
	v_mov_b32_e32 v17, 0
	v_cndmask_b32_e32 v11, v20, v11, vcc
	s_load_dword s35, s[8:9], 0x0
	v_lshl_add_u64 v[12:13], s[0:1], 0, v[16:17]
	v_lshlrev_b32_e32 v24, 2, v11
	v_xor_b32_e32 v11, 1, v20
	s_sub_i32 s36, 1, s33
	v_lshlrev_b32_e32 v16, 2, v22
	s_lshl_b64 s[6:7], s[24:25], 2
	v_cmp_lt_i32_e32 vcc, v11, v21
	v_lshl_or_b32 v16, v28, 5, v16
	s_add_u32 s6, s22, s6
	v_cndmask_b32_e32 v11, v20, v11, vcc
	v_add_u32_e32 v27, 0x150, v16
	v_and_b32_e32 v16, 60, v19
	s_addc_u32 s7, s23, s7
	s_mov_b32 s34, s13
	v_lshlrev_b32_e32 v25, 2, v11
	v_cmp_eq_u32_e32 vcc, 0, v10
	v_cmp_neq_f32_e64 s[0:1], s28, 0
	v_mov_b32_e32 v11, v17
	v_lshl_or_b32 v26, v28, 3, v22
	v_lshl_add_u64 v[16:17], s[6:7], 0, v[16:17]
	s_mov_b64 s[8:9], 0
	v_mov_b32_e32 v22, 0xff7fffff
	v_mov_b32_e32 v29, v28
	s_branch .LBB175_9
.LBB175_8:                              ;   in Loop: Header=BB175_9 Depth=1
	s_or_b64 exec, exec, s[14:15]
	v_add_u32_e32 v29, 2, v29
	v_cmp_le_i32_e64 s[6:7], s19, v29
	v_add_u32_e32 v26, 16, v26
	v_add_u32_e32 v27, 64, v27
	s_or_b64 s[8:9], s[6:7], s[8:9]
	v_lshl_add_u64 v[16:17], v[16:17], 0, 8
	s_andn2_b64 exec, exec, s[8:9]
	s_cbranch_execz .LBB175_11
.LBB175_9:                              ; =>This Inner Loop Header: Depth=1
	global_load_dword v30, v[16:17], off
	s_waitcnt vmcnt(0) lgkmcnt(0)
	v_mad_i64_i32 v[30:31], s[6:7], v30, s34, v[12:13]
	v_lshl_add_u64 v[30:31], v[30:31], 0, v[10:11]
	global_load_ubyte v32, v[30:31], off
	global_load_ubyte v33, v[30:31], off offset:8
	global_load_ubyte v34, v[30:31], off offset:128
	;; [unrolled: 1-line block ×9, first 2 shown]
	s_waitcnt vmcnt(9)
	v_cvt_f32_fp8_sdwa v30, v32 src0_sel:BYTE_0
	s_waitcnt vmcnt(8)
	v_cvt_f32_fp8_sdwa v31, v33 src0_sel:BYTE_0
	;; [unrolled: 2-line block ×5, first 2 shown]
	s_waitcnt lgkmcnt(0)
	v_mul_f32_e32 v31, s35, v31
	s_waitcnt vmcnt(4)
	v_cvt_f32_fp8_sdwa v35, v37 src0_sel:BYTE_0
	v_mul_f32_e32 v30, s35, v30
	v_mul_f32_e32 v31, v3, v31
	s_waitcnt vmcnt(3)
	v_cvt_f32_fp8_sdwa v36, v38 src0_sel:BYTE_0
	v_mul_f32_e32 v32, s35, v32
	v_fmac_f32_e32 v31, v2, v30
	s_waitcnt vmcnt(2)
	v_cvt_f32_fp8_sdwa v37, v39 src0_sel:BYTE_0
	v_mul_f32_e32 v33, s35, v33
	v_fmac_f32_e32 v31, v4, v32
	;; [unrolled: 4-line block ×4, first 2 shown]
	v_mul_f32_e32 v36, s35, v36
	v_fmac_f32_e32 v31, v7, v35
	v_mul_f32_e32 v37, s35, v37
	v_fmac_f32_e32 v31, v8, v36
	v_mul_f32_e32 v38, s35, v38
	v_fmac_f32_e32 v31, v9, v37
	v_mul_f32_e32 v39, s35, v39
	v_fmac_f32_e32 v31, v14, v38
	v_fmac_f32_e32 v31, v15, v39
	ds_bpermute_b32 v30, v23, v31
	s_waitcnt lgkmcnt(0)
	v_add_f32_e32 v30, v31, v30
	ds_bpermute_b32 v31, v24, v30
	s_waitcnt lgkmcnt(0)
	v_add_f32_e32 v30, v30, v31
	ds_bpermute_b32 v31, v25, v30
	s_and_saveexec_b64 s[14:15], vcc
	s_cbranch_execz .LBB175_8
; %bb.10:                               ;   in Loop: Header=BB175_9 Depth=1
	v_add_u32_e32 v32, s36, v26
	v_cvt_f32_i32_e32 v32, v32
	s_waitcnt lgkmcnt(0)
	v_add_f32_e32 v30, v30, v31
	v_cmp_gt_i32_e64 s[6:7], s33, v26
	v_max_f32_e32 v31, v22, v22
	v_mul_f32_e32 v32, s28, v32
	v_cndmask_b32_e64 v32, 0, v32, s[0:1]
	v_fmac_f32_e32 v32, s29, v30
	v_cndmask_b32_e64 v30, 0, v32, s[6:7]
	ds_write_b32 v27, v30
	v_max_f32_e32 v30, v31, v32
	v_cndmask_b32_e64 v22, v22, v30, s[6:7]
	s_branch .LBB175_8
.LBB175_11:
	s_or_b64 exec, exec, s[8:9]
.LBB175_12:
	s_or_b64 exec, exec, s[30:31]
	v_xor_b32_e32 v2, 32, v20
	v_cmp_lt_i32_e32 vcc, v2, v21
	v_xor_b32_e32 v5, 16, v20
	v_max_f32_e32 v4, v22, v22
	v_cndmask_b32_e32 v2, v20, v2, vcc
	v_lshlrev_b32_e32 v3, 2, v2
	ds_bpermute_b32 v2, v3, v22
	v_cmp_lt_i32_e32 vcc, v5, v21
	v_xor_b32_e32 v7, 8, v20
	s_waitcnt lgkmcnt(0)
	v_max_f32_e32 v2, v2, v2
	v_max_f32_e32 v2, v4, v2
	v_cndmask_b32_e32 v4, v20, v5, vcc
	v_lshlrev_b32_e32 v6, 2, v4
	ds_bpermute_b32 v4, v6, v2
	v_cmp_lt_i32_e32 vcc, v7, v21
	s_waitcnt lgkmcnt(0)
	v_max_f32_e32 v4, v4, v4
	v_max_f32_e32 v5, v2, v4
	v_cndmask_b32_e32 v2, v20, v7, vcc
	v_lshlrev_b32_e32 v8, 2, v2
	ds_bpermute_b32 v7, v8, v5
	v_and_b32_e32 v4, 63, v0
	v_cmp_eq_u32_e32 vcc, 0, v4
	v_lshlrev_b32_e32 v2, 2, v28
	s_and_saveexec_b64 s[0:1], vcc
	s_cbranch_execz .LBB175_14
; %bb.13:
	s_waitcnt lgkmcnt(0)
	v_max_f32_e32 v7, v7, v7
	v_max_f32_e32 v5, v5, v5
	;; [unrolled: 1-line block ×3, first 2 shown]
	ds_write_b32 v2, v5 offset:320
.LBB175_14:
	s_or_b64 exec, exec, s[0:1]
	v_cmp_gt_u32_e64 s[0:1], 2, v4
	v_mov_b32_e32 v9, 0xff7fffff
	v_lshlrev_b32_e32 v5, 2, v4
	s_waitcnt lgkmcnt(0)
	s_barrier
	s_and_saveexec_b64 s[6:7], s[0:1]
	s_cbranch_execz .LBB175_16
; %bb.15:
	ds_read_b32 v9, v5 offset:320
.LBB175_16:
	s_or_b64 exec, exec, s[6:7]
	v_xor_b32_e32 v7, 1, v20
	v_cmp_lt_i32_e64 s[6:7], v7, v21
	v_lshlrev_b32_e32 v11, 2, v20
	s_nop 0
	v_cndmask_b32_e64 v7, v20, v7, s[6:7]
	v_lshlrev_b32_e32 v7, 2, v7
	s_waitcnt lgkmcnt(0)
	ds_bpermute_b32 v10, v7, v9
	v_max_f32_e32 v9, v9, v9
	s_lshl_b32 s6, s19, 3
	s_min_i32 s30, s6, s33
	v_cmp_gt_i32_e64 s[6:7], s30, v0
	s_waitcnt lgkmcnt(0)
	v_max_f32_e32 v10, v10, v10
	v_max_f32_e32 v10, v9, v10
	v_and_b32_e32 v9, 0xffffff00, v11
	ds_bpermute_b32 v11, v9, v10
	v_mov_b32_e32 v10, 0
	s_and_saveexec_b64 s[14:15], s[6:7]
	s_cbranch_execz .LBB175_20
; %bb.17:
	v_mov_b32_e32 v10, 0x150
	v_lshl_add_u32 v12, v0, 2, v10
	s_mov_b64 s[28:29], 0
	v_mov_b32_e32 v10, 0
	v_mov_b32_e32 v13, v0
.LBB175_18:                             ; =>This Inner Loop Header: Depth=1
	ds_read_b32 v14, v12
	v_add_u32_e32 v13, 0x80, v13
	v_cmp_le_i32_e64 s[8:9], s30, v13
	s_or_b64 s[28:29], s[8:9], s[28:29]
	s_waitcnt lgkmcnt(0)
	v_sub_f32_e32 v14, v14, v11
	v_mul_f32_e32 v14, 0x3fb8aa3b, v14
	v_exp_f32_e32 v14, v14
	ds_write_b32 v12, v14
	v_add_f32_e32 v10, v10, v14
	v_add_u32_e32 v12, 0x200, v12
	s_andn2_b64 exec, exec, s[28:29]
	s_cbranch_execnz .LBB175_18
; %bb.19:
	s_or_b64 exec, exec, s[28:29]
.LBB175_20:
	s_or_b64 exec, exec, s[14:15]
	ds_bpermute_b32 v3, v3, v10
	s_waitcnt lgkmcnt(0)
	v_add_f32_e32 v3, v10, v3
	ds_bpermute_b32 v6, v6, v3
	s_waitcnt lgkmcnt(0)
	v_add_f32_e32 v3, v3, v6
	ds_bpermute_b32 v6, v8, v3
	v_xor_b32_e32 v8, 4, v20
	v_cmp_lt_i32_e64 s[8:9], v8, v21
	s_waitcnt lgkmcnt(0)
	v_add_f32_e32 v3, v3, v6
	v_cndmask_b32_e64 v8, v20, v8, s[8:9]
	v_lshlrev_b32_e32 v8, 2, v8
	ds_bpermute_b32 v6, v8, v3
	v_xor_b32_e32 v8, 2, v20
	v_cmp_lt_i32_e64 s[8:9], v8, v21
	s_waitcnt lgkmcnt(0)
	v_add_f32_e32 v3, v3, v6
	v_cndmask_b32_e64 v8, v20, v8, s[8:9]
	v_lshlrev_b32_e32 v6, 2, v8
	ds_bpermute_b32 v6, v6, v3
	s_waitcnt lgkmcnt(0)
	v_add_f32_e32 v3, v3, v6
	ds_bpermute_b32 v6, v7, v3
	s_waitcnt lgkmcnt(0)
	v_add_f32_e32 v3, v3, v6
	s_and_saveexec_b64 s[8:9], vcc
	s_cbranch_execz .LBB175_22
; %bb.21:
	ds_write_b32 v2, v3 offset:328
.LBB175_22:
	s_or_b64 exec, exec, s[8:9]
	s_waitcnt lgkmcnt(0)
	s_barrier
	s_and_saveexec_b64 s[8:9], s[0:1]
	s_cbranch_execz .LBB175_24
; %bb.23:
	ds_read_b32 v3, v5 offset:328
.LBB175_24:
	s_or_b64 exec, exec, s[8:9]
	s_waitcnt lgkmcnt(0)
	ds_bpermute_b32 v2, v7, v3
	s_waitcnt lgkmcnt(0)
	v_add_f32_e32 v2, v3, v2
	ds_bpermute_b32 v2, v9, v2
	s_and_saveexec_b64 s[0:1], s[6:7]
	s_cbranch_execz .LBB175_37
; %bb.25:
	s_waitcnt lgkmcnt(0)
	v_add_f32_e32 v2, 0x358637bd, v2
	v_div_scale_f32 v3, s[6:7], v2, v2, 1.0
	v_rcp_f32_e32 v5, v3
	v_div_scale_f32 v6, vcc, 1.0, v2, 1.0
	s_movk_i32 s6, 0x7f
	v_fma_f32 v8, -v3, v5, 1.0
	v_fmac_f32_e32 v5, v8, v5
	v_mul_f32_e32 v8, v6, v5
	v_fma_f32 v9, -v3, v8, v6
	v_fmac_f32_e32 v8, v9, v5
	v_fma_f32 v3, -v3, v8, v6
	v_div_fmas_f32 v3, v3, v5, v8
	v_xad_u32 v5, v0, -1, s30
	v_div_fixup_f32 v2, v3, v2, 1.0
	v_cmp_lt_u32_e32 vcc, s6, v5
	s_mov_b64 s[8:9], -1
	v_mov_b32_e32 v3, v0
	s_and_saveexec_b64 s[6:7], vcc
	s_cbranch_execz .LBB175_34
; %bb.26:
	v_lshrrev_b32_e32 v5, 7, v5
	v_add_u32_e32 v8, -1, v5
	v_lshrrev_b32_e32 v6, 1, v8
	v_mov_b32_e32 v3, v2
	v_add_u32_e32 v6, 1, v6
	v_cmp_lt_u32_e32 vcc, 13, v8
	v_mov_b32_e32 v10, 0
	s_and_saveexec_b64 s[8:9], vcc
	s_cbranch_execz .LBB175_30
; %bb.27:
	v_mov_b32_e32 v9, 0x150
	v_and_b32_e32 v8, -8, v6
	v_lshl_add_u32 v9, v0, 2, v9
	s_mov_b32 s28, 0
	s_mov_b64 s[14:15], 0
.LBB175_28:                             ; =>This Inner Loop Header: Depth=1
	ds_read2st64_b32 v[10:11], v9 offset1:2
	ds_read2st64_b32 v[12:13], v9 offset0:4 offset1:6
	ds_read2st64_b32 v[14:15], v9 offset0:8 offset1:10
	;; [unrolled: 1-line block ×3, first 2 shown]
	v_add_u32_e32 v8, -8, v8
	s_waitcnt lgkmcnt(3)
	v_pk_mul_f32 v[10:11], v[2:3], v[10:11]
	s_waitcnt lgkmcnt(2)
	v_pk_mul_f32 v[12:13], v[2:3], v[12:13]
	ds_write2st64_b32 v9, v10, v11 offset1:2
	ds_write2st64_b32 v9, v12, v13 offset0:4 offset1:6
	ds_read2st64_b32 v[12:13], v9 offset0:16 offset1:18
	s_waitcnt lgkmcnt(4)
	v_pk_mul_f32 v[10:11], v[2:3], v[14:15]
	ds_write2st64_b32 v9, v10, v11 offset0:8 offset1:10
	s_waitcnt lgkmcnt(4)
	v_pk_mul_f32 v[10:11], v[2:3], v[16:17]
	ds_write2st64_b32 v9, v10, v11 offset0:12 offset1:14
	ds_read2st64_b32 v[10:11], v9 offset0:20 offset1:22
	s_waitcnt lgkmcnt(3)
	v_pk_mul_f32 v[12:13], v[2:3], v[12:13]
	ds_read2st64_b32 v[14:15], v9 offset0:24 offset1:26
	ds_write2st64_b32 v9, v12, v13 offset0:16 offset1:18
	ds_read2st64_b32 v[12:13], v9 offset0:28 offset1:30
	s_waitcnt lgkmcnt(3)
	v_pk_mul_f32 v[10:11], v[2:3], v[10:11]
	ds_write2st64_b32 v9, v10, v11 offset0:20 offset1:22
	s_waitcnt lgkmcnt(3)
	v_pk_mul_f32 v[10:11], v[2:3], v[14:15]
	ds_write2st64_b32 v9, v10, v11 offset0:24 offset1:26
	s_waitcnt lgkmcnt(2)
	v_pk_mul_f32 v[10:11], v[2:3], v[12:13]
	s_add_i32 s28, s28, 16
	v_cmp_eq_u32_e32 vcc, 0, v8
	ds_write2st64_b32 v9, v10, v11 offset0:28 offset1:30
	v_add_u32_e32 v9, 0x2000, v9
	s_or_b64 s[14:15], vcc, s[14:15]
	v_mov_b32_e32 v10, s28
	s_andn2_b64 exec, exec, s[14:15]
	s_cbranch_execnz .LBB175_28
; %bb.29:
	s_or_b64 exec, exec, s[14:15]
.LBB175_30:
	s_or_b64 exec, exec, s[8:9]
	v_and_b32_e32 v6, 7, v6
	v_cmp_ne_u32_e32 vcc, 0, v6
	s_and_saveexec_b64 s[8:9], vcc
	s_cbranch_execz .LBB175_33
; %bb.31:
	v_lshlrev_b32_e32 v8, 9, v10
	s_movk_i32 s14, 0x150
	v_add3_u32 v8, v8, v18, s14
	s_mov_b64 s[14:15], 0
.LBB175_32:                             ; =>This Inner Loop Header: Depth=1
	ds_read2st64_b32 v[10:11], v8 offset1:2
	v_add_u32_e32 v6, -1, v6
	v_cmp_eq_u32_e32 vcc, 0, v6
	s_or_b64 s[14:15], vcc, s[14:15]
	s_waitcnt lgkmcnt(0)
	v_pk_mul_f32 v[10:11], v[2:3], v[10:11]
	ds_write2st64_b32 v8, v10, v11 offset1:2
	v_add_u32_e32 v8, 0x400, v8
	s_andn2_b64 exec, exec, s[14:15]
	s_cbranch_execnz .LBB175_32
.LBB175_33:
	s_or_b64 exec, exec, s[8:9]
	v_add_u32_e32 v5, 1, v5
	v_and_b32_e32 v6, 0x3fffffe, v5
	v_cmp_ne_u32_e32 vcc, v5, v6
	v_lshl_add_u32 v3, v6, 7, v0
	s_orn2_b64 s[8:9], vcc, exec
.LBB175_34:
	s_or_b64 exec, exec, s[6:7]
	s_and_b64 exec, exec, s[8:9]
	s_cbranch_execz .LBB175_37
; %bb.35:
	v_mov_b32_e32 v5, 0x150
	v_lshl_add_u32 v5, v3, 2, v5
	s_mov_b64 s[6:7], 0
.LBB175_36:                             ; =>This Inner Loop Header: Depth=1
	ds_read_b32 v6, v5
	v_add_u32_e32 v3, 0x80, v3
	v_cmp_le_i32_e32 vcc, s30, v3
	s_or_b64 s[6:7], vcc, s[6:7]
	s_waitcnt lgkmcnt(0)
	v_mul_f32_e32 v6, v2, v6
	ds_write_b32 v5, v6
	v_add_u32_e32 v5, 0x200, v5
	s_andn2_b64 exec, exec, s[6:7]
	s_cbranch_execnz .LBB175_36
.LBB175_37:
	s_or_b64 exec, exec, s[0:1]
	v_mov_b32_e32 v6, 0
	v_lshrrev_b32_e32 v30, 1, v4
	v_and_b32_e32 v29, 1, v0
	v_mov_b32_e32 v11, v6
	v_mov_b32_e32 v10, v6
	s_waitcnt lgkmcnt(0)
	s_barrier
	s_and_saveexec_b64 s[6:7], s[2:3]
	s_cbranch_execz .LBB175_49
; %bb.38:
	v_and_b32_e32 v2, 4, v18
	s_ashr_i32 s1, s12, 31
	s_load_dword s8, s[10:11], 0x0
	v_or_b32_e32 v3, 64, v30
	s_movk_i32 s2, 0x50
	s_add_u32 s0, s26, s12
	v_cmp_gt_u32_e32 vcc, s2, v3
	v_lshl_or_b32 v12, v3, 3, v2
	v_lshlrev_b32_e32 v3, 3, v28
	s_addc_u32 s1, s27, s1
	s_add_i32 s15, s19, -1
	v_lshl_or_b32 v8, v30, 3, v2
	v_or3_b32 v31, v3, v2, 3
	v_lshlrev_b32_e32 v2, 4, v29
	s_lshl_b64 s[2:3], s[24:25], 2
	v_mov_b32_e32 v9, 0
	v_lshl_or_b32 v2, v28, 5, v2
	s_add_u32 s2, s22, s2
	v_add_u32_e32 v32, 0x150, v2
	v_and_b32_e32 v2, 60, v19
	v_mov_b32_e32 v3, v9
	s_addc_u32 s3, s23, s3
	s_mov_b32 s14, s13
	s_waitcnt lgkmcnt(0)
	s_mov_b32 s9, s8
	v_mov_b32_e32 v13, v9
	v_lshl_add_u64 v[14:15], s[2:3], 0, v[2:3]
	s_mov_b64 s[10:11], 0
	v_mov_b64_e32 v[16:17], s[0:1]
	v_mov_b32_e32 v10, v9
	v_mov_b32_e32 v11, v9
	;; [unrolled: 1-line block ×3, first 2 shown]
	s_branch .LBB175_41
.LBB175_39:                             ;   in Loop: Header=BB175_41 Depth=1
	s_or_b64 exec, exec, s[12:13]
	v_mul_f32_e32 v3, v3, v21
	v_fmac_f32_e32 v3, v2, v20
	v_fmac_f32_e32 v3, v4, v18
	;; [unrolled: 1-line block ×3, first 2 shown]
	v_add_f32_e32 v6, v6, v3
.LBB175_40:                             ;   in Loop: Header=BB175_41 Depth=1
	s_or_b64 exec, exec, s[2:3]
	v_add_u32_e32 v28, 2, v28
	v_cmp_le_i32_e64 s[0:1], s19, v28
	v_add_u32_e32 v31, 16, v31
	v_add_u32_e32 v32, 64, v32
	s_or_b64 s[10:11], s[0:1], s[10:11]
	v_lshl_add_u64 v[14:15], v[14:15], 0, 8
	s_andn2_b64 exec, exec, s[10:11]
	s_cbranch_execz .LBB175_48
.LBB175_41:                             ; =>This Inner Loop Header: Depth=1
	global_load_dword v2, v[14:15], off
	v_add_u32_e32 v33, -3, v31
	s_waitcnt vmcnt(0)
	v_mad_i64_i32 v[18:19], s[0:1], v2, s14, v[16:17]
	v_lshl_add_u64 v[24:25], v[18:19], 0, v[8:9]
	global_load_dword v20, v[24:25], off
	ds_read_b128 v[2:5], v32
	v_cmp_eq_u32_e64 s[0:1], s15, v28
	s_waitcnt vmcnt(0)
	v_and_b32_e32 v21, 0xffff, v20
	v_lshrrev_b32_e32 v22, 16, v20
	v_cvt_pk_f32_fp8_e32 v[20:21], v21
	v_cvt_pk_f32_fp8_e32 v[26:27], v22
	v_pk_mul_f32 v[22:23], s[8:9], v[20:21]
	v_pk_mul_f32 v[20:21], s[8:9], v[26:27]
	s_and_saveexec_b64 s[12:13], s[0:1]
; %bb.42:                               ;   in Loop: Header=BB175_41 Depth=1
	v_cmp_gt_i32_e64 s[2:3], s33, v33
	v_add_u32_e32 v26, -2, v31
	s_nop 0
	v_cndmask_b32_e64 v22, 0, v22, s[2:3]
	v_cmp_gt_i32_e64 s[2:3], s33, v26
	v_add_u32_e32 v26, -1, v31
	s_nop 0
	v_cndmask_b32_e64 v23, 0, v23, s[2:3]
	v_cmp_gt_i32_e64 s[2:3], s33, v26
	s_nop 1
	v_cndmask_b32_e64 v20, 0, v20, s[2:3]
	v_cmp_gt_i32_e64 s[2:3], s33, v31
	s_nop 1
	v_cndmask_b32_e64 v21, 0, v21, s[2:3]
; %bb.43:                               ;   in Loop: Header=BB175_41 Depth=1
	s_or_b64 exec, exec, s[12:13]
	global_load_dword v24, v[24:25], off offset:256
	s_waitcnt vmcnt(0)
	v_and_b32_e32 v25, 0xffff, v24
	v_lshrrev_b32_e32 v26, 16, v24
	v_cvt_pk_f32_fp8_e32 v[24:25], v25
	v_cvt_pk_f32_fp8_e32 v[34:35], v26
	v_pk_mul_f32 v[26:27], s[8:9], v[24:25]
	v_pk_mul_f32 v[24:25], s[8:9], v[34:35]
	s_and_saveexec_b64 s[12:13], s[0:1]
; %bb.44:                               ;   in Loop: Header=BB175_41 Depth=1
	v_cmp_gt_i32_e64 s[2:3], s33, v33
	v_add_u32_e32 v34, -2, v31
	s_nop 0
	v_cndmask_b32_e64 v26, 0, v26, s[2:3]
	v_cmp_gt_i32_e64 s[2:3], s33, v34
	v_add_u32_e32 v34, -1, v31
	s_nop 0
	v_cndmask_b32_e64 v27, 0, v27, s[2:3]
	v_cmp_gt_i32_e64 s[2:3], s33, v34
	s_nop 1
	v_cndmask_b32_e64 v24, 0, v24, s[2:3]
	v_cmp_gt_i32_e64 s[2:3], s33, v31
	s_nop 1
	v_cndmask_b32_e64 v25, 0, v25, s[2:3]
; %bb.45:                               ;   in Loop: Header=BB175_41 Depth=1
	s_or_b64 exec, exec, s[12:13]
	s_waitcnt lgkmcnt(0)
	v_mul_f32_e32 v23, v3, v23
	v_fmac_f32_e32 v23, v2, v22
	v_fmac_f32_e32 v23, v4, v20
	v_mul_f32_e32 v20, v3, v27
	v_fmac_f32_e32 v20, v2, v26
	v_fmac_f32_e32 v20, v4, v24
	;; [unrolled: 1-line block ×4, first 2 shown]
	v_add_f32_e32 v10, v10, v23
	v_add_f32_e32 v11, v11, v20
	s_and_saveexec_b64 s[2:3], vcc
	s_cbranch_execz .LBB175_40
; %bb.46:                               ;   in Loop: Header=BB175_41 Depth=1
	v_lshl_add_u64 v[18:19], v[18:19], 0, v[12:13]
	global_load_dword v18, v[18:19], off
	s_waitcnt vmcnt(0)
	v_and_b32_e32 v19, 0xffff, v18
	v_lshrrev_b32_e32 v20, 16, v18
	v_cvt_pk_f32_fp8_e32 v[18:19], v19
	v_cvt_pk_f32_fp8_e32 v[22:23], v20
	v_pk_mul_f32 v[20:21], s[8:9], v[18:19]
	v_pk_mul_f32 v[18:19], s[8:9], v[22:23]
	s_and_saveexec_b64 s[12:13], s[0:1]
	s_cbranch_execz .LBB175_39
; %bb.47:                               ;   in Loop: Header=BB175_41 Depth=1
	v_cmp_gt_i32_e64 s[0:1], s33, v33
	v_add_u32_e32 v22, -2, v31
	s_nop 0
	v_cndmask_b32_e64 v20, 0, v20, s[0:1]
	v_cmp_gt_i32_e64 s[0:1], s33, v22
	v_add_u32_e32 v22, -1, v31
	s_nop 0
	v_cndmask_b32_e64 v21, 0, v21, s[0:1]
	v_cmp_gt_i32_e64 s[0:1], s33, v22
	s_nop 1
	v_cndmask_b32_e64 v18, 0, v18, s[0:1]
	v_cmp_gt_i32_e64 s[0:1], s33, v31
	s_nop 1
	v_cndmask_b32_e64 v19, 0, v19, s[0:1]
	s_branch .LBB175_39
.LBB175_48:
	s_or_b64 exec, exec, s[10:11]
.LBB175_49:
	s_or_b64 exec, exec, s[6:7]
	ds_bpermute_b32 v2, v7, v10
	ds_bpermute_b32 v3, v7, v11
	;; [unrolled: 1-line block ×3, first 2 shown]
	v_and_b32_e32 v5, 0x3c0, v0
	v_cmp_eq_u32_e32 vcc, 64, v5
	s_waitcnt lgkmcnt(0)
	v_pk_add_f32 v[2:3], v[10:11], v[2:3]
	v_add_f32_e32 v4, v6, v4
	s_barrier
	s_and_saveexec_b64 s[2:3], vcc
	s_cbranch_execz .LBB175_54
; %bb.50:
	v_cmp_eq_u32_e32 vcc, 0, v29
	s_and_saveexec_b64 s[0:1], vcc
	s_cbranch_execz .LBB175_52
; %bb.51:
	v_mov_b32_e32 v5, 0x150
	v_lshl_add_u32 v5, v30, 2, v5
	ds_write2_b32 v5, v2, v3 offset1:32
.LBB175_52:
	s_or_b64 exec, exec, s[0:1]
	v_or_b32_e32 v5, 64, v30
	s_movk_i32 s0, 0x50
	v_cmp_gt_u32_e64 s[0:1], s0, v5
	s_and_b64 s[0:1], vcc, s[0:1]
	s_and_b64 exec, exec, s[0:1]
	s_cbranch_execz .LBB175_54
; %bb.53:
	v_mov_b32_e32 v5, 0x150
	v_lshl_add_u32 v5, v30, 2, v5
	ds_write_b32 v5, v4 offset:256
.LBB175_54:
	s_or_b64 exec, exec, s[2:3]
	v_cmp_gt_u32_e32 vcc, 64, v0
	s_waitcnt lgkmcnt(0)
	s_barrier
	s_and_saveexec_b64 s[6:7], vcc
	s_cbranch_execz .LBB175_62
; %bb.55:
	v_cmp_eq_u32_e64 s[0:1], 0, v29
	s_and_saveexec_b64 s[2:3], s[0:1]
	s_cbranch_execz .LBB175_57
; %bb.56:
	v_mov_b32_e32 v0, 0x150
	v_lshl_add_u32 v0, v1, 2, v0
	ds_read_b32 v0, v0
	s_waitcnt lgkmcnt(0)
	v_add_f32_e32 v2, v2, v0
.LBB175_57:
	s_or_b64 exec, exec, s[2:3]
	s_and_saveexec_b64 s[2:3], s[0:1]
	s_cbranch_execz .LBB175_59
; %bb.58:
	v_mov_b32_e32 v0, 0x150
	v_lshl_add_u32 v0, v1, 2, v0
	ds_read_b32 v0, v0 offset:128
	s_waitcnt lgkmcnt(0)
	v_add_f32_e32 v3, v3, v0
.LBB175_59:
	s_or_b64 exec, exec, s[2:3]
	v_or_b32_e32 v0, 64, v1
	s_movk_i32 s2, 0x50
	v_cmp_gt_u32_e64 s[2:3], s2, v0
	s_and_b64 s[2:3], s[0:1], s[2:3]
	s_and_saveexec_b64 s[0:1], s[2:3]
	s_cbranch_execz .LBB175_61
; %bb.60:
	v_mov_b32_e32 v0, 0x150
	v_lshl_add_u32 v0, v1, 2, v0
	ds_read_b32 v0, v0 offset:256
	s_waitcnt lgkmcnt(0)
	v_add_f32_e32 v4, v4, v0
.LBB175_61:
	s_or_b64 exec, exec, s[0:1]
.LBB175_62:
	s_or_b64 exec, exec, s[6:7]
	s_barrier
	s_and_saveexec_b64 s[0:1], vcc
	s_cbranch_execz .LBB175_67
; %bb.63:
	s_mul_i32 s0, s16, s17
	s_mul_i32 s0, s0, s5
	s_mulk_i32 s0, 0x50
	s_ashr_i32 s1, s0, 31
	s_lshl_b64 s[0:1], s[0:1], 2
	s_add_u32 s2, s20, s0
	s_mul_i32 s0, s17, s18
	s_addc_u32 s3, s21, s1
	s_ashr_i32 s1, s0, 31
	s_lshl_b64 s[0:1], s[0:1], 2
	s_add_u32 s2, s2, s0
	s_mul_i32 s0, s4, 0x50
	s_addc_u32 s3, s3, s1
	s_ashr_i32 s1, s0, 31
	s_lshl_b64 s[0:1], s[0:1], 2
	s_add_u32 s2, s2, s0
	s_movk_i32 s5, 0x50
	s_addc_u32 s3, s3, s1
	v_cmp_eq_u32_e32 vcc, 0, v29
	v_lshlrev_b32_e32 v0, 2, v1
	s_and_saveexec_b64 s[0:1], vcc
	s_cbranch_execz .LBB175_65
; %bb.64:
	global_store_dword v0, v2, s[2:3]
	global_store_dword v0, v3, s[2:3] offset:128
.LBB175_65:
	s_or_b64 exec, exec, s[0:1]
	v_or_b32_e32 v1, 64, v1
	v_cmp_gt_u32_e64 s[0:1], s5, v1
	s_and_b64 s[0:1], vcc, s[0:1]
	s_and_b64 exec, exec, s[0:1]
	s_cbranch_execz .LBB175_67
; %bb.66:
	global_store_dword v0, v4, s[2:3] offset:256
.LBB175_67:
	s_endpgm
	.section	.rodata,"a",@progbits
	.p2align	6, 0x0
	.amdhsa_kernel _ZN4vllm25paged_attention_v1_kernelIfhLi80ELi8ELi128ELNS_18Fp8KVCacheDataTypeE1ELb0EEEvPT_PKS2_PKT0_S8_ifPKiSA_iPKfiiiSC_SC_iiiii
		.amdhsa_group_segment_fixed_size 336
		.amdhsa_private_segment_fixed_size 0
		.amdhsa_kernarg_size 384
		.amdhsa_user_sgpr_count 2
		.amdhsa_user_sgpr_dispatch_ptr 0
		.amdhsa_user_sgpr_queue_ptr 0
		.amdhsa_user_sgpr_kernarg_segment_ptr 1
		.amdhsa_user_sgpr_dispatch_id 0
		.amdhsa_user_sgpr_kernarg_preload_length 0
		.amdhsa_user_sgpr_kernarg_preload_offset 0
		.amdhsa_user_sgpr_private_segment_size 0
		.amdhsa_uses_dynamic_stack 0
		.amdhsa_enable_private_segment 0
		.amdhsa_system_sgpr_workgroup_id_x 1
		.amdhsa_system_sgpr_workgroup_id_y 1
		.amdhsa_system_sgpr_workgroup_id_z 1
		.amdhsa_system_sgpr_workgroup_info 0
		.amdhsa_system_vgpr_workitem_id 0
		.amdhsa_next_free_vgpr 42
		.amdhsa_next_free_sgpr 37
		.amdhsa_accum_offset 44
		.amdhsa_reserve_vcc 1
		.amdhsa_float_round_mode_32 0
		.amdhsa_float_round_mode_16_64 0
		.amdhsa_float_denorm_mode_32 3
		.amdhsa_float_denorm_mode_16_64 3
		.amdhsa_dx10_clamp 1
		.amdhsa_ieee_mode 1
		.amdhsa_fp16_overflow 0
		.amdhsa_tg_split 0
		.amdhsa_exception_fp_ieee_invalid_op 0
		.amdhsa_exception_fp_denorm_src 0
		.amdhsa_exception_fp_ieee_div_zero 0
		.amdhsa_exception_fp_ieee_overflow 0
		.amdhsa_exception_fp_ieee_underflow 0
		.amdhsa_exception_fp_ieee_inexact 0
		.amdhsa_exception_int_div_zero 0
	.end_amdhsa_kernel
	.section	.text._ZN4vllm25paged_attention_v1_kernelIfhLi80ELi8ELi128ELNS_18Fp8KVCacheDataTypeE1ELb0EEEvPT_PKS2_PKT0_S8_ifPKiSA_iPKfiiiSC_SC_iiiii,"axG",@progbits,_ZN4vllm25paged_attention_v1_kernelIfhLi80ELi8ELi128ELNS_18Fp8KVCacheDataTypeE1ELb0EEEvPT_PKS2_PKT0_S8_ifPKiSA_iPKfiiiSC_SC_iiiii,comdat
.Lfunc_end175:
	.size	_ZN4vllm25paged_attention_v1_kernelIfhLi80ELi8ELi128ELNS_18Fp8KVCacheDataTypeE1ELb0EEEvPT_PKS2_PKT0_S8_ifPKiSA_iPKfiiiSC_SC_iiiii, .Lfunc_end175-_ZN4vllm25paged_attention_v1_kernelIfhLi80ELi8ELi128ELNS_18Fp8KVCacheDataTypeE1ELb0EEEvPT_PKS2_PKT0_S8_ifPKiSA_iPKfiiiSC_SC_iiiii
                                        ; -- End function
	.section	.AMDGPU.csdata,"",@progbits
; Kernel info:
; codeLenInByte = 3996
; NumSgprs: 43
; NumVgprs: 42
; NumAgprs: 0
; TotalNumVgprs: 42
; ScratchSize: 0
; MemoryBound: 0
; FloatMode: 240
; IeeeMode: 1
; LDSByteSize: 336 bytes/workgroup (compile time only)
; SGPRBlocks: 5
; VGPRBlocks: 5
; NumSGPRsForWavesPerEU: 43
; NumVGPRsForWavesPerEU: 42
; AccumOffset: 44
; Occupancy: 8
; WaveLimiterHint : 1
; COMPUTE_PGM_RSRC2:SCRATCH_EN: 0
; COMPUTE_PGM_RSRC2:USER_SGPR: 2
; COMPUTE_PGM_RSRC2:TRAP_HANDLER: 0
; COMPUTE_PGM_RSRC2:TGID_X_EN: 1
; COMPUTE_PGM_RSRC2:TGID_Y_EN: 1
; COMPUTE_PGM_RSRC2:TGID_Z_EN: 1
; COMPUTE_PGM_RSRC2:TIDIG_COMP_CNT: 0
; COMPUTE_PGM_RSRC3_GFX90A:ACCUM_OFFSET: 10
; COMPUTE_PGM_RSRC3_GFX90A:TG_SPLIT: 0
	.section	.text._ZN4vllm25paged_attention_v1_kernelIfhLi96ELi8ELi128ELNS_18Fp8KVCacheDataTypeE1ELb0EEEvPT_PKS2_PKT0_S8_ifPKiSA_iPKfiiiSC_SC_iiiii,"axG",@progbits,_ZN4vllm25paged_attention_v1_kernelIfhLi96ELi8ELi128ELNS_18Fp8KVCacheDataTypeE1ELb0EEEvPT_PKS2_PKT0_S8_ifPKiSA_iPKfiiiSC_SC_iiiii,comdat
	.protected	_ZN4vllm25paged_attention_v1_kernelIfhLi96ELi8ELi128ELNS_18Fp8KVCacheDataTypeE1ELb0EEEvPT_PKS2_PKT0_S8_ifPKiSA_iPKfiiiSC_SC_iiiii ; -- Begin function _ZN4vllm25paged_attention_v1_kernelIfhLi96ELi8ELi128ELNS_18Fp8KVCacheDataTypeE1ELb0EEEvPT_PKS2_PKT0_S8_ifPKiSA_iPKfiiiSC_SC_iiiii
	.globl	_ZN4vllm25paged_attention_v1_kernelIfhLi96ELi8ELi128ELNS_18Fp8KVCacheDataTypeE1ELb0EEEvPT_PKS2_PKT0_S8_ifPKiSA_iPKfiiiSC_SC_iiiii
	.p2align	8
	.type	_ZN4vllm25paged_attention_v1_kernelIfhLi96ELi8ELi128ELNS_18Fp8KVCacheDataTypeE1ELb0EEEvPT_PKS2_PKT0_S8_ifPKiSA_iPKfiiiSC_SC_iiiii,@function
_ZN4vllm25paged_attention_v1_kernelIfhLi96ELi8ELi128ELNS_18Fp8KVCacheDataTypeE1ELb0EEEvPT_PKS2_PKT0_S8_ifPKiSA_iPKfiiiSC_SC_iiiii: ; @_ZN4vllm25paged_attention_v1_kernelIfhLi96ELi8ELi128ELNS_18Fp8KVCacheDataTypeE1ELb0EEEvPT_PKS2_PKT0_S8_ifPKiSA_iPKfiiiSC_SC_iiiii
; %bb.0:
	s_load_dword s5, s[0:1], 0x80
	s_load_dwordx2 s[6:7], s[0:1], 0x30
	s_load_dwordx2 s[28:29], s[0:1], 0x20
	s_mov_b32 s16, s3
	s_ashr_i32 s17, s3, 31
	s_lshl_b64 s[8:9], s[16:17], 2
	s_waitcnt lgkmcnt(0)
	s_add_u32 s6, s6, s8
	s_addc_u32 s7, s7, s9
	s_abs_i32 s3, s28
	v_cvt_f32_u32_e32 v1, s3
	s_sub_i32 s10, 0, s3
	s_abs_i32 s9, s5
	s_xor_b32 s8, s5, s28
	v_rcp_iflag_f32_e32 v1, v1
	s_ashr_i32 s8, s8, 31
	s_mov_b32 s28, 0
	v_mul_f32_e32 v1, 0x4f7ffffe, v1
	v_cvt_u32_f32_e32 v1, v1
	s_nop 0
	v_readfirstlane_b32 s11, v1
	s_mul_i32 s10, s10, s11
	s_mul_hi_u32 s10, s11, s10
	s_add_i32 s11, s11, s10
	s_mul_hi_u32 s10, s9, s11
	s_mul_i32 s11, s10, s3
	s_sub_i32 s9, s9, s11
	s_add_i32 s11, s10, 1
	s_sub_i32 s12, s9, s3
	s_cmp_ge_u32 s9, s3
	s_cselect_b32 s10, s11, s10
	s_cselect_b32 s9, s12, s9
	s_add_i32 s11, s10, 1
	s_cmp_ge_u32 s9, s3
	s_cselect_b32 s3, s11, s10
	s_xor_b32 s3, s3, s8
	s_sub_i32 s12, s3, s8
	s_abs_i32 s10, s12
	v_cvt_f32_u32_e32 v1, s10
	s_load_dwordx2 s[8:9], s[0:1], 0x40
	s_sub_i32 s3, 0, s10
	s_abs_i32 s11, s2
	v_rcp_iflag_f32_e32 v1, v1
	s_nop 0
	v_mul_f32_e32 v1, 0x4f7ffffe, v1
	v_cvt_u32_f32_e32 v1, v1
	s_nop 0
	v_readfirstlane_b32 s13, v1
	s_mul_i32 s3, s3, s13
	s_mul_hi_u32 s3, s13, s3
	s_add_i32 s13, s13, s3
	s_waitcnt lgkmcnt(0)
	s_cmp_eq_u64 s[8:9], 0
	s_mul_hi_u32 s20, s11, s13
	s_cbranch_scc1 .LBB176_2
; %bb.1:
	s_ashr_i32 s3, s2, 31
	s_lshl_b64 s[14:15], s[2:3], 2
	s_add_u32 s8, s8, s14
	s_addc_u32 s9, s9, s15
	s_load_dword s28, s[8:9], 0x0
.LBB176_2:
	s_load_dword s17, s[6:7], 0x0
	s_ashr_i32 s7, s12, 31
	s_load_dwordx4 s[12:15], s[0:1], 0x48
	s_movk_i32 s3, 0x60
	s_ashr_i32 s6, s2, 31
	v_and_b32_e32 v14, 7, v0
	s_mul_i32 s18, s2, 0x60
	v_cmp_gt_u32_e32 vcc, s3, v0
	v_lshlrev_b32_e32 v20, 2, v0
	v_lshrrev_b32_e32 v1, 1, v0
	s_and_saveexec_b64 s[2:3], vcc
	s_cbranch_execz .LBB176_4
; %bb.3:
	s_load_dwordx2 s[8:9], s[0:1], 0x8
	s_waitcnt lgkmcnt(0)
	s_mul_i32 s22, s16, s12
	s_ashr_i32 s23, s22, 31
	s_lshl_b64 s[22:23], s[22:23], 2
	v_and_b32_e32 v3, 0x1fc, v1
	s_add_u32 s12, s8, s22
	s_addc_u32 s15, s9, s23
	s_ashr_i32 s19, s18, 31
	s_lshl_b64 s[8:9], s[18:19], 2
	s_add_u32 s8, s12, s8
	s_addc_u32 s9, s15, s9
	global_load_dword v2, v20, s[8:9]
	v_mad_u32_u24 v3, v14, 48, v3
	s_waitcnt vmcnt(0)
	ds_write_b32 v3, v2
.LBB176_4:
	s_or_b64 exec, exec, s[2:3]
	s_waitcnt lgkmcnt(0)
	s_add_i32 s3, s17, 7
	s_ashr_i32 s8, s3, 31
	s_lshr_b32 s8, s8, 29
	s_add_i32 s3, s3, s8
	s_ashr_i32 s19, s3, 3
	s_xor_b32 s3, s6, s7
	s_mul_i32 s6, s20, s10
	s_sub_i32 s6, s11, s6
	s_add_i32 s7, s20, 1
	s_sub_i32 s8, s6, s10
	s_load_dwordx2 s[22:23], s[0:1], 0x28
	s_load_dword s2, s[0:1], 0x38
	s_cmp_ge_u32 s6, s10
	s_cselect_b32 s7, s7, s20
	s_cselect_b32 s6, s8, s6
	s_add_i32 s8, s7, 1
	s_cmp_ge_u32 s6, s10
	s_cselect_b32 s6, s8, s7
	v_lshrrev_b32_e32 v24, 6, v0
	s_xor_b32 s6, s6, s3
	s_waitcnt lgkmcnt(0)
	s_mul_i32 s24, s16, s2
	s_sub_i32 s33, s6, s3
	s_ashr_i32 s25, s24, 31
	v_cmp_gt_i32_e64 s[2:3], s19, v24
	v_cmp_le_i32_e32 vcc, s19, v24
	v_mbcnt_lo_u32_b32 v15, -1, 0
	s_barrier
	s_waitcnt lgkmcnt(0)
                                        ; implicit-def: $sgpr15
                                        ; implicit-def: $vgpr22
                                        ; implicit-def: $vgpr23
	s_and_saveexec_b64 s[6:7], vcc
	s_xor_b64 s[6:7], exec, s[6:7]
; %bb.5:
	v_mbcnt_hi_u32_b32 v22, -1, v15
	v_and_b32_e32 v2, 64, v22
	v_add_u32_e32 v23, 64, v2
	s_mov_b32 s15, 0xff7fffff
                                        ; implicit-def: $vgpr14
                                        ; implicit-def: $vgpr15
; %bb.6:
	s_or_saveexec_b64 s[30:31], s[6:7]
	s_load_dwordx2 s[20:21], s[0:1], 0x0
	s_load_dwordx2 s[26:27], s[0:1], 0x18
	s_load_dword s12, s[0:1], 0x88
	s_load_dwordx4 s[8:11], s[0:1], 0x58
	v_mov_b32_e32 v25, s15
	s_mul_i32 s33, s33, s14
	v_lshrrev_b32_e32 v21, 4, v0
	s_xor_b64 exec, exec, s[30:31]
	s_cbranch_execz .LBB176_12
; %bb.7:
	v_mbcnt_hi_u32_b32 v22, -1, v15
	s_load_dwordx2 s[0:1], s[0:1], 0x10
	v_and_b32_e32 v15, 64, v22
	v_add_u32_e32 v23, 64, v15
	v_xor_b32_e32 v15, 4, v22
	v_cmp_lt_i32_e32 vcc, v15, v23
	s_ashr_i32 s6, s33, 31
	v_mul_u32_u24_e32 v10, 48, v14
	v_cndmask_b32_e32 v15, v22, v15, vcc
	v_lshlrev_b32_e32 v26, 2, v15
	v_xor_b32_e32 v15, 2, v22
	v_bfe_u32 v25, v0, 3, 3
	s_waitcnt lgkmcnt(0)
	s_add_u32 s0, s0, s33
	ds_read_b128 v[2:5], v10
	ds_read_b128 v[6:9], v10 offset:16
	ds_read_b128 v[10:13], v10 offset:32
	v_cmp_lt_i32_e32 vcc, v15, v23
	v_lshlrev_b32_e32 v18, 4, v25
	s_addc_u32 s1, s1, s6
	v_mov_b32_e32 v19, 0
	v_cndmask_b32_e32 v15, v22, v15, vcc
	s_load_dword s35, s[8:9], 0x0
	v_lshl_add_u64 v[16:17], s[0:1], 0, v[18:19]
	v_lshlrev_b32_e32 v27, 2, v15
	v_xor_b32_e32 v15, 1, v22
	s_sub_i32 s36, 1, s17
	v_lshlrev_b32_e32 v18, 2, v25
	s_lshl_b64 s[6:7], s[24:25], 2
	v_cmp_lt_i32_e32 vcc, v15, v23
	v_lshl_or_b32 v18, v24, 5, v18
	s_add_u32 s6, s22, s6
	v_cndmask_b32_e32 v15, v22, v15, vcc
	v_add_u32_e32 v30, 0x190, v18
	v_and_b32_e32 v18, 60, v21
	s_addc_u32 s7, s23, s7
	s_mov_b32 s34, s13
	v_lshlrev_b32_e32 v28, 2, v15
	v_cmp_eq_u32_e32 vcc, 0, v14
	v_cmp_neq_f32_e64 s[0:1], s28, 0
	v_mov_b32_e32 v15, v19
	v_lshl_or_b32 v29, v24, 3, v25
	v_lshl_add_u64 v[18:19], s[6:7], 0, v[18:19]
	s_mov_b64 s[8:9], 0
	v_mov_b32_e32 v25, 0xff7fffff
	v_mov_b32_e32 v31, v24
	s_branch .LBB176_9
.LBB176_8:                              ;   in Loop: Header=BB176_9 Depth=1
	s_or_b64 exec, exec, s[14:15]
	v_add_u32_e32 v31, 2, v31
	v_cmp_le_i32_e64 s[6:7], s19, v31
	v_add_u32_e32 v29, 16, v29
	v_add_u32_e32 v30, 64, v30
	s_or_b64 s[8:9], s[6:7], s[8:9]
	v_lshl_add_u64 v[18:19], v[18:19], 0, 8
	s_andn2_b64 exec, exec, s[8:9]
	s_cbranch_execz .LBB176_11
.LBB176_9:                              ; =>This Inner Loop Header: Depth=1
	global_load_dword v32, v[18:19], off
	s_waitcnt vmcnt(0) lgkmcnt(0)
	v_mad_i64_i32 v[32:33], s[6:7], v32, s34, v[16:17]
	v_lshl_add_u64 v[32:33], v[32:33], 0, v[14:15]
	global_load_ubyte v34, v[32:33], off
	global_load_ubyte v35, v[32:33], off offset:8
	global_load_ubyte v36, v[32:33], off offset:128
	;; [unrolled: 1-line block ×11, first 2 shown]
	s_waitcnt vmcnt(11)
	v_cvt_f32_fp8_sdwa v32, v34 src0_sel:BYTE_0
	s_waitcnt vmcnt(10)
	v_cvt_f32_fp8_sdwa v33, v35 src0_sel:BYTE_0
	s_waitcnt vmcnt(9)
	v_cvt_f32_fp8_sdwa v34, v36 src0_sel:BYTE_0
	s_waitcnt vmcnt(8)
	v_cvt_f32_fp8_sdwa v35, v37 src0_sel:BYTE_0
	s_waitcnt vmcnt(7)
	v_cvt_f32_fp8_sdwa v36, v38 src0_sel:BYTE_0
	s_waitcnt lgkmcnt(0)
	v_mul_f32_e32 v33, s35, v33
	s_waitcnt vmcnt(6)
	v_cvt_f32_fp8_sdwa v37, v39 src0_sel:BYTE_0
	v_mul_f32_e32 v32, s35, v32
	v_mul_f32_e32 v33, v3, v33
	s_waitcnt vmcnt(5)
	v_cvt_f32_fp8_sdwa v38, v40 src0_sel:BYTE_0
	v_mul_f32_e32 v34, s35, v34
	v_fmac_f32_e32 v33, v2, v32
	s_waitcnt vmcnt(4)
	v_cvt_f32_fp8_sdwa v39, v41 src0_sel:BYTE_0
	v_mul_f32_e32 v35, s35, v35
	v_fmac_f32_e32 v33, v4, v34
	;; [unrolled: 4-line block ×6, first 2 shown]
	v_mul_f32_e32 v40, s35, v40
	v_fmac_f32_e32 v33, v9, v39
	v_mul_f32_e32 v41, s35, v41
	v_fmac_f32_e32 v33, v10, v40
	;; [unrolled: 2-line block ×4, first 2 shown]
	v_fmac_f32_e32 v33, v13, v43
	ds_bpermute_b32 v32, v26, v33
	s_waitcnt lgkmcnt(0)
	v_add_f32_e32 v32, v33, v32
	ds_bpermute_b32 v33, v27, v32
	s_waitcnt lgkmcnt(0)
	v_add_f32_e32 v32, v32, v33
	ds_bpermute_b32 v33, v28, v32
	s_and_saveexec_b64 s[14:15], vcc
	s_cbranch_execz .LBB176_8
; %bb.10:                               ;   in Loop: Header=BB176_9 Depth=1
	v_add_u32_e32 v34, s36, v29
	v_cvt_f32_i32_e32 v34, v34
	s_waitcnt lgkmcnt(0)
	v_add_f32_e32 v32, v32, v33
	v_cmp_gt_i32_e64 s[6:7], s17, v29
	v_max_f32_e32 v33, v25, v25
	v_mul_f32_e32 v34, s28, v34
	v_cndmask_b32_e64 v34, 0, v34, s[0:1]
	v_fmac_f32_e32 v34, s29, v32
	v_cndmask_b32_e64 v32, 0, v34, s[6:7]
	ds_write_b32 v30, v32
	v_max_f32_e32 v32, v33, v34
	v_cndmask_b32_e64 v25, v25, v32, s[6:7]
	s_branch .LBB176_8
.LBB176_11:
	s_or_b64 exec, exec, s[8:9]
.LBB176_12:
	s_or_b64 exec, exec, s[30:31]
	v_xor_b32_e32 v2, 32, v22
	v_cmp_lt_i32_e32 vcc, v2, v23
	v_xor_b32_e32 v5, 16, v22
	v_max_f32_e32 v4, v25, v25
	v_cndmask_b32_e32 v2, v22, v2, vcc
	v_lshlrev_b32_e32 v3, 2, v2
	ds_bpermute_b32 v2, v3, v25
	v_cmp_lt_i32_e32 vcc, v5, v23
	v_xor_b32_e32 v6, 8, v22
	v_and_b32_e32 v25, 63, v0
	s_waitcnt lgkmcnt(0)
	v_max_f32_e32 v2, v2, v2
	v_max_f32_e32 v2, v4, v2
	v_cndmask_b32_e32 v4, v22, v5, vcc
	v_lshlrev_b32_e32 v5, 2, v4
	ds_bpermute_b32 v4, v5, v2
	v_cmp_lt_i32_e32 vcc, v6, v23
	s_waitcnt lgkmcnt(0)
	v_max_f32_e32 v4, v4, v4
	v_max_f32_e32 v4, v2, v4
	v_cndmask_b32_e32 v2, v22, v6, vcc
	v_lshlrev_b32_e32 v6, 2, v2
	ds_bpermute_b32 v7, v6, v4
	v_cmp_eq_u32_e32 vcc, 0, v25
	v_lshlrev_b32_e32 v2, 2, v24
	s_and_saveexec_b64 s[0:1], vcc
	s_cbranch_execz .LBB176_14
; %bb.13:
	s_waitcnt lgkmcnt(0)
	v_max_f32_e32 v7, v7, v7
	v_max_f32_e32 v4, v4, v4
	;; [unrolled: 1-line block ×3, first 2 shown]
	ds_write_b32 v2, v4 offset:384
.LBB176_14:
	s_or_b64 exec, exec, s[0:1]
	v_cmp_gt_u32_e64 s[0:1], 2, v25
	s_waitcnt lgkmcnt(0)
	v_mov_b32_e32 v7, 0xff7fffff
	v_lshlrev_b32_e32 v4, 2, v25
	s_barrier
	s_and_saveexec_b64 s[6:7], s[0:1]
	s_cbranch_execz .LBB176_16
; %bb.15:
	ds_read_b32 v7, v4 offset:384
.LBB176_16:
	s_or_b64 exec, exec, s[6:7]
	v_xor_b32_e32 v8, 1, v22
	v_cmp_lt_i32_e64 s[6:7], v8, v23
	v_lshlrev_b32_e32 v9, 2, v22
	s_nop 0
	v_cndmask_b32_e64 v8, v22, v8, s[6:7]
	v_lshlrev_b32_e32 v26, 2, v8
	s_waitcnt lgkmcnt(0)
	ds_bpermute_b32 v8, v26, v7
	v_max_f32_e32 v7, v7, v7
	s_lshl_b32 s6, s19, 3
	s_min_i32 s30, s6, s17
	v_cmp_gt_i32_e64 s[6:7], s30, v0
	s_waitcnt lgkmcnt(0)
	v_max_f32_e32 v8, v8, v8
	v_max_f32_e32 v8, v7, v8
	v_and_b32_e32 v7, 0xffffff00, v9
	ds_bpermute_b32 v9, v7, v8
	v_mov_b32_e32 v8, 0
	s_and_saveexec_b64 s[14:15], s[6:7]
	s_cbranch_execz .LBB176_20
; %bb.17:
	v_mov_b32_e32 v8, 0x190
	v_lshl_add_u32 v10, v0, 2, v8
	s_mov_b64 s[28:29], 0
	v_mov_b32_e32 v8, 0
	v_mov_b32_e32 v11, v0
.LBB176_18:                             ; =>This Inner Loop Header: Depth=1
	ds_read_b32 v12, v10
	v_add_u32_e32 v11, 0x80, v11
	v_cmp_le_i32_e64 s[8:9], s30, v11
	s_or_b64 s[28:29], s[8:9], s[28:29]
	s_waitcnt lgkmcnt(0)
	v_sub_f32_e32 v12, v12, v9
	v_mul_f32_e32 v12, 0x3fb8aa3b, v12
	v_exp_f32_e32 v12, v12
	ds_write_b32 v10, v12
	v_add_f32_e32 v8, v8, v12
	v_add_u32_e32 v10, 0x200, v10
	s_andn2_b64 exec, exec, s[28:29]
	s_cbranch_execnz .LBB176_18
; %bb.19:
	s_or_b64 exec, exec, s[28:29]
.LBB176_20:
	s_or_b64 exec, exec, s[14:15]
	ds_bpermute_b32 v3, v3, v8
	s_waitcnt lgkmcnt(0)
	v_add_f32_e32 v3, v8, v3
	ds_bpermute_b32 v5, v5, v3
	s_waitcnt lgkmcnt(0)
	v_add_f32_e32 v3, v3, v5
	ds_bpermute_b32 v5, v6, v3
	v_xor_b32_e32 v6, 4, v22
	v_cmp_lt_i32_e64 s[8:9], v6, v23
	s_waitcnt lgkmcnt(0)
	v_add_f32_e32 v3, v3, v5
	v_cndmask_b32_e64 v6, v22, v6, s[8:9]
	v_lshlrev_b32_e32 v6, 2, v6
	ds_bpermute_b32 v5, v6, v3
	v_xor_b32_e32 v6, 2, v22
	v_cmp_lt_i32_e64 s[8:9], v6, v23
	s_waitcnt lgkmcnt(0)
	v_add_f32_e32 v3, v3, v5
	v_cndmask_b32_e64 v6, v22, v6, s[8:9]
	v_lshlrev_b32_e32 v5, 2, v6
	ds_bpermute_b32 v5, v5, v3
	s_waitcnt lgkmcnt(0)
	v_add_f32_e32 v3, v3, v5
	ds_bpermute_b32 v5, v26, v3
	s_waitcnt lgkmcnt(0)
	v_add_f32_e32 v3, v3, v5
	s_and_saveexec_b64 s[8:9], vcc
	s_cbranch_execz .LBB176_22
; %bb.21:
	ds_write_b32 v2, v3 offset:392
.LBB176_22:
	s_or_b64 exec, exec, s[8:9]
	s_waitcnt lgkmcnt(0)
	s_barrier
	s_and_saveexec_b64 s[8:9], s[0:1]
	s_cbranch_execz .LBB176_24
; %bb.23:
	ds_read_b32 v3, v4 offset:392
.LBB176_24:
	s_or_b64 exec, exec, s[8:9]
	s_waitcnt lgkmcnt(0)
	ds_bpermute_b32 v2, v26, v3
	s_waitcnt lgkmcnt(0)
	v_add_f32_e32 v2, v3, v2
	ds_bpermute_b32 v2, v7, v2
	s_and_saveexec_b64 s[0:1], s[6:7]
	s_cbranch_execz .LBB176_37
; %bb.25:
	s_waitcnt lgkmcnt(0)
	v_add_f32_e32 v2, 0x358637bd, v2
	v_div_scale_f32 v3, s[6:7], v2, v2, 1.0
	v_rcp_f32_e32 v4, v3
	v_div_scale_f32 v5, vcc, 1.0, v2, 1.0
	s_movk_i32 s6, 0x7f
	v_fma_f32 v6, -v3, v4, 1.0
	v_fmac_f32_e32 v4, v6, v4
	v_mul_f32_e32 v6, v5, v4
	v_fma_f32 v7, -v3, v6, v5
	v_fmac_f32_e32 v6, v7, v4
	v_fma_f32 v3, -v3, v6, v5
	v_div_fmas_f32 v3, v3, v4, v6
	v_xad_u32 v4, v0, -1, s30
	v_div_fixup_f32 v2, v3, v2, 1.0
	v_cmp_lt_u32_e32 vcc, s6, v4
	s_mov_b64 s[8:9], -1
	v_mov_b32_e32 v3, v0
	s_and_saveexec_b64 s[6:7], vcc
	s_cbranch_execz .LBB176_34
; %bb.26:
	v_lshrrev_b32_e32 v4, 7, v4
	v_add_u32_e32 v6, -1, v4
	v_lshrrev_b32_e32 v5, 1, v6
	v_mov_b32_e32 v3, v2
	v_add_u32_e32 v5, 1, v5
	v_cmp_lt_u32_e32 vcc, 13, v6
	v_mov_b32_e32 v8, 0
	s_and_saveexec_b64 s[8:9], vcc
	s_cbranch_execz .LBB176_30
; %bb.27:
	v_mov_b32_e32 v7, 0x190
	v_and_b32_e32 v6, -8, v5
	v_lshl_add_u32 v7, v0, 2, v7
	s_mov_b32 s28, 0
	s_mov_b64 s[14:15], 0
.LBB176_28:                             ; =>This Inner Loop Header: Depth=1
	ds_read2st64_b32 v[8:9], v7 offset1:2
	ds_read2st64_b32 v[10:11], v7 offset0:4 offset1:6
	ds_read2st64_b32 v[12:13], v7 offset0:8 offset1:10
	;; [unrolled: 1-line block ×3, first 2 shown]
	v_add_u32_e32 v6, -8, v6
	s_waitcnt lgkmcnt(3)
	v_pk_mul_f32 v[8:9], v[2:3], v[8:9]
	s_waitcnt lgkmcnt(2)
	v_pk_mul_f32 v[10:11], v[2:3], v[10:11]
	ds_write2st64_b32 v7, v8, v9 offset1:2
	ds_write2st64_b32 v7, v10, v11 offset0:4 offset1:6
	ds_read2st64_b32 v[10:11], v7 offset0:16 offset1:18
	s_waitcnt lgkmcnt(4)
	v_pk_mul_f32 v[8:9], v[2:3], v[12:13]
	ds_write2st64_b32 v7, v8, v9 offset0:8 offset1:10
	s_waitcnt lgkmcnt(4)
	v_pk_mul_f32 v[8:9], v[2:3], v[14:15]
	ds_write2st64_b32 v7, v8, v9 offset0:12 offset1:14
	ds_read2st64_b32 v[8:9], v7 offset0:20 offset1:22
	s_waitcnt lgkmcnt(3)
	v_pk_mul_f32 v[10:11], v[2:3], v[10:11]
	ds_read2st64_b32 v[12:13], v7 offset0:24 offset1:26
	ds_write2st64_b32 v7, v10, v11 offset0:16 offset1:18
	ds_read2st64_b32 v[10:11], v7 offset0:28 offset1:30
	s_waitcnt lgkmcnt(3)
	v_pk_mul_f32 v[8:9], v[2:3], v[8:9]
	ds_write2st64_b32 v7, v8, v9 offset0:20 offset1:22
	s_waitcnt lgkmcnt(3)
	v_pk_mul_f32 v[8:9], v[2:3], v[12:13]
	ds_write2st64_b32 v7, v8, v9 offset0:24 offset1:26
	s_waitcnt lgkmcnt(2)
	v_pk_mul_f32 v[8:9], v[2:3], v[10:11]
	s_add_i32 s28, s28, 16
	v_cmp_eq_u32_e32 vcc, 0, v6
	ds_write2st64_b32 v7, v8, v9 offset0:28 offset1:30
	v_add_u32_e32 v7, 0x2000, v7
	s_or_b64 s[14:15], vcc, s[14:15]
	v_mov_b32_e32 v8, s28
	s_andn2_b64 exec, exec, s[14:15]
	s_cbranch_execnz .LBB176_28
; %bb.29:
	s_or_b64 exec, exec, s[14:15]
.LBB176_30:
	s_or_b64 exec, exec, s[8:9]
	v_and_b32_e32 v5, 7, v5
	v_cmp_ne_u32_e32 vcc, 0, v5
	s_and_saveexec_b64 s[8:9], vcc
	s_cbranch_execz .LBB176_33
; %bb.31:
	v_lshlrev_b32_e32 v6, 9, v8
	s_movk_i32 s14, 0x190
	v_add3_u32 v6, v6, v20, s14
	s_mov_b64 s[14:15], 0
.LBB176_32:                             ; =>This Inner Loop Header: Depth=1
	ds_read2st64_b32 v[8:9], v6 offset1:2
	v_add_u32_e32 v5, -1, v5
	v_cmp_eq_u32_e32 vcc, 0, v5
	s_or_b64 s[14:15], vcc, s[14:15]
	s_waitcnt lgkmcnt(0)
	v_pk_mul_f32 v[8:9], v[2:3], v[8:9]
	ds_write2st64_b32 v6, v8, v9 offset1:2
	v_add_u32_e32 v6, 0x400, v6
	s_andn2_b64 exec, exec, s[14:15]
	s_cbranch_execnz .LBB176_32
.LBB176_33:
	s_or_b64 exec, exec, s[8:9]
	v_add_u32_e32 v4, 1, v4
	v_and_b32_e32 v5, 0x3fffffe, v4
	v_cmp_ne_u32_e32 vcc, v4, v5
	v_lshl_add_u32 v3, v5, 7, v0
	s_orn2_b64 s[8:9], vcc, exec
.LBB176_34:
	s_or_b64 exec, exec, s[6:7]
	s_and_b64 exec, exec, s[8:9]
	s_cbranch_execz .LBB176_37
; %bb.35:
	v_mov_b32_e32 v4, 0x190
	v_lshl_add_u32 v4, v3, 2, v4
	s_mov_b64 s[6:7], 0
.LBB176_36:                             ; =>This Inner Loop Header: Depth=1
	ds_read_b32 v5, v4
	v_add_u32_e32 v3, 0x80, v3
	v_cmp_le_i32_e32 vcc, s30, v3
	s_or_b64 s[6:7], vcc, s[6:7]
	s_waitcnt lgkmcnt(0)
	v_mul_f32_e32 v5, v2, v5
	ds_write_b32 v4, v5
	v_add_u32_e32 v4, 0x200, v4
	s_andn2_b64 exec, exec, s[6:7]
	s_cbranch_execnz .LBB176_36
.LBB176_37:
	s_or_b64 exec, exec, s[0:1]
	v_mov_b32_e32 v28, 0
	v_and_b32_e32 v27, 1, v0
	v_mov_b32_e32 v7, 0
	v_mov_b32_e32 v6, 0
	s_waitcnt lgkmcnt(0)
	s_barrier
	s_and_saveexec_b64 s[6:7], s[2:3]
	s_cbranch_execz .LBB176_47
; %bb.38:
	s_ashr_i32 s1, s33, 31
	s_load_dword s2, s[10:11], 0x0
	s_add_u32 s0, s26, s33
	s_addc_u32 s1, s27, s1
	v_and_b32_e32 v6, 0xfc, v20
	v_mov_b32_e32 v7, 0
	v_and_b32_e32 v2, 4, v20
	s_add_i32 s14, s19, -1
	v_lshl_add_u64 v[8:9], s[0:1], 0, v[6:7]
	v_lshlrev_b32_e32 v3, 3, v24
	s_lshl_b64 s[0:1], s[24:25], 2
	v_or3_b32 v29, v3, v2, 3
	v_lshlrev_b32_e32 v2, 4, v27
	s_add_u32 s0, s22, s0
	v_lshl_or_b32 v2, v24, 5, v2
	v_and_b32_e32 v6, 60, v21
	s_addc_u32 s1, s23, s1
	s_waitcnt lgkmcnt(0)
	s_mov_b32 s3, s2
	v_add_u32_e32 v30, 0x190, v2
	v_lshl_add_u64 v[10:11], s[0:1], 0, v[6:7]
	s_mov_b64 s[8:9], 0
	v_mov_b32_e32 v6, v7
	v_mov_b32_e32 v28, v7
	s_branch .LBB176_40
.LBB176_39:                             ;   in Loop: Header=BB176_40 Depth=1
	s_or_b64 exec, exec, s[0:1]
	s_waitcnt lgkmcnt(0)
	v_mul_f32_e32 v15, v3, v15
	v_fmac_f32_e32 v15, v2, v14
	v_fmac_f32_e32 v15, v4, v12
	v_mul_f32_e32 v12, v3, v21
	v_mul_f32_e32 v3, v3, v23
	v_fmac_f32_e32 v12, v2, v20
	v_fmac_f32_e32 v3, v2, v22
	;; [unrolled: 1-line block ×4, first 2 shown]
	v_add_u32_e32 v24, 2, v24
	v_fmac_f32_e32 v15, v5, v13
	v_fmac_f32_e32 v12, v5, v19
	;; [unrolled: 1-line block ×3, first 2 shown]
	v_cmp_le_i32_e32 vcc, s19, v24
	v_add_f32_e32 v6, v6, v15
	v_add_f32_e32 v7, v7, v12
	;; [unrolled: 1-line block ×3, first 2 shown]
	v_add_u32_e32 v29, 16, v29
	v_add_u32_e32 v30, 64, v30
	s_or_b64 s[8:9], vcc, s[8:9]
	v_lshl_add_u64 v[10:11], v[10:11], 0, 8
	s_andn2_b64 exec, exec, s[8:9]
	s_cbranch_execz .LBB176_46
.LBB176_40:                             ; =>This Inner Loop Header: Depth=1
	global_load_dword v2, v[10:11], off
	v_add_u32_e32 v31, -3, v29
	v_cmp_eq_u32_e32 vcc, s14, v24
	v_add_u32_e32 v32, -2, v29
	v_add_u32_e32 v33, -1, v29
	s_waitcnt vmcnt(0)
	v_mad_i64_i32 v[16:17], s[0:1], v2, s13, v[8:9]
	global_load_dword v12, v[16:17], off
	ds_read_b128 v[2:5], v30
	s_waitcnt vmcnt(0)
	v_and_b32_e32 v13, 0xffff, v12
	v_lshrrev_b32_e32 v14, 16, v12
	v_cvt_pk_f32_fp8_e32 v[12:13], v13
	v_cvt_pk_f32_fp8_e32 v[18:19], v14
	v_pk_mul_f32 v[14:15], s[2:3], v[12:13]
	v_pk_mul_f32 v[12:13], s[2:3], v[18:19]
	s_and_saveexec_b64 s[10:11], vcc
; %bb.41:                               ;   in Loop: Header=BB176_40 Depth=1
	v_cmp_gt_i32_e64 s[0:1], s17, v31
	s_nop 1
	v_cndmask_b32_e64 v14, 0, v14, s[0:1]
	v_cmp_gt_i32_e64 s[0:1], s17, v32
	s_nop 1
	v_cndmask_b32_e64 v15, 0, v15, s[0:1]
	v_cmp_gt_i32_e64 s[0:1], s17, v33
	s_nop 1
	v_cndmask_b32_e64 v12, 0, v12, s[0:1]
	v_cmp_gt_i32_e64 s[0:1], s17, v29
	s_nop 1
	v_cndmask_b32_e64 v13, 0, v13, s[0:1]
; %bb.42:                               ;   in Loop: Header=BB176_40 Depth=1
	s_or_b64 exec, exec, s[10:11]
	global_load_dword v18, v[16:17], off offset:256
	s_waitcnt vmcnt(0)
	v_and_b32_e32 v19, 0xffff, v18
	v_lshrrev_b32_e32 v20, 16, v18
	v_cvt_pk_f32_fp8_e32 v[18:19], v19
	v_cvt_pk_f32_fp8_e32 v[22:23], v20
	v_pk_mul_f32 v[20:21], s[2:3], v[18:19]
	v_pk_mul_f32 v[18:19], s[2:3], v[22:23]
	s_and_saveexec_b64 s[10:11], vcc
; %bb.43:                               ;   in Loop: Header=BB176_40 Depth=1
	v_cmp_gt_i32_e64 s[0:1], s17, v31
	s_nop 1
	v_cndmask_b32_e64 v20, 0, v20, s[0:1]
	v_cmp_gt_i32_e64 s[0:1], s17, v32
	s_nop 1
	v_cndmask_b32_e64 v21, 0, v21, s[0:1]
	;; [unrolled: 3-line block ×4, first 2 shown]
; %bb.44:                               ;   in Loop: Header=BB176_40 Depth=1
	s_or_b64 exec, exec, s[10:11]
	global_load_dword v16, v[16:17], off offset:512
	s_waitcnt vmcnt(0)
	v_and_b32_e32 v17, 0xffff, v16
	v_lshrrev_b32_e32 v22, 16, v16
	v_cvt_pk_f32_fp8_e32 v[16:17], v17
	v_cvt_pk_f32_fp8_e32 v[34:35], v22
	v_pk_mul_f32 v[22:23], s[2:3], v[16:17]
	v_pk_mul_f32 v[16:17], s[2:3], v[34:35]
	s_and_saveexec_b64 s[0:1], vcc
	s_cbranch_execz .LBB176_39
; %bb.45:                               ;   in Loop: Header=BB176_40 Depth=1
	v_cmp_gt_i32_e32 vcc, s17, v31
	s_nop 1
	v_cndmask_b32_e32 v22, 0, v22, vcc
	v_cmp_gt_i32_e32 vcc, s17, v32
	s_nop 1
	v_cndmask_b32_e32 v23, 0, v23, vcc
	;; [unrolled: 3-line block ×4, first 2 shown]
	s_branch .LBB176_39
.LBB176_46:
	s_or_b64 exec, exec, s[8:9]
.LBB176_47:
	s_or_b64 exec, exec, s[6:7]
	ds_bpermute_b32 v2, v26, v6
	ds_bpermute_b32 v3, v26, v7
	;; [unrolled: 1-line block ×3, first 2 shown]
	v_and_b32_e32 v5, 0x3c1, v0
	v_cmp_eq_u32_e32 vcc, 64, v5
	s_waitcnt lgkmcnt(0)
	v_pk_add_f32 v[2:3], v[6:7], v[2:3]
	v_add_f32_e32 v4, v28, v4
	s_barrier
	s_and_saveexec_b64 s[0:1], vcc
	s_cbranch_execz .LBB176_49
; %bb.48:
	v_mov_b32_e32 v6, 0x190
	v_lshl_add_u32 v6, v25, 1, v6
	ds_write2_b32 v6, v2, v3 offset1:32
	ds_write_b32 v6, v4 offset:256
.LBB176_49:
	s_or_b64 exec, exec, s[0:1]
	v_cmp_gt_u32_e32 vcc, 64, v0
	s_waitcnt lgkmcnt(0)
	s_barrier
	s_and_saveexec_b64 s[0:1], vcc
	s_cbranch_execz .LBB176_55
; %bb.50:
	v_cmp_eq_u32_e32 vcc, 0, v27
	s_and_saveexec_b64 s[2:3], vcc
	s_cbranch_execnz .LBB176_58
; %bb.51:
	s_or_b64 exec, exec, s[2:3]
	s_and_saveexec_b64 s[2:3], vcc
	s_cbranch_execnz .LBB176_59
.LBB176_52:
	s_or_b64 exec, exec, s[2:3]
	s_and_saveexec_b64 s[2:3], vcc
	s_cbranch_execz .LBB176_54
.LBB176_53:
	v_mov_b32_e32 v6, 0x190
	v_lshl_add_u32 v1, v1, 2, v6
	ds_read_b32 v1, v1 offset:256
	s_waitcnt lgkmcnt(0)
	v_add_f32_e32 v4, v4, v1
.LBB176_54:
	s_or_b64 exec, exec, s[2:3]
.LBB176_55:
	s_or_b64 exec, exec, s[0:1]
	v_cmp_eq_u32_e32 vcc, 0, v5
	s_barrier
	s_and_saveexec_b64 s[0:1], vcc
	s_cbranch_execz .LBB176_57
; %bb.56:
	s_mul_i32 s0, s16, s12
	s_mul_i32 s0, s0, s5
	s_mulk_i32 s0, 0x60
	s_ashr_i32 s1, s0, 31
	s_lshl_b64 s[0:1], s[0:1], 2
	s_add_u32 s2, s20, s0
	s_mul_i32 s0, s12, s18
	s_addc_u32 s3, s21, s1
	s_ashr_i32 s1, s0, 31
	s_lshl_b64 s[0:1], s[0:1], 2
	s_add_u32 s2, s2, s0
	s_mul_i32 s0, s4, 0x60
	s_addc_u32 s3, s3, s1
	s_ashr_i32 s1, s0, 31
	s_lshl_b64 s[0:1], s[0:1], 2
	s_add_u32 s0, s2, s0
	s_addc_u32 s1, s3, s1
	v_lshlrev_b32_e32 v0, 1, v0
	global_store_dword v0, v2, s[0:1]
	global_store_dword v0, v3, s[0:1] offset:128
	global_store_dword v0, v4, s[0:1] offset:256
.LBB176_57:
	s_endpgm
.LBB176_58:
	v_mov_b32_e32 v6, 0x190
	v_lshl_add_u32 v6, v1, 2, v6
	ds_read_b32 v6, v6
	s_waitcnt lgkmcnt(0)
	v_add_f32_e32 v2, v2, v6
	s_or_b64 exec, exec, s[2:3]
	s_and_saveexec_b64 s[2:3], vcc
	s_cbranch_execz .LBB176_52
.LBB176_59:
	v_mov_b32_e32 v6, 0x190
	v_lshl_add_u32 v6, v1, 2, v6
	ds_read_b32 v6, v6 offset:128
	s_waitcnt lgkmcnt(0)
	v_add_f32_e32 v3, v3, v6
	s_or_b64 exec, exec, s[2:3]
	s_and_saveexec_b64 s[2:3], vcc
	s_cbranch_execnz .LBB176_53
	s_branch .LBB176_54
	.section	.rodata,"a",@progbits
	.p2align	6, 0x0
	.amdhsa_kernel _ZN4vllm25paged_attention_v1_kernelIfhLi96ELi8ELi128ELNS_18Fp8KVCacheDataTypeE1ELb0EEEvPT_PKS2_PKT0_S8_ifPKiSA_iPKfiiiSC_SC_iiiii
		.amdhsa_group_segment_fixed_size 400
		.amdhsa_private_segment_fixed_size 0
		.amdhsa_kernarg_size 384
		.amdhsa_user_sgpr_count 2
		.amdhsa_user_sgpr_dispatch_ptr 0
		.amdhsa_user_sgpr_queue_ptr 0
		.amdhsa_user_sgpr_kernarg_segment_ptr 1
		.amdhsa_user_sgpr_dispatch_id 0
		.amdhsa_user_sgpr_kernarg_preload_length 0
		.amdhsa_user_sgpr_kernarg_preload_offset 0
		.amdhsa_user_sgpr_private_segment_size 0
		.amdhsa_uses_dynamic_stack 0
		.amdhsa_enable_private_segment 0
		.amdhsa_system_sgpr_workgroup_id_x 1
		.amdhsa_system_sgpr_workgroup_id_y 1
		.amdhsa_system_sgpr_workgroup_id_z 1
		.amdhsa_system_sgpr_workgroup_info 0
		.amdhsa_system_vgpr_workitem_id 0
		.amdhsa_next_free_vgpr 46
		.amdhsa_next_free_sgpr 37
		.amdhsa_accum_offset 48
		.amdhsa_reserve_vcc 1
		.amdhsa_float_round_mode_32 0
		.amdhsa_float_round_mode_16_64 0
		.amdhsa_float_denorm_mode_32 3
		.amdhsa_float_denorm_mode_16_64 3
		.amdhsa_dx10_clamp 1
		.amdhsa_ieee_mode 1
		.amdhsa_fp16_overflow 0
		.amdhsa_tg_split 0
		.amdhsa_exception_fp_ieee_invalid_op 0
		.amdhsa_exception_fp_denorm_src 0
		.amdhsa_exception_fp_ieee_div_zero 0
		.amdhsa_exception_fp_ieee_overflow 0
		.amdhsa_exception_fp_ieee_underflow 0
		.amdhsa_exception_fp_ieee_inexact 0
		.amdhsa_exception_int_div_zero 0
	.end_amdhsa_kernel
	.section	.text._ZN4vllm25paged_attention_v1_kernelIfhLi96ELi8ELi128ELNS_18Fp8KVCacheDataTypeE1ELb0EEEvPT_PKS2_PKT0_S8_ifPKiSA_iPKfiiiSC_SC_iiiii,"axG",@progbits,_ZN4vllm25paged_attention_v1_kernelIfhLi96ELi8ELi128ELNS_18Fp8KVCacheDataTypeE1ELb0EEEvPT_PKS2_PKT0_S8_ifPKiSA_iPKfiiiSC_SC_iiiii,comdat
.Lfunc_end176:
	.size	_ZN4vllm25paged_attention_v1_kernelIfhLi96ELi8ELi128ELNS_18Fp8KVCacheDataTypeE1ELb0EEEvPT_PKS2_PKT0_S8_ifPKiSA_iPKfiiiSC_SC_iiiii, .Lfunc_end176-_ZN4vllm25paged_attention_v1_kernelIfhLi96ELi8ELi128ELNS_18Fp8KVCacheDataTypeE1ELb0EEEvPT_PKS2_PKT0_S8_ifPKiSA_iPKfiiiSC_SC_iiiii
                                        ; -- End function
	.section	.AMDGPU.csdata,"",@progbits
; Kernel info:
; codeLenInByte = 3836
; NumSgprs: 43
; NumVgprs: 46
; NumAgprs: 0
; TotalNumVgprs: 46
; ScratchSize: 0
; MemoryBound: 0
; FloatMode: 240
; IeeeMode: 1
; LDSByteSize: 400 bytes/workgroup (compile time only)
; SGPRBlocks: 5
; VGPRBlocks: 5
; NumSGPRsForWavesPerEU: 43
; NumVGPRsForWavesPerEU: 46
; AccumOffset: 48
; Occupancy: 8
; WaveLimiterHint : 1
; COMPUTE_PGM_RSRC2:SCRATCH_EN: 0
; COMPUTE_PGM_RSRC2:USER_SGPR: 2
; COMPUTE_PGM_RSRC2:TRAP_HANDLER: 0
; COMPUTE_PGM_RSRC2:TGID_X_EN: 1
; COMPUTE_PGM_RSRC2:TGID_Y_EN: 1
; COMPUTE_PGM_RSRC2:TGID_Z_EN: 1
; COMPUTE_PGM_RSRC2:TIDIG_COMP_CNT: 0
; COMPUTE_PGM_RSRC3_GFX90A:ACCUM_OFFSET: 11
; COMPUTE_PGM_RSRC3_GFX90A:TG_SPLIT: 0
	.section	.text._ZN4vllm25paged_attention_v1_kernelIfhLi112ELi8ELi128ELNS_18Fp8KVCacheDataTypeE1ELb0EEEvPT_PKS2_PKT0_S8_ifPKiSA_iPKfiiiSC_SC_iiiii,"axG",@progbits,_ZN4vllm25paged_attention_v1_kernelIfhLi112ELi8ELi128ELNS_18Fp8KVCacheDataTypeE1ELb0EEEvPT_PKS2_PKT0_S8_ifPKiSA_iPKfiiiSC_SC_iiiii,comdat
	.protected	_ZN4vllm25paged_attention_v1_kernelIfhLi112ELi8ELi128ELNS_18Fp8KVCacheDataTypeE1ELb0EEEvPT_PKS2_PKT0_S8_ifPKiSA_iPKfiiiSC_SC_iiiii ; -- Begin function _ZN4vllm25paged_attention_v1_kernelIfhLi112ELi8ELi128ELNS_18Fp8KVCacheDataTypeE1ELb0EEEvPT_PKS2_PKT0_S8_ifPKiSA_iPKfiiiSC_SC_iiiii
	.globl	_ZN4vllm25paged_attention_v1_kernelIfhLi112ELi8ELi128ELNS_18Fp8KVCacheDataTypeE1ELb0EEEvPT_PKS2_PKT0_S8_ifPKiSA_iPKfiiiSC_SC_iiiii
	.p2align	8
	.type	_ZN4vllm25paged_attention_v1_kernelIfhLi112ELi8ELi128ELNS_18Fp8KVCacheDataTypeE1ELb0EEEvPT_PKS2_PKT0_S8_ifPKiSA_iPKfiiiSC_SC_iiiii,@function
_ZN4vllm25paged_attention_v1_kernelIfhLi112ELi8ELi128ELNS_18Fp8KVCacheDataTypeE1ELb0EEEvPT_PKS2_PKT0_S8_ifPKiSA_iPKfiiiSC_SC_iiiii: ; @_ZN4vllm25paged_attention_v1_kernelIfhLi112ELi8ELi128ELNS_18Fp8KVCacheDataTypeE1ELb0EEEvPT_PKS2_PKT0_S8_ifPKiSA_iPKfiiiSC_SC_iiiii
; %bb.0:
	s_load_dword s5, s[0:1], 0x80
	s_load_dwordx2 s[6:7], s[0:1], 0x30
	s_load_dwordx2 s[28:29], s[0:1], 0x20
	s_mov_b32 s16, s3
	s_ashr_i32 s17, s3, 31
	s_lshl_b64 s[8:9], s[16:17], 2
	s_waitcnt lgkmcnt(0)
	s_add_u32 s6, s6, s8
	s_addc_u32 s7, s7, s9
	s_abs_i32 s3, s28
	v_cvt_f32_u32_e32 v1, s3
	s_sub_i32 s10, 0, s3
	s_abs_i32 s9, s5
	s_xor_b32 s8, s5, s28
	v_rcp_iflag_f32_e32 v1, v1
	s_ashr_i32 s8, s8, 31
	s_mov_b32 s28, 0
	v_mul_f32_e32 v1, 0x4f7ffffe, v1
	v_cvt_u32_f32_e32 v1, v1
	s_nop 0
	v_readfirstlane_b32 s11, v1
	s_mul_i32 s10, s10, s11
	s_mul_hi_u32 s10, s11, s10
	s_add_i32 s11, s11, s10
	s_mul_hi_u32 s10, s9, s11
	s_mul_i32 s11, s10, s3
	s_sub_i32 s9, s9, s11
	s_add_i32 s11, s10, 1
	s_sub_i32 s12, s9, s3
	s_cmp_ge_u32 s9, s3
	s_cselect_b32 s10, s11, s10
	s_cselect_b32 s9, s12, s9
	s_add_i32 s11, s10, 1
	s_cmp_ge_u32 s9, s3
	s_cselect_b32 s3, s11, s10
	s_xor_b32 s3, s3, s8
	s_sub_i32 s12, s3, s8
	s_abs_i32 s10, s12
	v_cvt_f32_u32_e32 v1, s10
	s_load_dwordx2 s[8:9], s[0:1], 0x40
	s_sub_i32 s3, 0, s10
	s_abs_i32 s11, s2
	v_rcp_iflag_f32_e32 v1, v1
	s_nop 0
	v_mul_f32_e32 v1, 0x4f7ffffe, v1
	v_cvt_u32_f32_e32 v1, v1
	s_nop 0
	v_readfirstlane_b32 s13, v1
	s_mul_i32 s3, s3, s13
	s_mul_hi_u32 s3, s13, s3
	s_add_i32 s13, s13, s3
	s_waitcnt lgkmcnt(0)
	s_cmp_eq_u64 s[8:9], 0
	s_mul_hi_u32 s17, s11, s13
	s_cbranch_scc1 .LBB177_2
; %bb.1:
	s_ashr_i32 s3, s2, 31
	s_lshl_b64 s[14:15], s[2:3], 2
	s_add_u32 s8, s8, s14
	s_addc_u32 s9, s9, s15
	s_load_dword s28, s[8:9], 0x0
.LBB177_2:
	s_load_dword s33, s[6:7], 0x0
	s_ashr_i32 s7, s12, 31
	s_load_dwordx4 s[12:15], s[0:1], 0x48
	s_movk_i32 s3, 0x70
	s_ashr_i32 s6, s2, 31
	v_and_b32_e32 v14, 7, v0
	s_mul_i32 s18, s2, 0x70
	v_cmp_gt_u32_e32 vcc, s3, v0
	v_lshlrev_b32_e32 v22, 2, v0
	v_lshrrev_b32_e32 v1, 1, v0
	s_and_saveexec_b64 s[2:3], vcc
	s_cbranch_execz .LBB177_4
; %bb.3:
	s_load_dwordx2 s[8:9], s[0:1], 0x8
	s_waitcnt lgkmcnt(0)
	s_mul_i32 s20, s16, s12
	s_ashr_i32 s21, s20, 31
	s_lshl_b64 s[20:21], s[20:21], 2
	v_and_b32_e32 v3, 0x1fc, v1
	s_add_u32 s12, s8, s20
	s_addc_u32 s15, s9, s21
	s_ashr_i32 s19, s18, 31
	s_lshl_b64 s[8:9], s[18:19], 2
	s_add_u32 s8, s12, s8
	s_addc_u32 s9, s15, s9
	global_load_dword v2, v22, s[8:9]
	v_mad_u32_u24 v3, v14, 56, v3
	s_waitcnt vmcnt(0)
	ds_write_b32 v3, v2
.LBB177_4:
	s_or_b64 exec, exec, s[2:3]
	s_waitcnt lgkmcnt(0)
	s_add_i32 s3, s33, 7
	s_ashr_i32 s8, s3, 31
	s_lshr_b32 s8, s8, 29
	s_add_i32 s3, s3, s8
	s_ashr_i32 s19, s3, 3
	s_xor_b32 s3, s6, s7
	s_mul_i32 s6, s17, s10
	s_sub_i32 s6, s11, s6
	s_add_i32 s7, s17, 1
	s_sub_i32 s8, s6, s10
	s_load_dwordx2 s[22:23], s[0:1], 0x28
	s_load_dword s2, s[0:1], 0x38
	s_cmp_ge_u32 s6, s10
	s_cselect_b32 s7, s7, s17
	s_cselect_b32 s6, s8, s6
	s_add_i32 s8, s7, 1
	s_cmp_ge_u32 s6, s10
	s_cselect_b32 s6, s8, s7
	v_lshrrev_b32_e32 v32, 6, v0
	s_xor_b32 s6, s6, s3
	s_waitcnt lgkmcnt(0)
	s_mul_i32 s24, s16, s2
	s_sub_i32 s12, s6, s3
	s_ashr_i32 s25, s24, 31
	v_cmp_gt_i32_e64 s[2:3], s19, v32
	v_cmp_le_i32_e32 vcc, s19, v32
	v_mbcnt_lo_u32_b32 v15, -1, 0
	s_barrier
	s_waitcnt lgkmcnt(0)
                                        ; implicit-def: $sgpr15
                                        ; implicit-def: $vgpr24
                                        ; implicit-def: $vgpr25
	s_and_saveexec_b64 s[6:7], vcc
	s_xor_b64 s[6:7], exec, s[6:7]
; %bb.5:
	v_mbcnt_hi_u32_b32 v24, -1, v15
	v_and_b32_e32 v2, 64, v24
	v_add_u32_e32 v25, 64, v2
	s_mov_b32 s15, 0xff7fffff
                                        ; implicit-def: $vgpr14
                                        ; implicit-def: $vgpr15
; %bb.6:
	s_or_saveexec_b64 s[30:31], s[6:7]
	s_load_dwordx2 s[20:21], s[0:1], 0x0
	s_load_dwordx2 s[26:27], s[0:1], 0x18
	s_load_dword s17, s[0:1], 0x88
	s_load_dwordx4 s[8:11], s[0:1], 0x58
	v_mov_b32_e32 v26, s15
	s_mul_i32 s12, s12, s14
	v_lshrrev_b32_e32 v23, 4, v0
	s_xor_b64 exec, exec, s[30:31]
	s_cbranch_execz .LBB177_12
; %bb.7:
	v_mbcnt_hi_u32_b32 v24, -1, v15
	s_load_dwordx2 s[0:1], s[0:1], 0x10
	v_and_b32_e32 v15, 64, v24
	v_add_u32_e32 v25, 64, v15
	v_xor_b32_e32 v15, 4, v24
	v_cmp_lt_i32_e32 vcc, v15, v25
	v_mul_u32_u24_e32 v18, 56, v14
	s_ashr_i32 s6, s12, 31
	v_cndmask_b32_e32 v15, v24, v15, vcc
	ds_read2_b64 v[2:5], v18 offset1:1
	ds_read2_b64 v[6:9], v18 offset0:2 offset1:3
	ds_read2_b64 v[10:13], v18 offset0:4 offset1:5
	ds_read_b64 v[18:19], v18 offset:48
	v_lshlrev_b32_e32 v27, 2, v15
	v_xor_b32_e32 v15, 2, v24
	v_bfe_u32 v26, v0, 3, 3
	s_waitcnt lgkmcnt(0)
	s_add_u32 s0, s0, s12
	v_cmp_lt_i32_e32 vcc, v15, v25
	v_lshlrev_b32_e32 v20, 4, v26
	s_addc_u32 s1, s1, s6
	v_mov_b32_e32 v21, 0
	v_cndmask_b32_e32 v15, v24, v15, vcc
	s_load_dword s35, s[8:9], 0x0
	v_lshl_add_u64 v[16:17], s[0:1], 0, v[20:21]
	v_lshlrev_b32_e32 v28, 2, v15
	v_xor_b32_e32 v15, 1, v24
	s_sub_i32 s36, 1, s33
	v_lshlrev_b32_e32 v20, 2, v26
	s_lshl_b64 s[6:7], s[24:25], 2
	v_cmp_lt_i32_e32 vcc, v15, v25
	v_lshl_or_b32 v20, v32, 5, v20
	s_add_u32 s6, s22, s6
	v_cndmask_b32_e32 v15, v24, v15, vcc
	v_add_u32_e32 v31, 0x1d0, v20
	v_and_b32_e32 v20, 60, v23
	s_addc_u32 s7, s23, s7
	s_mov_b32 s34, s13
	v_lshlrev_b32_e32 v29, 2, v15
	v_cmp_eq_u32_e32 vcc, 0, v14
	v_cmp_neq_f32_e64 s[0:1], s28, 0
	v_mov_b32_e32 v15, v21
	v_lshl_or_b32 v30, v32, 3, v26
	v_lshl_add_u64 v[20:21], s[6:7], 0, v[20:21]
	s_mov_b64 s[8:9], 0
	v_mov_b32_e32 v26, 0xff7fffff
	v_mov_b32_e32 v33, v32
	s_branch .LBB177_9
.LBB177_8:                              ;   in Loop: Header=BB177_9 Depth=1
	s_or_b64 exec, exec, s[14:15]
	v_add_u32_e32 v33, 2, v33
	v_cmp_le_i32_e64 s[6:7], s19, v33
	v_add_u32_e32 v30, 16, v30
	v_add_u32_e32 v31, 64, v31
	s_or_b64 s[8:9], s[6:7], s[8:9]
	v_lshl_add_u64 v[20:21], v[20:21], 0, 8
	s_andn2_b64 exec, exec, s[8:9]
	s_cbranch_execz .LBB177_11
.LBB177_9:                              ; =>This Inner Loop Header: Depth=1
	global_load_dword v34, v[20:21], off
	s_waitcnt vmcnt(0) lgkmcnt(0)
	v_mad_i64_i32 v[34:35], s[6:7], v34, s34, v[16:17]
	v_lshl_add_u64 v[34:35], v[34:35], 0, v[14:15]
	global_load_ubyte v36, v[34:35], off
	global_load_ubyte v37, v[34:35], off offset:8
	global_load_ubyte v38, v[34:35], off offset:128
	;; [unrolled: 1-line block ×13, first 2 shown]
	s_waitcnt vmcnt(13)
	v_cvt_f32_fp8_sdwa v34, v36 src0_sel:BYTE_0
	s_waitcnt vmcnt(12)
	v_cvt_f32_fp8_sdwa v35, v37 src0_sel:BYTE_0
	;; [unrolled: 2-line block ×5, first 2 shown]
	s_waitcnt lgkmcnt(0)
	v_mul_f32_e32 v35, s35, v35
	s_waitcnt vmcnt(8)
	v_cvt_f32_fp8_sdwa v39, v41 src0_sel:BYTE_0
	v_mul_f32_e32 v34, s35, v34
	v_mul_f32_e32 v35, v3, v35
	s_waitcnt vmcnt(7)
	v_cvt_f32_fp8_sdwa v40, v42 src0_sel:BYTE_0
	v_mul_f32_e32 v36, s35, v36
	v_fmac_f32_e32 v35, v2, v34
	s_waitcnt vmcnt(6)
	v_cvt_f32_fp8_sdwa v41, v43 src0_sel:BYTE_0
	v_mul_f32_e32 v37, s35, v37
	v_fmac_f32_e32 v35, v4, v36
	s_waitcnt vmcnt(5)
	v_cvt_f32_fp8_sdwa v42, v44 src0_sel:BYTE_0
	v_mul_f32_e32 v38, s35, v38
	v_fmac_f32_e32 v35, v5, v37
	s_waitcnt vmcnt(4)
	v_cvt_f32_fp8_sdwa v43, v45 src0_sel:BYTE_0
	v_mul_f32_e32 v39, s35, v39
	v_fmac_f32_e32 v35, v6, v38
	s_waitcnt vmcnt(3)
	v_cvt_f32_fp8_sdwa v44, v46 src0_sel:BYTE_0
	v_mul_f32_e32 v40, s35, v40
	v_fmac_f32_e32 v35, v7, v39
	s_waitcnt vmcnt(2)
	v_cvt_f32_fp8_sdwa v45, v47 src0_sel:BYTE_0
	v_mul_f32_e32 v41, s35, v41
	v_fmac_f32_e32 v35, v8, v40
	s_waitcnt vmcnt(1)
	v_cvt_f32_fp8_sdwa v46, v48 src0_sel:BYTE_0
	v_mul_f32_e32 v42, s35, v42
	v_fmac_f32_e32 v35, v9, v41
	s_waitcnt vmcnt(0)
	v_cvt_f32_fp8_sdwa v47, v49 src0_sel:BYTE_0
	v_mul_f32_e32 v43, s35, v43
	v_fmac_f32_e32 v35, v10, v42
	v_mul_f32_e32 v44, s35, v44
	v_fmac_f32_e32 v35, v11, v43
	v_mul_f32_e32 v45, s35, v45
	v_fmac_f32_e32 v35, v12, v44
	;; [unrolled: 2-line block ×4, first 2 shown]
	v_fmac_f32_e32 v35, v19, v47
	ds_bpermute_b32 v34, v27, v35
	s_waitcnt lgkmcnt(0)
	v_add_f32_e32 v34, v35, v34
	ds_bpermute_b32 v35, v28, v34
	s_waitcnt lgkmcnt(0)
	v_add_f32_e32 v34, v34, v35
	ds_bpermute_b32 v35, v29, v34
	s_and_saveexec_b64 s[14:15], vcc
	s_cbranch_execz .LBB177_8
; %bb.10:                               ;   in Loop: Header=BB177_9 Depth=1
	v_add_u32_e32 v36, s36, v30
	v_cvt_f32_i32_e32 v36, v36
	s_waitcnt lgkmcnt(0)
	v_add_f32_e32 v34, v34, v35
	v_cmp_gt_i32_e64 s[6:7], s33, v30
	v_max_f32_e32 v35, v26, v26
	v_mul_f32_e32 v36, s28, v36
	v_cndmask_b32_e64 v36, 0, v36, s[0:1]
	v_fmac_f32_e32 v36, s29, v34
	v_cndmask_b32_e64 v34, 0, v36, s[6:7]
	ds_write_b32 v31, v34
	v_max_f32_e32 v34, v35, v36
	v_cndmask_b32_e64 v26, v26, v34, s[6:7]
	s_branch .LBB177_8
.LBB177_11:
	s_or_b64 exec, exec, s[8:9]
.LBB177_12:
	s_or_b64 exec, exec, s[30:31]
	v_xor_b32_e32 v2, 32, v24
	v_cmp_lt_i32_e32 vcc, v2, v25
	v_xor_b32_e32 v5, 16, v24
	v_max_f32_e32 v4, v26, v26
	v_cndmask_b32_e32 v2, v24, v2, vcc
	v_lshlrev_b32_e32 v3, 2, v2
	ds_bpermute_b32 v2, v3, v26
	v_cmp_lt_i32_e32 vcc, v5, v25
	v_xor_b32_e32 v7, 8, v24
	s_waitcnt lgkmcnt(0)
	v_max_f32_e32 v2, v2, v2
	v_max_f32_e32 v2, v4, v2
	v_cndmask_b32_e32 v4, v24, v5, vcc
	v_lshlrev_b32_e32 v6, 2, v4
	ds_bpermute_b32 v4, v6, v2
	v_cmp_lt_i32_e32 vcc, v7, v25
	s_waitcnt lgkmcnt(0)
	v_max_f32_e32 v4, v4, v4
	v_max_f32_e32 v5, v2, v4
	v_cndmask_b32_e32 v2, v24, v7, vcc
	v_lshlrev_b32_e32 v7, 2, v2
	ds_bpermute_b32 v8, v7, v5
	v_and_b32_e32 v4, 63, v0
	v_cmp_eq_u32_e32 vcc, 0, v4
	v_lshlrev_b32_e32 v2, 2, v32
	s_and_saveexec_b64 s[0:1], vcc
	s_cbranch_execz .LBB177_14
; %bb.13:
	s_waitcnt lgkmcnt(0)
	v_max_f32_e32 v8, v8, v8
	v_max_f32_e32 v5, v5, v5
	;; [unrolled: 1-line block ×3, first 2 shown]
	ds_write_b32 v2, v5 offset:448
.LBB177_14:
	s_or_b64 exec, exec, s[0:1]
	v_cmp_gt_u32_e64 s[0:1], 2, v4
	s_waitcnt lgkmcnt(0)
	v_mov_b32_e32 v8, 0xff7fffff
	v_lshlrev_b32_e32 v5, 2, v4
	s_barrier
	s_and_saveexec_b64 s[6:7], s[0:1]
	s_cbranch_execz .LBB177_16
; %bb.15:
	ds_read_b32 v8, v5 offset:448
.LBB177_16:
	s_or_b64 exec, exec, s[6:7]
	v_xor_b32_e32 v9, 1, v24
	v_cmp_lt_i32_e64 s[6:7], v9, v25
	v_lshlrev_b32_e32 v10, 2, v24
	s_nop 0
	v_cndmask_b32_e64 v9, v24, v9, s[6:7]
	v_lshlrev_b32_e32 v33, 2, v9
	s_waitcnt lgkmcnt(0)
	ds_bpermute_b32 v9, v33, v8
	v_max_f32_e32 v8, v8, v8
	s_lshl_b32 s6, s19, 3
	s_min_i32 s30, s6, s33
	v_cmp_gt_i32_e64 s[6:7], s30, v0
	s_waitcnt lgkmcnt(0)
	v_max_f32_e32 v9, v9, v9
	v_max_f32_e32 v9, v8, v9
	v_and_b32_e32 v8, 0xffffff00, v10
	ds_bpermute_b32 v10, v8, v9
	v_mov_b32_e32 v9, 0
	s_and_saveexec_b64 s[14:15], s[6:7]
	s_cbranch_execz .LBB177_20
; %bb.17:
	v_mov_b32_e32 v9, 0x1d0
	v_lshl_add_u32 v11, v0, 2, v9
	s_mov_b64 s[28:29], 0
	v_mov_b32_e32 v9, 0
	v_mov_b32_e32 v12, v0
.LBB177_18:                             ; =>This Inner Loop Header: Depth=1
	ds_read_b32 v13, v11
	v_add_u32_e32 v12, 0x80, v12
	v_cmp_le_i32_e64 s[8:9], s30, v12
	s_or_b64 s[28:29], s[8:9], s[28:29]
	s_waitcnt lgkmcnt(0)
	v_sub_f32_e32 v13, v13, v10
	v_mul_f32_e32 v13, 0x3fb8aa3b, v13
	v_exp_f32_e32 v13, v13
	ds_write_b32 v11, v13
	v_add_f32_e32 v9, v9, v13
	v_add_u32_e32 v11, 0x200, v11
	s_andn2_b64 exec, exec, s[28:29]
	s_cbranch_execnz .LBB177_18
; %bb.19:
	s_or_b64 exec, exec, s[28:29]
.LBB177_20:
	s_or_b64 exec, exec, s[14:15]
	ds_bpermute_b32 v3, v3, v9
	s_waitcnt lgkmcnt(0)
	v_add_f32_e32 v3, v9, v3
	ds_bpermute_b32 v6, v6, v3
	s_waitcnt lgkmcnt(0)
	v_add_f32_e32 v3, v3, v6
	ds_bpermute_b32 v6, v7, v3
	v_xor_b32_e32 v7, 4, v24
	v_cmp_lt_i32_e64 s[8:9], v7, v25
	s_waitcnt lgkmcnt(0)
	v_add_f32_e32 v3, v3, v6
	v_cndmask_b32_e64 v7, v24, v7, s[8:9]
	v_lshlrev_b32_e32 v7, 2, v7
	ds_bpermute_b32 v6, v7, v3
	v_xor_b32_e32 v7, 2, v24
	v_cmp_lt_i32_e64 s[8:9], v7, v25
	s_waitcnt lgkmcnt(0)
	v_add_f32_e32 v3, v3, v6
	v_cndmask_b32_e64 v7, v24, v7, s[8:9]
	v_lshlrev_b32_e32 v6, 2, v7
	ds_bpermute_b32 v6, v6, v3
	s_waitcnt lgkmcnt(0)
	v_add_f32_e32 v3, v3, v6
	ds_bpermute_b32 v6, v33, v3
	s_waitcnt lgkmcnt(0)
	v_add_f32_e32 v3, v3, v6
	s_and_saveexec_b64 s[8:9], vcc
	s_cbranch_execz .LBB177_22
; %bb.21:
	ds_write_b32 v2, v3 offset:456
.LBB177_22:
	s_or_b64 exec, exec, s[8:9]
	s_waitcnt lgkmcnt(0)
	s_barrier
	s_and_saveexec_b64 s[8:9], s[0:1]
	s_cbranch_execz .LBB177_24
; %bb.23:
	ds_read_b32 v3, v5 offset:456
.LBB177_24:
	s_or_b64 exec, exec, s[8:9]
	s_waitcnt lgkmcnt(0)
	ds_bpermute_b32 v2, v33, v3
	s_waitcnt lgkmcnt(0)
	v_add_f32_e32 v2, v3, v2
	ds_bpermute_b32 v2, v8, v2
	s_and_saveexec_b64 s[0:1], s[6:7]
	s_cbranch_execz .LBB177_37
; %bb.25:
	s_waitcnt lgkmcnt(0)
	v_add_f32_e32 v2, 0x358637bd, v2
	v_div_scale_f32 v3, s[6:7], v2, v2, 1.0
	v_rcp_f32_e32 v5, v3
	v_div_scale_f32 v6, vcc, 1.0, v2, 1.0
	s_movk_i32 s6, 0x7f
	v_fma_f32 v7, -v3, v5, 1.0
	v_fmac_f32_e32 v5, v7, v5
	v_mul_f32_e32 v7, v6, v5
	v_fma_f32 v8, -v3, v7, v6
	v_fmac_f32_e32 v7, v8, v5
	v_fma_f32 v3, -v3, v7, v6
	v_div_fmas_f32 v3, v3, v5, v7
	v_xad_u32 v5, v0, -1, s30
	v_div_fixup_f32 v2, v3, v2, 1.0
	v_cmp_lt_u32_e32 vcc, s6, v5
	s_mov_b64 s[8:9], -1
	v_mov_b32_e32 v3, v0
	s_and_saveexec_b64 s[6:7], vcc
	s_cbranch_execz .LBB177_34
; %bb.26:
	v_lshrrev_b32_e32 v5, 7, v5
	v_add_u32_e32 v7, -1, v5
	v_lshrrev_b32_e32 v6, 1, v7
	v_mov_b32_e32 v3, v2
	v_add_u32_e32 v6, 1, v6
	v_cmp_lt_u32_e32 vcc, 13, v7
	v_mov_b32_e32 v9, 0
	s_and_saveexec_b64 s[8:9], vcc
	s_cbranch_execz .LBB177_30
; %bb.27:
	v_mov_b32_e32 v8, 0x1d0
	v_and_b32_e32 v7, -8, v6
	v_lshl_add_u32 v8, v0, 2, v8
	s_mov_b32 s28, 0
	s_mov_b64 s[14:15], 0
.LBB177_28:                             ; =>This Inner Loop Header: Depth=1
	ds_read2st64_b32 v[10:11], v8 offset1:2
	ds_read2st64_b32 v[12:13], v8 offset0:4 offset1:6
	ds_read2st64_b32 v[14:15], v8 offset0:8 offset1:10
	ds_read2st64_b32 v[16:17], v8 offset0:12 offset1:14
	v_add_u32_e32 v7, -8, v7
	s_waitcnt lgkmcnt(3)
	v_pk_mul_f32 v[10:11], v[2:3], v[10:11]
	s_waitcnt lgkmcnt(2)
	v_pk_mul_f32 v[12:13], v[2:3], v[12:13]
	ds_write2st64_b32 v8, v10, v11 offset1:2
	ds_write2st64_b32 v8, v12, v13 offset0:4 offset1:6
	ds_read2st64_b32 v[12:13], v8 offset0:16 offset1:18
	s_waitcnt lgkmcnt(4)
	v_pk_mul_f32 v[10:11], v[2:3], v[14:15]
	ds_write2st64_b32 v8, v10, v11 offset0:8 offset1:10
	s_waitcnt lgkmcnt(4)
	v_pk_mul_f32 v[10:11], v[2:3], v[16:17]
	ds_write2st64_b32 v8, v10, v11 offset0:12 offset1:14
	ds_read2st64_b32 v[10:11], v8 offset0:20 offset1:22
	s_waitcnt lgkmcnt(3)
	v_pk_mul_f32 v[12:13], v[2:3], v[12:13]
	ds_read2st64_b32 v[14:15], v8 offset0:24 offset1:26
	ds_write2st64_b32 v8, v12, v13 offset0:16 offset1:18
	ds_read2st64_b32 v[12:13], v8 offset0:28 offset1:30
	s_waitcnt lgkmcnt(3)
	v_pk_mul_f32 v[10:11], v[2:3], v[10:11]
	ds_write2st64_b32 v8, v10, v11 offset0:20 offset1:22
	s_waitcnt lgkmcnt(3)
	v_pk_mul_f32 v[10:11], v[2:3], v[14:15]
	ds_write2st64_b32 v8, v10, v11 offset0:24 offset1:26
	s_waitcnt lgkmcnt(2)
	v_pk_mul_f32 v[10:11], v[2:3], v[12:13]
	s_add_i32 s28, s28, 16
	v_cmp_eq_u32_e32 vcc, 0, v7
	ds_write2st64_b32 v8, v10, v11 offset0:28 offset1:30
	v_add_u32_e32 v8, 0x2000, v8
	s_or_b64 s[14:15], vcc, s[14:15]
	v_mov_b32_e32 v9, s28
	s_andn2_b64 exec, exec, s[14:15]
	s_cbranch_execnz .LBB177_28
; %bb.29:
	s_or_b64 exec, exec, s[14:15]
.LBB177_30:
	s_or_b64 exec, exec, s[8:9]
	v_and_b32_e32 v6, 7, v6
	v_cmp_ne_u32_e32 vcc, 0, v6
	s_and_saveexec_b64 s[8:9], vcc
	s_cbranch_execz .LBB177_33
; %bb.31:
	v_lshlrev_b32_e32 v7, 9, v9
	s_movk_i32 s14, 0x1d0
	v_add3_u32 v7, v7, v22, s14
	s_mov_b64 s[14:15], 0
.LBB177_32:                             ; =>This Inner Loop Header: Depth=1
	ds_read2st64_b32 v[8:9], v7 offset1:2
	v_add_u32_e32 v6, -1, v6
	v_cmp_eq_u32_e32 vcc, 0, v6
	s_or_b64 s[14:15], vcc, s[14:15]
	s_waitcnt lgkmcnt(0)
	v_pk_mul_f32 v[8:9], v[2:3], v[8:9]
	ds_write2st64_b32 v7, v8, v9 offset1:2
	v_add_u32_e32 v7, 0x400, v7
	s_andn2_b64 exec, exec, s[14:15]
	s_cbranch_execnz .LBB177_32
.LBB177_33:
	s_or_b64 exec, exec, s[8:9]
	v_add_u32_e32 v5, 1, v5
	v_and_b32_e32 v6, 0x3fffffe, v5
	v_cmp_ne_u32_e32 vcc, v5, v6
	v_lshl_add_u32 v3, v6, 7, v0
	s_orn2_b64 s[8:9], vcc, exec
.LBB177_34:
	s_or_b64 exec, exec, s[6:7]
	s_and_b64 exec, exec, s[8:9]
	s_cbranch_execz .LBB177_37
; %bb.35:
	v_mov_b32_e32 v5, 0x1d0
	v_lshl_add_u32 v5, v3, 2, v5
	s_mov_b64 s[6:7], 0
.LBB177_36:                             ; =>This Inner Loop Header: Depth=1
	ds_read_b32 v6, v5
	v_add_u32_e32 v3, 0x80, v3
	v_cmp_le_i32_e32 vcc, s30, v3
	s_or_b64 s[6:7], vcc, s[6:7]
	s_waitcnt lgkmcnt(0)
	v_mul_f32_e32 v6, v2, v6
	ds_write_b32 v5, v6
	v_add_u32_e32 v5, 0x200, v5
	s_andn2_b64 exec, exec, s[6:7]
	s_cbranch_execnz .LBB177_36
.LBB177_37:
	s_or_b64 exec, exec, s[0:1]
	v_mov_b32_e32 v7, 0
	v_lshrrev_b32_e32 v35, 1, v4
	v_and_b32_e32 v34, 1, v0
	v_mov_b32_e32 v6, v7
	v_mov_b32_e32 v11, v7
	;; [unrolled: 1-line block ×3, first 2 shown]
	s_waitcnt lgkmcnt(0)
	s_barrier
	s_and_saveexec_b64 s[6:7], s[2:3]
	s_cbranch_execz .LBB177_51
; %bb.38:
	v_and_b32_e32 v2, 4, v22
	s_ashr_i32 s1, s12, 31
	s_load_dword s8, s[10:11], 0x0
	v_or_b32_e32 v3, 0x60, v35
	s_movk_i32 s2, 0x70
	s_add_u32 s0, s26, s12
	v_cmp_gt_u32_e32 vcc, s2, v3
	v_lshl_or_b32 v12, v3, 3, v2
	v_lshlrev_b32_e32 v3, 3, v32
	s_addc_u32 s1, s27, s1
	s_add_i32 s15, s19, -1
	v_lshl_or_b32 v8, v35, 3, v2
	v_or3_b32 v36, v3, v2, 3
	v_lshlrev_b32_e32 v2, 4, v34
	s_lshl_b64 s[2:3], s[24:25], 2
	v_mov_b32_e32 v9, 0
	v_lshl_or_b32 v2, v32, 5, v2
	s_add_u32 s2, s22, s2
	v_add_u32_e32 v37, 0x1d0, v2
	v_and_b32_e32 v2, 60, v23
	v_mov_b32_e32 v3, v9
	s_addc_u32 s3, s23, s3
	s_mov_b32 s14, s13
	s_waitcnt lgkmcnt(0)
	s_mov_b32 s9, s8
	v_mov_b32_e32 v13, v9
	v_lshl_add_u64 v[14:15], s[2:3], 0, v[2:3]
	s_mov_b64 s[10:11], 0
	v_mov_b64_e32 v[16:17], s[0:1]
	v_mov_b32_e32 v10, v9
	v_mov_b32_e32 v11, v9
	;; [unrolled: 1-line block ×4, first 2 shown]
	s_branch .LBB177_41
.LBB177_39:                             ;   in Loop: Header=BB177_41 Depth=1
	s_or_b64 exec, exec, s[12:13]
	v_mul_f32_e32 v3, v3, v21
	v_fmac_f32_e32 v3, v2, v20
	v_fmac_f32_e32 v3, v4, v18
	;; [unrolled: 1-line block ×3, first 2 shown]
	v_add_f32_e32 v7, v7, v3
.LBB177_40:                             ;   in Loop: Header=BB177_41 Depth=1
	s_or_b64 exec, exec, s[2:3]
	v_add_u32_e32 v32, 2, v32
	v_cmp_le_i32_e64 s[0:1], s19, v32
	v_add_u32_e32 v36, 16, v36
	v_add_u32_e32 v37, 64, v37
	s_or_b64 s[10:11], s[0:1], s[10:11]
	v_lshl_add_u64 v[14:15], v[14:15], 0, 8
	s_andn2_b64 exec, exec, s[10:11]
	s_cbranch_execz .LBB177_50
.LBB177_41:                             ; =>This Inner Loop Header: Depth=1
	global_load_dword v2, v[14:15], off
	v_add_u32_e32 v38, -3, v36
	s_waitcnt vmcnt(0)
	v_mad_i64_i32 v[18:19], s[0:1], v2, s14, v[16:17]
	v_lshl_add_u64 v[26:27], v[18:19], 0, v[8:9]
	global_load_dword v20, v[26:27], off
	ds_read_b128 v[2:5], v37
	v_cmp_eq_u32_e64 s[0:1], s15, v32
	s_waitcnt vmcnt(0)
	v_and_b32_e32 v21, 0xffff, v20
	v_lshrrev_b32_e32 v22, 16, v20
	v_cvt_pk_f32_fp8_e32 v[20:21], v21
	v_cvt_pk_f32_fp8_e32 v[24:25], v22
	v_pk_mul_f32 v[22:23], s[8:9], v[20:21]
	v_pk_mul_f32 v[20:21], s[8:9], v[24:25]
	s_and_saveexec_b64 s[12:13], s[0:1]
; %bb.42:                               ;   in Loop: Header=BB177_41 Depth=1
	v_cmp_gt_i32_e64 s[2:3], s33, v38
	v_add_u32_e32 v24, -2, v36
	s_nop 0
	v_cndmask_b32_e64 v22, 0, v22, s[2:3]
	v_cmp_gt_i32_e64 s[2:3], s33, v24
	v_add_u32_e32 v24, -1, v36
	s_nop 0
	v_cndmask_b32_e64 v23, 0, v23, s[2:3]
	v_cmp_gt_i32_e64 s[2:3], s33, v24
	s_nop 1
	v_cndmask_b32_e64 v20, 0, v20, s[2:3]
	v_cmp_gt_i32_e64 s[2:3], s33, v36
	s_nop 1
	v_cndmask_b32_e64 v21, 0, v21, s[2:3]
; %bb.43:                               ;   in Loop: Header=BB177_41 Depth=1
	s_or_b64 exec, exec, s[12:13]
	global_load_dword v24, v[26:27], off offset:256
	s_waitcnt vmcnt(0)
	v_and_b32_e32 v25, 0xffff, v24
	v_lshrrev_b32_e32 v28, 16, v24
	v_cvt_pk_f32_fp8_e32 v[24:25], v25
	v_cvt_pk_f32_fp8_e32 v[30:31], v28
	v_pk_mul_f32 v[28:29], s[8:9], v[24:25]
	v_pk_mul_f32 v[24:25], s[8:9], v[30:31]
	s_and_saveexec_b64 s[12:13], s[0:1]
; %bb.44:                               ;   in Loop: Header=BB177_41 Depth=1
	v_cmp_gt_i32_e64 s[2:3], s33, v38
	v_add_u32_e32 v30, -2, v36
	s_nop 0
	v_cndmask_b32_e64 v28, 0, v28, s[2:3]
	v_cmp_gt_i32_e64 s[2:3], s33, v30
	v_add_u32_e32 v30, -1, v36
	s_nop 0
	v_cndmask_b32_e64 v29, 0, v29, s[2:3]
	v_cmp_gt_i32_e64 s[2:3], s33, v30
	s_nop 1
	v_cndmask_b32_e64 v24, 0, v24, s[2:3]
	v_cmp_gt_i32_e64 s[2:3], s33, v36
	s_nop 1
	v_cndmask_b32_e64 v25, 0, v25, s[2:3]
; %bb.45:                               ;   in Loop: Header=BB177_41 Depth=1
	s_or_b64 exec, exec, s[12:13]
	global_load_dword v26, v[26:27], off offset:512
	s_waitcnt vmcnt(0)
	v_and_b32_e32 v27, 0xffff, v26
	v_lshrrev_b32_e32 v30, 16, v26
	v_cvt_pk_f32_fp8_e32 v[26:27], v27
	v_cvt_pk_f32_fp8_e32 v[40:41], v30
	v_pk_mul_f32 v[30:31], s[8:9], v[26:27]
	v_pk_mul_f32 v[26:27], s[8:9], v[40:41]
	s_and_saveexec_b64 s[12:13], s[0:1]
; %bb.46:                               ;   in Loop: Header=BB177_41 Depth=1
	v_cmp_gt_i32_e64 s[2:3], s33, v38
	v_add_u32_e32 v39, -2, v36
	s_nop 0
	v_cndmask_b32_e64 v30, 0, v30, s[2:3]
	v_cmp_gt_i32_e64 s[2:3], s33, v39
	v_add_u32_e32 v39, -1, v36
	s_nop 0
	v_cndmask_b32_e64 v31, 0, v31, s[2:3]
	v_cmp_gt_i32_e64 s[2:3], s33, v39
	s_nop 1
	v_cndmask_b32_e64 v26, 0, v26, s[2:3]
	v_cmp_gt_i32_e64 s[2:3], s33, v36
	s_nop 1
	v_cndmask_b32_e64 v27, 0, v27, s[2:3]
; %bb.47:                               ;   in Loop: Header=BB177_41 Depth=1
	s_or_b64 exec, exec, s[12:13]
	s_waitcnt lgkmcnt(0)
	v_mul_f32_e32 v23, v3, v23
	v_fmac_f32_e32 v23, v2, v22
	v_fmac_f32_e32 v23, v4, v20
	v_mul_f32_e32 v20, v3, v29
	v_fmac_f32_e32 v20, v2, v28
	v_fmac_f32_e32 v20, v4, v24
	v_fmac_f32_e32 v20, v5, v25
	v_add_f32_e32 v11, v11, v20
	v_mul_f32_e32 v20, v3, v31
	v_fmac_f32_e32 v20, v2, v30
	v_fmac_f32_e32 v20, v4, v26
	;; [unrolled: 1-line block ×4, first 2 shown]
	v_add_f32_e32 v10, v10, v23
	v_add_f32_e32 v6, v6, v20
	s_and_saveexec_b64 s[2:3], vcc
	s_cbranch_execz .LBB177_40
; %bb.48:                               ;   in Loop: Header=BB177_41 Depth=1
	v_lshl_add_u64 v[18:19], v[18:19], 0, v[12:13]
	global_load_dword v18, v[18:19], off
	s_waitcnt vmcnt(0)
	v_and_b32_e32 v19, 0xffff, v18
	v_lshrrev_b32_e32 v20, 16, v18
	v_cvt_pk_f32_fp8_e32 v[18:19], v19
	v_cvt_pk_f32_fp8_e32 v[22:23], v20
	v_pk_mul_f32 v[20:21], s[8:9], v[18:19]
	v_pk_mul_f32 v[18:19], s[8:9], v[22:23]
	s_and_saveexec_b64 s[12:13], s[0:1]
	s_cbranch_execz .LBB177_39
; %bb.49:                               ;   in Loop: Header=BB177_41 Depth=1
	v_cmp_gt_i32_e64 s[0:1], s33, v38
	v_add_u32_e32 v22, -2, v36
	s_nop 0
	v_cndmask_b32_e64 v20, 0, v20, s[0:1]
	v_cmp_gt_i32_e64 s[0:1], s33, v22
	v_add_u32_e32 v22, -1, v36
	s_nop 0
	v_cndmask_b32_e64 v21, 0, v21, s[0:1]
	v_cmp_gt_i32_e64 s[0:1], s33, v22
	s_nop 1
	v_cndmask_b32_e64 v18, 0, v18, s[0:1]
	v_cmp_gt_i32_e64 s[0:1], s33, v36
	s_nop 1
	v_cndmask_b32_e64 v19, 0, v19, s[0:1]
	s_branch .LBB177_39
.LBB177_50:
	s_or_b64 exec, exec, s[10:11]
.LBB177_51:
	s_or_b64 exec, exec, s[6:7]
	ds_bpermute_b32 v2, v33, v10
	ds_bpermute_b32 v3, v33, v11
	;; [unrolled: 1-line block ×4, first 2 shown]
	s_waitcnt lgkmcnt(0)
	s_barrier
	v_pk_add_f32 v[4:5], v[10:11], v[2:3]
	v_pk_add_f32 v[2:3], v[6:7], v[8:9]
	v_and_b32_e32 v6, 0x3c0, v0
	v_cmp_eq_u32_e32 vcc, 64, v6
	s_and_saveexec_b64 s[2:3], vcc
	s_cbranch_execz .LBB177_56
; %bb.52:
	v_cmp_eq_u32_e32 vcc, 0, v34
	s_and_saveexec_b64 s[0:1], vcc
	s_cbranch_execz .LBB177_54
; %bb.53:
	v_mov_b32_e32 v6, 0x1d0
	v_lshl_add_u32 v6, v35, 2, v6
	ds_write2_b32 v6, v4, v5 offset1:32
	ds_write_b32 v6, v2 offset:256
.LBB177_54:
	s_or_b64 exec, exec, s[0:1]
	v_or_b32_e32 v6, 0x60, v35
	s_movk_i32 s0, 0x70
	v_cmp_gt_u32_e64 s[0:1], s0, v6
	s_and_b64 s[0:1], vcc, s[0:1]
	s_and_b64 exec, exec, s[0:1]
	s_cbranch_execz .LBB177_56
; %bb.55:
	v_mov_b32_e32 v6, 0x1d0
	v_lshl_add_u32 v6, v35, 2, v6
	ds_write_b32 v6, v3 offset:384
.LBB177_56:
	s_or_b64 exec, exec, s[2:3]
	v_cmp_gt_u32_e32 vcc, 64, v0
	s_waitcnt lgkmcnt(0)
	s_barrier
	s_and_saveexec_b64 s[6:7], vcc
	s_cbranch_execz .LBB177_64
; %bb.57:
	v_cmp_eq_u32_e64 s[0:1], 0, v34
	s_and_saveexec_b64 s[2:3], s[0:1]
	s_cbranch_execnz .LBB177_70
; %bb.58:
	s_or_b64 exec, exec, s[2:3]
	s_and_saveexec_b64 s[2:3], s[0:1]
	s_cbranch_execnz .LBB177_71
.LBB177_59:
	s_or_b64 exec, exec, s[2:3]
	s_and_saveexec_b64 s[2:3], s[0:1]
	s_cbranch_execz .LBB177_61
.LBB177_60:
	v_mov_b32_e32 v0, 0x1d0
	v_lshl_add_u32 v0, v1, 2, v0
	ds_read_b32 v0, v0 offset:256
	s_waitcnt lgkmcnt(0)
	v_add_f32_e32 v2, v2, v0
.LBB177_61:
	s_or_b64 exec, exec, s[2:3]
	v_or_b32_e32 v0, 0x60, v1
	s_movk_i32 s2, 0x70
	v_cmp_gt_u32_e64 s[2:3], s2, v0
	s_and_b64 s[2:3], s[0:1], s[2:3]
	s_and_saveexec_b64 s[0:1], s[2:3]
	s_cbranch_execz .LBB177_63
; %bb.62:
	v_mov_b32_e32 v0, 0x1d0
	v_lshl_add_u32 v0, v1, 2, v0
	ds_read_b32 v0, v0 offset:384
	s_waitcnt lgkmcnt(0)
	v_add_f32_e32 v3, v3, v0
.LBB177_63:
	s_or_b64 exec, exec, s[0:1]
.LBB177_64:
	s_or_b64 exec, exec, s[6:7]
	s_barrier
	s_and_saveexec_b64 s[0:1], vcc
	s_cbranch_execz .LBB177_69
; %bb.65:
	s_mul_i32 s0, s16, s17
	s_mul_i32 s0, s0, s5
	s_mulk_i32 s0, 0x70
	s_ashr_i32 s1, s0, 31
	s_lshl_b64 s[0:1], s[0:1], 2
	s_add_u32 s2, s20, s0
	s_mul_i32 s0, s17, s18
	s_addc_u32 s3, s21, s1
	s_ashr_i32 s1, s0, 31
	s_lshl_b64 s[0:1], s[0:1], 2
	s_add_u32 s2, s2, s0
	s_mul_i32 s0, s4, 0x70
	s_addc_u32 s3, s3, s1
	s_ashr_i32 s1, s0, 31
	s_lshl_b64 s[0:1], s[0:1], 2
	s_add_u32 s2, s2, s0
	s_movk_i32 s5, 0x70
	s_addc_u32 s3, s3, s1
	v_cmp_eq_u32_e32 vcc, 0, v34
	v_lshlrev_b32_e32 v0, 2, v1
	s_and_saveexec_b64 s[0:1], vcc
	s_cbranch_execz .LBB177_67
; %bb.66:
	global_store_dword v0, v4, s[2:3]
	global_store_dword v0, v5, s[2:3] offset:128
	global_store_dword v0, v2, s[2:3] offset:256
.LBB177_67:
	s_or_b64 exec, exec, s[0:1]
	v_or_b32_e32 v1, 0x60, v1
	v_cmp_gt_u32_e64 s[0:1], s5, v1
	s_and_b64 s[0:1], vcc, s[0:1]
	s_and_b64 exec, exec, s[0:1]
	s_cbranch_execz .LBB177_69
; %bb.68:
	global_store_dword v0, v3, s[2:3] offset:384
.LBB177_69:
	s_endpgm
.LBB177_70:
	v_mov_b32_e32 v0, 0x1d0
	v_lshl_add_u32 v0, v1, 2, v0
	ds_read_b32 v0, v0
	s_waitcnt lgkmcnt(0)
	v_add_f32_e32 v4, v4, v0
	s_or_b64 exec, exec, s[2:3]
	s_and_saveexec_b64 s[2:3], s[0:1]
	s_cbranch_execz .LBB177_59
.LBB177_71:
	v_mov_b32_e32 v0, 0x1d0
	v_lshl_add_u32 v0, v1, 2, v0
	ds_read_b32 v0, v0 offset:128
	s_waitcnt lgkmcnt(0)
	v_add_f32_e32 v5, v5, v0
	s_or_b64 exec, exec, s[2:3]
	s_and_saveexec_b64 s[2:3], s[0:1]
	s_cbranch_execnz .LBB177_60
	s_branch .LBB177_61
	.section	.rodata,"a",@progbits
	.p2align	6, 0x0
	.amdhsa_kernel _ZN4vllm25paged_attention_v1_kernelIfhLi112ELi8ELi128ELNS_18Fp8KVCacheDataTypeE1ELb0EEEvPT_PKS2_PKT0_S8_ifPKiSA_iPKfiiiSC_SC_iiiii
		.amdhsa_group_segment_fixed_size 464
		.amdhsa_private_segment_fixed_size 0
		.amdhsa_kernarg_size 384
		.amdhsa_user_sgpr_count 2
		.amdhsa_user_sgpr_dispatch_ptr 0
		.amdhsa_user_sgpr_queue_ptr 0
		.amdhsa_user_sgpr_kernarg_segment_ptr 1
		.amdhsa_user_sgpr_dispatch_id 0
		.amdhsa_user_sgpr_kernarg_preload_length 0
		.amdhsa_user_sgpr_kernarg_preload_offset 0
		.amdhsa_user_sgpr_private_segment_size 0
		.amdhsa_uses_dynamic_stack 0
		.amdhsa_enable_private_segment 0
		.amdhsa_system_sgpr_workgroup_id_x 1
		.amdhsa_system_sgpr_workgroup_id_y 1
		.amdhsa_system_sgpr_workgroup_id_z 1
		.amdhsa_system_sgpr_workgroup_info 0
		.amdhsa_system_vgpr_workitem_id 0
		.amdhsa_next_free_vgpr 50
		.amdhsa_next_free_sgpr 37
		.amdhsa_accum_offset 52
		.amdhsa_reserve_vcc 1
		.amdhsa_float_round_mode_32 0
		.amdhsa_float_round_mode_16_64 0
		.amdhsa_float_denorm_mode_32 3
		.amdhsa_float_denorm_mode_16_64 3
		.amdhsa_dx10_clamp 1
		.amdhsa_ieee_mode 1
		.amdhsa_fp16_overflow 0
		.amdhsa_tg_split 0
		.amdhsa_exception_fp_ieee_invalid_op 0
		.amdhsa_exception_fp_denorm_src 0
		.amdhsa_exception_fp_ieee_div_zero 0
		.amdhsa_exception_fp_ieee_overflow 0
		.amdhsa_exception_fp_ieee_underflow 0
		.amdhsa_exception_fp_ieee_inexact 0
		.amdhsa_exception_int_div_zero 0
	.end_amdhsa_kernel
	.section	.text._ZN4vllm25paged_attention_v1_kernelIfhLi112ELi8ELi128ELNS_18Fp8KVCacheDataTypeE1ELb0EEEvPT_PKS2_PKT0_S8_ifPKiSA_iPKfiiiSC_SC_iiiii,"axG",@progbits,_ZN4vllm25paged_attention_v1_kernelIfhLi112ELi8ELi128ELNS_18Fp8KVCacheDataTypeE1ELb0EEEvPT_PKS2_PKT0_S8_ifPKiSA_iPKfiiiSC_SC_iiiii,comdat
.Lfunc_end177:
	.size	_ZN4vllm25paged_attention_v1_kernelIfhLi112ELi8ELi128ELNS_18Fp8KVCacheDataTypeE1ELb0EEEvPT_PKS2_PKT0_S8_ifPKiSA_iPKfiiiSC_SC_iiiii, .Lfunc_end177-_ZN4vllm25paged_attention_v1_kernelIfhLi112ELi8ELi128ELNS_18Fp8KVCacheDataTypeE1ELb0EEEvPT_PKS2_PKT0_S8_ifPKiSA_iPKfiiiSC_SC_iiiii
                                        ; -- End function
	.section	.AMDGPU.csdata,"",@progbits
; Kernel info:
; codeLenInByte = 4404
; NumSgprs: 43
; NumVgprs: 50
; NumAgprs: 0
; TotalNumVgprs: 50
; ScratchSize: 0
; MemoryBound: 0
; FloatMode: 240
; IeeeMode: 1
; LDSByteSize: 464 bytes/workgroup (compile time only)
; SGPRBlocks: 5
; VGPRBlocks: 6
; NumSGPRsForWavesPerEU: 43
; NumVGPRsForWavesPerEU: 50
; AccumOffset: 52
; Occupancy: 8
; WaveLimiterHint : 1
; COMPUTE_PGM_RSRC2:SCRATCH_EN: 0
; COMPUTE_PGM_RSRC2:USER_SGPR: 2
; COMPUTE_PGM_RSRC2:TRAP_HANDLER: 0
; COMPUTE_PGM_RSRC2:TGID_X_EN: 1
; COMPUTE_PGM_RSRC2:TGID_Y_EN: 1
; COMPUTE_PGM_RSRC2:TGID_Z_EN: 1
; COMPUTE_PGM_RSRC2:TIDIG_COMP_CNT: 0
; COMPUTE_PGM_RSRC3_GFX90A:ACCUM_OFFSET: 12
; COMPUTE_PGM_RSRC3_GFX90A:TG_SPLIT: 0
	.section	.text._ZN4vllm25paged_attention_v1_kernelIfhLi120ELi8ELi128ELNS_18Fp8KVCacheDataTypeE1ELb0EEEvPT_PKS2_PKT0_S8_ifPKiSA_iPKfiiiSC_SC_iiiii,"axG",@progbits,_ZN4vllm25paged_attention_v1_kernelIfhLi120ELi8ELi128ELNS_18Fp8KVCacheDataTypeE1ELb0EEEvPT_PKS2_PKT0_S8_ifPKiSA_iPKfiiiSC_SC_iiiii,comdat
	.protected	_ZN4vllm25paged_attention_v1_kernelIfhLi120ELi8ELi128ELNS_18Fp8KVCacheDataTypeE1ELb0EEEvPT_PKS2_PKT0_S8_ifPKiSA_iPKfiiiSC_SC_iiiii ; -- Begin function _ZN4vllm25paged_attention_v1_kernelIfhLi120ELi8ELi128ELNS_18Fp8KVCacheDataTypeE1ELb0EEEvPT_PKS2_PKT0_S8_ifPKiSA_iPKfiiiSC_SC_iiiii
	.globl	_ZN4vllm25paged_attention_v1_kernelIfhLi120ELi8ELi128ELNS_18Fp8KVCacheDataTypeE1ELb0EEEvPT_PKS2_PKT0_S8_ifPKiSA_iPKfiiiSC_SC_iiiii
	.p2align	8
	.type	_ZN4vllm25paged_attention_v1_kernelIfhLi120ELi8ELi128ELNS_18Fp8KVCacheDataTypeE1ELb0EEEvPT_PKS2_PKT0_S8_ifPKiSA_iPKfiiiSC_SC_iiiii,@function
_ZN4vllm25paged_attention_v1_kernelIfhLi120ELi8ELi128ELNS_18Fp8KVCacheDataTypeE1ELb0EEEvPT_PKS2_PKT0_S8_ifPKiSA_iPKfiiiSC_SC_iiiii: ; @_ZN4vllm25paged_attention_v1_kernelIfhLi120ELi8ELi128ELNS_18Fp8KVCacheDataTypeE1ELb0EEEvPT_PKS2_PKT0_S8_ifPKiSA_iPKfiiiSC_SC_iiiii
; %bb.0:
	s_load_dword s5, s[0:1], 0x80
	s_load_dwordx2 s[6:7], s[0:1], 0x30
	s_load_dwordx2 s[28:29], s[0:1], 0x20
	s_mov_b32 s16, s3
	s_ashr_i32 s17, s3, 31
	s_lshl_b64 s[8:9], s[16:17], 2
	s_waitcnt lgkmcnt(0)
	s_add_u32 s6, s6, s8
	s_addc_u32 s7, s7, s9
	s_abs_i32 s3, s28
	v_cvt_f32_u32_e32 v1, s3
	s_sub_i32 s10, 0, s3
	s_abs_i32 s9, s5
	s_xor_b32 s8, s5, s28
	v_rcp_iflag_f32_e32 v1, v1
	s_ashr_i32 s8, s8, 31
	s_mov_b32 s28, 0
	v_mul_f32_e32 v1, 0x4f7ffffe, v1
	v_cvt_u32_f32_e32 v1, v1
	s_nop 0
	v_readfirstlane_b32 s11, v1
	s_mul_i32 s10, s10, s11
	s_mul_hi_u32 s10, s11, s10
	s_add_i32 s11, s11, s10
	s_mul_hi_u32 s10, s9, s11
	s_mul_i32 s11, s10, s3
	s_sub_i32 s9, s9, s11
	s_add_i32 s11, s10, 1
	s_sub_i32 s12, s9, s3
	s_cmp_ge_u32 s9, s3
	s_cselect_b32 s10, s11, s10
	s_cselect_b32 s9, s12, s9
	s_add_i32 s11, s10, 1
	s_cmp_ge_u32 s9, s3
	s_cselect_b32 s3, s11, s10
	s_xor_b32 s3, s3, s8
	s_sub_i32 s12, s3, s8
	s_abs_i32 s10, s12
	v_cvt_f32_u32_e32 v1, s10
	s_load_dwordx2 s[8:9], s[0:1], 0x40
	s_sub_i32 s3, 0, s10
	s_abs_i32 s11, s2
	v_rcp_iflag_f32_e32 v1, v1
	s_nop 0
	v_mul_f32_e32 v1, 0x4f7ffffe, v1
	v_cvt_u32_f32_e32 v1, v1
	s_nop 0
	v_readfirstlane_b32 s13, v1
	s_mul_i32 s3, s3, s13
	s_mul_hi_u32 s3, s13, s3
	s_add_i32 s13, s13, s3
	s_waitcnt lgkmcnt(0)
	s_cmp_eq_u64 s[8:9], 0
	s_mul_hi_u32 s17, s11, s13
	s_cbranch_scc1 .LBB178_2
; %bb.1:
	s_ashr_i32 s3, s2, 31
	s_lshl_b64 s[14:15], s[2:3], 2
	s_add_u32 s8, s8, s14
	s_addc_u32 s9, s9, s15
	s_load_dword s28, s[8:9], 0x0
.LBB178_2:
	s_load_dword s33, s[6:7], 0x0
	s_ashr_i32 s7, s12, 31
	s_load_dwordx4 s[12:15], s[0:1], 0x48
	s_movk_i32 s3, 0x78
	s_ashr_i32 s6, s2, 31
	v_and_b32_e32 v2, 7, v0
	s_mul_i32 s18, s2, 0x78
	v_cmp_gt_u32_e32 vcc, s3, v0
	v_lshlrev_b32_e32 v22, 2, v0
	v_lshrrev_b32_e32 v1, 1, v0
	s_and_saveexec_b64 s[2:3], vcc
	s_cbranch_execz .LBB178_4
; %bb.3:
	s_load_dwordx2 s[8:9], s[0:1], 0x8
	s_waitcnt lgkmcnt(0)
	s_mul_i32 s20, s16, s12
	s_ashr_i32 s21, s20, 31
	s_lshl_b64 s[20:21], s[20:21], 2
	v_and_b32_e32 v4, 0x1fc, v1
	s_add_u32 s12, s8, s20
	s_addc_u32 s15, s9, s21
	s_ashr_i32 s19, s18, 31
	s_lshl_b64 s[8:9], s[18:19], 2
	s_add_u32 s8, s12, s8
	s_addc_u32 s9, s15, s9
	global_load_dword v3, v22, s[8:9]
	v_mad_u32_u24 v4, v2, 60, v4
	s_waitcnt vmcnt(0)
	ds_write_b32 v4, v3
.LBB178_4:
	s_or_b64 exec, exec, s[2:3]
	s_waitcnt lgkmcnt(0)
	s_add_i32 s3, s33, 7
	s_ashr_i32 s8, s3, 31
	s_lshr_b32 s8, s8, 29
	s_add_i32 s3, s3, s8
	s_ashr_i32 s19, s3, 3
	s_xor_b32 s3, s6, s7
	s_mul_i32 s6, s17, s10
	s_sub_i32 s6, s11, s6
	s_add_i32 s7, s17, 1
	s_sub_i32 s8, s6, s10
	s_load_dwordx2 s[22:23], s[0:1], 0x28
	s_load_dword s2, s[0:1], 0x38
	s_cmp_ge_u32 s6, s10
	s_cselect_b32 s7, s7, s17
	s_cselect_b32 s6, s8, s6
	s_add_i32 s8, s7, 1
	s_cmp_ge_u32 s6, s10
	s_cselect_b32 s6, s8, s7
	v_lshrrev_b32_e32 v32, 6, v0
	s_xor_b32 s6, s6, s3
	s_waitcnt lgkmcnt(0)
	s_mul_i32 s24, s16, s2
	s_sub_i32 s12, s6, s3
	s_ashr_i32 s25, s24, 31
	v_cmp_gt_i32_e64 s[2:3], s19, v32
	v_cmp_le_i32_e32 vcc, s19, v32
	v_mbcnt_lo_u32_b32 v3, -1, 0
	s_barrier
	s_waitcnt lgkmcnt(0)
                                        ; implicit-def: $sgpr15
                                        ; implicit-def: $vgpr24
                                        ; implicit-def: $vgpr25
	s_and_saveexec_b64 s[6:7], vcc
	s_xor_b64 s[6:7], exec, s[6:7]
; %bb.5:
	v_mbcnt_hi_u32_b32 v24, -1, v3
	v_and_b32_e32 v2, 64, v24
	v_add_u32_e32 v25, 64, v2
	s_mov_b32 s15, 0xff7fffff
                                        ; implicit-def: $vgpr2
                                        ; implicit-def: $vgpr3
; %bb.6:
	s_or_saveexec_b64 s[30:31], s[6:7]
	s_load_dwordx2 s[20:21], s[0:1], 0x0
	s_load_dwordx2 s[26:27], s[0:1], 0x18
	s_load_dword s17, s[0:1], 0x88
	s_load_dwordx4 s[8:11], s[0:1], 0x58
	v_mov_b32_e32 v27, s15
	s_mul_i32 s12, s12, s14
	v_lshrrev_b32_e32 v23, 4, v0
	s_xor_b64 exec, exec, s[30:31]
	s_cbranch_execz .LBB178_12
; %bb.7:
	s_load_dwordx2 s[0:1], s[0:1], 0x10
	s_ashr_i32 s6, s12, 31
	v_bfe_u32 v27, v0, 3, 3
	v_lshlrev_b32_e32 v20, 4, v27
	v_mov_b32_e32 v21, 0
	s_waitcnt lgkmcnt(0)
	s_add_u32 s0, s0, s12
	s_addc_u32 s1, s1, s6
	v_lshl_add_u64 v[4:5], s[0:1], 0, v[20:21]
	v_mul_u32_u24_e32 v20, 60, v2
	v_mbcnt_hi_u32_b32 v24, -1, v3
	ds_read2_b32 v[6:7], v20 offset1:1
	ds_read2_b32 v[8:9], v20 offset0:2 offset1:3
	ds_read2_b32 v[10:11], v20 offset0:4 offset1:5
	;; [unrolled: 1-line block ×6, first 2 shown]
	ds_read_b32 v26, v20 offset:56
	v_and_b32_e32 v3, 64, v24
	v_add_u32_e32 v25, 64, v3
	v_xor_b32_e32 v3, 4, v24
	v_cmp_lt_i32_e32 vcc, v3, v25
	s_load_dword s35, s[8:9], 0x0
	s_sub_i32 s36, 1, s33
	v_cndmask_b32_e32 v3, v24, v3, vcc
	v_lshlrev_b32_e32 v28, 2, v3
	v_xor_b32_e32 v3, 2, v24
	v_cmp_lt_i32_e32 vcc, v3, v25
	v_lshlrev_b32_e32 v20, 2, v27
	s_lshl_b64 s[6:7], s[24:25], 2
	v_cndmask_b32_e32 v3, v24, v3, vcc
	v_lshlrev_b32_e32 v29, 2, v3
	v_xor_b32_e32 v3, 1, v24
	v_cmp_lt_i32_e32 vcc, v3, v25
	v_lshl_or_b32 v20, v32, 5, v20
	s_add_u32 s6, s22, s6
	v_cndmask_b32_e32 v3, v24, v3, vcc
	v_add_u32_e32 v33, 0x1f0, v20
	v_and_b32_e32 v20, 60, v23
	s_addc_u32 s7, s23, s7
	s_mov_b32 s34, s13
	v_lshlrev_b32_e32 v30, 2, v3
	v_cmp_eq_u32_e32 vcc, 0, v2
	v_cmp_neq_f32_e64 s[0:1], s28, 0
	v_mov_b32_e32 v3, v21
	v_lshl_or_b32 v31, v32, 3, v27
	v_lshl_add_u64 v[20:21], s[6:7], 0, v[20:21]
	s_mov_b64 s[8:9], 0
	v_mov_b32_e32 v27, 0xff7fffff
	v_mov_b32_e32 v34, v32
	s_branch .LBB178_9
.LBB178_8:                              ;   in Loop: Header=BB178_9 Depth=1
	s_or_b64 exec, exec, s[14:15]
	v_add_u32_e32 v34, 2, v34
	v_cmp_le_i32_e64 s[6:7], s19, v34
	v_add_u32_e32 v31, 16, v31
	v_add_u32_e32 v33, 64, v33
	s_or_b64 s[8:9], s[6:7], s[8:9]
	v_lshl_add_u64 v[20:21], v[20:21], 0, 8
	s_andn2_b64 exec, exec, s[8:9]
	s_cbranch_execz .LBB178_11
.LBB178_9:                              ; =>This Inner Loop Header: Depth=1
	global_load_dword v35, v[20:21], off
	s_waitcnt vmcnt(0) lgkmcnt(0)
	v_mad_i64_i32 v[36:37], s[6:7], v35, s34, v[4:5]
	v_lshl_add_u64 v[36:37], v[36:37], 0, v[2:3]
	global_load_ubyte v35, v[36:37], off
	global_load_ubyte v38, v[36:37], off offset:8
	global_load_ubyte v39, v[36:37], off offset:128
	;; [unrolled: 1-line block ×14, first 2 shown]
	s_waitcnt vmcnt(14)
	v_cvt_f32_fp8_sdwa v35, v35 src0_sel:BYTE_0
	s_waitcnt vmcnt(13)
	v_cvt_f32_fp8_sdwa v36, v38 src0_sel:BYTE_0
	;; [unrolled: 2-line block ×5, first 2 shown]
	s_waitcnt lgkmcnt(0)
	v_mul_f32_e32 v36, s35, v36
	s_waitcnt vmcnt(9)
	v_cvt_f32_fp8_sdwa v40, v42 src0_sel:BYTE_0
	v_mul_f32_e32 v35, s35, v35
	v_mul_f32_e32 v36, v7, v36
	s_waitcnt vmcnt(8)
	v_cvt_f32_fp8_sdwa v41, v43 src0_sel:BYTE_0
	v_mul_f32_e32 v37, s35, v37
	v_fmac_f32_e32 v36, v6, v35
	s_waitcnt vmcnt(7)
	v_cvt_f32_fp8_sdwa v42, v44 src0_sel:BYTE_0
	v_mul_f32_e32 v38, s35, v38
	v_fmac_f32_e32 v36, v8, v37
	;; [unrolled: 4-line block ×9, first 2 shown]
	v_mul_f32_e32 v46, s35, v46
	v_fmac_f32_e32 v36, v16, v45
	v_mul_f32_e32 v47, s35, v47
	v_fmac_f32_e32 v36, v17, v46
	;; [unrolled: 2-line block ×4, first 2 shown]
	v_fmac_f32_e32 v36, v26, v49
	ds_bpermute_b32 v35, v28, v36
	s_waitcnt lgkmcnt(0)
	v_add_f32_e32 v35, v36, v35
	ds_bpermute_b32 v36, v29, v35
	s_waitcnt lgkmcnt(0)
	v_add_f32_e32 v35, v35, v36
	ds_bpermute_b32 v36, v30, v35
	s_and_saveexec_b64 s[14:15], vcc
	s_cbranch_execz .LBB178_8
; %bb.10:                               ;   in Loop: Header=BB178_9 Depth=1
	v_add_u32_e32 v37, s36, v31
	v_cvt_f32_i32_e32 v37, v37
	s_waitcnt lgkmcnt(0)
	v_add_f32_e32 v35, v35, v36
	v_cmp_gt_i32_e64 s[6:7], s33, v31
	v_max_f32_e32 v36, v27, v27
	v_mul_f32_e32 v37, s28, v37
	v_cndmask_b32_e64 v37, 0, v37, s[0:1]
	v_fmac_f32_e32 v37, s29, v35
	v_cndmask_b32_e64 v35, 0, v37, s[6:7]
	ds_write_b32 v33, v35
	v_max_f32_e32 v35, v36, v37
	v_cndmask_b32_e64 v27, v27, v35, s[6:7]
	s_branch .LBB178_8
.LBB178_11:
	s_or_b64 exec, exec, s[8:9]
.LBB178_12:
	s_or_b64 exec, exec, s[30:31]
	v_xor_b32_e32 v2, 32, v24
	v_cmp_lt_i32_e32 vcc, v2, v25
	v_xor_b32_e32 v5, 16, v24
	v_max_f32_e32 v4, v27, v27
	v_cndmask_b32_e32 v2, v24, v2, vcc
	v_lshlrev_b32_e32 v3, 2, v2
	ds_bpermute_b32 v2, v3, v27
	v_cmp_lt_i32_e32 vcc, v5, v25
	v_xor_b32_e32 v7, 8, v24
	s_waitcnt lgkmcnt(0)
	v_max_f32_e32 v2, v2, v2
	v_max_f32_e32 v2, v4, v2
	v_cndmask_b32_e32 v4, v24, v5, vcc
	v_lshlrev_b32_e32 v6, 2, v4
	ds_bpermute_b32 v4, v6, v2
	v_cmp_lt_i32_e32 vcc, v7, v25
	s_waitcnt lgkmcnt(0)
	v_max_f32_e32 v4, v4, v4
	v_max_f32_e32 v5, v2, v4
	v_cndmask_b32_e32 v2, v24, v7, vcc
	v_lshlrev_b32_e32 v7, 2, v2
	ds_bpermute_b32 v8, v7, v5
	v_and_b32_e32 v4, 63, v0
	v_cmp_eq_u32_e32 vcc, 0, v4
	v_lshlrev_b32_e32 v2, 2, v32
	s_and_saveexec_b64 s[0:1], vcc
	s_cbranch_execz .LBB178_14
; %bb.13:
	s_waitcnt lgkmcnt(0)
	v_max_f32_e32 v8, v8, v8
	v_max_f32_e32 v5, v5, v5
	;; [unrolled: 1-line block ×3, first 2 shown]
	ds_write_b32 v2, v5 offset:480
.LBB178_14:
	s_or_b64 exec, exec, s[0:1]
	v_cmp_gt_u32_e64 s[0:1], 2, v4
	s_waitcnt lgkmcnt(0)
	v_mov_b32_e32 v8, 0xff7fffff
	v_lshlrev_b32_e32 v5, 2, v4
	s_barrier
	s_and_saveexec_b64 s[6:7], s[0:1]
	s_cbranch_execz .LBB178_16
; %bb.15:
	ds_read_b32 v8, v5 offset:480
.LBB178_16:
	s_or_b64 exec, exec, s[6:7]
	v_xor_b32_e32 v9, 1, v24
	v_cmp_lt_i32_e64 s[6:7], v9, v25
	v_lshlrev_b32_e32 v10, 2, v24
	s_nop 0
	v_cndmask_b32_e64 v9, v24, v9, s[6:7]
	v_lshlrev_b32_e32 v33, 2, v9
	s_waitcnt lgkmcnt(0)
	ds_bpermute_b32 v9, v33, v8
	v_max_f32_e32 v8, v8, v8
	s_lshl_b32 s6, s19, 3
	s_min_i32 s30, s6, s33
	v_cmp_gt_i32_e64 s[6:7], s30, v0
	s_waitcnt lgkmcnt(0)
	v_max_f32_e32 v9, v9, v9
	v_max_f32_e32 v9, v8, v9
	v_and_b32_e32 v8, 0xffffff00, v10
	ds_bpermute_b32 v10, v8, v9
	v_mov_b32_e32 v9, 0
	s_and_saveexec_b64 s[14:15], s[6:7]
	s_cbranch_execz .LBB178_20
; %bb.17:
	v_mov_b32_e32 v9, 0x1f0
	v_lshl_add_u32 v11, v0, 2, v9
	s_mov_b64 s[28:29], 0
	v_mov_b32_e32 v9, 0
	v_mov_b32_e32 v12, v0
.LBB178_18:                             ; =>This Inner Loop Header: Depth=1
	ds_read_b32 v13, v11
	v_add_u32_e32 v12, 0x80, v12
	v_cmp_le_i32_e64 s[8:9], s30, v12
	s_or_b64 s[28:29], s[8:9], s[28:29]
	s_waitcnt lgkmcnt(0)
	v_sub_f32_e32 v13, v13, v10
	v_mul_f32_e32 v13, 0x3fb8aa3b, v13
	v_exp_f32_e32 v13, v13
	ds_write_b32 v11, v13
	v_add_f32_e32 v9, v9, v13
	v_add_u32_e32 v11, 0x200, v11
	s_andn2_b64 exec, exec, s[28:29]
	s_cbranch_execnz .LBB178_18
; %bb.19:
	s_or_b64 exec, exec, s[28:29]
.LBB178_20:
	s_or_b64 exec, exec, s[14:15]
	ds_bpermute_b32 v3, v3, v9
	s_waitcnt lgkmcnt(0)
	v_add_f32_e32 v3, v9, v3
	ds_bpermute_b32 v6, v6, v3
	s_waitcnt lgkmcnt(0)
	v_add_f32_e32 v3, v3, v6
	ds_bpermute_b32 v6, v7, v3
	v_xor_b32_e32 v7, 4, v24
	v_cmp_lt_i32_e64 s[8:9], v7, v25
	s_waitcnt lgkmcnt(0)
	v_add_f32_e32 v3, v3, v6
	v_cndmask_b32_e64 v7, v24, v7, s[8:9]
	v_lshlrev_b32_e32 v7, 2, v7
	ds_bpermute_b32 v6, v7, v3
	v_xor_b32_e32 v7, 2, v24
	v_cmp_lt_i32_e64 s[8:9], v7, v25
	s_waitcnt lgkmcnt(0)
	v_add_f32_e32 v3, v3, v6
	v_cndmask_b32_e64 v7, v24, v7, s[8:9]
	v_lshlrev_b32_e32 v6, 2, v7
	ds_bpermute_b32 v6, v6, v3
	s_waitcnt lgkmcnt(0)
	v_add_f32_e32 v3, v3, v6
	ds_bpermute_b32 v6, v33, v3
	s_waitcnt lgkmcnt(0)
	v_add_f32_e32 v3, v3, v6
	s_and_saveexec_b64 s[8:9], vcc
	s_cbranch_execz .LBB178_22
; %bb.21:
	ds_write_b32 v2, v3 offset:488
.LBB178_22:
	s_or_b64 exec, exec, s[8:9]
	s_waitcnt lgkmcnt(0)
	s_barrier
	s_and_saveexec_b64 s[8:9], s[0:1]
	s_cbranch_execz .LBB178_24
; %bb.23:
	ds_read_b32 v3, v5 offset:488
.LBB178_24:
	s_or_b64 exec, exec, s[8:9]
	s_waitcnt lgkmcnt(0)
	ds_bpermute_b32 v2, v33, v3
	s_waitcnt lgkmcnt(0)
	v_add_f32_e32 v2, v3, v2
	ds_bpermute_b32 v2, v8, v2
	s_and_saveexec_b64 s[0:1], s[6:7]
	s_cbranch_execz .LBB178_37
; %bb.25:
	s_waitcnt lgkmcnt(0)
	v_add_f32_e32 v2, 0x358637bd, v2
	v_div_scale_f32 v3, s[6:7], v2, v2, 1.0
	v_rcp_f32_e32 v5, v3
	v_div_scale_f32 v6, vcc, 1.0, v2, 1.0
	s_movk_i32 s6, 0x7f
	v_fma_f32 v7, -v3, v5, 1.0
	v_fmac_f32_e32 v5, v7, v5
	v_mul_f32_e32 v7, v6, v5
	v_fma_f32 v8, -v3, v7, v6
	v_fmac_f32_e32 v7, v8, v5
	v_fma_f32 v3, -v3, v7, v6
	v_div_fmas_f32 v3, v3, v5, v7
	v_xad_u32 v5, v0, -1, s30
	v_div_fixup_f32 v2, v3, v2, 1.0
	v_cmp_lt_u32_e32 vcc, s6, v5
	s_mov_b64 s[8:9], -1
	v_mov_b32_e32 v3, v0
	s_and_saveexec_b64 s[6:7], vcc
	s_cbranch_execz .LBB178_34
; %bb.26:
	v_lshrrev_b32_e32 v5, 7, v5
	v_add_u32_e32 v7, -1, v5
	v_lshrrev_b32_e32 v6, 1, v7
	v_mov_b32_e32 v3, v2
	v_add_u32_e32 v6, 1, v6
	v_cmp_lt_u32_e32 vcc, 13, v7
	v_mov_b32_e32 v9, 0
	s_and_saveexec_b64 s[8:9], vcc
	s_cbranch_execz .LBB178_30
; %bb.27:
	v_mov_b32_e32 v8, 0x1f0
	v_and_b32_e32 v7, -8, v6
	v_lshl_add_u32 v8, v0, 2, v8
	s_mov_b32 s28, 0
	s_mov_b64 s[14:15], 0
.LBB178_28:                             ; =>This Inner Loop Header: Depth=1
	ds_read2st64_b32 v[10:11], v8 offset1:2
	ds_read2st64_b32 v[12:13], v8 offset0:4 offset1:6
	ds_read2st64_b32 v[14:15], v8 offset0:8 offset1:10
	;; [unrolled: 1-line block ×3, first 2 shown]
	v_add_u32_e32 v7, -8, v7
	s_waitcnt lgkmcnt(3)
	v_pk_mul_f32 v[10:11], v[2:3], v[10:11]
	s_waitcnt lgkmcnt(2)
	v_pk_mul_f32 v[12:13], v[2:3], v[12:13]
	ds_write2st64_b32 v8, v10, v11 offset1:2
	ds_write2st64_b32 v8, v12, v13 offset0:4 offset1:6
	ds_read2st64_b32 v[12:13], v8 offset0:16 offset1:18
	s_waitcnt lgkmcnt(4)
	v_pk_mul_f32 v[10:11], v[2:3], v[14:15]
	ds_write2st64_b32 v8, v10, v11 offset0:8 offset1:10
	s_waitcnt lgkmcnt(4)
	v_pk_mul_f32 v[10:11], v[2:3], v[16:17]
	ds_write2st64_b32 v8, v10, v11 offset0:12 offset1:14
	ds_read2st64_b32 v[10:11], v8 offset0:20 offset1:22
	s_waitcnt lgkmcnt(3)
	v_pk_mul_f32 v[12:13], v[2:3], v[12:13]
	ds_read2st64_b32 v[14:15], v8 offset0:24 offset1:26
	ds_write2st64_b32 v8, v12, v13 offset0:16 offset1:18
	ds_read2st64_b32 v[12:13], v8 offset0:28 offset1:30
	s_waitcnt lgkmcnt(3)
	v_pk_mul_f32 v[10:11], v[2:3], v[10:11]
	ds_write2st64_b32 v8, v10, v11 offset0:20 offset1:22
	s_waitcnt lgkmcnt(3)
	v_pk_mul_f32 v[10:11], v[2:3], v[14:15]
	ds_write2st64_b32 v8, v10, v11 offset0:24 offset1:26
	s_waitcnt lgkmcnt(2)
	v_pk_mul_f32 v[10:11], v[2:3], v[12:13]
	s_add_i32 s28, s28, 16
	v_cmp_eq_u32_e32 vcc, 0, v7
	ds_write2st64_b32 v8, v10, v11 offset0:28 offset1:30
	v_add_u32_e32 v8, 0x2000, v8
	s_or_b64 s[14:15], vcc, s[14:15]
	v_mov_b32_e32 v9, s28
	s_andn2_b64 exec, exec, s[14:15]
	s_cbranch_execnz .LBB178_28
; %bb.29:
	s_or_b64 exec, exec, s[14:15]
.LBB178_30:
	s_or_b64 exec, exec, s[8:9]
	v_and_b32_e32 v6, 7, v6
	v_cmp_ne_u32_e32 vcc, 0, v6
	s_and_saveexec_b64 s[8:9], vcc
	s_cbranch_execz .LBB178_33
; %bb.31:
	v_lshlrev_b32_e32 v7, 9, v9
	s_movk_i32 s14, 0x1f0
	v_add3_u32 v7, v7, v22, s14
	s_mov_b64 s[14:15], 0
.LBB178_32:                             ; =>This Inner Loop Header: Depth=1
	ds_read2st64_b32 v[8:9], v7 offset1:2
	v_add_u32_e32 v6, -1, v6
	v_cmp_eq_u32_e32 vcc, 0, v6
	s_or_b64 s[14:15], vcc, s[14:15]
	s_waitcnt lgkmcnt(0)
	v_pk_mul_f32 v[8:9], v[2:3], v[8:9]
	ds_write2st64_b32 v7, v8, v9 offset1:2
	v_add_u32_e32 v7, 0x400, v7
	s_andn2_b64 exec, exec, s[14:15]
	s_cbranch_execnz .LBB178_32
.LBB178_33:
	s_or_b64 exec, exec, s[8:9]
	v_add_u32_e32 v5, 1, v5
	v_and_b32_e32 v6, 0x3fffffe, v5
	v_cmp_ne_u32_e32 vcc, v5, v6
	v_lshl_add_u32 v3, v6, 7, v0
	s_orn2_b64 s[8:9], vcc, exec
.LBB178_34:
	s_or_b64 exec, exec, s[6:7]
	s_and_b64 exec, exec, s[8:9]
	s_cbranch_execz .LBB178_37
; %bb.35:
	v_mov_b32_e32 v5, 0x1f0
	v_lshl_add_u32 v5, v3, 2, v5
	s_mov_b64 s[6:7], 0
.LBB178_36:                             ; =>This Inner Loop Header: Depth=1
	ds_read_b32 v6, v5
	v_add_u32_e32 v3, 0x80, v3
	v_cmp_le_i32_e32 vcc, s30, v3
	s_or_b64 s[6:7], vcc, s[6:7]
	s_waitcnt lgkmcnt(0)
	v_mul_f32_e32 v6, v2, v6
	ds_write_b32 v5, v6
	v_add_u32_e32 v5, 0x200, v5
	s_andn2_b64 exec, exec, s[6:7]
	s_cbranch_execnz .LBB178_36
.LBB178_37:
	s_or_b64 exec, exec, s[0:1]
	v_mov_b32_e32 v7, 0
	v_lshrrev_b32_e32 v35, 1, v4
	v_and_b32_e32 v34, 1, v0
	v_mov_b32_e32 v6, v7
	v_mov_b32_e32 v11, v7
	;; [unrolled: 1-line block ×3, first 2 shown]
	s_waitcnt lgkmcnt(0)
	s_barrier
	s_and_saveexec_b64 s[6:7], s[2:3]
	s_cbranch_execz .LBB178_51
; %bb.38:
	v_and_b32_e32 v2, 4, v22
	s_ashr_i32 s1, s12, 31
	s_load_dword s8, s[10:11], 0x0
	v_or_b32_e32 v3, 0x60, v35
	s_movk_i32 s2, 0x78
	s_add_u32 s0, s26, s12
	v_cmp_gt_u32_e32 vcc, s2, v3
	v_lshl_or_b32 v12, v3, 3, v2
	v_lshlrev_b32_e32 v3, 3, v32
	s_addc_u32 s1, s27, s1
	s_add_i32 s15, s19, -1
	v_lshl_or_b32 v8, v35, 3, v2
	v_or3_b32 v36, v3, v2, 3
	v_lshlrev_b32_e32 v2, 4, v34
	s_lshl_b64 s[2:3], s[24:25], 2
	v_mov_b32_e32 v9, 0
	v_lshl_or_b32 v2, v32, 5, v2
	s_add_u32 s2, s22, s2
	v_add_u32_e32 v37, 0x1f0, v2
	v_and_b32_e32 v2, 60, v23
	v_mov_b32_e32 v3, v9
	s_addc_u32 s3, s23, s3
	s_mov_b32 s14, s13
	s_waitcnt lgkmcnt(0)
	s_mov_b32 s9, s8
	v_mov_b32_e32 v13, v9
	v_lshl_add_u64 v[14:15], s[2:3], 0, v[2:3]
	s_mov_b64 s[10:11], 0
	v_mov_b64_e32 v[16:17], s[0:1]
	v_mov_b32_e32 v10, v9
	v_mov_b32_e32 v11, v9
	;; [unrolled: 1-line block ×4, first 2 shown]
	s_branch .LBB178_41
.LBB178_39:                             ;   in Loop: Header=BB178_41 Depth=1
	s_or_b64 exec, exec, s[12:13]
	v_mul_f32_e32 v3, v3, v21
	v_fmac_f32_e32 v3, v2, v20
	v_fmac_f32_e32 v3, v4, v18
	;; [unrolled: 1-line block ×3, first 2 shown]
	v_add_f32_e32 v7, v7, v3
.LBB178_40:                             ;   in Loop: Header=BB178_41 Depth=1
	s_or_b64 exec, exec, s[2:3]
	v_add_u32_e32 v32, 2, v32
	v_cmp_le_i32_e64 s[0:1], s19, v32
	v_add_u32_e32 v36, 16, v36
	v_add_u32_e32 v37, 64, v37
	s_or_b64 s[10:11], s[0:1], s[10:11]
	v_lshl_add_u64 v[14:15], v[14:15], 0, 8
	s_andn2_b64 exec, exec, s[10:11]
	s_cbranch_execz .LBB178_50
.LBB178_41:                             ; =>This Inner Loop Header: Depth=1
	global_load_dword v2, v[14:15], off
	v_add_u32_e32 v38, -3, v36
	s_waitcnt vmcnt(0)
	v_mad_i64_i32 v[18:19], s[0:1], v2, s14, v[16:17]
	v_lshl_add_u64 v[26:27], v[18:19], 0, v[8:9]
	global_load_dword v20, v[26:27], off
	ds_read_b128 v[2:5], v37
	v_cmp_eq_u32_e64 s[0:1], s15, v32
	s_waitcnt vmcnt(0)
	v_and_b32_e32 v21, 0xffff, v20
	v_lshrrev_b32_e32 v22, 16, v20
	v_cvt_pk_f32_fp8_e32 v[20:21], v21
	v_cvt_pk_f32_fp8_e32 v[24:25], v22
	v_pk_mul_f32 v[22:23], s[8:9], v[20:21]
	v_pk_mul_f32 v[20:21], s[8:9], v[24:25]
	s_and_saveexec_b64 s[12:13], s[0:1]
; %bb.42:                               ;   in Loop: Header=BB178_41 Depth=1
	v_cmp_gt_i32_e64 s[2:3], s33, v38
	v_add_u32_e32 v24, -2, v36
	s_nop 0
	v_cndmask_b32_e64 v22, 0, v22, s[2:3]
	v_cmp_gt_i32_e64 s[2:3], s33, v24
	v_add_u32_e32 v24, -1, v36
	s_nop 0
	v_cndmask_b32_e64 v23, 0, v23, s[2:3]
	v_cmp_gt_i32_e64 s[2:3], s33, v24
	s_nop 1
	v_cndmask_b32_e64 v20, 0, v20, s[2:3]
	v_cmp_gt_i32_e64 s[2:3], s33, v36
	s_nop 1
	v_cndmask_b32_e64 v21, 0, v21, s[2:3]
; %bb.43:                               ;   in Loop: Header=BB178_41 Depth=1
	s_or_b64 exec, exec, s[12:13]
	global_load_dword v24, v[26:27], off offset:256
	s_waitcnt vmcnt(0)
	v_and_b32_e32 v25, 0xffff, v24
	v_lshrrev_b32_e32 v28, 16, v24
	v_cvt_pk_f32_fp8_e32 v[24:25], v25
	v_cvt_pk_f32_fp8_e32 v[30:31], v28
	v_pk_mul_f32 v[28:29], s[8:9], v[24:25]
	v_pk_mul_f32 v[24:25], s[8:9], v[30:31]
	s_and_saveexec_b64 s[12:13], s[0:1]
; %bb.44:                               ;   in Loop: Header=BB178_41 Depth=1
	v_cmp_gt_i32_e64 s[2:3], s33, v38
	v_add_u32_e32 v30, -2, v36
	s_nop 0
	v_cndmask_b32_e64 v28, 0, v28, s[2:3]
	v_cmp_gt_i32_e64 s[2:3], s33, v30
	v_add_u32_e32 v30, -1, v36
	s_nop 0
	v_cndmask_b32_e64 v29, 0, v29, s[2:3]
	v_cmp_gt_i32_e64 s[2:3], s33, v30
	s_nop 1
	v_cndmask_b32_e64 v24, 0, v24, s[2:3]
	v_cmp_gt_i32_e64 s[2:3], s33, v36
	s_nop 1
	v_cndmask_b32_e64 v25, 0, v25, s[2:3]
; %bb.45:                               ;   in Loop: Header=BB178_41 Depth=1
	s_or_b64 exec, exec, s[12:13]
	global_load_dword v26, v[26:27], off offset:512
	s_waitcnt vmcnt(0)
	v_and_b32_e32 v27, 0xffff, v26
	v_lshrrev_b32_e32 v30, 16, v26
	v_cvt_pk_f32_fp8_e32 v[26:27], v27
	v_cvt_pk_f32_fp8_e32 v[40:41], v30
	v_pk_mul_f32 v[30:31], s[8:9], v[26:27]
	v_pk_mul_f32 v[26:27], s[8:9], v[40:41]
	s_and_saveexec_b64 s[12:13], s[0:1]
; %bb.46:                               ;   in Loop: Header=BB178_41 Depth=1
	v_cmp_gt_i32_e64 s[2:3], s33, v38
	v_add_u32_e32 v39, -2, v36
	s_nop 0
	v_cndmask_b32_e64 v30, 0, v30, s[2:3]
	v_cmp_gt_i32_e64 s[2:3], s33, v39
	v_add_u32_e32 v39, -1, v36
	s_nop 0
	v_cndmask_b32_e64 v31, 0, v31, s[2:3]
	v_cmp_gt_i32_e64 s[2:3], s33, v39
	s_nop 1
	v_cndmask_b32_e64 v26, 0, v26, s[2:3]
	v_cmp_gt_i32_e64 s[2:3], s33, v36
	s_nop 1
	v_cndmask_b32_e64 v27, 0, v27, s[2:3]
; %bb.47:                               ;   in Loop: Header=BB178_41 Depth=1
	s_or_b64 exec, exec, s[12:13]
	s_waitcnt lgkmcnt(0)
	v_mul_f32_e32 v23, v3, v23
	v_fmac_f32_e32 v23, v2, v22
	v_fmac_f32_e32 v23, v4, v20
	v_mul_f32_e32 v20, v3, v29
	v_fmac_f32_e32 v20, v2, v28
	v_fmac_f32_e32 v20, v4, v24
	;; [unrolled: 1-line block ×3, first 2 shown]
	v_add_f32_e32 v11, v11, v20
	v_mul_f32_e32 v20, v3, v31
	v_fmac_f32_e32 v20, v2, v30
	v_fmac_f32_e32 v20, v4, v26
	;; [unrolled: 1-line block ×4, first 2 shown]
	v_add_f32_e32 v10, v10, v23
	v_add_f32_e32 v6, v6, v20
	s_and_saveexec_b64 s[2:3], vcc
	s_cbranch_execz .LBB178_40
; %bb.48:                               ;   in Loop: Header=BB178_41 Depth=1
	v_lshl_add_u64 v[18:19], v[18:19], 0, v[12:13]
	global_load_dword v18, v[18:19], off
	s_waitcnt vmcnt(0)
	v_and_b32_e32 v19, 0xffff, v18
	v_lshrrev_b32_e32 v20, 16, v18
	v_cvt_pk_f32_fp8_e32 v[18:19], v19
	v_cvt_pk_f32_fp8_e32 v[22:23], v20
	v_pk_mul_f32 v[20:21], s[8:9], v[18:19]
	v_pk_mul_f32 v[18:19], s[8:9], v[22:23]
	s_and_saveexec_b64 s[12:13], s[0:1]
	s_cbranch_execz .LBB178_39
; %bb.49:                               ;   in Loop: Header=BB178_41 Depth=1
	v_cmp_gt_i32_e64 s[0:1], s33, v38
	v_add_u32_e32 v22, -2, v36
	s_nop 0
	v_cndmask_b32_e64 v20, 0, v20, s[0:1]
	v_cmp_gt_i32_e64 s[0:1], s33, v22
	v_add_u32_e32 v22, -1, v36
	s_nop 0
	v_cndmask_b32_e64 v21, 0, v21, s[0:1]
	v_cmp_gt_i32_e64 s[0:1], s33, v22
	s_nop 1
	v_cndmask_b32_e64 v18, 0, v18, s[0:1]
	v_cmp_gt_i32_e64 s[0:1], s33, v36
	s_nop 1
	v_cndmask_b32_e64 v19, 0, v19, s[0:1]
	s_branch .LBB178_39
.LBB178_50:
	s_or_b64 exec, exec, s[10:11]
.LBB178_51:
	s_or_b64 exec, exec, s[6:7]
	ds_bpermute_b32 v2, v33, v10
	ds_bpermute_b32 v3, v33, v11
	ds_bpermute_b32 v8, v33, v6
	ds_bpermute_b32 v9, v33, v7
	s_waitcnt lgkmcnt(0)
	s_barrier
	v_pk_add_f32 v[4:5], v[10:11], v[2:3]
	v_pk_add_f32 v[2:3], v[6:7], v[8:9]
	v_and_b32_e32 v6, 0x3c0, v0
	v_cmp_eq_u32_e32 vcc, 64, v6
	s_and_saveexec_b64 s[2:3], vcc
	s_cbranch_execz .LBB178_56
; %bb.52:
	v_cmp_eq_u32_e32 vcc, 0, v34
	s_and_saveexec_b64 s[0:1], vcc
	s_cbranch_execz .LBB178_54
; %bb.53:
	v_mov_b32_e32 v6, 0x1f0
	v_lshl_add_u32 v6, v35, 2, v6
	ds_write2_b32 v6, v4, v5 offset1:32
	ds_write_b32 v6, v2 offset:256
.LBB178_54:
	s_or_b64 exec, exec, s[0:1]
	v_or_b32_e32 v6, 0x60, v35
	s_movk_i32 s0, 0x78
	v_cmp_gt_u32_e64 s[0:1], s0, v6
	s_and_b64 s[0:1], vcc, s[0:1]
	s_and_b64 exec, exec, s[0:1]
	s_cbranch_execz .LBB178_56
; %bb.55:
	v_mov_b32_e32 v6, 0x1f0
	v_lshl_add_u32 v6, v35, 2, v6
	ds_write_b32 v6, v3 offset:384
.LBB178_56:
	s_or_b64 exec, exec, s[2:3]
	v_cmp_gt_u32_e32 vcc, 64, v0
	s_waitcnt lgkmcnt(0)
	s_barrier
	s_and_saveexec_b64 s[6:7], vcc
	s_cbranch_execz .LBB178_64
; %bb.57:
	v_cmp_eq_u32_e64 s[0:1], 0, v34
	s_and_saveexec_b64 s[2:3], s[0:1]
	s_cbranch_execnz .LBB178_70
; %bb.58:
	s_or_b64 exec, exec, s[2:3]
	s_and_saveexec_b64 s[2:3], s[0:1]
	s_cbranch_execnz .LBB178_71
.LBB178_59:
	s_or_b64 exec, exec, s[2:3]
	s_and_saveexec_b64 s[2:3], s[0:1]
	s_cbranch_execz .LBB178_61
.LBB178_60:
	v_mov_b32_e32 v0, 0x1f0
	v_lshl_add_u32 v0, v1, 2, v0
	ds_read_b32 v0, v0 offset:256
	s_waitcnt lgkmcnt(0)
	v_add_f32_e32 v2, v2, v0
.LBB178_61:
	s_or_b64 exec, exec, s[2:3]
	v_or_b32_e32 v0, 0x60, v1
	s_movk_i32 s2, 0x78
	v_cmp_gt_u32_e64 s[2:3], s2, v0
	s_and_b64 s[2:3], s[0:1], s[2:3]
	s_and_saveexec_b64 s[0:1], s[2:3]
	s_cbranch_execz .LBB178_63
; %bb.62:
	v_mov_b32_e32 v0, 0x1f0
	v_lshl_add_u32 v0, v1, 2, v0
	ds_read_b32 v0, v0 offset:384
	s_waitcnt lgkmcnt(0)
	v_add_f32_e32 v3, v3, v0
.LBB178_63:
	s_or_b64 exec, exec, s[0:1]
.LBB178_64:
	s_or_b64 exec, exec, s[6:7]
	s_barrier
	s_and_saveexec_b64 s[0:1], vcc
	s_cbranch_execz .LBB178_69
; %bb.65:
	s_mul_i32 s0, s16, s17
	s_mul_i32 s0, s0, s5
	s_mulk_i32 s0, 0x78
	s_ashr_i32 s1, s0, 31
	s_lshl_b64 s[0:1], s[0:1], 2
	s_add_u32 s2, s20, s0
	s_mul_i32 s0, s17, s18
	s_addc_u32 s3, s21, s1
	s_ashr_i32 s1, s0, 31
	s_lshl_b64 s[0:1], s[0:1], 2
	s_add_u32 s2, s2, s0
	s_mul_i32 s0, s4, 0x78
	s_addc_u32 s3, s3, s1
	s_ashr_i32 s1, s0, 31
	s_lshl_b64 s[0:1], s[0:1], 2
	s_add_u32 s2, s2, s0
	s_movk_i32 s5, 0x78
	s_addc_u32 s3, s3, s1
	v_cmp_eq_u32_e32 vcc, 0, v34
	v_lshlrev_b32_e32 v0, 2, v1
	s_and_saveexec_b64 s[0:1], vcc
	s_cbranch_execz .LBB178_67
; %bb.66:
	global_store_dword v0, v4, s[2:3]
	global_store_dword v0, v5, s[2:3] offset:128
	global_store_dword v0, v2, s[2:3] offset:256
.LBB178_67:
	s_or_b64 exec, exec, s[0:1]
	v_or_b32_e32 v1, 0x60, v1
	v_cmp_gt_u32_e64 s[0:1], s5, v1
	s_and_b64 s[0:1], vcc, s[0:1]
	s_and_b64 exec, exec, s[0:1]
	s_cbranch_execz .LBB178_69
; %bb.68:
	global_store_dword v0, v3, s[2:3] offset:384
.LBB178_69:
	s_endpgm
.LBB178_70:
	v_mov_b32_e32 v0, 0x1f0
	v_lshl_add_u32 v0, v1, 2, v0
	ds_read_b32 v0, v0
	s_waitcnt lgkmcnt(0)
	v_add_f32_e32 v4, v4, v0
	s_or_b64 exec, exec, s[2:3]
	s_and_saveexec_b64 s[2:3], s[0:1]
	s_cbranch_execz .LBB178_59
.LBB178_71:
	v_mov_b32_e32 v0, 0x1f0
	v_lshl_add_u32 v0, v1, 2, v0
	ds_read_b32 v0, v0 offset:128
	s_waitcnt lgkmcnt(0)
	v_add_f32_e32 v5, v5, v0
	s_or_b64 exec, exec, s[2:3]
	s_and_saveexec_b64 s[2:3], s[0:1]
	s_cbranch_execnz .LBB178_60
	s_branch .LBB178_61
	.section	.rodata,"a",@progbits
	.p2align	6, 0x0
	.amdhsa_kernel _ZN4vllm25paged_attention_v1_kernelIfhLi120ELi8ELi128ELNS_18Fp8KVCacheDataTypeE1ELb0EEEvPT_PKS2_PKT0_S8_ifPKiSA_iPKfiiiSC_SC_iiiii
		.amdhsa_group_segment_fixed_size 496
		.amdhsa_private_segment_fixed_size 0
		.amdhsa_kernarg_size 384
		.amdhsa_user_sgpr_count 2
		.amdhsa_user_sgpr_dispatch_ptr 0
		.amdhsa_user_sgpr_queue_ptr 0
		.amdhsa_user_sgpr_kernarg_segment_ptr 1
		.amdhsa_user_sgpr_dispatch_id 0
		.amdhsa_user_sgpr_kernarg_preload_length 0
		.amdhsa_user_sgpr_kernarg_preload_offset 0
		.amdhsa_user_sgpr_private_segment_size 0
		.amdhsa_uses_dynamic_stack 0
		.amdhsa_enable_private_segment 0
		.amdhsa_system_sgpr_workgroup_id_x 1
		.amdhsa_system_sgpr_workgroup_id_y 1
		.amdhsa_system_sgpr_workgroup_id_z 1
		.amdhsa_system_sgpr_workgroup_info 0
		.amdhsa_system_vgpr_workitem_id 0
		.amdhsa_next_free_vgpr 52
		.amdhsa_next_free_sgpr 37
		.amdhsa_accum_offset 52
		.amdhsa_reserve_vcc 1
		.amdhsa_float_round_mode_32 0
		.amdhsa_float_round_mode_16_64 0
		.amdhsa_float_denorm_mode_32 3
		.amdhsa_float_denorm_mode_16_64 3
		.amdhsa_dx10_clamp 1
		.amdhsa_ieee_mode 1
		.amdhsa_fp16_overflow 0
		.amdhsa_tg_split 0
		.amdhsa_exception_fp_ieee_invalid_op 0
		.amdhsa_exception_fp_denorm_src 0
		.amdhsa_exception_fp_ieee_div_zero 0
		.amdhsa_exception_fp_ieee_overflow 0
		.amdhsa_exception_fp_ieee_underflow 0
		.amdhsa_exception_fp_ieee_inexact 0
		.amdhsa_exception_int_div_zero 0
	.end_amdhsa_kernel
	.section	.text._ZN4vllm25paged_attention_v1_kernelIfhLi120ELi8ELi128ELNS_18Fp8KVCacheDataTypeE1ELb0EEEvPT_PKS2_PKT0_S8_ifPKiSA_iPKfiiiSC_SC_iiiii,"axG",@progbits,_ZN4vllm25paged_attention_v1_kernelIfhLi120ELi8ELi128ELNS_18Fp8KVCacheDataTypeE1ELb0EEEvPT_PKS2_PKT0_S8_ifPKiSA_iPKfiiiSC_SC_iiiii,comdat
.Lfunc_end178:
	.size	_ZN4vllm25paged_attention_v1_kernelIfhLi120ELi8ELi128ELNS_18Fp8KVCacheDataTypeE1ELb0EEEvPT_PKS2_PKT0_S8_ifPKiSA_iPKfiiiSC_SC_iiiii, .Lfunc_end178-_ZN4vllm25paged_attention_v1_kernelIfhLi120ELi8ELi128ELNS_18Fp8KVCacheDataTypeE1ELb0EEEvPT_PKS2_PKT0_S8_ifPKiSA_iPKfiiiSC_SC_iiiii
                                        ; -- End function
	.section	.AMDGPU.csdata,"",@progbits
; Kernel info:
; codeLenInByte = 4464
; NumSgprs: 43
; NumVgprs: 52
; NumAgprs: 0
; TotalNumVgprs: 52
; ScratchSize: 0
; MemoryBound: 0
; FloatMode: 240
; IeeeMode: 1
; LDSByteSize: 496 bytes/workgroup (compile time only)
; SGPRBlocks: 5
; VGPRBlocks: 6
; NumSGPRsForWavesPerEU: 43
; NumVGPRsForWavesPerEU: 52
; AccumOffset: 52
; Occupancy: 8
; WaveLimiterHint : 1
; COMPUTE_PGM_RSRC2:SCRATCH_EN: 0
; COMPUTE_PGM_RSRC2:USER_SGPR: 2
; COMPUTE_PGM_RSRC2:TRAP_HANDLER: 0
; COMPUTE_PGM_RSRC2:TGID_X_EN: 1
; COMPUTE_PGM_RSRC2:TGID_Y_EN: 1
; COMPUTE_PGM_RSRC2:TGID_Z_EN: 1
; COMPUTE_PGM_RSRC2:TIDIG_COMP_CNT: 0
; COMPUTE_PGM_RSRC3_GFX90A:ACCUM_OFFSET: 12
; COMPUTE_PGM_RSRC3_GFX90A:TG_SPLIT: 0
	.section	.text._ZN4vllm25paged_attention_v1_kernelIfhLi128ELi8ELi128ELNS_18Fp8KVCacheDataTypeE1ELb0EEEvPT_PKS2_PKT0_S8_ifPKiSA_iPKfiiiSC_SC_iiiii,"axG",@progbits,_ZN4vllm25paged_attention_v1_kernelIfhLi128ELi8ELi128ELNS_18Fp8KVCacheDataTypeE1ELb0EEEvPT_PKS2_PKT0_S8_ifPKiSA_iPKfiiiSC_SC_iiiii,comdat
	.protected	_ZN4vllm25paged_attention_v1_kernelIfhLi128ELi8ELi128ELNS_18Fp8KVCacheDataTypeE1ELb0EEEvPT_PKS2_PKT0_S8_ifPKiSA_iPKfiiiSC_SC_iiiii ; -- Begin function _ZN4vllm25paged_attention_v1_kernelIfhLi128ELi8ELi128ELNS_18Fp8KVCacheDataTypeE1ELb0EEEvPT_PKS2_PKT0_S8_ifPKiSA_iPKfiiiSC_SC_iiiii
	.globl	_ZN4vllm25paged_attention_v1_kernelIfhLi128ELi8ELi128ELNS_18Fp8KVCacheDataTypeE1ELb0EEEvPT_PKS2_PKT0_S8_ifPKiSA_iPKfiiiSC_SC_iiiii
	.p2align	8
	.type	_ZN4vllm25paged_attention_v1_kernelIfhLi128ELi8ELi128ELNS_18Fp8KVCacheDataTypeE1ELb0EEEvPT_PKS2_PKT0_S8_ifPKiSA_iPKfiiiSC_SC_iiiii,@function
_ZN4vllm25paged_attention_v1_kernelIfhLi128ELi8ELi128ELNS_18Fp8KVCacheDataTypeE1ELb0EEEvPT_PKS2_PKT0_S8_ifPKiSA_iPKfiiiSC_SC_iiiii: ; @_ZN4vllm25paged_attention_v1_kernelIfhLi128ELi8ELi128ELNS_18Fp8KVCacheDataTypeE1ELb0EEEvPT_PKS2_PKT0_S8_ifPKiSA_iPKfiiiSC_SC_iiiii
; %bb.0:
	s_load_dword s5, s[0:1], 0x80
	s_load_dwordx2 s[6:7], s[0:1], 0x30
	s_load_dwordx2 s[28:29], s[0:1], 0x20
	s_mov_b32 s16, s3
	s_ashr_i32 s17, s3, 31
	s_lshl_b64 s[8:9], s[16:17], 2
	s_waitcnt lgkmcnt(0)
	s_add_u32 s6, s6, s8
	s_addc_u32 s7, s7, s9
	s_abs_i32 s3, s28
	v_cvt_f32_u32_e32 v1, s3
	s_sub_i32 s10, 0, s3
	s_abs_i32 s9, s5
	s_xor_b32 s8, s5, s28
	v_rcp_iflag_f32_e32 v1, v1
	s_ashr_i32 s8, s8, 31
	s_mov_b32 s28, 0
	v_mul_f32_e32 v1, 0x4f7ffffe, v1
	v_cvt_u32_f32_e32 v1, v1
	s_nop 0
	v_readfirstlane_b32 s11, v1
	s_mul_i32 s10, s10, s11
	s_mul_hi_u32 s10, s11, s10
	s_add_i32 s11, s11, s10
	s_mul_hi_u32 s10, s9, s11
	s_mul_i32 s11, s10, s3
	s_sub_i32 s9, s9, s11
	s_add_i32 s11, s10, 1
	s_sub_i32 s12, s9, s3
	s_cmp_ge_u32 s9, s3
	s_cselect_b32 s10, s11, s10
	s_cselect_b32 s9, s12, s9
	s_add_i32 s11, s10, 1
	s_cmp_ge_u32 s9, s3
	s_cselect_b32 s3, s11, s10
	s_xor_b32 s3, s3, s8
	s_sub_i32 s12, s3, s8
	s_abs_i32 s10, s12
	v_cvt_f32_u32_e32 v1, s10
	s_load_dwordx2 s[8:9], s[0:1], 0x40
	s_sub_i32 s3, 0, s10
	s_abs_i32 s11, s2
	v_rcp_iflag_f32_e32 v1, v1
	s_nop 0
	v_mul_f32_e32 v1, 0x4f7ffffe, v1
	v_cvt_u32_f32_e32 v1, v1
	s_nop 0
	v_readfirstlane_b32 s13, v1
	s_mul_i32 s3, s3, s13
	s_mul_hi_u32 s3, s13, s3
	s_add_i32 s13, s13, s3
	s_waitcnt lgkmcnt(0)
	s_cmp_eq_u64 s[8:9], 0
	s_mul_hi_u32 s20, s11, s13
	s_cbranch_scc1 .LBB179_2
; %bb.1:
	s_ashr_i32 s3, s2, 31
	s_lshl_b64 s[14:15], s[2:3], 2
	s_add_u32 s8, s8, s14
	s_addc_u32 s9, s9, s15
	s_load_dword s28, s[8:9], 0x0
.LBB179_2:
	s_load_dword s17, s[6:7], 0x0
	s_ashr_i32 s7, s12, 31
	s_load_dwordx4 s[12:15], s[0:1], 0x48
	s_ashr_i32 s6, s2, 31
	s_lshl_b32 s18, s2, 7
	s_movk_i32 s2, 0x80
	v_and_b32_e32 v18, 7, v0
	v_cmp_gt_u32_e32 vcc, s2, v0
	v_lshlrev_b32_e32 v24, 2, v0
	v_lshrrev_b32_e32 v1, 1, v0
	s_and_saveexec_b64 s[2:3], vcc
	s_cbranch_execz .LBB179_4
; %bb.3:
	s_load_dwordx2 s[8:9], s[0:1], 0x8
	s_waitcnt lgkmcnt(0)
	s_mul_i32 s22, s16, s12
	s_ashr_i32 s23, s22, 31
	s_lshl_b64 s[22:23], s[22:23], 2
	v_and_b32_e32 v3, 0x1fc, v1
	s_add_u32 s12, s8, s22
	s_addc_u32 s15, s9, s23
	s_ashr_i32 s19, s18, 31
	s_lshl_b64 s[8:9], s[18:19], 2
	s_add_u32 s8, s12, s8
	s_addc_u32 s9, s15, s9
	global_load_dword v2, v24, s[8:9]
	v_lshl_add_u32 v3, v18, 6, v3
	s_waitcnt vmcnt(0)
	ds_write_b32 v3, v2
.LBB179_4:
	s_or_b64 exec, exec, s[2:3]
	s_waitcnt lgkmcnt(0)
	s_add_i32 s3, s17, 7
	s_ashr_i32 s8, s3, 31
	s_lshr_b32 s8, s8, 29
	s_add_i32 s3, s3, s8
	s_ashr_i32 s19, s3, 3
	s_xor_b32 s3, s6, s7
	s_mul_i32 s6, s20, s10
	s_sub_i32 s6, s11, s6
	s_add_i32 s7, s20, 1
	s_sub_i32 s8, s6, s10
	s_load_dwordx2 s[22:23], s[0:1], 0x28
	s_load_dword s2, s[0:1], 0x38
	s_cmp_ge_u32 s6, s10
	s_cselect_b32 s7, s7, s20
	s_cselect_b32 s6, s8, s6
	s_add_i32 s8, s7, 1
	s_cmp_ge_u32 s6, s10
	s_cselect_b32 s6, s8, s7
	v_lshrrev_b32_e32 v30, 6, v0
	s_xor_b32 s6, s6, s3
	s_waitcnt lgkmcnt(0)
	s_mul_i32 s24, s16, s2
	s_sub_i32 s33, s6, s3
	s_ashr_i32 s25, s24, 31
	v_cmp_gt_i32_e64 s[2:3], s19, v30
	v_cmp_le_i32_e32 vcc, s19, v30
	v_mbcnt_lo_u32_b32 v19, -1, 0
	s_barrier
	s_waitcnt lgkmcnt(0)
                                        ; implicit-def: $sgpr15
                                        ; implicit-def: $vgpr26
                                        ; implicit-def: $vgpr27
	s_and_saveexec_b64 s[6:7], vcc
	s_xor_b64 s[6:7], exec, s[6:7]
; %bb.5:
	v_mbcnt_hi_u32_b32 v26, -1, v19
	v_and_b32_e32 v2, 64, v26
	v_add_u32_e32 v27, 64, v2
	s_mov_b32 s15, 0xff7fffff
                                        ; implicit-def: $vgpr18
                                        ; implicit-def: $vgpr19
; %bb.6:
	s_or_saveexec_b64 s[30:31], s[6:7]
	s_load_dwordx2 s[20:21], s[0:1], 0x0
	s_load_dwordx2 s[26:27], s[0:1], 0x18
	s_load_dword s12, s[0:1], 0x88
	s_load_dwordx4 s[8:11], s[0:1], 0x58
	v_mov_b32_e32 v28, s15
	s_mul_i32 s33, s33, s14
	v_lshrrev_b32_e32 v25, 4, v0
	s_xor_b64 exec, exec, s[30:31]
	s_cbranch_execz .LBB179_12
; %bb.7:
	v_mbcnt_hi_u32_b32 v26, -1, v19
	s_load_dwordx2 s[0:1], s[0:1], 0x10
	v_and_b32_e32 v19, 64, v26
	v_add_u32_e32 v27, 64, v19
	v_xor_b32_e32 v19, 4, v26
	v_cmp_lt_i32_e32 vcc, v19, v27
	v_lshlrev_b32_e32 v14, 6, v18
	s_ashr_i32 s6, s33, 31
	v_cndmask_b32_e32 v19, v26, v19, vcc
	ds_read_b128 v[2:5], v14
	ds_read_b128 v[6:9], v14 offset:16
	ds_read_b128 v[10:13], v14 offset:32
	;; [unrolled: 1-line block ×3, first 2 shown]
	v_lshlrev_b32_e32 v29, 2, v19
	v_xor_b32_e32 v19, 2, v26
	v_bfe_u32 v28, v0, 3, 3
	s_waitcnt lgkmcnt(0)
	s_add_u32 s0, s0, s33
	v_cmp_lt_i32_e32 vcc, v19, v27
	v_lshlrev_b32_e32 v22, 4, v28
	s_addc_u32 s1, s1, s6
	v_mov_b32_e32 v23, 0
	v_cndmask_b32_e32 v19, v26, v19, vcc
	s_load_dword s35, s[8:9], 0x0
	v_lshl_add_u64 v[20:21], s[0:1], 0, v[22:23]
	v_lshlrev_b32_e32 v31, 2, v19
	v_xor_b32_e32 v19, 1, v26
	s_sub_i32 s36, 1, s17
	v_lshlrev_b32_e32 v22, 2, v28
	s_lshl_b64 s[6:7], s[24:25], 2
	v_cmp_lt_i32_e32 vcc, v19, v27
	v_lshl_or_b32 v22, v30, 5, v22
	s_add_u32 s6, s22, s6
	v_cndmask_b32_e32 v19, v26, v19, vcc
	v_add_u32_e32 v34, 0x210, v22
	v_and_b32_e32 v22, 60, v25
	s_addc_u32 s7, s23, s7
	s_mov_b32 s34, s13
	v_lshlrev_b32_e32 v32, 2, v19
	v_cmp_eq_u32_e32 vcc, 0, v18
	v_cmp_neq_f32_e64 s[0:1], s28, 0
	v_mov_b32_e32 v19, v23
	v_lshl_or_b32 v33, v30, 3, v28
	v_lshl_add_u64 v[22:23], s[6:7], 0, v[22:23]
	s_mov_b64 s[8:9], 0
	v_mov_b32_e32 v28, 0xff7fffff
	v_mov_b32_e32 v35, v30
	s_branch .LBB179_9
.LBB179_8:                              ;   in Loop: Header=BB179_9 Depth=1
	s_or_b64 exec, exec, s[14:15]
	v_add_u32_e32 v35, 2, v35
	v_cmp_le_i32_e64 s[6:7], s19, v35
	v_add_u32_e32 v33, 16, v33
	v_add_u32_e32 v34, 64, v34
	s_or_b64 s[8:9], s[6:7], s[8:9]
	v_lshl_add_u64 v[22:23], v[22:23], 0, 8
	s_andn2_b64 exec, exec, s[8:9]
	s_cbranch_execz .LBB179_11
.LBB179_9:                              ; =>This Inner Loop Header: Depth=1
	global_load_dword v36, v[22:23], off
	s_waitcnt vmcnt(0) lgkmcnt(0)
	v_mad_i64_i32 v[36:37], s[6:7], v36, s34, v[20:21]
	v_lshl_add_u64 v[36:37], v[36:37], 0, v[18:19]
	global_load_ubyte v38, v[36:37], off
	global_load_ubyte v39, v[36:37], off offset:8
	global_load_ubyte v40, v[36:37], off offset:128
	;; [unrolled: 1-line block ×14, first 2 shown]
	s_nop 0
	global_load_ubyte v36, v[36:37], off offset:904
	s_waitcnt vmcnt(15)
	v_cvt_f32_fp8_sdwa v37, v38 src0_sel:BYTE_0
	s_waitcnt vmcnt(14)
	v_cvt_f32_fp8_sdwa v38, v39 src0_sel:BYTE_0
	;; [unrolled: 2-line block ×5, first 2 shown]
	s_waitcnt lgkmcnt(0)
	v_mul_f32_e32 v38, s35, v38
	s_waitcnt vmcnt(10)
	v_cvt_f32_fp8_sdwa v42, v43 src0_sel:BYTE_0
	v_mul_f32_e32 v37, s35, v37
	v_mul_f32_e32 v38, v3, v38
	s_waitcnt vmcnt(9)
	v_cvt_f32_fp8_sdwa v43, v44 src0_sel:BYTE_0
	v_mul_f32_e32 v39, s35, v39
	v_fmac_f32_e32 v38, v2, v37
	s_waitcnt vmcnt(8)
	v_cvt_f32_fp8_sdwa v44, v45 src0_sel:BYTE_0
	v_mul_f32_e32 v40, s35, v40
	v_fmac_f32_e32 v38, v4, v39
	s_waitcnt vmcnt(7)
	v_cvt_f32_fp8_sdwa v45, v46 src0_sel:BYTE_0
	v_mul_f32_e32 v41, s35, v41
	v_fmac_f32_e32 v38, v5, v40
	s_waitcnt vmcnt(6)
	v_cvt_f32_fp8_sdwa v46, v47 src0_sel:BYTE_0
	v_mul_f32_e32 v42, s35, v42
	v_fmac_f32_e32 v38, v6, v41
	s_waitcnt vmcnt(5)
	v_cvt_f32_fp8_sdwa v47, v48 src0_sel:BYTE_0
	v_mul_f32_e32 v43, s35, v43
	v_fmac_f32_e32 v38, v7, v42
	s_waitcnt vmcnt(4)
	v_cvt_f32_fp8_sdwa v48, v49 src0_sel:BYTE_0
	v_mul_f32_e32 v44, s35, v44
	v_fmac_f32_e32 v38, v8, v43
	s_waitcnt vmcnt(3)
	v_cvt_f32_fp8_sdwa v49, v50 src0_sel:BYTE_0
	v_mul_f32_e32 v45, s35, v45
	v_fmac_f32_e32 v38, v9, v44
	s_waitcnt vmcnt(2)
	v_cvt_f32_fp8_sdwa v50, v51 src0_sel:BYTE_0
	v_mul_f32_e32 v46, s35, v46
	v_fmac_f32_e32 v38, v10, v45
	s_waitcnt vmcnt(1)
	v_cvt_f32_fp8_sdwa v51, v52 src0_sel:BYTE_0
	v_mul_f32_e32 v47, s35, v47
	v_fmac_f32_e32 v38, v11, v46
	s_waitcnt vmcnt(0)
	v_cvt_f32_fp8_sdwa v36, v36 src0_sel:BYTE_0
	v_mul_f32_e32 v48, s35, v48
	v_fmac_f32_e32 v38, v12, v47
	v_mul_f32_e32 v49, s35, v49
	v_fmac_f32_e32 v38, v13, v48
	v_mul_f32_e32 v50, s35, v50
	v_fmac_f32_e32 v38, v14, v49
	;; [unrolled: 2-line block ×4, first 2 shown]
	v_fmac_f32_e32 v38, v17, v36
	ds_bpermute_b32 v36, v29, v38
	s_waitcnt lgkmcnt(0)
	v_add_f32_e32 v36, v38, v36
	ds_bpermute_b32 v37, v31, v36
	s_waitcnt lgkmcnt(0)
	v_add_f32_e32 v36, v36, v37
	ds_bpermute_b32 v37, v32, v36
	s_and_saveexec_b64 s[14:15], vcc
	s_cbranch_execz .LBB179_8
; %bb.10:                               ;   in Loop: Header=BB179_9 Depth=1
	v_add_u32_e32 v38, s36, v33
	v_cvt_f32_i32_e32 v38, v38
	s_waitcnt lgkmcnt(0)
	v_add_f32_e32 v36, v36, v37
	v_cmp_gt_i32_e64 s[6:7], s17, v33
	v_max_f32_e32 v37, v28, v28
	v_mul_f32_e32 v38, s28, v38
	v_cndmask_b32_e64 v38, 0, v38, s[0:1]
	v_fmac_f32_e32 v38, s29, v36
	v_cndmask_b32_e64 v36, 0, v38, s[6:7]
	ds_write_b32 v34, v36
	v_max_f32_e32 v36, v37, v38
	v_cndmask_b32_e64 v28, v28, v36, s[6:7]
	s_branch .LBB179_8
.LBB179_11:
	s_or_b64 exec, exec, s[8:9]
.LBB179_12:
	s_or_b64 exec, exec, s[30:31]
	v_xor_b32_e32 v2, 32, v26
	v_cmp_lt_i32_e32 vcc, v2, v27
	v_xor_b32_e32 v5, 16, v26
	v_max_f32_e32 v4, v28, v28
	v_cndmask_b32_e32 v2, v26, v2, vcc
	v_lshlrev_b32_e32 v3, 2, v2
	ds_bpermute_b32 v2, v3, v28
	v_cmp_lt_i32_e32 vcc, v5, v27
	v_xor_b32_e32 v6, 8, v26
	v_and_b32_e32 v31, 63, v0
	s_waitcnt lgkmcnt(0)
	v_max_f32_e32 v2, v2, v2
	v_max_f32_e32 v2, v4, v2
	v_cndmask_b32_e32 v4, v26, v5, vcc
	v_lshlrev_b32_e32 v5, 2, v4
	ds_bpermute_b32 v4, v5, v2
	v_cmp_lt_i32_e32 vcc, v6, v27
	s_waitcnt lgkmcnt(0)
	v_max_f32_e32 v4, v4, v4
	v_max_f32_e32 v4, v2, v4
	v_cndmask_b32_e32 v2, v26, v6, vcc
	v_lshlrev_b32_e32 v6, 2, v2
	ds_bpermute_b32 v7, v6, v4
	v_cmp_eq_u32_e32 vcc, 0, v31
	v_lshlrev_b32_e32 v2, 2, v30
	s_and_saveexec_b64 s[0:1], vcc
	s_cbranch_execz .LBB179_14
; %bb.13:
	s_waitcnt lgkmcnt(0)
	v_max_f32_e32 v7, v7, v7
	v_max_f32_e32 v4, v4, v4
	;; [unrolled: 1-line block ×3, first 2 shown]
	ds_write_b32 v2, v4 offset:512
.LBB179_14:
	s_or_b64 exec, exec, s[0:1]
	v_cmp_gt_u32_e64 s[0:1], 2, v31
	s_waitcnt lgkmcnt(0)
	v_mov_b32_e32 v7, 0xff7fffff
	v_lshlrev_b32_e32 v4, 2, v31
	s_barrier
	s_and_saveexec_b64 s[6:7], s[0:1]
	s_cbranch_execz .LBB179_16
; %bb.15:
	ds_read_b32 v7, v4 offset:512
.LBB179_16:
	s_or_b64 exec, exec, s[6:7]
	v_xor_b32_e32 v8, 1, v26
	v_cmp_lt_i32_e64 s[6:7], v8, v27
	v_lshlrev_b32_e32 v9, 2, v26
	s_nop 0
	v_cndmask_b32_e64 v8, v26, v8, s[6:7]
	v_lshlrev_b32_e32 v32, 2, v8
	s_waitcnt lgkmcnt(0)
	ds_bpermute_b32 v8, v32, v7
	v_max_f32_e32 v7, v7, v7
	s_lshl_b32 s6, s19, 3
	s_min_i32 s30, s6, s17
	v_cmp_gt_i32_e64 s[6:7], s30, v0
	s_waitcnt lgkmcnt(0)
	v_max_f32_e32 v8, v8, v8
	v_max_f32_e32 v8, v7, v8
	v_and_b32_e32 v7, 0xffffff00, v9
	ds_bpermute_b32 v9, v7, v8
	v_mov_b32_e32 v8, 0
	s_and_saveexec_b64 s[14:15], s[6:7]
	s_cbranch_execz .LBB179_20
; %bb.17:
	v_mov_b32_e32 v8, 0x210
	v_lshl_add_u32 v10, v0, 2, v8
	s_mov_b64 s[28:29], 0
	v_mov_b32_e32 v8, 0
	v_mov_b32_e32 v11, v0
.LBB179_18:                             ; =>This Inner Loop Header: Depth=1
	ds_read_b32 v12, v10
	v_add_u32_e32 v11, 0x80, v11
	v_cmp_le_i32_e64 s[8:9], s30, v11
	s_or_b64 s[28:29], s[8:9], s[28:29]
	s_waitcnt lgkmcnt(0)
	v_sub_f32_e32 v12, v12, v9
	v_mul_f32_e32 v12, 0x3fb8aa3b, v12
	v_exp_f32_e32 v12, v12
	ds_write_b32 v10, v12
	v_add_f32_e32 v8, v8, v12
	v_add_u32_e32 v10, 0x200, v10
	s_andn2_b64 exec, exec, s[28:29]
	s_cbranch_execnz .LBB179_18
; %bb.19:
	s_or_b64 exec, exec, s[28:29]
.LBB179_20:
	s_or_b64 exec, exec, s[14:15]
	ds_bpermute_b32 v3, v3, v8
	s_waitcnt lgkmcnt(0)
	v_add_f32_e32 v3, v8, v3
	ds_bpermute_b32 v5, v5, v3
	s_waitcnt lgkmcnt(0)
	v_add_f32_e32 v3, v3, v5
	ds_bpermute_b32 v5, v6, v3
	v_xor_b32_e32 v6, 4, v26
	v_cmp_lt_i32_e64 s[8:9], v6, v27
	s_waitcnt lgkmcnt(0)
	v_add_f32_e32 v3, v3, v5
	v_cndmask_b32_e64 v6, v26, v6, s[8:9]
	v_lshlrev_b32_e32 v6, 2, v6
	ds_bpermute_b32 v5, v6, v3
	v_xor_b32_e32 v6, 2, v26
	v_cmp_lt_i32_e64 s[8:9], v6, v27
	s_waitcnt lgkmcnt(0)
	v_add_f32_e32 v3, v3, v5
	v_cndmask_b32_e64 v6, v26, v6, s[8:9]
	v_lshlrev_b32_e32 v5, 2, v6
	ds_bpermute_b32 v5, v5, v3
	s_waitcnt lgkmcnt(0)
	v_add_f32_e32 v3, v3, v5
	ds_bpermute_b32 v5, v32, v3
	s_waitcnt lgkmcnt(0)
	v_add_f32_e32 v3, v3, v5
	s_and_saveexec_b64 s[8:9], vcc
	s_cbranch_execz .LBB179_22
; %bb.21:
	ds_write_b32 v2, v3 offset:520
.LBB179_22:
	s_or_b64 exec, exec, s[8:9]
	s_waitcnt lgkmcnt(0)
	s_barrier
	s_and_saveexec_b64 s[8:9], s[0:1]
	s_cbranch_execz .LBB179_24
; %bb.23:
	ds_read_b32 v3, v4 offset:520
.LBB179_24:
	s_or_b64 exec, exec, s[8:9]
	s_waitcnt lgkmcnt(0)
	ds_bpermute_b32 v2, v32, v3
	s_waitcnt lgkmcnt(0)
	v_add_f32_e32 v2, v3, v2
	ds_bpermute_b32 v2, v7, v2
	s_and_saveexec_b64 s[0:1], s[6:7]
	s_cbranch_execz .LBB179_37
; %bb.25:
	s_waitcnt lgkmcnt(0)
	v_add_f32_e32 v2, 0x358637bd, v2
	v_div_scale_f32 v3, s[6:7], v2, v2, 1.0
	v_rcp_f32_e32 v4, v3
	v_div_scale_f32 v5, vcc, 1.0, v2, 1.0
	s_movk_i32 s6, 0x7f
	v_fma_f32 v6, -v3, v4, 1.0
	v_fmac_f32_e32 v4, v6, v4
	v_mul_f32_e32 v6, v5, v4
	v_fma_f32 v7, -v3, v6, v5
	v_fmac_f32_e32 v6, v7, v4
	v_fma_f32 v3, -v3, v6, v5
	v_div_fmas_f32 v3, v3, v4, v6
	v_xad_u32 v4, v0, -1, s30
	v_div_fixup_f32 v2, v3, v2, 1.0
	v_cmp_lt_u32_e32 vcc, s6, v4
	s_mov_b64 s[8:9], -1
	v_mov_b32_e32 v3, v0
	s_and_saveexec_b64 s[6:7], vcc
	s_cbranch_execz .LBB179_34
; %bb.26:
	v_lshrrev_b32_e32 v4, 7, v4
	v_add_u32_e32 v6, -1, v4
	v_lshrrev_b32_e32 v5, 1, v6
	v_mov_b32_e32 v3, v2
	v_add_u32_e32 v5, 1, v5
	v_cmp_lt_u32_e32 vcc, 13, v6
	v_mov_b32_e32 v8, 0
	s_and_saveexec_b64 s[8:9], vcc
	s_cbranch_execz .LBB179_30
; %bb.27:
	v_mov_b32_e32 v7, 0x210
	v_and_b32_e32 v6, -8, v5
	v_lshl_add_u32 v7, v0, 2, v7
	s_mov_b32 s28, 0
	s_mov_b64 s[14:15], 0
.LBB179_28:                             ; =>This Inner Loop Header: Depth=1
	ds_read2st64_b32 v[8:9], v7 offset1:2
	ds_read2st64_b32 v[10:11], v7 offset0:4 offset1:6
	ds_read2st64_b32 v[12:13], v7 offset0:8 offset1:10
	;; [unrolled: 1-line block ×3, first 2 shown]
	v_add_u32_e32 v6, -8, v6
	s_waitcnt lgkmcnt(3)
	v_pk_mul_f32 v[8:9], v[2:3], v[8:9]
	s_waitcnt lgkmcnt(2)
	v_pk_mul_f32 v[10:11], v[2:3], v[10:11]
	ds_write2st64_b32 v7, v8, v9 offset1:2
	ds_write2st64_b32 v7, v10, v11 offset0:4 offset1:6
	ds_read2st64_b32 v[10:11], v7 offset0:16 offset1:18
	s_waitcnt lgkmcnt(4)
	v_pk_mul_f32 v[8:9], v[2:3], v[12:13]
	ds_write2st64_b32 v7, v8, v9 offset0:8 offset1:10
	s_waitcnt lgkmcnt(4)
	v_pk_mul_f32 v[8:9], v[2:3], v[14:15]
	ds_write2st64_b32 v7, v8, v9 offset0:12 offset1:14
	ds_read2st64_b32 v[8:9], v7 offset0:20 offset1:22
	s_waitcnt lgkmcnt(3)
	v_pk_mul_f32 v[10:11], v[2:3], v[10:11]
	ds_read2st64_b32 v[12:13], v7 offset0:24 offset1:26
	ds_write2st64_b32 v7, v10, v11 offset0:16 offset1:18
	ds_read2st64_b32 v[10:11], v7 offset0:28 offset1:30
	s_waitcnt lgkmcnt(3)
	v_pk_mul_f32 v[8:9], v[2:3], v[8:9]
	ds_write2st64_b32 v7, v8, v9 offset0:20 offset1:22
	s_waitcnt lgkmcnt(3)
	v_pk_mul_f32 v[8:9], v[2:3], v[12:13]
	ds_write2st64_b32 v7, v8, v9 offset0:24 offset1:26
	s_waitcnt lgkmcnt(2)
	v_pk_mul_f32 v[8:9], v[2:3], v[10:11]
	s_add_i32 s28, s28, 16
	v_cmp_eq_u32_e32 vcc, 0, v6
	ds_write2st64_b32 v7, v8, v9 offset0:28 offset1:30
	v_add_u32_e32 v7, 0x2000, v7
	s_or_b64 s[14:15], vcc, s[14:15]
	v_mov_b32_e32 v8, s28
	s_andn2_b64 exec, exec, s[14:15]
	s_cbranch_execnz .LBB179_28
; %bb.29:
	s_or_b64 exec, exec, s[14:15]
.LBB179_30:
	s_or_b64 exec, exec, s[8:9]
	v_and_b32_e32 v5, 7, v5
	v_cmp_ne_u32_e32 vcc, 0, v5
	s_and_saveexec_b64 s[8:9], vcc
	s_cbranch_execz .LBB179_33
; %bb.31:
	v_lshlrev_b32_e32 v6, 9, v8
	s_movk_i32 s14, 0x210
	v_add3_u32 v6, v6, v24, s14
	s_mov_b64 s[14:15], 0
.LBB179_32:                             ; =>This Inner Loop Header: Depth=1
	ds_read2st64_b32 v[8:9], v6 offset1:2
	v_add_u32_e32 v5, -1, v5
	v_cmp_eq_u32_e32 vcc, 0, v5
	s_or_b64 s[14:15], vcc, s[14:15]
	s_waitcnt lgkmcnt(0)
	v_pk_mul_f32 v[8:9], v[2:3], v[8:9]
	ds_write2st64_b32 v6, v8, v9 offset1:2
	v_add_u32_e32 v6, 0x400, v6
	s_andn2_b64 exec, exec, s[14:15]
	s_cbranch_execnz .LBB179_32
.LBB179_33:
	s_or_b64 exec, exec, s[8:9]
	v_add_u32_e32 v4, 1, v4
	v_and_b32_e32 v5, 0x3fffffe, v4
	v_cmp_ne_u32_e32 vcc, v4, v5
	v_lshl_add_u32 v3, v5, 7, v0
	s_orn2_b64 s[8:9], vcc, exec
.LBB179_34:
	s_or_b64 exec, exec, s[6:7]
	s_and_b64 exec, exec, s[8:9]
	s_cbranch_execz .LBB179_37
; %bb.35:
	v_mov_b32_e32 v4, 0x210
	v_lshl_add_u32 v4, v3, 2, v4
	s_mov_b64 s[6:7], 0
.LBB179_36:                             ; =>This Inner Loop Header: Depth=1
	ds_read_b32 v5, v4
	v_add_u32_e32 v3, 0x80, v3
	v_cmp_le_i32_e32 vcc, s30, v3
	s_or_b64 s[6:7], vcc, s[6:7]
	s_waitcnt lgkmcnt(0)
	v_mul_f32_e32 v5, v2, v5
	ds_write_b32 v4, v5
	v_add_u32_e32 v4, 0x200, v4
	s_andn2_b64 exec, exec, s[6:7]
	s_cbranch_execnz .LBB179_36
.LBB179_37:
	s_or_b64 exec, exec, s[0:1]
	v_mov_b32_e32 v9, 0
	v_and_b32_e32 v33, 1, v0
	v_mov_b32_e32 v8, 0
	v_mov_b32_e32 v7, 0
	v_mov_b32_e32 v6, 0
	s_waitcnt lgkmcnt(0)
	s_barrier
	s_and_saveexec_b64 s[6:7], s[2:3]
	s_cbranch_execz .LBB179_49
; %bb.38:
	s_ashr_i32 s1, s33, 31
	s_load_dword s2, s[10:11], 0x0
	s_add_u32 s0, s26, s33
	s_addc_u32 s1, s27, s1
	v_and_b32_e32 v6, 0xfc, v24
	v_mov_b32_e32 v7, 0
	v_and_b32_e32 v2, 4, v24
	s_add_i32 s14, s19, -1
	v_lshl_add_u64 v[10:11], s[0:1], 0, v[6:7]
	v_lshlrev_b32_e32 v3, 3, v30
	s_lshl_b64 s[0:1], s[24:25], 2
	v_or3_b32 v34, v3, v2, 3
	v_lshlrev_b32_e32 v2, 4, v33
	s_add_u32 s0, s22, s0
	v_lshl_or_b32 v2, v30, 5, v2
	v_and_b32_e32 v6, 60, v25
	s_addc_u32 s1, s23, s1
	s_waitcnt lgkmcnt(0)
	s_mov_b32 s3, s2
	v_add_u32_e32 v35, 0x210, v2
	v_lshl_add_u64 v[12:13], s[0:1], 0, v[6:7]
	s_mov_b64 s[8:9], 0
	v_mov_b32_e32 v6, v7
	v_mov_b32_e32 v8, v7
	;; [unrolled: 1-line block ×3, first 2 shown]
	s_branch .LBB179_40
.LBB179_39:                             ;   in Loop: Header=BB179_40 Depth=1
	s_or_b64 exec, exec, s[0:1]
	s_waitcnt lgkmcnt(0)
	v_mul_f32_e32 v17, v3, v17
	v_fmac_f32_e32 v17, v2, v16
	v_fmac_f32_e32 v17, v4, v14
	v_mul_f32_e32 v14, v3, v23
	v_fmac_f32_e32 v14, v2, v22
	v_fmac_f32_e32 v14, v4, v20
	;; [unrolled: 1-line block ×3, first 2 shown]
	v_add_f32_e32 v7, v7, v14
	v_mul_f32_e32 v14, v3, v27
	v_mul_f32_e32 v3, v3, v29
	v_fmac_f32_e32 v14, v2, v26
	v_fmac_f32_e32 v3, v2, v28
	;; [unrolled: 1-line block ×4, first 2 shown]
	v_add_u32_e32 v30, 2, v30
	v_fmac_f32_e32 v17, v5, v15
	v_fmac_f32_e32 v14, v5, v25
	;; [unrolled: 1-line block ×3, first 2 shown]
	v_cmp_le_i32_e32 vcc, s19, v30
	v_add_f32_e32 v6, v6, v17
	v_add_f32_e32 v8, v8, v14
	;; [unrolled: 1-line block ×3, first 2 shown]
	v_add_u32_e32 v34, 16, v34
	v_add_u32_e32 v35, 64, v35
	s_or_b64 s[8:9], vcc, s[8:9]
	v_lshl_add_u64 v[12:13], v[12:13], 0, 8
	s_andn2_b64 exec, exec, s[8:9]
	s_cbranch_execz .LBB179_48
.LBB179_40:                             ; =>This Inner Loop Header: Depth=1
	global_load_dword v2, v[12:13], off
	v_add_u32_e32 v36, -3, v34
	v_cmp_eq_u32_e32 vcc, s14, v30
	v_add_u32_e32 v37, -2, v34
	v_add_u32_e32 v38, -1, v34
	s_waitcnt vmcnt(0)
	v_mad_i64_i32 v[18:19], s[0:1], v2, s13, v[10:11]
	global_load_dword v14, v[18:19], off
	ds_read_b128 v[2:5], v35
	s_waitcnt vmcnt(0)
	v_and_b32_e32 v15, 0xffff, v14
	v_lshrrev_b32_e32 v16, 16, v14
	v_cvt_pk_f32_fp8_e32 v[14:15], v15
	v_cvt_pk_f32_fp8_e32 v[20:21], v16
	v_pk_mul_f32 v[16:17], s[2:3], v[14:15]
	v_pk_mul_f32 v[14:15], s[2:3], v[20:21]
	s_and_saveexec_b64 s[10:11], vcc
; %bb.41:                               ;   in Loop: Header=BB179_40 Depth=1
	v_cmp_gt_i32_e64 s[0:1], s17, v36
	s_nop 1
	v_cndmask_b32_e64 v16, 0, v16, s[0:1]
	v_cmp_gt_i32_e64 s[0:1], s17, v37
	s_nop 1
	v_cndmask_b32_e64 v17, 0, v17, s[0:1]
	v_cmp_gt_i32_e64 s[0:1], s17, v38
	s_nop 1
	v_cndmask_b32_e64 v14, 0, v14, s[0:1]
	v_cmp_gt_i32_e64 s[0:1], s17, v34
	s_nop 1
	v_cndmask_b32_e64 v15, 0, v15, s[0:1]
; %bb.42:                               ;   in Loop: Header=BB179_40 Depth=1
	s_or_b64 exec, exec, s[10:11]
	global_load_dword v20, v[18:19], off offset:256
	s_waitcnt vmcnt(0)
	v_and_b32_e32 v21, 0xffff, v20
	v_lshrrev_b32_e32 v22, 16, v20
	v_cvt_pk_f32_fp8_e32 v[20:21], v21
	v_cvt_pk_f32_fp8_e32 v[24:25], v22
	v_pk_mul_f32 v[22:23], s[2:3], v[20:21]
	v_pk_mul_f32 v[20:21], s[2:3], v[24:25]
	s_and_saveexec_b64 s[10:11], vcc
; %bb.43:                               ;   in Loop: Header=BB179_40 Depth=1
	v_cmp_gt_i32_e64 s[0:1], s17, v36
	s_nop 1
	v_cndmask_b32_e64 v22, 0, v22, s[0:1]
	v_cmp_gt_i32_e64 s[0:1], s17, v37
	s_nop 1
	v_cndmask_b32_e64 v23, 0, v23, s[0:1]
	v_cmp_gt_i32_e64 s[0:1], s17, v38
	s_nop 1
	v_cndmask_b32_e64 v20, 0, v20, s[0:1]
	v_cmp_gt_i32_e64 s[0:1], s17, v34
	s_nop 1
	v_cndmask_b32_e64 v21, 0, v21, s[0:1]
; %bb.44:                               ;   in Loop: Header=BB179_40 Depth=1
	s_or_b64 exec, exec, s[10:11]
	global_load_dword v24, v[18:19], off offset:512
	;; [unrolled: 24-line block ×3, first 2 shown]
	s_waitcnt vmcnt(0)
	v_and_b32_e32 v19, 0xffff, v18
	v_lshrrev_b32_e32 v28, 16, v18
	v_cvt_pk_f32_fp8_e32 v[18:19], v19
	v_cvt_pk_f32_fp8_e32 v[40:41], v28
	v_pk_mul_f32 v[28:29], s[2:3], v[18:19]
	v_pk_mul_f32 v[18:19], s[2:3], v[40:41]
	s_and_saveexec_b64 s[0:1], vcc
	s_cbranch_execz .LBB179_39
; %bb.47:                               ;   in Loop: Header=BB179_40 Depth=1
	v_cmp_gt_i32_e32 vcc, s17, v36
	s_nop 1
	v_cndmask_b32_e32 v28, 0, v28, vcc
	v_cmp_gt_i32_e32 vcc, s17, v37
	s_nop 1
	v_cndmask_b32_e32 v29, 0, v29, vcc
	;; [unrolled: 3-line block ×4, first 2 shown]
	s_branch .LBB179_39
.LBB179_48:
	s_or_b64 exec, exec, s[8:9]
.LBB179_49:
	s_or_b64 exec, exec, s[6:7]
	ds_bpermute_b32 v2, v32, v6
	ds_bpermute_b32 v3, v32, v7
	;; [unrolled: 1-line block ×4, first 2 shown]
	s_waitcnt lgkmcnt(0)
	s_barrier
	v_pk_add_f32 v[2:3], v[6:7], v[2:3]
	v_and_b32_e32 v6, 0x3c1, v0
	v_pk_add_f32 v[4:5], v[8:9], v[4:5]
	v_cmp_eq_u32_e32 vcc, 64, v6
	s_and_saveexec_b64 s[0:1], vcc
	s_cbranch_execz .LBB179_51
; %bb.50:
	v_mov_b32_e32 v7, 0x210
	v_lshl_add_u32 v7, v31, 1, v7
	ds_write2_b32 v7, v2, v3 offset1:32
	ds_write2_b32 v7, v4, v5 offset0:64 offset1:96
.LBB179_51:
	s_or_b64 exec, exec, s[0:1]
	v_cmp_gt_u32_e32 vcc, 64, v0
	s_waitcnt lgkmcnt(0)
	s_barrier
	s_and_saveexec_b64 s[0:1], vcc
	s_cbranch_execz .LBB179_58
; %bb.52:
	v_cmp_eq_u32_e32 vcc, 0, v33
	s_and_saveexec_b64 s[2:3], vcc
	s_cbranch_execnz .LBB179_61
; %bb.53:
	s_or_b64 exec, exec, s[2:3]
	s_and_saveexec_b64 s[2:3], vcc
	s_cbranch_execnz .LBB179_62
.LBB179_54:
	s_or_b64 exec, exec, s[2:3]
	s_and_saveexec_b64 s[2:3], vcc
	s_cbranch_execnz .LBB179_63
.LBB179_55:
	s_or_b64 exec, exec, s[2:3]
	s_and_saveexec_b64 s[2:3], vcc
	s_cbranch_execz .LBB179_57
.LBB179_56:
	v_mov_b32_e32 v7, 0x210
	v_lshl_add_u32 v1, v1, 2, v7
	ds_read_b32 v1, v1 offset:384
	s_waitcnt lgkmcnt(0)
	v_add_f32_e32 v5, v5, v1
.LBB179_57:
	s_or_b64 exec, exec, s[2:3]
.LBB179_58:
	s_or_b64 exec, exec, s[0:1]
	v_cmp_eq_u32_e32 vcc, 0, v6
	s_barrier
	s_and_saveexec_b64 s[0:1], vcc
	s_cbranch_execz .LBB179_60
; %bb.59:
	s_mul_i32 s0, s16, s12
	s_mul_i32 s0, s0, s5
	s_lshl_b32 s0, s0, 7
	s_ashr_i32 s1, s0, 31
	s_lshl_b64 s[0:1], s[0:1], 2
	s_add_u32 s2, s20, s0
	s_mul_i32 s0, s12, s18
	s_addc_u32 s3, s21, s1
	s_ashr_i32 s1, s0, 31
	s_lshl_b64 s[0:1], s[0:1], 2
	s_add_u32 s2, s2, s0
	s_addc_u32 s3, s3, s1
	s_lshl_b32 s0, s4, 7
	s_ashr_i32 s1, s0, 31
	s_lshl_b64 s[0:1], s[0:1], 2
	s_add_u32 s0, s2, s0
	s_addc_u32 s1, s3, s1
	v_lshlrev_b32_e32 v0, 1, v0
	global_store_dword v0, v2, s[0:1]
	global_store_dword v0, v3, s[0:1] offset:128
	global_store_dword v0, v4, s[0:1] offset:256
	;; [unrolled: 1-line block ×3, first 2 shown]
.LBB179_60:
	s_endpgm
.LBB179_61:
	v_mov_b32_e32 v7, 0x210
	v_lshl_add_u32 v7, v1, 2, v7
	ds_read_b32 v7, v7
	s_waitcnt lgkmcnt(0)
	v_add_f32_e32 v2, v2, v7
	s_or_b64 exec, exec, s[2:3]
	s_and_saveexec_b64 s[2:3], vcc
	s_cbranch_execz .LBB179_54
.LBB179_62:
	v_mov_b32_e32 v7, 0x210
	v_lshl_add_u32 v7, v1, 2, v7
	ds_read_b32 v7, v7 offset:128
	s_waitcnt lgkmcnt(0)
	v_add_f32_e32 v3, v3, v7
	s_or_b64 exec, exec, s[2:3]
	s_and_saveexec_b64 s[2:3], vcc
	s_cbranch_execz .LBB179_55
.LBB179_63:
	v_mov_b32_e32 v7, 0x210
	v_lshl_add_u32 v7, v1, 2, v7
	ds_read_b32 v7, v7 offset:256
	s_waitcnt lgkmcnt(0)
	v_add_f32_e32 v4, v4, v7
	s_or_b64 exec, exec, s[2:3]
	s_and_saveexec_b64 s[2:3], vcc
	s_cbranch_execnz .LBB179_56
	s_branch .LBB179_57
	.section	.rodata,"a",@progbits
	.p2align	6, 0x0
	.amdhsa_kernel _ZN4vllm25paged_attention_v1_kernelIfhLi128ELi8ELi128ELNS_18Fp8KVCacheDataTypeE1ELb0EEEvPT_PKS2_PKT0_S8_ifPKiSA_iPKfiiiSC_SC_iiiii
		.amdhsa_group_segment_fixed_size 528
		.amdhsa_private_segment_fixed_size 0
		.amdhsa_kernarg_size 384
		.amdhsa_user_sgpr_count 2
		.amdhsa_user_sgpr_dispatch_ptr 0
		.amdhsa_user_sgpr_queue_ptr 0
		.amdhsa_user_sgpr_kernarg_segment_ptr 1
		.amdhsa_user_sgpr_dispatch_id 0
		.amdhsa_user_sgpr_kernarg_preload_length 0
		.amdhsa_user_sgpr_kernarg_preload_offset 0
		.amdhsa_user_sgpr_private_segment_size 0
		.amdhsa_uses_dynamic_stack 0
		.amdhsa_enable_private_segment 0
		.amdhsa_system_sgpr_workgroup_id_x 1
		.amdhsa_system_sgpr_workgroup_id_y 1
		.amdhsa_system_sgpr_workgroup_id_z 1
		.amdhsa_system_sgpr_workgroup_info 0
		.amdhsa_system_vgpr_workitem_id 0
		.amdhsa_next_free_vgpr 53
		.amdhsa_next_free_sgpr 37
		.amdhsa_accum_offset 56
		.amdhsa_reserve_vcc 1
		.amdhsa_float_round_mode_32 0
		.amdhsa_float_round_mode_16_64 0
		.amdhsa_float_denorm_mode_32 3
		.amdhsa_float_denorm_mode_16_64 3
		.amdhsa_dx10_clamp 1
		.amdhsa_ieee_mode 1
		.amdhsa_fp16_overflow 0
		.amdhsa_tg_split 0
		.amdhsa_exception_fp_ieee_invalid_op 0
		.amdhsa_exception_fp_denorm_src 0
		.amdhsa_exception_fp_ieee_div_zero 0
		.amdhsa_exception_fp_ieee_overflow 0
		.amdhsa_exception_fp_ieee_underflow 0
		.amdhsa_exception_fp_ieee_inexact 0
		.amdhsa_exception_int_div_zero 0
	.end_amdhsa_kernel
	.section	.text._ZN4vllm25paged_attention_v1_kernelIfhLi128ELi8ELi128ELNS_18Fp8KVCacheDataTypeE1ELb0EEEvPT_PKS2_PKT0_S8_ifPKiSA_iPKfiiiSC_SC_iiiii,"axG",@progbits,_ZN4vllm25paged_attention_v1_kernelIfhLi128ELi8ELi128ELNS_18Fp8KVCacheDataTypeE1ELb0EEEvPT_PKS2_PKT0_S8_ifPKiSA_iPKfiiiSC_SC_iiiii,comdat
.Lfunc_end179:
	.size	_ZN4vllm25paged_attention_v1_kernelIfhLi128ELi8ELi128ELNS_18Fp8KVCacheDataTypeE1ELb0EEEvPT_PKS2_PKT0_S8_ifPKiSA_iPKfiiiSC_SC_iiiii, .Lfunc_end179-_ZN4vllm25paged_attention_v1_kernelIfhLi128ELi8ELi128ELNS_18Fp8KVCacheDataTypeE1ELb0EEEvPT_PKS2_PKT0_S8_ifPKiSA_iPKfiiiSC_SC_iiiii
                                        ; -- End function
	.section	.AMDGPU.csdata,"",@progbits
; Kernel info:
; codeLenInByte = 4192
; NumSgprs: 43
; NumVgprs: 53
; NumAgprs: 0
; TotalNumVgprs: 53
; ScratchSize: 0
; MemoryBound: 0
; FloatMode: 240
; IeeeMode: 1
; LDSByteSize: 528 bytes/workgroup (compile time only)
; SGPRBlocks: 5
; VGPRBlocks: 6
; NumSGPRsForWavesPerEU: 43
; NumVGPRsForWavesPerEU: 53
; AccumOffset: 56
; Occupancy: 8
; WaveLimiterHint : 1
; COMPUTE_PGM_RSRC2:SCRATCH_EN: 0
; COMPUTE_PGM_RSRC2:USER_SGPR: 2
; COMPUTE_PGM_RSRC2:TRAP_HANDLER: 0
; COMPUTE_PGM_RSRC2:TGID_X_EN: 1
; COMPUTE_PGM_RSRC2:TGID_Y_EN: 1
; COMPUTE_PGM_RSRC2:TGID_Z_EN: 1
; COMPUTE_PGM_RSRC2:TIDIG_COMP_CNT: 0
; COMPUTE_PGM_RSRC3_GFX90A:ACCUM_OFFSET: 13
; COMPUTE_PGM_RSRC3_GFX90A:TG_SPLIT: 0
	.section	.text._ZN4vllm25paged_attention_v1_kernelIfhLi192ELi8ELi128ELNS_18Fp8KVCacheDataTypeE1ELb0EEEvPT_PKS2_PKT0_S8_ifPKiSA_iPKfiiiSC_SC_iiiii,"axG",@progbits,_ZN4vllm25paged_attention_v1_kernelIfhLi192ELi8ELi128ELNS_18Fp8KVCacheDataTypeE1ELb0EEEvPT_PKS2_PKT0_S8_ifPKiSA_iPKfiiiSC_SC_iiiii,comdat
	.protected	_ZN4vllm25paged_attention_v1_kernelIfhLi192ELi8ELi128ELNS_18Fp8KVCacheDataTypeE1ELb0EEEvPT_PKS2_PKT0_S8_ifPKiSA_iPKfiiiSC_SC_iiiii ; -- Begin function _ZN4vllm25paged_attention_v1_kernelIfhLi192ELi8ELi128ELNS_18Fp8KVCacheDataTypeE1ELb0EEEvPT_PKS2_PKT0_S8_ifPKiSA_iPKfiiiSC_SC_iiiii
	.globl	_ZN4vllm25paged_attention_v1_kernelIfhLi192ELi8ELi128ELNS_18Fp8KVCacheDataTypeE1ELb0EEEvPT_PKS2_PKT0_S8_ifPKiSA_iPKfiiiSC_SC_iiiii
	.p2align	8
	.type	_ZN4vllm25paged_attention_v1_kernelIfhLi192ELi8ELi128ELNS_18Fp8KVCacheDataTypeE1ELb0EEEvPT_PKS2_PKT0_S8_ifPKiSA_iPKfiiiSC_SC_iiiii,@function
_ZN4vllm25paged_attention_v1_kernelIfhLi192ELi8ELi128ELNS_18Fp8KVCacheDataTypeE1ELb0EEEvPT_PKS2_PKT0_S8_ifPKiSA_iPKfiiiSC_SC_iiiii: ; @_ZN4vllm25paged_attention_v1_kernelIfhLi192ELi8ELi128ELNS_18Fp8KVCacheDataTypeE1ELb0EEEvPT_PKS2_PKT0_S8_ifPKiSA_iPKfiiiSC_SC_iiiii
; %bb.0:
	s_load_dword s5, s[0:1], 0x80
	s_load_dwordx2 s[6:7], s[0:1], 0x30
	s_load_dwordx2 s[30:31], s[0:1], 0x20
	s_mov_b32 s20, s3
	s_ashr_i32 s21, s3, 31
	s_lshl_b64 s[8:9], s[20:21], 2
	s_waitcnt lgkmcnt(0)
	s_add_u32 s6, s6, s8
	s_addc_u32 s7, s7, s9
	s_abs_i32 s3, s30
	v_cvt_f32_u32_e32 v1, s3
	s_sub_i32 s10, 0, s3
	s_abs_i32 s9, s5
	s_xor_b32 s8, s5, s30
	v_rcp_iflag_f32_e32 v1, v1
	s_ashr_i32 s8, s8, 31
	s_mov_b32 s33, 0
	v_mul_f32_e32 v1, 0x4f7ffffe, v1
	v_cvt_u32_f32_e32 v1, v1
	s_nop 0
	v_readfirstlane_b32 s11, v1
	s_mul_i32 s10, s10, s11
	s_mul_hi_u32 s10, s11, s10
	s_add_i32 s11, s11, s10
	s_mul_hi_u32 s10, s9, s11
	s_mul_i32 s11, s10, s3
	s_sub_i32 s9, s9, s11
	s_add_i32 s11, s10, 1
	s_sub_i32 s12, s9, s3
	s_cmp_ge_u32 s9, s3
	s_cselect_b32 s10, s11, s10
	s_cselect_b32 s9, s12, s9
	s_add_i32 s11, s10, 1
	s_cmp_ge_u32 s9, s3
	s_cselect_b32 s3, s11, s10
	s_xor_b32 s3, s3, s8
	s_sub_i32 s34, s3, s8
	s_abs_i32 s28, s34
	v_cvt_f32_u32_e32 v1, s28
	s_load_dwordx2 s[8:9], s[0:1], 0x40
	s_sub_i32 s3, 0, s28
	s_abs_i32 s29, s2
	v_rcp_iflag_f32_e32 v1, v1
	s_nop 0
	v_mul_f32_e32 v1, 0x4f7ffffe, v1
	v_cvt_u32_f32_e32 v1, v1
	s_nop 0
	v_readfirstlane_b32 s12, v1
	s_mul_i32 s3, s3, s12
	s_mul_hi_u32 s3, s12, s3
	s_add_i32 s12, s12, s3
	s_waitcnt lgkmcnt(0)
	s_cmp_eq_u64 s[8:9], 0
	s_cbranch_scc1 .LBB180_2
; %bb.1:
	s_ashr_i32 s3, s2, 31
	s_lshl_b64 s[10:11], s[2:3], 2
	s_add_u32 s8, s8, s10
	s_addc_u32 s9, s9, s11
	s_load_dword s33, s[8:9], 0x0
.LBB180_2:
	s_load_dwordx2 s[22:23], s[0:1], 0x0
	s_nop 0
	s_load_dwordx4 s[8:11], s[0:1], 0x10
	s_mul_hi_u32 s3, s29, s12
	s_load_dword s21, s[0:1], 0x88
	s_load_dword s30, s[6:7], 0x0
	s_load_dwordx2 s[26:27], s[0:1], 0x28
	s_load_dwordx4 s[12:15], s[0:1], 0x48
	s_movk_i32 s6, 0xc0
	s_mul_i32 s24, s2, 0xc0
	v_and_b32_e32 v26, 7, v0
	s_ashr_i32 s25, s24, 31
	v_cmp_gt_u32_e32 vcc, s6, v0
	s_and_saveexec_b64 s[6:7], vcc
	s_cbranch_execz .LBB180_5
; %bb.3:
	s_load_dwordx2 s[16:17], s[0:1], 0x8
	s_waitcnt lgkmcnt(0)
	s_mul_i32 s18, s20, s12
	v_lshrrev_b32_e32 v2, 3, v0
	s_ashr_i32 s19, s18, 31
	v_lshlrev_b32_e32 v3, 2, v2
	s_movk_i32 s12, 0x60
	s_lshl_b64 s[18:19], s[18:19], 2
	s_lshl_b64 s[36:37], s[24:25], 2
	v_mad_u32_u24 v4, v26, s12, v3
	s_add_u32 s12, s18, s36
	s_addc_u32 s15, s19, s37
	v_lshlrev_b32_e32 v3, 2, v26
	s_add_u32 s16, s16, s12
	v_add_u32_e32 v1, -16, v2
	v_lshl_or_b32 v2, v2, 5, v3
	v_mov_b32_e32 v3, 0
	s_addc_u32 s17, s17, s15
	v_lshl_add_u64 v[2:3], s[16:17], 0, v[2:3]
	s_mov_b64 s[16:17], 0
	s_mov_b64 s[18:19], 0x200
.LBB180_4:                              ; =>This Inner Loop Header: Depth=1
	global_load_dword v5, v[2:3], off
	v_add_u32_e32 v1, 16, v1
	v_cmp_lt_u32_e32 vcc, 7, v1
	v_lshl_add_u64 v[2:3], v[2:3], 0, s[18:19]
	s_or_b64 s[16:17], vcc, s[16:17]
	s_waitcnt vmcnt(0)
	ds_write_b32 v4, v5
	v_add_u32_e32 v4, 64, v4
	s_andn2_b64 exec, exec, s[16:17]
	s_cbranch_execnz .LBB180_4
.LBB180_5:
	s_or_b64 exec, exec, s[6:7]
	s_waitcnt lgkmcnt(0)
	s_add_i32 s12, s30, 7
	s_ashr_i32 s2, s2, 31
	s_ashr_i32 s6, s34, 31
	;; [unrolled: 1-line block ×3, first 2 shown]
	s_lshr_b32 s15, s15, 29
	s_xor_b32 s2, s2, s6
	s_mul_i32 s6, s3, s28
	s_add_i32 s12, s12, s15
	s_sub_i32 s6, s29, s6
	s_ashr_i32 s12, s12, 3
	s_add_i32 s15, s3, 1
	s_sub_i32 s16, s6, s28
	s_load_dword s7, s[0:1], 0x38
	s_cmp_ge_u32 s6, s28
	s_cselect_b32 s3, s15, s3
	s_cselect_b32 s6, s16, s6
	s_add_i32 s15, s3, 1
	s_cmp_ge_u32 s6, s28
	s_cselect_b32 s3, s15, s3
	v_lshrrev_b32_e32 v1, 6, v0
	s_xor_b32 s3, s3, s2
	s_waitcnt lgkmcnt(0)
	s_mul_i32 s28, s20, s7
	s_sub_i32 s25, s3, s2
	s_ashr_i32 s29, s28, 31
	v_cmp_gt_i32_e64 s[6:7], s12, v1
	v_cmp_le_i32_e32 vcc, s12, v1
	v_mbcnt_lo_u32_b32 v27, -1, 0
	s_barrier
	s_waitcnt lgkmcnt(0)
                                        ; implicit-def: $sgpr15
                                        ; implicit-def: $vgpr33
                                        ; implicit-def: $vgpr34
	s_and_saveexec_b64 s[2:3], vcc
	s_xor_b64 s[2:3], exec, s[2:3]
; %bb.6:
	v_mbcnt_hi_u32_b32 v33, -1, v27
	v_and_b32_e32 v2, 64, v33
	v_add_u32_e32 v34, 64, v2
	s_mov_b32 s15, 0xff7fffff
                                        ; implicit-def: $vgpr26
                                        ; implicit-def: $vgpr27
; %bb.7:
	s_or_saveexec_b64 s[34:35], s[2:3]
	s_load_dwordx4 s[16:19], s[0:1], 0x58
	v_mov_b32_e32 v35, s15
	s_mul_i32 s25, s25, s14
	v_lshrrev_b32_e32 v32, 4, v0
	s_xor_b64 exec, exec, s[34:35]
	s_cbranch_execz .LBB180_13
; %bb.8:
	v_mbcnt_hi_u32_b32 v33, -1, v27
	v_and_b32_e32 v27, 64, v33
	v_mul_u32_u24_e32 v22, 0x60, v26
	v_add_u32_e32 v34, 64, v27
	v_xor_b32_e32 v27, 4, v33
	ds_read_b128 v[2:5], v22
	ds_read_b128 v[6:9], v22 offset:16
	ds_read_b128 v[10:13], v22 offset:32
	;; [unrolled: 1-line block ×5, first 2 shown]
	v_cmp_lt_i32_e32 vcc, v27, v34
	s_ashr_i32 s1, s25, 31
	v_bfe_u32 v35, v0, 3, 3
	v_cndmask_b32_e32 v27, v33, v27, vcc
	v_lshlrev_b32_e32 v36, 2, v27
	v_xor_b32_e32 v27, 2, v33
	s_add_u32 s0, s8, s25
	v_cmp_lt_i32_e32 vcc, v27, v34
	s_addc_u32 s1, s9, s1
	v_lshlrev_b32_e32 v30, 4, v35
	v_mov_b32_e32 v31, 0
	v_cndmask_b32_e32 v27, v33, v27, vcc
	s_waitcnt lgkmcnt(0)
	s_load_dword s16, s[16:17], 0x0
	v_lshl_add_u64 v[28:29], s[0:1], 0, v[30:31]
	v_lshlrev_b32_e32 v37, 2, v27
	v_xor_b32_e32 v27, 1, v33
	s_sub_i32 s17, 1, s30
	v_lshlrev_b32_e32 v30, 2, v35
	s_lshl_b64 s[0:1], s[28:29], 2
	v_cmp_lt_i32_e32 vcc, v27, v34
	v_lshl_or_b32 v30, v1, 5, v30
	s_add_u32 s0, s26, s0
	v_cndmask_b32_e32 v27, v33, v27, vcc
	v_add_u32_e32 v40, 0x310, v30
	v_and_b32_e32 v30, 60, v32
	s_addc_u32 s1, s27, s1
	s_mov_b32 s36, s13
	v_lshlrev_b32_e32 v38, 2, v27
	v_cmp_eq_u32_e32 vcc, 0, v26
	v_cmp_neq_f32_e64 s[2:3], s33, 0
	v_mov_b32_e32 v27, v31
	v_lshl_or_b32 v39, v1, 3, v35
	v_lshl_add_u64 v[30:31], s[0:1], 0, v[30:31]
	s_mov_b64 s[8:9], 0
	v_mov_b32_e32 v35, 0xff7fffff
	v_mov_b32_e32 v41, v1
	s_branch .LBB180_10
.LBB180_9:                              ;   in Loop: Header=BB180_10 Depth=1
	s_or_b64 exec, exec, s[14:15]
	v_add_u32_e32 v41, 2, v41
	v_cmp_le_i32_e64 s[0:1], s12, v41
	v_add_u32_e32 v39, 16, v39
	v_add_u32_e32 v40, 64, v40
	s_or_b64 s[8:9], s[0:1], s[8:9]
	v_lshl_add_u64 v[30:31], v[30:31], 0, 8
	s_andn2_b64 exec, exec, s[8:9]
	s_cbranch_execz .LBB180_12
.LBB180_10:                             ; =>This Inner Loop Header: Depth=1
	global_load_dword v42, v[30:31], off
	s_waitcnt vmcnt(0) lgkmcnt(0)
	v_mad_i64_i32 v[42:43], s[0:1], v42, s36, v[28:29]
	v_lshl_add_u64 v[42:43], v[42:43], 0, v[26:27]
	global_load_ubyte v44, v[42:43], off
	global_load_ubyte v45, v[42:43], off offset:8
	global_load_ubyte v46, v[42:43], off offset:128
	;; [unrolled: 1-line block ×22, first 2 shown]
	s_nop 0
	global_load_ubyte v42, v[42:43], off offset:1416
	s_waitcnt vmcnt(23)
	v_cvt_f32_fp8_sdwa v43, v44 src0_sel:BYTE_0
	s_waitcnt vmcnt(22)
	v_cvt_f32_fp8_sdwa v44, v45 src0_sel:BYTE_0
	;; [unrolled: 2-line block ×5, first 2 shown]
	s_waitcnt lgkmcnt(0)
	v_mul_f32_e32 v44, s16, v44
	s_waitcnt vmcnt(18)
	v_cvt_f32_fp8_sdwa v48, v49 src0_sel:BYTE_0
	v_mul_f32_e32 v43, s16, v43
	v_mul_f32_e32 v44, v3, v44
	s_waitcnt vmcnt(17)
	v_cvt_f32_fp8_sdwa v49, v50 src0_sel:BYTE_0
	v_mul_f32_e32 v45, s16, v45
	v_fmac_f32_e32 v44, v2, v43
	s_waitcnt vmcnt(16)
	v_cvt_f32_fp8_sdwa v50, v51 src0_sel:BYTE_0
	v_mul_f32_e32 v46, s16, v46
	v_fmac_f32_e32 v44, v4, v45
	;; [unrolled: 4-line block ×18, first 2 shown]
	v_mul_f32_e32 v63, s16, v63
	v_fmac_f32_e32 v44, v21, v62
	v_mul_f32_e32 v64, s16, v64
	v_fmac_f32_e32 v44, v22, v63
	;; [unrolled: 2-line block ×4, first 2 shown]
	v_fmac_f32_e32 v44, v25, v42
	ds_bpermute_b32 v42, v36, v44
	s_waitcnt lgkmcnt(0)
	v_add_f32_e32 v42, v44, v42
	ds_bpermute_b32 v43, v37, v42
	s_waitcnt lgkmcnt(0)
	v_add_f32_e32 v42, v42, v43
	ds_bpermute_b32 v43, v38, v42
	s_and_saveexec_b64 s[14:15], vcc
	s_cbranch_execz .LBB180_9
; %bb.11:                               ;   in Loop: Header=BB180_10 Depth=1
	v_add_u32_e32 v44, s17, v39
	v_cvt_f32_i32_e32 v44, v44
	s_waitcnt lgkmcnt(0)
	v_add_f32_e32 v42, v42, v43
	v_cmp_gt_i32_e64 s[0:1], s30, v39
	v_max_f32_e32 v43, v35, v35
	v_mul_f32_e32 v44, s33, v44
	v_cndmask_b32_e64 v44, 0, v44, s[2:3]
	v_fmac_f32_e32 v44, s31, v42
	v_cndmask_b32_e64 v42, 0, v44, s[0:1]
	ds_write_b32 v40, v42
	v_max_f32_e32 v42, v43, v44
	v_cndmask_b32_e64 v35, v35, v42, s[0:1]
	s_branch .LBB180_9
.LBB180_12:
	s_or_b64 exec, exec, s[8:9]
.LBB180_13:
	s_or_b64 exec, exec, s[34:35]
	v_xor_b32_e32 v2, 32, v33
	v_cmp_lt_i32_e32 vcc, v2, v34
	v_xor_b32_e32 v5, 16, v33
	v_max_f32_e32 v4, v35, v35
	v_cndmask_b32_e32 v2, v33, v2, vcc
	v_lshlrev_b32_e32 v3, 2, v2
	ds_bpermute_b32 v2, v3, v35
	v_cmp_lt_i32_e32 vcc, v5, v34
	v_xor_b32_e32 v6, 8, v33
	v_and_b32_e32 v40, 63, v0
	s_waitcnt lgkmcnt(0)
	v_max_f32_e32 v2, v2, v2
	v_max_f32_e32 v2, v4, v2
	v_cndmask_b32_e32 v4, v33, v5, vcc
	v_lshlrev_b32_e32 v5, 2, v4
	ds_bpermute_b32 v4, v5, v2
	v_cmp_lt_i32_e32 vcc, v6, v34
	s_waitcnt lgkmcnt(0)
	v_max_f32_e32 v4, v4, v4
	v_max_f32_e32 v4, v2, v4
	v_cndmask_b32_e32 v2, v33, v6, vcc
	v_lshlrev_b32_e32 v6, 2, v2
	ds_bpermute_b32 v7, v6, v4
	v_cmp_eq_u32_e32 vcc, 0, v40
	v_lshlrev_b32_e32 v2, 2, v1
	s_and_saveexec_b64 s[0:1], vcc
	s_cbranch_execz .LBB180_15
; %bb.14:
	s_waitcnt lgkmcnt(0)
	v_max_f32_e32 v7, v7, v7
	v_max_f32_e32 v4, v4, v4
	;; [unrolled: 1-line block ×3, first 2 shown]
	ds_write_b32 v2, v4 offset:768
.LBB180_15:
	s_or_b64 exec, exec, s[0:1]
	v_cmp_gt_u32_e64 s[0:1], 2, v40
	s_waitcnt lgkmcnt(0)
	v_mov_b32_e32 v7, 0xff7fffff
	v_lshlrev_b32_e32 v4, 2, v40
	s_barrier
	s_and_saveexec_b64 s[2:3], s[0:1]
	s_cbranch_execz .LBB180_17
; %bb.16:
	ds_read_b32 v7, v4 offset:768
.LBB180_17:
	s_or_b64 exec, exec, s[2:3]
	v_xor_b32_e32 v8, 1, v33
	v_cmp_lt_i32_e64 s[2:3], v8, v34
	v_lshlrev_b32_e32 v9, 2, v33
	s_nop 0
	v_cndmask_b32_e64 v8, v33, v8, s[2:3]
	v_lshlrev_b32_e32 v41, 2, v8
	s_waitcnt lgkmcnt(0)
	ds_bpermute_b32 v8, v41, v7
	v_max_f32_e32 v7, v7, v7
	s_lshl_b32 s2, s12, 3
	s_min_i32 s31, s2, s30
	v_cmp_gt_i32_e64 s[2:3], s31, v0
	s_waitcnt lgkmcnt(0)
	v_max_f32_e32 v8, v8, v8
	v_max_f32_e32 v8, v7, v8
	v_and_b32_e32 v7, 0xffffff00, v9
	ds_bpermute_b32 v9, v7, v8
	v_mov_b32_e32 v8, 0
	s_and_saveexec_b64 s[14:15], s[2:3]
	s_cbranch_execz .LBB180_21
; %bb.18:
	v_mov_b32_e32 v8, 0x310
	v_lshl_add_u32 v10, v0, 2, v8
	s_mov_b64 s[16:17], 0
	v_mov_b32_e32 v8, 0
	v_mov_b32_e32 v11, v0
.LBB180_19:                             ; =>This Inner Loop Header: Depth=1
	ds_read_b32 v12, v10
	v_add_u32_e32 v11, 0x80, v11
	v_cmp_le_i32_e64 s[8:9], s31, v11
	s_or_b64 s[16:17], s[8:9], s[16:17]
	s_waitcnt lgkmcnt(0)
	v_sub_f32_e32 v12, v12, v9
	v_mul_f32_e32 v12, 0x3fb8aa3b, v12
	v_exp_f32_e32 v12, v12
	ds_write_b32 v10, v12
	v_add_f32_e32 v8, v8, v12
	v_add_u32_e32 v10, 0x200, v10
	s_andn2_b64 exec, exec, s[16:17]
	s_cbranch_execnz .LBB180_19
; %bb.20:
	s_or_b64 exec, exec, s[16:17]
.LBB180_21:
	s_or_b64 exec, exec, s[14:15]
	ds_bpermute_b32 v3, v3, v8
	s_waitcnt lgkmcnt(0)
	v_add_f32_e32 v3, v8, v3
	ds_bpermute_b32 v5, v5, v3
	s_waitcnt lgkmcnt(0)
	v_add_f32_e32 v3, v3, v5
	ds_bpermute_b32 v5, v6, v3
	v_xor_b32_e32 v6, 4, v33
	v_cmp_lt_i32_e64 s[8:9], v6, v34
	s_waitcnt lgkmcnt(0)
	v_add_f32_e32 v3, v3, v5
	v_cndmask_b32_e64 v6, v33, v6, s[8:9]
	v_lshlrev_b32_e32 v6, 2, v6
	ds_bpermute_b32 v5, v6, v3
	v_xor_b32_e32 v6, 2, v33
	v_cmp_lt_i32_e64 s[8:9], v6, v34
	s_waitcnt lgkmcnt(0)
	v_add_f32_e32 v3, v3, v5
	v_cndmask_b32_e64 v6, v33, v6, s[8:9]
	v_lshlrev_b32_e32 v5, 2, v6
	ds_bpermute_b32 v5, v5, v3
	s_waitcnt lgkmcnt(0)
	v_add_f32_e32 v3, v3, v5
	ds_bpermute_b32 v5, v41, v3
	s_waitcnt lgkmcnt(0)
	v_add_f32_e32 v3, v3, v5
	s_and_saveexec_b64 s[8:9], vcc
	s_cbranch_execz .LBB180_23
; %bb.22:
	ds_write_b32 v2, v3 offset:776
.LBB180_23:
	s_or_b64 exec, exec, s[8:9]
	s_waitcnt lgkmcnt(0)
	s_barrier
	s_and_saveexec_b64 s[8:9], s[0:1]
	s_cbranch_execz .LBB180_25
; %bb.24:
	ds_read_b32 v3, v4 offset:776
.LBB180_25:
	s_or_b64 exec, exec, s[8:9]
	s_waitcnt lgkmcnt(0)
	ds_bpermute_b32 v2, v41, v3
	s_waitcnt lgkmcnt(0)
	v_add_f32_e32 v2, v3, v2
	ds_bpermute_b32 v2, v7, v2
	s_and_saveexec_b64 s[0:1], s[2:3]
	s_cbranch_execz .LBB180_38
; %bb.26:
	s_waitcnt lgkmcnt(0)
	v_add_f32_e32 v2, 0x358637bd, v2
	v_div_scale_f32 v3, s[2:3], v2, v2, 1.0
	v_rcp_f32_e32 v4, v3
	v_div_scale_f32 v5, vcc, 1.0, v2, 1.0
	s_movk_i32 s2, 0x7f
	v_fma_f32 v6, -v3, v4, 1.0
	v_fmac_f32_e32 v4, v6, v4
	v_mul_f32_e32 v6, v5, v4
	v_fma_f32 v7, -v3, v6, v5
	v_fmac_f32_e32 v6, v7, v4
	v_fma_f32 v3, -v3, v6, v5
	v_div_fmas_f32 v3, v3, v4, v6
	v_xad_u32 v4, v0, -1, s31
	v_div_fixup_f32 v2, v3, v2, 1.0
	v_cmp_lt_u32_e32 vcc, s2, v4
	s_mov_b64 s[8:9], -1
	v_mov_b32_e32 v3, v0
	s_and_saveexec_b64 s[2:3], vcc
	s_cbranch_execz .LBB180_35
; %bb.27:
	v_lshrrev_b32_e32 v4, 7, v4
	v_add_u32_e32 v6, -1, v4
	v_lshrrev_b32_e32 v5, 1, v6
	v_mov_b32_e32 v3, v2
	v_add_u32_e32 v5, 1, v5
	v_cmp_lt_u32_e32 vcc, 13, v6
	v_mov_b32_e32 v8, 0
	s_and_saveexec_b64 s[8:9], vcc
	s_cbranch_execz .LBB180_31
; %bb.28:
	v_mov_b32_e32 v7, 0x310
	v_and_b32_e32 v6, -8, v5
	v_lshl_add_u32 v7, v0, 2, v7
	s_mov_b32 s16, 0
	s_mov_b64 s[14:15], 0
.LBB180_29:                             ; =>This Inner Loop Header: Depth=1
	ds_read2st64_b32 v[8:9], v7 offset1:2
	ds_read2st64_b32 v[10:11], v7 offset0:4 offset1:6
	ds_read2st64_b32 v[12:13], v7 offset0:8 offset1:10
	;; [unrolled: 1-line block ×3, first 2 shown]
	v_add_u32_e32 v6, -8, v6
	s_waitcnt lgkmcnt(3)
	v_pk_mul_f32 v[8:9], v[2:3], v[8:9]
	s_waitcnt lgkmcnt(2)
	v_pk_mul_f32 v[10:11], v[2:3], v[10:11]
	ds_write2st64_b32 v7, v8, v9 offset1:2
	ds_write2st64_b32 v7, v10, v11 offset0:4 offset1:6
	ds_read2st64_b32 v[10:11], v7 offset0:16 offset1:18
	s_waitcnt lgkmcnt(4)
	v_pk_mul_f32 v[8:9], v[2:3], v[12:13]
	ds_write2st64_b32 v7, v8, v9 offset0:8 offset1:10
	s_waitcnt lgkmcnt(4)
	v_pk_mul_f32 v[8:9], v[2:3], v[14:15]
	ds_write2st64_b32 v7, v8, v9 offset0:12 offset1:14
	ds_read2st64_b32 v[8:9], v7 offset0:20 offset1:22
	s_waitcnt lgkmcnt(3)
	v_pk_mul_f32 v[10:11], v[2:3], v[10:11]
	ds_read2st64_b32 v[12:13], v7 offset0:24 offset1:26
	ds_write2st64_b32 v7, v10, v11 offset0:16 offset1:18
	ds_read2st64_b32 v[10:11], v7 offset0:28 offset1:30
	s_waitcnt lgkmcnt(3)
	v_pk_mul_f32 v[8:9], v[2:3], v[8:9]
	ds_write2st64_b32 v7, v8, v9 offset0:20 offset1:22
	s_waitcnt lgkmcnt(3)
	v_pk_mul_f32 v[8:9], v[2:3], v[12:13]
	ds_write2st64_b32 v7, v8, v9 offset0:24 offset1:26
	s_waitcnt lgkmcnt(2)
	v_pk_mul_f32 v[8:9], v[2:3], v[10:11]
	s_add_i32 s16, s16, 16
	v_cmp_eq_u32_e32 vcc, 0, v6
	ds_write2st64_b32 v7, v8, v9 offset0:28 offset1:30
	v_add_u32_e32 v7, 0x2000, v7
	s_or_b64 s[14:15], vcc, s[14:15]
	v_mov_b32_e32 v8, s16
	s_andn2_b64 exec, exec, s[14:15]
	s_cbranch_execnz .LBB180_29
; %bb.30:
	s_or_b64 exec, exec, s[14:15]
.LBB180_31:
	s_or_b64 exec, exec, s[8:9]
	v_and_b32_e32 v5, 7, v5
	v_cmp_ne_u32_e32 vcc, 0, v5
	s_and_saveexec_b64 s[8:9], vcc
	s_cbranch_execz .LBB180_34
; %bb.32:
	v_lshlrev_b32_e32 v6, 9, v8
	v_lshlrev_b32_e32 v7, 2, v0
	s_movk_i32 s14, 0x310
	v_add3_u32 v6, v6, v7, s14
	s_mov_b64 s[14:15], 0
.LBB180_33:                             ; =>This Inner Loop Header: Depth=1
	ds_read2st64_b32 v[8:9], v6 offset1:2
	v_add_u32_e32 v5, -1, v5
	v_cmp_eq_u32_e32 vcc, 0, v5
	s_or_b64 s[14:15], vcc, s[14:15]
	s_waitcnt lgkmcnt(0)
	v_pk_mul_f32 v[8:9], v[2:3], v[8:9]
	ds_write2st64_b32 v6, v8, v9 offset1:2
	v_add_u32_e32 v6, 0x400, v6
	s_andn2_b64 exec, exec, s[14:15]
	s_cbranch_execnz .LBB180_33
.LBB180_34:
	s_or_b64 exec, exec, s[8:9]
	v_add_u32_e32 v4, 1, v4
	v_and_b32_e32 v5, 0x3fffffe, v4
	v_cmp_ne_u32_e32 vcc, v4, v5
	v_lshl_add_u32 v3, v5, 7, v0
	s_orn2_b64 s[8:9], vcc, exec
.LBB180_35:
	s_or_b64 exec, exec, s[2:3]
	s_and_b64 exec, exec, s[8:9]
	s_cbranch_execz .LBB180_38
; %bb.36:
	v_mov_b32_e32 v4, 0x310
	v_lshl_add_u32 v4, v3, 2, v4
	s_mov_b64 s[2:3], 0
.LBB180_37:                             ; =>This Inner Loop Header: Depth=1
	ds_read_b32 v5, v4
	v_add_u32_e32 v3, 0x80, v3
	v_cmp_le_i32_e32 vcc, s31, v3
	s_or_b64 s[2:3], vcc, s[2:3]
	s_waitcnt lgkmcnt(0)
	v_mul_f32_e32 v5, v2, v5
	ds_write_b32 v4, v5
	v_add_u32_e32 v4, 0x200, v4
	s_andn2_b64 exec, exec, s[2:3]
	s_cbranch_execnz .LBB180_37
.LBB180_38:
	s_or_b64 exec, exec, s[0:1]
	v_mov_b32_e32 v9, 0
	v_and_b32_e32 v42, 1, v0
	v_mov_b32_e32 v8, 0
	v_mov_b32_e32 v11, 0
	;; [unrolled: 1-line block ×5, first 2 shown]
	s_waitcnt lgkmcnt(0)
	s_barrier
	s_and_saveexec_b64 s[2:3], s[6:7]
	s_cbranch_execz .LBB180_54
; %bb.39:
	s_ashr_i32 s1, s25, 31
	v_lshlrev_b32_e32 v2, 2, v0
	s_load_dword s6, s[18:19], 0x0
	s_add_u32 s0, s10, s25
	s_addc_u32 s1, s11, s1
	v_and_b32_e32 v6, 0xfc, v2
	v_mov_b32_e32 v7, 0
	v_and_b32_e32 v3, 4, v2
	s_add_i32 s14, s12, -1
	v_lshl_add_u64 v[12:13], s[0:1], 0, v[6:7]
	v_lshlrev_b32_e32 v2, 3, v1
	s_lshl_b64 s[0:1], s[28:29], 2
	v_or3_b32 v43, v2, v3, 3
	v_lshlrev_b32_e32 v2, 4, v42
	s_add_u32 s0, s26, s0
	v_lshl_or_b32 v2, v1, 5, v2
	v_and_b32_e32 v6, 60, v32
	s_addc_u32 s1, s27, s1
	s_waitcnt lgkmcnt(0)
	s_mov_b32 s7, s6
	v_add_u32_e32 v44, 0x310, v2
	v_lshl_add_u64 v[14:15], s[0:1], 0, v[6:7]
	s_mov_b64 s[8:9], 0
	v_mov_b32_e32 v6, v7
	v_mov_b32_e32 v10, v7
	;; [unrolled: 1-line block ×5, first 2 shown]
	s_branch .LBB180_41
.LBB180_40:                             ;   in Loop: Header=BB180_41 Depth=1
	s_or_b64 exec, exec, s[0:1]
	s_waitcnt lgkmcnt(0)
	v_mul_f32_e32 v19, v3, v19
	v_fmac_f32_e32 v19, v2, v18
	v_fmac_f32_e32 v19, v4, v16
	v_mul_f32_e32 v16, v3, v25
	v_fmac_f32_e32 v16, v2, v24
	v_fmac_f32_e32 v16, v4, v22
	v_fmac_f32_e32 v16, v5, v23
	v_add_f32_e32 v7, v7, v16
	v_mul_f32_e32 v16, v3, v29
	v_fmac_f32_e32 v16, v2, v28
	v_fmac_f32_e32 v16, v4, v26
	v_fmac_f32_e32 v16, v5, v27
	v_add_f32_e32 v10, v10, v16
	;; [unrolled: 5-line block ×3, first 2 shown]
	v_mul_f32_e32 v16, v3, v37
	v_mul_f32_e32 v3, v3, v39
	v_fmac_f32_e32 v16, v2, v36
	v_fmac_f32_e32 v3, v2, v38
	;; [unrolled: 1-line block ×4, first 2 shown]
	v_add_u32_e32 v1, 2, v1
	v_fmac_f32_e32 v19, v5, v17
	v_fmac_f32_e32 v16, v5, v35
	;; [unrolled: 1-line block ×3, first 2 shown]
	v_cmp_le_i32_e32 vcc, s12, v1
	v_add_f32_e32 v6, v6, v19
	v_add_f32_e32 v8, v8, v16
	;; [unrolled: 1-line block ×3, first 2 shown]
	v_add_u32_e32 v43, 16, v43
	v_add_u32_e32 v44, 64, v44
	s_or_b64 s[8:9], vcc, s[8:9]
	v_lshl_add_u64 v[14:15], v[14:15], 0, 8
	s_andn2_b64 exec, exec, s[8:9]
	s_cbranch_execz .LBB180_53
.LBB180_41:                             ; =>This Inner Loop Header: Depth=1
	global_load_dword v2, v[14:15], off
	v_add_u32_e32 v45, -3, v43
	v_cmp_eq_u32_e32 vcc, s14, v1
	v_add_u32_e32 v46, -2, v43
	v_add_u32_e32 v47, -1, v43
	s_waitcnt vmcnt(0)
	v_mad_i64_i32 v[20:21], s[0:1], v2, s13, v[12:13]
	global_load_dword v16, v[20:21], off
	ds_read_b128 v[2:5], v44
	s_waitcnt vmcnt(0)
	v_and_b32_e32 v17, 0xffff, v16
	v_lshrrev_b32_e32 v18, 16, v16
	v_cvt_pk_f32_fp8_e32 v[16:17], v17
	v_cvt_pk_f32_fp8_e32 v[22:23], v18
	v_pk_mul_f32 v[18:19], s[6:7], v[16:17]
	v_pk_mul_f32 v[16:17], s[6:7], v[22:23]
	s_and_saveexec_b64 s[10:11], vcc
; %bb.42:                               ;   in Loop: Header=BB180_41 Depth=1
	v_cmp_gt_i32_e64 s[0:1], s30, v45
	s_nop 1
	v_cndmask_b32_e64 v18, 0, v18, s[0:1]
	v_cmp_gt_i32_e64 s[0:1], s30, v46
	s_nop 1
	v_cndmask_b32_e64 v19, 0, v19, s[0:1]
	v_cmp_gt_i32_e64 s[0:1], s30, v47
	s_nop 1
	v_cndmask_b32_e64 v16, 0, v16, s[0:1]
	v_cmp_gt_i32_e64 s[0:1], s30, v43
	s_nop 1
	v_cndmask_b32_e64 v17, 0, v17, s[0:1]
; %bb.43:                               ;   in Loop: Header=BB180_41 Depth=1
	s_or_b64 exec, exec, s[10:11]
	global_load_dword v22, v[20:21], off offset:256
	s_waitcnt vmcnt(0)
	v_and_b32_e32 v23, 0xffff, v22
	v_lshrrev_b32_e32 v24, 16, v22
	v_cvt_pk_f32_fp8_e32 v[22:23], v23
	v_cvt_pk_f32_fp8_e32 v[26:27], v24
	v_pk_mul_f32 v[24:25], s[6:7], v[22:23]
	v_pk_mul_f32 v[22:23], s[6:7], v[26:27]
	s_and_saveexec_b64 s[10:11], vcc
; %bb.44:                               ;   in Loop: Header=BB180_41 Depth=1
	v_cmp_gt_i32_e64 s[0:1], s30, v45
	s_nop 1
	v_cndmask_b32_e64 v24, 0, v24, s[0:1]
	v_cmp_gt_i32_e64 s[0:1], s30, v46
	s_nop 1
	v_cndmask_b32_e64 v25, 0, v25, s[0:1]
	v_cmp_gt_i32_e64 s[0:1], s30, v47
	s_nop 1
	v_cndmask_b32_e64 v22, 0, v22, s[0:1]
	v_cmp_gt_i32_e64 s[0:1], s30, v43
	s_nop 1
	v_cndmask_b32_e64 v23, 0, v23, s[0:1]
; %bb.45:                               ;   in Loop: Header=BB180_41 Depth=1
	s_or_b64 exec, exec, s[10:11]
	global_load_dword v26, v[20:21], off offset:512
	;; [unrolled: 24-line block ×5, first 2 shown]
	s_waitcnt vmcnt(0)
	v_and_b32_e32 v21, 0xffff, v20
	v_lshrrev_b32_e32 v38, 16, v20
	v_cvt_pk_f32_fp8_e32 v[20:21], v21
	v_cvt_pk_f32_fp8_e32 v[48:49], v38
	v_pk_mul_f32 v[38:39], s[6:7], v[20:21]
	v_pk_mul_f32 v[20:21], s[6:7], v[48:49]
	s_and_saveexec_b64 s[0:1], vcc
	s_cbranch_execz .LBB180_40
; %bb.52:                               ;   in Loop: Header=BB180_41 Depth=1
	v_cmp_gt_i32_e32 vcc, s30, v45
	s_nop 1
	v_cndmask_b32_e32 v38, 0, v38, vcc
	v_cmp_gt_i32_e32 vcc, s30, v46
	s_nop 1
	v_cndmask_b32_e32 v39, 0, v39, vcc
	v_cmp_gt_i32_e32 vcc, s30, v47
	s_nop 1
	v_cndmask_b32_e32 v20, 0, v20, vcc
	v_cmp_gt_i32_e32 vcc, s30, v43
	s_nop 1
	v_cndmask_b32_e32 v21, 0, v21, vcc
	s_branch .LBB180_40
.LBB180_53:
	s_or_b64 exec, exec, s[8:9]
.LBB180_54:
	s_or_b64 exec, exec, s[2:3]
	ds_bpermute_b32 v2, v41, v6
	ds_bpermute_b32 v3, v41, v7
	;; [unrolled: 1-line block ×6, first 2 shown]
	v_and_b32_e32 v1, 0x3c1, v0
	s_waitcnt lgkmcnt(4)
	v_pk_add_f32 v[4:5], v[6:7], v[2:3]
	s_waitcnt lgkmcnt(2)
	v_pk_add_f32 v[2:3], v[10:11], v[12:13]
	v_cmp_eq_u32_e32 vcc, 64, v1
	s_waitcnt lgkmcnt(0)
	v_pk_add_f32 v[6:7], v[8:9], v[14:15]
	s_barrier
	s_and_saveexec_b64 s[0:1], vcc
	s_cbranch_execz .LBB180_56
; %bb.55:
	v_mov_b32_e32 v8, 0x310
	v_lshl_add_u32 v8, v40, 1, v8
	ds_write2_b32 v8, v4, v5 offset1:32
	ds_write2_b32 v8, v2, v3 offset0:64 offset1:96
	ds_write2_b32 v8, v6, v7 offset0:128 offset1:160
.LBB180_56:
	s_or_b64 exec, exec, s[0:1]
	v_cmp_gt_u32_e32 vcc, 64, v0
	s_waitcnt lgkmcnt(0)
	s_barrier
	s_and_saveexec_b64 s[0:1], vcc
	s_cbranch_execz .LBB180_65
; %bb.57:
	v_cmp_eq_u32_e32 vcc, 0, v42
	v_lshrrev_b32_e32 v8, 1, v0
	s_and_saveexec_b64 s[2:3], vcc
	s_cbranch_execnz .LBB180_68
; %bb.58:
	s_or_b64 exec, exec, s[2:3]
	s_and_saveexec_b64 s[2:3], vcc
	s_cbranch_execnz .LBB180_69
.LBB180_59:
	s_or_b64 exec, exec, s[2:3]
	s_and_saveexec_b64 s[2:3], vcc
	s_cbranch_execnz .LBB180_70
.LBB180_60:
	s_or_b64 exec, exec, s[2:3]
	s_and_saveexec_b64 s[2:3], vcc
	s_cbranch_execnz .LBB180_71
.LBB180_61:
	s_or_b64 exec, exec, s[2:3]
	s_and_saveexec_b64 s[2:3], vcc
	s_cbranch_execnz .LBB180_72
.LBB180_62:
	s_or_b64 exec, exec, s[2:3]
	s_and_saveexec_b64 s[2:3], vcc
	s_cbranch_execz .LBB180_64
.LBB180_63:
	v_mov_b32_e32 v9, 0x310
	v_lshl_add_u32 v8, v8, 2, v9
	ds_read_b32 v8, v8 offset:640
	s_waitcnt lgkmcnt(0)
	v_add_f32_e32 v7, v7, v8
.LBB180_64:
	s_or_b64 exec, exec, s[2:3]
.LBB180_65:
	s_or_b64 exec, exec, s[0:1]
	v_cmp_eq_u32_e32 vcc, 0, v1
	s_barrier
	s_and_saveexec_b64 s[0:1], vcc
	s_cbranch_execz .LBB180_67
; %bb.66:
	s_mul_i32 s0, s20, s21
	s_mul_i32 s0, s0, s5
	s_mulk_i32 s0, 0xc0
	s_ashr_i32 s1, s0, 31
	s_lshl_b64 s[0:1], s[0:1], 2
	s_add_u32 s2, s22, s0
	s_mul_i32 s0, s21, s24
	s_addc_u32 s3, s23, s1
	s_ashr_i32 s1, s0, 31
	s_lshl_b64 s[0:1], s[0:1], 2
	s_add_u32 s2, s2, s0
	s_mul_i32 s0, s4, 0xc0
	s_addc_u32 s3, s3, s1
	s_ashr_i32 s1, s0, 31
	s_lshl_b64 s[0:1], s[0:1], 2
	s_add_u32 s0, s2, s0
	s_addc_u32 s1, s3, s1
	v_lshlrev_b32_e32 v0, 1, v0
	global_store_dword v0, v4, s[0:1]
	global_store_dword v0, v5, s[0:1] offset:128
	global_store_dword v0, v2, s[0:1] offset:256
	;; [unrolled: 1-line block ×5, first 2 shown]
.LBB180_67:
	s_endpgm
.LBB180_68:
	v_mov_b32_e32 v9, 0x310
	v_lshl_add_u32 v9, v8, 2, v9
	ds_read_b32 v9, v9
	s_waitcnt lgkmcnt(0)
	v_add_f32_e32 v4, v4, v9
	s_or_b64 exec, exec, s[2:3]
	s_and_saveexec_b64 s[2:3], vcc
	s_cbranch_execz .LBB180_59
.LBB180_69:
	v_mov_b32_e32 v9, 0x310
	v_lshl_add_u32 v9, v8, 2, v9
	ds_read_b32 v9, v9 offset:128
	s_waitcnt lgkmcnt(0)
	v_add_f32_e32 v5, v5, v9
	s_or_b64 exec, exec, s[2:3]
	s_and_saveexec_b64 s[2:3], vcc
	s_cbranch_execz .LBB180_60
.LBB180_70:
	v_mov_b32_e32 v9, 0x310
	v_lshl_add_u32 v9, v8, 2, v9
	ds_read_b32 v9, v9 offset:256
	s_waitcnt lgkmcnt(0)
	v_add_f32_e32 v2, v2, v9
	s_or_b64 exec, exec, s[2:3]
	s_and_saveexec_b64 s[2:3], vcc
	s_cbranch_execz .LBB180_61
.LBB180_71:
	v_mov_b32_e32 v9, 0x310
	v_lshl_add_u32 v9, v8, 2, v9
	ds_read_b32 v9, v9 offset:384
	s_waitcnt lgkmcnt(0)
	v_add_f32_e32 v3, v3, v9
	s_or_b64 exec, exec, s[2:3]
	s_and_saveexec_b64 s[2:3], vcc
	s_cbranch_execz .LBB180_62
.LBB180_72:
	v_mov_b32_e32 v9, 0x310
	v_lshl_add_u32 v9, v8, 2, v9
	ds_read_b32 v9, v9 offset:512
	s_waitcnt lgkmcnt(0)
	v_add_f32_e32 v6, v6, v9
	s_or_b64 exec, exec, s[2:3]
	s_and_saveexec_b64 s[2:3], vcc
	s_cbranch_execnz .LBB180_63
	s_branch .LBB180_64
	.section	.rodata,"a",@progbits
	.p2align	6, 0x0
	.amdhsa_kernel _ZN4vllm25paged_attention_v1_kernelIfhLi192ELi8ELi128ELNS_18Fp8KVCacheDataTypeE1ELb0EEEvPT_PKS2_PKT0_S8_ifPKiSA_iPKfiiiSC_SC_iiiii
		.amdhsa_group_segment_fixed_size 784
		.amdhsa_private_segment_fixed_size 0
		.amdhsa_kernarg_size 384
		.amdhsa_user_sgpr_count 2
		.amdhsa_user_sgpr_dispatch_ptr 0
		.amdhsa_user_sgpr_queue_ptr 0
		.amdhsa_user_sgpr_kernarg_segment_ptr 1
		.amdhsa_user_sgpr_dispatch_id 0
		.amdhsa_user_sgpr_kernarg_preload_length 0
		.amdhsa_user_sgpr_kernarg_preload_offset 0
		.amdhsa_user_sgpr_private_segment_size 0
		.amdhsa_uses_dynamic_stack 0
		.amdhsa_enable_private_segment 0
		.amdhsa_system_sgpr_workgroup_id_x 1
		.amdhsa_system_sgpr_workgroup_id_y 1
		.amdhsa_system_sgpr_workgroup_id_z 1
		.amdhsa_system_sgpr_workgroup_info 0
		.amdhsa_system_vgpr_workitem_id 0
		.amdhsa_next_free_vgpr 67
		.amdhsa_next_free_sgpr 38
		.amdhsa_accum_offset 68
		.amdhsa_reserve_vcc 1
		.amdhsa_float_round_mode_32 0
		.amdhsa_float_round_mode_16_64 0
		.amdhsa_float_denorm_mode_32 3
		.amdhsa_float_denorm_mode_16_64 3
		.amdhsa_dx10_clamp 1
		.amdhsa_ieee_mode 1
		.amdhsa_fp16_overflow 0
		.amdhsa_tg_split 0
		.amdhsa_exception_fp_ieee_invalid_op 0
		.amdhsa_exception_fp_denorm_src 0
		.amdhsa_exception_fp_ieee_div_zero 0
		.amdhsa_exception_fp_ieee_overflow 0
		.amdhsa_exception_fp_ieee_underflow 0
		.amdhsa_exception_fp_ieee_inexact 0
		.amdhsa_exception_int_div_zero 0
	.end_amdhsa_kernel
	.section	.text._ZN4vllm25paged_attention_v1_kernelIfhLi192ELi8ELi128ELNS_18Fp8KVCacheDataTypeE1ELb0EEEvPT_PKS2_PKT0_S8_ifPKiSA_iPKfiiiSC_SC_iiiii,"axG",@progbits,_ZN4vllm25paged_attention_v1_kernelIfhLi192ELi8ELi128ELNS_18Fp8KVCacheDataTypeE1ELb0EEEvPT_PKS2_PKT0_S8_ifPKiSA_iPKfiiiSC_SC_iiiii,comdat
.Lfunc_end180:
	.size	_ZN4vllm25paged_attention_v1_kernelIfhLi192ELi8ELi128ELNS_18Fp8KVCacheDataTypeE1ELb0EEEvPT_PKS2_PKT0_S8_ifPKiSA_iPKfiiiSC_SC_iiiii, .Lfunc_end180-_ZN4vllm25paged_attention_v1_kernelIfhLi192ELi8ELi128ELNS_18Fp8KVCacheDataTypeE1ELb0EEEvPT_PKS2_PKT0_S8_ifPKiSA_iPKfiiiSC_SC_iiiii
                                        ; -- End function
	.section	.AMDGPU.csdata,"",@progbits
; Kernel info:
; codeLenInByte = 5016
; NumSgprs: 44
; NumVgprs: 67
; NumAgprs: 0
; TotalNumVgprs: 67
; ScratchSize: 0
; MemoryBound: 0
; FloatMode: 240
; IeeeMode: 1
; LDSByteSize: 784 bytes/workgroup (compile time only)
; SGPRBlocks: 5
; VGPRBlocks: 8
; NumSGPRsForWavesPerEU: 44
; NumVGPRsForWavesPerEU: 67
; AccumOffset: 68
; Occupancy: 7
; WaveLimiterHint : 1
; COMPUTE_PGM_RSRC2:SCRATCH_EN: 0
; COMPUTE_PGM_RSRC2:USER_SGPR: 2
; COMPUTE_PGM_RSRC2:TRAP_HANDLER: 0
; COMPUTE_PGM_RSRC2:TGID_X_EN: 1
; COMPUTE_PGM_RSRC2:TGID_Y_EN: 1
; COMPUTE_PGM_RSRC2:TGID_Z_EN: 1
; COMPUTE_PGM_RSRC2:TIDIG_COMP_CNT: 0
; COMPUTE_PGM_RSRC3_GFX90A:ACCUM_OFFSET: 16
; COMPUTE_PGM_RSRC3_GFX90A:TG_SPLIT: 0
	.section	.text._ZN4vllm25paged_attention_v1_kernelIfhLi256ELi8ELi128ELNS_18Fp8KVCacheDataTypeE1ELb0EEEvPT_PKS2_PKT0_S8_ifPKiSA_iPKfiiiSC_SC_iiiii,"axG",@progbits,_ZN4vllm25paged_attention_v1_kernelIfhLi256ELi8ELi128ELNS_18Fp8KVCacheDataTypeE1ELb0EEEvPT_PKS2_PKT0_S8_ifPKiSA_iPKfiiiSC_SC_iiiii,comdat
	.protected	_ZN4vllm25paged_attention_v1_kernelIfhLi256ELi8ELi128ELNS_18Fp8KVCacheDataTypeE1ELb0EEEvPT_PKS2_PKT0_S8_ifPKiSA_iPKfiiiSC_SC_iiiii ; -- Begin function _ZN4vllm25paged_attention_v1_kernelIfhLi256ELi8ELi128ELNS_18Fp8KVCacheDataTypeE1ELb0EEEvPT_PKS2_PKT0_S8_ifPKiSA_iPKfiiiSC_SC_iiiii
	.globl	_ZN4vllm25paged_attention_v1_kernelIfhLi256ELi8ELi128ELNS_18Fp8KVCacheDataTypeE1ELb0EEEvPT_PKS2_PKT0_S8_ifPKiSA_iPKfiiiSC_SC_iiiii
	.p2align	8
	.type	_ZN4vllm25paged_attention_v1_kernelIfhLi256ELi8ELi128ELNS_18Fp8KVCacheDataTypeE1ELb0EEEvPT_PKS2_PKT0_S8_ifPKiSA_iPKfiiiSC_SC_iiiii,@function
_ZN4vllm25paged_attention_v1_kernelIfhLi256ELi8ELi128ELNS_18Fp8KVCacheDataTypeE1ELb0EEEvPT_PKS2_PKT0_S8_ifPKiSA_iPKfiiiSC_SC_iiiii: ; @_ZN4vllm25paged_attention_v1_kernelIfhLi256ELi8ELi128ELNS_18Fp8KVCacheDataTypeE1ELb0EEEvPT_PKS2_PKT0_S8_ifPKiSA_iPKfiiiSC_SC_iiiii
; %bb.0:
	s_load_dword s5, s[0:1], 0x80
	s_load_dwordx2 s[6:7], s[0:1], 0x30
	s_load_dwordx2 s[30:31], s[0:1], 0x20
	s_mov_b32 s20, s3
	s_ashr_i32 s21, s3, 31
	s_lshl_b64 s[8:9], s[20:21], 2
	s_waitcnt lgkmcnt(0)
	s_add_u32 s6, s6, s8
	s_addc_u32 s7, s7, s9
	s_abs_i32 s3, s30
	v_cvt_f32_u32_e32 v1, s3
	s_sub_i32 s10, 0, s3
	s_abs_i32 s9, s5
	s_xor_b32 s8, s5, s30
	v_rcp_iflag_f32_e32 v1, v1
	s_ashr_i32 s8, s8, 31
	s_mov_b32 s33, 0
	v_mul_f32_e32 v1, 0x4f7ffffe, v1
	v_cvt_u32_f32_e32 v1, v1
	s_nop 0
	v_readfirstlane_b32 s11, v1
	s_mul_i32 s10, s10, s11
	s_mul_hi_u32 s10, s11, s10
	s_add_i32 s11, s11, s10
	s_mul_hi_u32 s10, s9, s11
	s_mul_i32 s11, s10, s3
	s_sub_i32 s9, s9, s11
	s_add_i32 s11, s10, 1
	s_sub_i32 s12, s9, s3
	s_cmp_ge_u32 s9, s3
	s_cselect_b32 s10, s11, s10
	s_cselect_b32 s9, s12, s9
	s_add_i32 s11, s10, 1
	s_cmp_ge_u32 s9, s3
	s_cselect_b32 s3, s11, s10
	s_xor_b32 s3, s3, s8
	s_sub_i32 s34, s3, s8
	s_abs_i32 s28, s34
	v_cvt_f32_u32_e32 v1, s28
	s_load_dwordx2 s[8:9], s[0:1], 0x40
	s_sub_i32 s3, 0, s28
	s_abs_i32 s29, s2
	v_rcp_iflag_f32_e32 v1, v1
	s_nop 0
	v_mul_f32_e32 v1, 0x4f7ffffe, v1
	v_cvt_u32_f32_e32 v1, v1
	s_nop 0
	v_readfirstlane_b32 s12, v1
	s_mul_i32 s3, s3, s12
	s_mul_hi_u32 s3, s12, s3
	s_add_i32 s12, s12, s3
	s_waitcnt lgkmcnt(0)
	s_cmp_eq_u64 s[8:9], 0
	s_cbranch_scc1 .LBB181_2
; %bb.1:
	s_ashr_i32 s3, s2, 31
	s_lshl_b64 s[10:11], s[2:3], 2
	s_add_u32 s8, s8, s10
	s_addc_u32 s9, s9, s11
	s_load_dword s33, s[8:9], 0x0
.LBB181_2:
	s_load_dwordx2 s[22:23], s[0:1], 0x0
	s_nop 0
	s_load_dwordx4 s[8:11], s[0:1], 0x10
	s_mul_hi_u32 s3, s29, s12
	s_load_dword s21, s[0:1], 0x88
	s_load_dword s30, s[6:7], 0x0
	s_load_dwordx2 s[26:27], s[0:1], 0x28
	s_load_dwordx4 s[12:15], s[0:1], 0x48
	s_lshl_b32 s24, s2, 8
	s_movk_i32 s6, 0x100
	v_and_b32_e32 v34, 7, v0
	s_ashr_i32 s25, s24, 31
	v_cmp_gt_u32_e32 vcc, s6, v0
	s_and_saveexec_b64 s[6:7], vcc
	s_cbranch_execz .LBB181_5
; %bb.3:
	s_load_dwordx2 s[16:17], s[0:1], 0x8
	s_waitcnt lgkmcnt(0)
	s_mul_i32 s18, s20, s12
	s_ashr_i32 s19, s18, 31
	s_lshl_b64 s[18:19], s[18:19], 2
	s_lshl_b64 s[36:37], s[24:25], 2
	v_lshrrev_b32_e32 v2, 3, v0
	s_add_u32 s12, s18, s36
	v_lshlrev_b32_e32 v3, 2, v2
	s_addc_u32 s15, s19, s37
	v_lshl_add_u32 v4, v34, 7, v3
	v_lshlrev_b32_e32 v3, 2, v34
	s_add_u32 s16, s16, s12
	v_add_u32_e32 v1, -16, v2
	v_lshl_or_b32 v2, v2, 5, v3
	v_mov_b32_e32 v3, 0
	s_addc_u32 s17, s17, s15
	v_lshl_add_u64 v[2:3], s[16:17], 0, v[2:3]
	s_mov_b64 s[16:17], 0
	s_mov_b64 s[18:19], 0x200
.LBB181_4:                              ; =>This Inner Loop Header: Depth=1
	global_load_dword v5, v[2:3], off
	v_add_co_u32_e32 v1, vcc, 16, v1
	s_xor_b64 s[36:37], vcc, -1
	s_and_b64 s[36:37], exec, s[36:37]
	v_lshl_add_u64 v[2:3], v[2:3], 0, s[18:19]
	s_or_b64 s[16:17], s[36:37], s[16:17]
	s_waitcnt vmcnt(0)
	ds_write_b32 v4, v5
	v_add_u32_e32 v4, 64, v4
	s_andn2_b64 exec, exec, s[16:17]
	s_cbranch_execnz .LBB181_4
.LBB181_5:
	s_or_b64 exec, exec, s[6:7]
	s_waitcnt lgkmcnt(0)
	s_add_i32 s12, s30, 7
	s_ashr_i32 s2, s2, 31
	s_ashr_i32 s6, s34, 31
	;; [unrolled: 1-line block ×3, first 2 shown]
	s_lshr_b32 s15, s15, 29
	s_xor_b32 s2, s2, s6
	s_mul_i32 s6, s3, s28
	s_add_i32 s12, s12, s15
	s_sub_i32 s6, s29, s6
	s_ashr_i32 s12, s12, 3
	s_add_i32 s15, s3, 1
	s_sub_i32 s16, s6, s28
	s_load_dword s7, s[0:1], 0x38
	s_cmp_ge_u32 s6, s28
	s_cselect_b32 s3, s15, s3
	s_cselect_b32 s6, s16, s6
	s_add_i32 s15, s3, 1
	s_cmp_ge_u32 s6, s28
	s_cselect_b32 s3, s15, s3
	v_lshrrev_b32_e32 v1, 6, v0
	s_xor_b32 s3, s3, s2
	s_waitcnt lgkmcnt(0)
	s_mul_i32 s28, s20, s7
	s_sub_i32 s25, s3, s2
	s_ashr_i32 s29, s28, 31
	v_cmp_gt_i32_e64 s[6:7], s12, v1
	v_cmp_le_i32_e32 vcc, s12, v1
	v_mbcnt_lo_u32_b32 v35, -1, 0
	s_barrier
	s_waitcnt lgkmcnt(0)
                                        ; implicit-def: $sgpr15
                                        ; implicit-def: $vgpr41
                                        ; implicit-def: $vgpr42
	s_and_saveexec_b64 s[2:3], vcc
	s_xor_b64 s[2:3], exec, s[2:3]
; %bb.6:
	v_mbcnt_hi_u32_b32 v41, -1, v35
	v_and_b32_e32 v2, 64, v41
	v_add_u32_e32 v42, 64, v2
	s_mov_b32 s15, 0xff7fffff
                                        ; implicit-def: $vgpr34
                                        ; implicit-def: $vgpr35
; %bb.7:
	s_or_saveexec_b64 s[34:35], s[2:3]
	s_load_dwordx4 s[16:19], s[0:1], 0x58
	v_mov_b32_e32 v43, s15
	s_mul_i32 s25, s25, s14
	v_lshrrev_b32_e32 v40, 4, v0
	s_xor_b64 exec, exec, s[34:35]
	s_cbranch_execz .LBB181_13
; %bb.8:
	v_lshlrev_b32_e32 v30, 7, v34
	v_mbcnt_hi_u32_b32 v41, -1, v35
	ds_read_b128 v[2:5], v30
	ds_read_b128 v[6:9], v30 offset:16
	ds_read_b128 v[10:13], v30 offset:32
	ds_read_b128 v[14:17], v30 offset:48
	ds_read_b128 v[18:21], v30 offset:64
	ds_read_b128 v[22:25], v30 offset:80
	ds_read_b128 v[26:29], v30 offset:96
	ds_read_b128 v[30:33], v30 offset:112
	v_and_b32_e32 v35, 64, v41
	v_add_u32_e32 v42, 64, v35
	v_xor_b32_e32 v35, 4, v41
	v_cmp_lt_i32_e32 vcc, v35, v42
	s_ashr_i32 s1, s25, 31
	v_bfe_u32 v43, v0, 3, 3
	v_cndmask_b32_e32 v35, v41, v35, vcc
	v_lshlrev_b32_e32 v44, 2, v35
	v_xor_b32_e32 v35, 2, v41
	s_add_u32 s0, s8, s25
	v_cmp_lt_i32_e32 vcc, v35, v42
	s_addc_u32 s1, s9, s1
	v_lshlrev_b32_e32 v38, 4, v43
	v_mov_b32_e32 v39, 0
	v_cndmask_b32_e32 v35, v41, v35, vcc
	s_waitcnt lgkmcnt(0)
	s_load_dword s16, s[16:17], 0x0
	v_lshl_add_u64 v[36:37], s[0:1], 0, v[38:39]
	v_lshlrev_b32_e32 v45, 2, v35
	v_xor_b32_e32 v35, 1, v41
	s_sub_i32 s17, 1, s30
	v_lshlrev_b32_e32 v38, 2, v43
	s_lshl_b64 s[0:1], s[28:29], 2
	v_cmp_lt_i32_e32 vcc, v35, v42
	v_lshl_or_b32 v38, v1, 5, v38
	s_add_u32 s0, s26, s0
	v_cndmask_b32_e32 v35, v41, v35, vcc
	v_add_u32_e32 v48, 0x410, v38
	v_and_b32_e32 v38, 60, v40
	s_addc_u32 s1, s27, s1
	s_mov_b32 s36, s13
	v_lshlrev_b32_e32 v46, 2, v35
	v_cmp_eq_u32_e32 vcc, 0, v34
	v_cmp_neq_f32_e64 s[2:3], s33, 0
	v_mov_b32_e32 v35, v39
	v_lshl_or_b32 v47, v1, 3, v43
	v_lshl_add_u64 v[38:39], s[0:1], 0, v[38:39]
	s_mov_b64 s[8:9], 0
	v_mov_b32_e32 v43, 0xff7fffff
	v_mov_b32_e32 v49, v1
	s_branch .LBB181_10
.LBB181_9:                              ;   in Loop: Header=BB181_10 Depth=1
	s_or_b64 exec, exec, s[14:15]
	v_add_u32_e32 v49, 2, v49
	v_cmp_le_i32_e64 s[0:1], s12, v49
	v_add_u32_e32 v47, 16, v47
	v_add_u32_e32 v48, 64, v48
	s_or_b64 s[8:9], s[0:1], s[8:9]
	v_lshl_add_u64 v[38:39], v[38:39], 0, 8
	s_andn2_b64 exec, exec, s[8:9]
	s_cbranch_execz .LBB181_12
.LBB181_10:                             ; =>This Inner Loop Header: Depth=1
	global_load_dword v50, v[38:39], off
	s_waitcnt vmcnt(0) lgkmcnt(0)
	v_mad_i64_i32 v[50:51], s[0:1], v50, s36, v[36:37]
	v_lshl_add_u64 v[50:51], v[50:51], 0, v[34:35]
	global_load_ubyte v52, v[50:51], off
	global_load_ubyte v53, v[50:51], off offset:8
	global_load_ubyte v54, v[50:51], off offset:128
	;; [unrolled: 1-line block ×30, first 2 shown]
	s_nop 0
	global_load_ubyte v50, v[50:51], off offset:1928
	s_waitcnt vmcnt(31)
	v_cvt_f32_fp8_sdwa v51, v52 src0_sel:BYTE_0
	s_waitcnt vmcnt(30)
	v_cvt_f32_fp8_sdwa v52, v53 src0_sel:BYTE_0
	;; [unrolled: 2-line block ×5, first 2 shown]
	s_waitcnt lgkmcnt(0)
	v_mul_f32_e32 v52, s16, v52
	s_waitcnt vmcnt(26)
	v_cvt_f32_fp8_sdwa v56, v57 src0_sel:BYTE_0
	v_mul_f32_e32 v51, s16, v51
	v_mul_f32_e32 v52, v3, v52
	s_waitcnt vmcnt(25)
	v_cvt_f32_fp8_sdwa v57, v58 src0_sel:BYTE_0
	v_mul_f32_e32 v53, s16, v53
	v_fmac_f32_e32 v52, v2, v51
	s_waitcnt vmcnt(24)
	v_cvt_f32_fp8_sdwa v58, v59 src0_sel:BYTE_0
	v_mul_f32_e32 v54, s16, v54
	v_fmac_f32_e32 v52, v4, v53
	s_waitcnt vmcnt(23)
	v_cvt_f32_fp8_sdwa v59, v60 src0_sel:BYTE_0
	v_mul_f32_e32 v55, s16, v55
	v_fmac_f32_e32 v52, v5, v54
	s_waitcnt vmcnt(22)
	v_cvt_f32_fp8_sdwa v60, v61 src0_sel:BYTE_0
	v_mul_f32_e32 v56, s16, v56
	v_fmac_f32_e32 v52, v6, v55
	s_waitcnt vmcnt(21)
	v_cvt_f32_fp8_sdwa v61, v62 src0_sel:BYTE_0
	v_mul_f32_e32 v57, s16, v57
	v_fmac_f32_e32 v52, v7, v56
	s_waitcnt vmcnt(20)
	v_cvt_f32_fp8_sdwa v62, v63 src0_sel:BYTE_0
	v_mul_f32_e32 v58, s16, v58
	v_fmac_f32_e32 v52, v8, v57
	s_waitcnt vmcnt(19)
	v_cvt_f32_fp8_sdwa v63, v64 src0_sel:BYTE_0
	v_mul_f32_e32 v59, s16, v59
	v_fmac_f32_e32 v52, v9, v58
	s_waitcnt vmcnt(18)
	v_cvt_f32_fp8_sdwa v64, v65 src0_sel:BYTE_0
	v_mul_f32_e32 v60, s16, v60
	v_fmac_f32_e32 v52, v10, v59
	s_waitcnt vmcnt(17)
	v_cvt_f32_fp8_sdwa v65, v66 src0_sel:BYTE_0
	v_mul_f32_e32 v61, s16, v61
	v_fmac_f32_e32 v52, v11, v60
	s_waitcnt vmcnt(16)
	v_cvt_f32_fp8_sdwa v66, v67 src0_sel:BYTE_0
	v_mul_f32_e32 v62, s16, v62
	v_fmac_f32_e32 v52, v12, v61
	s_waitcnt vmcnt(15)
	v_cvt_f32_fp8_sdwa v67, v68 src0_sel:BYTE_0
	v_mul_f32_e32 v63, s16, v63
	v_fmac_f32_e32 v52, v13, v62
	s_waitcnt vmcnt(14)
	v_cvt_f32_fp8_sdwa v68, v69 src0_sel:BYTE_0
	v_mul_f32_e32 v64, s16, v64
	v_fmac_f32_e32 v52, v14, v63
	s_waitcnt vmcnt(13)
	v_cvt_f32_fp8_sdwa v69, v70 src0_sel:BYTE_0
	v_mul_f32_e32 v65, s16, v65
	v_fmac_f32_e32 v52, v15, v64
	s_waitcnt vmcnt(12)
	v_cvt_f32_fp8_sdwa v70, v71 src0_sel:BYTE_0
	v_mul_f32_e32 v66, s16, v66
	v_fmac_f32_e32 v52, v16, v65
	s_waitcnt vmcnt(11)
	v_cvt_f32_fp8_sdwa v71, v72 src0_sel:BYTE_0
	v_mul_f32_e32 v67, s16, v67
	v_fmac_f32_e32 v52, v17, v66
	s_waitcnt vmcnt(10)
	v_cvt_f32_fp8_sdwa v72, v73 src0_sel:BYTE_0
	v_mul_f32_e32 v68, s16, v68
	v_fmac_f32_e32 v52, v18, v67
	s_waitcnt vmcnt(9)
	v_cvt_f32_fp8_sdwa v73, v74 src0_sel:BYTE_0
	v_mul_f32_e32 v69, s16, v69
	v_fmac_f32_e32 v52, v19, v68
	s_waitcnt vmcnt(8)
	v_cvt_f32_fp8_sdwa v74, v75 src0_sel:BYTE_0
	v_mul_f32_e32 v70, s16, v70
	v_fmac_f32_e32 v52, v20, v69
	s_waitcnt vmcnt(7)
	v_cvt_f32_fp8_sdwa v75, v76 src0_sel:BYTE_0
	v_mul_f32_e32 v71, s16, v71
	v_fmac_f32_e32 v52, v21, v70
	s_waitcnt vmcnt(6)
	v_cvt_f32_fp8_sdwa v76, v77 src0_sel:BYTE_0
	v_mul_f32_e32 v72, s16, v72
	v_fmac_f32_e32 v52, v22, v71
	s_waitcnt vmcnt(5)
	v_cvt_f32_fp8_sdwa v77, v78 src0_sel:BYTE_0
	v_mul_f32_e32 v73, s16, v73
	v_fmac_f32_e32 v52, v23, v72
	s_waitcnt vmcnt(4)
	v_cvt_f32_fp8_sdwa v78, v79 src0_sel:BYTE_0
	v_mul_f32_e32 v74, s16, v74
	v_fmac_f32_e32 v52, v24, v73
	s_waitcnt vmcnt(3)
	v_cvt_f32_fp8_sdwa v79, v80 src0_sel:BYTE_0
	v_mul_f32_e32 v75, s16, v75
	v_fmac_f32_e32 v52, v25, v74
	s_waitcnt vmcnt(2)
	v_cvt_f32_fp8_sdwa v80, v81 src0_sel:BYTE_0
	v_mul_f32_e32 v76, s16, v76
	v_fmac_f32_e32 v52, v26, v75
	s_waitcnt vmcnt(1)
	v_cvt_f32_fp8_sdwa v81, v82 src0_sel:BYTE_0
	v_mul_f32_e32 v77, s16, v77
	v_fmac_f32_e32 v52, v27, v76
	s_waitcnt vmcnt(0)
	v_cvt_f32_fp8_sdwa v50, v50 src0_sel:BYTE_0
	v_mul_f32_e32 v78, s16, v78
	v_fmac_f32_e32 v52, v28, v77
	v_mul_f32_e32 v79, s16, v79
	v_fmac_f32_e32 v52, v29, v78
	v_mul_f32_e32 v80, s16, v80
	v_fmac_f32_e32 v52, v30, v79
	;; [unrolled: 2-line block ×4, first 2 shown]
	v_fmac_f32_e32 v52, v33, v50
	ds_bpermute_b32 v50, v44, v52
	s_waitcnt lgkmcnt(0)
	v_add_f32_e32 v50, v52, v50
	ds_bpermute_b32 v51, v45, v50
	s_waitcnt lgkmcnt(0)
	v_add_f32_e32 v50, v50, v51
	ds_bpermute_b32 v51, v46, v50
	s_and_saveexec_b64 s[14:15], vcc
	s_cbranch_execz .LBB181_9
; %bb.11:                               ;   in Loop: Header=BB181_10 Depth=1
	v_add_u32_e32 v52, s17, v47
	v_cvt_f32_i32_e32 v52, v52
	s_waitcnt lgkmcnt(0)
	v_add_f32_e32 v50, v50, v51
	v_cmp_gt_i32_e64 s[0:1], s30, v47
	v_max_f32_e32 v51, v43, v43
	v_mul_f32_e32 v52, s33, v52
	v_cndmask_b32_e64 v52, 0, v52, s[2:3]
	v_fmac_f32_e32 v52, s31, v50
	v_cndmask_b32_e64 v50, 0, v52, s[0:1]
	ds_write_b32 v48, v50
	v_max_f32_e32 v50, v51, v52
	v_cndmask_b32_e64 v43, v43, v50, s[0:1]
	s_branch .LBB181_9
.LBB181_12:
	s_or_b64 exec, exec, s[8:9]
.LBB181_13:
	s_or_b64 exec, exec, s[34:35]
	v_xor_b32_e32 v2, 32, v41
	v_cmp_lt_i32_e32 vcc, v2, v42
	v_xor_b32_e32 v5, 16, v41
	v_max_f32_e32 v4, v43, v43
	v_cndmask_b32_e32 v2, v41, v2, vcc
	v_lshlrev_b32_e32 v3, 2, v2
	ds_bpermute_b32 v2, v3, v43
	v_cmp_lt_i32_e32 vcc, v5, v42
	v_xor_b32_e32 v6, 8, v41
	v_and_b32_e32 v50, 63, v0
	s_waitcnt lgkmcnt(0)
	v_max_f32_e32 v2, v2, v2
	v_max_f32_e32 v2, v4, v2
	v_cndmask_b32_e32 v4, v41, v5, vcc
	v_lshlrev_b32_e32 v5, 2, v4
	ds_bpermute_b32 v4, v5, v2
	v_cmp_lt_i32_e32 vcc, v6, v42
	s_waitcnt lgkmcnt(0)
	v_max_f32_e32 v4, v4, v4
	v_max_f32_e32 v4, v2, v4
	v_cndmask_b32_e32 v2, v41, v6, vcc
	v_lshlrev_b32_e32 v6, 2, v2
	ds_bpermute_b32 v7, v6, v4
	v_cmp_eq_u32_e32 vcc, 0, v50
	v_lshlrev_b32_e32 v2, 2, v1
	s_and_saveexec_b64 s[0:1], vcc
	s_cbranch_execz .LBB181_15
; %bb.14:
	s_waitcnt lgkmcnt(0)
	v_max_f32_e32 v7, v7, v7
	v_max_f32_e32 v4, v4, v4
	;; [unrolled: 1-line block ×3, first 2 shown]
	ds_write_b32 v2, v4 offset:1024
.LBB181_15:
	s_or_b64 exec, exec, s[0:1]
	v_cmp_gt_u32_e64 s[0:1], 2, v50
	s_waitcnt lgkmcnt(0)
	v_mov_b32_e32 v7, 0xff7fffff
	v_lshlrev_b32_e32 v4, 2, v50
	s_barrier
	s_and_saveexec_b64 s[2:3], s[0:1]
	s_cbranch_execz .LBB181_17
; %bb.16:
	ds_read_b32 v7, v4 offset:1024
.LBB181_17:
	s_or_b64 exec, exec, s[2:3]
	v_xor_b32_e32 v8, 1, v41
	v_cmp_lt_i32_e64 s[2:3], v8, v42
	v_lshlrev_b32_e32 v9, 2, v41
	s_nop 0
	v_cndmask_b32_e64 v8, v41, v8, s[2:3]
	v_lshlrev_b32_e32 v51, 2, v8
	s_waitcnt lgkmcnt(0)
	ds_bpermute_b32 v8, v51, v7
	v_max_f32_e32 v7, v7, v7
	s_lshl_b32 s2, s12, 3
	s_min_i32 s31, s2, s30
	v_cmp_gt_i32_e64 s[2:3], s31, v0
	s_waitcnt lgkmcnt(0)
	v_max_f32_e32 v8, v8, v8
	v_max_f32_e32 v8, v7, v8
	v_and_b32_e32 v7, 0xffffff00, v9
	ds_bpermute_b32 v9, v7, v8
	v_mov_b32_e32 v8, 0
	s_and_saveexec_b64 s[14:15], s[2:3]
	s_cbranch_execz .LBB181_21
; %bb.18:
	v_mov_b32_e32 v8, 0x410
	v_lshl_add_u32 v10, v0, 2, v8
	s_mov_b64 s[16:17], 0
	v_mov_b32_e32 v8, 0
	v_mov_b32_e32 v11, v0
.LBB181_19:                             ; =>This Inner Loop Header: Depth=1
	ds_read_b32 v12, v10
	v_add_u32_e32 v11, 0x80, v11
	v_cmp_le_i32_e64 s[8:9], s31, v11
	s_or_b64 s[16:17], s[8:9], s[16:17]
	s_waitcnt lgkmcnt(0)
	v_sub_f32_e32 v12, v12, v9
	v_mul_f32_e32 v12, 0x3fb8aa3b, v12
	v_exp_f32_e32 v12, v12
	ds_write_b32 v10, v12
	v_add_f32_e32 v8, v8, v12
	v_add_u32_e32 v10, 0x200, v10
	s_andn2_b64 exec, exec, s[16:17]
	s_cbranch_execnz .LBB181_19
; %bb.20:
	s_or_b64 exec, exec, s[16:17]
.LBB181_21:
	s_or_b64 exec, exec, s[14:15]
	ds_bpermute_b32 v3, v3, v8
	s_waitcnt lgkmcnt(0)
	v_add_f32_e32 v3, v8, v3
	ds_bpermute_b32 v5, v5, v3
	s_waitcnt lgkmcnt(0)
	v_add_f32_e32 v3, v3, v5
	ds_bpermute_b32 v5, v6, v3
	v_xor_b32_e32 v6, 4, v41
	v_cmp_lt_i32_e64 s[8:9], v6, v42
	s_waitcnt lgkmcnt(0)
	v_add_f32_e32 v3, v3, v5
	v_cndmask_b32_e64 v6, v41, v6, s[8:9]
	v_lshlrev_b32_e32 v6, 2, v6
	ds_bpermute_b32 v5, v6, v3
	v_xor_b32_e32 v6, 2, v41
	v_cmp_lt_i32_e64 s[8:9], v6, v42
	s_waitcnt lgkmcnt(0)
	v_add_f32_e32 v3, v3, v5
	v_cndmask_b32_e64 v6, v41, v6, s[8:9]
	v_lshlrev_b32_e32 v5, 2, v6
	ds_bpermute_b32 v5, v5, v3
	s_waitcnt lgkmcnt(0)
	v_add_f32_e32 v3, v3, v5
	ds_bpermute_b32 v5, v51, v3
	s_waitcnt lgkmcnt(0)
	v_add_f32_e32 v3, v3, v5
	s_and_saveexec_b64 s[8:9], vcc
	s_cbranch_execz .LBB181_23
; %bb.22:
	ds_write_b32 v2, v3 offset:1032
.LBB181_23:
	s_or_b64 exec, exec, s[8:9]
	s_waitcnt lgkmcnt(0)
	s_barrier
	s_and_saveexec_b64 s[8:9], s[0:1]
	s_cbranch_execz .LBB181_25
; %bb.24:
	ds_read_b32 v3, v4 offset:1032
.LBB181_25:
	s_or_b64 exec, exec, s[8:9]
	s_waitcnt lgkmcnt(0)
	ds_bpermute_b32 v2, v51, v3
	s_waitcnt lgkmcnt(0)
	v_add_f32_e32 v2, v3, v2
	ds_bpermute_b32 v2, v7, v2
	s_and_saveexec_b64 s[0:1], s[2:3]
	s_cbranch_execz .LBB181_38
; %bb.26:
	s_waitcnt lgkmcnt(0)
	v_add_f32_e32 v2, 0x358637bd, v2
	v_div_scale_f32 v3, s[2:3], v2, v2, 1.0
	v_rcp_f32_e32 v4, v3
	v_div_scale_f32 v5, vcc, 1.0, v2, 1.0
	s_movk_i32 s2, 0x7f
	v_fma_f32 v6, -v3, v4, 1.0
	v_fmac_f32_e32 v4, v6, v4
	v_mul_f32_e32 v6, v5, v4
	v_fma_f32 v7, -v3, v6, v5
	v_fmac_f32_e32 v6, v7, v4
	v_fma_f32 v3, -v3, v6, v5
	v_div_fmas_f32 v3, v3, v4, v6
	v_xad_u32 v4, v0, -1, s31
	v_div_fixup_f32 v2, v3, v2, 1.0
	v_cmp_lt_u32_e32 vcc, s2, v4
	s_mov_b64 s[8:9], -1
	v_mov_b32_e32 v3, v0
	s_and_saveexec_b64 s[2:3], vcc
	s_cbranch_execz .LBB181_35
; %bb.27:
	v_lshrrev_b32_e32 v4, 7, v4
	v_add_u32_e32 v6, -1, v4
	v_lshrrev_b32_e32 v5, 1, v6
	v_mov_b32_e32 v3, v2
	v_add_u32_e32 v5, 1, v5
	v_cmp_lt_u32_e32 vcc, 13, v6
	v_mov_b32_e32 v8, 0
	s_and_saveexec_b64 s[8:9], vcc
	s_cbranch_execz .LBB181_31
; %bb.28:
	v_mov_b32_e32 v7, 0x410
	v_and_b32_e32 v6, -8, v5
	v_lshl_add_u32 v7, v0, 2, v7
	s_mov_b32 s16, 0
	s_mov_b64 s[14:15], 0
.LBB181_29:                             ; =>This Inner Loop Header: Depth=1
	ds_read2st64_b32 v[8:9], v7 offset1:2
	ds_read2st64_b32 v[10:11], v7 offset0:4 offset1:6
	ds_read2st64_b32 v[12:13], v7 offset0:8 offset1:10
	;; [unrolled: 1-line block ×3, first 2 shown]
	v_add_u32_e32 v6, -8, v6
	s_waitcnt lgkmcnt(3)
	v_pk_mul_f32 v[8:9], v[2:3], v[8:9]
	s_waitcnt lgkmcnt(2)
	v_pk_mul_f32 v[10:11], v[2:3], v[10:11]
	ds_write2st64_b32 v7, v8, v9 offset1:2
	ds_write2st64_b32 v7, v10, v11 offset0:4 offset1:6
	ds_read2st64_b32 v[10:11], v7 offset0:16 offset1:18
	s_waitcnt lgkmcnt(4)
	v_pk_mul_f32 v[8:9], v[2:3], v[12:13]
	ds_write2st64_b32 v7, v8, v9 offset0:8 offset1:10
	s_waitcnt lgkmcnt(4)
	v_pk_mul_f32 v[8:9], v[2:3], v[14:15]
	ds_write2st64_b32 v7, v8, v9 offset0:12 offset1:14
	ds_read2st64_b32 v[8:9], v7 offset0:20 offset1:22
	s_waitcnt lgkmcnt(3)
	v_pk_mul_f32 v[10:11], v[2:3], v[10:11]
	ds_read2st64_b32 v[12:13], v7 offset0:24 offset1:26
	ds_write2st64_b32 v7, v10, v11 offset0:16 offset1:18
	ds_read2st64_b32 v[10:11], v7 offset0:28 offset1:30
	s_waitcnt lgkmcnt(3)
	v_pk_mul_f32 v[8:9], v[2:3], v[8:9]
	ds_write2st64_b32 v7, v8, v9 offset0:20 offset1:22
	s_waitcnt lgkmcnt(3)
	v_pk_mul_f32 v[8:9], v[2:3], v[12:13]
	ds_write2st64_b32 v7, v8, v9 offset0:24 offset1:26
	s_waitcnt lgkmcnt(2)
	v_pk_mul_f32 v[8:9], v[2:3], v[10:11]
	s_add_i32 s16, s16, 16
	v_cmp_eq_u32_e32 vcc, 0, v6
	ds_write2st64_b32 v7, v8, v9 offset0:28 offset1:30
	v_add_u32_e32 v7, 0x2000, v7
	s_or_b64 s[14:15], vcc, s[14:15]
	v_mov_b32_e32 v8, s16
	s_andn2_b64 exec, exec, s[14:15]
	s_cbranch_execnz .LBB181_29
; %bb.30:
	s_or_b64 exec, exec, s[14:15]
.LBB181_31:
	s_or_b64 exec, exec, s[8:9]
	v_and_b32_e32 v5, 7, v5
	v_cmp_ne_u32_e32 vcc, 0, v5
	s_and_saveexec_b64 s[8:9], vcc
	s_cbranch_execz .LBB181_34
; %bb.32:
	v_lshlrev_b32_e32 v6, 9, v8
	v_lshlrev_b32_e32 v7, 2, v0
	s_movk_i32 s14, 0x410
	v_add3_u32 v6, v6, v7, s14
	s_mov_b64 s[14:15], 0
.LBB181_33:                             ; =>This Inner Loop Header: Depth=1
	ds_read2st64_b32 v[8:9], v6 offset1:2
	v_add_u32_e32 v5, -1, v5
	v_cmp_eq_u32_e32 vcc, 0, v5
	s_or_b64 s[14:15], vcc, s[14:15]
	s_waitcnt lgkmcnt(0)
	v_pk_mul_f32 v[8:9], v[2:3], v[8:9]
	ds_write2st64_b32 v6, v8, v9 offset1:2
	v_add_u32_e32 v6, 0x400, v6
	s_andn2_b64 exec, exec, s[14:15]
	s_cbranch_execnz .LBB181_33
.LBB181_34:
	s_or_b64 exec, exec, s[8:9]
	v_add_u32_e32 v4, 1, v4
	v_and_b32_e32 v5, 0x3fffffe, v4
	v_cmp_ne_u32_e32 vcc, v4, v5
	v_lshl_add_u32 v3, v5, 7, v0
	s_orn2_b64 s[8:9], vcc, exec
.LBB181_35:
	s_or_b64 exec, exec, s[2:3]
	s_and_b64 exec, exec, s[8:9]
	s_cbranch_execz .LBB181_38
; %bb.36:
	v_mov_b32_e32 v4, 0x410
	v_lshl_add_u32 v4, v3, 2, v4
	s_mov_b64 s[2:3], 0
.LBB181_37:                             ; =>This Inner Loop Header: Depth=1
	ds_read_b32 v5, v4
	v_add_u32_e32 v3, 0x80, v3
	v_cmp_le_i32_e32 vcc, s31, v3
	s_or_b64 s[2:3], vcc, s[2:3]
	s_waitcnt lgkmcnt(0)
	v_mul_f32_e32 v5, v2, v5
	ds_write_b32 v4, v5
	v_add_u32_e32 v4, 0x200, v4
	s_andn2_b64 exec, exec, s[2:3]
	s_cbranch_execnz .LBB181_37
.LBB181_38:
	s_or_b64 exec, exec, s[0:1]
	v_mov_b32_e32 v9, 0
	v_and_b32_e32 v52, 1, v0
	v_mov_b32_e32 v8, 0
	v_mov_b32_e32 v11, 0
	v_mov_b32_e32 v10, 0
	v_mov_b32_e32 v13, 0
	v_mov_b32_e32 v12, 0
	v_mov_b32_e32 v7, 0
	v_mov_b32_e32 v6, 0
	s_waitcnt lgkmcnt(0)
	s_barrier
	s_and_saveexec_b64 s[2:3], s[6:7]
	s_cbranch_execz .LBB181_58
; %bb.39:
	s_ashr_i32 s1, s25, 31
	v_lshlrev_b32_e32 v2, 2, v0
	s_load_dword s6, s[18:19], 0x0
	s_add_u32 s0, s10, s25
	s_addc_u32 s1, s11, s1
	v_and_b32_e32 v6, 0xfc, v2
	v_mov_b32_e32 v7, 0
	v_and_b32_e32 v3, 4, v2
	s_add_i32 s14, s12, -1
	v_lshl_add_u64 v[14:15], s[0:1], 0, v[6:7]
	v_lshlrev_b32_e32 v2, 3, v1
	s_lshl_b64 s[0:1], s[28:29], 2
	v_or3_b32 v53, v2, v3, 3
	v_lshlrev_b32_e32 v2, 4, v52
	s_add_u32 s0, s26, s0
	v_lshl_or_b32 v2, v1, 5, v2
	v_and_b32_e32 v6, 60, v40
	s_addc_u32 s1, s27, s1
	s_waitcnt lgkmcnt(0)
	s_mov_b32 s7, s6
	v_add_u32_e32 v54, 0x410, v2
	v_lshl_add_u64 v[16:17], s[0:1], 0, v[6:7]
	s_mov_b64 s[8:9], 0
	v_mov_b32_e32 v6, v7
	v_mov_b32_e32 v12, v7
	;; [unrolled: 1-line block ×7, first 2 shown]
	s_branch .LBB181_41
.LBB181_40:                             ;   in Loop: Header=BB181_41 Depth=1
	s_or_b64 exec, exec, s[0:1]
	s_waitcnt lgkmcnt(0)
	v_mul_f32_e32 v21, v3, v21
	v_fmac_f32_e32 v21, v2, v20
	v_fmac_f32_e32 v21, v4, v18
	v_mul_f32_e32 v18, v3, v27
	v_fmac_f32_e32 v18, v2, v26
	v_fmac_f32_e32 v18, v4, v24
	v_fmac_f32_e32 v18, v5, v25
	v_add_f32_e32 v7, v7, v18
	v_mul_f32_e32 v18, v3, v31
	v_fmac_f32_e32 v18, v2, v30
	v_fmac_f32_e32 v18, v4, v28
	v_fmac_f32_e32 v18, v5, v29
	v_add_f32_e32 v12, v12, v18
	;; [unrolled: 5-line block ×5, first 2 shown]
	v_mul_f32_e32 v18, v3, v47
	v_mul_f32_e32 v3, v3, v49
	v_fmac_f32_e32 v18, v2, v46
	v_fmac_f32_e32 v3, v2, v48
	;; [unrolled: 1-line block ×4, first 2 shown]
	v_add_u32_e32 v1, 2, v1
	v_fmac_f32_e32 v21, v5, v19
	v_fmac_f32_e32 v18, v5, v45
	;; [unrolled: 1-line block ×3, first 2 shown]
	v_cmp_le_i32_e32 vcc, s12, v1
	v_add_f32_e32 v6, v6, v21
	v_add_f32_e32 v8, v8, v18
	;; [unrolled: 1-line block ×3, first 2 shown]
	v_add_u32_e32 v53, 16, v53
	v_add_u32_e32 v54, 64, v54
	s_or_b64 s[8:9], vcc, s[8:9]
	v_lshl_add_u64 v[16:17], v[16:17], 0, 8
	s_andn2_b64 exec, exec, s[8:9]
	s_cbranch_execz .LBB181_57
.LBB181_41:                             ; =>This Inner Loop Header: Depth=1
	global_load_dword v2, v[16:17], off
	v_add_u32_e32 v55, -3, v53
	v_cmp_eq_u32_e32 vcc, s14, v1
	v_add_u32_e32 v56, -2, v53
	v_add_u32_e32 v57, -1, v53
	s_waitcnt vmcnt(0)
	v_mad_i64_i32 v[22:23], s[0:1], v2, s13, v[14:15]
	global_load_dword v18, v[22:23], off
	ds_read_b128 v[2:5], v54
	s_waitcnt vmcnt(0)
	v_and_b32_e32 v19, 0xffff, v18
	v_lshrrev_b32_e32 v20, 16, v18
	v_cvt_pk_f32_fp8_e32 v[18:19], v19
	v_cvt_pk_f32_fp8_e32 v[24:25], v20
	v_pk_mul_f32 v[20:21], s[6:7], v[18:19]
	v_pk_mul_f32 v[18:19], s[6:7], v[24:25]
	s_and_saveexec_b64 s[10:11], vcc
; %bb.42:                               ;   in Loop: Header=BB181_41 Depth=1
	v_cmp_gt_i32_e64 s[0:1], s30, v55
	s_nop 1
	v_cndmask_b32_e64 v20, 0, v20, s[0:1]
	v_cmp_gt_i32_e64 s[0:1], s30, v56
	s_nop 1
	v_cndmask_b32_e64 v21, 0, v21, s[0:1]
	v_cmp_gt_i32_e64 s[0:1], s30, v57
	s_nop 1
	v_cndmask_b32_e64 v18, 0, v18, s[0:1]
	v_cmp_gt_i32_e64 s[0:1], s30, v53
	s_nop 1
	v_cndmask_b32_e64 v19, 0, v19, s[0:1]
; %bb.43:                               ;   in Loop: Header=BB181_41 Depth=1
	s_or_b64 exec, exec, s[10:11]
	global_load_dword v24, v[22:23], off offset:256
	s_waitcnt vmcnt(0)
	v_and_b32_e32 v25, 0xffff, v24
	v_lshrrev_b32_e32 v26, 16, v24
	v_cvt_pk_f32_fp8_e32 v[24:25], v25
	v_cvt_pk_f32_fp8_e32 v[28:29], v26
	v_pk_mul_f32 v[26:27], s[6:7], v[24:25]
	v_pk_mul_f32 v[24:25], s[6:7], v[28:29]
	s_and_saveexec_b64 s[10:11], vcc
; %bb.44:                               ;   in Loop: Header=BB181_41 Depth=1
	v_cmp_gt_i32_e64 s[0:1], s30, v55
	s_nop 1
	v_cndmask_b32_e64 v26, 0, v26, s[0:1]
	v_cmp_gt_i32_e64 s[0:1], s30, v56
	s_nop 1
	v_cndmask_b32_e64 v27, 0, v27, s[0:1]
	v_cmp_gt_i32_e64 s[0:1], s30, v57
	s_nop 1
	v_cndmask_b32_e64 v24, 0, v24, s[0:1]
	v_cmp_gt_i32_e64 s[0:1], s30, v53
	s_nop 1
	v_cndmask_b32_e64 v25, 0, v25, s[0:1]
; %bb.45:                               ;   in Loop: Header=BB181_41 Depth=1
	s_or_b64 exec, exec, s[10:11]
	global_load_dword v28, v[22:23], off offset:512
	;; [unrolled: 24-line block ×7, first 2 shown]
	s_waitcnt vmcnt(0)
	v_and_b32_e32 v23, 0xffff, v22
	v_lshrrev_b32_e32 v48, 16, v22
	v_cvt_pk_f32_fp8_e32 v[22:23], v23
	v_cvt_pk_f32_fp8_e32 v[58:59], v48
	v_pk_mul_f32 v[48:49], s[6:7], v[22:23]
	v_pk_mul_f32 v[22:23], s[6:7], v[58:59]
	s_and_saveexec_b64 s[0:1], vcc
	s_cbranch_execz .LBB181_40
; %bb.56:                               ;   in Loop: Header=BB181_41 Depth=1
	v_cmp_gt_i32_e32 vcc, s30, v55
	s_nop 1
	v_cndmask_b32_e32 v48, 0, v48, vcc
	v_cmp_gt_i32_e32 vcc, s30, v56
	s_nop 1
	v_cndmask_b32_e32 v49, 0, v49, vcc
	;; [unrolled: 3-line block ×4, first 2 shown]
	s_branch .LBB181_40
.LBB181_57:
	s_or_b64 exec, exec, s[8:9]
.LBB181_58:
	s_or_b64 exec, exec, s[2:3]
	ds_bpermute_b32 v2, v51, v6
	ds_bpermute_b32 v3, v51, v7
	;; [unrolled: 1-line block ×8, first 2 shown]
	v_and_b32_e32 v1, 0x3c1, v0
	s_waitcnt lgkmcnt(6)
	v_pk_add_f32 v[6:7], v[6:7], v[2:3]
	s_waitcnt lgkmcnt(4)
	v_pk_add_f32 v[4:5], v[12:13], v[4:5]
	;; [unrolled: 2-line block ×4, first 2 shown]
	v_cmp_eq_u32_e32 vcc, 64, v1
	s_barrier
	s_and_saveexec_b64 s[0:1], vcc
	s_cbranch_execz .LBB181_60
; %bb.59:
	v_mov_b32_e32 v10, 0x410
	v_lshl_add_u32 v10, v50, 1, v10
	ds_write2_b32 v10, v6, v7 offset1:32
	ds_write2_b32 v10, v4, v5 offset0:64 offset1:96
	ds_write2_b32 v10, v2, v3 offset0:128 offset1:160
	;; [unrolled: 1-line block ×3, first 2 shown]
.LBB181_60:
	s_or_b64 exec, exec, s[0:1]
	v_cmp_gt_u32_e32 vcc, 64, v0
	s_waitcnt lgkmcnt(0)
	s_barrier
	s_and_saveexec_b64 s[0:1], vcc
	s_cbranch_execz .LBB181_71
; %bb.61:
	v_cmp_eq_u32_e32 vcc, 0, v52
	v_lshrrev_b32_e32 v10, 1, v0
	s_and_saveexec_b64 s[2:3], vcc
	s_cbranch_execnz .LBB181_74
; %bb.62:
	s_or_b64 exec, exec, s[2:3]
	s_and_saveexec_b64 s[2:3], vcc
	s_cbranch_execnz .LBB181_75
.LBB181_63:
	s_or_b64 exec, exec, s[2:3]
	s_and_saveexec_b64 s[2:3], vcc
	s_cbranch_execnz .LBB181_76
.LBB181_64:
	s_or_b64 exec, exec, s[2:3]
	s_and_saveexec_b64 s[2:3], vcc
	s_cbranch_execnz .LBB181_77
.LBB181_65:
	s_or_b64 exec, exec, s[2:3]
	s_and_saveexec_b64 s[2:3], vcc
	s_cbranch_execnz .LBB181_78
.LBB181_66:
	s_or_b64 exec, exec, s[2:3]
	s_and_saveexec_b64 s[2:3], vcc
	s_cbranch_execnz .LBB181_79
.LBB181_67:
	s_or_b64 exec, exec, s[2:3]
	s_and_saveexec_b64 s[2:3], vcc
	s_cbranch_execnz .LBB181_80
.LBB181_68:
	s_or_b64 exec, exec, s[2:3]
	s_and_saveexec_b64 s[2:3], vcc
	s_cbranch_execz .LBB181_70
.LBB181_69:
	v_mov_b32_e32 v11, 0x410
	v_lshl_add_u32 v10, v10, 2, v11
	ds_read_b32 v10, v10 offset:896
	s_waitcnt lgkmcnt(0)
	v_add_f32_e32 v9, v9, v10
.LBB181_70:
	s_or_b64 exec, exec, s[2:3]
.LBB181_71:
	s_or_b64 exec, exec, s[0:1]
	v_cmp_eq_u32_e32 vcc, 0, v1
	s_barrier
	s_and_saveexec_b64 s[0:1], vcc
	s_cbranch_execz .LBB181_73
; %bb.72:
	s_mul_i32 s0, s20, s21
	s_mul_i32 s0, s0, s5
	s_lshl_b32 s0, s0, 8
	s_ashr_i32 s1, s0, 31
	s_lshl_b64 s[0:1], s[0:1], 2
	s_add_u32 s2, s22, s0
	s_mul_i32 s0, s21, s24
	s_addc_u32 s3, s23, s1
	s_ashr_i32 s1, s0, 31
	s_lshl_b64 s[0:1], s[0:1], 2
	s_add_u32 s2, s2, s0
	s_addc_u32 s3, s3, s1
	s_lshl_b32 s0, s4, 8
	s_ashr_i32 s1, s0, 31
	s_lshl_b64 s[0:1], s[0:1], 2
	s_add_u32 s0, s2, s0
	s_addc_u32 s1, s3, s1
	v_lshlrev_b32_e32 v0, 1, v0
	global_store_dword v0, v6, s[0:1]
	global_store_dword v0, v7, s[0:1] offset:128
	global_store_dword v0, v4, s[0:1] offset:256
	;; [unrolled: 1-line block ×7, first 2 shown]
.LBB181_73:
	s_endpgm
.LBB181_74:
	v_mov_b32_e32 v11, 0x410
	v_lshl_add_u32 v11, v10, 2, v11
	ds_read_b32 v11, v11
	s_waitcnt lgkmcnt(0)
	v_add_f32_e32 v6, v6, v11
	s_or_b64 exec, exec, s[2:3]
	s_and_saveexec_b64 s[2:3], vcc
	s_cbranch_execz .LBB181_63
.LBB181_75:
	v_mov_b32_e32 v11, 0x410
	v_lshl_add_u32 v11, v10, 2, v11
	ds_read_b32 v11, v11 offset:128
	s_waitcnt lgkmcnt(0)
	v_add_f32_e32 v7, v7, v11
	s_or_b64 exec, exec, s[2:3]
	s_and_saveexec_b64 s[2:3], vcc
	s_cbranch_execz .LBB181_64
.LBB181_76:
	v_mov_b32_e32 v11, 0x410
	v_lshl_add_u32 v11, v10, 2, v11
	ds_read_b32 v11, v11 offset:256
	s_waitcnt lgkmcnt(0)
	v_add_f32_e32 v4, v4, v11
	s_or_b64 exec, exec, s[2:3]
	s_and_saveexec_b64 s[2:3], vcc
	s_cbranch_execz .LBB181_65
.LBB181_77:
	v_mov_b32_e32 v11, 0x410
	v_lshl_add_u32 v11, v10, 2, v11
	ds_read_b32 v11, v11 offset:384
	s_waitcnt lgkmcnt(0)
	v_add_f32_e32 v5, v5, v11
	s_or_b64 exec, exec, s[2:3]
	s_and_saveexec_b64 s[2:3], vcc
	s_cbranch_execz .LBB181_66
.LBB181_78:
	v_mov_b32_e32 v11, 0x410
	v_lshl_add_u32 v11, v10, 2, v11
	ds_read_b32 v11, v11 offset:512
	s_waitcnt lgkmcnt(0)
	v_add_f32_e32 v2, v2, v11
	s_or_b64 exec, exec, s[2:3]
	s_and_saveexec_b64 s[2:3], vcc
	s_cbranch_execz .LBB181_67
.LBB181_79:
	v_mov_b32_e32 v11, 0x410
	v_lshl_add_u32 v11, v10, 2, v11
	ds_read_b32 v11, v11 offset:640
	s_waitcnt lgkmcnt(0)
	v_add_f32_e32 v3, v3, v11
	s_or_b64 exec, exec, s[2:3]
	s_and_saveexec_b64 s[2:3], vcc
	s_cbranch_execz .LBB181_68
.LBB181_80:
	v_mov_b32_e32 v11, 0x410
	v_lshl_add_u32 v11, v10, 2, v11
	ds_read_b32 v11, v11 offset:768
	s_waitcnt lgkmcnt(0)
	v_add_f32_e32 v8, v8, v11
	s_or_b64 exec, exec, s[2:3]
	s_and_saveexec_b64 s[2:3], vcc
	s_cbranch_execnz .LBB181_69
	s_branch .LBB181_70
	.section	.rodata,"a",@progbits
	.p2align	6, 0x0
	.amdhsa_kernel _ZN4vllm25paged_attention_v1_kernelIfhLi256ELi8ELi128ELNS_18Fp8KVCacheDataTypeE1ELb0EEEvPT_PKS2_PKT0_S8_ifPKiSA_iPKfiiiSC_SC_iiiii
		.amdhsa_group_segment_fixed_size 1040
		.amdhsa_private_segment_fixed_size 0
		.amdhsa_kernarg_size 384
		.amdhsa_user_sgpr_count 2
		.amdhsa_user_sgpr_dispatch_ptr 0
		.amdhsa_user_sgpr_queue_ptr 0
		.amdhsa_user_sgpr_kernarg_segment_ptr 1
		.amdhsa_user_sgpr_dispatch_id 0
		.amdhsa_user_sgpr_kernarg_preload_length 0
		.amdhsa_user_sgpr_kernarg_preload_offset 0
		.amdhsa_user_sgpr_private_segment_size 0
		.amdhsa_uses_dynamic_stack 0
		.amdhsa_enable_private_segment 0
		.amdhsa_system_sgpr_workgroup_id_x 1
		.amdhsa_system_sgpr_workgroup_id_y 1
		.amdhsa_system_sgpr_workgroup_id_z 1
		.amdhsa_system_sgpr_workgroup_info 0
		.amdhsa_system_vgpr_workitem_id 0
		.amdhsa_next_free_vgpr 83
		.amdhsa_next_free_sgpr 38
		.amdhsa_accum_offset 84
		.amdhsa_reserve_vcc 1
		.amdhsa_float_round_mode_32 0
		.amdhsa_float_round_mode_16_64 0
		.amdhsa_float_denorm_mode_32 3
		.amdhsa_float_denorm_mode_16_64 3
		.amdhsa_dx10_clamp 1
		.amdhsa_ieee_mode 1
		.amdhsa_fp16_overflow 0
		.amdhsa_tg_split 0
		.amdhsa_exception_fp_ieee_invalid_op 0
		.amdhsa_exception_fp_denorm_src 0
		.amdhsa_exception_fp_ieee_div_zero 0
		.amdhsa_exception_fp_ieee_overflow 0
		.amdhsa_exception_fp_ieee_underflow 0
		.amdhsa_exception_fp_ieee_inexact 0
		.amdhsa_exception_int_div_zero 0
	.end_amdhsa_kernel
	.section	.text._ZN4vllm25paged_attention_v1_kernelIfhLi256ELi8ELi128ELNS_18Fp8KVCacheDataTypeE1ELb0EEEvPT_PKS2_PKT0_S8_ifPKiSA_iPKfiiiSC_SC_iiiii,"axG",@progbits,_ZN4vllm25paged_attention_v1_kernelIfhLi256ELi8ELi128ELNS_18Fp8KVCacheDataTypeE1ELb0EEEvPT_PKS2_PKT0_S8_ifPKiSA_iPKfiiiSC_SC_iiiii,comdat
.Lfunc_end181:
	.size	_ZN4vllm25paged_attention_v1_kernelIfhLi256ELi8ELi128ELNS_18Fp8KVCacheDataTypeE1ELb0EEEvPT_PKS2_PKT0_S8_ifPKiSA_iPKfiiiSC_SC_iiiii, .Lfunc_end181-_ZN4vllm25paged_attention_v1_kernelIfhLi256ELi8ELi128ELNS_18Fp8KVCacheDataTypeE1ELb0EEEvPT_PKS2_PKT0_S8_ifPKiSA_iPKfiiiSC_SC_iiiii
                                        ; -- End function
	.section	.AMDGPU.csdata,"",@progbits
; Kernel info:
; codeLenInByte = 5736
; NumSgprs: 44
; NumVgprs: 83
; NumAgprs: 0
; TotalNumVgprs: 83
; ScratchSize: 0
; MemoryBound: 0
; FloatMode: 240
; IeeeMode: 1
; LDSByteSize: 1040 bytes/workgroup (compile time only)
; SGPRBlocks: 5
; VGPRBlocks: 10
; NumSGPRsForWavesPerEU: 44
; NumVGPRsForWavesPerEU: 83
; AccumOffset: 84
; Occupancy: 5
; WaveLimiterHint : 1
; COMPUTE_PGM_RSRC2:SCRATCH_EN: 0
; COMPUTE_PGM_RSRC2:USER_SGPR: 2
; COMPUTE_PGM_RSRC2:TRAP_HANDLER: 0
; COMPUTE_PGM_RSRC2:TGID_X_EN: 1
; COMPUTE_PGM_RSRC2:TGID_Y_EN: 1
; COMPUTE_PGM_RSRC2:TGID_Z_EN: 1
; COMPUTE_PGM_RSRC2:TIDIG_COMP_CNT: 0
; COMPUTE_PGM_RSRC3_GFX90A:ACCUM_OFFSET: 20
; COMPUTE_PGM_RSRC3_GFX90A:TG_SPLIT: 0
	.section	.text._ZN4vllm25paged_attention_v1_kernelIfhLi32ELi16ELi128ELNS_18Fp8KVCacheDataTypeE1ELb1EEEvPT_PKS2_PKT0_S8_ifPKiSA_iPKfiiiSC_SC_iiiii,"axG",@progbits,_ZN4vllm25paged_attention_v1_kernelIfhLi32ELi16ELi128ELNS_18Fp8KVCacheDataTypeE1ELb1EEEvPT_PKS2_PKT0_S8_ifPKiSA_iPKfiiiSC_SC_iiiii,comdat
	.protected	_ZN4vllm25paged_attention_v1_kernelIfhLi32ELi16ELi128ELNS_18Fp8KVCacheDataTypeE1ELb1EEEvPT_PKS2_PKT0_S8_ifPKiSA_iPKfiiiSC_SC_iiiii ; -- Begin function _ZN4vllm25paged_attention_v1_kernelIfhLi32ELi16ELi128ELNS_18Fp8KVCacheDataTypeE1ELb1EEEvPT_PKS2_PKT0_S8_ifPKiSA_iPKfiiiSC_SC_iiiii
	.globl	_ZN4vllm25paged_attention_v1_kernelIfhLi32ELi16ELi128ELNS_18Fp8KVCacheDataTypeE1ELb1EEEvPT_PKS2_PKT0_S8_ifPKiSA_iPKfiiiSC_SC_iiiii
	.p2align	8
	.type	_ZN4vllm25paged_attention_v1_kernelIfhLi32ELi16ELi128ELNS_18Fp8KVCacheDataTypeE1ELb1EEEvPT_PKS2_PKT0_S8_ifPKiSA_iPKfiiiSC_SC_iiiii,@function
_ZN4vllm25paged_attention_v1_kernelIfhLi32ELi16ELi128ELNS_18Fp8KVCacheDataTypeE1ELb1EEEvPT_PKS2_PKT0_S8_ifPKiSA_iPKfiiiSC_SC_iiiii: ; @_ZN4vllm25paged_attention_v1_kernelIfhLi32ELi16ELi128ELNS_18Fp8KVCacheDataTypeE1ELb1EEEvPT_PKS2_PKT0_S8_ifPKiSA_iPKfiiiSC_SC_iiiii
; %bb.0:
	s_load_dword s5, s[0:1], 0x80
	s_load_dwordx2 s[6:7], s[0:1], 0x30
	s_load_dwordx2 s[36:37], s[0:1], 0x20
	s_mov_b32 s10, s3
	s_ashr_i32 s11, s3, 31
	s_lshl_b64 s[8:9], s[10:11], 2
	s_waitcnt lgkmcnt(0)
	s_add_u32 s6, s6, s8
	s_addc_u32 s7, s7, s9
	s_abs_i32 s3, s36
	v_cvt_f32_u32_e32 v1, s3
	s_sub_i32 s11, 0, s3
	s_abs_i32 s9, s5
	s_xor_b32 s8, s5, s36
	v_rcp_iflag_f32_e32 v1, v1
	s_ashr_i32 s8, s8, 31
	s_mov_b32 s44, 0
	v_mul_f32_e32 v1, 0x4f7ffffe, v1
	v_cvt_u32_f32_e32 v1, v1
	s_nop 0
	v_readfirstlane_b32 s12, v1
	s_mul_i32 s11, s11, s12
	s_mul_hi_u32 s11, s12, s11
	s_add_i32 s12, s12, s11
	s_mul_hi_u32 s11, s9, s12
	s_mul_i32 s12, s11, s3
	s_sub_i32 s9, s9, s12
	s_add_i32 s12, s11, 1
	s_sub_i32 s13, s9, s3
	s_cmp_ge_u32 s9, s3
	s_cselect_b32 s11, s12, s11
	s_cselect_b32 s9, s13, s9
	s_add_i32 s12, s11, 1
	s_cmp_ge_u32 s9, s3
	s_cselect_b32 s3, s12, s11
	s_xor_b32 s3, s3, s8
	s_sub_i32 s15, s3, s8
	s_abs_i32 s12, s15
	v_cvt_f32_u32_e32 v1, s12
	s_load_dwordx2 s[8:9], s[0:1], 0x40
	s_sub_i32 s3, 0, s12
	s_abs_i32 s13, s2
	v_rcp_iflag_f32_e32 v1, v1
	s_nop 0
	v_mul_f32_e32 v1, 0x4f7ffffe, v1
	v_cvt_u32_f32_e32 v1, v1
	s_nop 0
	v_readfirstlane_b32 s11, v1
	s_mul_i32 s3, s3, s11
	s_mul_hi_u32 s3, s11, s3
	s_add_i32 s11, s11, s3
	s_waitcnt lgkmcnt(0)
	s_cmp_eq_u64 s[8:9], 0
	s_mul_hi_u32 s14, s13, s11
	s_cbranch_scc1 .LBB182_2
; %bb.1:
	s_ashr_i32 s3, s2, 31
	s_lshl_b64 s[16:17], s[2:3], 2
	s_add_u32 s8, s8, s16
	s_addc_u32 s9, s9, s17
	s_load_dword s44, s[8:9], 0x0
.LBB182_2:
	s_load_dword s11, s[6:7], 0x0
	s_load_dwordx4 s[16:19], s[0:1], 0x48
	v_lshrrev_b32_e32 v22, 2, v0
	s_ashr_i32 s8, s2, 31
	s_ashr_i32 s9, s15, 31
	v_and_b32_e32 v6, 3, v0
	s_lshl_b32 s24, s2, 5
	v_cmp_gt_u32_e32 vcc, 32, v0
	v_lshlrev_b32_e32 v10, 2, v0
	v_lshlrev_b32_e32 v1, 2, v22
	s_and_saveexec_b64 s[6:7], vcc
	s_cbranch_execz .LBB182_4
; %bb.3:
	s_load_dwordx2 s[20:21], s[0:1], 0x8
	s_waitcnt lgkmcnt(0)
	s_mul_i32 s22, s10, s16
	s_ashr_i32 s23, s22, 31
	s_lshl_b64 s[22:23], s[22:23], 2
	v_lshl_add_u32 v3, v6, 5, v1
	s_add_u32 s3, s20, s22
	s_addc_u32 s15, s21, s23
	s_ashr_i32 s25, s24, 31
	s_lshl_b64 s[20:21], s[24:25], 2
	s_add_u32 s20, s3, s20
	s_addc_u32 s21, s15, s21
	global_load_dword v2, v10, s[20:21]
	s_waitcnt vmcnt(0)
	ds_write_b32 v3, v2
.LBB182_4:
	s_or_b64 exec, exec, s[6:7]
	s_mul_i32 s7, s14, s12
	s_sub_i32 s7, s13, s7
	s_xor_b32 s6, s8, s9
	s_add_i32 s8, s14, 1
	s_sub_i32 s9, s7, s12
	s_load_dwordx4 s[20:23], s[0:1], 0x68
	s_load_dword s3, s[0:1], 0x78
	s_cmp_ge_u32 s7, s12
	s_cselect_b32 s8, s8, s14
	s_cselect_b32 s7, s9, s7
	s_add_i32 s9, s8, 1
	s_cmp_ge_u32 s7, s12
	s_cselect_b32 s7, s9, s8
	s_waitcnt lgkmcnt(0)
	s_abs_i32 s25, s23
	v_cvt_f32_u32_e32 v2, s25
	s_xor_b32 s7, s7, s6
	s_sub_i32 s43, s7, s6
	s_sub_i32 s6, 0, s25
	v_rcp_iflag_f32_e32 v2, v2
	s_add_i32 s12, s11, -1
	s_abs_i32 s8, s12
	v_mul_f32_e32 v2, 0x4f7ffffe, v2
	v_cvt_u32_f32_e32 v2, v2
	s_barrier
	v_readfirstlane_b32 s33, v2
	s_mul_i32 s6, s6, s33
	s_mul_hi_u32 s6, s33, s6
	s_add_i32 s33, s33, s6
	s_cmp_lt_i32 s3, 0
	s_mul_hi_u32 s9, s8, s33
	s_cbranch_scc0 .LBB182_6
; %bb.5:
	s_mul_i32 s6, s20, s36
	s_add_i32 s6, s43, s6
	s_mul_i32 s6, s6, s3
	s_sub_i32 s36, 1, s6
	s_mov_b64 s[6:7], 0
	s_branch .LBB182_7
.LBB182_6:
	s_mov_b64 s[6:7], -1
                                        ; implicit-def: $sgpr36
.LBB182_7:
	s_load_dwordx2 s[28:29], s[0:1], 0x28
	s_ashr_i32 s16, s12, 31
	s_andn2_b64 vcc, exec, s[6:7]
	s_ashr_i32 s23, s23, 31
	s_cbranch_vccnz .LBB182_9
; %bb.8:
	s_mul_i32 s6, s5, s20
	s_add_i32 s2, s6, s2
	s_mul_i32 s2, s2, s3
	s_add_i32 s36, s2, 1
.LBB182_9:
	s_load_dword s2, s[0:1], 0x38
	s_load_dwordx2 s[26:27], s[0:1], 0x0
	s_load_dwordx2 s[34:35], s[0:1], 0x18
	s_load_dword s20, s[0:1], 0x88
	s_load_dwordx4 s[12:15], s[0:1], 0x58
	s_mul_i32 s3, s9, s25
	s_waitcnt lgkmcnt(0)
	s_mul_i32 s30, s10, s2
	s_sub_i32 s3, s8, s3
	s_ashr_i32 s31, s30, 31
	s_xor_b32 s2, s16, s23
	s_add_i32 s6, s9, 1
	s_sub_i32 s7, s3, s25
	s_cmp_ge_u32 s3, s25
	s_cselect_b32 s6, s6, s9
	s_cselect_b32 s3, s7, s3
	s_add_i32 s7, s6, 1
	s_cmp_ge_u32 s3, s25
	s_cselect_b32 s3, s7, s6
	s_xor_b32 s3, s3, s2
	s_sub_i32 s16, s3, s2
	s_add_i32 s2, s11, 15
	s_ashr_i32 s3, s2, 31
	s_lshr_b32 s3, s3, 28
	s_add_i32 s2, s2, s3
	s_ashr_i32 s42, s2, 4
	v_lshrrev_b32_e32 v23, 6, v0
	v_cmp_gt_i32_e64 s[2:3], s42, v23
	v_mov_b32_e32 v13, 0xff7fffff
	s_mul_i32 s43, s43, s18
	v_lshrrev_b32_e32 v12, 4, v0
	v_lshlrev_b32_e32 v24, 4, v23
	v_mbcnt_lo_u32_b32 v8, -1, 0
	s_and_saveexec_b64 s[18:19], s[2:3]
	s_cbranch_execz .LBB182_19
; %bb.10:
	s_load_dwordx2 s[0:1], s[0:1], 0x10
	s_sub_i32 s45, s16, s21
	s_ashr_i32 s7, s43, 31
	v_bfe_u32 v9, v0, 2, 4
	v_mov_b32_e32 v5, 0
	s_waitcnt lgkmcnt(0)
	s_add_u32 s6, s0, s43
	s_addc_u32 s7, s1, s7
	s_abs_i32 s46, s22
	v_cvt_f32_u32_e32 v2, s46
	v_lshlrev_b32_e32 v4, 4, v9
	v_mbcnt_hi_u32_b32 v19, -1, v8
	v_cmp_eq_u32_e32 vcc, 0, v6
	v_rcp_iflag_f32_e32 v2, v2
	s_mov_b32 s47, s17
	v_lshlrev_b32_e32 v11, 5, v6
	v_cmp_neq_f32_e64 s[0:1], s44, 0
	v_mul_f32_e32 v2, 0x4f7ffffe, v2
	v_cvt_u32_f32_e32 v13, v2
	v_lshl_add_u64 v[2:3], s[6:7], 0, v[4:5]
	s_sub_i32 s6, 0, s46
	v_mov_b32_e32 v7, v5
	v_mul_lo_u32 v4, s6, v13
	v_mul_hi_u32 v4, v13, v4
	v_add_u32_e32 v14, v13, v4
	v_lshlrev_b32_e32 v13, 2, v9
	s_lshl_b64 s[6:7], s[30:31], 2
	v_lshl_or_b32 v13, v23, 6, v13
	s_add_u32 s6, s28, s6
	v_add_u32_e32 v16, 0x90, v13
	v_subrev_u32_e32 v13, s11, v9
	v_and_b32_e32 v4, 60, v12
	s_addc_u32 s7, s29, s7
	v_add_u32_e32 v17, 1, v13
	v_and_b32_e32 v13, 64, v19
	v_lshl_add_u64 v[4:5], s[6:7], 0, v[4:5]
	v_lshlrev_b32_e32 v15, 4, v23
	s_mov_b64 s[38:39], 0
	v_mov_b32_e32 v18, 0xff7fffff
	v_add_u32_e32 v20, 64, v13
	v_xor_b32_e32 v21, 2, v19
	v_xor_b32_e32 v25, 1, v19
	v_mov_b32_e32 v13, 0xff7fffff
	v_mov_b32_e32 v26, v23
	s_branch .LBB182_13
.LBB182_11:                             ;   in Loop: Header=BB182_13 Depth=1
	s_or_b64 exec, exec, s[40:41]
.LBB182_12:                             ;   in Loop: Header=BB182_13 Depth=1
	s_or_b64 exec, exec, s[8:9]
	v_add_u32_e32 v26, 2, v26
	v_cmp_le_i32_e64 s[6:7], s42, v26
	v_lshl_add_u64 v[4:5], v[4:5], 0, 8
	v_add_u32_e32 v15, 32, v15
	s_or_b64 s[38:39], s[6:7], s[38:39]
	v_add_u32_e32 v16, 0x80, v16
	s_andn2_b64 exec, exec, s[38:39]
	s_cbranch_execz .LBB182_18
.LBB182_13:                             ; =>This Inner Loop Header: Depth=1
	v_mul_hi_u32 v27, v15, s33
	s_waitcnt lgkmcnt(0)
	v_mul_lo_u32 v28, v27, s25
	v_sub_u32_e32 v28, v15, v28
	v_add_u32_e32 v29, 1, v27
	v_cmp_le_u32_e64 s[6:7], s25, v28
	s_nop 1
	v_cndmask_b32_e64 v27, v27, v29, s[6:7]
	v_subrev_u32_e32 v29, s25, v28
	v_cndmask_b32_e64 v28, v28, v29, s[6:7]
	v_add_u32_e32 v29, 1, v27
	v_cmp_le_u32_e64 s[6:7], s25, v28
	s_nop 1
	v_cndmask_b32_e64 v27, v27, v29, s[6:7]
	v_xor_b32_e32 v27, s23, v27
	v_subrev_u32_e32 v27, s23, v27
	v_add_u32_e32 v28, s36, v27
	v_sub_u32_e32 v30, 0, v28
	v_ashrrev_i32_e32 v29, 31, v28
	v_max_i32_e32 v28, v28, v30
	v_mul_hi_u32 v30, v28, v14
	v_mul_lo_u32 v30, v30, s46
	v_sub_u32_e32 v28, v28, v30
	v_subrev_u32_e32 v30, s46, v28
	v_cmp_le_u32_e64 s[6:7], s46, v28
	v_cmp_ge_i32_e64 s[8:9], s45, v27
	s_nop 0
	v_cndmask_b32_e64 v28, v28, v30, s[6:7]
	v_subrev_u32_e32 v30, s46, v28
	v_cmp_le_u32_e64 s[6:7], s46, v28
	s_nop 1
	v_cndmask_b32_e64 v28, v28, v30, s[6:7]
	v_xor_b32_e32 v28, v28, v29
	v_sub_u32_e32 v28, v28, v29
	v_cmp_ne_u32_e64 s[6:7], 0, v28
	s_and_b64 s[6:7], s[6:7], s[8:9]
	s_and_b64 s[40:41], vcc, s[6:7]
	s_and_saveexec_b64 s[8:9], s[40:41]
	s_cbranch_execz .LBB182_15
; %bb.14:                               ;   in Loop: Header=BB182_13 Depth=1
	ds_write_b32 v16, v18
.LBB182_15:                             ;   in Loop: Header=BB182_13 Depth=1
	s_or_b64 exec, exec, s[8:9]
	s_xor_b64 s[6:7], s[6:7], -1
	s_and_saveexec_b64 s[8:9], s[6:7]
	s_cbranch_execz .LBB182_12
; %bb.16:                               ;   in Loop: Header=BB182_13 Depth=1
	global_load_dword v27, v[4:5], off
	s_waitcnt vmcnt(0)
	v_mad_i64_i32 v[28:29], s[6:7], v27, s47, v[2:3]
	v_lshl_add_u64 v[28:29], v[28:29], 0, v[6:7]
	global_load_ubyte v27, v[28:29], off
	global_load_ubyte v36, v[28:29], off offset:4
	global_load_ubyte v37, v[28:29], off offset:8
	global_load_ubyte v38, v[28:29], off offset:12
	global_load_ubyte v39, v[28:29], off offset:256
	global_load_ubyte v40, v[28:29], off offset:260
	global_load_ubyte v41, v[28:29], off offset:264
	global_load_ubyte v42, v[28:29], off offset:268
	v_cmp_lt_i32_e64 s[6:7], v21, v20
	ds_read_b128 v[28:31], v11
	ds_read_b128 v[32:35], v11 offset:16
	v_cndmask_b32_e64 v43, v19, v21, s[6:7]
	s_load_dword s6, s[12:13], 0x0
	v_lshlrev_b32_e32 v43, 2, v43
	s_waitcnt vmcnt(7)
	v_cvt_f32_fp8_sdwa v27, v27 src0_sel:BYTE_0
	s_waitcnt vmcnt(6)
	v_cvt_f32_fp8_sdwa v36, v36 src0_sel:BYTE_0
	;; [unrolled: 2-line block ×5, first 2 shown]
	s_waitcnt lgkmcnt(0)
	v_mul_f32_e32 v36, s6, v36
	s_waitcnt vmcnt(2)
	v_cvt_f32_fp8_sdwa v40, v40 src0_sel:BYTE_0
	v_mul_f32_e32 v27, s6, v27
	v_mul_f32_e32 v29, v29, v36
	s_waitcnt vmcnt(1)
	v_cvt_f32_fp8_sdwa v41, v41 src0_sel:BYTE_0
	v_mul_f32_e32 v37, s6, v37
	v_fmac_f32_e32 v29, v28, v27
	s_waitcnt vmcnt(0)
	v_cvt_f32_fp8_sdwa v42, v42 src0_sel:BYTE_0
	v_mul_f32_e32 v38, s6, v38
	v_fmac_f32_e32 v29, v30, v37
	v_mul_f32_e32 v39, s6, v39
	v_fmac_f32_e32 v29, v31, v38
	;; [unrolled: 2-line block ×5, first 2 shown]
	v_fmac_f32_e32 v29, v35, v42
	ds_bpermute_b32 v27, v43, v29
	v_cmp_lt_i32_e64 s[6:7], v25, v20
	s_waitcnt lgkmcnt(0)
	v_add_f32_e32 v27, v29, v27
	v_cndmask_b32_e64 v28, v19, v25, s[6:7]
	v_lshlrev_b32_e32 v28, 2, v28
	ds_bpermute_b32 v28, v28, v27
	s_and_saveexec_b64 s[40:41], vcc
	s_cbranch_execz .LBB182_11
; %bb.17:                               ;   in Loop: Header=BB182_13 Depth=1
	v_add_u32_e32 v29, v17, v15
	v_cvt_f32_i32_e32 v29, v29
	s_waitcnt lgkmcnt(0)
	v_add_f32_e32 v27, v27, v28
	v_add_u32_e32 v30, v9, v15
	v_cmp_gt_i32_e64 s[6:7], s11, v30
	v_mul_f32_e32 v28, s44, v29
	v_cndmask_b32_e64 v28, 0, v28, s[0:1]
	v_fmac_f32_e32 v28, s37, v27
	v_cndmask_b32_e64 v27, 0, v28, s[6:7]
	ds_write_b32 v16, v27
	v_max_f32_e32 v27, v13, v13
	v_max_f32_e32 v27, v27, v28
	v_cndmask_b32_e64 v13, v13, v27, s[6:7]
	s_branch .LBB182_11
.LBB182_18:
	s_or_b64 exec, exec, s[38:39]
.LBB182_19:
	s_or_b64 exec, exec, s[18:19]
	v_mbcnt_hi_u32_b32 v2, -1, v8
	v_and_b32_e32 v3, 64, v2
	v_add_u32_e32 v3, 64, v3
	v_xor_b32_e32 v4, 32, v2
	v_cmp_lt_i32_e32 vcc, v4, v3
	v_xor_b32_e32 v8, 16, v2
	v_max_f32_e32 v7, v13, v13
	v_cndmask_b32_e32 v4, v2, v4, vcc
	v_lshlrev_b32_e32 v4, 2, v4
	ds_bpermute_b32 v5, v4, v13
	v_cmp_lt_i32_e32 vcc, v8, v3
	v_xor_b32_e32 v9, 8, v2
	v_xor_b32_e32 v13, 4, v2
	s_waitcnt lgkmcnt(0)
	v_max_f32_e32 v5, v5, v5
	v_max_f32_e32 v7, v7, v5
	v_cndmask_b32_e32 v5, v2, v8, vcc
	v_lshlrev_b32_e32 v5, 2, v5
	ds_bpermute_b32 v8, v5, v7
	v_cmp_lt_i32_e32 vcc, v9, v3
	s_waitcnt lgkmcnt(0)
	v_max_f32_e32 v8, v8, v8
	v_max_f32_e32 v7, v7, v8
	v_cndmask_b32_e32 v8, v2, v9, vcc
	v_lshlrev_b32_e32 v11, 2, v8
	ds_bpermute_b32 v8, v11, v7
	v_cmp_lt_i32_e32 vcc, v13, v3
	s_waitcnt lgkmcnt(0)
	v_max_f32_e32 v8, v8, v8
	v_max_f32_e32 v9, v7, v8
	v_cndmask_b32_e32 v7, v2, v13, vcc
	v_lshlrev_b32_e32 v13, 2, v7
	ds_bpermute_b32 v14, v13, v9
	v_and_b32_e32 v7, 63, v0
	v_cmp_eq_u32_e32 vcc, 0, v7
	v_lshlrev_b32_e32 v8, 2, v23
	s_and_saveexec_b64 s[0:1], vcc
	s_cbranch_execz .LBB182_21
; %bb.20:
	s_waitcnt lgkmcnt(0)
	v_max_f32_e32 v14, v14, v14
	v_max_f32_e32 v9, v9, v9
	;; [unrolled: 1-line block ×3, first 2 shown]
	ds_write_b32 v8, v9 offset:128
.LBB182_21:
	s_or_b64 exec, exec, s[0:1]
	v_cmp_gt_u32_e64 s[0:1], 2, v7
	s_waitcnt lgkmcnt(0)
	v_mov_b32_e32 v14, 0xff7fffff
	v_lshlrev_b32_e32 v9, 2, v7
	s_barrier
	s_and_saveexec_b64 s[6:7], s[0:1]
	s_cbranch_execz .LBB182_23
; %bb.22:
	ds_read_b32 v14, v9 offset:128
.LBB182_23:
	s_or_b64 exec, exec, s[6:7]
	v_xor_b32_e32 v15, 1, v2
	v_cmp_lt_i32_e64 s[6:7], v15, v3
	v_lshlrev_b32_e32 v16, 2, v2
	s_nop 0
	v_cndmask_b32_e64 v15, v2, v15, s[6:7]
	v_lshlrev_b32_e32 v25, 2, v15
	s_waitcnt lgkmcnt(0)
	ds_bpermute_b32 v15, v25, v14
	v_max_f32_e32 v14, v14, v14
	s_lshl_b32 s6, s42, 4
	s_min_i32 s37, s6, s11
	v_cmp_gt_i32_e64 s[6:7], s37, v0
	s_waitcnt lgkmcnt(0)
	v_max_f32_e32 v15, v15, v15
	v_max_f32_e32 v15, v14, v15
	v_and_b32_e32 v14, 0x100, v16
	ds_bpermute_b32 v16, v14, v15
	v_mov_b32_e32 v15, 0
	s_and_saveexec_b64 s[12:13], s[6:7]
	s_cbranch_execz .LBB182_27
; %bb.24:
	v_mov_b32_e32 v15, 0x90
	v_lshl_add_u32 v17, v0, 2, v15
	s_mov_b64 s[18:19], 0
	v_mov_b32_e32 v15, 0
	v_mov_b32_e32 v18, v0
.LBB182_25:                             ; =>This Inner Loop Header: Depth=1
	ds_read_b32 v19, v17
	v_add_u32_e32 v18, 0x80, v18
	v_cmp_le_i32_e64 s[8:9], s37, v18
	s_or_b64 s[18:19], s[8:9], s[18:19]
	s_waitcnt lgkmcnt(0)
	v_sub_f32_e32 v19, v19, v16
	v_mul_f32_e32 v19, 0x3fb8aa3b, v19
	v_exp_f32_e32 v19, v19
	ds_write_b32 v17, v19
	v_add_f32_e32 v15, v15, v19
	v_add_u32_e32 v17, 0x200, v17
	s_andn2_b64 exec, exec, s[18:19]
	s_cbranch_execnz .LBB182_25
; %bb.26:
	s_or_b64 exec, exec, s[18:19]
.LBB182_27:
	s_or_b64 exec, exec, s[12:13]
	ds_bpermute_b32 v4, v4, v15
	s_waitcnt lgkmcnt(0)
	v_add_f32_e32 v4, v15, v4
	ds_bpermute_b32 v5, v5, v4
	s_waitcnt lgkmcnt(0)
	v_add_f32_e32 v4, v4, v5
	ds_bpermute_b32 v5, v11, v4
	v_xor_b32_e32 v11, 2, v2
	v_cmp_lt_i32_e64 s[8:9], v11, v3
	s_waitcnt lgkmcnt(0)
	v_add_f32_e32 v4, v4, v5
	ds_bpermute_b32 v5, v13, v4
	v_cndmask_b32_e64 v2, v2, v11, s[8:9]
	v_lshlrev_b32_e32 v26, 2, v2
	s_waitcnt lgkmcnt(0)
	v_add_f32_e32 v3, v4, v5
	ds_bpermute_b32 v2, v26, v3
	s_waitcnt lgkmcnt(0)
	v_add_f32_e32 v2, v3, v2
	ds_bpermute_b32 v3, v25, v2
	s_waitcnt lgkmcnt(0)
	v_add_f32_e32 v2, v2, v3
	s_and_saveexec_b64 s[8:9], vcc
	s_cbranch_execz .LBB182_29
; %bb.28:
	ds_write_b32 v8, v2 offset:136
.LBB182_29:
	s_or_b64 exec, exec, s[8:9]
	s_waitcnt lgkmcnt(0)
	s_barrier
	s_and_saveexec_b64 s[8:9], s[0:1]
	s_cbranch_execz .LBB182_31
; %bb.30:
	ds_read_b32 v2, v9 offset:136
.LBB182_31:
	s_or_b64 exec, exec, s[8:9]
	s_waitcnt lgkmcnt(0)
	ds_bpermute_b32 v3, v25, v2
	s_waitcnt lgkmcnt(0)
	v_add_f32_e32 v2, v2, v3
	ds_bpermute_b32 v2, v14, v2
	s_and_saveexec_b64 s[0:1], s[6:7]
	s_cbranch_execz .LBB182_44
; %bb.32:
	s_waitcnt lgkmcnt(0)
	v_add_f32_e32 v2, 0x358637bd, v2
	v_div_scale_f32 v3, s[6:7], v2, v2, 1.0
	v_rcp_f32_e32 v4, v3
	v_div_scale_f32 v5, vcc, 1.0, v2, 1.0
	s_movk_i32 s6, 0x7f
	v_fma_f32 v8, -v3, v4, 1.0
	v_fmac_f32_e32 v4, v8, v4
	v_mul_f32_e32 v8, v5, v4
	v_fma_f32 v9, -v3, v8, v5
	v_fmac_f32_e32 v8, v9, v4
	v_fma_f32 v3, -v3, v8, v5
	v_div_fmas_f32 v3, v3, v4, v8
	v_xad_u32 v4, v0, -1, s37
	v_div_fixup_f32 v2, v3, v2, 1.0
	v_cmp_lt_u32_e32 vcc, s6, v4
	s_mov_b64 s[8:9], -1
	v_mov_b32_e32 v3, v0
	s_and_saveexec_b64 s[6:7], vcc
	s_cbranch_execz .LBB182_41
; %bb.33:
	v_lshrrev_b32_e32 v4, 7, v4
	v_add_u32_e32 v8, -1, v4
	v_lshrrev_b32_e32 v5, 1, v8
	v_mov_b32_e32 v3, v2
	v_add_u32_e32 v5, 1, v5
	v_cmp_lt_u32_e32 vcc, 13, v8
	v_mov_b32_e32 v11, 0
	s_and_saveexec_b64 s[8:9], vcc
	s_cbranch_execz .LBB182_37
; %bb.34:
	v_mov_b32_e32 v9, 0x90
	v_and_b32_e32 v8, -8, v5
	v_lshl_add_u32 v9, v0, 2, v9
	s_mov_b32 s18, 0
	s_mov_b64 s[12:13], 0
.LBB182_35:                             ; =>This Inner Loop Header: Depth=1
	ds_read2st64_b32 v[14:15], v9 offset1:2
	ds_read2st64_b32 v[16:17], v9 offset0:4 offset1:6
	ds_read2st64_b32 v[18:19], v9 offset0:8 offset1:10
	;; [unrolled: 1-line block ×3, first 2 shown]
	v_add_u32_e32 v8, -8, v8
	s_waitcnt lgkmcnt(3)
	v_pk_mul_f32 v[14:15], v[2:3], v[14:15]
	s_waitcnt lgkmcnt(2)
	v_pk_mul_f32 v[16:17], v[2:3], v[16:17]
	ds_write2st64_b32 v9, v14, v15 offset1:2
	ds_write2st64_b32 v9, v16, v17 offset0:4 offset1:6
	ds_read2st64_b32 v[16:17], v9 offset0:16 offset1:18
	s_waitcnt lgkmcnt(4)
	v_pk_mul_f32 v[14:15], v[2:3], v[18:19]
	ds_write2st64_b32 v9, v14, v15 offset0:8 offset1:10
	s_waitcnt lgkmcnt(4)
	v_pk_mul_f32 v[14:15], v[2:3], v[20:21]
	ds_write2st64_b32 v9, v14, v15 offset0:12 offset1:14
	ds_read2st64_b32 v[14:15], v9 offset0:20 offset1:22
	s_waitcnt lgkmcnt(3)
	v_pk_mul_f32 v[16:17], v[2:3], v[16:17]
	ds_read2st64_b32 v[18:19], v9 offset0:24 offset1:26
	ds_write2st64_b32 v9, v16, v17 offset0:16 offset1:18
	ds_read2st64_b32 v[16:17], v9 offset0:28 offset1:30
	s_waitcnt lgkmcnt(3)
	v_pk_mul_f32 v[14:15], v[2:3], v[14:15]
	ds_write2st64_b32 v9, v14, v15 offset0:20 offset1:22
	s_waitcnt lgkmcnt(3)
	v_pk_mul_f32 v[14:15], v[2:3], v[18:19]
	ds_write2st64_b32 v9, v14, v15 offset0:24 offset1:26
	s_waitcnt lgkmcnt(2)
	v_pk_mul_f32 v[14:15], v[2:3], v[16:17]
	s_add_i32 s18, s18, 16
	v_cmp_eq_u32_e32 vcc, 0, v8
	ds_write2st64_b32 v9, v14, v15 offset0:28 offset1:30
	v_add_u32_e32 v9, 0x2000, v9
	s_or_b64 s[12:13], vcc, s[12:13]
	v_mov_b32_e32 v11, s18
	s_andn2_b64 exec, exec, s[12:13]
	s_cbranch_execnz .LBB182_35
; %bb.36:
	s_or_b64 exec, exec, s[12:13]
.LBB182_37:
	s_or_b64 exec, exec, s[8:9]
	v_and_b32_e32 v5, 7, v5
	v_cmp_ne_u32_e32 vcc, 0, v5
	s_and_saveexec_b64 s[8:9], vcc
	s_cbranch_execz .LBB182_40
; %bb.38:
	v_lshlrev_b32_e32 v8, 9, v11
	s_movk_i32 s12, 0x90
	v_add3_u32 v8, v8, v10, s12
	s_mov_b64 s[12:13], 0
.LBB182_39:                             ; =>This Inner Loop Header: Depth=1
	ds_read2st64_b32 v[14:15], v8 offset1:2
	v_add_u32_e32 v5, -1, v5
	v_cmp_eq_u32_e32 vcc, 0, v5
	s_or_b64 s[12:13], vcc, s[12:13]
	s_waitcnt lgkmcnt(0)
	v_pk_mul_f32 v[14:15], v[2:3], v[14:15]
	ds_write2st64_b32 v8, v14, v15 offset1:2
	v_add_u32_e32 v8, 0x400, v8
	s_andn2_b64 exec, exec, s[12:13]
	s_cbranch_execnz .LBB182_39
.LBB182_40:
	s_or_b64 exec, exec, s[8:9]
	v_add_u32_e32 v4, 1, v4
	v_and_b32_e32 v5, 0x3fffffe, v4
	v_cmp_ne_u32_e32 vcc, v4, v5
	v_lshl_add_u32 v3, v5, 7, v0
	s_orn2_b64 s[8:9], vcc, exec
.LBB182_41:
	s_or_b64 exec, exec, s[6:7]
	s_and_b64 exec, exec, s[8:9]
	s_cbranch_execz .LBB182_44
; %bb.42:
	v_mov_b32_e32 v4, 0x90
	v_lshl_add_u32 v4, v3, 2, v4
	s_mov_b64 s[6:7], 0
.LBB182_43:                             ; =>This Inner Loop Header: Depth=1
	ds_read_b32 v5, v4
	v_add_u32_e32 v3, 0x80, v3
	v_cmp_le_i32_e32 vcc, s37, v3
	s_or_b64 s[6:7], vcc, s[6:7]
	s_waitcnt lgkmcnt(0)
	v_mul_f32_e32 v5, v2, v5
	ds_write_b32 v4, v5
	v_add_u32_e32 v4, 0x200, v4
	s_andn2_b64 exec, exec, s[6:7]
	s_cbranch_execnz .LBB182_43
.LBB182_44:
	s_or_b64 exec, exec, s[0:1]
	v_mov_b32_e32 v9, 0
	v_mov_b32_e32 v8, 0
	s_waitcnt lgkmcnt(0)
	s_barrier
	s_and_saveexec_b64 s[6:7], s[2:3]
	s_cbranch_execz .LBB182_54
; %bb.45:
	s_sub_i32 s18, s16, s21
	s_ashr_i32 s1, s43, 31
	s_add_u32 s0, s34, s43
	s_addc_u32 s1, s35, s1
	s_abs_i32 s19, s22
	v_cvt_f32_u32_e32 v2, s19
	s_sub_i32 s2, 0, s19
	v_and_b32_e32 v8, 0xfc, v10
	v_mov_b32_e32 v9, 0
	v_rcp_iflag_f32_e32 v2, v2
	v_and_b32_e32 v27, 12, v10
	s_add_i32 s22, s42, -1
	v_lshl_add_u64 v[10:11], s[0:1], 0, v[8:9]
	v_mul_f32_e32 v2, 0x4f7ffffe, v2
	v_cvt_u32_f32_e32 v2, v2
	s_lshl_b64 s[0:1], s[30:31], 2
	s_add_u32 s0, s28, s0
	v_and_b32_e32 v8, 60, v12
	v_mul_lo_u32 v3, s2, v2
	v_mul_hi_u32 v3, v2, v3
	v_add_u32_e32 v28, v2, v3
	v_lshlrev_b32_e32 v2, 4, v6
	s_addc_u32 s1, s29, s1
	v_lshl_or_b32 v2, v23, 6, v2
	s_mov_b32 s21, s17
	v_lshl_add_u64 v[12:13], s[0:1], 0, v[8:9]
	v_add_u32_e32 v29, 0x90, v2
	s_mov_b64 s[2:3], 0
	v_mov_b32_e32 v8, v9
	s_branch .LBB182_48
.LBB182_46:                             ;   in Loop: Header=BB182_48 Depth=1
	s_or_b64 exec, exec, s[0:1]
	v_mul_f32_e32 v17, v3, v17
	v_mul_f32_e32 v3, v3, v21
	v_fmac_f32_e32 v17, v2, v16
	v_fmac_f32_e32 v3, v2, v20
	;; [unrolled: 1-line block ×6, first 2 shown]
	v_add_f32_e32 v8, v8, v17
	v_add_f32_e32 v9, v9, v3
.LBB182_47:                             ;   in Loop: Header=BB182_48 Depth=1
	s_or_b64 exec, exec, s[8:9]
	v_add_u32_e32 v23, 2, v23
	v_cmp_le_i32_e32 vcc, s42, v23
	v_lshl_add_u64 v[12:13], v[12:13], 0, 8
	v_add_u32_e32 v24, 32, v24
	s_or_b64 s[2:3], vcc, s[2:3]
	v_add_u32_e32 v29, 0x80, v29
	s_andn2_b64 exec, exec, s[2:3]
	s_cbranch_execz .LBB182_53
.LBB182_48:                             ; =>This Inner Loop Header: Depth=1
	v_mul_hi_u32 v2, v24, s33
	v_mul_lo_u32 v3, v2, s25
	v_sub_u32_e32 v3, v24, v3
	v_add_u32_e32 v4, 1, v2
	v_cmp_le_u32_e32 vcc, s25, v3
	s_nop 1
	v_cndmask_b32_e32 v2, v2, v4, vcc
	v_subrev_u32_e32 v4, s25, v3
	v_cndmask_b32_e32 v3, v3, v4, vcc
	v_add_u32_e32 v4, 1, v2
	v_cmp_le_u32_e32 vcc, s25, v3
	s_nop 1
	v_cndmask_b32_e32 v2, v2, v4, vcc
	v_xor_b32_e32 v2, s23, v2
	v_subrev_u32_e32 v2, s23, v2
	v_add_u32_e32 v3, s36, v2
	v_sub_u32_e32 v5, 0, v3
	v_ashrrev_i32_e32 v4, 31, v3
	v_max_i32_e32 v3, v3, v5
	v_mul_hi_u32 v5, v3, v28
	v_mul_lo_u32 v5, v5, s19
	v_sub_u32_e32 v3, v3, v5
	v_subrev_u32_e32 v5, s19, v3
	v_cmp_le_u32_e32 vcc, s19, v3
	v_cmp_lt_i32_e64 s[0:1], s18, v2
	s_nop 0
	v_cndmask_b32_e32 v3, v3, v5, vcc
	v_subrev_u32_e32 v5, s19, v3
	v_cmp_le_u32_e32 vcc, s19, v3
	s_nop 1
	v_cndmask_b32_e32 v3, v3, v5, vcc
	v_xor_b32_e32 v3, v3, v4
	v_sub_u32_e32 v3, v3, v4
	v_cmp_eq_u32_e32 vcc, 0, v3
	s_or_b64 s[0:1], vcc, s[0:1]
	s_and_saveexec_b64 s[8:9], s[0:1]
	s_cbranch_execz .LBB182_47
; %bb.49:                               ;   in Loop: Header=BB182_48 Depth=1
	global_load_dword v2, v[12:13], off
	s_load_dword s12, s[14:15], 0x0
	v_add_u32_e32 v30, v27, v24
	v_cmp_eq_u32_e32 vcc, s22, v23
	v_add_u32_e32 v32, 1, v30
	v_add_u32_e32 v31, 2, v30
	;; [unrolled: 1-line block ×3, first 2 shown]
	s_waitcnt vmcnt(0)
	v_mad_i64_i32 v[18:19], s[0:1], v2, s21, v[10:11]
	global_load_dword v14, v[18:19], off
	ds_read_b128 v[2:5], v29
	s_waitcnt vmcnt(0)
	v_and_b32_e32 v15, 0xffff, v14
	v_lshrrev_b32_e32 v16, 16, v14
	v_cvt_pk_f32_fp8_e32 v[14:15], v15
	v_cvt_pk_f32_fp8_e32 v[20:21], v16
	s_waitcnt lgkmcnt(0)
	v_pk_mul_f32 v[16:17], s[12:13], v[14:15] op_sel_hi:[0,1]
	v_pk_mul_f32 v[14:15], s[12:13], v[20:21] op_sel_hi:[0,1]
	s_and_saveexec_b64 s[16:17], vcc
; %bb.50:                               ;   in Loop: Header=BB182_48 Depth=1
	v_cmp_gt_i32_e64 s[0:1], s11, v30
	s_nop 1
	v_cndmask_b32_e64 v16, 0, v16, s[0:1]
	v_cmp_gt_i32_e64 s[0:1], s11, v32
	s_nop 1
	v_cndmask_b32_e64 v17, 0, v17, s[0:1]
	;; [unrolled: 3-line block ×4, first 2 shown]
; %bb.51:                               ;   in Loop: Header=BB182_48 Depth=1
	s_or_b64 exec, exec, s[16:17]
	global_load_dword v18, v[18:19], off offset:256
	s_mov_b32 s13, s12
	s_waitcnt vmcnt(0)
	v_and_b32_e32 v19, 0xffff, v18
	v_lshrrev_b32_e32 v20, 16, v18
	v_cvt_pk_f32_fp8_e32 v[18:19], v19
	v_cvt_pk_f32_fp8_e32 v[34:35], v20
	v_pk_mul_f32 v[20:21], s[12:13], v[18:19]
	v_pk_mul_f32 v[18:19], s[12:13], v[34:35]
	s_and_saveexec_b64 s[0:1], vcc
	s_cbranch_execz .LBB182_46
; %bb.52:                               ;   in Loop: Header=BB182_48 Depth=1
	v_cmp_gt_i32_e32 vcc, s11, v30
	s_nop 1
	v_cndmask_b32_e32 v20, 0, v20, vcc
	v_cmp_gt_i32_e32 vcc, s11, v32
	s_nop 1
	v_cndmask_b32_e32 v21, 0, v21, vcc
	;; [unrolled: 3-line block ×4, first 2 shown]
	s_branch .LBB182_46
.LBB182_53:
	s_or_b64 exec, exec, s[2:3]
.LBB182_54:
	s_or_b64 exec, exec, s[6:7]
	ds_bpermute_b32 v2, v26, v8
	ds_bpermute_b32 v3, v26, v9
	v_and_b32_e32 v4, 0x3c3, v0
	v_cmp_eq_u32_e32 vcc, 64, v4
	s_waitcnt lgkmcnt(0)
	s_barrier
	v_pk_add_f32 v[2:3], v[8:9], v[2:3]
	ds_bpermute_b32 v8, v25, v2
	ds_bpermute_b32 v9, v25, v3
	s_waitcnt lgkmcnt(0)
	v_pk_add_f32 v[2:3], v[2:3], v[8:9]
	s_and_saveexec_b64 s[0:1], vcc
	s_cbranch_execz .LBB182_56
; %bb.55:
	v_add_u32_e32 v7, 0x90, v7
	v_add_u32_e32 v5, 0x90, v0
	ds_write_b32 v7, v2
	ds_write_b32 v5, v3
.LBB182_56:
	s_or_b64 exec, exec, s[0:1]
	v_cmp_gt_u32_e32 vcc, 64, v0
	s_waitcnt lgkmcnt(0)
	s_barrier
	s_and_saveexec_b64 s[0:1], vcc
	s_cbranch_execz .LBB182_62
; %bb.57:
	v_cmp_eq_u32_e32 vcc, 0, v6
	s_and_saveexec_b64 s[2:3], vcc
	s_cbranch_execz .LBB182_59
; %bb.58:
	v_mov_b32_e32 v0, 0x90
	v_lshl_add_u32 v0, v22, 2, v0
	ds_read_b32 v0, v0
	s_waitcnt lgkmcnt(0)
	v_add_f32_e32 v2, v2, v0
.LBB182_59:
	s_or_b64 exec, exec, s[2:3]
	s_and_saveexec_b64 s[2:3], vcc
	s_cbranch_execz .LBB182_61
; %bb.60:
	v_mov_b32_e32 v0, 0x90
	v_lshl_add_u32 v0, v22, 2, v0
	ds_read_b32 v0, v0 offset:64
	s_waitcnt lgkmcnt(0)
	v_add_f32_e32 v3, v3, v0
.LBB182_61:
	s_or_b64 exec, exec, s[2:3]
.LBB182_62:
	s_or_b64 exec, exec, s[0:1]
	v_cmp_eq_u32_e32 vcc, 0, v4
	s_barrier
	s_and_saveexec_b64 s[0:1], vcc
	s_cbranch_execz .LBB182_64
; %bb.63:
	s_mul_i32 s0, s10, s20
	s_mul_i32 s0, s0, s5
	s_lshl_b32 s0, s0, 5
	s_ashr_i32 s1, s0, 31
	s_lshl_b64 s[0:1], s[0:1], 2
	s_add_u32 s2, s26, s0
	s_mul_i32 s0, s20, s24
	s_addc_u32 s3, s27, s1
	s_ashr_i32 s1, s0, 31
	s_lshl_b64 s[0:1], s[0:1], 2
	s_add_u32 s2, s2, s0
	s_addc_u32 s3, s3, s1
	s_lshl_b32 s0, s4, 5
	s_ashr_i32 s1, s0, 31
	s_lshl_b64 s[0:1], s[0:1], 2
	s_add_u32 s0, s2, s0
	s_addc_u32 s1, s3, s1
	global_store_dword v1, v2, s[0:1]
	global_store_dword v1, v3, s[0:1] offset:64
.LBB182_64:
	s_endpgm
	.section	.rodata,"a",@progbits
	.p2align	6, 0x0
	.amdhsa_kernel _ZN4vllm25paged_attention_v1_kernelIfhLi32ELi16ELi128ELNS_18Fp8KVCacheDataTypeE1ELb1EEEvPT_PKS2_PKT0_S8_ifPKiSA_iPKfiiiSC_SC_iiiii
		.amdhsa_group_segment_fixed_size 144
		.amdhsa_private_segment_fixed_size 0
		.amdhsa_kernarg_size 384
		.amdhsa_user_sgpr_count 2
		.amdhsa_user_sgpr_dispatch_ptr 0
		.amdhsa_user_sgpr_queue_ptr 0
		.amdhsa_user_sgpr_kernarg_segment_ptr 1
		.amdhsa_user_sgpr_dispatch_id 0
		.amdhsa_user_sgpr_kernarg_preload_length 0
		.amdhsa_user_sgpr_kernarg_preload_offset 0
		.amdhsa_user_sgpr_private_segment_size 0
		.amdhsa_uses_dynamic_stack 0
		.amdhsa_enable_private_segment 0
		.amdhsa_system_sgpr_workgroup_id_x 1
		.amdhsa_system_sgpr_workgroup_id_y 1
		.amdhsa_system_sgpr_workgroup_id_z 1
		.amdhsa_system_sgpr_workgroup_info 0
		.amdhsa_system_vgpr_workitem_id 0
		.amdhsa_next_free_vgpr 44
		.amdhsa_next_free_sgpr 48
		.amdhsa_accum_offset 44
		.amdhsa_reserve_vcc 1
		.amdhsa_float_round_mode_32 0
		.amdhsa_float_round_mode_16_64 0
		.amdhsa_float_denorm_mode_32 3
		.amdhsa_float_denorm_mode_16_64 3
		.amdhsa_dx10_clamp 1
		.amdhsa_ieee_mode 1
		.amdhsa_fp16_overflow 0
		.amdhsa_tg_split 0
		.amdhsa_exception_fp_ieee_invalid_op 0
		.amdhsa_exception_fp_denorm_src 0
		.amdhsa_exception_fp_ieee_div_zero 0
		.amdhsa_exception_fp_ieee_overflow 0
		.amdhsa_exception_fp_ieee_underflow 0
		.amdhsa_exception_fp_ieee_inexact 0
		.amdhsa_exception_int_div_zero 0
	.end_amdhsa_kernel
	.section	.text._ZN4vllm25paged_attention_v1_kernelIfhLi32ELi16ELi128ELNS_18Fp8KVCacheDataTypeE1ELb1EEEvPT_PKS2_PKT0_S8_ifPKiSA_iPKfiiiSC_SC_iiiii,"axG",@progbits,_ZN4vllm25paged_attention_v1_kernelIfhLi32ELi16ELi128ELNS_18Fp8KVCacheDataTypeE1ELb1EEEvPT_PKS2_PKT0_S8_ifPKiSA_iPKfiiiSC_SC_iiiii,comdat
.Lfunc_end182:
	.size	_ZN4vllm25paged_attention_v1_kernelIfhLi32ELi16ELi128ELNS_18Fp8KVCacheDataTypeE1ELb1EEEvPT_PKS2_PKT0_S8_ifPKiSA_iPKfiiiSC_SC_iiiii, .Lfunc_end182-_ZN4vllm25paged_attention_v1_kernelIfhLi32ELi16ELi128ELNS_18Fp8KVCacheDataTypeE1ELb1EEEvPT_PKS2_PKT0_S8_ifPKiSA_iPKfiiiSC_SC_iiiii
                                        ; -- End function
	.section	.AMDGPU.csdata,"",@progbits
; Kernel info:
; codeLenInByte = 4164
; NumSgprs: 54
; NumVgprs: 44
; NumAgprs: 0
; TotalNumVgprs: 44
; ScratchSize: 0
; MemoryBound: 0
; FloatMode: 240
; IeeeMode: 1
; LDSByteSize: 144 bytes/workgroup (compile time only)
; SGPRBlocks: 6
; VGPRBlocks: 5
; NumSGPRsForWavesPerEU: 54
; NumVGPRsForWavesPerEU: 44
; AccumOffset: 44
; Occupancy: 8
; WaveLimiterHint : 1
; COMPUTE_PGM_RSRC2:SCRATCH_EN: 0
; COMPUTE_PGM_RSRC2:USER_SGPR: 2
; COMPUTE_PGM_RSRC2:TRAP_HANDLER: 0
; COMPUTE_PGM_RSRC2:TGID_X_EN: 1
; COMPUTE_PGM_RSRC2:TGID_Y_EN: 1
; COMPUTE_PGM_RSRC2:TGID_Z_EN: 1
; COMPUTE_PGM_RSRC2:TIDIG_COMP_CNT: 0
; COMPUTE_PGM_RSRC3_GFX90A:ACCUM_OFFSET: 10
; COMPUTE_PGM_RSRC3_GFX90A:TG_SPLIT: 0
	.section	.text._ZN4vllm25paged_attention_v1_kernelIfhLi64ELi16ELi128ELNS_18Fp8KVCacheDataTypeE1ELb1EEEvPT_PKS2_PKT0_S8_ifPKiSA_iPKfiiiSC_SC_iiiii,"axG",@progbits,_ZN4vllm25paged_attention_v1_kernelIfhLi64ELi16ELi128ELNS_18Fp8KVCacheDataTypeE1ELb1EEEvPT_PKS2_PKT0_S8_ifPKiSA_iPKfiiiSC_SC_iiiii,comdat
	.protected	_ZN4vllm25paged_attention_v1_kernelIfhLi64ELi16ELi128ELNS_18Fp8KVCacheDataTypeE1ELb1EEEvPT_PKS2_PKT0_S8_ifPKiSA_iPKfiiiSC_SC_iiiii ; -- Begin function _ZN4vllm25paged_attention_v1_kernelIfhLi64ELi16ELi128ELNS_18Fp8KVCacheDataTypeE1ELb1EEEvPT_PKS2_PKT0_S8_ifPKiSA_iPKfiiiSC_SC_iiiii
	.globl	_ZN4vllm25paged_attention_v1_kernelIfhLi64ELi16ELi128ELNS_18Fp8KVCacheDataTypeE1ELb1EEEvPT_PKS2_PKT0_S8_ifPKiSA_iPKfiiiSC_SC_iiiii
	.p2align	8
	.type	_ZN4vllm25paged_attention_v1_kernelIfhLi64ELi16ELi128ELNS_18Fp8KVCacheDataTypeE1ELb1EEEvPT_PKS2_PKT0_S8_ifPKiSA_iPKfiiiSC_SC_iiiii,@function
_ZN4vllm25paged_attention_v1_kernelIfhLi64ELi16ELi128ELNS_18Fp8KVCacheDataTypeE1ELb1EEEvPT_PKS2_PKT0_S8_ifPKiSA_iPKfiiiSC_SC_iiiii: ; @_ZN4vllm25paged_attention_v1_kernelIfhLi64ELi16ELi128ELNS_18Fp8KVCacheDataTypeE1ELb1EEEvPT_PKS2_PKT0_S8_ifPKiSA_iPKfiiiSC_SC_iiiii
; %bb.0:
	s_load_dword s5, s[0:1], 0x80
	s_load_dwordx2 s[6:7], s[0:1], 0x30
	s_load_dwordx2 s[38:39], s[0:1], 0x20
	s_mov_b32 s24, s3
	s_ashr_i32 s25, s3, 31
	s_lshl_b64 s[8:9], s[24:25], 2
	s_waitcnt lgkmcnt(0)
	s_add_u32 s6, s6, s8
	s_addc_u32 s7, s7, s9
	s_abs_i32 s3, s38
	v_cvt_f32_u32_e32 v1, s3
	s_sub_i32 s10, 0, s3
	s_abs_i32 s9, s5
	s_xor_b32 s8, s5, s38
	v_rcp_iflag_f32_e32 v1, v1
	s_ashr_i32 s8, s8, 31
	s_mov_b32 s46, 0
	v_mul_f32_e32 v1, 0x4f7ffffe, v1
	v_cvt_u32_f32_e32 v1, v1
	s_nop 0
	v_readfirstlane_b32 s11, v1
	s_mul_i32 s10, s10, s11
	s_mul_hi_u32 s10, s11, s10
	s_add_i32 s11, s11, s10
	s_mul_hi_u32 s10, s9, s11
	s_mul_i32 s11, s10, s3
	s_sub_i32 s9, s9, s11
	s_add_i32 s11, s10, 1
	s_sub_i32 s12, s9, s3
	s_cmp_ge_u32 s9, s3
	s_cselect_b32 s10, s11, s10
	s_cselect_b32 s9, s12, s9
	s_add_i32 s11, s10, 1
	s_cmp_ge_u32 s9, s3
	s_cselect_b32 s3, s11, s10
	s_xor_b32 s3, s3, s8
	s_sub_i32 s14, s3, s8
	s_abs_i32 s10, s14
	v_cvt_f32_u32_e32 v1, s10
	s_load_dwordx2 s[8:9], s[0:1], 0x40
	s_sub_i32 s3, 0, s10
	s_abs_i32 s11, s2
	v_rcp_iflag_f32_e32 v1, v1
	s_nop 0
	v_mul_f32_e32 v1, 0x4f7ffffe, v1
	v_cvt_u32_f32_e32 v1, v1
	s_nop 0
	v_readfirstlane_b32 s12, v1
	s_mul_i32 s3, s3, s12
	s_mul_hi_u32 s3, s12, s3
	s_add_i32 s12, s12, s3
	s_waitcnt lgkmcnt(0)
	s_cmp_eq_u64 s[8:9], 0
	s_mul_hi_u32 s12, s11, s12
	s_cbranch_scc1 .LBB183_2
; %bb.1:
	s_ashr_i32 s3, s2, 31
	s_lshl_b64 s[16:17], s[2:3], 2
	s_add_u32 s8, s8, s16
	s_addc_u32 s9, s9, s17
	s_load_dword s46, s[8:9], 0x0
.LBB183_2:
	s_load_dword s25, s[6:7], 0x0
	s_load_dwordx4 s[16:19], s[0:1], 0x48
	v_lshrrev_b32_e32 v32, 2, v0
	s_ashr_i32 s13, s2, 31
	s_ashr_i32 s14, s14, 31
	v_and_b32_e32 v10, 3, v0
	s_lshl_b32 s26, s2, 6
	v_cmp_gt_u32_e64 s[6:7], 64, v0
	v_lshlrev_b32_e32 v6, 2, v0
	v_lshlrev_b32_e32 v1, 2, v32
	s_and_saveexec_b64 s[8:9], s[6:7]
	s_cbranch_execz .LBB183_4
; %bb.3:
	s_load_dwordx2 s[20:21], s[0:1], 0x8
	s_waitcnt lgkmcnt(0)
	s_mul_i32 s22, s24, s16
	s_ashr_i32 s23, s22, 31
	s_lshl_b64 s[22:23], s[22:23], 2
	v_lshl_add_u32 v3, v10, 6, v1
	s_add_u32 s3, s20, s22
	s_addc_u32 s15, s21, s23
	s_ashr_i32 s27, s26, 31
	s_lshl_b64 s[20:21], s[26:27], 2
	s_add_u32 s20, s3, s20
	s_addc_u32 s21, s15, s21
	global_load_dword v2, v6, s[20:21]
	s_waitcnt vmcnt(0)
	ds_write_b32 v3, v2
.LBB183_4:
	s_or_b64 exec, exec, s[8:9]
	s_mul_i32 s9, s12, s10
	s_sub_i32 s9, s11, s9
	s_xor_b32 s8, s13, s14
	s_add_i32 s11, s12, 1
	s_sub_i32 s13, s9, s10
	s_load_dwordx4 s[20:23], s[0:1], 0x68
	s_load_dword s3, s[0:1], 0x78
	s_cmp_ge_u32 s9, s10
	s_cselect_b32 s11, s11, s12
	s_cselect_b32 s9, s13, s9
	s_add_i32 s12, s11, 1
	s_cmp_ge_u32 s9, s10
	s_cselect_b32 s9, s12, s11
	s_waitcnt lgkmcnt(0)
	s_abs_i32 s27, s23
	v_cvt_f32_u32_e32 v2, s27
	s_xor_b32 s9, s9, s8
	s_sub_i32 s45, s9, s8
	s_sub_i32 s8, 0, s27
	v_rcp_iflag_f32_e32 v2, v2
	s_add_i32 s12, s25, -1
	s_abs_i32 s10, s12
	v_mul_f32_e32 v2, 0x4f7ffffe, v2
	v_cvt_u32_f32_e32 v2, v2
	s_barrier
	v_readfirstlane_b32 s33, v2
	s_mul_i32 s8, s8, s33
	s_mul_hi_u32 s8, s33, s8
	s_add_i32 s33, s33, s8
	s_cmp_lt_i32 s3, 0
	s_mul_hi_u32 s11, s10, s33
	s_cbranch_scc0 .LBB183_6
; %bb.5:
	s_mul_i32 s8, s20, s38
	s_add_i32 s8, s45, s8
	s_mul_i32 s8, s8, s3
	s_sub_i32 s38, 1, s8
	s_mov_b64 s[8:9], 0
	s_branch .LBB183_7
.LBB183_6:
	s_mov_b64 s[8:9], -1
                                        ; implicit-def: $sgpr38
.LBB183_7:
	s_load_dwordx2 s[30:31], s[0:1], 0x28
	s_ashr_i32 s16, s12, 31
	s_andn2_b64 vcc, exec, s[8:9]
	s_ashr_i32 s23, s23, 31
	s_cbranch_vccnz .LBB183_9
; %bb.8:
	s_mul_i32 s8, s5, s20
	s_add_i32 s2, s8, s2
	s_mul_i32 s2, s2, s3
	s_add_i32 s38, s2, 1
.LBB183_9:
	s_load_dword s2, s[0:1], 0x38
	s_load_dwordx2 s[28:29], s[0:1], 0x0
	s_load_dwordx2 s[36:37], s[0:1], 0x18
	s_load_dword s20, s[0:1], 0x88
	s_load_dwordx4 s[12:15], s[0:1], 0x58
	s_mul_i32 s3, s11, s27
	s_waitcnt lgkmcnt(0)
	s_mul_i32 s34, s24, s2
	s_sub_i32 s3, s10, s3
	s_ashr_i32 s35, s34, 31
	s_xor_b32 s2, s16, s23
	s_add_i32 s8, s11, 1
	s_sub_i32 s9, s3, s27
	s_cmp_ge_u32 s3, s27
	s_cselect_b32 s8, s8, s11
	s_cselect_b32 s3, s9, s3
	s_add_i32 s9, s8, 1
	s_cmp_ge_u32 s3, s27
	s_cselect_b32 s3, s9, s8
	s_xor_b32 s3, s3, s2
	s_sub_i32 s16, s3, s2
	s_add_i32 s2, s25, 15
	s_ashr_i32 s3, s2, 31
	s_lshr_b32 s3, s3, 28
	s_add_i32 s2, s2, s3
	s_ashr_i32 s44, s2, 4
	v_lshrrev_b32_e32 v33, 6, v0
	v_cmp_gt_i32_e64 s[2:3], s44, v33
	v_mov_b32_e32 v13, 0xff7fffff
	s_mul_i32 s45, s45, s18
	v_lshrrev_b32_e32 v7, 4, v0
	v_lshlrev_b32_e32 v34, 4, v33
	v_mbcnt_lo_u32_b32 v8, -1, 0
	s_and_saveexec_b64 s[18:19], s[2:3]
	s_cbranch_execz .LBB183_19
; %bb.10:
	s_load_dwordx2 s[0:1], s[0:1], 0x10
	s_sub_i32 s47, s16, s21
	s_ashr_i32 s9, s45, 31
	v_bfe_u32 v9, v0, 2, 4
	v_mov_b32_e32 v5, 0
	s_waitcnt lgkmcnt(0)
	s_add_u32 s8, s0, s45
	s_addc_u32 s9, s1, s9
	s_abs_i32 s48, s22
	v_cvt_f32_u32_e32 v2, s48
	v_lshlrev_b32_e32 v4, 4, v9
	v_mbcnt_hi_u32_b32 v19, -1, v8
	v_cmp_eq_u32_e32 vcc, 0, v10
	v_rcp_iflag_f32_e32 v2, v2
	s_mov_b32 s49, s17
	v_lshlrev_b32_e32 v12, 6, v10
	v_cmp_neq_f32_e64 s[0:1], s46, 0
	v_mul_f32_e32 v2, 0x4f7ffffe, v2
	v_cvt_u32_f32_e32 v13, v2
	v_lshl_add_u64 v[2:3], s[8:9], 0, v[4:5]
	s_sub_i32 s8, 0, s48
	v_mov_b32_e32 v11, v5
	v_mul_lo_u32 v4, s8, v13
	v_mul_hi_u32 v4, v13, v4
	v_add_u32_e32 v14, v13, v4
	v_lshlrev_b32_e32 v13, 2, v9
	s_lshl_b64 s[8:9], s[34:35], 2
	v_lshl_or_b32 v13, v33, 6, v13
	s_add_u32 s8, s30, s8
	v_add_u32_e32 v16, 0x110, v13
	v_subrev_u32_e32 v13, s25, v9
	v_and_b32_e32 v4, 60, v7
	s_addc_u32 s9, s31, s9
	v_add_u32_e32 v17, 1, v13
	v_and_b32_e32 v13, 64, v19
	v_lshl_add_u64 v[4:5], s[8:9], 0, v[4:5]
	v_lshlrev_b32_e32 v15, 4, v33
	s_mov_b64 s[40:41], 0
	v_mov_b32_e32 v18, 0xff7fffff
	v_add_u32_e32 v20, 64, v13
	v_xor_b32_e32 v21, 2, v19
	v_xor_b32_e32 v22, 1, v19
	v_mov_b32_e32 v13, 0xff7fffff
	v_mov_b32_e32 v23, v33
	s_branch .LBB183_13
.LBB183_11:                             ;   in Loop: Header=BB183_13 Depth=1
	s_or_b64 exec, exec, s[42:43]
.LBB183_12:                             ;   in Loop: Header=BB183_13 Depth=1
	s_or_b64 exec, exec, s[10:11]
	v_add_u32_e32 v23, 2, v23
	v_cmp_le_i32_e64 s[8:9], s44, v23
	v_lshl_add_u64 v[4:5], v[4:5], 0, 8
	v_add_u32_e32 v15, 32, v15
	s_or_b64 s[40:41], s[8:9], s[40:41]
	v_add_u32_e32 v16, 0x80, v16
	s_andn2_b64 exec, exec, s[40:41]
	s_cbranch_execz .LBB183_18
.LBB183_13:                             ; =>This Inner Loop Header: Depth=1
	v_mul_hi_u32 v24, v15, s33
	s_waitcnt lgkmcnt(0)
	v_mul_lo_u32 v25, v24, s27
	v_sub_u32_e32 v25, v15, v25
	v_add_u32_e32 v26, 1, v24
	v_cmp_le_u32_e64 s[8:9], s27, v25
	s_nop 1
	v_cndmask_b32_e64 v24, v24, v26, s[8:9]
	v_subrev_u32_e32 v26, s27, v25
	v_cndmask_b32_e64 v25, v25, v26, s[8:9]
	v_add_u32_e32 v26, 1, v24
	v_cmp_le_u32_e64 s[8:9], s27, v25
	s_nop 1
	v_cndmask_b32_e64 v24, v24, v26, s[8:9]
	v_xor_b32_e32 v24, s23, v24
	v_subrev_u32_e32 v24, s23, v24
	v_add_u32_e32 v25, s38, v24
	v_sub_u32_e32 v27, 0, v25
	v_ashrrev_i32_e32 v26, 31, v25
	v_max_i32_e32 v25, v25, v27
	v_mul_hi_u32 v27, v25, v14
	v_mul_lo_u32 v27, v27, s48
	v_sub_u32_e32 v25, v25, v27
	v_subrev_u32_e32 v27, s48, v25
	v_cmp_le_u32_e64 s[8:9], s48, v25
	v_cmp_ge_i32_e64 s[10:11], s47, v24
	s_nop 0
	v_cndmask_b32_e64 v25, v25, v27, s[8:9]
	v_subrev_u32_e32 v27, s48, v25
	v_cmp_le_u32_e64 s[8:9], s48, v25
	s_nop 1
	v_cndmask_b32_e64 v25, v25, v27, s[8:9]
	v_xor_b32_e32 v25, v25, v26
	v_sub_u32_e32 v25, v25, v26
	v_cmp_ne_u32_e64 s[8:9], 0, v25
	s_and_b64 s[8:9], s[8:9], s[10:11]
	s_and_b64 s[42:43], vcc, s[8:9]
	s_and_saveexec_b64 s[10:11], s[42:43]
	s_cbranch_execz .LBB183_15
; %bb.14:                               ;   in Loop: Header=BB183_13 Depth=1
	ds_write_b32 v16, v18
.LBB183_15:                             ;   in Loop: Header=BB183_13 Depth=1
	s_or_b64 exec, exec, s[10:11]
	s_xor_b64 s[8:9], s[8:9], -1
	s_and_saveexec_b64 s[10:11], s[8:9]
	s_cbranch_execz .LBB183_12
; %bb.16:                               ;   in Loop: Header=BB183_13 Depth=1
	global_load_dword v24, v[4:5], off
	s_waitcnt vmcnt(0)
	v_mad_i64_i32 v[24:25], s[8:9], v24, s49, v[2:3]
	v_lshl_add_u64 v[24:25], v[24:25], 0, v[10:11]
	global_load_ubyte v35, v[24:25], off
	global_load_ubyte v44, v[24:25], off offset:4
	global_load_ubyte v45, v[24:25], off offset:8
	;; [unrolled: 1-line block ×15, first 2 shown]
	v_cmp_lt_i32_e64 s[8:9], v21, v20
	ds_read_b128 v[24:27], v12
	ds_read_b128 v[28:31], v12 offset:16
	ds_read_b128 v[36:39], v12 offset:32
	;; [unrolled: 1-line block ×3, first 2 shown]
	v_cndmask_b32_e64 v59, v19, v21, s[8:9]
	s_load_dword s8, s[12:13], 0x0
	v_lshlrev_b32_e32 v59, 2, v59
	s_waitcnt vmcnt(15)
	v_cvt_f32_fp8_sdwa v35, v35 src0_sel:BYTE_0
	s_waitcnt vmcnt(14)
	v_cvt_f32_fp8_sdwa v44, v44 src0_sel:BYTE_0
	;; [unrolled: 2-line block ×5, first 2 shown]
	s_waitcnt lgkmcnt(0)
	v_mul_f32_e32 v44, s8, v44
	s_waitcnt vmcnt(10)
	v_cvt_f32_fp8_sdwa v48, v48 src0_sel:BYTE_0
	v_mul_f32_e32 v35, s8, v35
	v_mul_f32_e32 v25, v25, v44
	s_waitcnt vmcnt(9)
	v_cvt_f32_fp8_sdwa v49, v49 src0_sel:BYTE_0
	v_mul_f32_e32 v45, s8, v45
	v_fmac_f32_e32 v25, v24, v35
	s_waitcnt vmcnt(8)
	v_cvt_f32_fp8_sdwa v50, v50 src0_sel:BYTE_0
	v_mul_f32_e32 v46, s8, v46
	v_fmac_f32_e32 v25, v26, v45
	;; [unrolled: 4-line block ×10, first 2 shown]
	v_mul_f32_e32 v55, s8, v55
	v_fmac_f32_e32 v25, v39, v54
	v_mul_f32_e32 v56, s8, v56
	v_fmac_f32_e32 v25, v40, v55
	;; [unrolled: 2-line block ×4, first 2 shown]
	v_fmac_f32_e32 v25, v43, v58
	ds_bpermute_b32 v24, v59, v25
	v_cmp_lt_i32_e64 s[8:9], v22, v20
	s_waitcnt lgkmcnt(0)
	v_add_f32_e32 v24, v25, v24
	v_cndmask_b32_e64 v26, v19, v22, s[8:9]
	v_lshlrev_b32_e32 v26, 2, v26
	ds_bpermute_b32 v25, v26, v24
	s_and_saveexec_b64 s[42:43], vcc
	s_cbranch_execz .LBB183_11
; %bb.17:                               ;   in Loop: Header=BB183_13 Depth=1
	v_add_u32_e32 v26, v17, v15
	v_cvt_f32_i32_e32 v26, v26
	s_waitcnt lgkmcnt(0)
	v_add_f32_e32 v24, v24, v25
	v_add_u32_e32 v27, v9, v15
	v_cmp_gt_i32_e64 s[8:9], s25, v27
	v_mul_f32_e32 v25, s46, v26
	v_cndmask_b32_e64 v25, 0, v25, s[0:1]
	v_fmac_f32_e32 v25, s39, v24
	v_cndmask_b32_e64 v24, 0, v25, s[8:9]
	ds_write_b32 v16, v24
	v_max_f32_e32 v24, v13, v13
	v_max_f32_e32 v24, v24, v25
	v_cndmask_b32_e64 v13, v13, v24, s[8:9]
	s_branch .LBB183_11
.LBB183_18:
	s_or_b64 exec, exec, s[40:41]
.LBB183_19:
	s_or_b64 exec, exec, s[18:19]
	v_mbcnt_hi_u32_b32 v2, -1, v8
	v_and_b32_e32 v3, 64, v2
	v_add_u32_e32 v3, 64, v3
	v_xor_b32_e32 v4, 32, v2
	v_cmp_lt_i32_e32 vcc, v4, v3
	v_xor_b32_e32 v9, 16, v2
	v_max_f32_e32 v8, v13, v13
	v_cndmask_b32_e32 v4, v2, v4, vcc
	v_lshlrev_b32_e32 v4, 2, v4
	ds_bpermute_b32 v5, v4, v13
	v_cmp_lt_i32_e32 vcc, v9, v3
	v_xor_b32_e32 v11, 8, v2
	s_waitcnt lgkmcnt(0)
	v_max_f32_e32 v5, v5, v5
	v_max_f32_e32 v8, v8, v5
	v_cndmask_b32_e32 v5, v2, v9, vcc
	v_lshlrev_b32_e32 v5, 2, v5
	ds_bpermute_b32 v9, v5, v8
	v_cmp_lt_i32_e32 vcc, v11, v3
	s_waitcnt lgkmcnt(0)
	v_max_f32_e32 v9, v9, v9
	v_max_f32_e32 v8, v8, v9
	v_cndmask_b32_e32 v9, v2, v11, vcc
	v_lshlrev_b32_e32 v12, 2, v9
	ds_bpermute_b32 v9, v12, v8
	v_xor_b32_e32 v11, 4, v2
	v_cmp_lt_i32_e32 vcc, v11, v3
	s_waitcnt lgkmcnt(0)
	v_max_f32_e32 v9, v9, v9
	v_max_f32_e32 v9, v8, v9
	v_cndmask_b32_e32 v8, v2, v11, vcc
	v_lshlrev_b32_e32 v13, 2, v8
	ds_bpermute_b32 v14, v13, v9
	v_and_b32_e32 v11, 63, v0
	v_cmp_eq_u32_e32 vcc, 0, v11
	v_lshlrev_b32_e32 v8, 2, v33
	s_and_saveexec_b64 s[0:1], vcc
	s_cbranch_execz .LBB183_21
; %bb.20:
	s_waitcnt lgkmcnt(0)
	v_max_f32_e32 v14, v14, v14
	v_max_f32_e32 v9, v9, v9
	;; [unrolled: 1-line block ×3, first 2 shown]
	ds_write_b32 v8, v9 offset:256
.LBB183_21:
	s_or_b64 exec, exec, s[0:1]
	v_cmp_gt_u32_e64 s[0:1], 2, v11
	s_waitcnt lgkmcnt(0)
	v_mov_b32_e32 v14, 0xff7fffff
	v_lshlrev_b32_e32 v9, 2, v11
	s_barrier
	s_and_saveexec_b64 s[8:9], s[0:1]
	s_cbranch_execz .LBB183_23
; %bb.22:
	ds_read_b32 v14, v9 offset:256
.LBB183_23:
	s_or_b64 exec, exec, s[8:9]
	v_xor_b32_e32 v15, 1, v2
	v_cmp_lt_i32_e64 s[8:9], v15, v3
	v_lshlrev_b32_e32 v16, 2, v2
	s_nop 0
	v_cndmask_b32_e64 v15, v2, v15, s[8:9]
	v_lshlrev_b32_e32 v35, 2, v15
	s_waitcnt lgkmcnt(0)
	ds_bpermute_b32 v15, v35, v14
	v_max_f32_e32 v14, v14, v14
	s_lshl_b32 s8, s44, 4
	s_min_i32 s39, s8, s25
	v_cmp_gt_i32_e64 s[8:9], s39, v0
	s_waitcnt lgkmcnt(0)
	v_max_f32_e32 v15, v15, v15
	v_max_f32_e32 v15, v14, v15
	v_and_b32_e32 v14, 0x100, v16
	ds_bpermute_b32 v16, v14, v15
	v_mov_b32_e32 v15, 0
	s_and_saveexec_b64 s[12:13], s[8:9]
	s_cbranch_execz .LBB183_27
; %bb.24:
	v_mov_b32_e32 v15, 0x110
	v_lshl_add_u32 v17, v0, 2, v15
	s_mov_b64 s[18:19], 0
	v_mov_b32_e32 v15, 0
	v_mov_b32_e32 v18, v0
.LBB183_25:                             ; =>This Inner Loop Header: Depth=1
	ds_read_b32 v19, v17
	v_add_u32_e32 v18, 0x80, v18
	v_cmp_le_i32_e64 s[10:11], s39, v18
	s_or_b64 s[18:19], s[10:11], s[18:19]
	s_waitcnt lgkmcnt(0)
	v_sub_f32_e32 v19, v19, v16
	v_mul_f32_e32 v19, 0x3fb8aa3b, v19
	v_exp_f32_e32 v19, v19
	ds_write_b32 v17, v19
	v_add_f32_e32 v15, v15, v19
	v_add_u32_e32 v17, 0x200, v17
	s_andn2_b64 exec, exec, s[18:19]
	s_cbranch_execnz .LBB183_25
; %bb.26:
	s_or_b64 exec, exec, s[18:19]
.LBB183_27:
	s_or_b64 exec, exec, s[12:13]
	ds_bpermute_b32 v4, v4, v15
	s_waitcnt lgkmcnt(0)
	v_add_f32_e32 v4, v15, v4
	ds_bpermute_b32 v5, v5, v4
	s_waitcnt lgkmcnt(0)
	v_add_f32_e32 v4, v4, v5
	ds_bpermute_b32 v5, v12, v4
	v_xor_b32_e32 v12, 2, v2
	v_cmp_lt_i32_e64 s[10:11], v12, v3
	s_waitcnt lgkmcnt(0)
	v_add_f32_e32 v4, v4, v5
	ds_bpermute_b32 v5, v13, v4
	v_cndmask_b32_e64 v2, v2, v12, s[10:11]
	v_lshlrev_b32_e32 v36, 2, v2
	s_waitcnt lgkmcnt(0)
	v_add_f32_e32 v3, v4, v5
	ds_bpermute_b32 v2, v36, v3
	s_waitcnt lgkmcnt(0)
	v_add_f32_e32 v2, v3, v2
	ds_bpermute_b32 v3, v35, v2
	s_waitcnt lgkmcnt(0)
	v_add_f32_e32 v2, v2, v3
	s_and_saveexec_b64 s[10:11], vcc
	s_cbranch_execz .LBB183_29
; %bb.28:
	ds_write_b32 v8, v2 offset:264
.LBB183_29:
	s_or_b64 exec, exec, s[10:11]
	s_waitcnt lgkmcnt(0)
	s_barrier
	s_and_saveexec_b64 s[10:11], s[0:1]
	s_cbranch_execz .LBB183_31
; %bb.30:
	ds_read_b32 v2, v9 offset:264
.LBB183_31:
	s_or_b64 exec, exec, s[10:11]
	s_waitcnt lgkmcnt(0)
	ds_bpermute_b32 v3, v35, v2
	s_waitcnt lgkmcnt(0)
	v_add_f32_e32 v2, v2, v3
	ds_bpermute_b32 v2, v14, v2
	s_and_saveexec_b64 s[0:1], s[8:9]
	s_cbranch_execz .LBB183_44
; %bb.32:
	s_waitcnt lgkmcnt(0)
	v_add_f32_e32 v2, 0x358637bd, v2
	v_div_scale_f32 v3, s[8:9], v2, v2, 1.0
	v_rcp_f32_e32 v4, v3
	v_div_scale_f32 v5, vcc, 1.0, v2, 1.0
	s_movk_i32 s8, 0x7f
	v_fma_f32 v8, -v3, v4, 1.0
	v_fmac_f32_e32 v4, v8, v4
	v_mul_f32_e32 v8, v5, v4
	v_fma_f32 v9, -v3, v8, v5
	v_fmac_f32_e32 v8, v9, v4
	v_fma_f32 v3, -v3, v8, v5
	v_div_fmas_f32 v3, v3, v4, v8
	v_xad_u32 v4, v0, -1, s39
	v_div_fixup_f32 v2, v3, v2, 1.0
	v_cmp_lt_u32_e32 vcc, s8, v4
	s_mov_b64 s[10:11], -1
	v_mov_b32_e32 v3, v0
	s_and_saveexec_b64 s[8:9], vcc
	s_cbranch_execz .LBB183_41
; %bb.33:
	v_lshrrev_b32_e32 v4, 7, v4
	v_add_u32_e32 v8, -1, v4
	v_lshrrev_b32_e32 v5, 1, v8
	v_mov_b32_e32 v3, v2
	v_add_u32_e32 v5, 1, v5
	v_cmp_lt_u32_e32 vcc, 13, v8
	v_mov_b32_e32 v12, 0
	s_and_saveexec_b64 s[10:11], vcc
	s_cbranch_execz .LBB183_37
; %bb.34:
	v_mov_b32_e32 v9, 0x110
	v_and_b32_e32 v8, -8, v5
	v_lshl_add_u32 v9, v0, 2, v9
	s_mov_b32 s18, 0
	s_mov_b64 s[12:13], 0
.LBB183_35:                             ; =>This Inner Loop Header: Depth=1
	ds_read2st64_b32 v[12:13], v9 offset1:2
	ds_read2st64_b32 v[14:15], v9 offset0:4 offset1:6
	ds_read2st64_b32 v[16:17], v9 offset0:8 offset1:10
	;; [unrolled: 1-line block ×3, first 2 shown]
	v_add_u32_e32 v8, -8, v8
	s_waitcnt lgkmcnt(3)
	v_pk_mul_f32 v[12:13], v[2:3], v[12:13]
	s_waitcnt lgkmcnt(2)
	v_pk_mul_f32 v[14:15], v[2:3], v[14:15]
	ds_write2st64_b32 v9, v12, v13 offset1:2
	ds_write2st64_b32 v9, v14, v15 offset0:4 offset1:6
	ds_read2st64_b32 v[14:15], v9 offset0:16 offset1:18
	s_waitcnt lgkmcnt(4)
	v_pk_mul_f32 v[12:13], v[2:3], v[16:17]
	ds_write2st64_b32 v9, v12, v13 offset0:8 offset1:10
	s_waitcnt lgkmcnt(4)
	v_pk_mul_f32 v[12:13], v[2:3], v[18:19]
	ds_write2st64_b32 v9, v12, v13 offset0:12 offset1:14
	ds_read2st64_b32 v[12:13], v9 offset0:20 offset1:22
	s_waitcnt lgkmcnt(3)
	v_pk_mul_f32 v[14:15], v[2:3], v[14:15]
	ds_read2st64_b32 v[16:17], v9 offset0:24 offset1:26
	ds_write2st64_b32 v9, v14, v15 offset0:16 offset1:18
	ds_read2st64_b32 v[14:15], v9 offset0:28 offset1:30
	s_waitcnt lgkmcnt(3)
	v_pk_mul_f32 v[12:13], v[2:3], v[12:13]
	ds_write2st64_b32 v9, v12, v13 offset0:20 offset1:22
	s_waitcnt lgkmcnt(3)
	v_pk_mul_f32 v[12:13], v[2:3], v[16:17]
	ds_write2st64_b32 v9, v12, v13 offset0:24 offset1:26
	s_waitcnt lgkmcnt(2)
	v_pk_mul_f32 v[12:13], v[2:3], v[14:15]
	s_add_i32 s18, s18, 16
	v_cmp_eq_u32_e32 vcc, 0, v8
	ds_write2st64_b32 v9, v12, v13 offset0:28 offset1:30
	v_add_u32_e32 v9, 0x2000, v9
	s_or_b64 s[12:13], vcc, s[12:13]
	v_mov_b32_e32 v12, s18
	s_andn2_b64 exec, exec, s[12:13]
	s_cbranch_execnz .LBB183_35
; %bb.36:
	s_or_b64 exec, exec, s[12:13]
.LBB183_37:
	s_or_b64 exec, exec, s[10:11]
	v_and_b32_e32 v5, 7, v5
	v_cmp_ne_u32_e32 vcc, 0, v5
	s_and_saveexec_b64 s[10:11], vcc
	s_cbranch_execz .LBB183_40
; %bb.38:
	v_lshlrev_b32_e32 v8, 9, v12
	s_movk_i32 s12, 0x110
	v_add3_u32 v8, v8, v6, s12
	s_mov_b64 s[12:13], 0
.LBB183_39:                             ; =>This Inner Loop Header: Depth=1
	ds_read2st64_b32 v[12:13], v8 offset1:2
	v_add_u32_e32 v5, -1, v5
	v_cmp_eq_u32_e32 vcc, 0, v5
	s_or_b64 s[12:13], vcc, s[12:13]
	s_waitcnt lgkmcnt(0)
	v_pk_mul_f32 v[12:13], v[2:3], v[12:13]
	ds_write2st64_b32 v8, v12, v13 offset1:2
	v_add_u32_e32 v8, 0x400, v8
	s_andn2_b64 exec, exec, s[12:13]
	s_cbranch_execnz .LBB183_39
.LBB183_40:
	s_or_b64 exec, exec, s[10:11]
	v_add_u32_e32 v4, 1, v4
	v_and_b32_e32 v5, 0x3fffffe, v4
	v_cmp_ne_u32_e32 vcc, v4, v5
	v_lshl_add_u32 v3, v5, 7, v0
	s_orn2_b64 s[10:11], vcc, exec
.LBB183_41:
	s_or_b64 exec, exec, s[8:9]
	s_and_b64 exec, exec, s[10:11]
	s_cbranch_execz .LBB183_44
; %bb.42:
	v_mov_b32_e32 v4, 0x110
	v_lshl_add_u32 v4, v3, 2, v4
	s_mov_b64 s[8:9], 0
.LBB183_43:                             ; =>This Inner Loop Header: Depth=1
	ds_read_b32 v5, v4
	v_add_u32_e32 v3, 0x80, v3
	v_cmp_le_i32_e32 vcc, s39, v3
	s_or_b64 s[8:9], vcc, s[8:9]
	s_waitcnt lgkmcnt(0)
	v_mul_f32_e32 v5, v2, v5
	ds_write_b32 v4, v5
	v_add_u32_e32 v4, 0x200, v4
	s_andn2_b64 exec, exec, s[8:9]
	s_cbranch_execnz .LBB183_43
.LBB183_44:
	s_or_b64 exec, exec, s[0:1]
	s_mov_b32 s0, 0
	v_mov_b32_e32 v5, 0
	v_mov_b32_e32 v4, 0
	;; [unrolled: 1-line block ×3, first 2 shown]
	s_waitcnt lgkmcnt(0)
	v_mov_b32_e32 v2, 0
	s_barrier
	s_and_saveexec_b64 s[8:9], s[2:3]
	s_cbranch_execz .LBB183_58
; %bb.45:
	s_sub_i32 s18, s16, s21
	s_ashr_i32 s1, s45, 31
	s_add_u32 s2, s36, s45
	s_addc_u32 s3, s37, s1
	s_abs_i32 s19, s22
	v_cvt_f32_u32_e32 v2, s19
	v_mov_b32_e32 v3, 0
	s_sub_i32 s1, 0, s19
	s_add_i32 s22, s44, -1
	v_rcp_iflag_f32_e32 v4, v2
	v_and_b32_e32 v2, 0xfc, v6
	v_lshl_add_u64 v[12:13], s[2:3], 0, v[2:3]
	s_lshl_b64 s[2:3], s[34:35], 2
	v_mul_f32_e32 v4, 0x4f7ffffe, v4
	v_cvt_u32_f32_e32 v4, v4
	s_add_u32 s2, s30, s2
	s_addc_u32 s3, s31, s3
	v_and_b32_e32 v37, 12, v6
	v_mul_lo_u32 v2, s1, v4
	v_mul_hi_u32 v2, v4, v2
	v_add_u32_e32 v38, v4, v2
	v_and_b32_e32 v2, 60, v7
	v_lshl_add_u64 v[14:15], s[2:3], 0, v[2:3]
	v_lshlrev_b32_e32 v2, 4, v10
	v_lshl_or_b32 v2, v33, 6, v2
	s_mov_b32 s2, s0
	s_mov_b32 s3, s0
	v_add_u32_e32 v39, 0x110, v2
	s_mov_b32 s1, s0
	v_mov_b64_e32 v[4:5], s[2:3]
	s_mov_b32 s21, s17
	s_mov_b64 s[10:11], 0
	v_mov_b64_e32 v[2:3], s[0:1]
	s_branch .LBB183_48
.LBB183_46:                             ;   in Loop: Header=BB183_48 Depth=1
	s_or_b64 exec, exec, s[0:1]
	v_mul_f32_e32 v19, v7, v19
	v_fmac_f32_e32 v19, v6, v18
	v_fmac_f32_e32 v19, v8, v16
	v_mul_f32_e32 v16, v7, v25
	v_fmac_f32_e32 v16, v6, v24
	v_fmac_f32_e32 v16, v8, v22
	;; [unrolled: 1-line block ×3, first 2 shown]
	v_add_f32_e32 v3, v3, v16
	v_mul_f32_e32 v16, v7, v29
	v_mul_f32_e32 v7, v7, v31
	v_fmac_f32_e32 v16, v6, v28
	v_fmac_f32_e32 v7, v6, v30
	;; [unrolled: 1-line block ×7, first 2 shown]
	v_add_f32_e32 v2, v2, v19
	v_add_f32_e32 v4, v4, v16
	;; [unrolled: 1-line block ×3, first 2 shown]
.LBB183_47:                             ;   in Loop: Header=BB183_48 Depth=1
	s_or_b64 exec, exec, s[2:3]
	v_add_u32_e32 v33, 2, v33
	v_cmp_le_i32_e32 vcc, s44, v33
	v_lshl_add_u64 v[14:15], v[14:15], 0, 8
	v_add_u32_e32 v34, 32, v34
	s_or_b64 s[10:11], vcc, s[10:11]
	v_add_u32_e32 v39, 0x80, v39
	s_andn2_b64 exec, exec, s[10:11]
	s_cbranch_execz .LBB183_57
.LBB183_48:                             ; =>This Inner Loop Header: Depth=1
	v_mul_hi_u32 v6, v34, s33
	v_mul_lo_u32 v7, v6, s27
	v_sub_u32_e32 v7, v34, v7
	v_add_u32_e32 v8, 1, v6
	v_cmp_le_u32_e32 vcc, s27, v7
	s_nop 1
	v_cndmask_b32_e32 v6, v6, v8, vcc
	v_subrev_u32_e32 v8, s27, v7
	v_cndmask_b32_e32 v7, v7, v8, vcc
	v_add_u32_e32 v8, 1, v6
	v_cmp_le_u32_e32 vcc, s27, v7
	s_nop 1
	v_cndmask_b32_e32 v6, v6, v8, vcc
	v_xor_b32_e32 v6, s23, v6
	v_subrev_u32_e32 v6, s23, v6
	v_add_u32_e32 v7, s38, v6
	v_sub_u32_e32 v9, 0, v7
	v_ashrrev_i32_e32 v8, 31, v7
	v_max_i32_e32 v7, v7, v9
	v_mul_hi_u32 v9, v7, v38
	v_mul_lo_u32 v9, v9, s19
	v_sub_u32_e32 v7, v7, v9
	v_subrev_u32_e32 v9, s19, v7
	v_cmp_le_u32_e32 vcc, s19, v7
	v_cmp_lt_i32_e64 s[0:1], s18, v6
	s_nop 0
	v_cndmask_b32_e32 v7, v7, v9, vcc
	v_subrev_u32_e32 v9, s19, v7
	v_cmp_le_u32_e32 vcc, s19, v7
	s_nop 1
	v_cndmask_b32_e32 v7, v7, v9, vcc
	v_xor_b32_e32 v7, v7, v8
	v_sub_u32_e32 v7, v7, v8
	v_cmp_eq_u32_e32 vcc, 0, v7
	s_or_b64 s[0:1], vcc, s[0:1]
	s_and_saveexec_b64 s[2:3], s[0:1]
	s_cbranch_execz .LBB183_47
; %bb.49:                               ;   in Loop: Header=BB183_48 Depth=1
	global_load_dword v6, v[14:15], off
	s_load_dword s12, s[14:15], 0x0
	v_add_u32_e32 v40, v37, v34
	v_cmp_eq_u32_e32 vcc, s22, v33
	v_add_u32_e32 v42, 1, v40
	v_add_u32_e32 v41, 2, v40
	;; [unrolled: 1-line block ×3, first 2 shown]
	s_waitcnt vmcnt(0)
	v_mad_i64_i32 v[20:21], s[0:1], v6, s21, v[12:13]
	global_load_dword v16, v[20:21], off
	ds_read_b128 v[6:9], v39
	s_waitcnt vmcnt(0)
	v_and_b32_e32 v17, 0xffff, v16
	v_lshrrev_b32_e32 v18, 16, v16
	v_cvt_pk_f32_fp8_e32 v[16:17], v17
	v_cvt_pk_f32_fp8_e32 v[22:23], v18
	s_waitcnt lgkmcnt(0)
	v_pk_mul_f32 v[18:19], s[12:13], v[16:17] op_sel_hi:[0,1]
	v_pk_mul_f32 v[16:17], s[12:13], v[22:23] op_sel_hi:[0,1]
	s_and_saveexec_b64 s[16:17], vcc
; %bb.50:                               ;   in Loop: Header=BB183_48 Depth=1
	v_cmp_gt_i32_e64 s[0:1], s25, v40
	s_nop 1
	v_cndmask_b32_e64 v18, 0, v18, s[0:1]
	v_cmp_gt_i32_e64 s[0:1], s25, v42
	s_nop 1
	v_cndmask_b32_e64 v19, 0, v19, s[0:1]
	;; [unrolled: 3-line block ×4, first 2 shown]
; %bb.51:                               ;   in Loop: Header=BB183_48 Depth=1
	s_or_b64 exec, exec, s[16:17]
	global_load_dword v22, v[20:21], off offset:256
	s_mov_b32 s13, s12
	s_waitcnt vmcnt(0)
	v_and_b32_e32 v23, 0xffff, v22
	v_lshrrev_b32_e32 v24, 16, v22
	v_cvt_pk_f32_fp8_e32 v[22:23], v23
	v_cvt_pk_f32_fp8_e32 v[26:27], v24
	v_pk_mul_f32 v[24:25], s[12:13], v[22:23]
	v_pk_mul_f32 v[22:23], s[12:13], v[26:27]
	s_and_saveexec_b64 s[16:17], vcc
; %bb.52:                               ;   in Loop: Header=BB183_48 Depth=1
	v_cmp_gt_i32_e64 s[0:1], s25, v40
	s_nop 1
	v_cndmask_b32_e64 v24, 0, v24, s[0:1]
	v_cmp_gt_i32_e64 s[0:1], s25, v42
	s_nop 1
	v_cndmask_b32_e64 v25, 0, v25, s[0:1]
	;; [unrolled: 3-line block ×4, first 2 shown]
; %bb.53:                               ;   in Loop: Header=BB183_48 Depth=1
	s_or_b64 exec, exec, s[16:17]
	global_load_dword v26, v[20:21], off offset:512
	s_waitcnt vmcnt(0)
	v_and_b32_e32 v27, 0xffff, v26
	v_lshrrev_b32_e32 v28, 16, v26
	v_cvt_pk_f32_fp8_e32 v[26:27], v27
	v_cvt_pk_f32_fp8_e32 v[30:31], v28
	v_pk_mul_f32 v[28:29], s[12:13], v[26:27]
	v_pk_mul_f32 v[26:27], s[12:13], v[30:31]
	s_and_saveexec_b64 s[16:17], vcc
; %bb.54:                               ;   in Loop: Header=BB183_48 Depth=1
	v_cmp_gt_i32_e64 s[0:1], s25, v40
	s_nop 1
	v_cndmask_b32_e64 v28, 0, v28, s[0:1]
	v_cmp_gt_i32_e64 s[0:1], s25, v42
	s_nop 1
	v_cndmask_b32_e64 v29, 0, v29, s[0:1]
	;; [unrolled: 3-line block ×4, first 2 shown]
; %bb.55:                               ;   in Loop: Header=BB183_48 Depth=1
	s_or_b64 exec, exec, s[16:17]
	global_load_dword v20, v[20:21], off offset:768
	s_waitcnt vmcnt(0)
	v_and_b32_e32 v21, 0xffff, v20
	v_lshrrev_b32_e32 v30, 16, v20
	v_cvt_pk_f32_fp8_e32 v[20:21], v21
	v_cvt_pk_f32_fp8_e32 v[44:45], v30
	v_pk_mul_f32 v[30:31], s[12:13], v[20:21]
	v_pk_mul_f32 v[20:21], s[12:13], v[44:45]
	s_and_saveexec_b64 s[0:1], vcc
	s_cbranch_execz .LBB183_46
; %bb.56:                               ;   in Loop: Header=BB183_48 Depth=1
	v_cmp_gt_i32_e32 vcc, s25, v40
	s_nop 1
	v_cndmask_b32_e32 v30, 0, v30, vcc
	v_cmp_gt_i32_e32 vcc, s25, v42
	s_nop 1
	v_cndmask_b32_e32 v31, 0, v31, vcc
	v_cmp_gt_i32_e32 vcc, s25, v41
	s_nop 1
	v_cndmask_b32_e32 v20, 0, v20, vcc
	v_cmp_gt_i32_e32 vcc, s25, v43
	s_nop 1
	v_cndmask_b32_e32 v21, 0, v21, vcc
	s_branch .LBB183_46
.LBB183_57:
	s_or_b64 exec, exec, s[10:11]
.LBB183_58:
	s_or_b64 exec, exec, s[8:9]
	ds_bpermute_b32 v6, v36, v2
	ds_bpermute_b32 v7, v36, v3
	;; [unrolled: 1-line block ×4, first 2 shown]
	v_and_b32_e32 v0, 0x3c3, v0
	v_cmp_eq_u32_e32 vcc, 64, v0
	s_waitcnt lgkmcnt(2)
	v_pk_add_f32 v[2:3], v[2:3], v[6:7]
	ds_bpermute_b32 v6, v35, v2
	s_waitcnt lgkmcnt(1)
	v_pk_add_f32 v[4:5], v[4:5], v[8:9]
	ds_bpermute_b32 v7, v35, v3
	ds_bpermute_b32 v8, v35, v4
	;; [unrolled: 1-line block ×3, first 2 shown]
	s_waitcnt lgkmcnt(0)
	s_barrier
	v_pk_add_f32 v[2:3], v[2:3], v[6:7]
	v_pk_add_f32 v[4:5], v[4:5], v[8:9]
	s_and_saveexec_b64 s[0:1], vcc
	s_cbranch_execz .LBB183_60
; %bb.59:
	v_add_u32_e32 v6, 0x110, v11
	ds_write2_b32 v6, v2, v3 offset1:16
	ds_write2_b32 v6, v4, v5 offset0:32 offset1:48
.LBB183_60:
	s_or_b64 exec, exec, s[0:1]
	s_waitcnt lgkmcnt(0)
	s_barrier
	s_and_saveexec_b64 s[0:1], s[6:7]
	s_cbranch_execz .LBB183_67
; %bb.61:
	v_cmp_eq_u32_e32 vcc, 0, v10
	s_and_saveexec_b64 s[2:3], vcc
	s_cbranch_execnz .LBB183_70
; %bb.62:
	s_or_b64 exec, exec, s[2:3]
	s_and_saveexec_b64 s[2:3], vcc
	s_cbranch_execnz .LBB183_71
.LBB183_63:
	s_or_b64 exec, exec, s[2:3]
	s_and_saveexec_b64 s[2:3], vcc
	s_cbranch_execnz .LBB183_72
.LBB183_64:
	s_or_b64 exec, exec, s[2:3]
	s_and_saveexec_b64 s[2:3], vcc
	s_cbranch_execz .LBB183_66
.LBB183_65:
	v_mov_b32_e32 v6, 0x110
	v_lshl_add_u32 v6, v32, 2, v6
	ds_read_b32 v6, v6 offset:192
	s_waitcnt lgkmcnt(0)
	v_add_f32_e32 v5, v5, v6
.LBB183_66:
	s_or_b64 exec, exec, s[2:3]
.LBB183_67:
	s_or_b64 exec, exec, s[0:1]
	v_cmp_eq_u32_e32 vcc, 0, v0
	s_barrier
	s_and_saveexec_b64 s[0:1], vcc
	s_cbranch_execz .LBB183_69
; %bb.68:
	s_mul_i32 s0, s24, s20
	s_mul_i32 s0, s0, s5
	s_lshl_b32 s0, s0, 6
	s_ashr_i32 s1, s0, 31
	s_lshl_b64 s[0:1], s[0:1], 2
	s_add_u32 s2, s28, s0
	s_mul_i32 s0, s20, s26
	s_addc_u32 s3, s29, s1
	s_ashr_i32 s1, s0, 31
	s_lshl_b64 s[0:1], s[0:1], 2
	s_add_u32 s2, s2, s0
	s_addc_u32 s3, s3, s1
	s_lshl_b32 s0, s4, 6
	s_ashr_i32 s1, s0, 31
	s_lshl_b64 s[0:1], s[0:1], 2
	s_add_u32 s0, s2, s0
	s_addc_u32 s1, s3, s1
	global_store_dword v1, v2, s[0:1]
	global_store_dword v1, v3, s[0:1] offset:64
	global_store_dword v1, v4, s[0:1] offset:128
	;; [unrolled: 1-line block ×3, first 2 shown]
.LBB183_69:
	s_endpgm
.LBB183_70:
	v_mov_b32_e32 v6, 0x110
	v_lshl_add_u32 v6, v32, 2, v6
	ds_read_b32 v6, v6
	s_waitcnt lgkmcnt(0)
	v_add_f32_e32 v2, v2, v6
	s_or_b64 exec, exec, s[2:3]
	s_and_saveexec_b64 s[2:3], vcc
	s_cbranch_execz .LBB183_63
.LBB183_71:
	v_mov_b32_e32 v6, 0x110
	v_lshl_add_u32 v6, v32, 2, v6
	ds_read_b32 v6, v6 offset:64
	s_waitcnt lgkmcnt(0)
	v_add_f32_e32 v3, v3, v6
	s_or_b64 exec, exec, s[2:3]
	s_and_saveexec_b64 s[2:3], vcc
	s_cbranch_execz .LBB183_64
.LBB183_72:
	v_mov_b32_e32 v6, 0x110
	v_lshl_add_u32 v6, v32, 2, v6
	ds_read_b32 v6, v6 offset:128
	s_waitcnt lgkmcnt(0)
	v_add_f32_e32 v4, v4, v6
	s_or_b64 exec, exec, s[2:3]
	s_and_saveexec_b64 s[2:3], vcc
	s_cbranch_execnz .LBB183_65
	s_branch .LBB183_66
	.section	.rodata,"a",@progbits
	.p2align	6, 0x0
	.amdhsa_kernel _ZN4vllm25paged_attention_v1_kernelIfhLi64ELi16ELi128ELNS_18Fp8KVCacheDataTypeE1ELb1EEEvPT_PKS2_PKT0_S8_ifPKiSA_iPKfiiiSC_SC_iiiii
		.amdhsa_group_segment_fixed_size 272
		.amdhsa_private_segment_fixed_size 0
		.amdhsa_kernarg_size 384
		.amdhsa_user_sgpr_count 2
		.amdhsa_user_sgpr_dispatch_ptr 0
		.amdhsa_user_sgpr_queue_ptr 0
		.amdhsa_user_sgpr_kernarg_segment_ptr 1
		.amdhsa_user_sgpr_dispatch_id 0
		.amdhsa_user_sgpr_kernarg_preload_length 0
		.amdhsa_user_sgpr_kernarg_preload_offset 0
		.amdhsa_user_sgpr_private_segment_size 0
		.amdhsa_uses_dynamic_stack 0
		.amdhsa_enable_private_segment 0
		.amdhsa_system_sgpr_workgroup_id_x 1
		.amdhsa_system_sgpr_workgroup_id_y 1
		.amdhsa_system_sgpr_workgroup_id_z 1
		.amdhsa_system_sgpr_workgroup_info 0
		.amdhsa_system_vgpr_workitem_id 0
		.amdhsa_next_free_vgpr 60
		.amdhsa_next_free_sgpr 50
		.amdhsa_accum_offset 60
		.amdhsa_reserve_vcc 1
		.amdhsa_float_round_mode_32 0
		.amdhsa_float_round_mode_16_64 0
		.amdhsa_float_denorm_mode_32 3
		.amdhsa_float_denorm_mode_16_64 3
		.amdhsa_dx10_clamp 1
		.amdhsa_ieee_mode 1
		.amdhsa_fp16_overflow 0
		.amdhsa_tg_split 0
		.amdhsa_exception_fp_ieee_invalid_op 0
		.amdhsa_exception_fp_denorm_src 0
		.amdhsa_exception_fp_ieee_div_zero 0
		.amdhsa_exception_fp_ieee_overflow 0
		.amdhsa_exception_fp_ieee_underflow 0
		.amdhsa_exception_fp_ieee_inexact 0
		.amdhsa_exception_int_div_zero 0
	.end_amdhsa_kernel
	.section	.text._ZN4vllm25paged_attention_v1_kernelIfhLi64ELi16ELi128ELNS_18Fp8KVCacheDataTypeE1ELb1EEEvPT_PKS2_PKT0_S8_ifPKiSA_iPKfiiiSC_SC_iiiii,"axG",@progbits,_ZN4vllm25paged_attention_v1_kernelIfhLi64ELi16ELi128ELNS_18Fp8KVCacheDataTypeE1ELb1EEEvPT_PKS2_PKT0_S8_ifPKiSA_iPKfiiiSC_SC_iiiii,comdat
.Lfunc_end183:
	.size	_ZN4vllm25paged_attention_v1_kernelIfhLi64ELi16ELi128ELNS_18Fp8KVCacheDataTypeE1ELb1EEEvPT_PKS2_PKT0_S8_ifPKiSA_iPKfiiiSC_SC_iiiii, .Lfunc_end183-_ZN4vllm25paged_attention_v1_kernelIfhLi64ELi16ELi128ELNS_18Fp8KVCacheDataTypeE1ELb1EEEvPT_PKS2_PKT0_S8_ifPKiSA_iPKfiiiSC_SC_iiiii
                                        ; -- End function
	.section	.AMDGPU.csdata,"",@progbits
; Kernel info:
; codeLenInByte = 4932
; NumSgprs: 56
; NumVgprs: 60
; NumAgprs: 0
; TotalNumVgprs: 60
; ScratchSize: 0
; MemoryBound: 0
; FloatMode: 240
; IeeeMode: 1
; LDSByteSize: 272 bytes/workgroup (compile time only)
; SGPRBlocks: 6
; VGPRBlocks: 7
; NumSGPRsForWavesPerEU: 56
; NumVGPRsForWavesPerEU: 60
; AccumOffset: 60
; Occupancy: 8
; WaveLimiterHint : 1
; COMPUTE_PGM_RSRC2:SCRATCH_EN: 0
; COMPUTE_PGM_RSRC2:USER_SGPR: 2
; COMPUTE_PGM_RSRC2:TRAP_HANDLER: 0
; COMPUTE_PGM_RSRC2:TGID_X_EN: 1
; COMPUTE_PGM_RSRC2:TGID_Y_EN: 1
; COMPUTE_PGM_RSRC2:TGID_Z_EN: 1
; COMPUTE_PGM_RSRC2:TIDIG_COMP_CNT: 0
; COMPUTE_PGM_RSRC3_GFX90A:ACCUM_OFFSET: 14
; COMPUTE_PGM_RSRC3_GFX90A:TG_SPLIT: 0
	.section	.text._ZN4vllm25paged_attention_v1_kernelIfhLi80ELi16ELi128ELNS_18Fp8KVCacheDataTypeE1ELb1EEEvPT_PKS2_PKT0_S8_ifPKiSA_iPKfiiiSC_SC_iiiii,"axG",@progbits,_ZN4vllm25paged_attention_v1_kernelIfhLi80ELi16ELi128ELNS_18Fp8KVCacheDataTypeE1ELb1EEEvPT_PKS2_PKT0_S8_ifPKiSA_iPKfiiiSC_SC_iiiii,comdat
	.protected	_ZN4vllm25paged_attention_v1_kernelIfhLi80ELi16ELi128ELNS_18Fp8KVCacheDataTypeE1ELb1EEEvPT_PKS2_PKT0_S8_ifPKiSA_iPKfiiiSC_SC_iiiii ; -- Begin function _ZN4vllm25paged_attention_v1_kernelIfhLi80ELi16ELi128ELNS_18Fp8KVCacheDataTypeE1ELb1EEEvPT_PKS2_PKT0_S8_ifPKiSA_iPKfiiiSC_SC_iiiii
	.globl	_ZN4vllm25paged_attention_v1_kernelIfhLi80ELi16ELi128ELNS_18Fp8KVCacheDataTypeE1ELb1EEEvPT_PKS2_PKT0_S8_ifPKiSA_iPKfiiiSC_SC_iiiii
	.p2align	8
	.type	_ZN4vllm25paged_attention_v1_kernelIfhLi80ELi16ELi128ELNS_18Fp8KVCacheDataTypeE1ELb1EEEvPT_PKS2_PKT0_S8_ifPKiSA_iPKfiiiSC_SC_iiiii,@function
_ZN4vllm25paged_attention_v1_kernelIfhLi80ELi16ELi128ELNS_18Fp8KVCacheDataTypeE1ELb1EEEvPT_PKS2_PKT0_S8_ifPKiSA_iPKfiiiSC_SC_iiiii: ; @_ZN4vllm25paged_attention_v1_kernelIfhLi80ELi16ELi128ELNS_18Fp8KVCacheDataTypeE1ELb1EEEvPT_PKS2_PKT0_S8_ifPKiSA_iPKfiiiSC_SC_iiiii
; %bb.0:
	s_load_dword s5, s[0:1], 0x80
	s_load_dwordx2 s[6:7], s[0:1], 0x30
	s_load_dwordx2 s[36:37], s[0:1], 0x20
	s_mov_b32 s24, s3
	s_ashr_i32 s25, s3, 31
	s_lshl_b64 s[8:9], s[24:25], 2
	s_waitcnt lgkmcnt(0)
	s_add_u32 s6, s6, s8
	s_addc_u32 s7, s7, s9
	s_abs_i32 s3, s36
	v_cvt_f32_u32_e32 v1, s3
	s_sub_i32 s10, 0, s3
	s_abs_i32 s9, s5
	s_xor_b32 s8, s5, s36
	v_rcp_iflag_f32_e32 v1, v1
	s_ashr_i32 s8, s8, 31
	s_mov_b32 s44, 0
	v_mul_f32_e32 v1, 0x4f7ffffe, v1
	v_cvt_u32_f32_e32 v1, v1
	s_nop 0
	v_readfirstlane_b32 s11, v1
	s_mul_i32 s10, s10, s11
	s_mul_hi_u32 s10, s11, s10
	s_add_i32 s11, s11, s10
	s_mul_hi_u32 s10, s9, s11
	s_mul_i32 s11, s10, s3
	s_sub_i32 s9, s9, s11
	s_add_i32 s11, s10, 1
	s_sub_i32 s12, s9, s3
	s_cmp_ge_u32 s9, s3
	s_cselect_b32 s10, s11, s10
	s_cselect_b32 s9, s12, s9
	s_add_i32 s11, s10, 1
	s_cmp_ge_u32 s9, s3
	s_cselect_b32 s3, s11, s10
	s_xor_b32 s3, s3, s8
	s_sub_i32 s13, s3, s8
	s_abs_i32 s10, s13
	v_cvt_f32_u32_e32 v1, s10
	s_load_dwordx2 s[8:9], s[0:1], 0x40
	s_sub_i32 s3, 0, s10
	s_abs_i32 s11, s2
	v_rcp_iflag_f32_e32 v1, v1
	s_nop 0
	v_mul_f32_e32 v1, 0x4f7ffffe, v1
	v_cvt_u32_f32_e32 v1, v1
	s_nop 0
	v_readfirstlane_b32 s12, v1
	s_mul_i32 s3, s3, s12
	s_mul_hi_u32 s3, s12, s3
	s_add_i32 s12, s12, s3
	s_waitcnt lgkmcnt(0)
	s_cmp_eq_u64 s[8:9], 0
	s_mul_hi_u32 s12, s11, s12
	s_cbranch_scc1 .LBB184_2
; %bb.1:
	s_ashr_i32 s3, s2, 31
	s_lshl_b64 s[14:15], s[2:3], 2
	s_add_u32 s8, s8, s14
	s_addc_u32 s9, s9, s15
	s_load_dword s44, s[8:9], 0x0
.LBB184_2:
	s_load_dword s25, s[6:7], 0x0
	s_load_dwordx4 s[16:19], s[0:1], 0x48
	v_lshrrev_b32_e32 v38, 2, v0
	s_movk_i32 s3, 0x50
	s_ashr_i32 s8, s2, 31
	s_ashr_i32 s9, s13, 31
	v_and_b32_e32 v12, 3, v0
	s_mul_i32 s26, s2, 0x50
	v_cmp_gt_u32_e32 vcc, s3, v0
	v_lshlrev_b32_e32 v8, 2, v0
	v_lshlrev_b32_e32 v1, 2, v38
	s_and_saveexec_b64 s[6:7], vcc
	s_cbranch_execz .LBB184_4
; %bb.3:
	s_load_dwordx2 s[14:15], s[0:1], 0x8
	s_waitcnt lgkmcnt(0)
	s_mul_i32 s20, s24, s16
	s_ashr_i32 s21, s20, 31
	s_lshl_b64 s[20:21], s[20:21], 2
	v_mad_u32_u24 v3, v12, s3, v1
	s_add_u32 s13, s14, s20
	s_addc_u32 s16, s15, s21
	s_ashr_i32 s27, s26, 31
	s_lshl_b64 s[14:15], s[26:27], 2
	s_add_u32 s14, s13, s14
	s_addc_u32 s15, s16, s15
	global_load_dword v2, v8, s[14:15]
	s_waitcnt vmcnt(0)
	ds_write_b32 v3, v2
.LBB184_4:
	s_or_b64 exec, exec, s[6:7]
	s_mul_i32 s7, s12, s10
	s_sub_i32 s7, s11, s7
	s_xor_b32 s6, s8, s9
	s_add_i32 s8, s12, 1
	s_sub_i32 s9, s7, s10
	s_load_dwordx4 s[20:23], s[0:1], 0x68
	s_load_dword s3, s[0:1], 0x78
	s_cmp_ge_u32 s7, s10
	s_cselect_b32 s8, s8, s12
	s_cselect_b32 s7, s9, s7
	s_add_i32 s9, s8, 1
	s_cmp_ge_u32 s7, s10
	s_cselect_b32 s7, s9, s8
	s_waitcnt lgkmcnt(0)
	s_abs_i32 s27, s23
	v_cvt_f32_u32_e32 v2, s27
	s_xor_b32 s7, s7, s6
	s_sub_i32 s43, s7, s6
	s_sub_i32 s6, 0, s27
	v_rcp_iflag_f32_e32 v2, v2
	s_add_i32 s12, s25, -1
	s_abs_i32 s8, s12
	v_mul_f32_e32 v2, 0x4f7ffffe, v2
	v_cvt_u32_f32_e32 v2, v2
	s_barrier
	v_readfirstlane_b32 s33, v2
	s_mul_i32 s6, s6, s33
	s_mul_hi_u32 s6, s33, s6
	s_add_i32 s33, s33, s6
	s_cmp_lt_i32 s3, 0
	s_mul_hi_u32 s9, s8, s33
	s_cbranch_scc0 .LBB184_6
; %bb.5:
	s_mul_i32 s6, s20, s36
	s_add_i32 s6, s43, s6
	s_mul_i32 s6, s6, s3
	s_sub_i32 s36, 1, s6
	s_mov_b64 s[6:7], 0
	s_branch .LBB184_7
.LBB184_6:
	s_mov_b64 s[6:7], -1
                                        ; implicit-def: $sgpr36
.LBB184_7:
	s_load_dwordx2 s[10:11], s[0:1], 0x28
	s_ashr_i32 s19, s12, 31
	s_andn2_b64 vcc, exec, s[6:7]
	s_ashr_i32 s23, s23, 31
	s_cbranch_vccnz .LBB184_9
; %bb.8:
	s_mul_i32 s6, s5, s20
	s_add_i32 s2, s6, s2
	s_mul_i32 s2, s2, s3
	s_add_i32 s36, s2, 1
.LBB184_9:
	s_load_dword s2, s[0:1], 0x38
	s_load_dwordx2 s[28:29], s[0:1], 0x0
	s_load_dwordx2 s[34:35], s[0:1], 0x18
	s_load_dword s16, s[0:1], 0x88
	s_load_dwordx4 s[12:15], s[0:1], 0x58
	s_mul_i32 s3, s9, s27
	s_waitcnt lgkmcnt(0)
	s_mul_i32 s30, s24, s2
	s_sub_i32 s3, s8, s3
	s_ashr_i32 s31, s30, 31
	s_xor_b32 s2, s19, s23
	s_add_i32 s6, s9, 1
	s_sub_i32 s7, s3, s27
	s_cmp_ge_u32 s3, s27
	s_cselect_b32 s6, s6, s9
	s_cselect_b32 s3, s7, s3
	s_add_i32 s7, s6, 1
	s_cmp_ge_u32 s3, s27
	s_cselect_b32 s3, s7, s6
	s_xor_b32 s3, s3, s2
	s_sub_i32 s42, s3, s2
	s_add_i32 s2, s25, 15
	s_ashr_i32 s3, s2, 31
	s_lshr_b32 s3, s3, 28
	s_add_i32 s2, s2, s3
	s_ashr_i32 s20, s2, 4
	v_lshrrev_b32_e32 v7, 6, v0
	v_cmp_gt_i32_e64 s[6:7], s20, v7
	v_mov_b32_e32 v14, 0xff7fffff
	s_mul_i32 s43, s43, s18
	v_lshrrev_b32_e32 v9, 4, v0
	v_lshlrev_b32_e32 v39, 4, v7
	v_mbcnt_lo_u32_b32 v6, -1, 0
	s_and_saveexec_b64 s[18:19], s[6:7]
	s_cbranch_execz .LBB184_19
; %bb.10:
	s_load_dwordx2 s[0:1], s[0:1], 0x10
	s_sub_i32 s45, s42, s21
	s_ashr_i32 s2, s43, 31
	v_bfe_u32 v10, v0, 2, 4
	v_mov_b32_e32 v5, 0
	s_waitcnt lgkmcnt(0)
	s_add_u32 s0, s0, s43
	s_addc_u32 s1, s1, s2
	s_abs_i32 s46, s22
	v_cvt_f32_u32_e32 v2, s46
	v_lshlrev_b32_e32 v4, 4, v10
	v_mbcnt_hi_u32_b32 v20, -1, v6
	v_cmp_eq_u32_e32 vcc, 0, v12
	v_rcp_iflag_f32_e32 v2, v2
	s_mov_b32 s47, s17
	v_mul_u32_u24_e32 v11, 0x50, v12
	v_cmp_neq_f32_e64 s[2:3], s44, 0
	v_mul_f32_e32 v2, 0x4f7ffffe, v2
	v_cvt_u32_f32_e32 v14, v2
	v_lshl_add_u64 v[2:3], s[0:1], 0, v[4:5]
	s_sub_i32 s0, 0, s46
	v_mov_b32_e32 v13, v5
	v_mul_lo_u32 v4, s0, v14
	v_mul_hi_u32 v4, v14, v4
	v_add_u32_e32 v15, v14, v4
	v_lshlrev_b32_e32 v14, 2, v10
	s_lshl_b64 s[0:1], s[30:31], 2
	v_lshl_or_b32 v14, v7, 6, v14
	s_add_u32 s0, s10, s0
	v_add_u32_e32 v17, 0x150, v14
	v_subrev_u32_e32 v14, s25, v10
	v_and_b32_e32 v4, 60, v9
	s_addc_u32 s1, s11, s1
	v_add_u32_e32 v18, 1, v14
	v_and_b32_e32 v14, 64, v20
	v_lshl_add_u64 v[4:5], s[0:1], 0, v[4:5]
	v_lshlrev_b32_e32 v16, 4, v7
	s_mov_b64 s[38:39], 0
	v_mov_b32_e32 v19, 0xff7fffff
	v_add_u32_e32 v21, 64, v14
	v_xor_b32_e32 v22, 2, v20
	v_xor_b32_e32 v23, 1, v20
	v_mov_b32_e32 v14, 0xff7fffff
	v_mov_b32_e32 v24, v7
	s_branch .LBB184_13
.LBB184_11:                             ;   in Loop: Header=BB184_13 Depth=1
	s_or_b64 exec, exec, s[40:41]
.LBB184_12:                             ;   in Loop: Header=BB184_13 Depth=1
	s_or_b64 exec, exec, s[8:9]
	v_add_u32_e32 v24, 2, v24
	v_cmp_le_i32_e64 s[0:1], s20, v24
	v_lshl_add_u64 v[4:5], v[4:5], 0, 8
	v_add_u32_e32 v16, 32, v16
	s_or_b64 s[38:39], s[0:1], s[38:39]
	v_add_u32_e32 v17, 0x80, v17
	s_andn2_b64 exec, exec, s[38:39]
	s_cbranch_execz .LBB184_18
.LBB184_13:                             ; =>This Inner Loop Header: Depth=1
	v_mul_hi_u32 v25, v16, s33
	s_waitcnt lgkmcnt(0)
	v_mul_lo_u32 v26, v25, s27
	v_sub_u32_e32 v26, v16, v26
	v_add_u32_e32 v27, 1, v25
	v_cmp_le_u32_e64 s[0:1], s27, v26
	s_nop 1
	v_cndmask_b32_e64 v25, v25, v27, s[0:1]
	v_subrev_u32_e32 v27, s27, v26
	v_cndmask_b32_e64 v26, v26, v27, s[0:1]
	v_add_u32_e32 v27, 1, v25
	v_cmp_le_u32_e64 s[0:1], s27, v26
	s_nop 1
	v_cndmask_b32_e64 v25, v25, v27, s[0:1]
	v_xor_b32_e32 v25, s23, v25
	v_subrev_u32_e32 v25, s23, v25
	v_add_u32_e32 v26, s36, v25
	v_sub_u32_e32 v28, 0, v26
	v_ashrrev_i32_e32 v27, 31, v26
	v_max_i32_e32 v26, v26, v28
	v_mul_hi_u32 v28, v26, v15
	v_mul_lo_u32 v28, v28, s46
	v_sub_u32_e32 v26, v26, v28
	v_subrev_u32_e32 v28, s46, v26
	v_cmp_le_u32_e64 s[0:1], s46, v26
	v_cmp_ge_i32_e64 s[8:9], s45, v25
	s_nop 0
	v_cndmask_b32_e64 v26, v26, v28, s[0:1]
	v_subrev_u32_e32 v28, s46, v26
	v_cmp_le_u32_e64 s[0:1], s46, v26
	s_nop 1
	v_cndmask_b32_e64 v26, v26, v28, s[0:1]
	v_xor_b32_e32 v26, v26, v27
	v_sub_u32_e32 v26, v26, v27
	v_cmp_ne_u32_e64 s[0:1], 0, v26
	s_and_b64 s[0:1], s[0:1], s[8:9]
	s_and_b64 s[40:41], vcc, s[0:1]
	s_and_saveexec_b64 s[8:9], s[40:41]
	s_cbranch_execz .LBB184_15
; %bb.14:                               ;   in Loop: Header=BB184_13 Depth=1
	ds_write_b32 v17, v19
.LBB184_15:                             ;   in Loop: Header=BB184_13 Depth=1
	s_or_b64 exec, exec, s[8:9]
	s_xor_b64 s[0:1], s[0:1], -1
	s_and_saveexec_b64 s[8:9], s[0:1]
	s_cbranch_execz .LBB184_12
; %bb.16:                               ;   in Loop: Header=BB184_13 Depth=1
	global_load_dword v25, v[4:5], off
	s_waitcnt vmcnt(0)
	v_mad_i64_i32 v[26:27], s[0:1], v25, s47, v[2:3]
	v_lshl_add_u64 v[26:27], v[26:27], 0, v[12:13]
	global_load_ubyte v25, v[26:27], off
	global_load_ubyte v48, v[26:27], off offset:4
	global_load_ubyte v49, v[26:27], off offset:8
	;; [unrolled: 1-line block ×19, first 2 shown]
	v_cmp_lt_i32_e64 s[0:1], v22, v21
	ds_read_b128 v[26:29], v11
	ds_read_b128 v[30:33], v11 offset:16
	ds_read_b128 v[34:37], v11 offset:32
	;; [unrolled: 1-line block ×4, first 2 shown]
	v_cndmask_b32_e64 v67, v20, v22, s[0:1]
	s_load_dword s0, s[12:13], 0x0
	v_lshlrev_b32_e32 v67, 2, v67
	s_waitcnt vmcnt(19)
	v_cvt_f32_fp8_sdwa v25, v25 src0_sel:BYTE_0
	s_waitcnt vmcnt(18)
	v_cvt_f32_fp8_sdwa v48, v48 src0_sel:BYTE_0
	;; [unrolled: 2-line block ×5, first 2 shown]
	s_waitcnt lgkmcnt(0)
	v_mul_f32_e32 v48, s0, v48
	s_waitcnt vmcnt(14)
	v_cvt_f32_fp8_sdwa v52, v52 src0_sel:BYTE_0
	v_mul_f32_e32 v25, s0, v25
	v_mul_f32_e32 v27, v27, v48
	s_waitcnt vmcnt(13)
	v_cvt_f32_fp8_sdwa v53, v53 src0_sel:BYTE_0
	v_mul_f32_e32 v49, s0, v49
	v_fmac_f32_e32 v27, v26, v25
	s_waitcnt vmcnt(12)
	v_cvt_f32_fp8_sdwa v54, v54 src0_sel:BYTE_0
	v_mul_f32_e32 v50, s0, v50
	v_fmac_f32_e32 v27, v28, v49
	s_waitcnt vmcnt(11)
	v_cvt_f32_fp8_sdwa v55, v55 src0_sel:BYTE_0
	v_mul_f32_e32 v51, s0, v51
	v_fmac_f32_e32 v27, v29, v50
	s_waitcnt vmcnt(10)
	v_cvt_f32_fp8_sdwa v56, v56 src0_sel:BYTE_0
	v_mul_f32_e32 v52, s0, v52
	v_fmac_f32_e32 v27, v30, v51
	s_waitcnt vmcnt(9)
	v_cvt_f32_fp8_sdwa v57, v57 src0_sel:BYTE_0
	v_mul_f32_e32 v53, s0, v53
	v_fmac_f32_e32 v27, v31, v52
	s_waitcnt vmcnt(8)
	v_cvt_f32_fp8_sdwa v58, v58 src0_sel:BYTE_0
	v_mul_f32_e32 v54, s0, v54
	v_fmac_f32_e32 v27, v32, v53
	s_waitcnt vmcnt(7)
	v_cvt_f32_fp8_sdwa v59, v59 src0_sel:BYTE_0
	v_mul_f32_e32 v55, s0, v55
	v_fmac_f32_e32 v27, v33, v54
	s_waitcnt vmcnt(6)
	v_cvt_f32_fp8_sdwa v60, v60 src0_sel:BYTE_0
	v_mul_f32_e32 v56, s0, v56
	v_fmac_f32_e32 v27, v34, v55
	s_waitcnt vmcnt(5)
	v_cvt_f32_fp8_sdwa v61, v61 src0_sel:BYTE_0
	v_mul_f32_e32 v57, s0, v57
	v_fmac_f32_e32 v27, v35, v56
	s_waitcnt vmcnt(4)
	v_cvt_f32_fp8_sdwa v62, v62 src0_sel:BYTE_0
	v_mul_f32_e32 v58, s0, v58
	v_fmac_f32_e32 v27, v36, v57
	s_waitcnt vmcnt(3)
	v_cvt_f32_fp8_sdwa v63, v63 src0_sel:BYTE_0
	v_mul_f32_e32 v59, s0, v59
	v_fmac_f32_e32 v27, v37, v58
	s_waitcnt vmcnt(2)
	v_cvt_f32_fp8_sdwa v64, v64 src0_sel:BYTE_0
	v_mul_f32_e32 v60, s0, v60
	v_fmac_f32_e32 v27, v40, v59
	s_waitcnt vmcnt(1)
	v_cvt_f32_fp8_sdwa v65, v65 src0_sel:BYTE_0
	v_mul_f32_e32 v61, s0, v61
	v_fmac_f32_e32 v27, v41, v60
	s_waitcnt vmcnt(0)
	v_cvt_f32_fp8_sdwa v66, v66 src0_sel:BYTE_0
	v_mul_f32_e32 v62, s0, v62
	v_fmac_f32_e32 v27, v42, v61
	v_mul_f32_e32 v63, s0, v63
	v_fmac_f32_e32 v27, v43, v62
	v_mul_f32_e32 v64, s0, v64
	v_fmac_f32_e32 v27, v44, v63
	;; [unrolled: 2-line block ×4, first 2 shown]
	v_fmac_f32_e32 v27, v47, v66
	ds_bpermute_b32 v25, v67, v27
	v_cmp_lt_i32_e64 s[0:1], v23, v21
	s_waitcnt lgkmcnt(0)
	v_add_f32_e32 v25, v27, v25
	v_cndmask_b32_e64 v26, v20, v23, s[0:1]
	v_lshlrev_b32_e32 v26, 2, v26
	ds_bpermute_b32 v26, v26, v25
	s_and_saveexec_b64 s[40:41], vcc
	s_cbranch_execz .LBB184_11
; %bb.17:                               ;   in Loop: Header=BB184_13 Depth=1
	v_add_u32_e32 v27, v18, v16
	v_cvt_f32_i32_e32 v27, v27
	s_waitcnt lgkmcnt(0)
	v_add_f32_e32 v25, v25, v26
	v_add_u32_e32 v28, v10, v16
	v_cmp_gt_i32_e64 s[0:1], s25, v28
	v_mul_f32_e32 v26, s44, v27
	v_cndmask_b32_e64 v26, 0, v26, s[2:3]
	v_fmac_f32_e32 v26, s37, v25
	v_cndmask_b32_e64 v25, 0, v26, s[0:1]
	ds_write_b32 v17, v25
	v_max_f32_e32 v25, v14, v14
	v_max_f32_e32 v25, v25, v26
	v_cndmask_b32_e64 v14, v14, v25, s[0:1]
	s_branch .LBB184_11
.LBB184_18:
	s_or_b64 exec, exec, s[38:39]
.LBB184_19:
	s_or_b64 exec, exec, s[18:19]
	v_mbcnt_hi_u32_b32 v2, -1, v6
	v_and_b32_e32 v3, 64, v2
	v_add_u32_e32 v3, 64, v3
	v_xor_b32_e32 v4, 32, v2
	v_cmp_lt_i32_e32 vcc, v4, v3
	v_xor_b32_e32 v10, 16, v2
	v_max_f32_e32 v6, v14, v14
	v_cndmask_b32_e32 v4, v2, v4, vcc
	v_lshlrev_b32_e32 v4, 2, v4
	ds_bpermute_b32 v5, v4, v14
	v_cmp_lt_i32_e32 vcc, v10, v3
	v_xor_b32_e32 v11, 8, v2
	v_xor_b32_e32 v13, 4, v2
	s_waitcnt lgkmcnt(0)
	v_max_f32_e32 v5, v5, v5
	v_max_f32_e32 v6, v6, v5
	v_cndmask_b32_e32 v5, v2, v10, vcc
	v_lshlrev_b32_e32 v5, 2, v5
	ds_bpermute_b32 v10, v5, v6
	v_cmp_lt_i32_e32 vcc, v11, v3
	s_waitcnt lgkmcnt(0)
	v_max_f32_e32 v10, v10, v10
	v_max_f32_e32 v6, v6, v10
	v_cndmask_b32_e32 v10, v2, v11, vcc
	v_lshlrev_b32_e32 v11, 2, v10
	ds_bpermute_b32 v10, v11, v6
	v_cmp_lt_i32_e32 vcc, v13, v3
	s_waitcnt lgkmcnt(0)
	v_max_f32_e32 v10, v10, v10
	v_max_f32_e32 v10, v6, v10
	v_cndmask_b32_e32 v6, v2, v13, vcc
	v_lshlrev_b32_e32 v14, 2, v6
	ds_bpermute_b32 v15, v14, v10
	v_and_b32_e32 v13, 63, v0
	v_cmp_eq_u32_e32 vcc, 0, v13
	v_lshlrev_b32_e32 v6, 2, v7
	s_and_saveexec_b64 s[0:1], vcc
	s_cbranch_execz .LBB184_21
; %bb.20:
	s_waitcnt lgkmcnt(0)
	v_max_f32_e32 v15, v15, v15
	v_max_f32_e32 v10, v10, v10
	;; [unrolled: 1-line block ×3, first 2 shown]
	ds_write_b32 v6, v10 offset:320
.LBB184_21:
	s_or_b64 exec, exec, s[0:1]
	v_cmp_gt_u32_e64 s[0:1], 2, v13
	s_waitcnt lgkmcnt(0)
	v_mov_b32_e32 v15, 0xff7fffff
	v_lshlrev_b32_e32 v10, 2, v13
	s_barrier
	s_and_saveexec_b64 s[2:3], s[0:1]
	s_cbranch_execz .LBB184_23
; %bb.22:
	ds_read_b32 v15, v10 offset:320
.LBB184_23:
	s_or_b64 exec, exec, s[2:3]
	v_xor_b32_e32 v16, 1, v2
	v_cmp_lt_i32_e64 s[2:3], v16, v3
	v_lshlrev_b32_e32 v17, 2, v2
	s_nop 0
	v_cndmask_b32_e64 v16, v2, v16, s[2:3]
	v_lshlrev_b32_e32 v40, 2, v16
	s_waitcnt lgkmcnt(0)
	ds_bpermute_b32 v16, v40, v15
	v_max_f32_e32 v15, v15, v15
	s_lshl_b32 s2, s20, 4
	s_min_i32 s37, s2, s25
	v_cmp_gt_i32_e64 s[2:3], s37, v0
	s_waitcnt lgkmcnt(0)
	v_max_f32_e32 v16, v16, v16
	v_max_f32_e32 v16, v15, v16
	v_and_b32_e32 v15, 0x100, v17
	ds_bpermute_b32 v17, v15, v16
	v_mov_b32_e32 v16, 0
	s_and_saveexec_b64 s[12:13], s[2:3]
	s_cbranch_execz .LBB184_27
; %bb.24:
	v_mov_b32_e32 v16, 0x150
	v_lshl_add_u32 v18, v0, 2, v16
	s_mov_b64 s[18:19], 0
	v_mov_b32_e32 v16, 0
	v_mov_b32_e32 v19, v0
.LBB184_25:                             ; =>This Inner Loop Header: Depth=1
	ds_read_b32 v20, v18
	v_add_u32_e32 v19, 0x80, v19
	v_cmp_le_i32_e64 s[8:9], s37, v19
	s_or_b64 s[18:19], s[8:9], s[18:19]
	s_waitcnt lgkmcnt(0)
	v_sub_f32_e32 v20, v20, v17
	v_mul_f32_e32 v20, 0x3fb8aa3b, v20
	v_exp_f32_e32 v20, v20
	ds_write_b32 v18, v20
	v_add_f32_e32 v16, v16, v20
	v_add_u32_e32 v18, 0x200, v18
	s_andn2_b64 exec, exec, s[18:19]
	s_cbranch_execnz .LBB184_25
; %bb.26:
	s_or_b64 exec, exec, s[18:19]
.LBB184_27:
	s_or_b64 exec, exec, s[12:13]
	ds_bpermute_b32 v4, v4, v16
	s_waitcnt lgkmcnt(0)
	v_add_f32_e32 v4, v16, v4
	ds_bpermute_b32 v5, v5, v4
	s_waitcnt lgkmcnt(0)
	v_add_f32_e32 v4, v4, v5
	ds_bpermute_b32 v5, v11, v4
	v_xor_b32_e32 v11, 2, v2
	v_cmp_lt_i32_e64 s[8:9], v11, v3
	s_waitcnt lgkmcnt(0)
	v_add_f32_e32 v4, v4, v5
	ds_bpermute_b32 v5, v14, v4
	v_cndmask_b32_e64 v2, v2, v11, s[8:9]
	v_lshlrev_b32_e32 v41, 2, v2
	s_waitcnt lgkmcnt(0)
	v_add_f32_e32 v3, v4, v5
	ds_bpermute_b32 v2, v41, v3
	s_waitcnt lgkmcnt(0)
	v_add_f32_e32 v2, v3, v2
	ds_bpermute_b32 v3, v40, v2
	s_waitcnt lgkmcnt(0)
	v_add_f32_e32 v2, v2, v3
	s_and_saveexec_b64 s[8:9], vcc
	s_cbranch_execz .LBB184_29
; %bb.28:
	ds_write_b32 v6, v2 offset:328
.LBB184_29:
	s_or_b64 exec, exec, s[8:9]
	s_waitcnt lgkmcnt(0)
	s_barrier
	s_and_saveexec_b64 s[8:9], s[0:1]
	s_cbranch_execz .LBB184_31
; %bb.30:
	ds_read_b32 v2, v10 offset:328
.LBB184_31:
	s_or_b64 exec, exec, s[8:9]
	s_waitcnt lgkmcnt(0)
	ds_bpermute_b32 v3, v40, v2
	s_waitcnt lgkmcnt(0)
	v_add_f32_e32 v2, v2, v3
	ds_bpermute_b32 v2, v15, v2
	s_and_saveexec_b64 s[0:1], s[2:3]
	s_cbranch_execz .LBB184_44
; %bb.32:
	s_waitcnt lgkmcnt(0)
	v_add_f32_e32 v2, 0x358637bd, v2
	v_div_scale_f32 v3, s[2:3], v2, v2, 1.0
	v_rcp_f32_e32 v4, v3
	v_div_scale_f32 v5, vcc, 1.0, v2, 1.0
	s_movk_i32 s2, 0x7f
	v_fma_f32 v6, -v3, v4, 1.0
	v_fmac_f32_e32 v4, v6, v4
	v_mul_f32_e32 v6, v5, v4
	v_fma_f32 v10, -v3, v6, v5
	v_fmac_f32_e32 v6, v10, v4
	v_fma_f32 v3, -v3, v6, v5
	v_div_fmas_f32 v3, v3, v4, v6
	v_xad_u32 v4, v0, -1, s37
	v_div_fixup_f32 v2, v3, v2, 1.0
	v_cmp_lt_u32_e32 vcc, s2, v4
	s_mov_b64 s[8:9], -1
	v_mov_b32_e32 v3, v0
	s_and_saveexec_b64 s[2:3], vcc
	s_cbranch_execz .LBB184_41
; %bb.33:
	v_lshrrev_b32_e32 v4, 7, v4
	v_add_u32_e32 v6, -1, v4
	v_lshrrev_b32_e32 v5, 1, v6
	v_mov_b32_e32 v3, v2
	v_add_u32_e32 v5, 1, v5
	v_cmp_lt_u32_e32 vcc, 13, v6
	v_mov_b32_e32 v11, 0
	s_and_saveexec_b64 s[8:9], vcc
	s_cbranch_execz .LBB184_37
; %bb.34:
	v_mov_b32_e32 v10, 0x150
	v_and_b32_e32 v6, -8, v5
	v_lshl_add_u32 v10, v0, 2, v10
	s_mov_b32 s18, 0
	s_mov_b64 s[12:13], 0
.LBB184_35:                             ; =>This Inner Loop Header: Depth=1
	ds_read2st64_b32 v[14:15], v10 offset1:2
	ds_read2st64_b32 v[16:17], v10 offset0:4 offset1:6
	ds_read2st64_b32 v[18:19], v10 offset0:8 offset1:10
	;; [unrolled: 1-line block ×3, first 2 shown]
	v_add_u32_e32 v6, -8, v6
	s_waitcnt lgkmcnt(3)
	v_pk_mul_f32 v[14:15], v[2:3], v[14:15]
	s_waitcnt lgkmcnt(2)
	v_pk_mul_f32 v[16:17], v[2:3], v[16:17]
	ds_write2st64_b32 v10, v14, v15 offset1:2
	ds_write2st64_b32 v10, v16, v17 offset0:4 offset1:6
	ds_read2st64_b32 v[16:17], v10 offset0:16 offset1:18
	s_waitcnt lgkmcnt(4)
	v_pk_mul_f32 v[14:15], v[2:3], v[18:19]
	ds_write2st64_b32 v10, v14, v15 offset0:8 offset1:10
	s_waitcnt lgkmcnt(4)
	v_pk_mul_f32 v[14:15], v[2:3], v[20:21]
	ds_write2st64_b32 v10, v14, v15 offset0:12 offset1:14
	ds_read2st64_b32 v[14:15], v10 offset0:20 offset1:22
	s_waitcnt lgkmcnt(3)
	v_pk_mul_f32 v[16:17], v[2:3], v[16:17]
	ds_read2st64_b32 v[18:19], v10 offset0:24 offset1:26
	ds_write2st64_b32 v10, v16, v17 offset0:16 offset1:18
	ds_read2st64_b32 v[16:17], v10 offset0:28 offset1:30
	s_waitcnt lgkmcnt(3)
	v_pk_mul_f32 v[14:15], v[2:3], v[14:15]
	ds_write2st64_b32 v10, v14, v15 offset0:20 offset1:22
	s_waitcnt lgkmcnt(3)
	v_pk_mul_f32 v[14:15], v[2:3], v[18:19]
	ds_write2st64_b32 v10, v14, v15 offset0:24 offset1:26
	s_waitcnt lgkmcnt(2)
	v_pk_mul_f32 v[14:15], v[2:3], v[16:17]
	s_add_i32 s18, s18, 16
	v_cmp_eq_u32_e32 vcc, 0, v6
	ds_write2st64_b32 v10, v14, v15 offset0:28 offset1:30
	v_add_u32_e32 v10, 0x2000, v10
	s_or_b64 s[12:13], vcc, s[12:13]
	v_mov_b32_e32 v11, s18
	s_andn2_b64 exec, exec, s[12:13]
	s_cbranch_execnz .LBB184_35
; %bb.36:
	s_or_b64 exec, exec, s[12:13]
.LBB184_37:
	s_or_b64 exec, exec, s[8:9]
	v_and_b32_e32 v5, 7, v5
	v_cmp_ne_u32_e32 vcc, 0, v5
	s_and_saveexec_b64 s[8:9], vcc
	s_cbranch_execz .LBB184_40
; %bb.38:
	v_lshlrev_b32_e32 v6, 9, v11
	s_movk_i32 s12, 0x150
	v_add3_u32 v6, v6, v8, s12
	s_mov_b64 s[12:13], 0
.LBB184_39:                             ; =>This Inner Loop Header: Depth=1
	ds_read2st64_b32 v[10:11], v6 offset1:2
	v_add_u32_e32 v5, -1, v5
	v_cmp_eq_u32_e32 vcc, 0, v5
	s_or_b64 s[12:13], vcc, s[12:13]
	s_waitcnt lgkmcnt(0)
	v_pk_mul_f32 v[10:11], v[2:3], v[10:11]
	ds_write2st64_b32 v6, v10, v11 offset1:2
	v_add_u32_e32 v6, 0x400, v6
	s_andn2_b64 exec, exec, s[12:13]
	s_cbranch_execnz .LBB184_39
.LBB184_40:
	s_or_b64 exec, exec, s[8:9]
	v_add_u32_e32 v4, 1, v4
	v_and_b32_e32 v5, 0x3fffffe, v4
	v_cmp_ne_u32_e32 vcc, v4, v5
	v_lshl_add_u32 v3, v5, 7, v0
	s_orn2_b64 s[8:9], vcc, exec
.LBB184_41:
	s_or_b64 exec, exec, s[2:3]
	s_and_b64 exec, exec, s[8:9]
	s_cbranch_execz .LBB184_44
; %bb.42:
	v_mov_b32_e32 v4, 0x150
	v_lshl_add_u32 v4, v3, 2, v4
	s_mov_b64 s[2:3], 0
.LBB184_43:                             ; =>This Inner Loop Header: Depth=1
	ds_read_b32 v5, v4
	v_add_u32_e32 v3, 0x80, v3
	v_cmp_le_i32_e32 vcc, s37, v3
	s_or_b64 s[2:3], vcc, s[2:3]
	s_waitcnt lgkmcnt(0)
	v_mul_f32_e32 v5, v2, v5
	ds_write_b32 v4, v5
	v_add_u32_e32 v4, 0x200, v4
	s_andn2_b64 exec, exec, s[2:3]
	s_cbranch_execnz .LBB184_43
.LBB184_44:
	s_or_b64 exec, exec, s[0:1]
	s_mov_b32 s8, 0
	v_mov_b32_e32 v6, 0
	v_mov_b32_e32 v5, 0
	;; [unrolled: 1-line block ×4, first 2 shown]
	s_waitcnt lgkmcnt(0)
	v_mov_b32_e32 v2, 0
	s_barrier
	s_and_saveexec_b64 s[2:3], s[6:7]
	s_cbranch_execz .LBB184_60
; %bb.45:
	s_sub_i32 s18, s42, s21
	s_ashr_i32 s1, s43, 31
	s_add_u32 s0, s34, s43
	s_addc_u32 s1, s35, s1
	s_abs_i32 s19, s22
	v_cvt_f32_u32_e32 v2, s19
	v_mov_b32_e32 v3, 0
	s_sub_i32 s6, 0, s19
	s_add_i32 s21, s20, -1
	v_rcp_iflag_f32_e32 v4, v2
	v_and_b32_e32 v2, 0xfc, v8
	v_lshl_add_u64 v[14:15], s[0:1], 0, v[2:3]
	s_lshl_b64 s[0:1], s[30:31], 2
	v_mul_f32_e32 v4, 0x4f7ffffe, v4
	v_cvt_u32_f32_e32 v4, v4
	s_add_u32 s0, s10, s0
	s_addc_u32 s1, s11, s1
	s_mov_b32 s9, s8
	v_mul_lo_u32 v2, s6, v4
	v_mul_hi_u32 v2, v4, v2
	v_add_u32_e32 v43, v4, v2
	v_and_b32_e32 v2, 60, v9
	v_lshl_add_u64 v[16:17], s[0:1], 0, v[2:3]
	v_lshlrev_b32_e32 v2, 4, v12
	v_lshl_or_b32 v2, v7, 6, v2
	v_add_u32_e32 v44, 0x150, v2
	s_mov_b32 s10, s8
	s_mov_b32 s11, s8
	;; [unrolled: 1-line block ×3, first 2 shown]
	v_mov_b32_e32 v2, s8
	v_and_b32_e32 v42, 12, v8
	s_mov_b64 s[6:7], 0
	v_mov_b32_e32 v3, s9
	v_mov_b32_e32 v4, s10
	;; [unrolled: 1-line block ×4, first 2 shown]
	s_branch .LBB184_48
.LBB184_46:                             ;   in Loop: Header=BB184_48 Depth=1
	s_or_b64 exec, exec, s[0:1]
	v_mul_f32_e32 v21, v9, v21
	v_fmac_f32_e32 v21, v8, v20
	v_fmac_f32_e32 v21, v10, v18
	v_mul_f32_e32 v18, v9, v27
	v_fmac_f32_e32 v18, v8, v26
	v_fmac_f32_e32 v18, v10, v24
	;; [unrolled: 1-line block ×3, first 2 shown]
	v_add_f32_e32 v3, v3, v18
	v_mul_f32_e32 v18, v9, v31
	v_fmac_f32_e32 v18, v8, v30
	v_fmac_f32_e32 v18, v10, v28
	;; [unrolled: 1-line block ×3, first 2 shown]
	v_add_f32_e32 v4, v4, v18
	v_mul_f32_e32 v18, v9, v35
	v_mul_f32_e32 v9, v9, v37
	v_fmac_f32_e32 v18, v8, v34
	v_fmac_f32_e32 v9, v8, v36
	;; [unrolled: 1-line block ×7, first 2 shown]
	v_add_f32_e32 v2, v2, v21
	v_add_f32_e32 v5, v5, v18
	;; [unrolled: 1-line block ×3, first 2 shown]
.LBB184_47:                             ;   in Loop: Header=BB184_48 Depth=1
	s_or_b64 exec, exec, s[8:9]
	v_add_u32_e32 v7, 2, v7
	v_cmp_le_i32_e32 vcc, s20, v7
	v_lshl_add_u64 v[16:17], v[16:17], 0, 8
	v_add_u32_e32 v39, 32, v39
	s_or_b64 s[6:7], vcc, s[6:7]
	v_add_u32_e32 v44, 0x80, v44
	s_andn2_b64 exec, exec, s[6:7]
	s_cbranch_execz .LBB184_59
.LBB184_48:                             ; =>This Inner Loop Header: Depth=1
	v_mul_hi_u32 v8, v39, s33
	v_mul_lo_u32 v9, v8, s27
	v_sub_u32_e32 v9, v39, v9
	v_add_u32_e32 v10, 1, v8
	v_cmp_le_u32_e32 vcc, s27, v9
	s_nop 1
	v_cndmask_b32_e32 v8, v8, v10, vcc
	v_subrev_u32_e32 v10, s27, v9
	v_cndmask_b32_e32 v9, v9, v10, vcc
	v_add_u32_e32 v10, 1, v8
	v_cmp_le_u32_e32 vcc, s27, v9
	s_nop 1
	v_cndmask_b32_e32 v8, v8, v10, vcc
	v_xor_b32_e32 v8, s23, v8
	v_subrev_u32_e32 v8, s23, v8
	v_add_u32_e32 v9, s36, v8
	v_sub_u32_e32 v11, 0, v9
	v_ashrrev_i32_e32 v10, 31, v9
	v_max_i32_e32 v9, v9, v11
	v_mul_hi_u32 v11, v9, v43
	v_mul_lo_u32 v11, v11, s19
	v_sub_u32_e32 v9, v9, v11
	v_subrev_u32_e32 v11, s19, v9
	v_cmp_le_u32_e32 vcc, s19, v9
	v_cmp_lt_i32_e64 s[0:1], s18, v8
	s_nop 0
	v_cndmask_b32_e32 v9, v9, v11, vcc
	v_subrev_u32_e32 v11, s19, v9
	v_cmp_le_u32_e32 vcc, s19, v9
	s_nop 1
	v_cndmask_b32_e32 v9, v9, v11, vcc
	v_xor_b32_e32 v9, v9, v10
	v_sub_u32_e32 v9, v9, v10
	v_cmp_eq_u32_e32 vcc, 0, v9
	s_or_b64 s[0:1], vcc, s[0:1]
	s_and_saveexec_b64 s[8:9], s[0:1]
	s_cbranch_execz .LBB184_47
; %bb.49:                               ;   in Loop: Header=BB184_48 Depth=1
	global_load_dword v8, v[16:17], off
	s_load_dword s10, s[14:15], 0x0
	v_add_u32_e32 v45, v42, v39
	v_cmp_eq_u32_e32 vcc, s21, v7
	v_add_u32_e32 v47, 1, v45
	v_add_u32_e32 v46, 2, v45
	;; [unrolled: 1-line block ×3, first 2 shown]
	s_waitcnt vmcnt(0)
	v_mad_i64_i32 v[22:23], s[0:1], v8, s17, v[14:15]
	global_load_dword v18, v[22:23], off
	ds_read_b128 v[8:11], v44
	s_waitcnt vmcnt(0)
	v_and_b32_e32 v19, 0xffff, v18
	v_lshrrev_b32_e32 v20, 16, v18
	v_cvt_pk_f32_fp8_e32 v[18:19], v19
	v_cvt_pk_f32_fp8_e32 v[24:25], v20
	s_waitcnt lgkmcnt(0)
	v_pk_mul_f32 v[20:21], s[10:11], v[18:19] op_sel_hi:[0,1]
	v_pk_mul_f32 v[18:19], s[10:11], v[24:25] op_sel_hi:[0,1]
	s_and_saveexec_b64 s[12:13], vcc
; %bb.50:                               ;   in Loop: Header=BB184_48 Depth=1
	v_cmp_gt_i32_e64 s[0:1], s25, v45
	s_nop 1
	v_cndmask_b32_e64 v20, 0, v20, s[0:1]
	v_cmp_gt_i32_e64 s[0:1], s25, v47
	s_nop 1
	v_cndmask_b32_e64 v21, 0, v21, s[0:1]
	;; [unrolled: 3-line block ×4, first 2 shown]
; %bb.51:                               ;   in Loop: Header=BB184_48 Depth=1
	s_or_b64 exec, exec, s[12:13]
	global_load_dword v24, v[22:23], off offset:256
	s_mov_b32 s11, s10
	s_waitcnt vmcnt(0)
	v_and_b32_e32 v25, 0xffff, v24
	v_lshrrev_b32_e32 v26, 16, v24
	v_cvt_pk_f32_fp8_e32 v[24:25], v25
	v_cvt_pk_f32_fp8_e32 v[28:29], v26
	v_pk_mul_f32 v[26:27], s[10:11], v[24:25]
	v_pk_mul_f32 v[24:25], s[10:11], v[28:29]
	s_and_saveexec_b64 s[12:13], vcc
; %bb.52:                               ;   in Loop: Header=BB184_48 Depth=1
	v_cmp_gt_i32_e64 s[0:1], s25, v45
	s_nop 1
	v_cndmask_b32_e64 v26, 0, v26, s[0:1]
	v_cmp_gt_i32_e64 s[0:1], s25, v47
	s_nop 1
	v_cndmask_b32_e64 v27, 0, v27, s[0:1]
	v_cmp_gt_i32_e64 s[0:1], s25, v46
	s_nop 1
	v_cndmask_b32_e64 v24, 0, v24, s[0:1]
	v_cmp_gt_i32_e64 s[0:1], s25, v48
	s_nop 1
	v_cndmask_b32_e64 v25, 0, v25, s[0:1]
; %bb.53:                               ;   in Loop: Header=BB184_48 Depth=1
	s_or_b64 exec, exec, s[12:13]
	global_load_dword v28, v[22:23], off offset:512
	s_waitcnt vmcnt(0)
	v_and_b32_e32 v29, 0xffff, v28
	v_lshrrev_b32_e32 v30, 16, v28
	v_cvt_pk_f32_fp8_e32 v[28:29], v29
	v_cvt_pk_f32_fp8_e32 v[32:33], v30
	v_pk_mul_f32 v[30:31], s[10:11], v[28:29]
	v_pk_mul_f32 v[28:29], s[10:11], v[32:33]
	s_and_saveexec_b64 s[12:13], vcc
; %bb.54:                               ;   in Loop: Header=BB184_48 Depth=1
	v_cmp_gt_i32_e64 s[0:1], s25, v45
	s_nop 1
	v_cndmask_b32_e64 v30, 0, v30, s[0:1]
	v_cmp_gt_i32_e64 s[0:1], s25, v47
	s_nop 1
	v_cndmask_b32_e64 v31, 0, v31, s[0:1]
	v_cmp_gt_i32_e64 s[0:1], s25, v46
	s_nop 1
	v_cndmask_b32_e64 v28, 0, v28, s[0:1]
	v_cmp_gt_i32_e64 s[0:1], s25, v48
	s_nop 1
	v_cndmask_b32_e64 v29, 0, v29, s[0:1]
; %bb.55:                               ;   in Loop: Header=BB184_48 Depth=1
	s_or_b64 exec, exec, s[12:13]
	global_load_dword v32, v[22:23], off offset:768
	;; [unrolled: 24-line block ×3, first 2 shown]
	s_waitcnt vmcnt(0)
	v_and_b32_e32 v23, 0xffff, v22
	v_lshrrev_b32_e32 v36, 16, v22
	v_cvt_pk_f32_fp8_e32 v[22:23], v23
	v_cvt_pk_f32_fp8_e32 v[50:51], v36
	v_pk_mul_f32 v[36:37], s[10:11], v[22:23]
	v_pk_mul_f32 v[22:23], s[10:11], v[50:51]
	s_and_saveexec_b64 s[0:1], vcc
	s_cbranch_execz .LBB184_46
; %bb.58:                               ;   in Loop: Header=BB184_48 Depth=1
	v_cmp_gt_i32_e32 vcc, s25, v45
	s_nop 1
	v_cndmask_b32_e32 v36, 0, v36, vcc
	v_cmp_gt_i32_e32 vcc, s25, v47
	s_nop 1
	v_cndmask_b32_e32 v37, 0, v37, vcc
	v_cmp_gt_i32_e32 vcc, s25, v46
	s_nop 1
	v_cndmask_b32_e32 v22, 0, v22, vcc
	v_cmp_gt_i32_e32 vcc, s25, v48
	s_nop 1
	v_cndmask_b32_e32 v23, 0, v23, vcc
	s_branch .LBB184_46
.LBB184_59:
	s_or_b64 exec, exec, s[6:7]
.LBB184_60:
	s_or_b64 exec, exec, s[2:3]
	ds_bpermute_b32 v8, v41, v2
	ds_bpermute_b32 v9, v41, v3
	;; [unrolled: 1-line block ×5, first 2 shown]
	s_waitcnt lgkmcnt(0)
	v_pk_add_f32 v[2:3], v[2:3], v[8:9]
	ds_bpermute_b32 v8, v40, v2
	v_pk_add_f32 v[4:5], v[4:5], v[10:11]
	ds_bpermute_b32 v9, v40, v3
	ds_bpermute_b32 v10, v40, v4
	;; [unrolled: 1-line block ×3, first 2 shown]
	v_add_f32_e32 v14, v6, v7
	ds_bpermute_b32 v15, v40, v14
	s_waitcnt lgkmcnt(3)
	v_pk_add_f32 v[6:7], v[2:3], v[8:9]
	s_barrier
	s_waitcnt lgkmcnt(1)
	v_pk_add_f32 v[2:3], v[4:5], v[10:11]
	v_and_b32_e32 v5, 0x3c3, v0
	s_waitcnt lgkmcnt(0)
	v_add_f32_e32 v4, v14, v15
	v_cmp_eq_u32_e32 vcc, 64, v5
	s_and_saveexec_b64 s[0:1], vcc
	s_cbranch_execz .LBB184_62
; %bb.61:
	v_add_u32_e32 v8, 0x150, v13
	ds_write2_b32 v8, v6, v7 offset1:16
	ds_write2_b32 v8, v2, v3 offset0:32 offset1:48
	ds_write_b32 v8, v4 offset:256
.LBB184_62:
	s_or_b64 exec, exec, s[0:1]
	v_cmp_gt_u32_e32 vcc, 64, v0
	s_waitcnt lgkmcnt(0)
	s_barrier
	s_and_saveexec_b64 s[0:1], vcc
	s_cbranch_execz .LBB184_70
; %bb.63:
	v_cmp_eq_u32_e32 vcc, 0, v12
	s_and_saveexec_b64 s[2:3], vcc
	s_cbranch_execnz .LBB184_73
; %bb.64:
	s_or_b64 exec, exec, s[2:3]
	s_and_saveexec_b64 s[2:3], vcc
	s_cbranch_execnz .LBB184_74
.LBB184_65:
	s_or_b64 exec, exec, s[2:3]
	s_and_saveexec_b64 s[2:3], vcc
	s_cbranch_execnz .LBB184_75
.LBB184_66:
	s_or_b64 exec, exec, s[2:3]
	s_and_saveexec_b64 s[2:3], vcc
	s_cbranch_execnz .LBB184_76
.LBB184_67:
	s_or_b64 exec, exec, s[2:3]
	s_and_saveexec_b64 s[2:3], vcc
	s_cbranch_execz .LBB184_69
.LBB184_68:
	v_mov_b32_e32 v0, 0x150
	v_lshl_add_u32 v0, v38, 2, v0
	ds_read_b32 v0, v0 offset:256
	s_waitcnt lgkmcnt(0)
	v_add_f32_e32 v4, v4, v0
.LBB184_69:
	s_or_b64 exec, exec, s[2:3]
.LBB184_70:
	s_or_b64 exec, exec, s[0:1]
	v_cmp_eq_u32_e32 vcc, 0, v5
	s_barrier
	s_and_saveexec_b64 s[0:1], vcc
	s_cbranch_execz .LBB184_72
; %bb.71:
	s_mul_i32 s0, s24, s16
	s_mul_i32 s0, s0, s5
	s_mulk_i32 s0, 0x50
	s_ashr_i32 s1, s0, 31
	s_lshl_b64 s[0:1], s[0:1], 2
	s_add_u32 s2, s28, s0
	s_mul_i32 s0, s16, s26
	s_addc_u32 s3, s29, s1
	s_ashr_i32 s1, s0, 31
	s_lshl_b64 s[0:1], s[0:1], 2
	s_add_u32 s2, s2, s0
	s_mul_i32 s0, s4, 0x50
	s_addc_u32 s3, s3, s1
	s_ashr_i32 s1, s0, 31
	s_lshl_b64 s[0:1], s[0:1], 2
	s_add_u32 s0, s2, s0
	s_addc_u32 s1, s3, s1
	global_store_dword v1, v6, s[0:1]
	global_store_dword v1, v7, s[0:1] offset:64
	global_store_dword v1, v2, s[0:1] offset:128
	;; [unrolled: 1-line block ×4, first 2 shown]
.LBB184_72:
	s_endpgm
.LBB184_73:
	v_mov_b32_e32 v0, 0x150
	v_lshl_add_u32 v0, v38, 2, v0
	ds_read_b32 v0, v0
	s_waitcnt lgkmcnt(0)
	v_add_f32_e32 v6, v6, v0
	s_or_b64 exec, exec, s[2:3]
	s_and_saveexec_b64 s[2:3], vcc
	s_cbranch_execz .LBB184_65
.LBB184_74:
	v_mov_b32_e32 v0, 0x150
	v_lshl_add_u32 v0, v38, 2, v0
	ds_read_b32 v0, v0 offset:64
	s_waitcnt lgkmcnt(0)
	v_add_f32_e32 v7, v7, v0
	s_or_b64 exec, exec, s[2:3]
	s_and_saveexec_b64 s[2:3], vcc
	s_cbranch_execz .LBB184_66
.LBB184_75:
	v_mov_b32_e32 v0, 0x150
	v_lshl_add_u32 v0, v38, 2, v0
	ds_read_b32 v0, v0 offset:128
	s_waitcnt lgkmcnt(0)
	v_add_f32_e32 v2, v2, v0
	s_or_b64 exec, exec, s[2:3]
	s_and_saveexec_b64 s[2:3], vcc
	s_cbranch_execz .LBB184_67
.LBB184_76:
	v_mov_b32_e32 v0, 0x150
	v_lshl_add_u32 v0, v38, 2, v0
	ds_read_b32 v0, v0 offset:192
	s_waitcnt lgkmcnt(0)
	v_add_f32_e32 v3, v3, v0
	s_or_b64 exec, exec, s[2:3]
	s_and_saveexec_b64 s[2:3], vcc
	s_cbranch_execnz .LBB184_68
	s_branch .LBB184_69
	.section	.rodata,"a",@progbits
	.p2align	6, 0x0
	.amdhsa_kernel _ZN4vllm25paged_attention_v1_kernelIfhLi80ELi16ELi128ELNS_18Fp8KVCacheDataTypeE1ELb1EEEvPT_PKS2_PKT0_S8_ifPKiSA_iPKfiiiSC_SC_iiiii
		.amdhsa_group_segment_fixed_size 336
		.amdhsa_private_segment_fixed_size 0
		.amdhsa_kernarg_size 384
		.amdhsa_user_sgpr_count 2
		.amdhsa_user_sgpr_dispatch_ptr 0
		.amdhsa_user_sgpr_queue_ptr 0
		.amdhsa_user_sgpr_kernarg_segment_ptr 1
		.amdhsa_user_sgpr_dispatch_id 0
		.amdhsa_user_sgpr_kernarg_preload_length 0
		.amdhsa_user_sgpr_kernarg_preload_offset 0
		.amdhsa_user_sgpr_private_segment_size 0
		.amdhsa_uses_dynamic_stack 0
		.amdhsa_enable_private_segment 0
		.amdhsa_system_sgpr_workgroup_id_x 1
		.amdhsa_system_sgpr_workgroup_id_y 1
		.amdhsa_system_sgpr_workgroup_id_z 1
		.amdhsa_system_sgpr_workgroup_info 0
		.amdhsa_system_vgpr_workitem_id 0
		.amdhsa_next_free_vgpr 68
		.amdhsa_next_free_sgpr 48
		.amdhsa_accum_offset 68
		.amdhsa_reserve_vcc 1
		.amdhsa_float_round_mode_32 0
		.amdhsa_float_round_mode_16_64 0
		.amdhsa_float_denorm_mode_32 3
		.amdhsa_float_denorm_mode_16_64 3
		.amdhsa_dx10_clamp 1
		.amdhsa_ieee_mode 1
		.amdhsa_fp16_overflow 0
		.amdhsa_tg_split 0
		.amdhsa_exception_fp_ieee_invalid_op 0
		.amdhsa_exception_fp_denorm_src 0
		.amdhsa_exception_fp_ieee_div_zero 0
		.amdhsa_exception_fp_ieee_overflow 0
		.amdhsa_exception_fp_ieee_underflow 0
		.amdhsa_exception_fp_ieee_inexact 0
		.amdhsa_exception_int_div_zero 0
	.end_amdhsa_kernel
	.section	.text._ZN4vllm25paged_attention_v1_kernelIfhLi80ELi16ELi128ELNS_18Fp8KVCacheDataTypeE1ELb1EEEvPT_PKS2_PKT0_S8_ifPKiSA_iPKfiiiSC_SC_iiiii,"axG",@progbits,_ZN4vllm25paged_attention_v1_kernelIfhLi80ELi16ELi128ELNS_18Fp8KVCacheDataTypeE1ELb1EEEvPT_PKS2_PKT0_S8_ifPKiSA_iPKfiiiSC_SC_iiiii,comdat
.Lfunc_end184:
	.size	_ZN4vllm25paged_attention_v1_kernelIfhLi80ELi16ELi128ELNS_18Fp8KVCacheDataTypeE1ELb1EEEvPT_PKS2_PKT0_S8_ifPKiSA_iPKfiiiSC_SC_iiiii, .Lfunc_end184-_ZN4vllm25paged_attention_v1_kernelIfhLi80ELi16ELi128ELNS_18Fp8KVCacheDataTypeE1ELb1EEEvPT_PKS2_PKT0_S8_ifPKiSA_iPKfiiiSC_SC_iiiii
                                        ; -- End function
	.section	.AMDGPU.csdata,"",@progbits
; Kernel info:
; codeLenInByte = 5340
; NumSgprs: 54
; NumVgprs: 68
; NumAgprs: 0
; TotalNumVgprs: 68
; ScratchSize: 0
; MemoryBound: 0
; FloatMode: 240
; IeeeMode: 1
; LDSByteSize: 336 bytes/workgroup (compile time only)
; SGPRBlocks: 6
; VGPRBlocks: 8
; NumSGPRsForWavesPerEU: 54
; NumVGPRsForWavesPerEU: 68
; AccumOffset: 68
; Occupancy: 7
; WaveLimiterHint : 1
; COMPUTE_PGM_RSRC2:SCRATCH_EN: 0
; COMPUTE_PGM_RSRC2:USER_SGPR: 2
; COMPUTE_PGM_RSRC2:TRAP_HANDLER: 0
; COMPUTE_PGM_RSRC2:TGID_X_EN: 1
; COMPUTE_PGM_RSRC2:TGID_Y_EN: 1
; COMPUTE_PGM_RSRC2:TGID_Z_EN: 1
; COMPUTE_PGM_RSRC2:TIDIG_COMP_CNT: 0
; COMPUTE_PGM_RSRC3_GFX90A:ACCUM_OFFSET: 16
; COMPUTE_PGM_RSRC3_GFX90A:TG_SPLIT: 0
	.section	.text._ZN4vllm25paged_attention_v1_kernelIfhLi96ELi16ELi128ELNS_18Fp8KVCacheDataTypeE1ELb1EEEvPT_PKS2_PKT0_S8_ifPKiSA_iPKfiiiSC_SC_iiiii,"axG",@progbits,_ZN4vllm25paged_attention_v1_kernelIfhLi96ELi16ELi128ELNS_18Fp8KVCacheDataTypeE1ELb1EEEvPT_PKS2_PKT0_S8_ifPKiSA_iPKfiiiSC_SC_iiiii,comdat
	.protected	_ZN4vllm25paged_attention_v1_kernelIfhLi96ELi16ELi128ELNS_18Fp8KVCacheDataTypeE1ELb1EEEvPT_PKS2_PKT0_S8_ifPKiSA_iPKfiiiSC_SC_iiiii ; -- Begin function _ZN4vllm25paged_attention_v1_kernelIfhLi96ELi16ELi128ELNS_18Fp8KVCacheDataTypeE1ELb1EEEvPT_PKS2_PKT0_S8_ifPKiSA_iPKfiiiSC_SC_iiiii
	.globl	_ZN4vllm25paged_attention_v1_kernelIfhLi96ELi16ELi128ELNS_18Fp8KVCacheDataTypeE1ELb1EEEvPT_PKS2_PKT0_S8_ifPKiSA_iPKfiiiSC_SC_iiiii
	.p2align	8
	.type	_ZN4vllm25paged_attention_v1_kernelIfhLi96ELi16ELi128ELNS_18Fp8KVCacheDataTypeE1ELb1EEEvPT_PKS2_PKT0_S8_ifPKiSA_iPKfiiiSC_SC_iiiii,@function
_ZN4vllm25paged_attention_v1_kernelIfhLi96ELi16ELi128ELNS_18Fp8KVCacheDataTypeE1ELb1EEEvPT_PKS2_PKT0_S8_ifPKiSA_iPKfiiiSC_SC_iiiii: ; @_ZN4vllm25paged_attention_v1_kernelIfhLi96ELi16ELi128ELNS_18Fp8KVCacheDataTypeE1ELb1EEEvPT_PKS2_PKT0_S8_ifPKiSA_iPKfiiiSC_SC_iiiii
; %bb.0:
	s_load_dword s5, s[0:1], 0x80
	s_load_dwordx2 s[6:7], s[0:1], 0x30
	s_load_dwordx2 s[36:37], s[0:1], 0x20
	s_mov_b32 s24, s3
	s_ashr_i32 s25, s3, 31
	s_lshl_b64 s[8:9], s[24:25], 2
	s_waitcnt lgkmcnt(0)
	s_add_u32 s6, s6, s8
	s_addc_u32 s7, s7, s9
	s_abs_i32 s3, s36
	v_cvt_f32_u32_e32 v1, s3
	s_sub_i32 s10, 0, s3
	s_abs_i32 s9, s5
	s_xor_b32 s8, s5, s36
	v_rcp_iflag_f32_e32 v1, v1
	s_ashr_i32 s8, s8, 31
	s_mov_b32 s44, 0
	v_mul_f32_e32 v1, 0x4f7ffffe, v1
	v_cvt_u32_f32_e32 v1, v1
	s_nop 0
	v_readfirstlane_b32 s11, v1
	s_mul_i32 s10, s10, s11
	s_mul_hi_u32 s10, s11, s10
	s_add_i32 s11, s11, s10
	s_mul_hi_u32 s10, s9, s11
	s_mul_i32 s11, s10, s3
	s_sub_i32 s9, s9, s11
	s_add_i32 s11, s10, 1
	s_sub_i32 s12, s9, s3
	s_cmp_ge_u32 s9, s3
	s_cselect_b32 s10, s11, s10
	s_cselect_b32 s9, s12, s9
	s_add_i32 s11, s10, 1
	s_cmp_ge_u32 s9, s3
	s_cselect_b32 s3, s11, s10
	s_xor_b32 s3, s3, s8
	s_sub_i32 s13, s3, s8
	s_abs_i32 s10, s13
	v_cvt_f32_u32_e32 v1, s10
	s_load_dwordx2 s[8:9], s[0:1], 0x40
	s_sub_i32 s3, 0, s10
	s_abs_i32 s11, s2
	v_rcp_iflag_f32_e32 v1, v1
	s_nop 0
	v_mul_f32_e32 v1, 0x4f7ffffe, v1
	v_cvt_u32_f32_e32 v1, v1
	s_nop 0
	v_readfirstlane_b32 s12, v1
	s_mul_i32 s3, s3, s12
	s_mul_hi_u32 s3, s12, s3
	s_add_i32 s12, s12, s3
	s_waitcnt lgkmcnt(0)
	s_cmp_eq_u64 s[8:9], 0
	s_mul_hi_u32 s12, s11, s12
	s_cbranch_scc1 .LBB185_2
; %bb.1:
	s_ashr_i32 s3, s2, 31
	s_lshl_b64 s[14:15], s[2:3], 2
	s_add_u32 s8, s8, s14
	s_addc_u32 s9, s9, s15
	s_load_dword s44, s[8:9], 0x0
.LBB185_2:
	s_load_dword s25, s[6:7], 0x0
	s_load_dwordx4 s[16:19], s[0:1], 0x48
	v_lshrrev_b32_e32 v42, 2, v0
	s_movk_i32 s3, 0x60
	s_ashr_i32 s8, s2, 31
	s_ashr_i32 s9, s13, 31
	v_and_b32_e32 v12, 3, v0
	s_mul_i32 s26, s2, 0x60
	v_cmp_gt_u32_e32 vcc, s3, v0
	v_lshlrev_b32_e32 v8, 2, v0
	v_lshlrev_b32_e32 v1, 2, v42
	s_and_saveexec_b64 s[6:7], vcc
	s_cbranch_execz .LBB185_4
; %bb.3:
	s_load_dwordx2 s[14:15], s[0:1], 0x8
	s_waitcnt lgkmcnt(0)
	s_mul_i32 s20, s24, s16
	s_ashr_i32 s21, s20, 31
	s_lshl_b64 s[20:21], s[20:21], 2
	v_mad_u32_u24 v3, v12, s3, v1
	s_add_u32 s13, s14, s20
	s_addc_u32 s16, s15, s21
	s_ashr_i32 s27, s26, 31
	s_lshl_b64 s[14:15], s[26:27], 2
	s_add_u32 s14, s13, s14
	s_addc_u32 s15, s16, s15
	global_load_dword v2, v8, s[14:15]
	s_waitcnt vmcnt(0)
	ds_write_b32 v3, v2
.LBB185_4:
	s_or_b64 exec, exec, s[6:7]
	s_mul_i32 s7, s12, s10
	s_sub_i32 s7, s11, s7
	s_xor_b32 s6, s8, s9
	s_add_i32 s8, s12, 1
	s_sub_i32 s9, s7, s10
	s_load_dwordx4 s[20:23], s[0:1], 0x68
	s_load_dword s3, s[0:1], 0x78
	s_cmp_ge_u32 s7, s10
	s_cselect_b32 s8, s8, s12
	s_cselect_b32 s7, s9, s7
	s_add_i32 s9, s8, 1
	s_cmp_ge_u32 s7, s10
	s_cselect_b32 s7, s9, s8
	s_waitcnt lgkmcnt(0)
	s_abs_i32 s27, s23
	v_cvt_f32_u32_e32 v2, s27
	s_xor_b32 s7, s7, s6
	s_sub_i32 s43, s7, s6
	s_sub_i32 s6, 0, s27
	v_rcp_iflag_f32_e32 v2, v2
	s_add_i32 s12, s25, -1
	s_abs_i32 s8, s12
	v_mul_f32_e32 v2, 0x4f7ffffe, v2
	v_cvt_u32_f32_e32 v2, v2
	s_barrier
	v_readfirstlane_b32 s33, v2
	s_mul_i32 s6, s6, s33
	s_mul_hi_u32 s6, s33, s6
	s_add_i32 s33, s33, s6
	s_cmp_lt_i32 s3, 0
	s_mul_hi_u32 s9, s8, s33
	s_cbranch_scc0 .LBB185_6
; %bb.5:
	s_mul_i32 s6, s20, s36
	s_add_i32 s6, s43, s6
	s_mul_i32 s6, s6, s3
	s_sub_i32 s36, 1, s6
	s_mov_b64 s[6:7], 0
	s_branch .LBB185_7
.LBB185_6:
	s_mov_b64 s[6:7], -1
                                        ; implicit-def: $sgpr36
.LBB185_7:
	s_load_dwordx2 s[10:11], s[0:1], 0x28
	s_ashr_i32 s19, s12, 31
	s_andn2_b64 vcc, exec, s[6:7]
	s_ashr_i32 s23, s23, 31
	s_cbranch_vccnz .LBB185_9
; %bb.8:
	s_mul_i32 s6, s5, s20
	s_add_i32 s2, s6, s2
	s_mul_i32 s2, s2, s3
	s_add_i32 s36, s2, 1
.LBB185_9:
	s_load_dword s2, s[0:1], 0x38
	s_load_dwordx2 s[28:29], s[0:1], 0x0
	s_load_dwordx2 s[34:35], s[0:1], 0x18
	s_load_dword s16, s[0:1], 0x88
	s_load_dwordx4 s[12:15], s[0:1], 0x58
	s_mul_i32 s3, s9, s27
	s_waitcnt lgkmcnt(0)
	s_mul_i32 s30, s24, s2
	s_sub_i32 s3, s8, s3
	s_ashr_i32 s31, s30, 31
	s_xor_b32 s2, s19, s23
	s_add_i32 s6, s9, 1
	s_sub_i32 s7, s3, s27
	s_cmp_ge_u32 s3, s27
	s_cselect_b32 s6, s6, s9
	s_cselect_b32 s3, s7, s3
	s_add_i32 s7, s6, 1
	s_cmp_ge_u32 s3, s27
	s_cselect_b32 s3, s7, s6
	s_xor_b32 s3, s3, s2
	s_sub_i32 s42, s3, s2
	s_add_i32 s2, s25, 15
	s_ashr_i32 s3, s2, 31
	s_lshr_b32 s3, s3, 28
	s_add_i32 s2, s2, s3
	s_ashr_i32 s20, s2, 4
	v_lshrrev_b32_e32 v43, 6, v0
	v_cmp_gt_i32_e64 s[6:7], s20, v43
	v_mov_b32_e32 v11, 0xff7fffff
	s_mul_i32 s43, s43, s18
	v_lshrrev_b32_e32 v9, 4, v0
	v_lshlrev_b32_e32 v44, 4, v43
	v_mbcnt_lo_u32_b32 v6, -1, 0
	s_and_saveexec_b64 s[18:19], s[6:7]
	s_cbranch_execz .LBB185_19
; %bb.10:
	s_load_dwordx2 s[0:1], s[0:1], 0x10
	s_sub_i32 s45, s42, s21
	s_ashr_i32 s2, s43, 31
	v_bfe_u32 v7, v0, 2, 4
	v_mov_b32_e32 v5, 0
	s_waitcnt lgkmcnt(0)
	s_add_u32 s0, s0, s43
	s_addc_u32 s1, s1, s2
	s_abs_i32 s46, s22
	v_cvt_f32_u32_e32 v2, s46
	v_lshlrev_b32_e32 v4, 4, v7
	v_mbcnt_hi_u32_b32 v19, -1, v6
	v_cmp_eq_u32_e32 vcc, 0, v12
	v_rcp_iflag_f32_e32 v2, v2
	s_mov_b32 s47, s17
	v_mul_u32_u24_e32 v10, 0x60, v12
	v_cmp_neq_f32_e64 s[2:3], s44, 0
	v_mul_f32_e32 v2, 0x4f7ffffe, v2
	v_cvt_u32_f32_e32 v11, v2
	v_lshl_add_u64 v[2:3], s[0:1], 0, v[4:5]
	s_sub_i32 s0, 0, s46
	v_mov_b32_e32 v13, v5
	v_mul_lo_u32 v4, s0, v11
	v_mul_hi_u32 v4, v11, v4
	v_add_u32_e32 v14, v11, v4
	v_lshlrev_b32_e32 v11, 2, v7
	s_lshl_b64 s[0:1], s[30:31], 2
	v_lshl_or_b32 v11, v43, 6, v11
	s_add_u32 s0, s10, s0
	v_add_u32_e32 v16, 0x190, v11
	v_subrev_u32_e32 v11, s25, v7
	v_and_b32_e32 v4, 60, v9
	s_addc_u32 s1, s11, s1
	v_add_u32_e32 v17, 1, v11
	v_and_b32_e32 v11, 64, v19
	v_lshl_add_u64 v[4:5], s[0:1], 0, v[4:5]
	v_lshlrev_b32_e32 v15, 4, v43
	s_mov_b64 s[38:39], 0
	v_mov_b32_e32 v18, 0xff7fffff
	v_add_u32_e32 v20, 64, v11
	v_xor_b32_e32 v21, 2, v19
	v_xor_b32_e32 v22, 1, v19
	v_mov_b32_e32 v11, 0xff7fffff
	v_mov_b32_e32 v23, v43
	s_branch .LBB185_13
.LBB185_11:                             ;   in Loop: Header=BB185_13 Depth=1
	s_or_b64 exec, exec, s[40:41]
.LBB185_12:                             ;   in Loop: Header=BB185_13 Depth=1
	s_or_b64 exec, exec, s[8:9]
	v_add_u32_e32 v23, 2, v23
	v_cmp_le_i32_e64 s[0:1], s20, v23
	v_lshl_add_u64 v[4:5], v[4:5], 0, 8
	v_add_u32_e32 v15, 32, v15
	s_or_b64 s[38:39], s[0:1], s[38:39]
	v_add_u32_e32 v16, 0x80, v16
	s_andn2_b64 exec, exec, s[38:39]
	s_cbranch_execz .LBB185_18
.LBB185_13:                             ; =>This Inner Loop Header: Depth=1
	v_mul_hi_u32 v24, v15, s33
	s_waitcnt lgkmcnt(0)
	v_mul_lo_u32 v25, v24, s27
	v_sub_u32_e32 v25, v15, v25
	v_add_u32_e32 v26, 1, v24
	v_cmp_le_u32_e64 s[0:1], s27, v25
	s_nop 1
	v_cndmask_b32_e64 v24, v24, v26, s[0:1]
	v_subrev_u32_e32 v26, s27, v25
	v_cndmask_b32_e64 v25, v25, v26, s[0:1]
	v_add_u32_e32 v26, 1, v24
	v_cmp_le_u32_e64 s[0:1], s27, v25
	s_nop 1
	v_cndmask_b32_e64 v24, v24, v26, s[0:1]
	v_xor_b32_e32 v24, s23, v24
	v_subrev_u32_e32 v24, s23, v24
	v_add_u32_e32 v25, s36, v24
	v_sub_u32_e32 v27, 0, v25
	v_ashrrev_i32_e32 v26, 31, v25
	v_max_i32_e32 v25, v25, v27
	v_mul_hi_u32 v27, v25, v14
	v_mul_lo_u32 v27, v27, s46
	v_sub_u32_e32 v25, v25, v27
	v_subrev_u32_e32 v27, s46, v25
	v_cmp_le_u32_e64 s[0:1], s46, v25
	v_cmp_ge_i32_e64 s[8:9], s45, v24
	s_nop 0
	v_cndmask_b32_e64 v25, v25, v27, s[0:1]
	v_subrev_u32_e32 v27, s46, v25
	v_cmp_le_u32_e64 s[0:1], s46, v25
	s_nop 1
	v_cndmask_b32_e64 v25, v25, v27, s[0:1]
	v_xor_b32_e32 v25, v25, v26
	v_sub_u32_e32 v25, v25, v26
	v_cmp_ne_u32_e64 s[0:1], 0, v25
	s_and_b64 s[0:1], s[0:1], s[8:9]
	s_and_b64 s[40:41], vcc, s[0:1]
	s_and_saveexec_b64 s[8:9], s[40:41]
	s_cbranch_execz .LBB185_15
; %bb.14:                               ;   in Loop: Header=BB185_13 Depth=1
	ds_write_b32 v16, v18
.LBB185_15:                             ;   in Loop: Header=BB185_13 Depth=1
	s_or_b64 exec, exec, s[8:9]
	s_xor_b64 s[0:1], s[0:1], -1
	s_and_saveexec_b64 s[8:9], s[0:1]
	s_cbranch_execz .LBB185_12
; %bb.16:                               ;   in Loop: Header=BB185_13 Depth=1
	global_load_dword v24, v[4:5], off
	s_waitcnt vmcnt(0)
	v_mad_i64_i32 v[24:25], s[0:1], v24, s47, v[2:3]
	v_lshl_add_u64 v[24:25], v[24:25], 0, v[12:13]
	global_load_ubyte v40, v[24:25], off
	global_load_ubyte v41, v[24:25], off offset:4
	global_load_ubyte v45, v[24:25], off offset:8
	;; [unrolled: 1-line block ×23, first 2 shown]
	ds_read_b128 v[24:27], v10
	ds_read_b128 v[28:31], v10 offset:16
	ds_read_b128 v[32:35], v10 offset:32
	;; [unrolled: 1-line block ×5, first 2 shown]
	s_load_dword s40, s[12:13], 0x0
	v_cmp_lt_i32_e64 s[0:1], v21, v20
	s_waitcnt vmcnt(23)
	v_cvt_f32_fp8_sdwa v40, v40 src0_sel:BYTE_0
	s_waitcnt vmcnt(22)
	v_cvt_f32_fp8_sdwa v41, v41 src0_sel:BYTE_0
	;; [unrolled: 2-line block ×5, first 2 shown]
	s_waitcnt lgkmcnt(0)
	v_mul_f32_e32 v41, s40, v41
	s_waitcnt vmcnt(18)
	v_cvt_f32_fp8_sdwa v56, v56 src0_sel:BYTE_0
	v_mul_f32_e32 v40, s40, v40
	v_mul_f32_e32 v25, v25, v41
	s_waitcnt vmcnt(17)
	v_cvt_f32_fp8_sdwa v57, v57 src0_sel:BYTE_0
	v_mul_f32_e32 v45, s40, v45
	v_fmac_f32_e32 v25, v24, v40
	s_waitcnt vmcnt(16)
	v_cvt_f32_fp8_sdwa v58, v58 src0_sel:BYTE_0
	v_mul_f32_e32 v54, s40, v54
	v_fmac_f32_e32 v25, v26, v45
	s_waitcnt vmcnt(15)
	v_cvt_f32_fp8_sdwa v59, v59 src0_sel:BYTE_0
	v_mul_f32_e32 v55, s40, v55
	v_fmac_f32_e32 v25, v27, v54
	s_waitcnt vmcnt(14)
	v_cvt_f32_fp8_sdwa v60, v60 src0_sel:BYTE_0
	v_mul_f32_e32 v56, s40, v56
	v_fmac_f32_e32 v25, v28, v55
	s_waitcnt vmcnt(13)
	v_cvt_f32_fp8_sdwa v61, v61 src0_sel:BYTE_0
	v_mul_f32_e32 v57, s40, v57
	v_fmac_f32_e32 v25, v29, v56
	s_waitcnt vmcnt(12)
	v_cvt_f32_fp8_sdwa v62, v62 src0_sel:BYTE_0
	v_mul_f32_e32 v58, s40, v58
	v_fmac_f32_e32 v25, v30, v57
	s_waitcnt vmcnt(11)
	v_cvt_f32_fp8_sdwa v63, v63 src0_sel:BYTE_0
	v_mul_f32_e32 v59, s40, v59
	v_fmac_f32_e32 v25, v31, v58
	s_waitcnt vmcnt(10)
	v_cvt_f32_fp8_sdwa v64, v64 src0_sel:BYTE_0
	v_mul_f32_e32 v60, s40, v60
	v_fmac_f32_e32 v25, v32, v59
	s_waitcnt vmcnt(9)
	v_cvt_f32_fp8_sdwa v65, v65 src0_sel:BYTE_0
	v_mul_f32_e32 v61, s40, v61
	v_fmac_f32_e32 v25, v33, v60
	s_waitcnt vmcnt(8)
	v_cvt_f32_fp8_sdwa v66, v66 src0_sel:BYTE_0
	v_mul_f32_e32 v62, s40, v62
	v_fmac_f32_e32 v25, v34, v61
	s_waitcnt vmcnt(7)
	v_cvt_f32_fp8_sdwa v67, v67 src0_sel:BYTE_0
	v_mul_f32_e32 v63, s40, v63
	v_fmac_f32_e32 v25, v35, v62
	s_waitcnt vmcnt(6)
	v_cvt_f32_fp8_sdwa v68, v68 src0_sel:BYTE_0
	v_mul_f32_e32 v64, s40, v64
	v_fmac_f32_e32 v25, v36, v63
	s_waitcnt vmcnt(5)
	v_cvt_f32_fp8_sdwa v69, v69 src0_sel:BYTE_0
	v_mul_f32_e32 v65, s40, v65
	v_fmac_f32_e32 v25, v37, v64
	s_waitcnt vmcnt(4)
	v_cvt_f32_fp8_sdwa v70, v70 src0_sel:BYTE_0
	v_mul_f32_e32 v66, s40, v66
	v_fmac_f32_e32 v25, v38, v65
	s_waitcnt vmcnt(3)
	v_cvt_f32_fp8_sdwa v71, v71 src0_sel:BYTE_0
	v_mul_f32_e32 v67, s40, v67
	v_fmac_f32_e32 v25, v39, v66
	s_waitcnt vmcnt(2)
	v_cvt_f32_fp8_sdwa v72, v72 src0_sel:BYTE_0
	v_mul_f32_e32 v68, s40, v68
	v_fmac_f32_e32 v25, v46, v67
	s_waitcnt vmcnt(1)
	v_cvt_f32_fp8_sdwa v73, v73 src0_sel:BYTE_0
	v_mul_f32_e32 v69, s40, v69
	v_fmac_f32_e32 v25, v47, v68
	s_waitcnt vmcnt(0)
	v_cvt_f32_fp8_sdwa v74, v74 src0_sel:BYTE_0
	v_mul_f32_e32 v70, s40, v70
	v_fmac_f32_e32 v25, v48, v69
	v_mul_f32_e32 v71, s40, v71
	v_fmac_f32_e32 v25, v49, v70
	v_mul_f32_e32 v72, s40, v72
	v_fmac_f32_e32 v25, v50, v71
	;; [unrolled: 2-line block ×3, first 2 shown]
	v_cndmask_b32_e64 v75, v19, v21, s[0:1]
	v_mul_f32_e32 v74, s40, v74
	v_fmac_f32_e32 v25, v52, v73
	v_lshlrev_b32_e32 v75, 2, v75
	v_fmac_f32_e32 v25, v53, v74
	ds_bpermute_b32 v24, v75, v25
	v_cmp_lt_i32_e64 s[0:1], v22, v20
	s_waitcnt lgkmcnt(0)
	v_add_f32_e32 v24, v25, v24
	v_cndmask_b32_e64 v26, v19, v22, s[0:1]
	v_lshlrev_b32_e32 v26, 2, v26
	ds_bpermute_b32 v25, v26, v24
	s_and_saveexec_b64 s[40:41], vcc
	s_cbranch_execz .LBB185_11
; %bb.17:                               ;   in Loop: Header=BB185_13 Depth=1
	v_add_u32_e32 v26, v17, v15
	v_cvt_f32_i32_e32 v26, v26
	s_waitcnt lgkmcnt(0)
	v_add_f32_e32 v24, v24, v25
	v_add_u32_e32 v27, v7, v15
	v_cmp_gt_i32_e64 s[0:1], s25, v27
	v_mul_f32_e32 v25, s44, v26
	v_cndmask_b32_e64 v25, 0, v25, s[2:3]
	v_fmac_f32_e32 v25, s37, v24
	v_cndmask_b32_e64 v24, 0, v25, s[0:1]
	ds_write_b32 v16, v24
	v_max_f32_e32 v24, v11, v11
	v_max_f32_e32 v24, v24, v25
	v_cndmask_b32_e64 v11, v11, v24, s[0:1]
	s_branch .LBB185_11
.LBB185_18:
	s_or_b64 exec, exec, s[38:39]
.LBB185_19:
	s_or_b64 exec, exec, s[18:19]
	v_mbcnt_hi_u32_b32 v2, -1, v6
	v_and_b32_e32 v3, 64, v2
	v_add_u32_e32 v3, 64, v3
	v_xor_b32_e32 v4, 32, v2
	v_cmp_lt_i32_e32 vcc, v4, v3
	v_xor_b32_e32 v7, 16, v2
	v_max_f32_e32 v6, v11, v11
	v_cndmask_b32_e32 v4, v2, v4, vcc
	v_lshlrev_b32_e32 v4, 2, v4
	ds_bpermute_b32 v5, v4, v11
	v_cmp_lt_i32_e32 vcc, v7, v3
	v_xor_b32_e32 v10, 8, v2
	v_xor_b32_e32 v11, 4, v2
	v_and_b32_e32 v13, 63, v0
	s_waitcnt lgkmcnt(0)
	v_max_f32_e32 v5, v5, v5
	v_max_f32_e32 v6, v6, v5
	v_cndmask_b32_e32 v5, v2, v7, vcc
	v_lshlrev_b32_e32 v5, 2, v5
	ds_bpermute_b32 v7, v5, v6
	v_cmp_lt_i32_e32 vcc, v10, v3
	s_waitcnt lgkmcnt(0)
	v_max_f32_e32 v7, v7, v7
	v_max_f32_e32 v6, v6, v7
	v_cndmask_b32_e32 v7, v2, v10, vcc
	v_lshlrev_b32_e32 v10, 2, v7
	ds_bpermute_b32 v7, v10, v6
	v_cmp_lt_i32_e32 vcc, v11, v3
	s_waitcnt lgkmcnt(0)
	v_max_f32_e32 v7, v7, v7
	v_max_f32_e32 v7, v6, v7
	v_cndmask_b32_e32 v6, v2, v11, vcc
	v_lshlrev_b32_e32 v11, 2, v6
	ds_bpermute_b32 v14, v11, v7
	v_cmp_eq_u32_e32 vcc, 0, v13
	v_lshlrev_b32_e32 v6, 2, v43
	s_and_saveexec_b64 s[0:1], vcc
	s_cbranch_execz .LBB185_21
; %bb.20:
	s_waitcnt lgkmcnt(0)
	v_max_f32_e32 v14, v14, v14
	v_max_f32_e32 v7, v7, v7
	;; [unrolled: 1-line block ×3, first 2 shown]
	ds_write_b32 v6, v7 offset:384
.LBB185_21:
	s_or_b64 exec, exec, s[0:1]
	v_cmp_gt_u32_e64 s[0:1], 2, v13
	s_waitcnt lgkmcnt(0)
	v_mov_b32_e32 v14, 0xff7fffff
	v_lshlrev_b32_e32 v7, 2, v13
	s_barrier
	s_and_saveexec_b64 s[2:3], s[0:1]
	s_cbranch_execz .LBB185_23
; %bb.22:
	ds_read_b32 v14, v7 offset:384
.LBB185_23:
	s_or_b64 exec, exec, s[2:3]
	v_xor_b32_e32 v15, 1, v2
	v_cmp_lt_i32_e64 s[2:3], v15, v3
	v_lshlrev_b32_e32 v16, 2, v2
	s_nop 0
	v_cndmask_b32_e64 v15, v2, v15, s[2:3]
	v_lshlrev_b32_e32 v45, 2, v15
	s_waitcnt lgkmcnt(0)
	ds_bpermute_b32 v15, v45, v14
	v_max_f32_e32 v14, v14, v14
	s_lshl_b32 s2, s20, 4
	s_min_i32 s37, s2, s25
	v_cmp_gt_i32_e64 s[2:3], s37, v0
	s_waitcnt lgkmcnt(0)
	v_max_f32_e32 v15, v15, v15
	v_max_f32_e32 v15, v14, v15
	v_and_b32_e32 v14, 0x100, v16
	ds_bpermute_b32 v16, v14, v15
	v_mov_b32_e32 v15, 0
	s_and_saveexec_b64 s[12:13], s[2:3]
	s_cbranch_execz .LBB185_27
; %bb.24:
	v_mov_b32_e32 v15, 0x190
	v_lshl_add_u32 v17, v0, 2, v15
	s_mov_b64 s[18:19], 0
	v_mov_b32_e32 v15, 0
	v_mov_b32_e32 v18, v0
.LBB185_25:                             ; =>This Inner Loop Header: Depth=1
	ds_read_b32 v19, v17
	v_add_u32_e32 v18, 0x80, v18
	v_cmp_le_i32_e64 s[8:9], s37, v18
	s_or_b64 s[18:19], s[8:9], s[18:19]
	s_waitcnt lgkmcnt(0)
	v_sub_f32_e32 v19, v19, v16
	v_mul_f32_e32 v19, 0x3fb8aa3b, v19
	v_exp_f32_e32 v19, v19
	ds_write_b32 v17, v19
	v_add_f32_e32 v15, v15, v19
	v_add_u32_e32 v17, 0x200, v17
	s_andn2_b64 exec, exec, s[18:19]
	s_cbranch_execnz .LBB185_25
; %bb.26:
	s_or_b64 exec, exec, s[18:19]
.LBB185_27:
	s_or_b64 exec, exec, s[12:13]
	ds_bpermute_b32 v4, v4, v15
	s_waitcnt lgkmcnt(0)
	v_add_f32_e32 v4, v15, v4
	ds_bpermute_b32 v5, v5, v4
	s_waitcnt lgkmcnt(0)
	v_add_f32_e32 v4, v4, v5
	ds_bpermute_b32 v5, v10, v4
	v_xor_b32_e32 v10, 2, v2
	v_cmp_lt_i32_e64 s[8:9], v10, v3
	s_waitcnt lgkmcnt(0)
	v_add_f32_e32 v4, v4, v5
	ds_bpermute_b32 v5, v11, v4
	v_cndmask_b32_e64 v2, v2, v10, s[8:9]
	v_lshlrev_b32_e32 v46, 2, v2
	s_waitcnt lgkmcnt(0)
	v_add_f32_e32 v3, v4, v5
	ds_bpermute_b32 v2, v46, v3
	s_waitcnt lgkmcnt(0)
	v_add_f32_e32 v2, v3, v2
	ds_bpermute_b32 v3, v45, v2
	s_waitcnt lgkmcnt(0)
	v_add_f32_e32 v2, v2, v3
	s_and_saveexec_b64 s[8:9], vcc
	s_cbranch_execz .LBB185_29
; %bb.28:
	ds_write_b32 v6, v2 offset:392
.LBB185_29:
	s_or_b64 exec, exec, s[8:9]
	s_waitcnt lgkmcnt(0)
	s_barrier
	s_and_saveexec_b64 s[8:9], s[0:1]
	s_cbranch_execz .LBB185_31
; %bb.30:
	ds_read_b32 v2, v7 offset:392
.LBB185_31:
	s_or_b64 exec, exec, s[8:9]
	s_waitcnt lgkmcnt(0)
	ds_bpermute_b32 v3, v45, v2
	s_waitcnt lgkmcnt(0)
	v_add_f32_e32 v2, v2, v3
	ds_bpermute_b32 v2, v14, v2
	s_and_saveexec_b64 s[0:1], s[2:3]
	s_cbranch_execz .LBB185_44
; %bb.32:
	s_waitcnt lgkmcnt(0)
	v_add_f32_e32 v2, 0x358637bd, v2
	v_div_scale_f32 v3, s[2:3], v2, v2, 1.0
	v_rcp_f32_e32 v4, v3
	v_div_scale_f32 v5, vcc, 1.0, v2, 1.0
	s_movk_i32 s2, 0x7f
	v_fma_f32 v6, -v3, v4, 1.0
	v_fmac_f32_e32 v4, v6, v4
	v_mul_f32_e32 v6, v5, v4
	v_fma_f32 v7, -v3, v6, v5
	v_fmac_f32_e32 v6, v7, v4
	v_fma_f32 v3, -v3, v6, v5
	v_div_fmas_f32 v3, v3, v4, v6
	v_xad_u32 v4, v0, -1, s37
	v_div_fixup_f32 v2, v3, v2, 1.0
	v_cmp_lt_u32_e32 vcc, s2, v4
	s_mov_b64 s[8:9], -1
	v_mov_b32_e32 v3, v0
	s_and_saveexec_b64 s[2:3], vcc
	s_cbranch_execz .LBB185_41
; %bb.33:
	v_lshrrev_b32_e32 v4, 7, v4
	v_add_u32_e32 v6, -1, v4
	v_lshrrev_b32_e32 v5, 1, v6
	v_mov_b32_e32 v3, v2
	v_add_u32_e32 v5, 1, v5
	v_cmp_lt_u32_e32 vcc, 13, v6
	v_mov_b32_e32 v10, 0
	s_and_saveexec_b64 s[8:9], vcc
	s_cbranch_execz .LBB185_37
; %bb.34:
	v_mov_b32_e32 v7, 0x190
	v_and_b32_e32 v6, -8, v5
	v_lshl_add_u32 v7, v0, 2, v7
	s_mov_b32 s18, 0
	s_mov_b64 s[12:13], 0
.LBB185_35:                             ; =>This Inner Loop Header: Depth=1
	ds_read2st64_b32 v[10:11], v7 offset1:2
	ds_read2st64_b32 v[14:15], v7 offset0:4 offset1:6
	ds_read2st64_b32 v[16:17], v7 offset0:8 offset1:10
	;; [unrolled: 1-line block ×3, first 2 shown]
	v_add_u32_e32 v6, -8, v6
	s_waitcnt lgkmcnt(3)
	v_pk_mul_f32 v[10:11], v[2:3], v[10:11]
	s_waitcnt lgkmcnt(2)
	v_pk_mul_f32 v[14:15], v[2:3], v[14:15]
	ds_write2st64_b32 v7, v10, v11 offset1:2
	ds_write2st64_b32 v7, v14, v15 offset0:4 offset1:6
	ds_read2st64_b32 v[14:15], v7 offset0:16 offset1:18
	s_waitcnt lgkmcnt(4)
	v_pk_mul_f32 v[10:11], v[2:3], v[16:17]
	ds_write2st64_b32 v7, v10, v11 offset0:8 offset1:10
	s_waitcnt lgkmcnt(4)
	v_pk_mul_f32 v[10:11], v[2:3], v[18:19]
	ds_write2st64_b32 v7, v10, v11 offset0:12 offset1:14
	ds_read2st64_b32 v[10:11], v7 offset0:20 offset1:22
	s_waitcnt lgkmcnt(3)
	v_pk_mul_f32 v[14:15], v[2:3], v[14:15]
	ds_read2st64_b32 v[16:17], v7 offset0:24 offset1:26
	ds_write2st64_b32 v7, v14, v15 offset0:16 offset1:18
	ds_read2st64_b32 v[14:15], v7 offset0:28 offset1:30
	s_waitcnt lgkmcnt(3)
	v_pk_mul_f32 v[10:11], v[2:3], v[10:11]
	ds_write2st64_b32 v7, v10, v11 offset0:20 offset1:22
	s_waitcnt lgkmcnt(3)
	v_pk_mul_f32 v[10:11], v[2:3], v[16:17]
	ds_write2st64_b32 v7, v10, v11 offset0:24 offset1:26
	s_waitcnt lgkmcnt(2)
	v_pk_mul_f32 v[10:11], v[2:3], v[14:15]
	s_add_i32 s18, s18, 16
	v_cmp_eq_u32_e32 vcc, 0, v6
	ds_write2st64_b32 v7, v10, v11 offset0:28 offset1:30
	v_add_u32_e32 v7, 0x2000, v7
	s_or_b64 s[12:13], vcc, s[12:13]
	v_mov_b32_e32 v10, s18
	s_andn2_b64 exec, exec, s[12:13]
	s_cbranch_execnz .LBB185_35
; %bb.36:
	s_or_b64 exec, exec, s[12:13]
.LBB185_37:
	s_or_b64 exec, exec, s[8:9]
	v_and_b32_e32 v5, 7, v5
	v_cmp_ne_u32_e32 vcc, 0, v5
	s_and_saveexec_b64 s[8:9], vcc
	s_cbranch_execz .LBB185_40
; %bb.38:
	v_lshlrev_b32_e32 v6, 9, v10
	s_movk_i32 s12, 0x190
	v_add3_u32 v6, v6, v8, s12
	s_mov_b64 s[12:13], 0
.LBB185_39:                             ; =>This Inner Loop Header: Depth=1
	ds_read2st64_b32 v[10:11], v6 offset1:2
	v_add_u32_e32 v5, -1, v5
	v_cmp_eq_u32_e32 vcc, 0, v5
	s_or_b64 s[12:13], vcc, s[12:13]
	s_waitcnt lgkmcnt(0)
	v_pk_mul_f32 v[10:11], v[2:3], v[10:11]
	ds_write2st64_b32 v6, v10, v11 offset1:2
	v_add_u32_e32 v6, 0x400, v6
	s_andn2_b64 exec, exec, s[12:13]
	s_cbranch_execnz .LBB185_39
.LBB185_40:
	s_or_b64 exec, exec, s[8:9]
	v_add_u32_e32 v4, 1, v4
	v_and_b32_e32 v5, 0x3fffffe, v4
	v_cmp_ne_u32_e32 vcc, v4, v5
	v_lshl_add_u32 v3, v5, 7, v0
	s_orn2_b64 s[8:9], vcc, exec
.LBB185_41:
	s_or_b64 exec, exec, s[2:3]
	s_and_b64 exec, exec, s[8:9]
	s_cbranch_execz .LBB185_44
; %bb.42:
	v_mov_b32_e32 v4, 0x190
	v_lshl_add_u32 v4, v3, 2, v4
	s_mov_b64 s[2:3], 0
.LBB185_43:                             ; =>This Inner Loop Header: Depth=1
	ds_read_b32 v5, v4
	v_add_u32_e32 v3, 0x80, v3
	v_cmp_le_i32_e32 vcc, s37, v3
	s_or_b64 s[2:3], vcc, s[2:3]
	s_waitcnt lgkmcnt(0)
	v_mul_f32_e32 v5, v2, v5
	ds_write_b32 v4, v5
	v_add_u32_e32 v4, 0x200, v4
	s_andn2_b64 exec, exec, s[2:3]
	s_cbranch_execnz .LBB185_43
.LBB185_44:
	s_or_b64 exec, exec, s[0:1]
	s_mov_b32 s8, 0
	v_mov_b32_e32 v7, 0
	v_mov_b32_e32 v6, 0
	;; [unrolled: 1-line block ×5, first 2 shown]
	s_waitcnt lgkmcnt(0)
	v_mov_b32_e32 v2, 0
	s_barrier
	s_and_saveexec_b64 s[2:3], s[6:7]
	s_cbranch_execz .LBB185_62
; %bb.45:
	s_sub_i32 s18, s42, s21
	s_ashr_i32 s1, s43, 31
	s_add_u32 s0, s34, s43
	s_addc_u32 s1, s35, s1
	s_abs_i32 s19, s22
	v_cvt_f32_u32_e32 v2, s19
	v_mov_b32_e32 v3, 0
	s_sub_i32 s6, 0, s19
	s_add_i32 s21, s20, -1
	v_rcp_iflag_f32_e32 v4, v2
	v_and_b32_e32 v2, 0xfc, v8
	v_lshl_add_u64 v[14:15], s[0:1], 0, v[2:3]
	s_lshl_b64 s[0:1], s[30:31], 2
	v_mul_f32_e32 v4, 0x4f7ffffe, v4
	v_cvt_u32_f32_e32 v4, v4
	s_add_u32 s0, s10, s0
	s_addc_u32 s1, s11, s1
	s_mov_b32 s9, s8
	v_mul_lo_u32 v2, s6, v4
	v_mul_hi_u32 v2, v4, v2
	v_add_u32_e32 v48, v4, v2
	v_and_b32_e32 v2, 60, v9
	v_lshl_add_u64 v[16:17], s[0:1], 0, v[2:3]
	v_lshlrev_b32_e32 v2, 4, v12
	v_lshl_or_b32 v2, v43, 6, v2
	v_add_u32_e32 v49, 0x190, v2
	s_mov_b32 s10, s8
	s_mov_b32 s11, s8
	;; [unrolled: 1-line block ×4, first 2 shown]
	v_mov_b64_e32 v[2:3], s[8:9]
	v_and_b32_e32 v47, 12, v8
	s_mov_b64 s[6:7], 0
	v_mov_b64_e32 v[4:5], s[10:11]
	v_mov_b64_e32 v[6:7], s[12:13]
	s_branch .LBB185_48
.LBB185_46:                             ;   in Loop: Header=BB185_48 Depth=1
	s_or_b64 exec, exec, s[0:1]
	v_mul_f32_e32 v21, v9, v21
	v_fmac_f32_e32 v21, v8, v20
	v_fmac_f32_e32 v21, v10, v18
	v_mul_f32_e32 v18, v9, v27
	v_fmac_f32_e32 v18, v8, v26
	v_fmac_f32_e32 v18, v10, v24
	v_fmac_f32_e32 v18, v11, v25
	v_add_f32_e32 v3, v3, v18
	v_mul_f32_e32 v18, v9, v31
	v_fmac_f32_e32 v18, v8, v30
	v_fmac_f32_e32 v18, v10, v28
	v_fmac_f32_e32 v18, v11, v29
	v_add_f32_e32 v4, v4, v18
	;; [unrolled: 5-line block ×3, first 2 shown]
	v_mul_f32_e32 v18, v9, v39
	v_mul_f32_e32 v9, v9, v41
	v_fmac_f32_e32 v18, v8, v38
	v_fmac_f32_e32 v9, v8, v40
	v_fmac_f32_e32 v18, v10, v36
	v_fmac_f32_e32 v9, v10, v22
	v_fmac_f32_e32 v21, v11, v19
	v_fmac_f32_e32 v18, v11, v37
	v_fmac_f32_e32 v9, v11, v23
	v_add_f32_e32 v2, v2, v21
	v_add_f32_e32 v6, v6, v18
	;; [unrolled: 1-line block ×3, first 2 shown]
.LBB185_47:                             ;   in Loop: Header=BB185_48 Depth=1
	s_or_b64 exec, exec, s[8:9]
	v_add_u32_e32 v43, 2, v43
	v_cmp_le_i32_e32 vcc, s20, v43
	v_lshl_add_u64 v[16:17], v[16:17], 0, 8
	v_add_u32_e32 v44, 32, v44
	s_or_b64 s[6:7], vcc, s[6:7]
	v_add_u32_e32 v49, 0x80, v49
	s_andn2_b64 exec, exec, s[6:7]
	s_cbranch_execz .LBB185_61
.LBB185_48:                             ; =>This Inner Loop Header: Depth=1
	v_mul_hi_u32 v8, v44, s33
	v_mul_lo_u32 v9, v8, s27
	v_sub_u32_e32 v9, v44, v9
	v_add_u32_e32 v10, 1, v8
	v_cmp_le_u32_e32 vcc, s27, v9
	s_nop 1
	v_cndmask_b32_e32 v8, v8, v10, vcc
	v_subrev_u32_e32 v10, s27, v9
	v_cndmask_b32_e32 v9, v9, v10, vcc
	v_add_u32_e32 v10, 1, v8
	v_cmp_le_u32_e32 vcc, s27, v9
	s_nop 1
	v_cndmask_b32_e32 v8, v8, v10, vcc
	v_xor_b32_e32 v8, s23, v8
	v_subrev_u32_e32 v8, s23, v8
	v_add_u32_e32 v9, s36, v8
	v_sub_u32_e32 v11, 0, v9
	v_ashrrev_i32_e32 v10, 31, v9
	v_max_i32_e32 v9, v9, v11
	v_mul_hi_u32 v11, v9, v48
	v_mul_lo_u32 v11, v11, s19
	v_sub_u32_e32 v9, v9, v11
	v_subrev_u32_e32 v11, s19, v9
	v_cmp_le_u32_e32 vcc, s19, v9
	v_cmp_lt_i32_e64 s[0:1], s18, v8
	s_nop 0
	v_cndmask_b32_e32 v9, v9, v11, vcc
	v_subrev_u32_e32 v11, s19, v9
	v_cmp_le_u32_e32 vcc, s19, v9
	s_nop 1
	v_cndmask_b32_e32 v9, v9, v11, vcc
	v_xor_b32_e32 v9, v9, v10
	v_sub_u32_e32 v9, v9, v10
	v_cmp_eq_u32_e32 vcc, 0, v9
	s_or_b64 s[0:1], vcc, s[0:1]
	s_and_saveexec_b64 s[8:9], s[0:1]
	s_cbranch_execz .LBB185_47
; %bb.49:                               ;   in Loop: Header=BB185_48 Depth=1
	global_load_dword v8, v[16:17], off
	s_load_dword s10, s[14:15], 0x0
	v_add_u32_e32 v50, v47, v44
	v_cmp_eq_u32_e32 vcc, s21, v43
	v_add_u32_e32 v52, 1, v50
	v_add_u32_e32 v51, 2, v50
	;; [unrolled: 1-line block ×3, first 2 shown]
	s_waitcnt vmcnt(0)
	v_mad_i64_i32 v[22:23], s[0:1], v8, s17, v[14:15]
	global_load_dword v18, v[22:23], off
	ds_read_b128 v[8:11], v49
	s_waitcnt vmcnt(0)
	v_and_b32_e32 v19, 0xffff, v18
	v_lshrrev_b32_e32 v20, 16, v18
	v_cvt_pk_f32_fp8_e32 v[18:19], v19
	v_cvt_pk_f32_fp8_e32 v[24:25], v20
	s_waitcnt lgkmcnt(0)
	v_pk_mul_f32 v[20:21], s[10:11], v[18:19] op_sel_hi:[0,1]
	v_pk_mul_f32 v[18:19], s[10:11], v[24:25] op_sel_hi:[0,1]
	s_and_saveexec_b64 s[12:13], vcc
; %bb.50:                               ;   in Loop: Header=BB185_48 Depth=1
	v_cmp_gt_i32_e64 s[0:1], s25, v50
	s_nop 1
	v_cndmask_b32_e64 v20, 0, v20, s[0:1]
	v_cmp_gt_i32_e64 s[0:1], s25, v52
	s_nop 1
	v_cndmask_b32_e64 v21, 0, v21, s[0:1]
	;; [unrolled: 3-line block ×4, first 2 shown]
; %bb.51:                               ;   in Loop: Header=BB185_48 Depth=1
	s_or_b64 exec, exec, s[12:13]
	global_load_dword v24, v[22:23], off offset:256
	s_mov_b32 s11, s10
	s_waitcnt vmcnt(0)
	v_and_b32_e32 v25, 0xffff, v24
	v_lshrrev_b32_e32 v26, 16, v24
	v_cvt_pk_f32_fp8_e32 v[24:25], v25
	v_cvt_pk_f32_fp8_e32 v[28:29], v26
	v_pk_mul_f32 v[26:27], s[10:11], v[24:25]
	v_pk_mul_f32 v[24:25], s[10:11], v[28:29]
	s_and_saveexec_b64 s[12:13], vcc
; %bb.52:                               ;   in Loop: Header=BB185_48 Depth=1
	v_cmp_gt_i32_e64 s[0:1], s25, v50
	s_nop 1
	v_cndmask_b32_e64 v26, 0, v26, s[0:1]
	v_cmp_gt_i32_e64 s[0:1], s25, v52
	s_nop 1
	v_cndmask_b32_e64 v27, 0, v27, s[0:1]
	v_cmp_gt_i32_e64 s[0:1], s25, v51
	s_nop 1
	v_cndmask_b32_e64 v24, 0, v24, s[0:1]
	v_cmp_gt_i32_e64 s[0:1], s25, v53
	s_nop 1
	v_cndmask_b32_e64 v25, 0, v25, s[0:1]
; %bb.53:                               ;   in Loop: Header=BB185_48 Depth=1
	s_or_b64 exec, exec, s[12:13]
	global_load_dword v28, v[22:23], off offset:512
	s_waitcnt vmcnt(0)
	v_and_b32_e32 v29, 0xffff, v28
	v_lshrrev_b32_e32 v30, 16, v28
	v_cvt_pk_f32_fp8_e32 v[28:29], v29
	v_cvt_pk_f32_fp8_e32 v[32:33], v30
	v_pk_mul_f32 v[30:31], s[10:11], v[28:29]
	v_pk_mul_f32 v[28:29], s[10:11], v[32:33]
	s_and_saveexec_b64 s[12:13], vcc
; %bb.54:                               ;   in Loop: Header=BB185_48 Depth=1
	v_cmp_gt_i32_e64 s[0:1], s25, v50
	s_nop 1
	v_cndmask_b32_e64 v30, 0, v30, s[0:1]
	v_cmp_gt_i32_e64 s[0:1], s25, v52
	s_nop 1
	v_cndmask_b32_e64 v31, 0, v31, s[0:1]
	v_cmp_gt_i32_e64 s[0:1], s25, v51
	s_nop 1
	v_cndmask_b32_e64 v28, 0, v28, s[0:1]
	v_cmp_gt_i32_e64 s[0:1], s25, v53
	s_nop 1
	v_cndmask_b32_e64 v29, 0, v29, s[0:1]
; %bb.55:                               ;   in Loop: Header=BB185_48 Depth=1
	s_or_b64 exec, exec, s[12:13]
	global_load_dword v32, v[22:23], off offset:768
	;; [unrolled: 24-line block ×4, first 2 shown]
	s_waitcnt vmcnt(0)
	v_and_b32_e32 v23, 0xffff, v22
	v_lshrrev_b32_e32 v40, 16, v22
	v_cvt_pk_f32_fp8_e32 v[22:23], v23
	v_cvt_pk_f32_fp8_e32 v[54:55], v40
	v_pk_mul_f32 v[40:41], s[10:11], v[22:23]
	v_pk_mul_f32 v[22:23], s[10:11], v[54:55]
	s_and_saveexec_b64 s[0:1], vcc
	s_cbranch_execz .LBB185_46
; %bb.60:                               ;   in Loop: Header=BB185_48 Depth=1
	v_cmp_gt_i32_e32 vcc, s25, v50
	s_nop 1
	v_cndmask_b32_e32 v40, 0, v40, vcc
	v_cmp_gt_i32_e32 vcc, s25, v52
	s_nop 1
	v_cndmask_b32_e32 v41, 0, v41, vcc
	;; [unrolled: 3-line block ×4, first 2 shown]
	s_branch .LBB185_46
.LBB185_61:
	s_or_b64 exec, exec, s[6:7]
.LBB185_62:
	s_or_b64 exec, exec, s[2:3]
	ds_bpermute_b32 v8, v46, v2
	ds_bpermute_b32 v9, v46, v3
	;; [unrolled: 1-line block ×6, first 2 shown]
	s_waitcnt lgkmcnt(4)
	v_pk_add_f32 v[2:3], v[2:3], v[8:9]
	ds_bpermute_b32 v8, v45, v2
	ds_bpermute_b32 v9, v45, v3
	s_waitcnt lgkmcnt(4)
	v_pk_add_f32 v[4:5], v[4:5], v[10:11]
	s_waitcnt lgkmcnt(2)
	v_pk_add_f32 v[14:15], v[6:7], v[14:15]
	ds_bpermute_b32 v10, v45, v4
	ds_bpermute_b32 v11, v45, v5
	;; [unrolled: 1-line block ×4, first 2 shown]
	s_waitcnt lgkmcnt(4)
	v_pk_add_f32 v[6:7], v[2:3], v[8:9]
	v_and_b32_e32 v8, 0x3c3, v0
	s_waitcnt lgkmcnt(2)
	v_pk_add_f32 v[2:3], v[4:5], v[10:11]
	v_cmp_eq_u32_e32 vcc, 64, v8
	s_waitcnt lgkmcnt(0)
	v_pk_add_f32 v[4:5], v[14:15], v[16:17]
	s_barrier
	s_and_saveexec_b64 s[0:1], vcc
	s_cbranch_execz .LBB185_64
; %bb.63:
	v_add_u32_e32 v9, 0x190, v13
	ds_write2_b32 v9, v6, v7 offset1:16
	ds_write2_b32 v9, v2, v3 offset0:32 offset1:48
	ds_write2_b32 v9, v4, v5 offset0:64 offset1:80
.LBB185_64:
	s_or_b64 exec, exec, s[0:1]
	v_cmp_gt_u32_e32 vcc, 64, v0
	s_waitcnt lgkmcnt(0)
	s_barrier
	s_and_saveexec_b64 s[0:1], vcc
	s_cbranch_execz .LBB185_73
; %bb.65:
	v_cmp_eq_u32_e32 vcc, 0, v12
	s_and_saveexec_b64 s[2:3], vcc
	s_cbranch_execnz .LBB185_76
; %bb.66:
	s_or_b64 exec, exec, s[2:3]
	s_and_saveexec_b64 s[2:3], vcc
	s_cbranch_execnz .LBB185_77
.LBB185_67:
	s_or_b64 exec, exec, s[2:3]
	s_and_saveexec_b64 s[2:3], vcc
	s_cbranch_execnz .LBB185_78
.LBB185_68:
	s_or_b64 exec, exec, s[2:3]
	s_and_saveexec_b64 s[2:3], vcc
	s_cbranch_execnz .LBB185_79
.LBB185_69:
	s_or_b64 exec, exec, s[2:3]
	s_and_saveexec_b64 s[2:3], vcc
	s_cbranch_execnz .LBB185_80
.LBB185_70:
	s_or_b64 exec, exec, s[2:3]
	s_and_saveexec_b64 s[2:3], vcc
	s_cbranch_execz .LBB185_72
.LBB185_71:
	v_mov_b32_e32 v0, 0x190
	v_lshl_add_u32 v0, v42, 2, v0
	ds_read_b32 v0, v0 offset:320
	s_waitcnt lgkmcnt(0)
	v_add_f32_e32 v5, v5, v0
.LBB185_72:
	s_or_b64 exec, exec, s[2:3]
.LBB185_73:
	s_or_b64 exec, exec, s[0:1]
	v_cmp_eq_u32_e32 vcc, 0, v8
	s_barrier
	s_and_saveexec_b64 s[0:1], vcc
	s_cbranch_execz .LBB185_75
; %bb.74:
	s_mul_i32 s0, s24, s16
	s_mul_i32 s0, s0, s5
	s_mulk_i32 s0, 0x60
	s_ashr_i32 s1, s0, 31
	s_lshl_b64 s[0:1], s[0:1], 2
	s_add_u32 s2, s28, s0
	s_mul_i32 s0, s16, s26
	s_addc_u32 s3, s29, s1
	s_ashr_i32 s1, s0, 31
	s_lshl_b64 s[0:1], s[0:1], 2
	s_add_u32 s2, s2, s0
	s_mul_i32 s0, s4, 0x60
	s_addc_u32 s3, s3, s1
	s_ashr_i32 s1, s0, 31
	s_lshl_b64 s[0:1], s[0:1], 2
	s_add_u32 s0, s2, s0
	s_addc_u32 s1, s3, s1
	global_store_dword v1, v6, s[0:1]
	global_store_dword v1, v7, s[0:1] offset:64
	global_store_dword v1, v2, s[0:1] offset:128
	;; [unrolled: 1-line block ×5, first 2 shown]
.LBB185_75:
	s_endpgm
.LBB185_76:
	v_mov_b32_e32 v0, 0x190
	v_lshl_add_u32 v0, v42, 2, v0
	ds_read_b32 v0, v0
	s_waitcnt lgkmcnt(0)
	v_add_f32_e32 v6, v6, v0
	s_or_b64 exec, exec, s[2:3]
	s_and_saveexec_b64 s[2:3], vcc
	s_cbranch_execz .LBB185_67
.LBB185_77:
	v_mov_b32_e32 v0, 0x190
	v_lshl_add_u32 v0, v42, 2, v0
	ds_read_b32 v0, v0 offset:64
	s_waitcnt lgkmcnt(0)
	v_add_f32_e32 v7, v7, v0
	s_or_b64 exec, exec, s[2:3]
	s_and_saveexec_b64 s[2:3], vcc
	s_cbranch_execz .LBB185_68
.LBB185_78:
	v_mov_b32_e32 v0, 0x190
	v_lshl_add_u32 v0, v42, 2, v0
	ds_read_b32 v0, v0 offset:128
	s_waitcnt lgkmcnt(0)
	v_add_f32_e32 v2, v2, v0
	s_or_b64 exec, exec, s[2:3]
	s_and_saveexec_b64 s[2:3], vcc
	s_cbranch_execz .LBB185_69
.LBB185_79:
	v_mov_b32_e32 v0, 0x190
	v_lshl_add_u32 v0, v42, 2, v0
	ds_read_b32 v0, v0 offset:192
	s_waitcnt lgkmcnt(0)
	v_add_f32_e32 v3, v3, v0
	s_or_b64 exec, exec, s[2:3]
	s_and_saveexec_b64 s[2:3], vcc
	s_cbranch_execz .LBB185_70
.LBB185_80:
	v_mov_b32_e32 v0, 0x190
	v_lshl_add_u32 v0, v42, 2, v0
	ds_read_b32 v0, v0 offset:256
	s_waitcnt lgkmcnt(0)
	v_add_f32_e32 v4, v4, v0
	s_or_b64 exec, exec, s[2:3]
	s_and_saveexec_b64 s[2:3], vcc
	s_cbranch_execnz .LBB185_71
	s_branch .LBB185_72
	.section	.rodata,"a",@progbits
	.p2align	6, 0x0
	.amdhsa_kernel _ZN4vllm25paged_attention_v1_kernelIfhLi96ELi16ELi128ELNS_18Fp8KVCacheDataTypeE1ELb1EEEvPT_PKS2_PKT0_S8_ifPKiSA_iPKfiiiSC_SC_iiiii
		.amdhsa_group_segment_fixed_size 400
		.amdhsa_private_segment_fixed_size 0
		.amdhsa_kernarg_size 384
		.amdhsa_user_sgpr_count 2
		.amdhsa_user_sgpr_dispatch_ptr 0
		.amdhsa_user_sgpr_queue_ptr 0
		.amdhsa_user_sgpr_kernarg_segment_ptr 1
		.amdhsa_user_sgpr_dispatch_id 0
		.amdhsa_user_sgpr_kernarg_preload_length 0
		.amdhsa_user_sgpr_kernarg_preload_offset 0
		.amdhsa_user_sgpr_private_segment_size 0
		.amdhsa_uses_dynamic_stack 0
		.amdhsa_enable_private_segment 0
		.amdhsa_system_sgpr_workgroup_id_x 1
		.amdhsa_system_sgpr_workgroup_id_y 1
		.amdhsa_system_sgpr_workgroup_id_z 1
		.amdhsa_system_sgpr_workgroup_info 0
		.amdhsa_system_vgpr_workitem_id 0
		.amdhsa_next_free_vgpr 76
		.amdhsa_next_free_sgpr 48
		.amdhsa_accum_offset 76
		.amdhsa_reserve_vcc 1
		.amdhsa_float_round_mode_32 0
		.amdhsa_float_round_mode_16_64 0
		.amdhsa_float_denorm_mode_32 3
		.amdhsa_float_denorm_mode_16_64 3
		.amdhsa_dx10_clamp 1
		.amdhsa_ieee_mode 1
		.amdhsa_fp16_overflow 0
		.amdhsa_tg_split 0
		.amdhsa_exception_fp_ieee_invalid_op 0
		.amdhsa_exception_fp_denorm_src 0
		.amdhsa_exception_fp_ieee_div_zero 0
		.amdhsa_exception_fp_ieee_overflow 0
		.amdhsa_exception_fp_ieee_underflow 0
		.amdhsa_exception_fp_ieee_inexact 0
		.amdhsa_exception_int_div_zero 0
	.end_amdhsa_kernel
	.section	.text._ZN4vllm25paged_attention_v1_kernelIfhLi96ELi16ELi128ELNS_18Fp8KVCacheDataTypeE1ELb1EEEvPT_PKS2_PKT0_S8_ifPKiSA_iPKfiiiSC_SC_iiiii,"axG",@progbits,_ZN4vllm25paged_attention_v1_kernelIfhLi96ELi16ELi128ELNS_18Fp8KVCacheDataTypeE1ELb1EEEvPT_PKS2_PKT0_S8_ifPKiSA_iPKfiiiSC_SC_iiiii,comdat
.Lfunc_end185:
	.size	_ZN4vllm25paged_attention_v1_kernelIfhLi96ELi16ELi128ELNS_18Fp8KVCacheDataTypeE1ELb1EEEvPT_PKS2_PKT0_S8_ifPKiSA_iPKfiiiSC_SC_iiiii, .Lfunc_end185-_ZN4vllm25paged_attention_v1_kernelIfhLi96ELi16ELi128ELNS_18Fp8KVCacheDataTypeE1ELb1EEEvPT_PKS2_PKT0_S8_ifPKiSA_iPKfiiiSC_SC_iiiii
                                        ; -- End function
	.section	.AMDGPU.csdata,"",@progbits
; Kernel info:
; codeLenInByte = 5712
; NumSgprs: 54
; NumVgprs: 76
; NumAgprs: 0
; TotalNumVgprs: 76
; ScratchSize: 0
; MemoryBound: 0
; FloatMode: 240
; IeeeMode: 1
; LDSByteSize: 400 bytes/workgroup (compile time only)
; SGPRBlocks: 6
; VGPRBlocks: 9
; NumSGPRsForWavesPerEU: 54
; NumVGPRsForWavesPerEU: 76
; AccumOffset: 76
; Occupancy: 6
; WaveLimiterHint : 1
; COMPUTE_PGM_RSRC2:SCRATCH_EN: 0
; COMPUTE_PGM_RSRC2:USER_SGPR: 2
; COMPUTE_PGM_RSRC2:TRAP_HANDLER: 0
; COMPUTE_PGM_RSRC2:TGID_X_EN: 1
; COMPUTE_PGM_RSRC2:TGID_Y_EN: 1
; COMPUTE_PGM_RSRC2:TGID_Z_EN: 1
; COMPUTE_PGM_RSRC2:TIDIG_COMP_CNT: 0
; COMPUTE_PGM_RSRC3_GFX90A:ACCUM_OFFSET: 18
; COMPUTE_PGM_RSRC3_GFX90A:TG_SPLIT: 0
	.section	.text._ZN4vllm25paged_attention_v1_kernelIfhLi112ELi16ELi128ELNS_18Fp8KVCacheDataTypeE1ELb1EEEvPT_PKS2_PKT0_S8_ifPKiSA_iPKfiiiSC_SC_iiiii,"axG",@progbits,_ZN4vllm25paged_attention_v1_kernelIfhLi112ELi16ELi128ELNS_18Fp8KVCacheDataTypeE1ELb1EEEvPT_PKS2_PKT0_S8_ifPKiSA_iPKfiiiSC_SC_iiiii,comdat
	.protected	_ZN4vllm25paged_attention_v1_kernelIfhLi112ELi16ELi128ELNS_18Fp8KVCacheDataTypeE1ELb1EEEvPT_PKS2_PKT0_S8_ifPKiSA_iPKfiiiSC_SC_iiiii ; -- Begin function _ZN4vllm25paged_attention_v1_kernelIfhLi112ELi16ELi128ELNS_18Fp8KVCacheDataTypeE1ELb1EEEvPT_PKS2_PKT0_S8_ifPKiSA_iPKfiiiSC_SC_iiiii
	.globl	_ZN4vllm25paged_attention_v1_kernelIfhLi112ELi16ELi128ELNS_18Fp8KVCacheDataTypeE1ELb1EEEvPT_PKS2_PKT0_S8_ifPKiSA_iPKfiiiSC_SC_iiiii
	.p2align	8
	.type	_ZN4vllm25paged_attention_v1_kernelIfhLi112ELi16ELi128ELNS_18Fp8KVCacheDataTypeE1ELb1EEEvPT_PKS2_PKT0_S8_ifPKiSA_iPKfiiiSC_SC_iiiii,@function
_ZN4vllm25paged_attention_v1_kernelIfhLi112ELi16ELi128ELNS_18Fp8KVCacheDataTypeE1ELb1EEEvPT_PKS2_PKT0_S8_ifPKiSA_iPKfiiiSC_SC_iiiii: ; @_ZN4vllm25paged_attention_v1_kernelIfhLi112ELi16ELi128ELNS_18Fp8KVCacheDataTypeE1ELb1EEEvPT_PKS2_PKT0_S8_ifPKiSA_iPKfiiiSC_SC_iiiii
; %bb.0:
	s_load_dword s5, s[0:1], 0x80
	s_load_dwordx2 s[6:7], s[0:1], 0x30
	s_load_dwordx2 s[36:37], s[0:1], 0x20
	s_mov_b32 s24, s3
	s_ashr_i32 s25, s3, 31
	s_lshl_b64 s[8:9], s[24:25], 2
	s_waitcnt lgkmcnt(0)
	s_add_u32 s6, s6, s8
	s_addc_u32 s7, s7, s9
	s_abs_i32 s3, s36
	v_cvt_f32_u32_e32 v1, s3
	s_sub_i32 s10, 0, s3
	s_abs_i32 s9, s5
	s_xor_b32 s8, s5, s36
	v_rcp_iflag_f32_e32 v1, v1
	s_ashr_i32 s8, s8, 31
	s_mov_b32 s44, 0
	v_mul_f32_e32 v1, 0x4f7ffffe, v1
	v_cvt_u32_f32_e32 v1, v1
	s_nop 0
	v_readfirstlane_b32 s11, v1
	s_mul_i32 s10, s10, s11
	s_mul_hi_u32 s10, s11, s10
	s_add_i32 s11, s11, s10
	s_mul_hi_u32 s10, s9, s11
	s_mul_i32 s11, s10, s3
	s_sub_i32 s9, s9, s11
	s_add_i32 s11, s10, 1
	s_sub_i32 s12, s9, s3
	s_cmp_ge_u32 s9, s3
	s_cselect_b32 s10, s11, s10
	s_cselect_b32 s9, s12, s9
	s_add_i32 s11, s10, 1
	s_cmp_ge_u32 s9, s3
	s_cselect_b32 s3, s11, s10
	s_xor_b32 s3, s3, s8
	s_sub_i32 s12, s3, s8
	s_abs_i32 s10, s12
	v_cvt_f32_u32_e32 v1, s10
	s_load_dwordx2 s[8:9], s[0:1], 0x40
	s_sub_i32 s3, 0, s10
	s_abs_i32 s11, s2
	v_rcp_iflag_f32_e32 v1, v1
	s_nop 0
	v_mul_f32_e32 v1, 0x4f7ffffe, v1
	v_cvt_u32_f32_e32 v1, v1
	s_nop 0
	v_readfirstlane_b32 s13, v1
	s_mul_i32 s3, s3, s13
	s_mul_hi_u32 s3, s13, s3
	s_add_i32 s13, s13, s3
	s_waitcnt lgkmcnt(0)
	s_cmp_eq_u64 s[8:9], 0
	s_mul_hi_u32 s16, s11, s13
	s_cbranch_scc1 .LBB186_2
; %bb.1:
	s_ashr_i32 s3, s2, 31
	s_lshl_b64 s[14:15], s[2:3], 2
	s_add_u32 s8, s8, s14
	s_addc_u32 s9, s9, s15
	s_load_dword s44, s[8:9], 0x0
.LBB186_2:
	s_load_dword s25, s[6:7], 0x0
	s_ashr_i32 s9, s12, 31
	s_load_dwordx4 s[12:15], s[0:1], 0x48
	v_lshrrev_b32_e32 v48, 2, v0
	s_movk_i32 s3, 0x70
	s_ashr_i32 s8, s2, 31
	v_and_b32_e32 v14, 3, v0
	s_mul_i32 s26, s2, 0x70
	v_cmp_gt_u32_e32 vcc, s3, v0
	v_lshlrev_b32_e32 v10, 2, v0
	v_lshlrev_b32_e32 v1, 2, v48
	s_and_saveexec_b64 s[6:7], vcc
	s_cbranch_execz .LBB186_4
; %bb.3:
	s_load_dwordx2 s[18:19], s[0:1], 0x8
	s_waitcnt lgkmcnt(0)
	s_mul_i32 s20, s24, s12
	s_ashr_i32 s21, s20, 31
	s_lshl_b64 s[20:21], s[20:21], 2
	v_mad_u32_u24 v3, v14, s3, v1
	s_add_u32 s12, s18, s20
	s_addc_u32 s15, s19, s21
	s_ashr_i32 s27, s26, 31
	s_lshl_b64 s[18:19], s[26:27], 2
	s_add_u32 s18, s12, s18
	s_addc_u32 s19, s15, s19
	global_load_dword v2, v10, s[18:19]
	s_waitcnt vmcnt(0)
	ds_write_b32 v3, v2
.LBB186_4:
	s_or_b64 exec, exec, s[6:7]
	s_mul_i32 s7, s16, s10
	s_sub_i32 s7, s11, s7
	s_xor_b32 s6, s8, s9
	s_add_i32 s8, s16, 1
	s_sub_i32 s9, s7, s10
	s_load_dwordx4 s[20:23], s[0:1], 0x68
	s_load_dword s3, s[0:1], 0x78
	s_cmp_ge_u32 s7, s10
	s_cselect_b32 s8, s8, s16
	s_cselect_b32 s7, s9, s7
	s_add_i32 s9, s8, 1
	s_cmp_ge_u32 s7, s10
	s_cselect_b32 s7, s9, s8
	s_waitcnt lgkmcnt(0)
	s_abs_i32 s27, s23
	v_cvt_f32_u32_e32 v2, s27
	s_xor_b32 s7, s7, s6
	s_sub_i32 s43, s7, s6
	s_sub_i32 s6, 0, s27
	v_rcp_iflag_f32_e32 v2, v2
	s_add_i32 s12, s25, -1
	s_abs_i32 s8, s12
	v_mul_f32_e32 v2, 0x4f7ffffe, v2
	v_cvt_u32_f32_e32 v2, v2
	s_barrier
	v_readfirstlane_b32 s33, v2
	s_mul_i32 s6, s6, s33
	s_mul_hi_u32 s6, s33, s6
	s_add_i32 s33, s33, s6
	s_cmp_lt_i32 s3, 0
	s_mul_hi_u32 s9, s8, s33
	s_cbranch_scc0 .LBB186_6
; %bb.5:
	s_mul_i32 s6, s20, s36
	s_add_i32 s6, s43, s6
	s_mul_i32 s6, s6, s3
	s_sub_i32 s36, 1, s6
	s_mov_b64 s[6:7], 0
	s_branch .LBB186_7
.LBB186_6:
	s_mov_b64 s[6:7], -1
                                        ; implicit-def: $sgpr36
.LBB186_7:
	s_load_dwordx2 s[10:11], s[0:1], 0x28
	s_ashr_i32 s12, s12, 31
	s_andn2_b64 vcc, exec, s[6:7]
	s_ashr_i32 s23, s23, 31
	s_cbranch_vccnz .LBB186_9
; %bb.8:
	s_mul_i32 s6, s5, s20
	s_add_i32 s2, s6, s2
	s_mul_i32 s2, s2, s3
	s_add_i32 s36, s2, 1
.LBB186_9:
	s_load_dword s2, s[0:1], 0x38
	s_load_dwordx2 s[28:29], s[0:1], 0x0
	s_load_dwordx2 s[34:35], s[0:1], 0x18
	s_load_dword s20, s[0:1], 0x88
	s_load_dwordx4 s[16:19], s[0:1], 0x58
	s_mul_i32 s3, s9, s27
	s_waitcnt lgkmcnt(0)
	s_mul_i32 s30, s24, s2
	s_sub_i32 s3, s8, s3
	s_ashr_i32 s31, s30, 31
	s_xor_b32 s2, s12, s23
	s_add_i32 s6, s9, 1
	s_sub_i32 s7, s3, s27
	s_cmp_ge_u32 s3, s27
	s_cselect_b32 s6, s6, s9
	s_cselect_b32 s3, s7, s3
	s_add_i32 s7, s6, 1
	s_cmp_ge_u32 s3, s27
	s_cselect_b32 s3, s7, s6
	s_xor_b32 s3, s3, s2
	s_sub_i32 s12, s3, s2
	s_add_i32 s2, s25, 15
	s_ashr_i32 s3, s2, 31
	s_lshr_b32 s3, s3, 28
	s_add_i32 s2, s2, s3
	s_ashr_i32 s42, s2, 4
	v_lshrrev_b32_e32 v9, 6, v0
	v_cmp_gt_i32_e64 s[6:7], s42, v9
	v_mov_b32_e32 v12, 0xff7fffff
	s_mul_i32 s43, s43, s14
	v_lshrrev_b32_e32 v11, 4, v0
	v_lshlrev_b32_e32 v49, 4, v9
	v_mbcnt_lo_u32_b32 v6, -1, 0
	s_and_saveexec_b64 s[14:15], s[6:7]
	s_cbranch_execz .LBB186_19
; %bb.10:
	s_load_dwordx2 s[0:1], s[0:1], 0x10
	s_sub_i32 s45, s12, s21
	s_ashr_i32 s2, s43, 31
	v_bfe_u32 v7, v0, 2, 4
	v_mov_b32_e32 v5, 0
	s_waitcnt lgkmcnt(0)
	s_add_u32 s0, s0, s43
	s_addc_u32 s1, s1, s2
	s_abs_i32 s46, s22
	v_cvt_f32_u32_e32 v2, s46
	v_lshlrev_b32_e32 v4, 4, v7
	v_mbcnt_hi_u32_b32 v20, -1, v6
	v_cmp_eq_u32_e32 vcc, 0, v14
	v_rcp_iflag_f32_e32 v2, v2
	s_mov_b32 s47, s13
	v_mul_u32_u24_e32 v8, 0x70, v14
	v_cmp_neq_f32_e64 s[2:3], s44, 0
	v_mul_f32_e32 v2, 0x4f7ffffe, v2
	v_cvt_u32_f32_e32 v12, v2
	v_lshl_add_u64 v[2:3], s[0:1], 0, v[4:5]
	s_sub_i32 s0, 0, s46
	v_mov_b32_e32 v15, v5
	v_mul_lo_u32 v4, s0, v12
	v_mul_hi_u32 v4, v12, v4
	v_add_u32_e32 v13, v12, v4
	v_lshlrev_b32_e32 v12, 2, v7
	s_lshl_b64 s[0:1], s[30:31], 2
	v_lshl_or_b32 v12, v9, 6, v12
	s_add_u32 s0, s10, s0
	v_add_u32_e32 v17, 0x1d0, v12
	v_subrev_u32_e32 v12, s25, v7
	v_and_b32_e32 v4, 60, v11
	s_addc_u32 s1, s11, s1
	v_add_u32_e32 v18, 1, v12
	v_and_b32_e32 v12, 64, v20
	v_lshl_add_u64 v[4:5], s[0:1], 0, v[4:5]
	v_lshlrev_b32_e32 v16, 4, v9
	s_mov_b64 s[38:39], 0
	v_mov_b32_e32 v19, 0xff7fffff
	v_add_u32_e32 v21, 64, v12
	v_xor_b32_e32 v22, 2, v20
	v_xor_b32_e32 v23, 1, v20
	v_mov_b32_e32 v12, 0xff7fffff
	v_mov_b32_e32 v24, v9
	s_branch .LBB186_13
.LBB186_11:                             ;   in Loop: Header=BB186_13 Depth=1
	s_or_b64 exec, exec, s[40:41]
.LBB186_12:                             ;   in Loop: Header=BB186_13 Depth=1
	s_or_b64 exec, exec, s[8:9]
	v_add_u32_e32 v24, 2, v24
	v_cmp_le_i32_e64 s[0:1], s42, v24
	v_lshl_add_u64 v[4:5], v[4:5], 0, 8
	v_add_u32_e32 v16, 32, v16
	s_or_b64 s[38:39], s[0:1], s[38:39]
	v_add_u32_e32 v17, 0x80, v17
	s_andn2_b64 exec, exec, s[38:39]
	s_cbranch_execz .LBB186_18
.LBB186_13:                             ; =>This Inner Loop Header: Depth=1
	v_mul_hi_u32 v25, v16, s33
	s_waitcnt lgkmcnt(0)
	v_mul_lo_u32 v26, v25, s27
	v_sub_u32_e32 v26, v16, v26
	v_add_u32_e32 v27, 1, v25
	v_cmp_le_u32_e64 s[0:1], s27, v26
	s_nop 1
	v_cndmask_b32_e64 v25, v25, v27, s[0:1]
	v_subrev_u32_e32 v27, s27, v26
	v_cndmask_b32_e64 v26, v26, v27, s[0:1]
	v_add_u32_e32 v27, 1, v25
	v_cmp_le_u32_e64 s[0:1], s27, v26
	s_nop 1
	v_cndmask_b32_e64 v25, v25, v27, s[0:1]
	v_xor_b32_e32 v25, s23, v25
	v_subrev_u32_e32 v25, s23, v25
	v_add_u32_e32 v26, s36, v25
	v_sub_u32_e32 v28, 0, v26
	v_ashrrev_i32_e32 v27, 31, v26
	v_max_i32_e32 v26, v26, v28
	v_mul_hi_u32 v28, v26, v13
	v_mul_lo_u32 v28, v28, s46
	v_sub_u32_e32 v26, v26, v28
	v_subrev_u32_e32 v28, s46, v26
	v_cmp_le_u32_e64 s[0:1], s46, v26
	v_cmp_ge_i32_e64 s[8:9], s45, v25
	s_nop 0
	v_cndmask_b32_e64 v26, v26, v28, s[0:1]
	v_subrev_u32_e32 v28, s46, v26
	v_cmp_le_u32_e64 s[0:1], s46, v26
	s_nop 1
	v_cndmask_b32_e64 v26, v26, v28, s[0:1]
	v_xor_b32_e32 v26, v26, v27
	v_sub_u32_e32 v26, v26, v27
	v_cmp_ne_u32_e64 s[0:1], 0, v26
	s_and_b64 s[0:1], s[0:1], s[8:9]
	s_and_b64 s[40:41], vcc, s[0:1]
	s_and_saveexec_b64 s[8:9], s[40:41]
	s_cbranch_execz .LBB186_15
; %bb.14:                               ;   in Loop: Header=BB186_13 Depth=1
	ds_write_b32 v17, v19
.LBB186_15:                             ;   in Loop: Header=BB186_13 Depth=1
	s_or_b64 exec, exec, s[8:9]
	s_xor_b64 s[0:1], s[0:1], -1
	s_and_saveexec_b64 s[8:9], s[0:1]
	s_cbranch_execz .LBB186_12
; %bb.16:                               ;   in Loop: Header=BB186_13 Depth=1
	global_load_dword v25, v[4:5], off
	s_waitcnt vmcnt(0)
	v_mad_i64_i32 v[26:27], s[0:1], v25, s47, v[2:3]
	v_lshl_add_u64 v[26:27], v[26:27], 0, v[14:15]
	global_load_ubyte v25, v[26:27], off
	global_load_ubyte v46, v[26:27], off offset:4
	global_load_ubyte v47, v[26:27], off offset:8
	;; [unrolled: 1-line block ×27, first 2 shown]
	ds_read_b128 v[26:29], v8
	ds_read_b128 v[30:33], v8 offset:16
	ds_read_b128 v[34:37], v8 offset:32
	;; [unrolled: 1-line block ×3, first 2 shown]
	s_load_dword s40, s[16:17], 0x0
	ds_read_b128 v[42:45], v8 offset:64
	ds_read_b128 v[50:53], v8 offset:80
	;; [unrolled: 1-line block ×3, first 2 shown]
	v_cmp_lt_i32_e64 s[0:1], v22, v21
	s_waitcnt vmcnt(27)
	v_cvt_f32_fp8_sdwa v25, v25 src0_sel:BYTE_0
	s_waitcnt vmcnt(26)
	v_cvt_f32_fp8_sdwa v46, v46 src0_sel:BYTE_0
	;; [unrolled: 2-line block ×5, first 2 shown]
	s_waitcnt lgkmcnt(0)
	v_mul_f32_e32 v46, s40, v46
	s_waitcnt vmcnt(22)
	v_cvt_f32_fp8_sdwa v60, v60 src0_sel:BYTE_0
	v_mul_f32_e32 v25, s40, v25
	v_mul_f32_e32 v27, v27, v46
	s_waitcnt vmcnt(21)
	v_cvt_f32_fp8_sdwa v61, v61 src0_sel:BYTE_0
	v_mul_f32_e32 v47, s40, v47
	v_fmac_f32_e32 v27, v26, v25
	s_waitcnt vmcnt(20)
	v_cvt_f32_fp8_sdwa v62, v62 src0_sel:BYTE_0
	v_mul_f32_e32 v58, s40, v58
	v_fmac_f32_e32 v27, v28, v47
	;; [unrolled: 4-line block ×22, first 2 shown]
	v_mul_f32_e32 v79, s40, v79
	v_fmac_f32_e32 v27, v53, v78
	v_mul_f32_e32 v80, s40, v80
	v_fmac_f32_e32 v27, v54, v79
	;; [unrolled: 2-line block ×3, first 2 shown]
	v_cndmask_b32_e64 v83, v20, v22, s[0:1]
	v_mul_f32_e32 v82, s40, v82
	v_fmac_f32_e32 v27, v56, v81
	v_lshlrev_b32_e32 v25, 2, v83
	v_fmac_f32_e32 v27, v57, v82
	ds_bpermute_b32 v25, v25, v27
	v_cmp_lt_i32_e64 s[0:1], v23, v21
	s_waitcnt lgkmcnt(0)
	v_add_f32_e32 v25, v27, v25
	v_cndmask_b32_e64 v26, v20, v23, s[0:1]
	v_lshlrev_b32_e32 v26, 2, v26
	ds_bpermute_b32 v26, v26, v25
	s_and_saveexec_b64 s[40:41], vcc
	s_cbranch_execz .LBB186_11
; %bb.17:                               ;   in Loop: Header=BB186_13 Depth=1
	v_add_u32_e32 v27, v18, v16
	v_cvt_f32_i32_e32 v27, v27
	s_waitcnt lgkmcnt(0)
	v_add_f32_e32 v25, v25, v26
	v_add_u32_e32 v28, v7, v16
	v_cmp_gt_i32_e64 s[0:1], s25, v28
	v_mul_f32_e32 v26, s44, v27
	v_cndmask_b32_e64 v26, 0, v26, s[2:3]
	v_fmac_f32_e32 v26, s37, v25
	v_cndmask_b32_e64 v25, 0, v26, s[0:1]
	ds_write_b32 v17, v25
	v_max_f32_e32 v25, v12, v12
	v_max_f32_e32 v25, v25, v26
	v_cndmask_b32_e64 v12, v12, v25, s[0:1]
	s_branch .LBB186_11
.LBB186_18:
	s_or_b64 exec, exec, s[38:39]
.LBB186_19:
	s_or_b64 exec, exec, s[14:15]
	v_mbcnt_hi_u32_b32 v2, -1, v6
	v_and_b32_e32 v3, 64, v2
	v_add_u32_e32 v3, 64, v3
	v_xor_b32_e32 v4, 32, v2
	v_cmp_lt_i32_e32 vcc, v4, v3
	v_xor_b32_e32 v7, 16, v2
	v_max_f32_e32 v6, v12, v12
	v_cndmask_b32_e32 v4, v2, v4, vcc
	v_lshlrev_b32_e32 v4, 2, v4
	ds_bpermute_b32 v5, v4, v12
	v_cmp_lt_i32_e32 vcc, v7, v3
	v_xor_b32_e32 v8, 8, v2
	v_xor_b32_e32 v12, 4, v2
	v_and_b32_e32 v15, 63, v0
	s_waitcnt lgkmcnt(0)
	v_max_f32_e32 v5, v5, v5
	v_max_f32_e32 v6, v6, v5
	v_cndmask_b32_e32 v5, v2, v7, vcc
	v_lshlrev_b32_e32 v5, 2, v5
	ds_bpermute_b32 v7, v5, v6
	v_cmp_lt_i32_e32 vcc, v8, v3
	s_waitcnt lgkmcnt(0)
	v_max_f32_e32 v7, v7, v7
	v_max_f32_e32 v6, v6, v7
	v_cndmask_b32_e32 v7, v2, v8, vcc
	v_lshlrev_b32_e32 v8, 2, v7
	ds_bpermute_b32 v7, v8, v6
	v_cmp_lt_i32_e32 vcc, v12, v3
	s_waitcnt lgkmcnt(0)
	v_max_f32_e32 v7, v7, v7
	v_max_f32_e32 v7, v6, v7
	v_cndmask_b32_e32 v6, v2, v12, vcc
	v_lshlrev_b32_e32 v12, 2, v6
	ds_bpermute_b32 v13, v12, v7
	v_cmp_eq_u32_e32 vcc, 0, v15
	v_lshlrev_b32_e32 v6, 2, v9
	s_and_saveexec_b64 s[0:1], vcc
	s_cbranch_execz .LBB186_21
; %bb.20:
	s_waitcnt lgkmcnt(0)
	v_max_f32_e32 v13, v13, v13
	v_max_f32_e32 v7, v7, v7
	;; [unrolled: 1-line block ×3, first 2 shown]
	ds_write_b32 v6, v7 offset:448
.LBB186_21:
	s_or_b64 exec, exec, s[0:1]
	v_cmp_gt_u32_e64 s[0:1], 2, v15
	s_waitcnt lgkmcnt(0)
	v_mov_b32_e32 v13, 0xff7fffff
	v_lshlrev_b32_e32 v7, 2, v15
	s_barrier
	s_and_saveexec_b64 s[2:3], s[0:1]
	s_cbranch_execz .LBB186_23
; %bb.22:
	ds_read_b32 v13, v7 offset:448
.LBB186_23:
	s_or_b64 exec, exec, s[2:3]
	v_xor_b32_e32 v16, 1, v2
	v_cmp_lt_i32_e64 s[2:3], v16, v3
	v_lshlrev_b32_e32 v17, 2, v2
	s_nop 0
	v_cndmask_b32_e64 v16, v2, v16, s[2:3]
	v_lshlrev_b32_e32 v50, 2, v16
	s_waitcnt lgkmcnt(0)
	ds_bpermute_b32 v16, v50, v13
	v_max_f32_e32 v13, v13, v13
	s_lshl_b32 s2, s42, 4
	s_min_i32 s37, s2, s25
	v_cmp_gt_i32_e64 s[2:3], s37, v0
	s_waitcnt lgkmcnt(0)
	v_max_f32_e32 v16, v16, v16
	v_max_f32_e32 v16, v13, v16
	v_and_b32_e32 v13, 0x100, v17
	ds_bpermute_b32 v17, v13, v16
	v_mov_b32_e32 v16, 0
	s_and_saveexec_b64 s[14:15], s[2:3]
	s_cbranch_execz .LBB186_27
; %bb.24:
	v_mov_b32_e32 v16, 0x1d0
	v_lshl_add_u32 v18, v0, 2, v16
	s_mov_b64 s[16:17], 0
	v_mov_b32_e32 v16, 0
	v_mov_b32_e32 v19, v0
.LBB186_25:                             ; =>This Inner Loop Header: Depth=1
	ds_read_b32 v20, v18
	v_add_u32_e32 v19, 0x80, v19
	v_cmp_le_i32_e64 s[8:9], s37, v19
	s_or_b64 s[16:17], s[8:9], s[16:17]
	s_waitcnt lgkmcnt(0)
	v_sub_f32_e32 v20, v20, v17
	v_mul_f32_e32 v20, 0x3fb8aa3b, v20
	v_exp_f32_e32 v20, v20
	ds_write_b32 v18, v20
	v_add_f32_e32 v16, v16, v20
	v_add_u32_e32 v18, 0x200, v18
	s_andn2_b64 exec, exec, s[16:17]
	s_cbranch_execnz .LBB186_25
; %bb.26:
	s_or_b64 exec, exec, s[16:17]
.LBB186_27:
	s_or_b64 exec, exec, s[14:15]
	ds_bpermute_b32 v4, v4, v16
	s_waitcnt lgkmcnt(0)
	v_add_f32_e32 v4, v16, v4
	ds_bpermute_b32 v5, v5, v4
	s_waitcnt lgkmcnt(0)
	v_add_f32_e32 v4, v4, v5
	ds_bpermute_b32 v5, v8, v4
	v_xor_b32_e32 v8, 2, v2
	v_cmp_lt_i32_e64 s[8:9], v8, v3
	s_waitcnt lgkmcnt(0)
	v_add_f32_e32 v4, v4, v5
	ds_bpermute_b32 v5, v12, v4
	v_cndmask_b32_e64 v2, v2, v8, s[8:9]
	v_lshlrev_b32_e32 v51, 2, v2
	s_waitcnt lgkmcnt(0)
	v_add_f32_e32 v3, v4, v5
	ds_bpermute_b32 v2, v51, v3
	s_waitcnt lgkmcnt(0)
	v_add_f32_e32 v2, v3, v2
	ds_bpermute_b32 v3, v50, v2
	s_waitcnt lgkmcnt(0)
	v_add_f32_e32 v2, v2, v3
	s_and_saveexec_b64 s[8:9], vcc
	s_cbranch_execz .LBB186_29
; %bb.28:
	ds_write_b32 v6, v2 offset:456
.LBB186_29:
	s_or_b64 exec, exec, s[8:9]
	s_waitcnt lgkmcnt(0)
	s_barrier
	s_and_saveexec_b64 s[8:9], s[0:1]
	s_cbranch_execz .LBB186_31
; %bb.30:
	ds_read_b32 v2, v7 offset:456
.LBB186_31:
	s_or_b64 exec, exec, s[8:9]
	s_waitcnt lgkmcnt(0)
	ds_bpermute_b32 v3, v50, v2
	s_waitcnt lgkmcnt(0)
	v_add_f32_e32 v2, v2, v3
	ds_bpermute_b32 v2, v13, v2
	s_and_saveexec_b64 s[0:1], s[2:3]
	s_cbranch_execz .LBB186_44
; %bb.32:
	s_waitcnt lgkmcnt(0)
	v_add_f32_e32 v2, 0x358637bd, v2
	v_div_scale_f32 v3, s[2:3], v2, v2, 1.0
	v_rcp_f32_e32 v4, v3
	v_div_scale_f32 v5, vcc, 1.0, v2, 1.0
	s_movk_i32 s2, 0x7f
	v_fma_f32 v6, -v3, v4, 1.0
	v_fmac_f32_e32 v4, v6, v4
	v_mul_f32_e32 v6, v5, v4
	v_fma_f32 v7, -v3, v6, v5
	v_fmac_f32_e32 v6, v7, v4
	v_fma_f32 v3, -v3, v6, v5
	v_div_fmas_f32 v3, v3, v4, v6
	v_xad_u32 v4, v0, -1, s37
	v_div_fixup_f32 v2, v3, v2, 1.0
	v_cmp_lt_u32_e32 vcc, s2, v4
	s_mov_b64 s[8:9], -1
	v_mov_b32_e32 v3, v0
	s_and_saveexec_b64 s[2:3], vcc
	s_cbranch_execz .LBB186_41
; %bb.33:
	v_lshrrev_b32_e32 v4, 7, v4
	v_add_u32_e32 v6, -1, v4
	v_lshrrev_b32_e32 v5, 1, v6
	v_mov_b32_e32 v3, v2
	v_add_u32_e32 v5, 1, v5
	v_cmp_lt_u32_e32 vcc, 13, v6
	v_mov_b32_e32 v8, 0
	s_and_saveexec_b64 s[8:9], vcc
	s_cbranch_execz .LBB186_37
; %bb.34:
	v_mov_b32_e32 v7, 0x1d0
	v_and_b32_e32 v6, -8, v5
	v_lshl_add_u32 v7, v0, 2, v7
	s_mov_b32 s16, 0
	s_mov_b64 s[14:15], 0
.LBB186_35:                             ; =>This Inner Loop Header: Depth=1
	ds_read2st64_b32 v[12:13], v7 offset1:2
	ds_read2st64_b32 v[16:17], v7 offset0:4 offset1:6
	ds_read2st64_b32 v[18:19], v7 offset0:8 offset1:10
	;; [unrolled: 1-line block ×3, first 2 shown]
	v_add_u32_e32 v6, -8, v6
	s_waitcnt lgkmcnt(3)
	v_pk_mul_f32 v[12:13], v[2:3], v[12:13]
	s_waitcnt lgkmcnt(2)
	v_pk_mul_f32 v[16:17], v[2:3], v[16:17]
	ds_write2st64_b32 v7, v12, v13 offset1:2
	ds_write2st64_b32 v7, v16, v17 offset0:4 offset1:6
	ds_read2st64_b32 v[16:17], v7 offset0:16 offset1:18
	s_waitcnt lgkmcnt(4)
	v_pk_mul_f32 v[12:13], v[2:3], v[18:19]
	ds_write2st64_b32 v7, v12, v13 offset0:8 offset1:10
	s_waitcnt lgkmcnt(4)
	v_pk_mul_f32 v[12:13], v[2:3], v[20:21]
	ds_write2st64_b32 v7, v12, v13 offset0:12 offset1:14
	ds_read2st64_b32 v[12:13], v7 offset0:20 offset1:22
	s_waitcnt lgkmcnt(3)
	v_pk_mul_f32 v[16:17], v[2:3], v[16:17]
	ds_read2st64_b32 v[18:19], v7 offset0:24 offset1:26
	ds_write2st64_b32 v7, v16, v17 offset0:16 offset1:18
	ds_read2st64_b32 v[16:17], v7 offset0:28 offset1:30
	s_waitcnt lgkmcnt(3)
	v_pk_mul_f32 v[12:13], v[2:3], v[12:13]
	ds_write2st64_b32 v7, v12, v13 offset0:20 offset1:22
	s_waitcnt lgkmcnt(3)
	v_pk_mul_f32 v[12:13], v[2:3], v[18:19]
	ds_write2st64_b32 v7, v12, v13 offset0:24 offset1:26
	s_waitcnt lgkmcnt(2)
	v_pk_mul_f32 v[12:13], v[2:3], v[16:17]
	s_add_i32 s16, s16, 16
	v_cmp_eq_u32_e32 vcc, 0, v6
	ds_write2st64_b32 v7, v12, v13 offset0:28 offset1:30
	v_add_u32_e32 v7, 0x2000, v7
	s_or_b64 s[14:15], vcc, s[14:15]
	v_mov_b32_e32 v8, s16
	s_andn2_b64 exec, exec, s[14:15]
	s_cbranch_execnz .LBB186_35
; %bb.36:
	s_or_b64 exec, exec, s[14:15]
.LBB186_37:
	s_or_b64 exec, exec, s[8:9]
	v_and_b32_e32 v5, 7, v5
	v_cmp_ne_u32_e32 vcc, 0, v5
	s_and_saveexec_b64 s[8:9], vcc
	s_cbranch_execz .LBB186_40
; %bb.38:
	v_lshlrev_b32_e32 v6, 9, v8
	s_movk_i32 s14, 0x1d0
	v_add3_u32 v6, v6, v10, s14
	s_mov_b64 s[14:15], 0
.LBB186_39:                             ; =>This Inner Loop Header: Depth=1
	ds_read2st64_b32 v[12:13], v6 offset1:2
	v_add_u32_e32 v5, -1, v5
	v_cmp_eq_u32_e32 vcc, 0, v5
	s_or_b64 s[14:15], vcc, s[14:15]
	s_waitcnt lgkmcnt(0)
	v_pk_mul_f32 v[12:13], v[2:3], v[12:13]
	ds_write2st64_b32 v6, v12, v13 offset1:2
	v_add_u32_e32 v6, 0x400, v6
	s_andn2_b64 exec, exec, s[14:15]
	s_cbranch_execnz .LBB186_39
.LBB186_40:
	s_or_b64 exec, exec, s[8:9]
	v_add_u32_e32 v4, 1, v4
	v_and_b32_e32 v5, 0x3fffffe, v4
	v_cmp_ne_u32_e32 vcc, v4, v5
	v_lshl_add_u32 v3, v5, 7, v0
	s_orn2_b64 s[8:9], vcc, exec
.LBB186_41:
	s_or_b64 exec, exec, s[2:3]
	s_and_b64 exec, exec, s[8:9]
	s_cbranch_execz .LBB186_44
; %bb.42:
	v_mov_b32_e32 v4, 0x1d0
	v_lshl_add_u32 v4, v3, 2, v4
	s_mov_b64 s[2:3], 0
.LBB186_43:                             ; =>This Inner Loop Header: Depth=1
	ds_read_b32 v5, v4
	v_add_u32_e32 v3, 0x80, v3
	v_cmp_le_i32_e32 vcc, s37, v3
	s_or_b64 s[2:3], vcc, s[2:3]
	s_waitcnt lgkmcnt(0)
	v_mul_f32_e32 v5, v2, v5
	ds_write_b32 v4, v5
	v_add_u32_e32 v4, 0x200, v4
	s_andn2_b64 exec, exec, s[2:3]
	s_cbranch_execnz .LBB186_43
.LBB186_44:
	s_or_b64 exec, exec, s[0:1]
	s_mov_b32 s8, 0
	v_mov_b32_e32 v8, 0
	v_mov_b32_e32 v7, 0
	;; [unrolled: 1-line block ×6, first 2 shown]
	s_waitcnt lgkmcnt(0)
	v_mov_b32_e32 v2, 0
	s_barrier
	s_and_saveexec_b64 s[2:3], s[6:7]
	s_cbranch_execz .LBB186_64
; %bb.45:
	s_sub_i32 s15, s12, s21
	s_ashr_i32 s1, s43, 31
	s_add_u32 s0, s34, s43
	s_addc_u32 s1, s35, s1
	s_abs_i32 s16, s22
	v_cvt_f32_u32_e32 v2, s16
	v_mov_b32_e32 v3, 0
	s_sub_i32 s6, 0, s16
	s_add_i32 s21, s42, -1
	v_rcp_iflag_f32_e32 v4, v2
	v_and_b32_e32 v2, 0xfc, v10
	v_lshl_add_u64 v[16:17], s[0:1], 0, v[2:3]
	s_lshl_b64 s[0:1], s[30:31], 2
	v_mul_f32_e32 v4, 0x4f7ffffe, v4
	v_cvt_u32_f32_e32 v4, v4
	s_add_u32 s0, s10, s0
	s_addc_u32 s1, s11, s1
	s_mov_b32 s17, s13
	v_mul_lo_u32 v2, s6, v4
	v_mul_hi_u32 v2, v4, v2
	v_add_u32_e32 v53, v4, v2
	v_and_b32_e32 v2, 60, v11
	v_lshl_add_u64 v[18:19], s[0:1], 0, v[2:3]
	v_lshlrev_b32_e32 v2, 4, v14
	v_lshl_or_b32 v2, v9, 6, v2
	v_add_u32_e32 v54, 0x1d0, v2
	s_mov_b32 s9, s8
	s_mov_b32 s10, s8
	;; [unrolled: 1-line block ×6, first 2 shown]
	v_mov_b32_e32 v2, s8
	v_and_b32_e32 v52, 12, v10
	s_mov_b64 s[6:7], 0
	v_mov_b32_e32 v3, s9
	v_mov_b32_e32 v4, s10
	;; [unrolled: 1-line block ×6, first 2 shown]
	s_branch .LBB186_48
.LBB186_46:                             ;   in Loop: Header=BB186_48 Depth=1
	s_or_b64 exec, exec, s[0:1]
	v_mul_f32_e32 v23, v11, v23
	v_fmac_f32_e32 v23, v10, v22
	v_fmac_f32_e32 v23, v12, v20
	v_mul_f32_e32 v20, v11, v29
	v_fmac_f32_e32 v20, v10, v28
	v_fmac_f32_e32 v20, v12, v26
	v_fmac_f32_e32 v20, v13, v27
	v_add_f32_e32 v3, v3, v20
	v_mul_f32_e32 v20, v11, v33
	v_fmac_f32_e32 v20, v10, v32
	v_fmac_f32_e32 v20, v12, v30
	v_fmac_f32_e32 v20, v13, v31
	v_add_f32_e32 v4, v4, v20
	;; [unrolled: 5-line block ×4, first 2 shown]
	v_mul_f32_e32 v20, v11, v45
	v_mul_f32_e32 v11, v11, v47
	v_fmac_f32_e32 v20, v10, v44
	v_fmac_f32_e32 v11, v10, v46
	;; [unrolled: 1-line block ×7, first 2 shown]
	v_add_f32_e32 v2, v2, v23
	v_add_f32_e32 v7, v7, v20
	;; [unrolled: 1-line block ×3, first 2 shown]
.LBB186_47:                             ;   in Loop: Header=BB186_48 Depth=1
	s_or_b64 exec, exec, s[8:9]
	v_add_u32_e32 v9, 2, v9
	v_cmp_le_i32_e32 vcc, s42, v9
	v_lshl_add_u64 v[18:19], v[18:19], 0, 8
	v_add_u32_e32 v49, 32, v49
	s_or_b64 s[6:7], vcc, s[6:7]
	v_add_u32_e32 v54, 0x80, v54
	s_andn2_b64 exec, exec, s[6:7]
	s_cbranch_execz .LBB186_63
.LBB186_48:                             ; =>This Inner Loop Header: Depth=1
	v_mul_hi_u32 v10, v49, s33
	v_mul_lo_u32 v11, v10, s27
	v_sub_u32_e32 v11, v49, v11
	v_add_u32_e32 v12, 1, v10
	v_cmp_le_u32_e32 vcc, s27, v11
	s_nop 1
	v_cndmask_b32_e32 v10, v10, v12, vcc
	v_subrev_u32_e32 v12, s27, v11
	v_cndmask_b32_e32 v11, v11, v12, vcc
	v_add_u32_e32 v12, 1, v10
	v_cmp_le_u32_e32 vcc, s27, v11
	s_nop 1
	v_cndmask_b32_e32 v10, v10, v12, vcc
	v_xor_b32_e32 v10, s23, v10
	v_subrev_u32_e32 v10, s23, v10
	v_add_u32_e32 v11, s36, v10
	v_sub_u32_e32 v13, 0, v11
	v_ashrrev_i32_e32 v12, 31, v11
	v_max_i32_e32 v11, v11, v13
	v_mul_hi_u32 v13, v11, v53
	v_mul_lo_u32 v13, v13, s16
	v_sub_u32_e32 v11, v11, v13
	v_subrev_u32_e32 v13, s16, v11
	v_cmp_le_u32_e32 vcc, s16, v11
	v_cmp_lt_i32_e64 s[0:1], s15, v10
	s_nop 0
	v_cndmask_b32_e32 v11, v11, v13, vcc
	v_subrev_u32_e32 v13, s16, v11
	v_cmp_le_u32_e32 vcc, s16, v11
	s_nop 1
	v_cndmask_b32_e32 v11, v11, v13, vcc
	v_xor_b32_e32 v11, v11, v12
	v_sub_u32_e32 v11, v11, v12
	v_cmp_eq_u32_e32 vcc, 0, v11
	s_or_b64 s[0:1], vcc, s[0:1]
	s_and_saveexec_b64 s[8:9], s[0:1]
	s_cbranch_execz .LBB186_47
; %bb.49:                               ;   in Loop: Header=BB186_48 Depth=1
	global_load_dword v10, v[18:19], off
	s_load_dword s10, s[18:19], 0x0
	v_add_u32_e32 v55, v52, v49
	v_cmp_eq_u32_e32 vcc, s21, v9
	v_add_u32_e32 v57, 1, v55
	v_add_u32_e32 v56, 2, v55
	;; [unrolled: 1-line block ×3, first 2 shown]
	s_waitcnt vmcnt(0)
	v_mad_i64_i32 v[24:25], s[0:1], v10, s17, v[16:17]
	global_load_dword v20, v[24:25], off
	ds_read_b128 v[10:13], v54
	s_waitcnt vmcnt(0)
	v_and_b32_e32 v21, 0xffff, v20
	v_lshrrev_b32_e32 v22, 16, v20
	v_cvt_pk_f32_fp8_e32 v[20:21], v21
	v_cvt_pk_f32_fp8_e32 v[26:27], v22
	s_waitcnt lgkmcnt(0)
	v_pk_mul_f32 v[22:23], s[10:11], v[20:21] op_sel_hi:[0,1]
	v_pk_mul_f32 v[20:21], s[10:11], v[26:27] op_sel_hi:[0,1]
	s_and_saveexec_b64 s[12:13], vcc
; %bb.50:                               ;   in Loop: Header=BB186_48 Depth=1
	v_cmp_gt_i32_e64 s[0:1], s25, v55
	s_nop 1
	v_cndmask_b32_e64 v22, 0, v22, s[0:1]
	v_cmp_gt_i32_e64 s[0:1], s25, v57
	s_nop 1
	v_cndmask_b32_e64 v23, 0, v23, s[0:1]
	;; [unrolled: 3-line block ×4, first 2 shown]
; %bb.51:                               ;   in Loop: Header=BB186_48 Depth=1
	s_or_b64 exec, exec, s[12:13]
	global_load_dword v26, v[24:25], off offset:256
	s_mov_b32 s11, s10
	s_waitcnt vmcnt(0)
	v_and_b32_e32 v27, 0xffff, v26
	v_lshrrev_b32_e32 v28, 16, v26
	v_cvt_pk_f32_fp8_e32 v[26:27], v27
	v_cvt_pk_f32_fp8_e32 v[30:31], v28
	v_pk_mul_f32 v[28:29], s[10:11], v[26:27]
	v_pk_mul_f32 v[26:27], s[10:11], v[30:31]
	s_and_saveexec_b64 s[12:13], vcc
; %bb.52:                               ;   in Loop: Header=BB186_48 Depth=1
	v_cmp_gt_i32_e64 s[0:1], s25, v55
	s_nop 1
	v_cndmask_b32_e64 v28, 0, v28, s[0:1]
	v_cmp_gt_i32_e64 s[0:1], s25, v57
	s_nop 1
	v_cndmask_b32_e64 v29, 0, v29, s[0:1]
	v_cmp_gt_i32_e64 s[0:1], s25, v56
	s_nop 1
	v_cndmask_b32_e64 v26, 0, v26, s[0:1]
	v_cmp_gt_i32_e64 s[0:1], s25, v58
	s_nop 1
	v_cndmask_b32_e64 v27, 0, v27, s[0:1]
; %bb.53:                               ;   in Loop: Header=BB186_48 Depth=1
	s_or_b64 exec, exec, s[12:13]
	global_load_dword v30, v[24:25], off offset:512
	s_waitcnt vmcnt(0)
	v_and_b32_e32 v31, 0xffff, v30
	v_lshrrev_b32_e32 v32, 16, v30
	v_cvt_pk_f32_fp8_e32 v[30:31], v31
	v_cvt_pk_f32_fp8_e32 v[34:35], v32
	v_pk_mul_f32 v[32:33], s[10:11], v[30:31]
	v_pk_mul_f32 v[30:31], s[10:11], v[34:35]
	s_and_saveexec_b64 s[12:13], vcc
; %bb.54:                               ;   in Loop: Header=BB186_48 Depth=1
	v_cmp_gt_i32_e64 s[0:1], s25, v55
	s_nop 1
	v_cndmask_b32_e64 v32, 0, v32, s[0:1]
	v_cmp_gt_i32_e64 s[0:1], s25, v57
	s_nop 1
	v_cndmask_b32_e64 v33, 0, v33, s[0:1]
	v_cmp_gt_i32_e64 s[0:1], s25, v56
	s_nop 1
	v_cndmask_b32_e64 v30, 0, v30, s[0:1]
	v_cmp_gt_i32_e64 s[0:1], s25, v58
	s_nop 1
	v_cndmask_b32_e64 v31, 0, v31, s[0:1]
; %bb.55:                               ;   in Loop: Header=BB186_48 Depth=1
	s_or_b64 exec, exec, s[12:13]
	global_load_dword v34, v[24:25], off offset:768
	;; [unrolled: 24-line block ×5, first 2 shown]
	s_waitcnt vmcnt(0)
	v_and_b32_e32 v25, 0xffff, v24
	v_lshrrev_b32_e32 v46, 16, v24
	v_cvt_pk_f32_fp8_e32 v[24:25], v25
	v_cvt_pk_f32_fp8_e32 v[60:61], v46
	v_pk_mul_f32 v[46:47], s[10:11], v[24:25]
	v_pk_mul_f32 v[24:25], s[10:11], v[60:61]
	s_and_saveexec_b64 s[0:1], vcc
	s_cbranch_execz .LBB186_46
; %bb.62:                               ;   in Loop: Header=BB186_48 Depth=1
	v_cmp_gt_i32_e32 vcc, s25, v55
	s_nop 1
	v_cndmask_b32_e32 v46, 0, v46, vcc
	v_cmp_gt_i32_e32 vcc, s25, v57
	s_nop 1
	v_cndmask_b32_e32 v47, 0, v47, vcc
	;; [unrolled: 3-line block ×4, first 2 shown]
	s_branch .LBB186_46
.LBB186_63:
	s_or_b64 exec, exec, s[6:7]
.LBB186_64:
	s_or_b64 exec, exec, s[2:3]
	ds_bpermute_b32 v10, v51, v2
	ds_bpermute_b32 v11, v51, v3
	;; [unrolled: 1-line block ×7, first 2 shown]
	s_waitcnt lgkmcnt(5)
	v_pk_add_f32 v[2:3], v[2:3], v[10:11]
	s_waitcnt lgkmcnt(3)
	v_pk_add_f32 v[6:7], v[6:7], v[16:17]
	ds_bpermute_b32 v10, v50, v2
	ds_bpermute_b32 v11, v50, v3
	s_waitcnt lgkmcnt(3)
	v_pk_add_f32 v[4:5], v[4:5], v[12:13]
	ds_bpermute_b32 v16, v50, v6
	ds_bpermute_b32 v17, v50, v7
	s_waitcnt lgkmcnt(4)
	v_add_f32_e32 v18, v8, v9
	ds_bpermute_b32 v12, v50, v4
	ds_bpermute_b32 v13, v50, v5
	;; [unrolled: 1-line block ×3, first 2 shown]
	s_waitcnt lgkmcnt(5)
	v_pk_add_f32 v[8:9], v[2:3], v[10:11]
	s_waitcnt lgkmcnt(3)
	v_pk_add_f32 v[2:3], v[6:7], v[16:17]
	v_and_b32_e32 v7, 0x3c3, v0
	s_waitcnt lgkmcnt(1)
	v_pk_add_f32 v[4:5], v[4:5], v[12:13]
	s_waitcnt lgkmcnt(0)
	v_add_f32_e32 v6, v18, v19
	v_cmp_eq_u32_e32 vcc, 64, v7
	s_barrier
	s_and_saveexec_b64 s[0:1], vcc
	s_cbranch_execz .LBB186_66
; %bb.65:
	v_add_u32_e32 v10, 0x1d0, v15
	ds_write2_b32 v10, v8, v9 offset1:16
	ds_write2_b32 v10, v4, v5 offset0:32 offset1:48
	ds_write2_b32 v10, v2, v3 offset0:64 offset1:80
	ds_write_b32 v10, v6 offset:384
.LBB186_66:
	s_or_b64 exec, exec, s[0:1]
	v_cmp_gt_u32_e32 vcc, 64, v0
	s_waitcnt lgkmcnt(0)
	s_barrier
	s_and_saveexec_b64 s[0:1], vcc
	s_cbranch_execz .LBB186_76
; %bb.67:
	v_cmp_eq_u32_e32 vcc, 0, v14
	s_and_saveexec_b64 s[2:3], vcc
	s_cbranch_execnz .LBB186_79
; %bb.68:
	s_or_b64 exec, exec, s[2:3]
	s_and_saveexec_b64 s[2:3], vcc
	s_cbranch_execnz .LBB186_80
.LBB186_69:
	s_or_b64 exec, exec, s[2:3]
	s_and_saveexec_b64 s[2:3], vcc
	s_cbranch_execnz .LBB186_81
.LBB186_70:
	s_or_b64 exec, exec, s[2:3]
	s_and_saveexec_b64 s[2:3], vcc
	s_cbranch_execnz .LBB186_82
.LBB186_71:
	s_or_b64 exec, exec, s[2:3]
	s_and_saveexec_b64 s[2:3], vcc
	s_cbranch_execnz .LBB186_83
.LBB186_72:
	s_or_b64 exec, exec, s[2:3]
	s_and_saveexec_b64 s[2:3], vcc
	s_cbranch_execnz .LBB186_84
.LBB186_73:
	s_or_b64 exec, exec, s[2:3]
	s_and_saveexec_b64 s[2:3], vcc
	s_cbranch_execz .LBB186_75
.LBB186_74:
	v_mov_b32_e32 v0, 0x1d0
	v_lshl_add_u32 v0, v48, 2, v0
	ds_read_b32 v0, v0 offset:384
	s_waitcnt lgkmcnt(0)
	v_add_f32_e32 v6, v6, v0
.LBB186_75:
	s_or_b64 exec, exec, s[2:3]
.LBB186_76:
	s_or_b64 exec, exec, s[0:1]
	v_cmp_eq_u32_e32 vcc, 0, v7
	s_barrier
	s_and_saveexec_b64 s[0:1], vcc
	s_cbranch_execz .LBB186_78
; %bb.77:
	s_mul_i32 s0, s24, s20
	s_mul_i32 s0, s0, s5
	s_mulk_i32 s0, 0x70
	s_ashr_i32 s1, s0, 31
	s_lshl_b64 s[0:1], s[0:1], 2
	s_add_u32 s2, s28, s0
	s_mul_i32 s0, s20, s26
	s_addc_u32 s3, s29, s1
	s_ashr_i32 s1, s0, 31
	s_lshl_b64 s[0:1], s[0:1], 2
	s_add_u32 s2, s2, s0
	s_mul_i32 s0, s4, 0x70
	s_addc_u32 s3, s3, s1
	s_ashr_i32 s1, s0, 31
	s_lshl_b64 s[0:1], s[0:1], 2
	s_add_u32 s0, s2, s0
	s_addc_u32 s1, s3, s1
	global_store_dword v1, v8, s[0:1]
	global_store_dword v1, v9, s[0:1] offset:64
	global_store_dword v1, v4, s[0:1] offset:128
	;; [unrolled: 1-line block ×6, first 2 shown]
.LBB186_78:
	s_endpgm
.LBB186_79:
	v_mov_b32_e32 v0, 0x1d0
	v_lshl_add_u32 v0, v48, 2, v0
	ds_read_b32 v0, v0
	s_waitcnt lgkmcnt(0)
	v_add_f32_e32 v8, v8, v0
	s_or_b64 exec, exec, s[2:3]
	s_and_saveexec_b64 s[2:3], vcc
	s_cbranch_execz .LBB186_69
.LBB186_80:
	v_mov_b32_e32 v0, 0x1d0
	v_lshl_add_u32 v0, v48, 2, v0
	ds_read_b32 v0, v0 offset:64
	s_waitcnt lgkmcnt(0)
	v_add_f32_e32 v9, v9, v0
	s_or_b64 exec, exec, s[2:3]
	s_and_saveexec_b64 s[2:3], vcc
	s_cbranch_execz .LBB186_70
.LBB186_81:
	v_mov_b32_e32 v0, 0x1d0
	v_lshl_add_u32 v0, v48, 2, v0
	ds_read_b32 v0, v0 offset:128
	s_waitcnt lgkmcnt(0)
	v_add_f32_e32 v4, v4, v0
	s_or_b64 exec, exec, s[2:3]
	s_and_saveexec_b64 s[2:3], vcc
	s_cbranch_execz .LBB186_71
.LBB186_82:
	v_mov_b32_e32 v0, 0x1d0
	v_lshl_add_u32 v0, v48, 2, v0
	ds_read_b32 v0, v0 offset:192
	s_waitcnt lgkmcnt(0)
	v_add_f32_e32 v5, v5, v0
	s_or_b64 exec, exec, s[2:3]
	s_and_saveexec_b64 s[2:3], vcc
	s_cbranch_execz .LBB186_72
.LBB186_83:
	v_mov_b32_e32 v0, 0x1d0
	v_lshl_add_u32 v0, v48, 2, v0
	ds_read_b32 v0, v0 offset:256
	s_waitcnt lgkmcnt(0)
	v_add_f32_e32 v2, v2, v0
	s_or_b64 exec, exec, s[2:3]
	s_and_saveexec_b64 s[2:3], vcc
	s_cbranch_execz .LBB186_73
.LBB186_84:
	v_mov_b32_e32 v0, 0x1d0
	v_lshl_add_u32 v0, v48, 2, v0
	ds_read_b32 v0, v0 offset:320
	s_waitcnt lgkmcnt(0)
	v_add_f32_e32 v3, v3, v0
	s_or_b64 exec, exec, s[2:3]
	s_and_saveexec_b64 s[2:3], vcc
	s_cbranch_execnz .LBB186_74
	s_branch .LBB186_75
	.section	.rodata,"a",@progbits
	.p2align	6, 0x0
	.amdhsa_kernel _ZN4vllm25paged_attention_v1_kernelIfhLi112ELi16ELi128ELNS_18Fp8KVCacheDataTypeE1ELb1EEEvPT_PKS2_PKT0_S8_ifPKiSA_iPKfiiiSC_SC_iiiii
		.amdhsa_group_segment_fixed_size 464
		.amdhsa_private_segment_fixed_size 0
		.amdhsa_kernarg_size 384
		.amdhsa_user_sgpr_count 2
		.amdhsa_user_sgpr_dispatch_ptr 0
		.amdhsa_user_sgpr_queue_ptr 0
		.amdhsa_user_sgpr_kernarg_segment_ptr 1
		.amdhsa_user_sgpr_dispatch_id 0
		.amdhsa_user_sgpr_kernarg_preload_length 0
		.amdhsa_user_sgpr_kernarg_preload_offset 0
		.amdhsa_user_sgpr_private_segment_size 0
		.amdhsa_uses_dynamic_stack 0
		.amdhsa_enable_private_segment 0
		.amdhsa_system_sgpr_workgroup_id_x 1
		.amdhsa_system_sgpr_workgroup_id_y 1
		.amdhsa_system_sgpr_workgroup_id_z 1
		.amdhsa_system_sgpr_workgroup_info 0
		.amdhsa_system_vgpr_workitem_id 0
		.amdhsa_next_free_vgpr 84
		.amdhsa_next_free_sgpr 48
		.amdhsa_accum_offset 84
		.amdhsa_reserve_vcc 1
		.amdhsa_float_round_mode_32 0
		.amdhsa_float_round_mode_16_64 0
		.amdhsa_float_denorm_mode_32 3
		.amdhsa_float_denorm_mode_16_64 3
		.amdhsa_dx10_clamp 1
		.amdhsa_ieee_mode 1
		.amdhsa_fp16_overflow 0
		.amdhsa_tg_split 0
		.amdhsa_exception_fp_ieee_invalid_op 0
		.amdhsa_exception_fp_denorm_src 0
		.amdhsa_exception_fp_ieee_div_zero 0
		.amdhsa_exception_fp_ieee_overflow 0
		.amdhsa_exception_fp_ieee_underflow 0
		.amdhsa_exception_fp_ieee_inexact 0
		.amdhsa_exception_int_div_zero 0
	.end_amdhsa_kernel
	.section	.text._ZN4vllm25paged_attention_v1_kernelIfhLi112ELi16ELi128ELNS_18Fp8KVCacheDataTypeE1ELb1EEEvPT_PKS2_PKT0_S8_ifPKiSA_iPKfiiiSC_SC_iiiii,"axG",@progbits,_ZN4vllm25paged_attention_v1_kernelIfhLi112ELi16ELi128ELNS_18Fp8KVCacheDataTypeE1ELb1EEEvPT_PKS2_PKT0_S8_ifPKiSA_iPKfiiiSC_SC_iiiii,comdat
.Lfunc_end186:
	.size	_ZN4vllm25paged_attention_v1_kernelIfhLi112ELi16ELi128ELNS_18Fp8KVCacheDataTypeE1ELb1EEEvPT_PKS2_PKT0_S8_ifPKiSA_iPKfiiiSC_SC_iiiii, .Lfunc_end186-_ZN4vllm25paged_attention_v1_kernelIfhLi112ELi16ELi128ELNS_18Fp8KVCacheDataTypeE1ELb1EEEvPT_PKS2_PKT0_S8_ifPKiSA_iPKfiiiSC_SC_iiiii
                                        ; -- End function
	.section	.AMDGPU.csdata,"",@progbits
; Kernel info:
; codeLenInByte = 6120
; NumSgprs: 54
; NumVgprs: 84
; NumAgprs: 0
; TotalNumVgprs: 84
; ScratchSize: 0
; MemoryBound: 0
; FloatMode: 240
; IeeeMode: 1
; LDSByteSize: 464 bytes/workgroup (compile time only)
; SGPRBlocks: 6
; VGPRBlocks: 10
; NumSGPRsForWavesPerEU: 54
; NumVGPRsForWavesPerEU: 84
; AccumOffset: 84
; Occupancy: 5
; WaveLimiterHint : 1
; COMPUTE_PGM_RSRC2:SCRATCH_EN: 0
; COMPUTE_PGM_RSRC2:USER_SGPR: 2
; COMPUTE_PGM_RSRC2:TRAP_HANDLER: 0
; COMPUTE_PGM_RSRC2:TGID_X_EN: 1
; COMPUTE_PGM_RSRC2:TGID_Y_EN: 1
; COMPUTE_PGM_RSRC2:TGID_Z_EN: 1
; COMPUTE_PGM_RSRC2:TIDIG_COMP_CNT: 0
; COMPUTE_PGM_RSRC3_GFX90A:ACCUM_OFFSET: 20
; COMPUTE_PGM_RSRC3_GFX90A:TG_SPLIT: 0
	.section	.text._ZN4vllm25paged_attention_v1_kernelIfhLi120ELi16ELi128ELNS_18Fp8KVCacheDataTypeE1ELb1EEEvPT_PKS2_PKT0_S8_ifPKiSA_iPKfiiiSC_SC_iiiii,"axG",@progbits,_ZN4vllm25paged_attention_v1_kernelIfhLi120ELi16ELi128ELNS_18Fp8KVCacheDataTypeE1ELb1EEEvPT_PKS2_PKT0_S8_ifPKiSA_iPKfiiiSC_SC_iiiii,comdat
	.protected	_ZN4vllm25paged_attention_v1_kernelIfhLi120ELi16ELi128ELNS_18Fp8KVCacheDataTypeE1ELb1EEEvPT_PKS2_PKT0_S8_ifPKiSA_iPKfiiiSC_SC_iiiii ; -- Begin function _ZN4vllm25paged_attention_v1_kernelIfhLi120ELi16ELi128ELNS_18Fp8KVCacheDataTypeE1ELb1EEEvPT_PKS2_PKT0_S8_ifPKiSA_iPKfiiiSC_SC_iiiii
	.globl	_ZN4vllm25paged_attention_v1_kernelIfhLi120ELi16ELi128ELNS_18Fp8KVCacheDataTypeE1ELb1EEEvPT_PKS2_PKT0_S8_ifPKiSA_iPKfiiiSC_SC_iiiii
	.p2align	8
	.type	_ZN4vllm25paged_attention_v1_kernelIfhLi120ELi16ELi128ELNS_18Fp8KVCacheDataTypeE1ELb1EEEvPT_PKS2_PKT0_S8_ifPKiSA_iPKfiiiSC_SC_iiiii,@function
_ZN4vllm25paged_attention_v1_kernelIfhLi120ELi16ELi128ELNS_18Fp8KVCacheDataTypeE1ELb1EEEvPT_PKS2_PKT0_S8_ifPKiSA_iPKfiiiSC_SC_iiiii: ; @_ZN4vllm25paged_attention_v1_kernelIfhLi120ELi16ELi128ELNS_18Fp8KVCacheDataTypeE1ELb1EEEvPT_PKS2_PKT0_S8_ifPKiSA_iPKfiiiSC_SC_iiiii
; %bb.0:
	s_load_dword s5, s[0:1], 0x80
	s_load_dwordx2 s[6:7], s[0:1], 0x30
	s_load_dwordx2 s[36:37], s[0:1], 0x20
	s_mov_b32 s10, s3
	s_ashr_i32 s11, s3, 31
	s_lshl_b64 s[8:9], s[10:11], 2
	s_waitcnt lgkmcnt(0)
	s_add_u32 s6, s6, s8
	s_addc_u32 s7, s7, s9
	s_abs_i32 s3, s36
	v_cvt_f32_u32_e32 v1, s3
	s_sub_i32 s11, 0, s3
	s_abs_i32 s9, s5
	s_xor_b32 s8, s5, s36
	v_rcp_iflag_f32_e32 v1, v1
	s_ashr_i32 s8, s8, 31
	s_mov_b32 s44, 0
	v_mul_f32_e32 v1, 0x4f7ffffe, v1
	v_cvt_u32_f32_e32 v1, v1
	s_nop 0
	v_readfirstlane_b32 s12, v1
	s_mul_i32 s11, s11, s12
	s_mul_hi_u32 s11, s12, s11
	s_add_i32 s12, s12, s11
	s_mul_hi_u32 s11, s9, s12
	s_mul_i32 s12, s11, s3
	s_sub_i32 s9, s9, s12
	s_add_i32 s12, s11, 1
	s_sub_i32 s13, s9, s3
	s_cmp_ge_u32 s9, s3
	s_cselect_b32 s11, s12, s11
	s_cselect_b32 s9, s13, s9
	s_add_i32 s12, s11, 1
	s_cmp_ge_u32 s9, s3
	s_cselect_b32 s3, s12, s11
	s_xor_b32 s3, s3, s8
	s_sub_i32 s14, s3, s8
	s_abs_i32 s11, s14
	v_cvt_f32_u32_e32 v1, s11
	s_load_dwordx2 s[8:9], s[0:1], 0x40
	s_sub_i32 s3, 0, s11
	s_abs_i32 s12, s2
	v_rcp_iflag_f32_e32 v1, v1
	s_nop 0
	v_mul_f32_e32 v1, 0x4f7ffffe, v1
	v_cvt_u32_f32_e32 v1, v1
	s_nop 0
	v_readfirstlane_b32 s13, v1
	s_mul_i32 s3, s3, s13
	s_mul_hi_u32 s3, s13, s3
	s_add_i32 s13, s13, s3
	s_waitcnt lgkmcnt(0)
	s_cmp_eq_u64 s[8:9], 0
	s_mul_hi_u32 s13, s12, s13
	s_cbranch_scc1 .LBB187_2
; %bb.1:
	s_ashr_i32 s3, s2, 31
	s_lshl_b64 s[16:17], s[2:3], 2
	s_add_u32 s8, s8, s16
	s_addc_u32 s9, s9, s17
	s_load_dword s44, s[8:9], 0x0
.LBB187_2:
	s_load_dword s33, s[6:7], 0x0
	s_load_dwordx4 s[16:19], s[0:1], 0x48
	v_lshrrev_b32_e32 v54, 2, v0
	s_movk_i32 s8, 0x78
	s_ashr_i32 s3, s2, 31
	s_ashr_i32 s9, s14, 31
	v_and_b32_e32 v26, 3, v0
	s_mul_i32 s24, s2, 0x78
	v_cmp_gt_u32_e32 vcc, s8, v0
	v_lshlrev_b32_e32 v32, 2, v0
	v_lshlrev_b32_e32 v1, 2, v54
	s_and_saveexec_b64 s[6:7], vcc
	s_cbranch_execz .LBB187_4
; %bb.3:
	s_load_dwordx2 s[14:15], s[0:1], 0x8
	s_waitcnt lgkmcnt(0)
	s_mul_i32 s20, s10, s16
	s_ashr_i32 s21, s20, 31
	s_lshl_b64 s[20:21], s[20:21], 2
	v_mad_u32_u24 v3, v26, s8, v1
	s_add_u32 s16, s14, s20
	s_addc_u32 s19, s15, s21
	s_ashr_i32 s25, s24, 31
	s_lshl_b64 s[14:15], s[24:25], 2
	s_add_u32 s14, s16, s14
	s_addc_u32 s15, s19, s15
	global_load_dword v2, v32, s[14:15]
	s_waitcnt vmcnt(0)
	ds_write_b32 v3, v2
.LBB187_4:
	s_or_b64 exec, exec, s[6:7]
	s_mul_i32 s6, s13, s11
	s_sub_i32 s6, s12, s6
	s_xor_b32 s3, s3, s9
	s_add_i32 s7, s13, 1
	s_sub_i32 s9, s6, s11
	s_load_dwordx4 s[20:23], s[0:1], 0x68
	s_load_dword s8, s[0:1], 0x78
	s_cmp_ge_u32 s6, s11
	s_cselect_b32 s7, s7, s13
	s_cselect_b32 s6, s9, s6
	s_add_i32 s9, s7, 1
	s_cmp_ge_u32 s6, s11
	s_cselect_b32 s6, s9, s7
	s_waitcnt lgkmcnt(0)
	s_abs_i32 s25, s23
	v_cvt_f32_u32_e32 v2, s25
	s_xor_b32 s6, s6, s3
	s_sub_i32 s3, s6, s3
	s_sub_i32 s6, 0, s25
	v_rcp_iflag_f32_e32 v2, v2
	s_add_i32 s11, s33, -1
	s_abs_i32 s9, s11
	v_mul_f32_e32 v2, 0x4f7ffffe, v2
	v_cvt_u32_f32_e32 v2, v2
	s_barrier
	v_readfirstlane_b32 s42, v2
	s_mul_i32 s6, s6, s42
	s_mul_hi_u32 s6, s42, s6
	s_add_i32 s42, s42, s6
	s_cmp_lt_i32 s8, 0
	s_mul_hi_u32 s16, s9, s42
	s_cbranch_scc0 .LBB187_6
; %bb.5:
	s_mul_i32 s6, s20, s36
	s_add_i32 s6, s3, s6
	s_mul_i32 s6, s6, s8
	s_sub_i32 s36, 1, s6
	s_mov_b64 s[6:7], 0
	s_branch .LBB187_7
.LBB187_6:
	s_mov_b64 s[6:7], -1
                                        ; implicit-def: $sgpr36
.LBB187_7:
	s_load_dwordx2 s[28:29], s[0:1], 0x28
	s_ashr_i32 s19, s11, 31
	s_andn2_b64 vcc, exec, s[6:7]
	s_ashr_i32 s23, s23, 31
	s_cbranch_vccnz .LBB187_9
; %bb.8:
	s_mul_i32 s6, s5, s20
	s_add_i32 s2, s6, s2
	s_mul_i32 s2, s2, s8
	s_add_i32 s36, s2, 1
.LBB187_9:
	s_load_dword s2, s[0:1], 0x38
	s_load_dwordx2 s[26:27], s[0:1], 0x0
	s_load_dwordx2 s[34:35], s[0:1], 0x18
	s_load_dword s11, s[0:1], 0x88
	s_load_dwordx4 s[12:15], s[0:1], 0x58
	s_mul_i32 s6, s16, s25
	s_waitcnt lgkmcnt(0)
	s_mul_i32 s30, s10, s2
	s_sub_i32 s6, s9, s6
	s_ashr_i32 s31, s30, 31
	s_xor_b32 s2, s19, s23
	s_add_i32 s7, s16, 1
	s_sub_i32 s8, s6, s25
	s_cmp_ge_u32 s6, s25
	s_cselect_b32 s7, s7, s16
	s_cselect_b32 s6, s8, s6
	s_add_i32 s8, s7, 1
	s_cmp_ge_u32 s6, s25
	s_cselect_b32 s6, s8, s7
	s_xor_b32 s6, s6, s2
	s_sub_i32 s16, s6, s2
	s_add_i32 s2, s33, 15
	s_ashr_i32 s6, s2, 31
	s_lshr_b32 s6, s6, 28
	s_add_i32 s2, s2, s6
	s_ashr_i32 s43, s2, 4
	v_lshrrev_b32_e32 v55, 6, v0
	v_cmp_gt_i32_e64 s[6:7], s43, v55
	v_mov_b32_e32 v37, 0xff7fffff
	s_mul_i32 s20, s3, s18
	v_lshrrev_b32_e32 v33, 4, v0
	v_lshlrev_b32_e32 v56, 4, v55
	v_mbcnt_lo_u32_b32 v34, -1, 0
	s_and_saveexec_b64 s[18:19], s[6:7]
	s_cbranch_execz .LBB187_19
; %bb.10:
	s_load_dwordx2 s[0:1], s[0:1], 0x10
	s_sub_i32 s45, s16, s21
	s_ashr_i32 s2, s20, 31
	v_bfe_u32 v35, v0, 2, 4
	v_mov_b32_e32 v3, 0
	s_waitcnt lgkmcnt(0)
	s_add_u32 s0, s0, s20
	s_addc_u32 s1, s1, s2
	s_abs_i32 s46, s22
	v_cvt_f32_u32_e32 v2, s46
	v_mbcnt_hi_u32_b32 v43, -1, v34
	v_cmp_eq_u32_e32 vcc, 0, v26
	s_mov_b32 s47, s17
	v_rcp_iflag_f32_e32 v4, v2
	v_lshlrev_b32_e32 v2, 4, v35
	v_lshl_add_u64 v[28:29], s[0:1], 0, v[2:3]
	s_sub_i32 s0, 0, s46
	v_mul_f32_e32 v4, 0x4f7ffffe, v4
	v_cvt_u32_f32_e32 v4, v4
	v_mul_u32_u24_e32 v36, 0x78, v26
	v_cmp_neq_f32_e64 s[2:3], s44, 0
	v_mov_b32_e32 v27, v3
	v_mul_lo_u32 v2, s0, v4
	s_lshl_b64 s[0:1], s[30:31], 2
	v_mul_hi_u32 v2, v4, v2
	s_add_u32 s0, s28, s0
	v_add_u32_e32 v38, v4, v2
	v_and_b32_e32 v2, 60, v33
	s_addc_u32 s1, s29, s1
	v_lshl_add_u64 v[30:31], s[0:1], 0, v[2:3]
	v_lshlrev_b32_e32 v2, 2, v35
	v_lshl_or_b32 v2, v55, 6, v2
	v_add_u32_e32 v40, 0x1f0, v2
	v_subrev_u32_e32 v2, s33, v35
	v_add_u32_e32 v41, 1, v2
	v_and_b32_e32 v2, 64, v43
	v_lshlrev_b32_e32 v39, 4, v55
	s_mov_b64 s[38:39], 0
	v_mov_b32_e32 v42, 0xff7fffff
	v_add_u32_e32 v44, 64, v2
	v_xor_b32_e32 v45, 2, v43
	v_xor_b32_e32 v46, 1, v43
	v_mov_b32_e32 v37, 0xff7fffff
	v_mov_b32_e32 v47, v55
	s_branch .LBB187_13
.LBB187_11:                             ;   in Loop: Header=BB187_13 Depth=1
	s_or_b64 exec, exec, s[40:41]
.LBB187_12:                             ;   in Loop: Header=BB187_13 Depth=1
	s_or_b64 exec, exec, s[8:9]
	v_add_u32_e32 v47, 2, v47
	v_cmp_le_i32_e64 s[0:1], s43, v47
	v_lshl_add_u64 v[30:31], v[30:31], 0, 8
	v_add_u32_e32 v39, 32, v39
	s_or_b64 s[38:39], s[0:1], s[38:39]
	v_add_u32_e32 v40, 0x80, v40
	s_andn2_b64 exec, exec, s[38:39]
	s_cbranch_execz .LBB187_18
.LBB187_13:                             ; =>This Inner Loop Header: Depth=1
	v_mul_hi_u32 v2, v39, s42
	s_waitcnt lgkmcnt(0)
	v_mul_lo_u32 v3, v2, s25
	v_sub_u32_e32 v3, v39, v3
	v_add_u32_e32 v4, 1, v2
	v_cmp_le_u32_e64 s[0:1], s25, v3
	s_nop 1
	v_cndmask_b32_e64 v2, v2, v4, s[0:1]
	v_subrev_u32_e32 v4, s25, v3
	v_cndmask_b32_e64 v3, v3, v4, s[0:1]
	v_add_u32_e32 v4, 1, v2
	v_cmp_le_u32_e64 s[0:1], s25, v3
	s_nop 1
	v_cndmask_b32_e64 v2, v2, v4, s[0:1]
	v_xor_b32_e32 v2, s23, v2
	v_subrev_u32_e32 v2, s23, v2
	v_add_u32_e32 v3, s36, v2
	v_sub_u32_e32 v5, 0, v3
	v_ashrrev_i32_e32 v4, 31, v3
	v_max_i32_e32 v3, v3, v5
	v_mul_hi_u32 v5, v3, v38
	v_mul_lo_u32 v5, v5, s46
	v_sub_u32_e32 v3, v3, v5
	v_subrev_u32_e32 v5, s46, v3
	v_cmp_le_u32_e64 s[0:1], s46, v3
	v_cmp_ge_i32_e64 s[8:9], s45, v2
	s_nop 0
	v_cndmask_b32_e64 v3, v3, v5, s[0:1]
	v_subrev_u32_e32 v5, s46, v3
	v_cmp_le_u32_e64 s[0:1], s46, v3
	s_nop 1
	v_cndmask_b32_e64 v3, v3, v5, s[0:1]
	v_xor_b32_e32 v3, v3, v4
	v_sub_u32_e32 v3, v3, v4
	v_cmp_ne_u32_e64 s[0:1], 0, v3
	s_and_b64 s[0:1], s[0:1], s[8:9]
	s_and_b64 s[40:41], vcc, s[0:1]
	s_and_saveexec_b64 s[8:9], s[40:41]
	s_cbranch_execz .LBB187_15
; %bb.14:                               ;   in Loop: Header=BB187_13 Depth=1
	ds_write_b32 v40, v42
.LBB187_15:                             ;   in Loop: Header=BB187_13 Depth=1
	s_or_b64 exec, exec, s[8:9]
	s_xor_b64 s[0:1], s[0:1], -1
	s_and_saveexec_b64 s[8:9], s[0:1]
	s_cbranch_execz .LBB187_12
; %bb.16:                               ;   in Loop: Header=BB187_13 Depth=1
	global_load_dword v2, v[30:31], off
	s_waitcnt vmcnt(0)
	v_mad_i64_i32 v[2:3], s[0:1], v2, s47, v[28:29]
	v_lshl_add_u64 v[2:3], v[2:3], 0, v[26:27]
	global_load_ubyte v57, v[2:3], off
	global_load_ubyte v58, v[2:3], off offset:4
	global_load_ubyte v59, v[2:3], off offset:8
	;; [unrolled: 1-line block ×29, first 2 shown]
	ds_read2_b64 v[18:21], v36 offset1:1
	ds_read2_b64 v[14:17], v36 offset0:2 offset1:3
	ds_read2_b64 v[6:9], v36 offset0:4 offset1:5
	ds_read2_b64 v[2:5], v36 offset0:6 offset1:7
	s_load_dword s40, s[12:13], 0x0
	ds_read2_b64 v[10:13], v36 offset0:8 offset1:9
	ds_read2_b64 v[22:25], v36 offset0:10 offset1:11
	;; [unrolled: 1-line block ×3, first 2 shown]
	ds_read_b64 v[52:53], v36 offset:112
	v_cmp_lt_i32_e64 s[0:1], v45, v44
	s_waitcnt vmcnt(29)
	v_cvt_f32_fp8_sdwa v57, v57 src0_sel:BYTE_0
	s_waitcnt vmcnt(28)
	v_cvt_f32_fp8_sdwa v58, v58 src0_sel:BYTE_0
	;; [unrolled: 2-line block ×5, first 2 shown]
	s_waitcnt lgkmcnt(0)
	v_mul_f32_e32 v58, s40, v58
	s_waitcnt vmcnt(24)
	v_cvt_f32_fp8_sdwa v62, v62 src0_sel:BYTE_0
	v_mul_f32_e32 v57, s40, v57
	v_mul_f32_e32 v19, v19, v58
	s_waitcnt vmcnt(23)
	v_cvt_f32_fp8_sdwa v63, v63 src0_sel:BYTE_0
	v_mul_f32_e32 v59, s40, v59
	v_fmac_f32_e32 v19, v18, v57
	s_waitcnt vmcnt(22)
	v_cvt_f32_fp8_sdwa v64, v64 src0_sel:BYTE_0
	v_mul_f32_e32 v60, s40, v60
	v_fmac_f32_e32 v19, v20, v59
	;; [unrolled: 4-line block ×24, first 2 shown]
	v_mul_f32_e32 v83, s40, v83
	v_fmac_f32_e32 v19, v49, v82
	v_mul_f32_e32 v84, s40, v84
	v_fmac_f32_e32 v19, v50, v83
	;; [unrolled: 2-line block ×3, first 2 shown]
	v_cndmask_b32_e64 v87, v43, v45, s[0:1]
	v_mul_f32_e32 v86, s40, v86
	v_fmac_f32_e32 v19, v52, v85
	v_lshlrev_b32_e32 v14, 2, v87
	v_fmac_f32_e32 v19, v53, v86
	ds_bpermute_b32 v2, v14, v19
	v_cmp_lt_i32_e64 s[0:1], v46, v44
	s_waitcnt lgkmcnt(0)
	v_add_f32_e32 v2, v19, v2
	v_cndmask_b32_e64 v3, v43, v46, s[0:1]
	v_lshlrev_b32_e32 v3, 2, v3
	ds_bpermute_b32 v3, v3, v2
	s_and_saveexec_b64 s[40:41], vcc
	s_cbranch_execz .LBB187_11
; %bb.17:                               ;   in Loop: Header=BB187_13 Depth=1
	v_add_u32_e32 v4, v41, v39
	v_cvt_f32_i32_e32 v4, v4
	s_waitcnt lgkmcnt(0)
	v_add_f32_e32 v2, v2, v3
	v_add_u32_e32 v5, v35, v39
	v_cmp_gt_i32_e64 s[0:1], s33, v5
	v_mul_f32_e32 v3, s44, v4
	v_cndmask_b32_e64 v3, 0, v3, s[2:3]
	v_fmac_f32_e32 v3, s37, v2
	v_cndmask_b32_e64 v2, 0, v3, s[0:1]
	ds_write_b32 v40, v2
	v_max_f32_e32 v2, v37, v37
	v_max_f32_e32 v2, v2, v3
	v_cndmask_b32_e64 v37, v37, v2, s[0:1]
	s_branch .LBB187_11
.LBB187_18:
	s_or_b64 exec, exec, s[38:39]
.LBB187_19:
	s_or_b64 exec, exec, s[18:19]
	v_mbcnt_hi_u32_b32 v2, -1, v34
	s_waitcnt lgkmcnt(0)
	v_and_b32_e32 v3, 64, v2
	v_add_u32_e32 v3, 64, v3
	v_xor_b32_e32 v4, 32, v2
	v_cmp_lt_i32_e32 vcc, v4, v3
	v_xor_b32_e32 v7, 16, v2
	v_max_f32_e32 v6, v37, v37
	v_cndmask_b32_e32 v4, v2, v4, vcc
	v_lshlrev_b32_e32 v5, 2, v4
	ds_bpermute_b32 v4, v5, v37
	v_cmp_lt_i32_e32 vcc, v7, v3
	v_xor_b32_e32 v8, 8, v2
	v_xor_b32_e32 v10, 4, v2
	s_waitcnt lgkmcnt(0)
	v_max_f32_e32 v4, v4, v4
	v_max_f32_e32 v4, v6, v4
	v_cndmask_b32_e32 v6, v2, v7, vcc
	v_lshlrev_b32_e32 v6, 2, v6
	ds_bpermute_b32 v7, v6, v4
	v_cmp_lt_i32_e32 vcc, v8, v3
	s_waitcnt lgkmcnt(0)
	v_max_f32_e32 v7, v7, v7
	v_max_f32_e32 v4, v4, v7
	v_cndmask_b32_e32 v7, v2, v8, vcc
	v_lshlrev_b32_e32 v9, 2, v7
	ds_bpermute_b32 v7, v9, v4
	v_cmp_lt_i32_e32 vcc, v10, v3
	s_waitcnt lgkmcnt(0)
	v_max_f32_e32 v7, v7, v7
	v_max_f32_e32 v8, v4, v7
	v_cndmask_b32_e32 v4, v2, v10, vcc
	v_lshlrev_b32_e32 v10, 2, v4
	ds_bpermute_b32 v11, v10, v8
	v_and_b32_e32 v4, 63, v0
	v_cmp_eq_u32_e32 vcc, 0, v4
	v_lshlrev_b32_e32 v7, 2, v55
	s_and_saveexec_b64 s[0:1], vcc
	s_cbranch_execz .LBB187_21
; %bb.20:
	s_waitcnt lgkmcnt(0)
	v_max_f32_e32 v11, v11, v11
	v_max_f32_e32 v8, v8, v8
	v_max_f32_e32 v8, v8, v11
	ds_write_b32 v7, v8 offset:480
.LBB187_21:
	s_or_b64 exec, exec, s[0:1]
	v_cmp_gt_u32_e64 s[0:1], 2, v4
	s_waitcnt lgkmcnt(0)
	v_mov_b32_e32 v11, 0xff7fffff
	v_lshlrev_b32_e32 v8, 2, v4
	s_barrier
	s_and_saveexec_b64 s[2:3], s[0:1]
	s_cbranch_execz .LBB187_23
; %bb.22:
	ds_read_b32 v11, v8 offset:480
.LBB187_23:
	s_or_b64 exec, exec, s[2:3]
	v_xor_b32_e32 v12, 1, v2
	v_cmp_lt_i32_e64 s[2:3], v12, v3
	v_lshlrev_b32_e32 v13, 2, v2
	s_nop 0
	v_cndmask_b32_e64 v12, v2, v12, s[2:3]
	v_lshlrev_b32_e32 v27, 2, v12
	s_waitcnt lgkmcnt(0)
	ds_bpermute_b32 v12, v27, v11
	v_max_f32_e32 v11, v11, v11
	s_lshl_b32 s2, s43, 4
	s_min_i32 s37, s2, s33
	v_cmp_gt_i32_e64 s[2:3], s37, v0
	s_waitcnt lgkmcnt(0)
	v_max_f32_e32 v12, v12, v12
	v_max_f32_e32 v12, v11, v12
	v_and_b32_e32 v11, 0x100, v13
	ds_bpermute_b32 v13, v11, v12
	v_mov_b32_e32 v12, 0
	s_and_saveexec_b64 s[12:13], s[2:3]
	s_cbranch_execz .LBB187_27
; %bb.24:
	v_mov_b32_e32 v12, 0x1f0
	v_lshl_add_u32 v14, v0, 2, v12
	s_mov_b64 s[18:19], 0
	v_mov_b32_e32 v12, 0
	v_mov_b32_e32 v15, v0
.LBB187_25:                             ; =>This Inner Loop Header: Depth=1
	ds_read_b32 v16, v14
	v_add_u32_e32 v15, 0x80, v15
	v_cmp_le_i32_e64 s[8:9], s37, v15
	s_or_b64 s[18:19], s[8:9], s[18:19]
	s_waitcnt lgkmcnt(0)
	v_sub_f32_e32 v16, v16, v13
	v_mul_f32_e32 v16, 0x3fb8aa3b, v16
	v_exp_f32_e32 v16, v16
	ds_write_b32 v14, v16
	v_add_f32_e32 v12, v12, v16
	v_add_u32_e32 v14, 0x200, v14
	s_andn2_b64 exec, exec, s[18:19]
	s_cbranch_execnz .LBB187_25
; %bb.26:
	s_or_b64 exec, exec, s[18:19]
.LBB187_27:
	s_or_b64 exec, exec, s[12:13]
	ds_bpermute_b32 v5, v5, v12
	s_waitcnt lgkmcnt(0)
	v_add_f32_e32 v5, v12, v5
	ds_bpermute_b32 v6, v6, v5
	s_waitcnt lgkmcnt(0)
	v_add_f32_e32 v5, v5, v6
	ds_bpermute_b32 v6, v9, v5
	v_xor_b32_e32 v9, 2, v2
	v_cmp_lt_i32_e64 s[8:9], v9, v3
	s_waitcnt lgkmcnt(0)
	v_add_f32_e32 v5, v5, v6
	ds_bpermute_b32 v6, v10, v5
	v_cndmask_b32_e64 v2, v2, v9, s[8:9]
	v_lshlrev_b32_e32 v57, 2, v2
	s_waitcnt lgkmcnt(0)
	v_add_f32_e32 v3, v5, v6
	ds_bpermute_b32 v2, v57, v3
	s_waitcnt lgkmcnt(0)
	v_add_f32_e32 v2, v3, v2
	ds_bpermute_b32 v3, v27, v2
	s_waitcnt lgkmcnt(0)
	v_add_f32_e32 v2, v2, v3
	s_and_saveexec_b64 s[8:9], vcc
	s_cbranch_execz .LBB187_29
; %bb.28:
	ds_write_b32 v7, v2 offset:488
.LBB187_29:
	s_or_b64 exec, exec, s[8:9]
	s_waitcnt lgkmcnt(0)
	s_barrier
	s_and_saveexec_b64 s[8:9], s[0:1]
	s_cbranch_execz .LBB187_31
; %bb.30:
	ds_read_b32 v2, v8 offset:488
.LBB187_31:
	s_or_b64 exec, exec, s[8:9]
	s_waitcnt lgkmcnt(0)
	ds_bpermute_b32 v3, v27, v2
	s_waitcnt lgkmcnt(0)
	v_add_f32_e32 v2, v2, v3
	ds_bpermute_b32 v2, v11, v2
	s_and_saveexec_b64 s[0:1], s[2:3]
	s_cbranch_execz .LBB187_44
; %bb.32:
	s_waitcnt lgkmcnt(0)
	v_add_f32_e32 v2, 0x358637bd, v2
	v_div_scale_f32 v3, s[2:3], v2, v2, 1.0
	v_rcp_f32_e32 v5, v3
	v_div_scale_f32 v6, vcc, 1.0, v2, 1.0
	s_movk_i32 s2, 0x7f
	v_fma_f32 v7, -v3, v5, 1.0
	v_fmac_f32_e32 v5, v7, v5
	v_mul_f32_e32 v7, v6, v5
	v_fma_f32 v8, -v3, v7, v6
	v_fmac_f32_e32 v7, v8, v5
	v_fma_f32 v3, -v3, v7, v6
	v_div_fmas_f32 v3, v3, v5, v7
	v_xad_u32 v5, v0, -1, s37
	v_div_fixup_f32 v2, v3, v2, 1.0
	v_cmp_lt_u32_e32 vcc, s2, v5
	s_mov_b64 s[8:9], -1
	v_mov_b32_e32 v3, v0
	s_and_saveexec_b64 s[2:3], vcc
	s_cbranch_execz .LBB187_41
; %bb.33:
	v_lshrrev_b32_e32 v5, 7, v5
	v_add_u32_e32 v7, -1, v5
	v_lshrrev_b32_e32 v6, 1, v7
	v_mov_b32_e32 v3, v2
	v_add_u32_e32 v6, 1, v6
	v_cmp_lt_u32_e32 vcc, 13, v7
	v_mov_b32_e32 v9, 0
	s_and_saveexec_b64 s[8:9], vcc
	s_cbranch_execz .LBB187_37
; %bb.34:
	v_mov_b32_e32 v8, 0x1f0
	v_and_b32_e32 v7, -8, v6
	v_lshl_add_u32 v8, v0, 2, v8
	s_mov_b32 s18, 0
	s_mov_b64 s[12:13], 0
.LBB187_35:                             ; =>This Inner Loop Header: Depth=1
	ds_read2st64_b32 v[10:11], v8 offset1:2
	ds_read2st64_b32 v[12:13], v8 offset0:4 offset1:6
	ds_read2st64_b32 v[14:15], v8 offset0:8 offset1:10
	;; [unrolled: 1-line block ×3, first 2 shown]
	v_add_u32_e32 v7, -8, v7
	s_waitcnt lgkmcnt(3)
	v_pk_mul_f32 v[10:11], v[2:3], v[10:11]
	s_waitcnt lgkmcnt(2)
	v_pk_mul_f32 v[12:13], v[2:3], v[12:13]
	ds_write2st64_b32 v8, v10, v11 offset1:2
	ds_write2st64_b32 v8, v12, v13 offset0:4 offset1:6
	ds_read2st64_b32 v[12:13], v8 offset0:16 offset1:18
	s_waitcnt lgkmcnt(4)
	v_pk_mul_f32 v[10:11], v[2:3], v[14:15]
	ds_write2st64_b32 v8, v10, v11 offset0:8 offset1:10
	s_waitcnt lgkmcnt(4)
	v_pk_mul_f32 v[10:11], v[2:3], v[16:17]
	ds_write2st64_b32 v8, v10, v11 offset0:12 offset1:14
	ds_read2st64_b32 v[10:11], v8 offset0:20 offset1:22
	s_waitcnt lgkmcnt(3)
	v_pk_mul_f32 v[12:13], v[2:3], v[12:13]
	ds_read2st64_b32 v[14:15], v8 offset0:24 offset1:26
	ds_write2st64_b32 v8, v12, v13 offset0:16 offset1:18
	ds_read2st64_b32 v[12:13], v8 offset0:28 offset1:30
	s_waitcnt lgkmcnt(3)
	v_pk_mul_f32 v[10:11], v[2:3], v[10:11]
	ds_write2st64_b32 v8, v10, v11 offset0:20 offset1:22
	s_waitcnt lgkmcnt(3)
	v_pk_mul_f32 v[10:11], v[2:3], v[14:15]
	ds_write2st64_b32 v8, v10, v11 offset0:24 offset1:26
	s_waitcnt lgkmcnt(2)
	v_pk_mul_f32 v[10:11], v[2:3], v[12:13]
	s_add_i32 s18, s18, 16
	v_cmp_eq_u32_e32 vcc, 0, v7
	ds_write2st64_b32 v8, v10, v11 offset0:28 offset1:30
	v_add_u32_e32 v8, 0x2000, v8
	s_or_b64 s[12:13], vcc, s[12:13]
	v_mov_b32_e32 v9, s18
	s_andn2_b64 exec, exec, s[12:13]
	s_cbranch_execnz .LBB187_35
; %bb.36:
	s_or_b64 exec, exec, s[12:13]
.LBB187_37:
	s_or_b64 exec, exec, s[8:9]
	v_and_b32_e32 v6, 7, v6
	v_cmp_ne_u32_e32 vcc, 0, v6
	s_and_saveexec_b64 s[8:9], vcc
	s_cbranch_execz .LBB187_40
; %bb.38:
	v_lshlrev_b32_e32 v7, 9, v9
	s_movk_i32 s12, 0x1f0
	v_add3_u32 v7, v7, v32, s12
	s_mov_b64 s[12:13], 0
.LBB187_39:                             ; =>This Inner Loop Header: Depth=1
	ds_read2st64_b32 v[8:9], v7 offset1:2
	v_add_u32_e32 v6, -1, v6
	v_cmp_eq_u32_e32 vcc, 0, v6
	s_or_b64 s[12:13], vcc, s[12:13]
	s_waitcnt lgkmcnt(0)
	v_pk_mul_f32 v[8:9], v[2:3], v[8:9]
	ds_write2st64_b32 v7, v8, v9 offset1:2
	v_add_u32_e32 v7, 0x400, v7
	s_andn2_b64 exec, exec, s[12:13]
	s_cbranch_execnz .LBB187_39
.LBB187_40:
	s_or_b64 exec, exec, s[8:9]
	v_add_u32_e32 v5, 1, v5
	v_and_b32_e32 v6, 0x3fffffe, v5
	v_cmp_ne_u32_e32 vcc, v5, v6
	v_lshl_add_u32 v3, v6, 7, v0
	s_orn2_b64 s[8:9], vcc, exec
.LBB187_41:
	s_or_b64 exec, exec, s[2:3]
	s_and_b64 exec, exec, s[8:9]
	s_cbranch_execz .LBB187_44
; %bb.42:
	v_mov_b32_e32 v5, 0x1f0
	v_lshl_add_u32 v5, v3, 2, v5
	s_mov_b64 s[2:3], 0
.LBB187_43:                             ; =>This Inner Loop Header: Depth=1
	ds_read_b32 v6, v5
	v_add_u32_e32 v3, 0x80, v3
	v_cmp_le_i32_e32 vcc, s37, v3
	s_or_b64 s[2:3], vcc, s[2:3]
	s_waitcnt lgkmcnt(0)
	v_mul_f32_e32 v6, v2, v6
	ds_write_b32 v5, v6
	v_add_u32_e32 v5, 0x200, v5
	s_andn2_b64 exec, exec, s[2:3]
	s_cbranch_execnz .LBB187_43
.LBB187_44:
	s_or_b64 exec, exec, s[0:1]
	v_mov_b32_e32 v7, 0
	v_lshrrev_b32_e32 v58, 2, v4
	v_mov_b32_e32 v6, 0
	v_mov_b32_e32 v9, 0
	;; [unrolled: 1-line block ×7, first 2 shown]
	s_waitcnt lgkmcnt(0)
	s_barrier
	s_and_saveexec_b64 s[8:9], s[6:7]
	s_cbranch_execz .LBB187_68
; %bb.45:
	s_sub_i32 s37, s16, s21
	s_ashr_i32 s0, s20, 31
	s_add_u32 s6, s34, s20
	s_addc_u32 s7, s35, s0
	s_abs_i32 s22, s22
	v_cvt_f32_u32_e32 v2, s22
	v_or_b32_e32 v3, 0x70, v58
	s_movk_i32 s0, 0x78
	v_and_b32_e32 v59, 12, v32
	v_rcp_iflag_f32_e32 v2, v2
	v_cmp_gt_u32_e32 vcc, s0, v3
	s_sub_i32 s0, 0, s22
	s_add_i32 s34, s43, -1
	v_mul_f32_e32 v2, 0x4f7ffffe, v2
	v_cvt_u32_f32_e32 v2, v2
	v_lshl_or_b32 v16, v3, 4, v59
	v_mov_b32_e32 v15, 0
	s_mov_b32 s38, s17
	v_mul_lo_u32 v3, s0, v2
	s_lshl_b64 s[0:1], s[30:31], 2
	v_mul_hi_u32 v3, v2, v3
	s_add_u32 s0, s28, s0
	v_add_u32_e32 v60, v2, v3
	v_and_b32_e32 v2, 60, v33
	v_mov_b32_e32 v3, v15
	s_addc_u32 s1, s29, s1
	v_lshl_add_u64 v[18:19], s[0:1], 0, v[2:3]
	v_lshlrev_b32_e32 v2, 4, v26
	v_lshl_or_b32 v2, v55, 6, v2
	v_lshl_or_b32 v14, v58, 4, v59
	v_mov_b32_e32 v17, v15
	v_add_u32_e32 v61, 0x1f0, v2
	s_mov_b64 s[12:13], 0
	v_mov_b32_e32 v12, v15
	v_mov_b32_e32 v13, v15
	;; [unrolled: 1-line block ×8, first 2 shown]
	s_branch .LBB187_49
.LBB187_46:                             ;   in Loop: Header=BB187_49 Depth=1
	s_or_b64 exec, exec, s[18:19]
	v_mul_f32_e32 v53, v3, v53
	v_fmac_f32_e32 v53, v2, v52
	v_fmac_f32_e32 v53, v4, v30
	;; [unrolled: 1-line block ×3, first 2 shown]
	v_add_f32_e32 v7, v7, v53
.LBB187_47:                             ;   in Loop: Header=BB187_49 Depth=1
	s_or_b64 exec, exec, s[2:3]
	v_mul_f32_e32 v23, v3, v23
	v_fmac_f32_e32 v23, v2, v22
	v_fmac_f32_e32 v23, v4, v20
	v_mul_f32_e32 v20, v3, v29
	v_fmac_f32_e32 v20, v2, v28
	v_fmac_f32_e32 v20, v4, v24
	v_fmac_f32_e32 v20, v5, v25
	v_add_f32_e32 v13, v13, v20
	v_mul_f32_e32 v20, v3, v35
	v_fmac_f32_e32 v20, v2, v34
	v_fmac_f32_e32 v20, v4, v32
	v_fmac_f32_e32 v20, v5, v33
	v_add_f32_e32 v10, v10, v20
	;; [unrolled: 5-line block ×4, first 2 shown]
	v_mul_f32_e32 v20, v3, v49
	v_mul_f32_e32 v3, v3, v51
	v_fmac_f32_e32 v20, v2, v48
	v_fmac_f32_e32 v3, v2, v50
	;; [unrolled: 1-line block ×7, first 2 shown]
	v_add_f32_e32 v12, v12, v23
	v_add_f32_e32 v9, v9, v20
	;; [unrolled: 1-line block ×3, first 2 shown]
.LBB187_48:                             ;   in Loop: Header=BB187_49 Depth=1
	s_or_b64 exec, exec, s[16:17]
	v_add_u32_e32 v55, 2, v55
	v_cmp_le_i32_e64 s[0:1], s43, v55
	v_lshl_add_u64 v[18:19], v[18:19], 0, 8
	v_add_u32_e32 v56, 32, v56
	s_or_b64 s[12:13], s[0:1], s[12:13]
	v_add_u32_e32 v61, 0x80, v61
	s_andn2_b64 exec, exec, s[12:13]
	s_cbranch_execz .LBB187_67
.LBB187_49:                             ; =>This Inner Loop Header: Depth=1
	v_mul_hi_u32 v2, v56, s42
	v_mul_lo_u32 v3, v2, s25
	v_sub_u32_e32 v3, v56, v3
	v_add_u32_e32 v4, 1, v2
	v_cmp_le_u32_e64 s[0:1], s25, v3
	s_nop 1
	v_cndmask_b32_e64 v2, v2, v4, s[0:1]
	v_subrev_u32_e32 v4, s25, v3
	v_cndmask_b32_e64 v3, v3, v4, s[0:1]
	v_add_u32_e32 v4, 1, v2
	v_cmp_le_u32_e64 s[0:1], s25, v3
	s_nop 1
	v_cndmask_b32_e64 v2, v2, v4, s[0:1]
	v_xor_b32_e32 v2, s23, v2
	v_subrev_u32_e32 v2, s23, v2
	v_add_u32_e32 v3, s36, v2
	v_sub_u32_e32 v5, 0, v3
	v_ashrrev_i32_e32 v4, 31, v3
	v_max_i32_e32 v3, v3, v5
	v_mul_hi_u32 v5, v3, v60
	v_mul_lo_u32 v5, v5, s22
	v_sub_u32_e32 v3, v3, v5
	v_subrev_u32_e32 v5, s22, v3
	v_cmp_le_u32_e64 s[0:1], s22, v3
	v_cmp_lt_i32_e64 s[2:3], s37, v2
	s_nop 0
	v_cndmask_b32_e64 v3, v3, v5, s[0:1]
	v_subrev_u32_e32 v5, s22, v3
	v_cmp_le_u32_e64 s[0:1], s22, v3
	s_nop 1
	v_cndmask_b32_e64 v3, v3, v5, s[0:1]
	v_xor_b32_e32 v3, v3, v4
	v_sub_u32_e32 v3, v3, v4
	v_cmp_eq_u32_e64 s[0:1], 0, v3
	s_or_b64 s[0:1], s[0:1], s[2:3]
	s_and_saveexec_b64 s[16:17], s[0:1]
	s_cbranch_execz .LBB187_48
; %bb.50:                               ;   in Loop: Header=BB187_49 Depth=1
	global_load_dword v4, v[18:19], off
	v_mov_b64_e32 v[2:3], s[6:7]
	s_load_dword s18, s[14:15], 0x0
	v_add_u32_e32 v62, v59, v56
	s_waitcnt vmcnt(0)
	v_mad_i64_i32 v[30:31], s[0:1], v4, s38, v[2:3]
	v_lshl_add_u64 v[36:37], v[30:31], 0, v[14:15]
	global_load_dword v20, v[36:37], off
	ds_read_b128 v[2:5], v61
	v_cmp_eq_u32_e64 s[0:1], s34, v55
	s_waitcnt vmcnt(0)
	v_and_b32_e32 v21, 0xffff, v20
	v_lshrrev_b32_e32 v22, 16, v20
	v_cvt_pk_f32_fp8_e32 v[20:21], v21
	v_cvt_pk_f32_fp8_e32 v[24:25], v22
	s_waitcnt lgkmcnt(0)
	v_pk_mul_f32 v[22:23], s[18:19], v[20:21] op_sel_hi:[0,1]
	v_pk_mul_f32 v[20:21], s[18:19], v[24:25] op_sel_hi:[0,1]
	s_and_saveexec_b64 s[20:21], s[0:1]
; %bb.51:                               ;   in Loop: Header=BB187_49 Depth=1
	v_cmp_gt_i32_e64 s[2:3], s33, v62
	v_add_u32_e32 v24, 1, v62
	s_nop 0
	v_cndmask_b32_e64 v22, 0, v22, s[2:3]
	v_cmp_gt_i32_e64 s[2:3], s33, v24
	v_add_u32_e32 v24, 2, v62
	s_nop 0
	v_cndmask_b32_e64 v23, 0, v23, s[2:3]
	;; [unrolled: 4-line block ×3, first 2 shown]
	v_cmp_gt_i32_e64 s[2:3], s33, v24
	s_nop 1
	v_cndmask_b32_e64 v21, 0, v21, s[2:3]
; %bb.52:                               ;   in Loop: Header=BB187_49 Depth=1
	s_or_b64 exec, exec, s[20:21]
	global_load_dword v24, v[36:37], off offset:256
	s_mov_b32 s19, s18
	s_waitcnt vmcnt(0)
	v_and_b32_e32 v25, 0xffff, v24
	v_lshrrev_b32_e32 v28, 16, v24
	v_cvt_pk_f32_fp8_e32 v[24:25], v25
	v_cvt_pk_f32_fp8_e32 v[32:33], v28
	v_pk_mul_f32 v[28:29], s[18:19], v[24:25]
	v_pk_mul_f32 v[24:25], s[18:19], v[32:33]
	s_and_saveexec_b64 s[20:21], s[0:1]
; %bb.53:                               ;   in Loop: Header=BB187_49 Depth=1
	v_cmp_gt_i32_e64 s[2:3], s33, v62
	v_add_u32_e32 v32, 1, v62
	s_nop 0
	v_cndmask_b32_e64 v28, 0, v28, s[2:3]
	v_cmp_gt_i32_e64 s[2:3], s33, v32
	v_add_u32_e32 v32, 2, v62
	s_nop 0
	v_cndmask_b32_e64 v29, 0, v29, s[2:3]
	v_cmp_gt_i32_e64 s[2:3], s33, v32
	v_add_u32_e32 v32, 3, v62
	s_nop 0
	v_cndmask_b32_e64 v24, 0, v24, s[2:3]
	v_cmp_gt_i32_e64 s[2:3], s33, v32
	s_nop 1
	v_cndmask_b32_e64 v25, 0, v25, s[2:3]
; %bb.54:                               ;   in Loop: Header=BB187_49 Depth=1
	s_or_b64 exec, exec, s[20:21]
	global_load_dword v32, v[36:37], off offset:512
	s_waitcnt vmcnt(0)
	v_and_b32_e32 v33, 0xffff, v32
	v_lshrrev_b32_e32 v34, 16, v32
	v_cvt_pk_f32_fp8_e32 v[32:33], v33
	v_cvt_pk_f32_fp8_e32 v[38:39], v34
	v_pk_mul_f32 v[34:35], s[18:19], v[32:33]
	v_pk_mul_f32 v[32:33], s[18:19], v[38:39]
	s_and_saveexec_b64 s[20:21], s[0:1]
; %bb.55:                               ;   in Loop: Header=BB187_49 Depth=1
	v_cmp_gt_i32_e64 s[2:3], s33, v62
	v_add_u32_e32 v38, 1, v62
	s_nop 0
	v_cndmask_b32_e64 v34, 0, v34, s[2:3]
	v_cmp_gt_i32_e64 s[2:3], s33, v38
	v_add_u32_e32 v38, 2, v62
	s_nop 0
	v_cndmask_b32_e64 v35, 0, v35, s[2:3]
	v_cmp_gt_i32_e64 s[2:3], s33, v38
	v_add_u32_e32 v38, 3, v62
	s_nop 0
	v_cndmask_b32_e64 v32, 0, v32, s[2:3]
	v_cmp_gt_i32_e64 s[2:3], s33, v38
	s_nop 1
	v_cndmask_b32_e64 v33, 0, v33, s[2:3]
; %bb.56:                               ;   in Loop: Header=BB187_49 Depth=1
	s_or_b64 exec, exec, s[20:21]
	global_load_dword v38, v[36:37], off offset:768
	;; [unrolled: 27-line block ×5, first 2 shown]
	s_waitcnt vmcnt(0)
	v_and_b32_e32 v37, 0xffff, v36
	v_lshrrev_b32_e32 v50, 16, v36
	v_cvt_pk_f32_fp8_e32 v[36:37], v37
	v_cvt_pk_f32_fp8_e32 v[52:53], v50
	v_pk_mul_f32 v[50:51], s[18:19], v[36:37]
	v_pk_mul_f32 v[36:37], s[18:19], v[52:53]
	s_and_saveexec_b64 s[20:21], s[0:1]
; %bb.63:                               ;   in Loop: Header=BB187_49 Depth=1
	v_cmp_gt_i32_e64 s[2:3], s33, v62
	v_add_u32_e32 v52, 1, v62
	s_nop 0
	v_cndmask_b32_e64 v50, 0, v50, s[2:3]
	v_cmp_gt_i32_e64 s[2:3], s33, v52
	v_add_u32_e32 v52, 2, v62
	s_nop 0
	v_cndmask_b32_e64 v51, 0, v51, s[2:3]
	;; [unrolled: 4-line block ×3, first 2 shown]
	v_cmp_gt_i32_e64 s[2:3], s33, v52
	s_nop 1
	v_cndmask_b32_e64 v37, 0, v37, s[2:3]
; %bb.64:                               ;   in Loop: Header=BB187_49 Depth=1
	s_or_b64 exec, exec, s[20:21]
	s_and_saveexec_b64 s[2:3], vcc
	s_cbranch_execz .LBB187_47
; %bb.65:                               ;   in Loop: Header=BB187_49 Depth=1
	v_lshl_add_u64 v[30:31], v[30:31], 0, v[16:17]
	global_load_dword v30, v[30:31], off
	s_waitcnt vmcnt(0)
	v_and_b32_e32 v31, 0xffff, v30
	v_lshrrev_b32_e32 v52, 16, v30
	v_cvt_pk_f32_fp8_e32 v[30:31], v31
	v_cvt_pk_f32_fp8_e32 v[64:65], v52
	v_pk_mul_f32 v[52:53], s[18:19], v[30:31]
	v_pk_mul_f32 v[30:31], s[18:19], v[64:65]
	s_and_saveexec_b64 s[18:19], s[0:1]
	s_cbranch_execz .LBB187_46
; %bb.66:                               ;   in Loop: Header=BB187_49 Depth=1
	v_cmp_gt_i32_e64 s[0:1], s33, v62
	v_add_u32_e32 v63, 1, v62
	s_nop 0
	v_cndmask_b32_e64 v52, 0, v52, s[0:1]
	v_cmp_gt_i32_e64 s[0:1], s33, v63
	v_add_u32_e32 v63, 2, v62
	v_add_u32_e32 v62, 3, v62
	v_cndmask_b32_e64 v53, 0, v53, s[0:1]
	v_cmp_gt_i32_e64 s[0:1], s33, v63
	s_nop 1
	v_cndmask_b32_e64 v30, 0, v30, s[0:1]
	v_cmp_gt_i32_e64 s[0:1], s33, v62
	s_nop 1
	v_cndmask_b32_e64 v31, 0, v31, s[0:1]
	s_branch .LBB187_46
.LBB187_67:
	s_or_b64 exec, exec, s[12:13]
.LBB187_68:
	s_or_b64 exec, exec, s[8:9]
	ds_bpermute_b32 v4, v57, v10
	ds_bpermute_b32 v5, v57, v11
	;; [unrolled: 1-line block ×6, first 2 shown]
	s_waitcnt lgkmcnt(4)
	v_pk_add_f32 v[4:5], v[10:11], v[4:5]
	ds_bpermute_b32 v10, v57, v8
	ds_bpermute_b32 v11, v57, v9
	s_waitcnt lgkmcnt(4)
	v_pk_add_f32 v[2:3], v[12:13], v[2:3]
	ds_bpermute_b32 v14, v27, v4
	ds_bpermute_b32 v15, v27, v5
	s_waitcnt lgkmcnt(4)
	v_pk_add_f32 v[16:17], v[6:7], v[16:17]
	s_waitcnt lgkmcnt(2)
	v_pk_add_f32 v[10:11], v[8:9], v[10:11]
	ds_bpermute_b32 v18, v27, v10
	ds_bpermute_b32 v19, v27, v11
	;; [unrolled: 1-line block ×6, first 2 shown]
	s_waitcnt lgkmcnt(6)
	v_pk_add_f32 v[6:7], v[4:5], v[14:15]
	s_waitcnt lgkmcnt(4)
	v_pk_add_f32 v[4:5], v[10:11], v[18:19]
	v_and_b32_e32 v10, 0x3c0, v0
	s_waitcnt lgkmcnt(2)
	v_pk_add_f32 v[8:9], v[2:3], v[12:13]
	s_waitcnt lgkmcnt(0)
	v_pk_add_f32 v[2:3], v[16:17], v[20:21]
	v_cmp_eq_u32_e32 vcc, 64, v10
	s_barrier
	s_and_saveexec_b64 s[2:3], vcc
	s_cbranch_execz .LBB187_73
; %bb.69:
	v_cmp_eq_u32_e32 vcc, 0, v26
	s_and_saveexec_b64 s[0:1], vcc
	s_cbranch_execz .LBB187_71
; %bb.70:
	v_mov_b32_e32 v10, 0x1f0
	v_lshl_add_u32 v10, v58, 2, v10
	ds_write2_b32 v10, v8, v9 offset1:16
	ds_write2_b32 v10, v6, v7 offset0:32 offset1:48
	ds_write2_b32 v10, v4, v5 offset0:64 offset1:80
	ds_write_b32 v10, v2 offset:384
.LBB187_71:
	s_or_b64 exec, exec, s[0:1]
	v_or_b32_e32 v10, 0x70, v58
	s_movk_i32 s0, 0x78
	v_cmp_gt_u32_e64 s[0:1], s0, v10
	s_and_b64 s[0:1], vcc, s[0:1]
	s_and_b64 exec, exec, s[0:1]
	s_cbranch_execz .LBB187_73
; %bb.72:
	v_mov_b32_e32 v10, 0x1f0
	v_lshl_add_u32 v10, v58, 2, v10
	ds_write_b32 v10, v3 offset:448
.LBB187_73:
	s_or_b64 exec, exec, s[2:3]
	v_cmp_gt_u32_e32 vcc, 64, v0
	s_waitcnt lgkmcnt(0)
	s_barrier
	s_and_saveexec_b64 s[6:7], vcc
	s_cbranch_execz .LBB187_91
; %bb.74:
	v_cmp_eq_u32_e64 s[0:1], 0, v26
	s_and_saveexec_b64 s[2:3], s[0:1]
	s_cbranch_execz .LBB187_76
; %bb.75:
	v_mov_b32_e32 v0, 0x1f0
	v_lshl_add_u32 v0, v54, 2, v0
	ds_read_b32 v0, v0
	s_waitcnt lgkmcnt(0)
	v_add_f32_e32 v8, v8, v0
.LBB187_76:
	s_or_b64 exec, exec, s[2:3]
	v_or_b32_e32 v0, 16, v54
	s_movk_i32 s8, 0x78
	v_cmp_gt_u32_e64 s[2:3], s8, v0
	s_and_b64 s[12:13], s[0:1], s[2:3]
	s_and_saveexec_b64 s[2:3], s[12:13]
	s_cbranch_execz .LBB187_78
; %bb.77:
	v_mov_b32_e32 v0, 0x1f0
	v_lshl_add_u32 v0, v54, 2, v0
	ds_read_b32 v0, v0 offset:64
	s_waitcnt lgkmcnt(0)
	v_add_f32_e32 v9, v9, v0
.LBB187_78:
	s_or_b64 exec, exec, s[2:3]
	v_or_b32_e32 v0, 32, v54
	v_cmp_gt_u32_e64 s[2:3], s8, v0
	s_and_b64 s[8:9], s[0:1], s[2:3]
	s_and_saveexec_b64 s[2:3], s[8:9]
	s_cbranch_execz .LBB187_80
; %bb.79:
	v_mov_b32_e32 v0, 0x1f0
	v_lshl_add_u32 v0, v54, 2, v0
	ds_read_b32 v0, v0 offset:128
	s_waitcnt lgkmcnt(0)
	v_add_f32_e32 v6, v6, v0
.LBB187_80:
	s_or_b64 exec, exec, s[2:3]
	v_or_b32_e32 v0, 48, v54
	s_movk_i32 s8, 0x78
	v_cmp_gt_u32_e64 s[2:3], s8, v0
	s_and_b64 s[12:13], s[0:1], s[2:3]
	s_and_saveexec_b64 s[2:3], s[12:13]
	s_cbranch_execz .LBB187_82
; %bb.81:
	v_mov_b32_e32 v0, 0x1f0
	v_lshl_add_u32 v0, v54, 2, v0
	ds_read_b32 v0, v0 offset:192
	s_waitcnt lgkmcnt(0)
	v_add_f32_e32 v7, v7, v0
.LBB187_82:
	s_or_b64 exec, exec, s[2:3]
	v_or_b32_e32 v0, 64, v54
	v_cmp_gt_u32_e64 s[2:3], s8, v0
	s_and_b64 s[8:9], s[0:1], s[2:3]
	s_and_saveexec_b64 s[2:3], s[8:9]
	s_cbranch_execz .LBB187_84
; %bb.83:
	v_mov_b32_e32 v0, 0x1f0
	v_lshl_add_u32 v0, v54, 2, v0
	ds_read_b32 v0, v0 offset:256
	s_waitcnt lgkmcnt(0)
	v_add_f32_e32 v4, v4, v0
.LBB187_84:
	;; [unrolled: 27-line block ×3, first 2 shown]
	s_or_b64 exec, exec, s[2:3]
	v_or_b32_e32 v0, 0x70, v54
	s_movk_i32 s2, 0x78
	v_cmp_gt_u32_e64 s[2:3], s2, v0
	s_and_b64 s[2:3], s[0:1], s[2:3]
	s_and_saveexec_b64 s[0:1], s[2:3]
	s_cbranch_execz .LBB187_90
; %bb.89:
	v_mov_b32_e32 v0, 0x1f0
	v_lshl_add_u32 v0, v54, 2, v0
	ds_read_b32 v0, v0 offset:448
	s_waitcnt lgkmcnt(0)
	v_add_f32_e32 v3, v3, v0
.LBB187_90:
	s_or_b64 exec, exec, s[0:1]
.LBB187_91:
	s_or_b64 exec, exec, s[6:7]
	s_barrier
	s_and_saveexec_b64 s[0:1], vcc
	s_cbranch_execz .LBB187_108
; %bb.92:
	s_mul_i32 s0, s10, s11
	s_mul_i32 s0, s0, s5
	s_mulk_i32 s0, 0x78
	s_ashr_i32 s1, s0, 31
	s_lshl_b64 s[0:1], s[0:1], 2
	s_add_u32 s2, s26, s0
	s_mul_i32 s0, s11, s24
	s_addc_u32 s3, s27, s1
	s_ashr_i32 s1, s0, 31
	s_lshl_b64 s[0:1], s[0:1], 2
	s_add_u32 s2, s2, s0
	s_mul_i32 s0, s4, 0x78
	s_addc_u32 s3, s3, s1
	s_ashr_i32 s1, s0, 31
	s_lshl_b64 s[0:1], s[0:1], 2
	s_add_u32 s2, s2, s0
	s_movk_i32 s5, 0x78
	s_addc_u32 s3, s3, s1
	v_cmp_eq_u32_e32 vcc, 0, v26
	s_and_saveexec_b64 s[0:1], vcc
	s_cbranch_execz .LBB187_94
; %bb.93:
	global_store_dword v1, v8, s[2:3]
.LBB187_94:
	s_or_b64 exec, exec, s[0:1]
	v_or_b32_e32 v0, 16, v54
	v_cmp_gt_u32_e64 s[0:1], s5, v0
	s_and_b64 s[4:5], vcc, s[0:1]
	s_and_saveexec_b64 s[0:1], s[4:5]
	s_cbranch_execz .LBB187_96
; %bb.95:
	global_store_dword v1, v9, s[2:3] offset:64
.LBB187_96:
	s_or_b64 exec, exec, s[0:1]
	v_or_b32_e32 v0, 32, v54
	s_movk_i32 s4, 0x78
	v_cmp_gt_u32_e64 s[0:1], s4, v0
	s_and_b64 s[6:7], vcc, s[0:1]
	s_and_saveexec_b64 s[0:1], s[6:7]
	s_cbranch_execz .LBB187_98
; %bb.97:
	global_store_dword v1, v6, s[2:3] offset:128
.LBB187_98:
	s_or_b64 exec, exec, s[0:1]
	v_or_b32_e32 v0, 48, v54
	v_cmp_gt_u32_e64 s[0:1], s4, v0
	s_and_b64 s[4:5], vcc, s[0:1]
	s_and_saveexec_b64 s[0:1], s[4:5]
	s_cbranch_execz .LBB187_100
; %bb.99:
	global_store_dword v1, v7, s[2:3] offset:192
.LBB187_100:
	s_or_b64 exec, exec, s[0:1]
	v_or_b32_e32 v0, 64, v54
	s_movk_i32 s4, 0x78
	v_cmp_gt_u32_e64 s[0:1], s4, v0
	s_and_b64 s[6:7], vcc, s[0:1]
	s_and_saveexec_b64 s[0:1], s[6:7]
	s_cbranch_execz .LBB187_102
; %bb.101:
	global_store_dword v1, v4, s[2:3] offset:256
.LBB187_102:
	;; [unrolled: 19-line block ×3, first 2 shown]
	s_or_b64 exec, exec, s[0:1]
	v_or_b32_e32 v0, 0x70, v54
	v_cmp_gt_u32_e64 s[0:1], s4, v0
	s_and_b64 s[0:1], vcc, s[0:1]
	s_and_b64 exec, exec, s[0:1]
	s_cbranch_execz .LBB187_108
; %bb.107:
	global_store_dword v1, v3, s[2:3] offset:448
.LBB187_108:
	s_endpgm
	.section	.rodata,"a",@progbits
	.p2align	6, 0x0
	.amdhsa_kernel _ZN4vllm25paged_attention_v1_kernelIfhLi120ELi16ELi128ELNS_18Fp8KVCacheDataTypeE1ELb1EEEvPT_PKS2_PKT0_S8_ifPKiSA_iPKfiiiSC_SC_iiiii
		.amdhsa_group_segment_fixed_size 496
		.amdhsa_private_segment_fixed_size 0
		.amdhsa_kernarg_size 384
		.amdhsa_user_sgpr_count 2
		.amdhsa_user_sgpr_dispatch_ptr 0
		.amdhsa_user_sgpr_queue_ptr 0
		.amdhsa_user_sgpr_kernarg_segment_ptr 1
		.amdhsa_user_sgpr_dispatch_id 0
		.amdhsa_user_sgpr_kernarg_preload_length 0
		.amdhsa_user_sgpr_kernarg_preload_offset 0
		.amdhsa_user_sgpr_private_segment_size 0
		.amdhsa_uses_dynamic_stack 0
		.amdhsa_enable_private_segment 0
		.amdhsa_system_sgpr_workgroup_id_x 1
		.amdhsa_system_sgpr_workgroup_id_y 1
		.amdhsa_system_sgpr_workgroup_id_z 1
		.amdhsa_system_sgpr_workgroup_info 0
		.amdhsa_system_vgpr_workitem_id 0
		.amdhsa_next_free_vgpr 88
		.amdhsa_next_free_sgpr 48
		.amdhsa_accum_offset 88
		.amdhsa_reserve_vcc 1
		.amdhsa_float_round_mode_32 0
		.amdhsa_float_round_mode_16_64 0
		.amdhsa_float_denorm_mode_32 3
		.amdhsa_float_denorm_mode_16_64 3
		.amdhsa_dx10_clamp 1
		.amdhsa_ieee_mode 1
		.amdhsa_fp16_overflow 0
		.amdhsa_tg_split 0
		.amdhsa_exception_fp_ieee_invalid_op 0
		.amdhsa_exception_fp_denorm_src 0
		.amdhsa_exception_fp_ieee_div_zero 0
		.amdhsa_exception_fp_ieee_overflow 0
		.amdhsa_exception_fp_ieee_underflow 0
		.amdhsa_exception_fp_ieee_inexact 0
		.amdhsa_exception_int_div_zero 0
	.end_amdhsa_kernel
	.section	.text._ZN4vllm25paged_attention_v1_kernelIfhLi120ELi16ELi128ELNS_18Fp8KVCacheDataTypeE1ELb1EEEvPT_PKS2_PKT0_S8_ifPKiSA_iPKfiiiSC_SC_iiiii,"axG",@progbits,_ZN4vllm25paged_attention_v1_kernelIfhLi120ELi16ELi128ELNS_18Fp8KVCacheDataTypeE1ELb1EEEvPT_PKS2_PKT0_S8_ifPKiSA_iPKfiiiSC_SC_iiiii,comdat
.Lfunc_end187:
	.size	_ZN4vllm25paged_attention_v1_kernelIfhLi120ELi16ELi128ELNS_18Fp8KVCacheDataTypeE1ELb1EEEvPT_PKS2_PKT0_S8_ifPKiSA_iPKfiiiSC_SC_iiiii, .Lfunc_end187-_ZN4vllm25paged_attention_v1_kernelIfhLi120ELi16ELi128ELNS_18Fp8KVCacheDataTypeE1ELb1EEEvPT_PKS2_PKT0_S8_ifPKiSA_iPKfiiiSC_SC_iiiii
                                        ; -- End function
	.section	.AMDGPU.csdata,"",@progbits
; Kernel info:
; codeLenInByte = 7000
; NumSgprs: 54
; NumVgprs: 88
; NumAgprs: 0
; TotalNumVgprs: 88
; ScratchSize: 0
; MemoryBound: 0
; FloatMode: 240
; IeeeMode: 1
; LDSByteSize: 496 bytes/workgroup (compile time only)
; SGPRBlocks: 6
; VGPRBlocks: 10
; NumSGPRsForWavesPerEU: 54
; NumVGPRsForWavesPerEU: 88
; AccumOffset: 88
; Occupancy: 5
; WaveLimiterHint : 1
; COMPUTE_PGM_RSRC2:SCRATCH_EN: 0
; COMPUTE_PGM_RSRC2:USER_SGPR: 2
; COMPUTE_PGM_RSRC2:TRAP_HANDLER: 0
; COMPUTE_PGM_RSRC2:TGID_X_EN: 1
; COMPUTE_PGM_RSRC2:TGID_Y_EN: 1
; COMPUTE_PGM_RSRC2:TGID_Z_EN: 1
; COMPUTE_PGM_RSRC2:TIDIG_COMP_CNT: 0
; COMPUTE_PGM_RSRC3_GFX90A:ACCUM_OFFSET: 21
; COMPUTE_PGM_RSRC3_GFX90A:TG_SPLIT: 0
	.section	.text._ZN4vllm25paged_attention_v1_kernelIfhLi128ELi16ELi128ELNS_18Fp8KVCacheDataTypeE1ELb1EEEvPT_PKS2_PKT0_S8_ifPKiSA_iPKfiiiSC_SC_iiiii,"axG",@progbits,_ZN4vllm25paged_attention_v1_kernelIfhLi128ELi16ELi128ELNS_18Fp8KVCacheDataTypeE1ELb1EEEvPT_PKS2_PKT0_S8_ifPKiSA_iPKfiiiSC_SC_iiiii,comdat
	.protected	_ZN4vllm25paged_attention_v1_kernelIfhLi128ELi16ELi128ELNS_18Fp8KVCacheDataTypeE1ELb1EEEvPT_PKS2_PKT0_S8_ifPKiSA_iPKfiiiSC_SC_iiiii ; -- Begin function _ZN4vllm25paged_attention_v1_kernelIfhLi128ELi16ELi128ELNS_18Fp8KVCacheDataTypeE1ELb1EEEvPT_PKS2_PKT0_S8_ifPKiSA_iPKfiiiSC_SC_iiiii
	.globl	_ZN4vllm25paged_attention_v1_kernelIfhLi128ELi16ELi128ELNS_18Fp8KVCacheDataTypeE1ELb1EEEvPT_PKS2_PKT0_S8_ifPKiSA_iPKfiiiSC_SC_iiiii
	.p2align	8
	.type	_ZN4vllm25paged_attention_v1_kernelIfhLi128ELi16ELi128ELNS_18Fp8KVCacheDataTypeE1ELb1EEEvPT_PKS2_PKT0_S8_ifPKiSA_iPKfiiiSC_SC_iiiii,@function
_ZN4vllm25paged_attention_v1_kernelIfhLi128ELi16ELi128ELNS_18Fp8KVCacheDataTypeE1ELb1EEEvPT_PKS2_PKT0_S8_ifPKiSA_iPKfiiiSC_SC_iiiii: ; @_ZN4vllm25paged_attention_v1_kernelIfhLi128ELi16ELi128ELNS_18Fp8KVCacheDataTypeE1ELb1EEEvPT_PKS2_PKT0_S8_ifPKiSA_iPKfiiiSC_SC_iiiii
; %bb.0:
	s_load_dword s5, s[0:1], 0x80
	s_load_dwordx2 s[6:7], s[0:1], 0x30
	s_load_dwordx2 s[36:37], s[0:1], 0x20
	s_mov_b32 s24, s3
	s_ashr_i32 s25, s3, 31
	s_lshl_b64 s[8:9], s[24:25], 2
	s_waitcnt lgkmcnt(0)
	s_add_u32 s6, s6, s8
	s_addc_u32 s7, s7, s9
	s_abs_i32 s3, s36
	v_cvt_f32_u32_e32 v1, s3
	s_sub_i32 s10, 0, s3
	s_abs_i32 s9, s5
	s_xor_b32 s8, s5, s36
	v_rcp_iflag_f32_e32 v1, v1
	s_ashr_i32 s8, s8, 31
	s_mov_b32 s44, 0
	v_mul_f32_e32 v1, 0x4f7ffffe, v1
	v_cvt_u32_f32_e32 v1, v1
	s_nop 0
	v_readfirstlane_b32 s11, v1
	s_mul_i32 s10, s10, s11
	s_mul_hi_u32 s10, s11, s10
	s_add_i32 s11, s11, s10
	s_mul_hi_u32 s10, s9, s11
	s_mul_i32 s11, s10, s3
	s_sub_i32 s9, s9, s11
	s_add_i32 s11, s10, 1
	s_sub_i32 s12, s9, s3
	s_cmp_ge_u32 s9, s3
	s_cselect_b32 s10, s11, s10
	s_cselect_b32 s9, s12, s9
	s_add_i32 s11, s10, 1
	s_cmp_ge_u32 s9, s3
	s_cselect_b32 s3, s11, s10
	s_xor_b32 s3, s3, s8
	s_sub_i32 s12, s3, s8
	s_abs_i32 s10, s12
	v_cvt_f32_u32_e32 v1, s10
	s_load_dwordx2 s[8:9], s[0:1], 0x40
	s_sub_i32 s3, 0, s10
	s_abs_i32 s11, s2
	v_rcp_iflag_f32_e32 v1, v1
	s_nop 0
	v_mul_f32_e32 v1, 0x4f7ffffe, v1
	v_cvt_u32_f32_e32 v1, v1
	s_nop 0
	v_readfirstlane_b32 s13, v1
	s_mul_i32 s3, s3, s13
	s_mul_hi_u32 s3, s13, s3
	s_add_i32 s13, s13, s3
	s_waitcnt lgkmcnt(0)
	s_cmp_eq_u64 s[8:9], 0
	s_mul_hi_u32 s16, s11, s13
	s_cbranch_scc1 .LBB188_2
; %bb.1:
	s_ashr_i32 s3, s2, 31
	s_lshl_b64 s[14:15], s[2:3], 2
	s_add_u32 s8, s8, s14
	s_addc_u32 s9, s9, s15
	s_load_dword s44, s[8:9], 0x0
.LBB188_2:
	s_load_dword s25, s[6:7], 0x0
	s_ashr_i32 s9, s12, 31
	s_load_dwordx4 s[12:15], s[0:1], 0x48
	v_lshrrev_b32_e32 v52, 2, v0
	s_movk_i32 s3, 0x80
	s_ashr_i32 s8, s2, 31
	v_and_b32_e32 v14, 3, v0
	s_lshl_b32 s26, s2, 7
	v_cmp_gt_u32_e32 vcc, s3, v0
	v_lshlrev_b32_e32 v20, 2, v0
	v_lshlrev_b32_e32 v1, 2, v52
	s_and_saveexec_b64 s[6:7], vcc
	s_cbranch_execz .LBB188_4
; %bb.3:
	s_load_dwordx2 s[18:19], s[0:1], 0x8
	s_waitcnt lgkmcnt(0)
	s_mul_i32 s20, s24, s12
	s_ashr_i32 s21, s20, 31
	s_lshl_b64 s[20:21], s[20:21], 2
	v_lshl_add_u32 v3, v14, 7, v1
	s_add_u32 s3, s18, s20
	s_addc_u32 s12, s19, s21
	s_ashr_i32 s27, s26, 31
	s_lshl_b64 s[18:19], s[26:27], 2
	s_add_u32 s18, s3, s18
	s_addc_u32 s19, s12, s19
	global_load_dword v2, v20, s[18:19]
	s_waitcnt vmcnt(0)
	ds_write_b32 v3, v2
.LBB188_4:
	s_or_b64 exec, exec, s[6:7]
	s_mul_i32 s7, s16, s10
	s_sub_i32 s7, s11, s7
	s_xor_b32 s6, s8, s9
	s_add_i32 s8, s16, 1
	s_sub_i32 s9, s7, s10
	s_load_dwordx4 s[20:23], s[0:1], 0x68
	s_load_dword s3, s[0:1], 0x78
	s_cmp_ge_u32 s7, s10
	s_cselect_b32 s8, s8, s16
	s_cselect_b32 s7, s9, s7
	s_add_i32 s9, s8, 1
	s_cmp_ge_u32 s7, s10
	s_cselect_b32 s7, s9, s8
	s_waitcnt lgkmcnt(0)
	s_abs_i32 s27, s23
	v_cvt_f32_u32_e32 v2, s27
	s_xor_b32 s7, s7, s6
	s_sub_i32 s43, s7, s6
	s_sub_i32 s6, 0, s27
	v_rcp_iflag_f32_e32 v2, v2
	s_add_i32 s12, s25, -1
	s_abs_i32 s8, s12
	v_mul_f32_e32 v2, 0x4f7ffffe, v2
	v_cvt_u32_f32_e32 v2, v2
	s_barrier
	v_readfirstlane_b32 s33, v2
	s_mul_i32 s6, s6, s33
	s_mul_hi_u32 s6, s33, s6
	s_add_i32 s33, s33, s6
	s_cmp_lt_i32 s3, 0
	s_mul_hi_u32 s9, s8, s33
	s_cbranch_scc0 .LBB188_6
; %bb.5:
	s_mul_i32 s6, s20, s36
	s_add_i32 s6, s43, s6
	s_mul_i32 s6, s6, s3
	s_sub_i32 s36, 1, s6
	s_mov_b64 s[6:7], 0
	s_branch .LBB188_7
.LBB188_6:
	s_mov_b64 s[6:7], -1
                                        ; implicit-def: $sgpr36
.LBB188_7:
	s_load_dwordx2 s[10:11], s[0:1], 0x28
	s_ashr_i32 s12, s12, 31
	s_andn2_b64 vcc, exec, s[6:7]
	s_ashr_i32 s23, s23, 31
	s_cbranch_vccnz .LBB188_9
; %bb.8:
	s_mul_i32 s6, s5, s20
	s_add_i32 s2, s6, s2
	s_mul_i32 s2, s2, s3
	s_add_i32 s36, s2, 1
.LBB188_9:
	s_load_dword s2, s[0:1], 0x38
	s_load_dwordx2 s[28:29], s[0:1], 0x0
	s_load_dwordx2 s[34:35], s[0:1], 0x18
	s_load_dword s20, s[0:1], 0x88
	s_load_dwordx4 s[16:19], s[0:1], 0x58
	s_mul_i32 s3, s9, s27
	s_waitcnt lgkmcnt(0)
	s_mul_i32 s30, s24, s2
	s_sub_i32 s3, s8, s3
	s_ashr_i32 s31, s30, 31
	s_xor_b32 s2, s12, s23
	s_add_i32 s6, s9, 1
	s_sub_i32 s7, s3, s27
	s_cmp_ge_u32 s3, s27
	s_cselect_b32 s6, s6, s9
	s_cselect_b32 s3, s7, s3
	s_add_i32 s7, s6, 1
	s_cmp_ge_u32 s3, s27
	s_cselect_b32 s3, s7, s6
	s_xor_b32 s3, s3, s2
	s_sub_i32 s12, s3, s2
	s_add_i32 s2, s25, 15
	s_ashr_i32 s3, s2, 31
	s_lshr_b32 s3, s3, 28
	s_add_i32 s2, s2, s3
	s_ashr_i32 s42, s2, 4
	v_lshrrev_b32_e32 v53, 6, v0
	v_cmp_gt_i32_e64 s[6:7], s42, v53
	v_mov_b32_e32 v25, 0xff7fffff
	s_mul_i32 s43, s43, s14
	v_lshrrev_b32_e32 v21, 4, v0
	v_lshlrev_b32_e32 v54, 4, v53
	v_mbcnt_lo_u32_b32 v22, -1, 0
	s_and_saveexec_b64 s[14:15], s[6:7]
	s_cbranch_execz .LBB188_19
; %bb.10:
	s_load_dwordx2 s[0:1], s[0:1], 0x10
	s_sub_i32 s45, s12, s21
	s_ashr_i32 s2, s43, 31
	v_bfe_u32 v23, v0, 2, 4
	v_mov_b32_e32 v3, 0
	s_waitcnt lgkmcnt(0)
	s_add_u32 s0, s0, s43
	s_addc_u32 s1, s1, s2
	s_abs_i32 s46, s22
	v_cvt_f32_u32_e32 v2, s46
	v_mbcnt_hi_u32_b32 v31, -1, v22
	v_cmp_eq_u32_e32 vcc, 0, v14
	s_mov_b32 s47, s13
	v_rcp_iflag_f32_e32 v4, v2
	v_lshlrev_b32_e32 v2, 4, v23
	v_lshl_add_u64 v[16:17], s[0:1], 0, v[2:3]
	s_sub_i32 s0, 0, s46
	v_mul_f32_e32 v4, 0x4f7ffffe, v4
	v_cvt_u32_f32_e32 v4, v4
	v_lshlrev_b32_e32 v24, 7, v14
	v_cmp_neq_f32_e64 s[2:3], s44, 0
	v_mov_b32_e32 v15, v3
	v_mul_lo_u32 v2, s0, v4
	s_lshl_b64 s[0:1], s[30:31], 2
	v_mul_hi_u32 v2, v4, v2
	s_add_u32 s0, s10, s0
	v_add_u32_e32 v26, v4, v2
	v_and_b32_e32 v2, 60, v21
	s_addc_u32 s1, s11, s1
	v_lshl_add_u64 v[18:19], s[0:1], 0, v[2:3]
	v_lshlrev_b32_e32 v2, 2, v23
	v_lshl_or_b32 v2, v53, 6, v2
	v_add_u32_e32 v28, 0x210, v2
	v_subrev_u32_e32 v2, s25, v23
	v_add_u32_e32 v29, 1, v2
	v_and_b32_e32 v2, 64, v31
	v_lshlrev_b32_e32 v27, 4, v53
	s_mov_b64 s[38:39], 0
	v_mov_b32_e32 v30, 0xff7fffff
	v_add_u32_e32 v32, 64, v2
	v_xor_b32_e32 v33, 2, v31
	v_xor_b32_e32 v34, 1, v31
	v_mov_b32_e32 v25, 0xff7fffff
	v_mov_b32_e32 v35, v53
	s_branch .LBB188_13
.LBB188_11:                             ;   in Loop: Header=BB188_13 Depth=1
	s_or_b64 exec, exec, s[40:41]
.LBB188_12:                             ;   in Loop: Header=BB188_13 Depth=1
	s_or_b64 exec, exec, s[8:9]
	v_add_u32_e32 v35, 2, v35
	v_cmp_le_i32_e64 s[0:1], s42, v35
	v_lshl_add_u64 v[18:19], v[18:19], 0, 8
	v_add_u32_e32 v27, 32, v27
	s_or_b64 s[38:39], s[0:1], s[38:39]
	v_add_u32_e32 v28, 0x80, v28
	s_andn2_b64 exec, exec, s[38:39]
	s_cbranch_execz .LBB188_18
.LBB188_13:                             ; =>This Inner Loop Header: Depth=1
	v_mul_hi_u32 v2, v27, s33
	s_waitcnt lgkmcnt(0)
	v_mul_lo_u32 v3, v2, s27
	v_sub_u32_e32 v3, v27, v3
	v_add_u32_e32 v4, 1, v2
	v_cmp_le_u32_e64 s[0:1], s27, v3
	s_nop 1
	v_cndmask_b32_e64 v2, v2, v4, s[0:1]
	v_subrev_u32_e32 v4, s27, v3
	v_cndmask_b32_e64 v3, v3, v4, s[0:1]
	v_add_u32_e32 v4, 1, v2
	v_cmp_le_u32_e64 s[0:1], s27, v3
	s_nop 1
	v_cndmask_b32_e64 v2, v2, v4, s[0:1]
	v_xor_b32_e32 v2, s23, v2
	v_subrev_u32_e32 v2, s23, v2
	v_add_u32_e32 v3, s36, v2
	v_sub_u32_e32 v5, 0, v3
	v_ashrrev_i32_e32 v4, 31, v3
	v_max_i32_e32 v3, v3, v5
	v_mul_hi_u32 v5, v3, v26
	v_mul_lo_u32 v5, v5, s46
	v_sub_u32_e32 v3, v3, v5
	v_subrev_u32_e32 v5, s46, v3
	v_cmp_le_u32_e64 s[0:1], s46, v3
	v_cmp_ge_i32_e64 s[8:9], s45, v2
	s_nop 0
	v_cndmask_b32_e64 v3, v3, v5, s[0:1]
	v_subrev_u32_e32 v5, s46, v3
	v_cmp_le_u32_e64 s[0:1], s46, v3
	s_nop 1
	v_cndmask_b32_e64 v3, v3, v5, s[0:1]
	v_xor_b32_e32 v3, v3, v4
	v_sub_u32_e32 v3, v3, v4
	v_cmp_ne_u32_e64 s[0:1], 0, v3
	s_and_b64 s[0:1], s[0:1], s[8:9]
	s_and_b64 s[40:41], vcc, s[0:1]
	s_and_saveexec_b64 s[8:9], s[40:41]
	s_cbranch_execz .LBB188_15
; %bb.14:                               ;   in Loop: Header=BB188_13 Depth=1
	ds_write_b32 v28, v30
.LBB188_15:                             ;   in Loop: Header=BB188_13 Depth=1
	s_or_b64 exec, exec, s[8:9]
	s_xor_b64 s[0:1], s[0:1], -1
	s_and_saveexec_b64 s[8:9], s[0:1]
	s_cbranch_execz .LBB188_12
; %bb.16:                               ;   in Loop: Header=BB188_13 Depth=1
	global_load_dword v2, v[18:19], off
	s_waitcnt vmcnt(0)
	v_mad_i64_i32 v[2:3], s[0:1], v2, s47, v[16:17]
	v_lshl_add_u64 v[2:3], v[2:3], 0, v[14:15]
	global_load_ubyte v55, v[2:3], off
	global_load_ubyte v60, v[2:3], off offset:4
	global_load_ubyte v61, v[2:3], off offset:8
	;; [unrolled: 1-line block ×31, first 2 shown]
	ds_read_b128 v[36:39], v24
	ds_read_b128 v[40:43], v24 offset:16
	ds_read_b128 v[6:9], v24 offset:32
	;; [unrolled: 1-line block ×3, first 2 shown]
	s_load_dword s40, s[16:17], 0x0
	ds_read_b128 v[44:47], v24 offset:64
	ds_read_b128 v[10:13], v24 offset:80
	;; [unrolled: 1-line block ×4, first 2 shown]
	v_cmp_lt_i32_e64 s[0:1], v33, v32
	s_waitcnt vmcnt(31)
	v_cvt_f32_fp8_sdwa v55, v55 src0_sel:BYTE_0
	s_waitcnt vmcnt(30)
	v_cvt_f32_fp8_sdwa v60, v60 src0_sel:BYTE_0
	;; [unrolled: 2-line block ×5, first 2 shown]
	s_waitcnt lgkmcnt(0)
	v_mul_f32_e32 v60, s40, v60
	s_waitcnt vmcnt(26)
	v_cvt_f32_fp8_sdwa v64, v64 src0_sel:BYTE_0
	v_mul_f32_e32 v55, s40, v55
	v_mul_f32_e32 v37, v37, v60
	s_waitcnt vmcnt(25)
	v_cvt_f32_fp8_sdwa v65, v65 src0_sel:BYTE_0
	v_mul_f32_e32 v61, s40, v61
	v_fmac_f32_e32 v37, v36, v55
	s_waitcnt vmcnt(24)
	v_cvt_f32_fp8_sdwa v66, v66 src0_sel:BYTE_0
	v_mul_f32_e32 v62, s40, v62
	v_fmac_f32_e32 v37, v38, v61
	;; [unrolled: 4-line block ×26, first 2 shown]
	v_mul_f32_e32 v87, s40, v87
	v_fmac_f32_e32 v37, v51, v86
	v_mul_f32_e32 v88, s40, v88
	v_fmac_f32_e32 v37, v56, v87
	;; [unrolled: 2-line block ×3, first 2 shown]
	v_cndmask_b32_e64 v91, v31, v33, s[0:1]
	v_mul_f32_e32 v90, s40, v90
	v_fmac_f32_e32 v37, v58, v89
	v_lshlrev_b32_e32 v6, 2, v91
	v_fmac_f32_e32 v37, v59, v90
	ds_bpermute_b32 v2, v6, v37
	v_cmp_lt_i32_e64 s[0:1], v34, v32
	s_waitcnt lgkmcnt(0)
	v_add_f32_e32 v2, v37, v2
	v_cndmask_b32_e64 v3, v31, v34, s[0:1]
	v_lshlrev_b32_e32 v3, 2, v3
	ds_bpermute_b32 v3, v3, v2
	s_and_saveexec_b64 s[40:41], vcc
	s_cbranch_execz .LBB188_11
; %bb.17:                               ;   in Loop: Header=BB188_13 Depth=1
	v_add_u32_e32 v4, v29, v27
	v_cvt_f32_i32_e32 v4, v4
	s_waitcnt lgkmcnt(0)
	v_add_f32_e32 v2, v2, v3
	v_add_u32_e32 v5, v23, v27
	v_cmp_gt_i32_e64 s[0:1], s25, v5
	v_mul_f32_e32 v3, s44, v4
	v_cndmask_b32_e64 v3, 0, v3, s[2:3]
	v_fmac_f32_e32 v3, s37, v2
	v_cndmask_b32_e64 v2, 0, v3, s[0:1]
	ds_write_b32 v28, v2
	v_max_f32_e32 v2, v25, v25
	v_max_f32_e32 v2, v2, v3
	v_cndmask_b32_e64 v25, v25, v2, s[0:1]
	s_branch .LBB188_11
.LBB188_18:
	s_or_b64 exec, exec, s[38:39]
.LBB188_19:
	s_or_b64 exec, exec, s[14:15]
	v_mbcnt_hi_u32_b32 v2, -1, v22
	s_waitcnt lgkmcnt(0)
	v_and_b32_e32 v3, 64, v2
	v_add_u32_e32 v3, 64, v3
	v_xor_b32_e32 v4, 32, v2
	v_cmp_lt_i32_e32 vcc, v4, v3
	v_xor_b32_e32 v7, 16, v2
	v_max_f32_e32 v6, v25, v25
	v_cndmask_b32_e32 v4, v2, v4, vcc
	v_lshlrev_b32_e32 v4, 2, v4
	ds_bpermute_b32 v5, v4, v25
	v_cmp_lt_i32_e32 vcc, v7, v3
	v_xor_b32_e32 v8, 8, v2
	v_xor_b32_e32 v9, 4, v2
	v_and_b32_e32 v15, 63, v0
	s_waitcnt lgkmcnt(0)
	v_max_f32_e32 v5, v5, v5
	v_max_f32_e32 v6, v6, v5
	v_cndmask_b32_e32 v5, v2, v7, vcc
	v_lshlrev_b32_e32 v5, 2, v5
	ds_bpermute_b32 v7, v5, v6
	v_cmp_lt_i32_e32 vcc, v8, v3
	s_waitcnt lgkmcnt(0)
	v_max_f32_e32 v7, v7, v7
	v_max_f32_e32 v6, v6, v7
	v_cndmask_b32_e32 v7, v2, v8, vcc
	v_lshlrev_b32_e32 v8, 2, v7
	ds_bpermute_b32 v7, v8, v6
	v_cmp_lt_i32_e32 vcc, v9, v3
	s_waitcnt lgkmcnt(0)
	v_max_f32_e32 v7, v7, v7
	v_max_f32_e32 v7, v6, v7
	v_cndmask_b32_e32 v6, v2, v9, vcc
	v_lshlrev_b32_e32 v9, 2, v6
	ds_bpermute_b32 v10, v9, v7
	v_cmp_eq_u32_e32 vcc, 0, v15
	v_lshlrev_b32_e32 v6, 2, v53
	s_and_saveexec_b64 s[0:1], vcc
	s_cbranch_execz .LBB188_21
; %bb.20:
	s_waitcnt lgkmcnt(0)
	v_max_f32_e32 v10, v10, v10
	v_max_f32_e32 v7, v7, v7
	;; [unrolled: 1-line block ×3, first 2 shown]
	ds_write_b32 v6, v7 offset:512
.LBB188_21:
	s_or_b64 exec, exec, s[0:1]
	v_cmp_gt_u32_e64 s[0:1], 2, v15
	s_waitcnt lgkmcnt(0)
	v_mov_b32_e32 v10, 0xff7fffff
	v_lshlrev_b32_e32 v7, 2, v15
	s_barrier
	s_and_saveexec_b64 s[2:3], s[0:1]
	s_cbranch_execz .LBB188_23
; %bb.22:
	ds_read_b32 v10, v7 offset:512
.LBB188_23:
	s_or_b64 exec, exec, s[2:3]
	v_xor_b32_e32 v11, 1, v2
	v_cmp_lt_i32_e64 s[2:3], v11, v3
	v_lshlrev_b32_e32 v12, 2, v2
	s_nop 0
	v_cndmask_b32_e64 v11, v2, v11, s[2:3]
	v_lshlrev_b32_e32 v55, 2, v11
	s_waitcnt lgkmcnt(0)
	ds_bpermute_b32 v11, v55, v10
	v_max_f32_e32 v10, v10, v10
	s_lshl_b32 s2, s42, 4
	s_min_i32 s37, s2, s25
	v_cmp_gt_i32_e64 s[2:3], s37, v0
	s_waitcnt lgkmcnt(0)
	v_max_f32_e32 v11, v11, v11
	v_max_f32_e32 v11, v10, v11
	v_and_b32_e32 v10, 0x100, v12
	ds_bpermute_b32 v12, v10, v11
	v_mov_b32_e32 v11, 0
	s_and_saveexec_b64 s[14:15], s[2:3]
	s_cbranch_execz .LBB188_27
; %bb.24:
	v_mov_b32_e32 v11, 0x210
	v_lshl_add_u32 v13, v0, 2, v11
	s_mov_b64 s[16:17], 0
	v_mov_b32_e32 v11, 0
	v_mov_b32_e32 v16, v0
.LBB188_25:                             ; =>This Inner Loop Header: Depth=1
	ds_read_b32 v17, v13
	v_add_u32_e32 v16, 0x80, v16
	v_cmp_le_i32_e64 s[8:9], s37, v16
	s_or_b64 s[16:17], s[8:9], s[16:17]
	s_waitcnt lgkmcnt(0)
	v_sub_f32_e32 v17, v17, v12
	v_mul_f32_e32 v17, 0x3fb8aa3b, v17
	v_exp_f32_e32 v17, v17
	ds_write_b32 v13, v17
	v_add_f32_e32 v11, v11, v17
	v_add_u32_e32 v13, 0x200, v13
	s_andn2_b64 exec, exec, s[16:17]
	s_cbranch_execnz .LBB188_25
; %bb.26:
	s_or_b64 exec, exec, s[16:17]
.LBB188_27:
	s_or_b64 exec, exec, s[14:15]
	ds_bpermute_b32 v4, v4, v11
	s_waitcnt lgkmcnt(0)
	v_add_f32_e32 v4, v11, v4
	ds_bpermute_b32 v5, v5, v4
	s_waitcnt lgkmcnt(0)
	v_add_f32_e32 v4, v4, v5
	ds_bpermute_b32 v5, v8, v4
	v_xor_b32_e32 v8, 2, v2
	v_cmp_lt_i32_e64 s[8:9], v8, v3
	s_waitcnt lgkmcnt(0)
	v_add_f32_e32 v4, v4, v5
	ds_bpermute_b32 v5, v9, v4
	v_cndmask_b32_e64 v2, v2, v8, s[8:9]
	v_lshlrev_b32_e32 v56, 2, v2
	s_waitcnt lgkmcnt(0)
	v_add_f32_e32 v3, v4, v5
	ds_bpermute_b32 v2, v56, v3
	s_waitcnt lgkmcnt(0)
	v_add_f32_e32 v2, v3, v2
	ds_bpermute_b32 v3, v55, v2
	s_waitcnt lgkmcnt(0)
	v_add_f32_e32 v2, v2, v3
	s_and_saveexec_b64 s[8:9], vcc
	s_cbranch_execz .LBB188_29
; %bb.28:
	ds_write_b32 v6, v2 offset:520
.LBB188_29:
	s_or_b64 exec, exec, s[8:9]
	s_waitcnt lgkmcnt(0)
	s_barrier
	s_and_saveexec_b64 s[8:9], s[0:1]
	s_cbranch_execz .LBB188_31
; %bb.30:
	ds_read_b32 v2, v7 offset:520
.LBB188_31:
	s_or_b64 exec, exec, s[8:9]
	s_waitcnt lgkmcnt(0)
	ds_bpermute_b32 v3, v55, v2
	s_waitcnt lgkmcnt(0)
	v_add_f32_e32 v2, v2, v3
	ds_bpermute_b32 v2, v10, v2
	s_and_saveexec_b64 s[0:1], s[2:3]
	s_cbranch_execz .LBB188_44
; %bb.32:
	s_waitcnt lgkmcnt(0)
	v_add_f32_e32 v2, 0x358637bd, v2
	v_div_scale_f32 v3, s[2:3], v2, v2, 1.0
	v_rcp_f32_e32 v4, v3
	v_div_scale_f32 v5, vcc, 1.0, v2, 1.0
	s_movk_i32 s2, 0x7f
	v_fma_f32 v6, -v3, v4, 1.0
	v_fmac_f32_e32 v4, v6, v4
	v_mul_f32_e32 v6, v5, v4
	v_fma_f32 v7, -v3, v6, v5
	v_fmac_f32_e32 v6, v7, v4
	v_fma_f32 v3, -v3, v6, v5
	v_div_fmas_f32 v3, v3, v4, v6
	v_xad_u32 v4, v0, -1, s37
	v_div_fixup_f32 v2, v3, v2, 1.0
	v_cmp_lt_u32_e32 vcc, s2, v4
	s_mov_b64 s[8:9], -1
	v_mov_b32_e32 v3, v0
	s_and_saveexec_b64 s[2:3], vcc
	s_cbranch_execz .LBB188_41
; %bb.33:
	v_lshrrev_b32_e32 v4, 7, v4
	v_add_u32_e32 v6, -1, v4
	v_lshrrev_b32_e32 v5, 1, v6
	v_mov_b32_e32 v3, v2
	v_add_u32_e32 v5, 1, v5
	v_cmp_lt_u32_e32 vcc, 13, v6
	v_mov_b32_e32 v8, 0
	s_and_saveexec_b64 s[8:9], vcc
	s_cbranch_execz .LBB188_37
; %bb.34:
	v_mov_b32_e32 v7, 0x210
	v_and_b32_e32 v6, -8, v5
	v_lshl_add_u32 v7, v0, 2, v7
	s_mov_b32 s16, 0
	s_mov_b64 s[14:15], 0
.LBB188_35:                             ; =>This Inner Loop Header: Depth=1
	ds_read2st64_b32 v[8:9], v7 offset1:2
	ds_read2st64_b32 v[10:11], v7 offset0:4 offset1:6
	ds_read2st64_b32 v[12:13], v7 offset0:8 offset1:10
	;; [unrolled: 1-line block ×3, first 2 shown]
	v_add_u32_e32 v6, -8, v6
	s_waitcnt lgkmcnt(3)
	v_pk_mul_f32 v[8:9], v[2:3], v[8:9]
	s_waitcnt lgkmcnt(2)
	v_pk_mul_f32 v[10:11], v[2:3], v[10:11]
	ds_write2st64_b32 v7, v8, v9 offset1:2
	ds_write2st64_b32 v7, v10, v11 offset0:4 offset1:6
	ds_read2st64_b32 v[10:11], v7 offset0:16 offset1:18
	s_waitcnt lgkmcnt(4)
	v_pk_mul_f32 v[8:9], v[2:3], v[12:13]
	ds_write2st64_b32 v7, v8, v9 offset0:8 offset1:10
	s_waitcnt lgkmcnt(4)
	v_pk_mul_f32 v[8:9], v[2:3], v[16:17]
	ds_write2st64_b32 v7, v8, v9 offset0:12 offset1:14
	ds_read2st64_b32 v[8:9], v7 offset0:20 offset1:22
	s_waitcnt lgkmcnt(3)
	v_pk_mul_f32 v[10:11], v[2:3], v[10:11]
	ds_read2st64_b32 v[12:13], v7 offset0:24 offset1:26
	ds_write2st64_b32 v7, v10, v11 offset0:16 offset1:18
	ds_read2st64_b32 v[10:11], v7 offset0:28 offset1:30
	s_waitcnt lgkmcnt(3)
	v_pk_mul_f32 v[8:9], v[2:3], v[8:9]
	ds_write2st64_b32 v7, v8, v9 offset0:20 offset1:22
	s_waitcnt lgkmcnt(3)
	v_pk_mul_f32 v[8:9], v[2:3], v[12:13]
	ds_write2st64_b32 v7, v8, v9 offset0:24 offset1:26
	s_waitcnt lgkmcnt(2)
	v_pk_mul_f32 v[8:9], v[2:3], v[10:11]
	s_add_i32 s16, s16, 16
	v_cmp_eq_u32_e32 vcc, 0, v6
	ds_write2st64_b32 v7, v8, v9 offset0:28 offset1:30
	v_add_u32_e32 v7, 0x2000, v7
	s_or_b64 s[14:15], vcc, s[14:15]
	v_mov_b32_e32 v8, s16
	s_andn2_b64 exec, exec, s[14:15]
	s_cbranch_execnz .LBB188_35
; %bb.36:
	s_or_b64 exec, exec, s[14:15]
.LBB188_37:
	s_or_b64 exec, exec, s[8:9]
	v_and_b32_e32 v5, 7, v5
	v_cmp_ne_u32_e32 vcc, 0, v5
	s_and_saveexec_b64 s[8:9], vcc
	s_cbranch_execz .LBB188_40
; %bb.38:
	v_lshlrev_b32_e32 v6, 9, v8
	s_movk_i32 s14, 0x210
	v_add3_u32 v6, v6, v20, s14
	s_mov_b64 s[14:15], 0
.LBB188_39:                             ; =>This Inner Loop Header: Depth=1
	ds_read2st64_b32 v[8:9], v6 offset1:2
	v_add_u32_e32 v5, -1, v5
	v_cmp_eq_u32_e32 vcc, 0, v5
	s_or_b64 s[14:15], vcc, s[14:15]
	s_waitcnt lgkmcnt(0)
	v_pk_mul_f32 v[8:9], v[2:3], v[8:9]
	ds_write2st64_b32 v6, v8, v9 offset1:2
	v_add_u32_e32 v6, 0x400, v6
	s_andn2_b64 exec, exec, s[14:15]
	s_cbranch_execnz .LBB188_39
.LBB188_40:
	s_or_b64 exec, exec, s[8:9]
	v_add_u32_e32 v4, 1, v4
	v_and_b32_e32 v5, 0x3fffffe, v4
	v_cmp_ne_u32_e32 vcc, v4, v5
	v_lshl_add_u32 v3, v5, 7, v0
	s_orn2_b64 s[8:9], vcc, exec
.LBB188_41:
	s_or_b64 exec, exec, s[2:3]
	s_and_b64 exec, exec, s[8:9]
	s_cbranch_execz .LBB188_44
; %bb.42:
	v_mov_b32_e32 v4, 0x210
	v_lshl_add_u32 v4, v3, 2, v4
	s_mov_b64 s[2:3], 0
.LBB188_43:                             ; =>This Inner Loop Header: Depth=1
	ds_read_b32 v5, v4
	v_add_u32_e32 v3, 0x80, v3
	v_cmp_le_i32_e32 vcc, s37, v3
	s_or_b64 s[2:3], vcc, s[2:3]
	s_waitcnt lgkmcnt(0)
	v_mul_f32_e32 v5, v2, v5
	ds_write_b32 v4, v5
	v_add_u32_e32 v4, 0x200, v4
	s_andn2_b64 exec, exec, s[2:3]
	s_cbranch_execnz .LBB188_43
.LBB188_44:
	s_or_b64 exec, exec, s[0:1]
	s_mov_b32 s8, 0
	v_mov_b32_e32 v9, 0
	v_mov_b32_e32 v8, 0
	;; [unrolled: 1-line block ×7, first 2 shown]
	s_waitcnt lgkmcnt(0)
	v_mov_b32_e32 v2, 0
	s_barrier
	s_and_saveexec_b64 s[2:3], s[6:7]
	s_cbranch_execz .LBB188_66
; %bb.45:
	s_sub_i32 s16, s12, s21
	s_ashr_i32 s1, s43, 31
	s_add_u32 s0, s34, s43
	s_addc_u32 s1, s35, s1
	s_abs_i32 s17, s22
	v_cvt_f32_u32_e32 v2, s17
	v_mov_b32_e32 v3, 0
	s_sub_i32 s6, 0, s17
	s_add_i32 s22, s42, -1
	v_rcp_iflag_f32_e32 v4, v2
	v_and_b32_e32 v2, 0xfc, v20
	v_lshl_add_u64 v[16:17], s[0:1], 0, v[2:3]
	s_lshl_b64 s[0:1], s[30:31], 2
	v_mul_f32_e32 v4, 0x4f7ffffe, v4
	v_cvt_u32_f32_e32 v4, v4
	s_add_u32 s0, s10, s0
	s_addc_u32 s1, s11, s1
	s_mov_b32 s9, s8
	v_mul_lo_u32 v2, s6, v4
	v_mul_hi_u32 v2, v4, v2
	v_add_u32_e32 v58, v4, v2
	v_and_b32_e32 v2, 60, v21
	v_lshl_add_u64 v[18:19], s[0:1], 0, v[2:3]
	v_lshlrev_b32_e32 v2, 4, v14
	v_lshl_or_b32 v2, v53, 6, v2
	s_mov_b32 s21, s13
	v_add_u32_e32 v59, 0x210, v2
	s_mov_b32 s10, s8
	s_mov_b32 s11, s8
	;; [unrolled: 1-line block ×6, first 2 shown]
	v_mov_b64_e32 v[2:3], s[8:9]
	v_and_b32_e32 v57, 12, v20
	s_mov_b64 s[6:7], 0
	v_mov_b64_e32 v[4:5], s[10:11]
	v_mov_b64_e32 v[6:7], s[12:13]
	;; [unrolled: 1-line block ×3, first 2 shown]
	s_branch .LBB188_48
.LBB188_46:                             ;   in Loop: Header=BB188_48 Depth=1
	s_or_b64 exec, exec, s[0:1]
	v_mul_f32_e32 v23, v11, v23
	v_fmac_f32_e32 v23, v10, v22
	v_fmac_f32_e32 v23, v12, v20
	v_mul_f32_e32 v20, v11, v29
	v_fmac_f32_e32 v20, v10, v28
	v_fmac_f32_e32 v20, v12, v26
	v_fmac_f32_e32 v20, v13, v27
	v_add_f32_e32 v3, v3, v20
	v_mul_f32_e32 v20, v11, v33
	v_fmac_f32_e32 v20, v10, v32
	v_fmac_f32_e32 v20, v12, v30
	v_fmac_f32_e32 v20, v13, v31
	v_add_f32_e32 v4, v4, v20
	;; [unrolled: 5-line block ×5, first 2 shown]
	v_mul_f32_e32 v20, v11, v49
	v_mul_f32_e32 v11, v11, v51
	v_fmac_f32_e32 v20, v10, v48
	v_fmac_f32_e32 v11, v10, v50
	;; [unrolled: 1-line block ×7, first 2 shown]
	v_add_f32_e32 v2, v2, v23
	v_add_f32_e32 v8, v8, v20
	;; [unrolled: 1-line block ×3, first 2 shown]
.LBB188_47:                             ;   in Loop: Header=BB188_48 Depth=1
	s_or_b64 exec, exec, s[8:9]
	v_add_u32_e32 v53, 2, v53
	v_cmp_le_i32_e32 vcc, s42, v53
	v_lshl_add_u64 v[18:19], v[18:19], 0, 8
	v_add_u32_e32 v54, 32, v54
	s_or_b64 s[6:7], vcc, s[6:7]
	v_add_u32_e32 v59, 0x80, v59
	s_andn2_b64 exec, exec, s[6:7]
	s_cbranch_execz .LBB188_65
.LBB188_48:                             ; =>This Inner Loop Header: Depth=1
	v_mul_hi_u32 v10, v54, s33
	v_mul_lo_u32 v11, v10, s27
	v_sub_u32_e32 v11, v54, v11
	v_add_u32_e32 v12, 1, v10
	v_cmp_le_u32_e32 vcc, s27, v11
	s_nop 1
	v_cndmask_b32_e32 v10, v10, v12, vcc
	v_subrev_u32_e32 v12, s27, v11
	v_cndmask_b32_e32 v11, v11, v12, vcc
	v_add_u32_e32 v12, 1, v10
	v_cmp_le_u32_e32 vcc, s27, v11
	s_nop 1
	v_cndmask_b32_e32 v10, v10, v12, vcc
	v_xor_b32_e32 v10, s23, v10
	v_subrev_u32_e32 v10, s23, v10
	v_add_u32_e32 v11, s36, v10
	v_sub_u32_e32 v13, 0, v11
	v_ashrrev_i32_e32 v12, 31, v11
	v_max_i32_e32 v11, v11, v13
	v_mul_hi_u32 v13, v11, v58
	v_mul_lo_u32 v13, v13, s17
	v_sub_u32_e32 v11, v11, v13
	v_subrev_u32_e32 v13, s17, v11
	v_cmp_le_u32_e32 vcc, s17, v11
	v_cmp_lt_i32_e64 s[0:1], s16, v10
	s_nop 0
	v_cndmask_b32_e32 v11, v11, v13, vcc
	v_subrev_u32_e32 v13, s17, v11
	v_cmp_le_u32_e32 vcc, s17, v11
	s_nop 1
	v_cndmask_b32_e32 v11, v11, v13, vcc
	v_xor_b32_e32 v11, v11, v12
	v_sub_u32_e32 v11, v11, v12
	v_cmp_eq_u32_e32 vcc, 0, v11
	s_or_b64 s[0:1], vcc, s[0:1]
	s_and_saveexec_b64 s[8:9], s[0:1]
	s_cbranch_execz .LBB188_47
; %bb.49:                               ;   in Loop: Header=BB188_48 Depth=1
	global_load_dword v10, v[18:19], off
	s_load_dword s10, s[18:19], 0x0
	v_add_u32_e32 v60, v57, v54
	v_cmp_eq_u32_e32 vcc, s22, v53
	v_add_u32_e32 v62, 1, v60
	v_add_u32_e32 v61, 2, v60
	;; [unrolled: 1-line block ×3, first 2 shown]
	s_waitcnt vmcnt(0)
	v_mad_i64_i32 v[24:25], s[0:1], v10, s21, v[16:17]
	global_load_dword v20, v[24:25], off
	ds_read_b128 v[10:13], v59
	s_waitcnt vmcnt(0)
	v_and_b32_e32 v21, 0xffff, v20
	v_lshrrev_b32_e32 v22, 16, v20
	v_cvt_pk_f32_fp8_e32 v[20:21], v21
	v_cvt_pk_f32_fp8_e32 v[26:27], v22
	s_waitcnt lgkmcnt(0)
	v_pk_mul_f32 v[22:23], s[10:11], v[20:21] op_sel_hi:[0,1]
	v_pk_mul_f32 v[20:21], s[10:11], v[26:27] op_sel_hi:[0,1]
	s_and_saveexec_b64 s[12:13], vcc
; %bb.50:                               ;   in Loop: Header=BB188_48 Depth=1
	v_cmp_gt_i32_e64 s[0:1], s25, v60
	s_nop 1
	v_cndmask_b32_e64 v22, 0, v22, s[0:1]
	v_cmp_gt_i32_e64 s[0:1], s25, v62
	s_nop 1
	v_cndmask_b32_e64 v23, 0, v23, s[0:1]
	;; [unrolled: 3-line block ×4, first 2 shown]
; %bb.51:                               ;   in Loop: Header=BB188_48 Depth=1
	s_or_b64 exec, exec, s[12:13]
	global_load_dword v26, v[24:25], off offset:256
	s_mov_b32 s11, s10
	s_waitcnt vmcnt(0)
	v_and_b32_e32 v27, 0xffff, v26
	v_lshrrev_b32_e32 v28, 16, v26
	v_cvt_pk_f32_fp8_e32 v[26:27], v27
	v_cvt_pk_f32_fp8_e32 v[30:31], v28
	v_pk_mul_f32 v[28:29], s[10:11], v[26:27]
	v_pk_mul_f32 v[26:27], s[10:11], v[30:31]
	s_and_saveexec_b64 s[12:13], vcc
; %bb.52:                               ;   in Loop: Header=BB188_48 Depth=1
	v_cmp_gt_i32_e64 s[0:1], s25, v60
	s_nop 1
	v_cndmask_b32_e64 v28, 0, v28, s[0:1]
	v_cmp_gt_i32_e64 s[0:1], s25, v62
	s_nop 1
	v_cndmask_b32_e64 v29, 0, v29, s[0:1]
	v_cmp_gt_i32_e64 s[0:1], s25, v61
	s_nop 1
	v_cndmask_b32_e64 v26, 0, v26, s[0:1]
	v_cmp_gt_i32_e64 s[0:1], s25, v63
	s_nop 1
	v_cndmask_b32_e64 v27, 0, v27, s[0:1]
; %bb.53:                               ;   in Loop: Header=BB188_48 Depth=1
	s_or_b64 exec, exec, s[12:13]
	global_load_dword v30, v[24:25], off offset:512
	s_waitcnt vmcnt(0)
	v_and_b32_e32 v31, 0xffff, v30
	v_lshrrev_b32_e32 v32, 16, v30
	v_cvt_pk_f32_fp8_e32 v[30:31], v31
	v_cvt_pk_f32_fp8_e32 v[34:35], v32
	v_pk_mul_f32 v[32:33], s[10:11], v[30:31]
	v_pk_mul_f32 v[30:31], s[10:11], v[34:35]
	s_and_saveexec_b64 s[12:13], vcc
; %bb.54:                               ;   in Loop: Header=BB188_48 Depth=1
	v_cmp_gt_i32_e64 s[0:1], s25, v60
	s_nop 1
	v_cndmask_b32_e64 v32, 0, v32, s[0:1]
	v_cmp_gt_i32_e64 s[0:1], s25, v62
	s_nop 1
	v_cndmask_b32_e64 v33, 0, v33, s[0:1]
	v_cmp_gt_i32_e64 s[0:1], s25, v61
	s_nop 1
	v_cndmask_b32_e64 v30, 0, v30, s[0:1]
	v_cmp_gt_i32_e64 s[0:1], s25, v63
	s_nop 1
	v_cndmask_b32_e64 v31, 0, v31, s[0:1]
; %bb.55:                               ;   in Loop: Header=BB188_48 Depth=1
	s_or_b64 exec, exec, s[12:13]
	global_load_dword v34, v[24:25], off offset:768
	;; [unrolled: 24-line block ×6, first 2 shown]
	s_waitcnt vmcnt(0)
	v_and_b32_e32 v25, 0xffff, v24
	v_lshrrev_b32_e32 v50, 16, v24
	v_cvt_pk_f32_fp8_e32 v[24:25], v25
	v_cvt_pk_f32_fp8_e32 v[64:65], v50
	v_pk_mul_f32 v[50:51], s[10:11], v[24:25]
	v_pk_mul_f32 v[24:25], s[10:11], v[64:65]
	s_and_saveexec_b64 s[0:1], vcc
	s_cbranch_execz .LBB188_46
; %bb.64:                               ;   in Loop: Header=BB188_48 Depth=1
	v_cmp_gt_i32_e32 vcc, s25, v60
	s_nop 1
	v_cndmask_b32_e32 v50, 0, v50, vcc
	v_cmp_gt_i32_e32 vcc, s25, v62
	s_nop 1
	v_cndmask_b32_e32 v51, 0, v51, vcc
	;; [unrolled: 3-line block ×4, first 2 shown]
	s_branch .LBB188_46
.LBB188_65:
	s_or_b64 exec, exec, s[6:7]
.LBB188_66:
	s_or_b64 exec, exec, s[2:3]
	ds_bpermute_b32 v12, v56, v4
	ds_bpermute_b32 v13, v56, v5
	;; [unrolled: 1-line block ×6, first 2 shown]
	s_waitcnt lgkmcnt(4)
	v_pk_add_f32 v[4:5], v[4:5], v[12:13]
	ds_bpermute_b32 v12, v56, v6
	ds_bpermute_b32 v13, v56, v7
	s_waitcnt lgkmcnt(4)
	v_pk_add_f32 v[2:3], v[2:3], v[10:11]
	ds_bpermute_b32 v10, v55, v2
	ds_bpermute_b32 v11, v55, v3
	s_waitcnt lgkmcnt(4)
	v_pk_add_f32 v[18:19], v[8:9], v[18:19]
	s_waitcnt lgkmcnt(2)
	v_pk_add_f32 v[12:13], v[6:7], v[12:13]
	ds_bpermute_b32 v16, v55, v4
	ds_bpermute_b32 v17, v55, v5
	;; [unrolled: 1-line block ×6, first 2 shown]
	s_waitcnt lgkmcnt(6)
	v_pk_add_f32 v[8:9], v[2:3], v[10:11]
	v_and_b32_e32 v10, 0x3c3, v0
	s_waitcnt lgkmcnt(4)
	v_pk_add_f32 v[6:7], v[4:5], v[16:17]
	s_waitcnt lgkmcnt(2)
	v_pk_add_f32 v[2:3], v[12:13], v[20:21]
	;; [unrolled: 2-line block ×3, first 2 shown]
	v_cmp_eq_u32_e32 vcc, 64, v10
	s_barrier
	s_and_saveexec_b64 s[0:1], vcc
	s_cbranch_execz .LBB188_68
; %bb.67:
	v_add_u32_e32 v11, 0x210, v15
	ds_write2_b32 v11, v8, v9 offset1:16
	ds_write2_b32 v11, v6, v7 offset0:32 offset1:48
	ds_write2_b32 v11, v2, v3 offset0:64 offset1:80
	;; [unrolled: 1-line block ×3, first 2 shown]
.LBB188_68:
	s_or_b64 exec, exec, s[0:1]
	v_cmp_gt_u32_e32 vcc, 64, v0
	s_waitcnt lgkmcnt(0)
	s_barrier
	s_and_saveexec_b64 s[0:1], vcc
	s_cbranch_execz .LBB188_79
; %bb.69:
	v_cmp_eq_u32_e32 vcc, 0, v14
	s_and_saveexec_b64 s[2:3], vcc
	s_cbranch_execnz .LBB188_82
; %bb.70:
	s_or_b64 exec, exec, s[2:3]
	s_and_saveexec_b64 s[2:3], vcc
	s_cbranch_execnz .LBB188_83
.LBB188_71:
	s_or_b64 exec, exec, s[2:3]
	s_and_saveexec_b64 s[2:3], vcc
	s_cbranch_execnz .LBB188_84
.LBB188_72:
	s_or_b64 exec, exec, s[2:3]
	s_and_saveexec_b64 s[2:3], vcc
	s_cbranch_execnz .LBB188_85
.LBB188_73:
	s_or_b64 exec, exec, s[2:3]
	s_and_saveexec_b64 s[2:3], vcc
	s_cbranch_execnz .LBB188_86
.LBB188_74:
	s_or_b64 exec, exec, s[2:3]
	s_and_saveexec_b64 s[2:3], vcc
	s_cbranch_execnz .LBB188_87
.LBB188_75:
	s_or_b64 exec, exec, s[2:3]
	s_and_saveexec_b64 s[2:3], vcc
	s_cbranch_execnz .LBB188_88
.LBB188_76:
	s_or_b64 exec, exec, s[2:3]
	s_and_saveexec_b64 s[2:3], vcc
	s_cbranch_execz .LBB188_78
.LBB188_77:
	v_mov_b32_e32 v0, 0x210
	v_lshl_add_u32 v0, v52, 2, v0
	ds_read_b32 v0, v0 offset:448
	s_waitcnt lgkmcnt(0)
	v_add_f32_e32 v5, v5, v0
.LBB188_78:
	s_or_b64 exec, exec, s[2:3]
.LBB188_79:
	s_or_b64 exec, exec, s[0:1]
	v_cmp_eq_u32_e32 vcc, 0, v10
	s_barrier
	s_and_saveexec_b64 s[0:1], vcc
	s_cbranch_execz .LBB188_81
; %bb.80:
	s_mul_i32 s0, s24, s20
	s_mul_i32 s0, s0, s5
	s_lshl_b32 s0, s0, 7
	s_ashr_i32 s1, s0, 31
	s_lshl_b64 s[0:1], s[0:1], 2
	s_add_u32 s2, s28, s0
	s_mul_i32 s0, s20, s26
	s_addc_u32 s3, s29, s1
	s_ashr_i32 s1, s0, 31
	s_lshl_b64 s[0:1], s[0:1], 2
	s_add_u32 s2, s2, s0
	s_addc_u32 s3, s3, s1
	s_lshl_b32 s0, s4, 7
	s_ashr_i32 s1, s0, 31
	s_lshl_b64 s[0:1], s[0:1], 2
	s_add_u32 s0, s2, s0
	s_addc_u32 s1, s3, s1
	global_store_dword v1, v8, s[0:1]
	global_store_dword v1, v9, s[0:1] offset:64
	global_store_dword v1, v6, s[0:1] offset:128
	global_store_dword v1, v7, s[0:1] offset:192
	global_store_dword v1, v2, s[0:1] offset:256
	global_store_dword v1, v3, s[0:1] offset:320
	global_store_dword v1, v4, s[0:1] offset:384
	global_store_dword v1, v5, s[0:1] offset:448
.LBB188_81:
	s_endpgm
.LBB188_82:
	v_mov_b32_e32 v0, 0x210
	v_lshl_add_u32 v0, v52, 2, v0
	ds_read_b32 v0, v0
	s_waitcnt lgkmcnt(0)
	v_add_f32_e32 v8, v8, v0
	s_or_b64 exec, exec, s[2:3]
	s_and_saveexec_b64 s[2:3], vcc
	s_cbranch_execz .LBB188_71
.LBB188_83:
	v_mov_b32_e32 v0, 0x210
	v_lshl_add_u32 v0, v52, 2, v0
	ds_read_b32 v0, v0 offset:64
	s_waitcnt lgkmcnt(0)
	v_add_f32_e32 v9, v9, v0
	s_or_b64 exec, exec, s[2:3]
	s_and_saveexec_b64 s[2:3], vcc
	s_cbranch_execz .LBB188_72
.LBB188_84:
	v_mov_b32_e32 v0, 0x210
	v_lshl_add_u32 v0, v52, 2, v0
	ds_read_b32 v0, v0 offset:128
	s_waitcnt lgkmcnt(0)
	v_add_f32_e32 v6, v6, v0
	s_or_b64 exec, exec, s[2:3]
	s_and_saveexec_b64 s[2:3], vcc
	s_cbranch_execz .LBB188_73
.LBB188_85:
	v_mov_b32_e32 v0, 0x210
	v_lshl_add_u32 v0, v52, 2, v0
	ds_read_b32 v0, v0 offset:192
	s_waitcnt lgkmcnt(0)
	v_add_f32_e32 v7, v7, v0
	s_or_b64 exec, exec, s[2:3]
	s_and_saveexec_b64 s[2:3], vcc
	s_cbranch_execz .LBB188_74
.LBB188_86:
	v_mov_b32_e32 v0, 0x210
	v_lshl_add_u32 v0, v52, 2, v0
	ds_read_b32 v0, v0 offset:256
	s_waitcnt lgkmcnt(0)
	v_add_f32_e32 v2, v2, v0
	s_or_b64 exec, exec, s[2:3]
	s_and_saveexec_b64 s[2:3], vcc
	s_cbranch_execz .LBB188_75
.LBB188_87:
	v_mov_b32_e32 v0, 0x210
	v_lshl_add_u32 v0, v52, 2, v0
	ds_read_b32 v0, v0 offset:320
	s_waitcnt lgkmcnt(0)
	v_add_f32_e32 v3, v3, v0
	s_or_b64 exec, exec, s[2:3]
	s_and_saveexec_b64 s[2:3], vcc
	s_cbranch_execz .LBB188_76
.LBB188_88:
	v_mov_b32_e32 v0, 0x210
	v_lshl_add_u32 v0, v52, 2, v0
	ds_read_b32 v0, v0 offset:384
	s_waitcnt lgkmcnt(0)
	v_add_f32_e32 v4, v4, v0
	s_or_b64 exec, exec, s[2:3]
	s_and_saveexec_b64 s[2:3], vcc
	s_cbranch_execnz .LBB188_77
	s_branch .LBB188_78
	.section	.rodata,"a",@progbits
	.p2align	6, 0x0
	.amdhsa_kernel _ZN4vllm25paged_attention_v1_kernelIfhLi128ELi16ELi128ELNS_18Fp8KVCacheDataTypeE1ELb1EEEvPT_PKS2_PKT0_S8_ifPKiSA_iPKfiiiSC_SC_iiiii
		.amdhsa_group_segment_fixed_size 528
		.amdhsa_private_segment_fixed_size 0
		.amdhsa_kernarg_size 384
		.amdhsa_user_sgpr_count 2
		.amdhsa_user_sgpr_dispatch_ptr 0
		.amdhsa_user_sgpr_queue_ptr 0
		.amdhsa_user_sgpr_kernarg_segment_ptr 1
		.amdhsa_user_sgpr_dispatch_id 0
		.amdhsa_user_sgpr_kernarg_preload_length 0
		.amdhsa_user_sgpr_kernarg_preload_offset 0
		.amdhsa_user_sgpr_private_segment_size 0
		.amdhsa_uses_dynamic_stack 0
		.amdhsa_enable_private_segment 0
		.amdhsa_system_sgpr_workgroup_id_x 1
		.amdhsa_system_sgpr_workgroup_id_y 1
		.amdhsa_system_sgpr_workgroup_id_z 1
		.amdhsa_system_sgpr_workgroup_info 0
		.amdhsa_system_vgpr_workitem_id 0
		.amdhsa_next_free_vgpr 92
		.amdhsa_next_free_sgpr 48
		.amdhsa_accum_offset 92
		.amdhsa_reserve_vcc 1
		.amdhsa_float_round_mode_32 0
		.amdhsa_float_round_mode_16_64 0
		.amdhsa_float_denorm_mode_32 3
		.amdhsa_float_denorm_mode_16_64 3
		.amdhsa_dx10_clamp 1
		.amdhsa_ieee_mode 1
		.amdhsa_fp16_overflow 0
		.amdhsa_tg_split 0
		.amdhsa_exception_fp_ieee_invalid_op 0
		.amdhsa_exception_fp_denorm_src 0
		.amdhsa_exception_fp_ieee_div_zero 0
		.amdhsa_exception_fp_ieee_overflow 0
		.amdhsa_exception_fp_ieee_underflow 0
		.amdhsa_exception_fp_ieee_inexact 0
		.amdhsa_exception_int_div_zero 0
	.end_amdhsa_kernel
	.section	.text._ZN4vllm25paged_attention_v1_kernelIfhLi128ELi16ELi128ELNS_18Fp8KVCacheDataTypeE1ELb1EEEvPT_PKS2_PKT0_S8_ifPKiSA_iPKfiiiSC_SC_iiiii,"axG",@progbits,_ZN4vllm25paged_attention_v1_kernelIfhLi128ELi16ELi128ELNS_18Fp8KVCacheDataTypeE1ELb1EEEvPT_PKS2_PKT0_S8_ifPKiSA_iPKfiiiSC_SC_iiiii,comdat
.Lfunc_end188:
	.size	_ZN4vllm25paged_attention_v1_kernelIfhLi128ELi16ELi128ELNS_18Fp8KVCacheDataTypeE1ELb1EEEvPT_PKS2_PKT0_S8_ifPKiSA_iPKfiiiSC_SC_iiiii, .Lfunc_end188-_ZN4vllm25paged_attention_v1_kernelIfhLi128ELi16ELi128ELNS_18Fp8KVCacheDataTypeE1ELb1EEEvPT_PKS2_PKT0_S8_ifPKiSA_iPKfiiiSC_SC_iiiii
                                        ; -- End function
	.section	.AMDGPU.csdata,"",@progbits
; Kernel info:
; codeLenInByte = 6472
; NumSgprs: 54
; NumVgprs: 92
; NumAgprs: 0
; TotalNumVgprs: 92
; ScratchSize: 0
; MemoryBound: 0
; FloatMode: 240
; IeeeMode: 1
; LDSByteSize: 528 bytes/workgroup (compile time only)
; SGPRBlocks: 6
; VGPRBlocks: 11
; NumSGPRsForWavesPerEU: 54
; NumVGPRsForWavesPerEU: 92
; AccumOffset: 92
; Occupancy: 5
; WaveLimiterHint : 1
; COMPUTE_PGM_RSRC2:SCRATCH_EN: 0
; COMPUTE_PGM_RSRC2:USER_SGPR: 2
; COMPUTE_PGM_RSRC2:TRAP_HANDLER: 0
; COMPUTE_PGM_RSRC2:TGID_X_EN: 1
; COMPUTE_PGM_RSRC2:TGID_Y_EN: 1
; COMPUTE_PGM_RSRC2:TGID_Z_EN: 1
; COMPUTE_PGM_RSRC2:TIDIG_COMP_CNT: 0
; COMPUTE_PGM_RSRC3_GFX90A:ACCUM_OFFSET: 22
; COMPUTE_PGM_RSRC3_GFX90A:TG_SPLIT: 0
	.section	.text._ZN4vllm25paged_attention_v1_kernelIfhLi192ELi16ELi128ELNS_18Fp8KVCacheDataTypeE1ELb1EEEvPT_PKS2_PKT0_S8_ifPKiSA_iPKfiiiSC_SC_iiiii,"axG",@progbits,_ZN4vllm25paged_attention_v1_kernelIfhLi192ELi16ELi128ELNS_18Fp8KVCacheDataTypeE1ELb1EEEvPT_PKS2_PKT0_S8_ifPKiSA_iPKfiiiSC_SC_iiiii,comdat
	.protected	_ZN4vllm25paged_attention_v1_kernelIfhLi192ELi16ELi128ELNS_18Fp8KVCacheDataTypeE1ELb1EEEvPT_PKS2_PKT0_S8_ifPKiSA_iPKfiiiSC_SC_iiiii ; -- Begin function _ZN4vllm25paged_attention_v1_kernelIfhLi192ELi16ELi128ELNS_18Fp8KVCacheDataTypeE1ELb1EEEvPT_PKS2_PKT0_S8_ifPKiSA_iPKfiiiSC_SC_iiiii
	.globl	_ZN4vllm25paged_attention_v1_kernelIfhLi192ELi16ELi128ELNS_18Fp8KVCacheDataTypeE1ELb1EEEvPT_PKS2_PKT0_S8_ifPKiSA_iPKfiiiSC_SC_iiiii
	.p2align	8
	.type	_ZN4vllm25paged_attention_v1_kernelIfhLi192ELi16ELi128ELNS_18Fp8KVCacheDataTypeE1ELb1EEEvPT_PKS2_PKT0_S8_ifPKiSA_iPKfiiiSC_SC_iiiii,@function
_ZN4vllm25paged_attention_v1_kernelIfhLi192ELi16ELi128ELNS_18Fp8KVCacheDataTypeE1ELb1EEEvPT_PKS2_PKT0_S8_ifPKiSA_iPKfiiiSC_SC_iiiii: ; @_ZN4vllm25paged_attention_v1_kernelIfhLi192ELi16ELi128ELNS_18Fp8KVCacheDataTypeE1ELb1EEEvPT_PKS2_PKT0_S8_ifPKiSA_iPKfiiiSC_SC_iiiii
; %bb.0:
	s_load_dword s5, s[0:1], 0x80
	s_load_dwordx2 s[6:7], s[0:1], 0x30
	s_load_dwordx2 s[36:37], s[0:1], 0x20
	s_mov_b32 s24, s3
	s_ashr_i32 s25, s3, 31
	s_lshl_b64 s[8:9], s[24:25], 2
	s_waitcnt lgkmcnt(0)
	s_add_u32 s6, s6, s8
	s_addc_u32 s7, s7, s9
	s_abs_i32 s3, s36
	v_cvt_f32_u32_e32 v1, s3
	s_sub_i32 s10, 0, s3
	s_abs_i32 s9, s5
	s_xor_b32 s8, s5, s36
	v_rcp_iflag_f32_e32 v1, v1
	s_ashr_i32 s8, s8, 31
	s_mov_b32 s44, 0
	v_mul_f32_e32 v1, 0x4f7ffffe, v1
	v_cvt_u32_f32_e32 v1, v1
	s_nop 0
	v_readfirstlane_b32 s11, v1
	s_mul_i32 s10, s10, s11
	s_mul_hi_u32 s10, s11, s10
	s_add_i32 s11, s11, s10
	s_mul_hi_u32 s10, s9, s11
	s_mul_i32 s11, s10, s3
	s_sub_i32 s9, s9, s11
	s_add_i32 s11, s10, 1
	s_sub_i32 s12, s9, s3
	s_cmp_ge_u32 s9, s3
	s_cselect_b32 s10, s11, s10
	s_cselect_b32 s9, s12, s9
	s_add_i32 s11, s10, 1
	s_cmp_ge_u32 s9, s3
	s_cselect_b32 s3, s11, s10
	s_xor_b32 s3, s3, s8
	s_sub_i32 s20, s3, s8
	s_abs_i32 s34, s20
	v_cvt_f32_u32_e32 v1, s34
	s_load_dwordx2 s[8:9], s[0:1], 0x40
	s_sub_i32 s3, 0, s34
	s_abs_i32 s35, s2
	v_rcp_iflag_f32_e32 v1, v1
	s_nop 0
	v_mul_f32_e32 v1, 0x4f7ffffe, v1
	v_cvt_u32_f32_e32 v1, v1
	s_nop 0
	v_readfirstlane_b32 s12, v1
	s_mul_i32 s3, s3, s12
	s_mul_hi_u32 s3, s12, s3
	s_add_i32 s12, s12, s3
	s_waitcnt lgkmcnt(0)
	s_cmp_eq_u64 s[8:9], 0
	s_cbranch_scc1 .LBB189_2
; %bb.1:
	s_ashr_i32 s3, s2, 31
	s_lshl_b64 s[10:11], s[2:3], 2
	s_add_u32 s8, s8, s10
	s_addc_u32 s9, s9, s11
	s_load_dword s44, s[8:9], 0x0
.LBB189_2:
	s_load_dwordx2 s[26:27], s[0:1], 0x0
	s_nop 0
	s_load_dwordx4 s[8:11], s[0:1], 0x10
	s_load_dword s25, s[0:1], 0x88
	s_load_dword s33, s[6:7], 0x0
	s_load_dwordx2 s[30:31], s[0:1], 0x28
	s_load_dwordx4 s[16:19], s[0:1], 0x48
	s_mul_hi_u32 s3, s35, s12
	v_lshrrev_b32_e32 v72, 2, v0
	s_movk_i32 s12, 0xc0
	s_mul_i32 s28, s2, 0xc0
	v_and_b32_e32 v42, 3, v0
	s_ashr_i32 s29, s28, 31
	v_cmp_gt_u32_e32 vcc, s12, v0
	v_lshlrev_b32_e32 v1, 2, v72
	s_and_saveexec_b64 s[6:7], vcc
	s_cbranch_execz .LBB189_5
; %bb.3:
	s_load_dwordx2 s[14:15], s[0:1], 0x8
	s_waitcnt lgkmcnt(0)
	s_mul_i32 s22, s24, s16
	s_ashr_i32 s23, s22, 31
	v_mad_u32_u24 v5, v42, s12, v1
	s_lshl_b64 s[12:13], s[22:23], 2
	s_lshl_b64 s[22:23], s[28:29], 2
	s_add_u32 s12, s12, s22
	s_addc_u32 s13, s13, s23
	v_or_b32_e32 v2, v1, v42
	s_add_u32 s12, s14, s12
	v_lshlrev_b32_e32 v2, 2, v2
	v_mov_b32_e32 v3, 0
	s_addc_u32 s13, s15, s13
	v_subrev_u32_e32 v4, 32, v72
	v_lshl_add_u64 v[2:3], s[12:13], 0, v[2:3]
	s_mov_b64 s[12:13], 0
	s_mov_b64 s[14:15], 0x200
.LBB189_4:                              ; =>This Inner Loop Header: Depth=1
	global_load_dword v6, v[2:3], off
	v_add_u32_e32 v4, 32, v4
	v_cmp_lt_u32_e32 vcc, 15, v4
	v_lshl_add_u64 v[2:3], v[2:3], 0, s[14:15]
	s_or_b64 s[12:13], vcc, s[12:13]
	s_waitcnt vmcnt(0)
	ds_write_b32 v5, v6
	v_add_u32_e32 v5, 0x80, v5
	s_andn2_b64 exec, exec, s[12:13]
	s_cbranch_execnz .LBB189_4
.LBB189_5:
	s_or_b64 exec, exec, s[6:7]
	s_ashr_i32 s6, s2, 31
	s_ashr_i32 s7, s20, 31
	s_xor_b32 s6, s6, s7
	s_mul_i32 s7, s3, s34
	s_sub_i32 s7, s35, s7
	s_add_i32 s13, s3, 1
	s_sub_i32 s14, s7, s34
	s_load_dwordx4 s[20:23], s[0:1], 0x68
	s_load_dword s12, s[0:1], 0x78
	s_cmp_ge_u32 s7, s34
	s_cselect_b32 s3, s13, s3
	s_cselect_b32 s7, s14, s7
	s_add_i32 s13, s3, 1
	s_cmp_ge_u32 s7, s34
	s_cselect_b32 s3, s13, s3
	s_waitcnt lgkmcnt(0)
	s_abs_i32 s16, s23
	v_cvt_f32_u32_e32 v2, s16
	s_xor_b32 s3, s3, s6
	s_sub_i32 s43, s3, s6
	s_sub_i32 s6, 0, s16
	v_rcp_iflag_f32_e32 v2, v2
	s_add_i32 s13, s33, -1
	s_abs_i32 s3, s13
	v_mul_f32_e32 v2, 0x4f7ffffe, v2
	v_cvt_u32_f32_e32 v2, v2
	s_barrier
	v_readfirstlane_b32 s29, v2
	s_mul_i32 s6, s6, s29
	s_mul_hi_u32 s6, s29, s6
	s_add_i32 s29, s29, s6
	s_cmp_lt_i32 s12, 0
	s_mul_hi_u32 s19, s3, s29
	s_cbranch_scc0 .LBB189_7
; %bb.6:
	s_mul_i32 s6, s20, s36
	s_add_i32 s6, s43, s6
	s_mul_i32 s6, s6, s12
	s_sub_i32 s36, 1, s6
	s_ashr_i32 s34, s13, 31
	s_ashr_i32 s23, s23, 31
	s_cbranch_execz .LBB189_8
	s_branch .LBB189_9
.LBB189_7:
                                        ; implicit-def: $sgpr36
	s_ashr_i32 s34, s13, 31
	s_ashr_i32 s23, s23, 31
.LBB189_8:
	s_mul_i32 s6, s5, s20
	s_add_i32 s2, s6, s2
	s_mul_i32 s2, s2, s12
	s_add_i32 s36, s2, 1
.LBB189_9:
	s_load_dword s2, s[0:1], 0x38
	s_load_dwordx4 s[12:15], s[0:1], 0x58
	s_mul_i32 s1, s19, s16
	s_xor_b32 s0, s34, s23
	s_sub_i32 s1, s3, s1
	s_waitcnt lgkmcnt(0)
	s_mul_i32 s34, s24, s2
	s_ashr_i32 s35, s34, 31
	s_add_i32 s2, s19, 1
	s_sub_i32 s3, s1, s16
	s_cmp_ge_u32 s1, s16
	s_cselect_b32 s2, s2, s19
	s_cselect_b32 s1, s3, s1
	s_add_i32 s3, s2, 1
	s_cmp_ge_u32 s1, s16
	s_cselect_b32 s1, s3, s2
	s_xor_b32 s1, s1, s0
	s_sub_i32 s42, s1, s0
	s_add_i32 s0, s33, 15
	s_ashr_i32 s1, s0, 31
	s_lshr_b32 s1, s1, 28
	s_add_i32 s0, s0, s1
	s_ashr_i32 s20, s0, 4
	v_lshrrev_b32_e32 v73, 6, v0
	v_cmp_gt_i32_e64 s[0:1], s20, v73
	v_mov_b32_e32 v52, 0xff7fffff
	s_mul_i32 s43, s43, s18
	v_lshrrev_b32_e32 v48, 4, v0
	v_lshlrev_b32_e32 v74, 4, v73
	v_mbcnt_lo_u32_b32 v49, -1, 0
	s_and_saveexec_b64 s[18:19], s[0:1]
	s_cbranch_execz .LBB189_19
; %bb.10:
	s_sub_i32 s45, s42, s21
	s_ashr_i32 s3, s43, 31
	s_add_u32 s2, s8, s43
	s_addc_u32 s3, s9, s3
	s_abs_i32 s46, s22
	v_cvt_f32_u32_e32 v3, s46
	v_bfe_u32 v50, v0, 2, 4
	v_lshlrev_b32_e32 v2, 4, v50
	s_sub_i32 s6, 0, s46
	v_rcp_iflag_f32_e32 v4, v3
	v_mov_b32_e32 v3, 0
	v_lshl_add_u64 v[44:45], s[2:3], 0, v[2:3]
	v_mbcnt_hi_u32_b32 v58, -1, v49
	v_mul_f32_e32 v2, 0x4f7ffffe, v4
	v_cvt_u32_f32_e32 v2, v2
	v_cmp_eq_u32_e32 vcc, 0, v42
	s_mov_b32 s47, s17
	v_mul_u32_u24_e32 v51, 0xc0, v42
	v_mul_lo_u32 v4, s6, v2
	s_lshl_b64 s[6:7], s[34:35], 2
	v_mul_hi_u32 v4, v2, v4
	s_add_u32 s6, s30, s6
	v_add_u32_e32 v53, v2, v4
	v_and_b32_e32 v2, 60, v48
	s_addc_u32 s7, s31, s7
	v_lshl_add_u64 v[46:47], s[6:7], 0, v[2:3]
	v_lshlrev_b32_e32 v2, 2, v50
	v_lshl_or_b32 v2, v73, 6, v2
	v_add_u32_e32 v55, 0x310, v2
	v_subrev_u32_e32 v2, s33, v50
	v_add_u32_e32 v56, 1, v2
	v_and_b32_e32 v2, 64, v58
	v_cmp_neq_f32_e64 s[2:3], s44, 0
	v_mov_b32_e32 v43, v3
	v_lshlrev_b32_e32 v54, 4, v73
	s_mov_b64 s[38:39], 0
	v_mov_b32_e32 v57, 0xff7fffff
	v_add_u32_e32 v59, 64, v2
	v_xor_b32_e32 v60, 2, v58
	v_xor_b32_e32 v61, 1, v58
	v_mov_b32_e32 v52, 0xff7fffff
	v_mov_b32_e32 v62, v73
	s_branch .LBB189_13
.LBB189_11:                             ;   in Loop: Header=BB189_13 Depth=1
	s_or_b64 exec, exec, s[40:41]
.LBB189_12:                             ;   in Loop: Header=BB189_13 Depth=1
	s_or_b64 exec, exec, s[8:9]
	v_add_u32_e32 v62, 2, v62
	v_cmp_le_i32_e64 s[6:7], s20, v62
	v_lshl_add_u64 v[46:47], v[46:47], 0, 8
	v_add_u32_e32 v54, 32, v54
	s_or_b64 s[38:39], s[6:7], s[38:39]
	v_add_u32_e32 v55, 0x80, v55
	s_andn2_b64 exec, exec, s[38:39]
	s_cbranch_execz .LBB189_18
.LBB189_13:                             ; =>This Inner Loop Header: Depth=1
	v_mul_hi_u32 v2, v54, s29
	s_waitcnt lgkmcnt(0)
	v_mul_lo_u32 v3, v2, s16
	v_sub_u32_e32 v3, v54, v3
	v_add_u32_e32 v4, 1, v2
	v_cmp_le_u32_e64 s[6:7], s16, v3
	s_nop 1
	v_cndmask_b32_e64 v2, v2, v4, s[6:7]
	v_subrev_u32_e32 v4, s16, v3
	v_cndmask_b32_e64 v3, v3, v4, s[6:7]
	v_add_u32_e32 v4, 1, v2
	v_cmp_le_u32_e64 s[6:7], s16, v3
	s_nop 1
	v_cndmask_b32_e64 v2, v2, v4, s[6:7]
	v_xor_b32_e32 v2, s23, v2
	v_subrev_u32_e32 v2, s23, v2
	v_add_u32_e32 v3, s36, v2
	v_sub_u32_e32 v5, 0, v3
	v_ashrrev_i32_e32 v4, 31, v3
	v_max_i32_e32 v3, v3, v5
	v_mul_hi_u32 v5, v3, v53
	v_mul_lo_u32 v5, v5, s46
	v_sub_u32_e32 v3, v3, v5
	v_subrev_u32_e32 v5, s46, v3
	v_cmp_le_u32_e64 s[6:7], s46, v3
	v_cmp_ge_i32_e64 s[8:9], s45, v2
	s_nop 0
	v_cndmask_b32_e64 v3, v3, v5, s[6:7]
	v_subrev_u32_e32 v5, s46, v3
	v_cmp_le_u32_e64 s[6:7], s46, v3
	s_nop 1
	v_cndmask_b32_e64 v3, v3, v5, s[6:7]
	v_xor_b32_e32 v3, v3, v4
	v_sub_u32_e32 v3, v3, v4
	v_cmp_ne_u32_e64 s[6:7], 0, v3
	s_and_b64 s[6:7], s[6:7], s[8:9]
	s_and_b64 s[40:41], vcc, s[6:7]
	s_and_saveexec_b64 s[8:9], s[40:41]
	s_cbranch_execz .LBB189_15
; %bb.14:                               ;   in Loop: Header=BB189_13 Depth=1
	ds_write_b32 v55, v57
.LBB189_15:                             ;   in Loop: Header=BB189_13 Depth=1
	s_or_b64 exec, exec, s[8:9]
	s_xor_b64 s[6:7], s[6:7], -1
	s_and_saveexec_b64 s[8:9], s[6:7]
	s_cbranch_execz .LBB189_12
; %bb.16:                               ;   in Loop: Header=BB189_13 Depth=1
	global_load_dword v2, v[46:47], off
	s_waitcnt vmcnt(0)
	v_mad_i64_i32 v[2:3], s[6:7], v2, s47, v[44:45]
	v_lshl_add_u64 v[2:3], v[2:3], 0, v[42:43]
	global_load_ubyte v30, v[2:3], off
	global_load_ubyte v31, v[2:3], off offset:4
	global_load_ubyte v32, v[2:3], off offset:8
	;; [unrolled: 1-line block ×47, first 2 shown]
	ds_read_b128 v[26:29], v51
	ds_read_b128 v[34:37], v51 offset:16
	s_load_dword s40, s[12:13], 0x0
	ds_read_b128 v[6:9], v51 offset:32
	ds_read_b128 v[2:5], v51 offset:48
	;; [unrolled: 1-line block ×6, first 2 shown]
	v_cmp_lt_i32_e64 s[6:7], v60, v59
	s_waitcnt vmcnt(47)
	v_cvt_f32_fp8_sdwa v30, v30 src0_sel:BYTE_0
	s_waitcnt vmcnt(46)
	v_cvt_f32_fp8_sdwa v31, v31 src0_sel:BYTE_0
	;; [unrolled: 2-line block ×5, first 2 shown]
	s_waitcnt lgkmcnt(0)
	v_mul_f32_e32 v31, s40, v31
	v_mul_f32_e32 v30, s40, v30
	;; [unrolled: 1-line block ×3, first 2 shown]
	s_waitcnt vmcnt(42)
	v_cvt_f32_fp8_sdwa v39, v39 src0_sel:BYTE_0
	v_mul_f32_e32 v32, s40, v32
	v_fmac_f32_e32 v106, v26, v30
	s_waitcnt vmcnt(41)
	v_cvt_f32_fp8_sdwa v40, v40 src0_sel:BYTE_0
	v_mul_f32_e32 v33, s40, v33
	v_fmac_f32_e32 v106, v28, v32
	s_waitcnt vmcnt(40)
	v_cvt_f32_fp8_sdwa v41, v41 src0_sel:BYTE_0
	v_fmac_f32_e32 v106, v29, v33
	s_waitcnt vmcnt(39)
	v_cvt_f32_fp8_sdwa v76, v76 src0_sel:BYTE_0
	v_mul_f32_e32 v38, s40, v38
	v_mul_f32_e32 v39, s40, v39
	v_fmac_f32_e32 v106, v34, v38
	s_waitcnt vmcnt(38)
	v_cvt_f32_fp8_sdwa v63, v63 src0_sel:BYTE_0
	v_mul_f32_e32 v40, s40, v40
	v_fmac_f32_e32 v106, v35, v39
	s_waitcnt vmcnt(37)
	v_cvt_f32_fp8_sdwa v64, v64 src0_sel:BYTE_0
	;; [unrolled: 4-line block ×3, first 2 shown]
	v_fmac_f32_e32 v106, v37, v41
	v_mul_f32_e32 v76, s40, v76
	s_waitcnt vmcnt(35)
	v_cvt_f32_fp8_sdwa v66, v66 src0_sel:BYTE_0
	v_fmac_f32_e32 v106, v6, v76
	s_waitcnt vmcnt(34)
	v_cvt_f32_fp8_sdwa v67, v67 src0_sel:BYTE_0
	v_mul_f32_e32 v63, s40, v63
	s_waitcnt vmcnt(33)
	v_cvt_f32_fp8_sdwa v68, v68 src0_sel:BYTE_0
	v_mul_f32_e32 v64, s40, v64
	v_fmac_f32_e32 v106, v7, v63
	s_waitcnt vmcnt(32)
	v_cvt_f32_fp8_sdwa v69, v69 src0_sel:BYTE_0
	v_mul_f32_e32 v65, s40, v65
	v_fmac_f32_e32 v106, v8, v64
	s_waitcnt vmcnt(31)
	v_cvt_f32_fp8_sdwa v70, v70 src0_sel:BYTE_0
	v_mul_f32_e32 v66, s40, v66
	v_fmac_f32_e32 v106, v9, v65
	s_waitcnt vmcnt(30)
	v_cvt_f32_fp8_sdwa v71, v71 src0_sel:BYTE_0
	v_mul_f32_e32 v67, s40, v67
	v_fmac_f32_e32 v106, v2, v66
	s_waitcnt vmcnt(29)
	v_cvt_f32_fp8_sdwa v75, v75 src0_sel:BYTE_0
	v_mul_f32_e32 v68, s40, v68
	v_fmac_f32_e32 v106, v3, v67
	s_waitcnt vmcnt(28)
	v_cvt_f32_fp8_sdwa v76, v77 src0_sel:BYTE_0
	v_mul_f32_e32 v69, s40, v69
	v_fmac_f32_e32 v106, v4, v68
	s_waitcnt vmcnt(27)
	v_cvt_f32_fp8_sdwa v77, v78 src0_sel:BYTE_0
	v_mul_f32_e32 v70, s40, v70
	v_fmac_f32_e32 v106, v5, v69
	s_waitcnt vmcnt(26)
	v_cvt_f32_fp8_sdwa v78, v79 src0_sel:BYTE_0
	v_mul_f32_e32 v71, s40, v71
	v_fmac_f32_e32 v106, v18, v70
	s_waitcnt vmcnt(25)
	v_cvt_f32_fp8_sdwa v79, v80 src0_sel:BYTE_0
	v_mul_f32_e32 v75, s40, v75
	v_fmac_f32_e32 v106, v19, v71
	s_waitcnt vmcnt(24)
	v_cvt_f32_fp8_sdwa v80, v81 src0_sel:BYTE_0
	v_mul_f32_e32 v76, s40, v76
	v_fmac_f32_e32 v106, v20, v75
	s_waitcnt vmcnt(23)
	v_cvt_f32_fp8_sdwa v81, v82 src0_sel:BYTE_0
	v_mul_f32_e32 v77, s40, v77
	v_fmac_f32_e32 v106, v21, v76
	s_waitcnt vmcnt(22)
	v_cvt_f32_fp8_sdwa v82, v83 src0_sel:BYTE_0
	v_mul_f32_e32 v78, s40, v78
	v_fmac_f32_e32 v106, v10, v77
	s_waitcnt vmcnt(21)
	v_cvt_f32_fp8_sdwa v83, v84 src0_sel:BYTE_0
	v_mul_f32_e32 v79, s40, v79
	v_fmac_f32_e32 v106, v11, v78
	s_waitcnt vmcnt(20)
	v_cvt_f32_fp8_sdwa v84, v85 src0_sel:BYTE_0
	v_mul_f32_e32 v80, s40, v80
	v_fmac_f32_e32 v106, v12, v79
	s_waitcnt vmcnt(19)
	v_cvt_f32_fp8_sdwa v85, v86 src0_sel:BYTE_0
	v_mul_f32_e32 v81, s40, v81
	v_fmac_f32_e32 v106, v13, v80
	s_waitcnt vmcnt(18)
	v_cvt_f32_fp8_sdwa v86, v87 src0_sel:BYTE_0
	v_mul_f32_e32 v82, s40, v82
	v_fmac_f32_e32 v106, v22, v81
	s_waitcnt vmcnt(17)
	v_cvt_f32_fp8_sdwa v87, v88 src0_sel:BYTE_0
	v_mul_f32_e32 v83, s40, v83
	v_fmac_f32_e32 v106, v23, v82
	s_waitcnt vmcnt(16)
	v_cvt_f32_fp8_sdwa v88, v89 src0_sel:BYTE_0
	v_mul_f32_e32 v84, s40, v84
	v_fmac_f32_e32 v106, v24, v83
	s_waitcnt vmcnt(15)
	v_cvt_f32_fp8_sdwa v89, v90 src0_sel:BYTE_0
	v_mul_f32_e32 v85, s40, v85
	v_fmac_f32_e32 v106, v25, v84
	ds_read_b128 v[30:33], v51 offset:128
	ds_read_b128 v[26:29], v51 offset:144
	s_waitcnt vmcnt(14)
	v_cvt_f32_fp8_sdwa v90, v91 src0_sel:BYTE_0
	v_mul_f32_e32 v86, s40, v86
	v_fmac_f32_e32 v106, v14, v85
	s_waitcnt vmcnt(13)
	v_cvt_f32_fp8_sdwa v91, v92 src0_sel:BYTE_0
	v_mul_f32_e32 v87, s40, v87
	v_fmac_f32_e32 v106, v15, v86
	;; [unrolled: 4-line block ×4, first 2 shown]
	s_waitcnt vmcnt(10)
	v_cvt_f32_fp8_sdwa v94, v95 src0_sel:BYTE_0
	v_mul_f32_e32 v90, s40, v90
	s_waitcnt lgkmcnt(1)
	v_fmac_f32_e32 v106, v30, v89
	s_waitcnt vmcnt(9)
	v_cvt_f32_fp8_sdwa v95, v96 src0_sel:BYTE_0
	v_mul_f32_e32 v91, s40, v91
	v_fmac_f32_e32 v106, v31, v90
	s_waitcnt vmcnt(8)
	v_cvt_f32_fp8_sdwa v96, v97 src0_sel:BYTE_0
	v_mul_f32_e32 v92, s40, v92
	v_fmac_f32_e32 v106, v32, v91
	s_waitcnt vmcnt(7)
	v_cvt_f32_fp8_sdwa v97, v98 src0_sel:BYTE_0
	v_mul_f32_e32 v93, s40, v93
	v_fmac_f32_e32 v106, v33, v92
	ds_read_b128 v[38:41], v51 offset:160
	ds_read_b128 v[34:37], v51 offset:176
	s_waitcnt vmcnt(6)
	v_cvt_f32_fp8_sdwa v98, v99 src0_sel:BYTE_0
	v_mul_f32_e32 v94, s40, v94
	s_waitcnt lgkmcnt(2)
	v_fmac_f32_e32 v106, v26, v93
	s_waitcnt vmcnt(5)
	v_cvt_f32_fp8_sdwa v99, v100 src0_sel:BYTE_0
	v_mul_f32_e32 v95, s40, v95
	v_fmac_f32_e32 v106, v27, v94
	s_waitcnt vmcnt(4)
	v_cvt_f32_fp8_sdwa v100, v101 src0_sel:BYTE_0
	v_mul_f32_e32 v96, s40, v96
	;; [unrolled: 4-line block ×4, first 2 shown]
	s_waitcnt lgkmcnt(1)
	v_fmac_f32_e32 v106, v38, v97
	s_waitcnt vmcnt(1)
	v_cvt_f32_fp8_sdwa v103, v104 src0_sel:BYTE_0
	v_mul_f32_e32 v99, s40, v99
	v_fmac_f32_e32 v106, v39, v98
	s_waitcnt vmcnt(0)
	v_cvt_f32_fp8_sdwa v104, v105 src0_sel:BYTE_0
	v_mul_f32_e32 v100, s40, v100
	v_fmac_f32_e32 v106, v40, v99
	v_mul_f32_e32 v101, s40, v101
	v_fmac_f32_e32 v106, v41, v100
	v_mul_f32_e32 v102, s40, v102
	s_waitcnt lgkmcnt(0)
	v_fmac_f32_e32 v106, v34, v101
	v_mul_f32_e32 v103, s40, v103
	v_fmac_f32_e32 v106, v35, v102
	v_cndmask_b32_e64 v6, v58, v60, s[6:7]
	v_mul_f32_e32 v104, s40, v104
	v_fmac_f32_e32 v106, v36, v103
	v_lshlrev_b32_e32 v2, 2, v6
	v_fmac_f32_e32 v106, v37, v104
	ds_bpermute_b32 v2, v2, v106
	v_cmp_lt_i32_e64 s[6:7], v61, v59
	s_waitcnt lgkmcnt(0)
	v_add_f32_e32 v2, v106, v2
	v_cndmask_b32_e64 v3, v58, v61, s[6:7]
	v_lshlrev_b32_e32 v3, 2, v3
	ds_bpermute_b32 v3, v3, v2
	s_and_saveexec_b64 s[40:41], vcc
	s_cbranch_execz .LBB189_11
; %bb.17:                               ;   in Loop: Header=BB189_13 Depth=1
	v_add_u32_e32 v4, v56, v54
	v_cvt_f32_i32_e32 v4, v4
	s_waitcnt lgkmcnt(0)
	v_add_f32_e32 v2, v2, v3
	v_add_u32_e32 v5, v50, v54
	v_cmp_gt_i32_e64 s[6:7], s33, v5
	v_mul_f32_e32 v3, s44, v4
	v_cndmask_b32_e64 v3, 0, v3, s[2:3]
	v_fmac_f32_e32 v3, s37, v2
	v_cndmask_b32_e64 v2, 0, v3, s[6:7]
	ds_write_b32 v55, v2
	v_max_f32_e32 v2, v52, v52
	v_max_f32_e32 v2, v2, v3
	v_cndmask_b32_e64 v52, v52, v2, s[6:7]
	s_branch .LBB189_11
.LBB189_18:
	s_or_b64 exec, exec, s[38:39]
.LBB189_19:
	s_or_b64 exec, exec, s[18:19]
	v_mbcnt_hi_u32_b32 v2, -1, v49
	s_waitcnt lgkmcnt(0)
	v_and_b32_e32 v3, 64, v2
	v_add_u32_e32 v3, 64, v3
	v_xor_b32_e32 v4, 32, v2
	v_cmp_lt_i32_e32 vcc, v4, v3
	v_xor_b32_e32 v7, 16, v2
	v_max_f32_e32 v6, v52, v52
	v_cndmask_b32_e32 v4, v2, v4, vcc
	v_lshlrev_b32_e32 v4, 2, v4
	ds_bpermute_b32 v5, v4, v52
	v_cmp_lt_i32_e32 vcc, v7, v3
	v_xor_b32_e32 v8, 8, v2
	v_xor_b32_e32 v9, 4, v2
	v_and_b32_e32 v43, 63, v0
	s_waitcnt lgkmcnt(0)
	v_max_f32_e32 v5, v5, v5
	v_max_f32_e32 v6, v6, v5
	v_cndmask_b32_e32 v5, v2, v7, vcc
	v_lshlrev_b32_e32 v5, 2, v5
	ds_bpermute_b32 v7, v5, v6
	v_cmp_lt_i32_e32 vcc, v8, v3
	s_waitcnt lgkmcnt(0)
	v_max_f32_e32 v7, v7, v7
	v_max_f32_e32 v6, v6, v7
	v_cndmask_b32_e32 v7, v2, v8, vcc
	v_lshlrev_b32_e32 v8, 2, v7
	ds_bpermute_b32 v7, v8, v6
	v_cmp_lt_i32_e32 vcc, v9, v3
	s_waitcnt lgkmcnt(0)
	v_max_f32_e32 v7, v7, v7
	v_max_f32_e32 v7, v6, v7
	v_cndmask_b32_e32 v6, v2, v9, vcc
	v_lshlrev_b32_e32 v9, 2, v6
	ds_bpermute_b32 v10, v9, v7
	v_cmp_eq_u32_e32 vcc, 0, v43
	v_lshlrev_b32_e32 v6, 2, v73
	s_and_saveexec_b64 s[2:3], vcc
	s_cbranch_execz .LBB189_21
; %bb.20:
	s_waitcnt lgkmcnt(0)
	v_max_f32_e32 v10, v10, v10
	v_max_f32_e32 v7, v7, v7
	;; [unrolled: 1-line block ×3, first 2 shown]
	ds_write_b32 v6, v7 offset:768
.LBB189_21:
	s_or_b64 exec, exec, s[2:3]
	v_cmp_gt_u32_e64 s[2:3], 2, v43
	s_waitcnt lgkmcnt(0)
	v_mov_b32_e32 v10, 0xff7fffff
	v_lshlrev_b32_e32 v7, 2, v43
	s_barrier
	s_and_saveexec_b64 s[6:7], s[2:3]
	s_cbranch_execz .LBB189_23
; %bb.22:
	ds_read_b32 v10, v7 offset:768
.LBB189_23:
	s_or_b64 exec, exec, s[6:7]
	v_xor_b32_e32 v11, 1, v2
	v_cmp_lt_i32_e64 s[6:7], v11, v3
	v_lshlrev_b32_e32 v12, 2, v2
	s_nop 0
	v_cndmask_b32_e64 v11, v2, v11, s[6:7]
	v_lshlrev_b32_e32 v75, 2, v11
	s_waitcnt lgkmcnt(0)
	ds_bpermute_b32 v11, v75, v10
	v_max_f32_e32 v10, v10, v10
	s_lshl_b32 s6, s20, 4
	s_min_i32 s37, s6, s33
	v_cmp_gt_i32_e64 s[6:7], s37, v0
	s_waitcnt lgkmcnt(0)
	v_max_f32_e32 v11, v11, v11
	v_max_f32_e32 v11, v10, v11
	v_and_b32_e32 v10, 0x100, v12
	ds_bpermute_b32 v12, v10, v11
	v_mov_b32_e32 v11, 0
	s_and_saveexec_b64 s[12:13], s[6:7]
	s_cbranch_execz .LBB189_27
; %bb.24:
	v_mov_b32_e32 v11, 0x310
	v_lshl_add_u32 v13, v0, 2, v11
	s_mov_b64 s[18:19], 0
	v_mov_b32_e32 v11, 0
	v_mov_b32_e32 v14, v0
.LBB189_25:                             ; =>This Inner Loop Header: Depth=1
	ds_read_b32 v15, v13
	v_add_u32_e32 v14, 0x80, v14
	v_cmp_le_i32_e64 s[8:9], s37, v14
	s_or_b64 s[18:19], s[8:9], s[18:19]
	s_waitcnt lgkmcnt(0)
	v_sub_f32_e32 v15, v15, v12
	v_mul_f32_e32 v15, 0x3fb8aa3b, v15
	v_exp_f32_e32 v15, v15
	ds_write_b32 v13, v15
	v_add_f32_e32 v11, v11, v15
	v_add_u32_e32 v13, 0x200, v13
	s_andn2_b64 exec, exec, s[18:19]
	s_cbranch_execnz .LBB189_25
; %bb.26:
	s_or_b64 exec, exec, s[18:19]
.LBB189_27:
	s_or_b64 exec, exec, s[12:13]
	ds_bpermute_b32 v4, v4, v11
	s_waitcnt lgkmcnt(0)
	v_add_f32_e32 v4, v11, v4
	ds_bpermute_b32 v5, v5, v4
	s_waitcnt lgkmcnt(0)
	v_add_f32_e32 v4, v4, v5
	ds_bpermute_b32 v5, v8, v4
	v_xor_b32_e32 v8, 2, v2
	v_cmp_lt_i32_e64 s[8:9], v8, v3
	s_waitcnt lgkmcnt(0)
	v_add_f32_e32 v4, v4, v5
	ds_bpermute_b32 v5, v9, v4
	v_cndmask_b32_e64 v2, v2, v8, s[8:9]
	v_lshlrev_b32_e32 v76, 2, v2
	s_waitcnt lgkmcnt(0)
	v_add_f32_e32 v3, v4, v5
	ds_bpermute_b32 v2, v76, v3
	s_waitcnt lgkmcnt(0)
	v_add_f32_e32 v2, v3, v2
	ds_bpermute_b32 v3, v75, v2
	s_waitcnt lgkmcnt(0)
	v_add_f32_e32 v2, v2, v3
	s_and_saveexec_b64 s[8:9], vcc
	s_cbranch_execz .LBB189_29
; %bb.28:
	ds_write_b32 v6, v2 offset:776
.LBB189_29:
	s_or_b64 exec, exec, s[8:9]
	s_waitcnt lgkmcnt(0)
	s_barrier
	s_and_saveexec_b64 s[8:9], s[2:3]
	s_cbranch_execz .LBB189_31
; %bb.30:
	ds_read_b32 v2, v7 offset:776
.LBB189_31:
	s_or_b64 exec, exec, s[8:9]
	s_waitcnt lgkmcnt(0)
	ds_bpermute_b32 v3, v75, v2
	s_waitcnt lgkmcnt(0)
	v_add_f32_e32 v2, v2, v3
	ds_bpermute_b32 v2, v10, v2
	s_and_saveexec_b64 s[2:3], s[6:7]
	s_cbranch_execz .LBB189_44
; %bb.32:
	s_waitcnt lgkmcnt(0)
	v_add_f32_e32 v2, 0x358637bd, v2
	v_div_scale_f32 v3, s[6:7], v2, v2, 1.0
	v_rcp_f32_e32 v4, v3
	v_div_scale_f32 v5, vcc, 1.0, v2, 1.0
	s_movk_i32 s6, 0x7f
	v_fma_f32 v6, -v3, v4, 1.0
	v_fmac_f32_e32 v4, v6, v4
	v_mul_f32_e32 v6, v5, v4
	v_fma_f32 v7, -v3, v6, v5
	v_fmac_f32_e32 v6, v7, v4
	v_fma_f32 v3, -v3, v6, v5
	v_div_fmas_f32 v3, v3, v4, v6
	v_xad_u32 v4, v0, -1, s37
	v_div_fixup_f32 v2, v3, v2, 1.0
	v_cmp_lt_u32_e32 vcc, s6, v4
	s_mov_b64 s[8:9], -1
	v_mov_b32_e32 v3, v0
	s_and_saveexec_b64 s[6:7], vcc
	s_cbranch_execz .LBB189_41
; %bb.33:
	v_lshrrev_b32_e32 v4, 7, v4
	v_add_u32_e32 v6, -1, v4
	v_lshrrev_b32_e32 v5, 1, v6
	v_mov_b32_e32 v3, v2
	v_add_u32_e32 v5, 1, v5
	v_cmp_lt_u32_e32 vcc, 13, v6
	v_mov_b32_e32 v8, 0
	s_and_saveexec_b64 s[8:9], vcc
	s_cbranch_execz .LBB189_37
; %bb.34:
	v_mov_b32_e32 v7, 0x310
	v_and_b32_e32 v6, -8, v5
	v_lshl_add_u32 v7, v0, 2, v7
	s_mov_b32 s18, 0
	s_mov_b64 s[12:13], 0
.LBB189_35:                             ; =>This Inner Loop Header: Depth=1
	ds_read2st64_b32 v[8:9], v7 offset1:2
	ds_read2st64_b32 v[10:11], v7 offset0:4 offset1:6
	ds_read2st64_b32 v[12:13], v7 offset0:8 offset1:10
	;; [unrolled: 1-line block ×3, first 2 shown]
	v_add_u32_e32 v6, -8, v6
	s_waitcnt lgkmcnt(3)
	v_pk_mul_f32 v[8:9], v[2:3], v[8:9]
	s_waitcnt lgkmcnt(2)
	v_pk_mul_f32 v[10:11], v[2:3], v[10:11]
	ds_write2st64_b32 v7, v8, v9 offset1:2
	ds_write2st64_b32 v7, v10, v11 offset0:4 offset1:6
	ds_read2st64_b32 v[10:11], v7 offset0:16 offset1:18
	s_waitcnt lgkmcnt(4)
	v_pk_mul_f32 v[8:9], v[2:3], v[12:13]
	ds_write2st64_b32 v7, v8, v9 offset0:8 offset1:10
	s_waitcnt lgkmcnt(4)
	v_pk_mul_f32 v[8:9], v[2:3], v[14:15]
	ds_write2st64_b32 v7, v8, v9 offset0:12 offset1:14
	ds_read2st64_b32 v[8:9], v7 offset0:20 offset1:22
	s_waitcnt lgkmcnt(3)
	v_pk_mul_f32 v[10:11], v[2:3], v[10:11]
	ds_read2st64_b32 v[12:13], v7 offset0:24 offset1:26
	ds_write2st64_b32 v7, v10, v11 offset0:16 offset1:18
	ds_read2st64_b32 v[10:11], v7 offset0:28 offset1:30
	s_waitcnt lgkmcnt(3)
	v_pk_mul_f32 v[8:9], v[2:3], v[8:9]
	ds_write2st64_b32 v7, v8, v9 offset0:20 offset1:22
	s_waitcnt lgkmcnt(3)
	v_pk_mul_f32 v[8:9], v[2:3], v[12:13]
	ds_write2st64_b32 v7, v8, v9 offset0:24 offset1:26
	s_waitcnt lgkmcnt(2)
	v_pk_mul_f32 v[8:9], v[2:3], v[10:11]
	s_add_i32 s18, s18, 16
	v_cmp_eq_u32_e32 vcc, 0, v6
	ds_write2st64_b32 v7, v8, v9 offset0:28 offset1:30
	v_add_u32_e32 v7, 0x2000, v7
	s_or_b64 s[12:13], vcc, s[12:13]
	v_mov_b32_e32 v8, s18
	s_andn2_b64 exec, exec, s[12:13]
	s_cbranch_execnz .LBB189_35
; %bb.36:
	s_or_b64 exec, exec, s[12:13]
.LBB189_37:
	s_or_b64 exec, exec, s[8:9]
	v_and_b32_e32 v5, 7, v5
	v_cmp_ne_u32_e32 vcc, 0, v5
	s_and_saveexec_b64 s[8:9], vcc
	s_cbranch_execz .LBB189_40
; %bb.38:
	v_lshlrev_b32_e32 v6, 9, v8
	v_lshlrev_b32_e32 v7, 2, v0
	s_movk_i32 s12, 0x310
	v_add3_u32 v6, v6, v7, s12
	s_mov_b64 s[12:13], 0
.LBB189_39:                             ; =>This Inner Loop Header: Depth=1
	ds_read2st64_b32 v[8:9], v6 offset1:2
	v_add_u32_e32 v5, -1, v5
	v_cmp_eq_u32_e32 vcc, 0, v5
	s_or_b64 s[12:13], vcc, s[12:13]
	s_waitcnt lgkmcnt(0)
	v_pk_mul_f32 v[8:9], v[2:3], v[8:9]
	ds_write2st64_b32 v6, v8, v9 offset1:2
	v_add_u32_e32 v6, 0x400, v6
	s_andn2_b64 exec, exec, s[12:13]
	s_cbranch_execnz .LBB189_39
.LBB189_40:
	s_or_b64 exec, exec, s[8:9]
	v_add_u32_e32 v4, 1, v4
	v_and_b32_e32 v5, 0x3fffffe, v4
	v_cmp_ne_u32_e32 vcc, v4, v5
	v_lshl_add_u32 v3, v5, 7, v0
	s_orn2_b64 s[8:9], vcc, exec
.LBB189_41:
	s_or_b64 exec, exec, s[6:7]
	s_and_b64 exec, exec, s[8:9]
	s_cbranch_execz .LBB189_44
; %bb.42:
	v_mov_b32_e32 v4, 0x310
	v_lshl_add_u32 v4, v3, 2, v4
	s_mov_b64 s[6:7], 0
.LBB189_43:                             ; =>This Inner Loop Header: Depth=1
	ds_read_b32 v5, v4
	v_add_u32_e32 v3, 0x80, v3
	v_cmp_le_i32_e32 vcc, s37, v3
	s_or_b64 s[6:7], vcc, s[6:7]
	s_waitcnt lgkmcnt(0)
	v_mul_f32_e32 v5, v2, v5
	ds_write_b32 v4, v5
	v_add_u32_e32 v4, 0x200, v4
	s_andn2_b64 exec, exec, s[6:7]
	s_cbranch_execnz .LBB189_43
.LBB189_44:
	s_or_b64 exec, exec, s[2:3]
	v_mov_b32_e32 v7, 0
	v_mov_b32_e32 v6, 0
	;; [unrolled: 1-line block ×12, first 2 shown]
	s_waitcnt lgkmcnt(0)
	s_barrier
	s_and_saveexec_b64 s[2:3], s[0:1]
	s_cbranch_execz .LBB189_74
; %bb.45:
	s_sub_i32 s18, s42, s21
	s_ashr_i32 s1, s43, 31
	s_add_u32 s0, s10, s43
	s_addc_u32 s1, s11, s1
	s_abs_i32 s19, s22
	v_cvt_f32_u32_e32 v2, s19
	v_lshlrev_b32_e32 v3, 2, v0
	s_sub_i32 s6, 0, s19
	v_mov_b32_e32 v7, 0
	v_rcp_iflag_f32_e32 v2, v2
	v_and_b32_e32 v77, 12, v3
	v_and_b32_e32 v6, 0xfc, v3
	s_add_i32 s21, s20, -1
	v_mul_f32_e32 v2, 0x4f7ffffe, v2
	v_cvt_u32_f32_e32 v2, v2
	v_lshl_add_u64 v[18:19], s[0:1], 0, v[6:7]
	s_lshl_b64 s[0:1], s[34:35], 2
	s_add_u32 s0, s30, s0
	v_mul_lo_u32 v3, s6, v2
	v_mul_hi_u32 v3, v2, v3
	v_add_u32_e32 v78, v2, v3
	v_lshlrev_b32_e32 v2, 4, v42
	v_and_b32_e32 v6, 60, v48
	s_addc_u32 s1, s31, s1
	v_lshl_or_b32 v2, v73, 6, v2
	v_lshl_add_u64 v[20:21], s[0:1], 0, v[6:7]
	v_add_u32_e32 v79, 0x310, v2
	s_mov_b64 s[6:7], 0
	v_mov_b32_e32 v6, v7
	v_mov_b32_e32 v9, v7
	;; [unrolled: 1-line block ×11, first 2 shown]
	s_branch .LBB189_48
.LBB189_46:                             ;   in Loop: Header=BB189_48 Depth=1
	s_or_b64 exec, exec, s[0:1]
	v_mul_f32_e32 v71, v3, v71
	v_mul_f32_e32 v65, v3, v65
	;; [unrolled: 1-line block ×12, first 2 shown]
	v_fmac_f32_e32 v71, v2, v70
	v_fmac_f32_e32 v65, v2, v64
	v_fmac_f32_e32 v61, v2, v60
	v_fmac_f32_e32 v57, v2, v56
	v_fmac_f32_e32 v53, v2, v52
	v_fmac_f32_e32 v49, v2, v48
	v_fmac_f32_e32 v45, v2, v44
	v_fmac_f32_e32 v39, v2, v38
	v_fmac_f32_e32 v33, v2, v32
	v_fmac_f32_e32 v29, v2, v28
	v_fmac_f32_e32 v25, v2, v24
	v_fmac_f32_e32 v3, v2, v66
	v_fmac_f32_e32 v71, v4, v68
	v_fmac_f32_e32 v65, v4, v62
	v_fmac_f32_e32 v61, v4, v58
	v_fmac_f32_e32 v57, v4, v54
	v_fmac_f32_e32 v53, v4, v50
	v_fmac_f32_e32 v49, v4, v46
	v_fmac_f32_e32 v45, v4, v40
	v_fmac_f32_e32 v39, v4, v36
	v_fmac_f32_e32 v33, v4, v30
	v_fmac_f32_e32 v29, v4, v26
	v_fmac_f32_e32 v25, v4, v22
	v_fmac_f32_e32 v3, v4, v34
	v_fmac_f32_e32 v71, v5, v69
	v_fmac_f32_e32 v65, v5, v63
	v_fmac_f32_e32 v61, v5, v59
	v_fmac_f32_e32 v57, v5, v55
	v_fmac_f32_e32 v53, v5, v51
	v_fmac_f32_e32 v49, v5, v47
	v_fmac_f32_e32 v45, v5, v41
	v_fmac_f32_e32 v39, v5, v37
	v_fmac_f32_e32 v33, v5, v31
	v_fmac_f32_e32 v29, v5, v27
	v_fmac_f32_e32 v25, v5, v23
	v_fmac_f32_e32 v3, v5, v35
	v_add_f32_e32 v6, v6, v71
	v_add_f32_e32 v9, v9, v65
	;; [unrolled: 1-line block ×12, first 2 shown]
.LBB189_47:                             ;   in Loop: Header=BB189_48 Depth=1
	s_or_b64 exec, exec, s[8:9]
	v_add_u32_e32 v73, 2, v73
	v_cmp_le_i32_e32 vcc, s20, v73
	v_lshl_add_u64 v[20:21], v[20:21], 0, 8
	v_add_u32_e32 v74, 32, v74
	s_or_b64 s[6:7], vcc, s[6:7]
	v_add_u32_e32 v79, 0x80, v79
	s_andn2_b64 exec, exec, s[6:7]
	s_cbranch_execz .LBB189_73
.LBB189_48:                             ; =>This Inner Loop Header: Depth=1
	v_mul_hi_u32 v2, v74, s29
	v_mul_lo_u32 v3, v2, s16
	v_sub_u32_e32 v3, v74, v3
	v_add_u32_e32 v4, 1, v2
	v_cmp_le_u32_e32 vcc, s16, v3
	s_nop 1
	v_cndmask_b32_e32 v2, v2, v4, vcc
	v_subrev_u32_e32 v4, s16, v3
	v_cndmask_b32_e32 v3, v3, v4, vcc
	v_add_u32_e32 v4, 1, v2
	v_cmp_le_u32_e32 vcc, s16, v3
	s_nop 1
	v_cndmask_b32_e32 v2, v2, v4, vcc
	v_xor_b32_e32 v2, s23, v2
	v_subrev_u32_e32 v2, s23, v2
	v_add_u32_e32 v3, s36, v2
	v_sub_u32_e32 v5, 0, v3
	v_ashrrev_i32_e32 v4, 31, v3
	v_max_i32_e32 v3, v3, v5
	v_mul_hi_u32 v5, v3, v78
	v_mul_lo_u32 v5, v5, s19
	v_sub_u32_e32 v3, v3, v5
	v_subrev_u32_e32 v5, s19, v3
	v_cmp_le_u32_e32 vcc, s19, v3
	v_cmp_lt_i32_e64 s[0:1], s18, v2
	s_nop 0
	v_cndmask_b32_e32 v3, v3, v5, vcc
	v_subrev_u32_e32 v5, s19, v3
	v_cmp_le_u32_e32 vcc, s19, v3
	s_nop 1
	v_cndmask_b32_e32 v3, v3, v5, vcc
	v_xor_b32_e32 v3, v3, v4
	v_sub_u32_e32 v3, v3, v4
	v_cmp_eq_u32_e32 vcc, 0, v3
	s_or_b64 s[0:1], vcc, s[0:1]
	s_and_saveexec_b64 s[8:9], s[0:1]
	s_cbranch_execz .LBB189_47
; %bb.49:                               ;   in Loop: Header=BB189_48 Depth=1
	global_load_dword v2, v[20:21], off
	s_load_dword s10, s[14:15], 0x0
	v_add_u32_e32 v80, v77, v74
	v_cmp_eq_u32_e32 vcc, s21, v73
	v_add_u32_e32 v82, 1, v80
	v_add_u32_e32 v81, 2, v80
	;; [unrolled: 1-line block ×3, first 2 shown]
	s_waitcnt vmcnt(0)
	v_mad_i64_i32 v[34:35], s[0:1], v2, s17, v[18:19]
	global_load_dword v22, v[34:35], off
	ds_read_b128 v[2:5], v79
	s_waitcnt vmcnt(0)
	v_and_b32_e32 v23, 0xffff, v22
	v_lshrrev_b32_e32 v24, 16, v22
	v_cvt_pk_f32_fp8_e32 v[22:23], v23
	v_cvt_pk_f32_fp8_e32 v[26:27], v24
	s_waitcnt lgkmcnt(0)
	v_pk_mul_f32 v[24:25], s[10:11], v[22:23] op_sel_hi:[0,1]
	v_pk_mul_f32 v[22:23], s[10:11], v[26:27] op_sel_hi:[0,1]
	s_and_saveexec_b64 s[12:13], vcc
; %bb.50:                               ;   in Loop: Header=BB189_48 Depth=1
	v_cmp_gt_i32_e64 s[0:1], s33, v80
	s_nop 1
	v_cndmask_b32_e64 v24, 0, v24, s[0:1]
	v_cmp_gt_i32_e64 s[0:1], s33, v82
	s_nop 1
	v_cndmask_b32_e64 v25, 0, v25, s[0:1]
	;; [unrolled: 3-line block ×4, first 2 shown]
; %bb.51:                               ;   in Loop: Header=BB189_48 Depth=1
	s_or_b64 exec, exec, s[12:13]
	global_load_dword v26, v[34:35], off offset:256
	s_mov_b32 s11, s10
	s_waitcnt vmcnt(0)
	v_and_b32_e32 v27, 0xffff, v26
	v_lshrrev_b32_e32 v28, 16, v26
	v_cvt_pk_f32_fp8_e32 v[26:27], v27
	v_cvt_pk_f32_fp8_e32 v[30:31], v28
	v_pk_mul_f32 v[28:29], s[10:11], v[26:27]
	v_pk_mul_f32 v[26:27], s[10:11], v[30:31]
	s_and_saveexec_b64 s[12:13], vcc
; %bb.52:                               ;   in Loop: Header=BB189_48 Depth=1
	v_cmp_gt_i32_e64 s[0:1], s33, v80
	s_nop 1
	v_cndmask_b32_e64 v28, 0, v28, s[0:1]
	v_cmp_gt_i32_e64 s[0:1], s33, v82
	s_nop 1
	v_cndmask_b32_e64 v29, 0, v29, s[0:1]
	v_cmp_gt_i32_e64 s[0:1], s33, v81
	s_nop 1
	v_cndmask_b32_e64 v26, 0, v26, s[0:1]
	v_cmp_gt_i32_e64 s[0:1], s33, v83
	s_nop 1
	v_cndmask_b32_e64 v27, 0, v27, s[0:1]
; %bb.53:                               ;   in Loop: Header=BB189_48 Depth=1
	s_or_b64 exec, exec, s[12:13]
	global_load_dword v30, v[34:35], off offset:512
	s_waitcnt vmcnt(0)
	v_and_b32_e32 v31, 0xffff, v30
	v_lshrrev_b32_e32 v32, 16, v30
	v_cvt_pk_f32_fp8_e32 v[30:31], v31
	v_cvt_pk_f32_fp8_e32 v[36:37], v32
	v_pk_mul_f32 v[32:33], s[10:11], v[30:31]
	v_pk_mul_f32 v[30:31], s[10:11], v[36:37]
	s_and_saveexec_b64 s[12:13], vcc
; %bb.54:                               ;   in Loop: Header=BB189_48 Depth=1
	v_cmp_gt_i32_e64 s[0:1], s33, v80
	s_nop 1
	v_cndmask_b32_e64 v32, 0, v32, s[0:1]
	v_cmp_gt_i32_e64 s[0:1], s33, v82
	s_nop 1
	v_cndmask_b32_e64 v33, 0, v33, s[0:1]
	v_cmp_gt_i32_e64 s[0:1], s33, v81
	s_nop 1
	v_cndmask_b32_e64 v30, 0, v30, s[0:1]
	v_cmp_gt_i32_e64 s[0:1], s33, v83
	s_nop 1
	v_cndmask_b32_e64 v31, 0, v31, s[0:1]
; %bb.55:                               ;   in Loop: Header=BB189_48 Depth=1
	s_or_b64 exec, exec, s[12:13]
	global_load_dword v36, v[34:35], off offset:768
	;; [unrolled: 24-line block ×10, first 2 shown]
	s_waitcnt vmcnt(0)
	v_and_b32_e32 v35, 0xffff, v34
	v_lshrrev_b32_e32 v66, 16, v34
	v_cvt_pk_f32_fp8_e32 v[34:35], v35
	v_cvt_pk_f32_fp8_e32 v[84:85], v66
	v_pk_mul_f32 v[66:67], s[10:11], v[34:35]
	v_pk_mul_f32 v[34:35], s[10:11], v[84:85]
	s_and_saveexec_b64 s[0:1], vcc
	s_cbranch_execz .LBB189_46
; %bb.72:                               ;   in Loop: Header=BB189_48 Depth=1
	v_cmp_gt_i32_e32 vcc, s33, v80
	s_nop 1
	v_cndmask_b32_e32 v66, 0, v66, vcc
	v_cmp_gt_i32_e32 vcc, s33, v82
	s_nop 1
	v_cndmask_b32_e32 v67, 0, v67, vcc
	;; [unrolled: 3-line block ×4, first 2 shown]
	s_branch .LBB189_46
.LBB189_73:
	s_or_b64 exec, exec, s[6:7]
.LBB189_74:
	s_or_b64 exec, exec, s[2:3]
	ds_bpermute_b32 v2, v76, v16
	ds_bpermute_b32 v3, v76, v17
	ds_bpermute_b32 v18, v76, v12
	ds_bpermute_b32 v19, v76, v13
	ds_bpermute_b32 v4, v76, v14
	ds_bpermute_b32 v5, v76, v15
	s_waitcnt lgkmcnt(4)
	v_pk_add_f32 v[2:3], v[16:17], v[2:3]
	ds_bpermute_b32 v16, v75, v2
	ds_bpermute_b32 v17, v75, v3
	;; [unrolled: 1-line block ×4, first 2 shown]
	s_waitcnt lgkmcnt(4)
	v_pk_add_f32 v[4:5], v[14:15], v[4:5]
	ds_bpermute_b32 v28, v76, v6
	s_waitcnt lgkmcnt(3)
	v_pk_add_f32 v[2:3], v[2:3], v[16:17]
	v_pk_add_f32 v[16:17], v[12:13], v[18:19]
	ds_bpermute_b32 v12, v76, v10
	ds_bpermute_b32 v13, v76, v11
	;; [unrolled: 1-line block ×7, first 2 shown]
	s_waitcnt lgkmcnt(5)
	v_pk_add_f32 v[22:23], v[10:11], v[12:13]
	v_pk_add_f32 v[20:21], v[8:9], v[20:21]
	ds_bpermute_b32 v24, v75, v22
	ds_bpermute_b32 v25, v75, v23
	;; [unrolled: 1-line block ×4, first 2 shown]
	s_waitcnt lgkmcnt(8)
	v_pk_add_f32 v[6:7], v[6:7], v[28:29]
	s_waitcnt lgkmcnt(6)
	v_pk_add_f32 v[12:13], v[4:5], v[14:15]
	ds_bpermute_b32 v14, v75, v6
	ds_bpermute_b32 v15, v75, v7
	s_waitcnt lgkmcnt(6)
	v_pk_add_f32 v[10:11], v[16:17], v[18:19]
	v_and_b32_e32 v16, 0x3c3, v0
	s_waitcnt lgkmcnt(4)
	v_pk_add_f32 v[8:9], v[22:23], v[24:25]
	s_waitcnt lgkmcnt(2)
	v_pk_add_f32 v[4:5], v[20:21], v[26:27]
	v_cmp_ne_u32_e32 vcc, 64, v16
	s_waitcnt lgkmcnt(0)
	s_barrier
	s_and_saveexec_b64 s[0:1], vcc
	s_xor_b64 s[0:1], exec, s[0:1]
; %bb.75:
                                        ; implicit-def: $vgpr43
; %bb.76:
	s_or_saveexec_b64 s[0:1], s[0:1]
	v_pk_add_f32 v[6:7], v[6:7], v[14:15]
	s_xor_b64 exec, exec, s[0:1]
	s_cbranch_execz .LBB189_78
; %bb.77:
	v_add_u32_e32 v14, 0x310, v43
	ds_write2_b32 v14, v2, v3 offset1:16
	ds_write2_b32 v14, v12, v13 offset0:32 offset1:48
	ds_write2_b32 v14, v10, v11 offset0:64 offset1:80
	;; [unrolled: 1-line block ×5, first 2 shown]
.LBB189_78:
	s_or_b64 exec, exec, s[0:1]
	v_cmp_gt_u32_e32 vcc, 64, v0
	s_waitcnt lgkmcnt(0)
	s_barrier
	s_and_saveexec_b64 s[0:1], vcc
	s_cbranch_execz .LBB189_93
; %bb.79:
	v_cmp_eq_u32_e32 vcc, 0, v42
	s_and_saveexec_b64 s[2:3], vcc
	s_cbranch_execnz .LBB189_96
; %bb.80:
	s_or_b64 exec, exec, s[2:3]
	s_and_saveexec_b64 s[2:3], vcc
	s_cbranch_execnz .LBB189_97
.LBB189_81:
	s_or_b64 exec, exec, s[2:3]
	s_and_saveexec_b64 s[2:3], vcc
	s_cbranch_execnz .LBB189_98
.LBB189_82:
	s_or_b64 exec, exec, s[2:3]
	s_and_saveexec_b64 s[2:3], vcc
	s_cbranch_execnz .LBB189_99
.LBB189_83:
	s_or_b64 exec, exec, s[2:3]
	s_and_saveexec_b64 s[2:3], vcc
	s_cbranch_execnz .LBB189_100
.LBB189_84:
	s_or_b64 exec, exec, s[2:3]
	s_and_saveexec_b64 s[2:3], vcc
	s_cbranch_execnz .LBB189_101
.LBB189_85:
	s_or_b64 exec, exec, s[2:3]
	s_and_saveexec_b64 s[2:3], vcc
	s_cbranch_execnz .LBB189_102
.LBB189_86:
	s_or_b64 exec, exec, s[2:3]
	s_and_saveexec_b64 s[2:3], vcc
	s_cbranch_execnz .LBB189_103
.LBB189_87:
	s_or_b64 exec, exec, s[2:3]
	s_and_saveexec_b64 s[2:3], vcc
	s_cbranch_execnz .LBB189_104
.LBB189_88:
	s_or_b64 exec, exec, s[2:3]
	s_and_saveexec_b64 s[2:3], vcc
	s_cbranch_execnz .LBB189_105
.LBB189_89:
	s_or_b64 exec, exec, s[2:3]
	s_and_saveexec_b64 s[2:3], vcc
	s_cbranch_execnz .LBB189_106
.LBB189_90:
	s_or_b64 exec, exec, s[2:3]
	s_and_saveexec_b64 s[2:3], vcc
	s_cbranch_execz .LBB189_92
.LBB189_91:
	v_mov_b32_e32 v0, 0x310
	v_lshl_add_u32 v0, v72, 2, v0
	ds_read_b32 v0, v0 offset:704
	s_waitcnt lgkmcnt(0)
	v_add_f32_e32 v7, v7, v0
.LBB189_92:
	s_or_b64 exec, exec, s[2:3]
.LBB189_93:
	s_or_b64 exec, exec, s[0:1]
	v_cmp_eq_u32_e32 vcc, 0, v16
	s_barrier
	s_and_saveexec_b64 s[0:1], vcc
	s_cbranch_execz .LBB189_95
; %bb.94:
	s_mul_i32 s0, s24, s25
	s_mul_i32 s0, s0, s5
	s_mulk_i32 s0, 0xc0
	s_ashr_i32 s1, s0, 31
	s_lshl_b64 s[0:1], s[0:1], 2
	s_add_u32 s2, s26, s0
	s_mul_i32 s0, s25, s28
	s_addc_u32 s3, s27, s1
	s_ashr_i32 s1, s0, 31
	s_lshl_b64 s[0:1], s[0:1], 2
	s_add_u32 s2, s2, s0
	s_mul_i32 s0, s4, 0xc0
	s_addc_u32 s3, s3, s1
	s_ashr_i32 s1, s0, 31
	s_lshl_b64 s[0:1], s[0:1], 2
	s_add_u32 s0, s2, s0
	s_addc_u32 s1, s3, s1
	global_store_dword v1, v2, s[0:1]
	global_store_dword v1, v3, s[0:1] offset:64
	global_store_dword v1, v12, s[0:1] offset:128
	;; [unrolled: 1-line block ×11, first 2 shown]
.LBB189_95:
	s_endpgm
.LBB189_96:
	v_mov_b32_e32 v0, 0x310
	v_lshl_add_u32 v0, v72, 2, v0
	ds_read_b32 v0, v0
	s_waitcnt lgkmcnt(0)
	v_add_f32_e32 v2, v2, v0
	s_or_b64 exec, exec, s[2:3]
	s_and_saveexec_b64 s[2:3], vcc
	s_cbranch_execz .LBB189_81
.LBB189_97:
	v_mov_b32_e32 v0, 0x310
	v_lshl_add_u32 v0, v72, 2, v0
	ds_read_b32 v0, v0 offset:64
	s_waitcnt lgkmcnt(0)
	v_add_f32_e32 v3, v3, v0
	s_or_b64 exec, exec, s[2:3]
	s_and_saveexec_b64 s[2:3], vcc
	s_cbranch_execz .LBB189_82
.LBB189_98:
	v_mov_b32_e32 v0, 0x310
	v_lshl_add_u32 v0, v72, 2, v0
	ds_read_b32 v0, v0 offset:128
	s_waitcnt lgkmcnt(0)
	v_add_f32_e32 v12, v12, v0
	s_or_b64 exec, exec, s[2:3]
	s_and_saveexec_b64 s[2:3], vcc
	s_cbranch_execz .LBB189_83
.LBB189_99:
	v_mov_b32_e32 v0, 0x310
	v_lshl_add_u32 v0, v72, 2, v0
	ds_read_b32 v0, v0 offset:192
	s_waitcnt lgkmcnt(0)
	v_add_f32_e32 v13, v13, v0
	s_or_b64 exec, exec, s[2:3]
	s_and_saveexec_b64 s[2:3], vcc
	s_cbranch_execz .LBB189_84
.LBB189_100:
	v_mov_b32_e32 v0, 0x310
	v_lshl_add_u32 v0, v72, 2, v0
	ds_read_b32 v0, v0 offset:256
	s_waitcnt lgkmcnt(0)
	v_add_f32_e32 v10, v10, v0
	s_or_b64 exec, exec, s[2:3]
	s_and_saveexec_b64 s[2:3], vcc
	s_cbranch_execz .LBB189_85
.LBB189_101:
	v_mov_b32_e32 v0, 0x310
	v_lshl_add_u32 v0, v72, 2, v0
	ds_read_b32 v0, v0 offset:320
	s_waitcnt lgkmcnt(0)
	v_add_f32_e32 v11, v11, v0
	s_or_b64 exec, exec, s[2:3]
	s_and_saveexec_b64 s[2:3], vcc
	s_cbranch_execz .LBB189_86
.LBB189_102:
	v_mov_b32_e32 v0, 0x310
	v_lshl_add_u32 v0, v72, 2, v0
	ds_read_b32 v0, v0 offset:384
	s_waitcnt lgkmcnt(0)
	v_add_f32_e32 v8, v8, v0
	s_or_b64 exec, exec, s[2:3]
	s_and_saveexec_b64 s[2:3], vcc
	s_cbranch_execz .LBB189_87
.LBB189_103:
	v_mov_b32_e32 v0, 0x310
	v_lshl_add_u32 v0, v72, 2, v0
	ds_read_b32 v0, v0 offset:448
	s_waitcnt lgkmcnt(0)
	v_add_f32_e32 v9, v9, v0
	s_or_b64 exec, exec, s[2:3]
	s_and_saveexec_b64 s[2:3], vcc
	s_cbranch_execz .LBB189_88
.LBB189_104:
	v_mov_b32_e32 v0, 0x310
	v_lshl_add_u32 v0, v72, 2, v0
	ds_read_b32 v0, v0 offset:512
	s_waitcnt lgkmcnt(0)
	v_add_f32_e32 v4, v4, v0
	s_or_b64 exec, exec, s[2:3]
	s_and_saveexec_b64 s[2:3], vcc
	s_cbranch_execz .LBB189_89
.LBB189_105:
	v_mov_b32_e32 v0, 0x310
	v_lshl_add_u32 v0, v72, 2, v0
	ds_read_b32 v0, v0 offset:576
	s_waitcnt lgkmcnt(0)
	v_add_f32_e32 v5, v5, v0
	s_or_b64 exec, exec, s[2:3]
	s_and_saveexec_b64 s[2:3], vcc
	s_cbranch_execz .LBB189_90
.LBB189_106:
	v_mov_b32_e32 v0, 0x310
	v_lshl_add_u32 v0, v72, 2, v0
	ds_read_b32 v0, v0 offset:640
	s_waitcnt lgkmcnt(0)
	v_add_f32_e32 v6, v6, v0
	s_or_b64 exec, exec, s[2:3]
	s_and_saveexec_b64 s[2:3], vcc
	s_cbranch_execnz .LBB189_91
	s_branch .LBB189_92
	.section	.rodata,"a",@progbits
	.p2align	6, 0x0
	.amdhsa_kernel _ZN4vllm25paged_attention_v1_kernelIfhLi192ELi16ELi128ELNS_18Fp8KVCacheDataTypeE1ELb1EEEvPT_PKS2_PKT0_S8_ifPKiSA_iPKfiiiSC_SC_iiiii
		.amdhsa_group_segment_fixed_size 784
		.amdhsa_private_segment_fixed_size 0
		.amdhsa_kernarg_size 384
		.amdhsa_user_sgpr_count 2
		.amdhsa_user_sgpr_dispatch_ptr 0
		.amdhsa_user_sgpr_queue_ptr 0
		.amdhsa_user_sgpr_kernarg_segment_ptr 1
		.amdhsa_user_sgpr_dispatch_id 0
		.amdhsa_user_sgpr_kernarg_preload_length 0
		.amdhsa_user_sgpr_kernarg_preload_offset 0
		.amdhsa_user_sgpr_private_segment_size 0
		.amdhsa_uses_dynamic_stack 0
		.amdhsa_enable_private_segment 0
		.amdhsa_system_sgpr_workgroup_id_x 1
		.amdhsa_system_sgpr_workgroup_id_y 1
		.amdhsa_system_sgpr_workgroup_id_z 1
		.amdhsa_system_sgpr_workgroup_info 0
		.amdhsa_system_vgpr_workitem_id 0
		.amdhsa_next_free_vgpr 107
		.amdhsa_next_free_sgpr 48
		.amdhsa_accum_offset 108
		.amdhsa_reserve_vcc 1
		.amdhsa_float_round_mode_32 0
		.amdhsa_float_round_mode_16_64 0
		.amdhsa_float_denorm_mode_32 3
		.amdhsa_float_denorm_mode_16_64 3
		.amdhsa_dx10_clamp 1
		.amdhsa_ieee_mode 1
		.amdhsa_fp16_overflow 0
		.amdhsa_tg_split 0
		.amdhsa_exception_fp_ieee_invalid_op 0
		.amdhsa_exception_fp_denorm_src 0
		.amdhsa_exception_fp_ieee_div_zero 0
		.amdhsa_exception_fp_ieee_overflow 0
		.amdhsa_exception_fp_ieee_underflow 0
		.amdhsa_exception_fp_ieee_inexact 0
		.amdhsa_exception_int_div_zero 0
	.end_amdhsa_kernel
	.section	.text._ZN4vllm25paged_attention_v1_kernelIfhLi192ELi16ELi128ELNS_18Fp8KVCacheDataTypeE1ELb1EEEvPT_PKS2_PKT0_S8_ifPKiSA_iPKfiiiSC_SC_iiiii,"axG",@progbits,_ZN4vllm25paged_attention_v1_kernelIfhLi192ELi16ELi128ELNS_18Fp8KVCacheDataTypeE1ELb1EEEvPT_PKS2_PKT0_S8_ifPKiSA_iPKfiiiSC_SC_iiiii,comdat
.Lfunc_end189:
	.size	_ZN4vllm25paged_attention_v1_kernelIfhLi192ELi16ELi128ELNS_18Fp8KVCacheDataTypeE1ELb1EEEvPT_PKS2_PKT0_S8_ifPKiSA_iPKfiiiSC_SC_iiiii, .Lfunc_end189-_ZN4vllm25paged_attention_v1_kernelIfhLi192ELi16ELi128ELNS_18Fp8KVCacheDataTypeE1ELb1EEEvPT_PKS2_PKT0_S8_ifPKiSA_iPKfiiiSC_SC_iiiii
                                        ; -- End function
	.section	.AMDGPU.csdata,"",@progbits
; Kernel info:
; codeLenInByte = 8064
; NumSgprs: 54
; NumVgprs: 107
; NumAgprs: 0
; TotalNumVgprs: 107
; ScratchSize: 0
; MemoryBound: 0
; FloatMode: 240
; IeeeMode: 1
; LDSByteSize: 784 bytes/workgroup (compile time only)
; SGPRBlocks: 6
; VGPRBlocks: 13
; NumSGPRsForWavesPerEU: 54
; NumVGPRsForWavesPerEU: 107
; AccumOffset: 108
; Occupancy: 4
; WaveLimiterHint : 1
; COMPUTE_PGM_RSRC2:SCRATCH_EN: 0
; COMPUTE_PGM_RSRC2:USER_SGPR: 2
; COMPUTE_PGM_RSRC2:TRAP_HANDLER: 0
; COMPUTE_PGM_RSRC2:TGID_X_EN: 1
; COMPUTE_PGM_RSRC2:TGID_Y_EN: 1
; COMPUTE_PGM_RSRC2:TGID_Z_EN: 1
; COMPUTE_PGM_RSRC2:TIDIG_COMP_CNT: 0
; COMPUTE_PGM_RSRC3_GFX90A:ACCUM_OFFSET: 26
; COMPUTE_PGM_RSRC3_GFX90A:TG_SPLIT: 0
	.section	.text._ZN4vllm25paged_attention_v1_kernelIfhLi256ELi16ELi128ELNS_18Fp8KVCacheDataTypeE1ELb1EEEvPT_PKS2_PKT0_S8_ifPKiSA_iPKfiiiSC_SC_iiiii,"axG",@progbits,_ZN4vllm25paged_attention_v1_kernelIfhLi256ELi16ELi128ELNS_18Fp8KVCacheDataTypeE1ELb1EEEvPT_PKS2_PKT0_S8_ifPKiSA_iPKfiiiSC_SC_iiiii,comdat
	.protected	_ZN4vllm25paged_attention_v1_kernelIfhLi256ELi16ELi128ELNS_18Fp8KVCacheDataTypeE1ELb1EEEvPT_PKS2_PKT0_S8_ifPKiSA_iPKfiiiSC_SC_iiiii ; -- Begin function _ZN4vllm25paged_attention_v1_kernelIfhLi256ELi16ELi128ELNS_18Fp8KVCacheDataTypeE1ELb1EEEvPT_PKS2_PKT0_S8_ifPKiSA_iPKfiiiSC_SC_iiiii
	.globl	_ZN4vllm25paged_attention_v1_kernelIfhLi256ELi16ELi128ELNS_18Fp8KVCacheDataTypeE1ELb1EEEvPT_PKS2_PKT0_S8_ifPKiSA_iPKfiiiSC_SC_iiiii
	.p2align	8
	.type	_ZN4vllm25paged_attention_v1_kernelIfhLi256ELi16ELi128ELNS_18Fp8KVCacheDataTypeE1ELb1EEEvPT_PKS2_PKT0_S8_ifPKiSA_iPKfiiiSC_SC_iiiii,@function
_ZN4vllm25paged_attention_v1_kernelIfhLi256ELi16ELi128ELNS_18Fp8KVCacheDataTypeE1ELb1EEEvPT_PKS2_PKT0_S8_ifPKiSA_iPKfiiiSC_SC_iiiii: ; @_ZN4vllm25paged_attention_v1_kernelIfhLi256ELi16ELi128ELNS_18Fp8KVCacheDataTypeE1ELb1EEEvPT_PKS2_PKT0_S8_ifPKiSA_iPKfiiiSC_SC_iiiii
; %bb.0:
	s_load_dword s5, s[0:1], 0x80
	s_load_dwordx2 s[6:7], s[0:1], 0x30
	s_load_dwordx2 s[36:37], s[0:1], 0x20
	s_mov_b32 s24, s3
	s_ashr_i32 s25, s3, 31
	s_lshl_b64 s[8:9], s[24:25], 2
	s_waitcnt lgkmcnt(0)
	s_add_u32 s6, s6, s8
	s_addc_u32 s7, s7, s9
	s_abs_i32 s3, s36
	v_cvt_f32_u32_e32 v1, s3
	s_sub_i32 s10, 0, s3
	s_abs_i32 s9, s5
	s_xor_b32 s8, s5, s36
	v_rcp_iflag_f32_e32 v1, v1
	s_ashr_i32 s8, s8, 31
	s_mov_b32 s44, 0
	v_mul_f32_e32 v1, 0x4f7ffffe, v1
	v_cvt_u32_f32_e32 v1, v1
	s_nop 0
	v_readfirstlane_b32 s11, v1
	s_mul_i32 s10, s10, s11
	s_mul_hi_u32 s10, s11, s10
	s_add_i32 s11, s11, s10
	s_mul_hi_u32 s10, s9, s11
	s_mul_i32 s11, s10, s3
	s_sub_i32 s9, s9, s11
	s_add_i32 s11, s10, 1
	s_sub_i32 s12, s9, s3
	s_cmp_ge_u32 s9, s3
	s_cselect_b32 s10, s11, s10
	s_cselect_b32 s9, s12, s9
	s_add_i32 s11, s10, 1
	s_cmp_ge_u32 s9, s3
	s_cselect_b32 s3, s11, s10
	s_xor_b32 s3, s3, s8
	s_sub_i32 s20, s3, s8
	s_abs_i32 s34, s20
	v_cvt_f32_u32_e32 v1, s34
	s_load_dwordx2 s[8:9], s[0:1], 0x40
	s_sub_i32 s3, 0, s34
	s_abs_i32 s35, s2
	v_rcp_iflag_f32_e32 v1, v1
	s_nop 0
	v_mul_f32_e32 v1, 0x4f7ffffe, v1
	v_cvt_u32_f32_e32 v1, v1
	s_nop 0
	v_readfirstlane_b32 s12, v1
	s_mul_i32 s3, s3, s12
	s_mul_hi_u32 s3, s12, s3
	s_add_i32 s12, s12, s3
	s_waitcnt lgkmcnt(0)
	s_cmp_eq_u64 s[8:9], 0
	s_cbranch_scc1 .LBB190_2
; %bb.1:
	s_ashr_i32 s3, s2, 31
	s_lshl_b64 s[10:11], s[2:3], 2
	s_add_u32 s8, s8, s10
	s_addc_u32 s9, s9, s11
	s_load_dword s44, s[8:9], 0x0
.LBB190_2:
	s_load_dwordx2 s[26:27], s[0:1], 0x0
	s_nop 0
	s_load_dwordx4 s[8:11], s[0:1], 0x10
	s_load_dword s25, s[0:1], 0x88
	s_load_dword s33, s[6:7], 0x0
	s_load_dwordx2 s[30:31], s[0:1], 0x28
	s_load_dwordx4 s[16:19], s[0:1], 0x48
	v_lshrrev_b32_e32 v94, 2, v0
	s_lshl_b32 s28, s2, 8
	s_movk_i32 s6, 0x100
	s_mul_hi_u32 s3, s35, s12
	v_and_b32_e32 v26, 3, v0
	s_ashr_i32 s29, s28, 31
	v_cmp_gt_u32_e32 vcc, s6, v0
	v_lshlrev_b32_e32 v1, 2, v94
	s_and_saveexec_b64 s[6:7], vcc
	s_cbranch_execz .LBB190_5
; %bb.3:
	s_load_dwordx2 s[12:13], s[0:1], 0x8
	s_waitcnt lgkmcnt(0)
	s_mul_i32 s14, s24, s16
	s_ashr_i32 s15, s14, 31
	s_lshl_b64 s[14:15], s[14:15], 2
	s_lshl_b64 s[22:23], s[28:29], 2
	s_add_u32 s14, s14, s22
	s_addc_u32 s15, s15, s23
	v_or_b32_e32 v2, v1, v26
	s_add_u32 s12, s12, s14
	v_lshlrev_b32_e32 v2, 2, v2
	v_mov_b32_e32 v3, 0
	s_addc_u32 s13, s13, s15
	v_subrev_u32_e32 v4, 32, v94
	v_lshl_add_u32 v5, v26, 8, v1
	v_lshl_add_u64 v[2:3], s[12:13], 0, v[2:3]
	s_mov_b64 s[12:13], 0
	s_mov_b64 s[14:15], 0x200
.LBB190_4:                              ; =>This Inner Loop Header: Depth=1
	global_load_dword v6, v[2:3], off
	v_add_co_u32_e32 v4, vcc, 32, v4
	s_xor_b64 s[22:23], vcc, -1
	s_and_b64 s[22:23], exec, s[22:23]
	v_lshl_add_u64 v[2:3], v[2:3], 0, s[14:15]
	s_or_b64 s[12:13], s[22:23], s[12:13]
	s_waitcnt vmcnt(0)
	ds_write_b32 v5, v6
	v_add_u32_e32 v5, 0x80, v5
	s_andn2_b64 exec, exec, s[12:13]
	s_cbranch_execnz .LBB190_4
.LBB190_5:
	s_or_b64 exec, exec, s[6:7]
	s_ashr_i32 s6, s2, 31
	s_ashr_i32 s7, s20, 31
	s_xor_b32 s6, s6, s7
	s_mul_i32 s7, s3, s34
	s_sub_i32 s7, s35, s7
	s_add_i32 s13, s3, 1
	s_sub_i32 s14, s7, s34
	s_load_dwordx4 s[20:23], s[0:1], 0x68
	s_load_dword s12, s[0:1], 0x78
	s_cmp_ge_u32 s7, s34
	s_cselect_b32 s3, s13, s3
	s_cselect_b32 s7, s14, s7
	s_add_i32 s13, s3, 1
	s_cmp_ge_u32 s7, s34
	s_cselect_b32 s3, s13, s3
	s_waitcnt lgkmcnt(0)
	s_abs_i32 s29, s23
	v_cvt_f32_u32_e32 v2, s29
	s_xor_b32 s3, s3, s6
	s_sub_i32 s43, s3, s6
	s_sub_i32 s6, 0, s29
	v_rcp_iflag_f32_e32 v2, v2
	s_add_i32 s13, s33, -1
	s_abs_i32 s3, s13
	v_mul_f32_e32 v2, 0x4f7ffffe, v2
	v_cvt_u32_f32_e32 v2, v2
	s_barrier
	v_readfirstlane_b32 s42, v2
	s_mul_i32 s6, s6, s42
	s_mul_hi_u32 s6, s42, s6
	s_add_i32 s42, s42, s6
	s_cmp_lt_i32 s12, 0
	s_mul_hi_u32 s16, s3, s42
	s_cbranch_scc0 .LBB190_7
; %bb.6:
	s_mul_i32 s6, s20, s36
	s_add_i32 s6, s43, s6
	s_mul_i32 s6, s6, s12
	s_sub_i32 s36, 1, s6
	s_ashr_i32 s19, s13, 31
	s_ashr_i32 s23, s23, 31
	s_cbranch_execz .LBB190_8
	s_branch .LBB190_9
.LBB190_7:
                                        ; implicit-def: $sgpr36
	s_ashr_i32 s19, s13, 31
	s_ashr_i32 s23, s23, 31
.LBB190_8:
	s_mul_i32 s6, s5, s20
	s_add_i32 s2, s6, s2
	s_mul_i32 s2, s2, s12
	s_add_i32 s36, s2, 1
.LBB190_9:
	s_load_dword s2, s[0:1], 0x38
	s_load_dwordx4 s[12:15], s[0:1], 0x58
	s_mul_i32 s1, s16, s29
	s_sub_i32 s1, s3, s1
	s_xor_b32 s0, s19, s23
	s_waitcnt lgkmcnt(0)
	s_mul_i32 s34, s24, s2
	s_ashr_i32 s35, s34, 31
	s_add_i32 s2, s16, 1
	s_sub_i32 s3, s1, s29
	s_cmp_ge_u32 s1, s29
	s_cselect_b32 s2, s2, s16
	s_cselect_b32 s1, s3, s1
	s_add_i32 s3, s2, 1
	s_cmp_ge_u32 s1, s29
	s_cselect_b32 s1, s3, s2
	s_xor_b32 s1, s1, s0
	s_sub_i32 s16, s1, s0
	s_add_i32 s0, s33, 15
	s_ashr_i32 s1, s0, 31
	s_lshr_b32 s1, s1, 28
	s_add_i32 s0, s0, s1
	s_ashr_i32 s20, s0, 4
	v_lshrrev_b32_e32 v95, 6, v0
	v_cmp_gt_i32_e64 s[0:1], s20, v95
	v_mov_b32_e32 v38, 0xff7fffff
	s_mul_i32 s43, s43, s18
	v_lshrrev_b32_e32 v34, 4, v0
	v_lshlrev_b32_e32 v96, 4, v95
	v_mbcnt_lo_u32_b32 v35, -1, 0
	s_and_saveexec_b64 s[18:19], s[0:1]
	s_cbranch_execz .LBB190_19
; %bb.10:
	s_sub_i32 s45, s16, s21
	s_ashr_i32 s3, s43, 31
	s_add_u32 s2, s8, s43
	s_addc_u32 s3, s9, s3
	s_abs_i32 s46, s22
	v_cvt_f32_u32_e32 v3, s46
	v_bfe_u32 v36, v0, 2, 4
	v_lshlrev_b32_e32 v2, 4, v36
	s_sub_i32 s6, 0, s46
	v_rcp_iflag_f32_e32 v4, v3
	v_mov_b32_e32 v3, 0
	v_lshl_add_u64 v[28:29], s[2:3], 0, v[2:3]
	v_mbcnt_hi_u32_b32 v44, -1, v35
	v_mul_f32_e32 v2, 0x4f7ffffe, v4
	v_cvt_u32_f32_e32 v2, v2
	v_cmp_eq_u32_e32 vcc, 0, v26
	s_mov_b32 s47, s17
	v_lshlrev_b32_e32 v37, 8, v26
	v_mul_lo_u32 v4, s6, v2
	s_lshl_b64 s[6:7], s[34:35], 2
	v_mul_hi_u32 v4, v2, v4
	s_add_u32 s6, s30, s6
	v_add_u32_e32 v39, v2, v4
	v_and_b32_e32 v2, 60, v34
	s_addc_u32 s7, s31, s7
	v_lshl_add_u64 v[30:31], s[6:7], 0, v[2:3]
	v_lshlrev_b32_e32 v2, 2, v36
	v_lshl_or_b32 v2, v95, 6, v2
	v_add_u32_e32 v41, 0x410, v2
	v_subrev_u32_e32 v2, s33, v36
	v_add_u32_e32 v42, 1, v2
	v_and_b32_e32 v2, 64, v44
	v_cmp_neq_f32_e64 s[2:3], s44, 0
	v_mov_b32_e32 v27, v3
	v_lshlrev_b32_e32 v40, 4, v95
	s_mov_b64 s[38:39], 0
	v_mov_b32_e32 v43, 0xff7fffff
	v_add_u32_e32 v45, 64, v2
	v_xor_b32_e32 v46, 2, v44
	v_xor_b32_e32 v47, 1, v44
	v_mov_b32_e32 v38, 0xff7fffff
	v_mov_b32_e32 v48, v95
	s_branch .LBB190_13
.LBB190_11:                             ;   in Loop: Header=BB190_13 Depth=1
	s_or_b64 exec, exec, s[40:41]
.LBB190_12:                             ;   in Loop: Header=BB190_13 Depth=1
	s_or_b64 exec, exec, s[8:9]
	v_add_u32_e32 v48, 2, v48
	v_cmp_le_i32_e64 s[6:7], s20, v48
	v_lshl_add_u64 v[30:31], v[30:31], 0, 8
	v_add_u32_e32 v40, 32, v40
	s_or_b64 s[38:39], s[6:7], s[38:39]
	v_add_u32_e32 v41, 0x80, v41
	s_andn2_b64 exec, exec, s[38:39]
	s_cbranch_execz .LBB190_18
.LBB190_13:                             ; =>This Inner Loop Header: Depth=1
	v_mul_hi_u32 v2, v40, s42
	s_waitcnt lgkmcnt(0)
	v_mul_lo_u32 v3, v2, s29
	v_sub_u32_e32 v3, v40, v3
	v_add_u32_e32 v4, 1, v2
	v_cmp_le_u32_e64 s[6:7], s29, v3
	s_nop 1
	v_cndmask_b32_e64 v2, v2, v4, s[6:7]
	v_subrev_u32_e32 v4, s29, v3
	v_cndmask_b32_e64 v3, v3, v4, s[6:7]
	v_add_u32_e32 v4, 1, v2
	v_cmp_le_u32_e64 s[6:7], s29, v3
	s_nop 1
	v_cndmask_b32_e64 v2, v2, v4, s[6:7]
	v_xor_b32_e32 v2, s23, v2
	v_subrev_u32_e32 v2, s23, v2
	v_add_u32_e32 v3, s36, v2
	v_sub_u32_e32 v5, 0, v3
	v_ashrrev_i32_e32 v4, 31, v3
	v_max_i32_e32 v3, v3, v5
	v_mul_hi_u32 v5, v3, v39
	v_mul_lo_u32 v5, v5, s46
	v_sub_u32_e32 v3, v3, v5
	v_subrev_u32_e32 v5, s46, v3
	v_cmp_le_u32_e64 s[6:7], s46, v3
	v_cmp_ge_i32_e64 s[8:9], s45, v2
	s_nop 0
	v_cndmask_b32_e64 v3, v3, v5, s[6:7]
	v_subrev_u32_e32 v5, s46, v3
	v_cmp_le_u32_e64 s[6:7], s46, v3
	s_nop 1
	v_cndmask_b32_e64 v3, v3, v5, s[6:7]
	v_xor_b32_e32 v3, v3, v4
	v_sub_u32_e32 v3, v3, v4
	v_cmp_ne_u32_e64 s[6:7], 0, v3
	s_and_b64 s[6:7], s[6:7], s[8:9]
	s_and_b64 s[40:41], vcc, s[6:7]
	s_and_saveexec_b64 s[8:9], s[40:41]
	s_cbranch_execz .LBB190_15
; %bb.14:                               ;   in Loop: Header=BB190_13 Depth=1
	ds_write_b32 v41, v43
.LBB190_15:                             ;   in Loop: Header=BB190_13 Depth=1
	s_or_b64 exec, exec, s[8:9]
	s_xor_b64 s[6:7], s[6:7], -1
	s_and_saveexec_b64 s[8:9], s[6:7]
	s_cbranch_execz .LBB190_12
; %bb.16:                               ;   in Loop: Header=BB190_13 Depth=1
	global_load_dword v2, v[30:31], off
	s_waitcnt vmcnt(0)
	v_mad_i64_i32 v[2:3], s[6:7], v2, s47, v[28:29]
	v_lshl_add_u64 v[32:33], v[2:3], 0, v[26:27]
	global_load_ubyte v2, v[32:33], off
	global_load_ubyte v3, v[32:33], off offset:4
	global_load_ubyte v59, v[32:33], off offset:8
	;; [unrolled: 1-line block ×13, first 2 shown]
	ds_read_b128 v[22:25], v37
	ds_read_b128 v[18:21], v37 offset:16
	global_load_ubyte v49, v[32:33], off offset:776
	global_load_ubyte v50, v[32:33], off offset:780
	;; [unrolled: 1-line block ×6, first 2 shown]
	ds_read_b128 v[14:17], v37 offset:32
	ds_read_b128 v[10:13], v37 offset:48
	s_load_dword s40, s[12:13], 0x0
	v_cmp_lt_i32_e64 s[6:7], v46, v45
	s_waitcnt vmcnt(19)
	v_cvt_f32_fp8_sdwa v67, v2 src0_sel:BYTE_0
	s_waitcnt vmcnt(18)
	v_cvt_f32_fp8_sdwa v68, v3 src0_sel:BYTE_0
	ds_read_b128 v[6:9], v37 offset:64
	ds_read_b128 v[2:5], v37 offset:80
	s_waitcnt lgkmcnt(0)
	v_mul_f32_e32 v67, s40, v67
	v_mul_f32_e32 v68, s40, v68
	;; [unrolled: 1-line block ×3, first 2 shown]
	global_load_ubyte v68, v[32:33], off offset:1280
	global_load_ubyte v69, v[32:33], off offset:1284
	;; [unrolled: 1-line block ×4, first 2 shown]
	v_fmac_f32_e32 v23, v22, v67
	s_waitcnt vmcnt(21)
	v_cvt_f32_fp8_sdwa v22, v59 src0_sel:BYTE_0
	s_waitcnt vmcnt(20)
	v_cvt_f32_fp8_sdwa v59, v60 src0_sel:BYTE_0
	;; [unrolled: 2-line block ×4, first 2 shown]
	v_mul_f32_e32 v22, s40, v22
	v_mul_f32_e32 v59, s40, v59
	v_fmac_f32_e32 v23, v24, v22
	v_mul_f32_e32 v60, s40, v60
	v_fmac_f32_e32 v23, v25, v59
	global_load_ubyte v72, v[32:33], off offset:1536
	global_load_ubyte v73, v[32:33], off offset:1540
	;; [unrolled: 1-line block ×8, first 2 shown]
	v_mul_f32_e32 v61, s40, v61
	v_fmac_f32_e32 v23, v18, v60
	s_waitcnt vmcnt(25)
	v_cvt_f32_fp8_sdwa v18, v63 src0_sel:BYTE_0
	v_fmac_f32_e32 v23, v19, v61
	s_waitcnt vmcnt(24)
	v_cvt_f32_fp8_sdwa v19, v64 src0_sel:BYTE_0
	s_waitcnt vmcnt(23)
	v_cvt_f32_fp8_sdwa v22, v65 src0_sel:BYTE_0
	v_mul_f32_e32 v18, s40, v18
	v_fmac_f32_e32 v23, v20, v18
	v_mul_f32_e32 v19, s40, v19
	s_waitcnt vmcnt(22)
	v_cvt_f32_fp8_sdwa v24, v66 src0_sel:BYTE_0
	v_mul_f32_e32 v22, s40, v22
	v_fmac_f32_e32 v23, v21, v19
	v_fmac_f32_e32 v23, v14, v22
	global_load_ubyte v14, v[32:33], off offset:2048
	global_load_ubyte v61, v[32:33], off offset:2052
	;; [unrolled: 1-line block ×8, first 2 shown]
	v_mul_f32_e32 v24, s40, v24
	v_fmac_f32_e32 v23, v15, v24
	s_waitcnt vmcnt(29)
	v_cvt_f32_fp8_sdwa v15, v55 src0_sel:BYTE_0
	s_waitcnt vmcnt(28)
	v_cvt_f32_fp8_sdwa v18, v56 src0_sel:BYTE_0
	;; [unrolled: 2-line block ×4, first 2 shown]
	v_mul_f32_e32 v15, s40, v15
	v_mul_f32_e32 v18, s40, v18
	v_fmac_f32_e32 v23, v16, v15
	v_mul_f32_e32 v19, s40, v19
	v_fmac_f32_e32 v23, v17, v18
	;; [unrolled: 2-line block ×3, first 2 shown]
	v_fmac_f32_e32 v23, v11, v20
	global_load_ubyte v80, v[32:33], off offset:2560
	global_load_ubyte v81, v[32:33], off offset:2564
	;; [unrolled: 1-line block ×8, first 2 shown]
	s_waitcnt vmcnt(33)
	v_cvt_f32_fp8_sdwa v10, v49 src0_sel:BYTE_0
	s_waitcnt vmcnt(32)
	v_cvt_f32_fp8_sdwa v11, v50 src0_sel:BYTE_0
	;; [unrolled: 2-line block ×4, first 2 shown]
	global_load_ubyte v57, v[32:33], off offset:3072
	global_load_ubyte v58, v[32:33], off offset:3076
	;; [unrolled: 1-line block ×8, first 2 shown]
	s_waitcnt vmcnt(36)
	v_cvt_f32_fp8_sdwa v22, v54 src0_sel:BYTE_0
	v_mul_f32_e32 v10, s40, v10
	v_mul_f32_e32 v11, s40, v11
	v_fmac_f32_e32 v23, v12, v10
	v_mul_f32_e32 v15, s40, v15
	v_fmac_f32_e32 v23, v13, v11
	;; [unrolled: 2-line block ×3, first 2 shown]
	v_cvt_f32_fp8_sdwa v17, v53 src0_sel:BYTE_0
	v_fmac_f32_e32 v23, v7, v16
	v_mul_f32_e32 v7, s40, v22
	global_load_ubyte v53, v[32:33], off offset:3584
	global_load_ubyte v54, v[32:33], off offset:3588
	;; [unrolled: 1-line block ×7, first 2 shown]
	s_nop 0
	global_load_ubyte v32, v[32:33], off offset:3852
	v_mul_f32_e32 v6, s40, v17
	v_fmac_f32_e32 v23, v8, v6
	v_fmac_f32_e32 v23, v9, v7
	s_waitcnt vmcnt(43)
	v_cvt_f32_fp8_sdwa v6, v68 src0_sel:BYTE_0
	s_waitcnt vmcnt(42)
	v_cvt_f32_fp8_sdwa v7, v69 src0_sel:BYTE_0
	;; [unrolled: 2-line block ×4, first 2 shown]
	v_mul_f32_e32 v6, s40, v6
	v_mul_f32_e32 v7, s40, v7
	v_fmac_f32_e32 v23, v2, v6
	v_mul_f32_e32 v8, s40, v8
	v_fmac_f32_e32 v23, v3, v7
	;; [unrolled: 2-line block ×3, first 2 shown]
	s_waitcnt vmcnt(39)
	v_cvt_f32_fp8_sdwa v6, v72 src0_sel:BYTE_0
	v_fmac_f32_e32 v23, v5, v9
	ds_read_b128 v[2:5], v37 offset:96
	ds_read_b128 v[10:13], v37 offset:112
	s_waitcnt vmcnt(38)
	v_cvt_f32_fp8_sdwa v7, v73 src0_sel:BYTE_0
	s_waitcnt vmcnt(37)
	v_cvt_f32_fp8_sdwa v8, v74 src0_sel:BYTE_0
	s_waitcnt vmcnt(36)
	v_cvt_f32_fp8_sdwa v9, v75 src0_sel:BYTE_0
	v_mul_f32_e32 v6, s40, v6
	s_waitcnt vmcnt(35)
	v_cvt_f32_fp8_sdwa v15, v76 src0_sel:BYTE_0
	v_mul_f32_e32 v7, s40, v7
	s_waitcnt lgkmcnt(1)
	v_fmac_f32_e32 v23, v2, v6
	s_waitcnt vmcnt(34)
	v_cvt_f32_fp8_sdwa v16, v77 src0_sel:BYTE_0
	v_mul_f32_e32 v8, s40, v8
	v_fmac_f32_e32 v23, v3, v7
	s_waitcnt vmcnt(33)
	v_cvt_f32_fp8_sdwa v17, v78 src0_sel:BYTE_0
	v_mul_f32_e32 v9, s40, v9
	v_fmac_f32_e32 v23, v4, v8
	s_waitcnt vmcnt(32)
	v_cvt_f32_fp8_sdwa v33, v79 src0_sel:BYTE_0
	v_fmac_f32_e32 v23, v5, v9
	s_waitcnt vmcnt(31)
	v_cvt_f32_fp8_sdwa v68, v14 src0_sel:BYTE_0
	v_mul_f32_e32 v14, s40, v15
	ds_read_b128 v[6:9], v37 offset:128
	ds_read_b128 v[2:5], v37 offset:144
	v_mul_f32_e32 v15, s40, v16
	s_waitcnt lgkmcnt(2)
	v_fmac_f32_e32 v23, v10, v14
	v_mul_f32_e32 v16, s40, v17
	v_fmac_f32_e32 v23, v11, v15
	v_mul_f32_e32 v17, s40, v33
	v_fmac_f32_e32 v23, v12, v16
	v_fmac_f32_e32 v23, v13, v17
	v_mul_f32_e32 v33, s40, v68
	s_waitcnt lgkmcnt(1)
	v_fmac_f32_e32 v23, v6, v33
	s_waitcnt vmcnt(30)
	v_cvt_f32_fp8_sdwa v33, v61 src0_sel:BYTE_0
	s_waitcnt vmcnt(29)
	v_cvt_f32_fp8_sdwa v61, v62 src0_sel:BYTE_0
	s_waitcnt vmcnt(28)
	v_cvt_f32_fp8_sdwa v62, v63 src0_sel:BYTE_0
	s_waitcnt vmcnt(27)
	v_cvt_f32_fp8_sdwa v63, v64 src0_sel:BYTE_0
	s_waitcnt vmcnt(26)
	v_cvt_f32_fp8_sdwa v64, v65 src0_sel:BYTE_0
	v_mul_f32_e32 v33, s40, v33
	s_waitcnt vmcnt(25)
	v_cvt_f32_fp8_sdwa v65, v66 src0_sel:BYTE_0
	v_mul_f32_e32 v61, s40, v61
	v_fmac_f32_e32 v23, v7, v33
	s_waitcnt vmcnt(24)
	v_cvt_f32_fp8_sdwa v66, v67 src0_sel:BYTE_0
	v_mul_f32_e32 v62, s40, v62
	v_fmac_f32_e32 v23, v8, v61
	;; [unrolled: 4-line block ×3, first 2 shown]
	ds_read_b128 v[14:17], v37 offset:160
	ds_read_b128 v[10:13], v37 offset:176
	s_waitcnt vmcnt(22)
	v_cvt_f32_fp8_sdwa v68, v81 src0_sel:BYTE_0
	v_mul_f32_e32 v64, s40, v64
	s_waitcnt lgkmcnt(2)
	v_fmac_f32_e32 v23, v2, v63
	s_waitcnt vmcnt(21)
	v_cvt_f32_fp8_sdwa v69, v82 src0_sel:BYTE_0
	v_mul_f32_e32 v65, s40, v65
	v_fmac_f32_e32 v23, v3, v64
	s_waitcnt vmcnt(20)
	v_cvt_f32_fp8_sdwa v70, v83 src0_sel:BYTE_0
	v_mul_f32_e32 v66, s40, v66
	v_fmac_f32_e32 v23, v4, v65
	v_mul_f32_e32 v67, s40, v67
	s_waitcnt vmcnt(19)
	v_cvt_f32_fp8_sdwa v18, v18 src0_sel:BYTE_0
	v_fmac_f32_e32 v23, v5, v66
	v_mul_f32_e32 v68, s40, v68
	s_waitcnt vmcnt(18)
	v_cvt_f32_fp8_sdwa v19, v19 src0_sel:BYTE_0
	s_waitcnt lgkmcnt(1)
	v_fmac_f32_e32 v23, v14, v67
	v_mul_f32_e32 v69, s40, v69
	s_waitcnt vmcnt(17)
	v_cvt_f32_fp8_sdwa v20, v20 src0_sel:BYTE_0
	v_fmac_f32_e32 v23, v15, v68
	v_mul_f32_e32 v70, s40, v70
	s_waitcnt vmcnt(16)
	v_cvt_f32_fp8_sdwa v21, v21 src0_sel:BYTE_0
	;; [unrolled: 4-line block ×3, first 2 shown]
	v_fmac_f32_e32 v23, v17, v70
	ds_read_b128 v[2:5], v37 offset:192
	v_mul_f32_e32 v19, s40, v19
	s_waitcnt vmcnt(14)
	v_cvt_f32_fp8_sdwa v58, v58 src0_sel:BYTE_0
	s_waitcnt lgkmcnt(1)
	v_fmac_f32_e32 v23, v10, v18
	v_mul_f32_e32 v20, s40, v20
	s_waitcnt vmcnt(13)
	v_cvt_f32_fp8_sdwa v59, v59 src0_sel:BYTE_0
	v_fmac_f32_e32 v23, v11, v19
	v_cndmask_b32_e64 v6, v44, v46, s[6:7]
	v_mul_f32_e32 v21, s40, v21
	s_waitcnt vmcnt(12)
	v_cvt_f32_fp8_sdwa v60, v60 src0_sel:BYTE_0
	v_fmac_f32_e32 v23, v12, v20
	v_mul_f32_e32 v57, s40, v57
	s_waitcnt vmcnt(11)
	v_cvt_f32_fp8_sdwa v49, v49 src0_sel:BYTE_0
	v_lshlrev_b32_e32 v71, 2, v6
	ds_read_b128 v[6:9], v37 offset:208
	v_fmac_f32_e32 v23, v13, v21
	v_mul_f32_e32 v58, s40, v58
	s_waitcnt vmcnt(10)
	v_cvt_f32_fp8_sdwa v50, v50 src0_sel:BYTE_0
	s_waitcnt lgkmcnt(1)
	v_fmac_f32_e32 v23, v2, v57
	v_mul_f32_e32 v59, s40, v59
	s_waitcnt vmcnt(9)
	v_cvt_f32_fp8_sdwa v51, v51 src0_sel:BYTE_0
	v_fmac_f32_e32 v23, v3, v58
	v_mul_f32_e32 v60, s40, v60
	s_waitcnt vmcnt(8)
	v_cvt_f32_fp8_sdwa v52, v52 src0_sel:BYTE_0
	;; [unrolled: 4-line block ×3, first 2 shown]
	v_fmac_f32_e32 v23, v60, v5
	ds_read_b128 v[2:5], v37 offset:224
	v_mul_f32_e32 v50, s40, v50
	s_waitcnt vmcnt(6)
	v_cvt_f32_fp8_sdwa v54, v54 src0_sel:BYTE_0
	s_waitcnt lgkmcnt(1)
	v_fmac_f32_e32 v23, v49, v6
	v_mul_f32_e32 v51, s40, v51
	s_waitcnt vmcnt(5)
	v_cvt_f32_fp8_sdwa v55, v55 src0_sel:BYTE_0
	v_fmac_f32_e32 v23, v50, v7
	v_mul_f32_e32 v52, s40, v52
	s_waitcnt vmcnt(4)
	v_cvt_f32_fp8_sdwa v56, v56 src0_sel:BYTE_0
	;; [unrolled: 4-line block ×3, first 2 shown]
	v_fmac_f32_e32 v23, v52, v9
	ds_read_b128 v[6:9], v37 offset:240
	v_mul_f32_e32 v54, s40, v54
	s_waitcnt vmcnt(2)
	v_cvt_f32_fp8_sdwa v24, v24 src0_sel:BYTE_0
	s_waitcnt lgkmcnt(1)
	v_fmac_f32_e32 v23, v53, v2
	v_mul_f32_e32 v55, s40, v55
	s_waitcnt vmcnt(1)
	v_cvt_f32_fp8_sdwa v25, v25 src0_sel:BYTE_0
	v_fmac_f32_e32 v23, v54, v3
	v_mul_f32_e32 v56, s40, v56
	s_waitcnt vmcnt(0)
	v_cvt_f32_fp8_sdwa v32, v32 src0_sel:BYTE_0
	v_fmac_f32_e32 v23, v55, v4
	v_mul_f32_e32 v22, s40, v22
	v_fmac_f32_e32 v23, v56, v5
	v_mul_f32_e32 v24, s40, v24
	s_waitcnt lgkmcnt(0)
	v_fmac_f32_e32 v23, v22, v6
	v_mul_f32_e32 v25, s40, v25
	v_fmac_f32_e32 v23, v24, v7
	v_mul_f32_e32 v32, s40, v32
	v_fmac_f32_e32 v23, v25, v8
	v_fmac_f32_e32 v23, v32, v9
	ds_bpermute_b32 v2, v71, v23
	v_cmp_lt_i32_e64 s[6:7], v47, v45
	s_waitcnt lgkmcnt(0)
	v_add_f32_e32 v2, v23, v2
	v_cndmask_b32_e64 v3, v44, v47, s[6:7]
	v_lshlrev_b32_e32 v3, 2, v3
	ds_bpermute_b32 v3, v3, v2
	s_and_saveexec_b64 s[40:41], vcc
	s_cbranch_execz .LBB190_11
; %bb.17:                               ;   in Loop: Header=BB190_13 Depth=1
	v_add_u32_e32 v4, v42, v40
	v_cvt_f32_i32_e32 v4, v4
	s_waitcnt lgkmcnt(0)
	v_add_f32_e32 v2, v2, v3
	v_add_u32_e32 v5, v36, v40
	v_cmp_gt_i32_e64 s[6:7], s33, v5
	v_mul_f32_e32 v3, s44, v4
	v_cndmask_b32_e64 v3, 0, v3, s[2:3]
	v_fmac_f32_e32 v3, s37, v2
	v_cndmask_b32_e64 v2, 0, v3, s[6:7]
	ds_write_b32 v41, v2
	v_max_f32_e32 v2, v38, v38
	v_max_f32_e32 v2, v2, v3
	v_cndmask_b32_e64 v38, v38, v2, s[6:7]
	s_branch .LBB190_11
.LBB190_18:
	s_or_b64 exec, exec, s[38:39]
.LBB190_19:
	s_or_b64 exec, exec, s[18:19]
	v_mbcnt_hi_u32_b32 v2, -1, v35
	s_waitcnt lgkmcnt(0)
	v_and_b32_e32 v3, 64, v2
	v_add_u32_e32 v3, 64, v3
	v_xor_b32_e32 v4, 32, v2
	v_cmp_lt_i32_e32 vcc, v4, v3
	v_xor_b32_e32 v7, 16, v2
	v_max_f32_e32 v6, v38, v38
	v_cndmask_b32_e32 v4, v2, v4, vcc
	v_lshlrev_b32_e32 v4, 2, v4
	ds_bpermute_b32 v5, v4, v38
	v_cmp_lt_i32_e32 vcc, v7, v3
	v_xor_b32_e32 v8, 8, v2
	v_xor_b32_e32 v9, 4, v2
	v_and_b32_e32 v27, 63, v0
	s_waitcnt lgkmcnt(0)
	v_max_f32_e32 v5, v5, v5
	v_max_f32_e32 v6, v6, v5
	v_cndmask_b32_e32 v5, v2, v7, vcc
	v_lshlrev_b32_e32 v5, 2, v5
	ds_bpermute_b32 v7, v5, v6
	v_cmp_lt_i32_e32 vcc, v8, v3
	s_waitcnt lgkmcnt(0)
	v_max_f32_e32 v7, v7, v7
	v_max_f32_e32 v6, v6, v7
	v_cndmask_b32_e32 v7, v2, v8, vcc
	v_lshlrev_b32_e32 v8, 2, v7
	ds_bpermute_b32 v7, v8, v6
	v_cmp_lt_i32_e32 vcc, v9, v3
	s_waitcnt lgkmcnt(0)
	v_max_f32_e32 v7, v7, v7
	v_max_f32_e32 v7, v6, v7
	v_cndmask_b32_e32 v6, v2, v9, vcc
	v_lshlrev_b32_e32 v9, 2, v6
	ds_bpermute_b32 v10, v9, v7
	v_cmp_eq_u32_e32 vcc, 0, v27
	v_lshlrev_b32_e32 v6, 2, v95
	s_and_saveexec_b64 s[2:3], vcc
	s_cbranch_execz .LBB190_21
; %bb.20:
	s_waitcnt lgkmcnt(0)
	v_max_f32_e32 v10, v10, v10
	v_max_f32_e32 v7, v7, v7
	;; [unrolled: 1-line block ×3, first 2 shown]
	ds_write_b32 v6, v7 offset:1024
.LBB190_21:
	s_or_b64 exec, exec, s[2:3]
	v_cmp_gt_u32_e64 s[2:3], 2, v27
	s_waitcnt lgkmcnt(0)
	v_mov_b32_e32 v10, 0xff7fffff
	v_lshlrev_b32_e32 v7, 2, v27
	s_barrier
	s_and_saveexec_b64 s[6:7], s[2:3]
	s_cbranch_execz .LBB190_23
; %bb.22:
	ds_read_b32 v10, v7 offset:1024
.LBB190_23:
	s_or_b64 exec, exec, s[6:7]
	v_xor_b32_e32 v11, 1, v2
	v_cmp_lt_i32_e64 s[6:7], v11, v3
	v_lshlrev_b32_e32 v12, 2, v2
	s_nop 0
	v_cndmask_b32_e64 v11, v2, v11, s[6:7]
	v_lshlrev_b32_e32 v97, 2, v11
	s_waitcnt lgkmcnt(0)
	ds_bpermute_b32 v11, v97, v10
	v_max_f32_e32 v10, v10, v10
	s_lshl_b32 s6, s20, 4
	s_min_i32 s37, s6, s33
	v_cmp_gt_i32_e64 s[6:7], s37, v0
	s_waitcnt lgkmcnt(0)
	v_max_f32_e32 v11, v11, v11
	v_max_f32_e32 v11, v10, v11
	v_and_b32_e32 v10, 0x100, v12
	ds_bpermute_b32 v12, v10, v11
	v_mov_b32_e32 v11, 0
	s_and_saveexec_b64 s[12:13], s[6:7]
	s_cbranch_execz .LBB190_27
; %bb.24:
	v_mov_b32_e32 v11, 0x410
	v_lshl_add_u32 v13, v0, 2, v11
	s_mov_b64 s[18:19], 0
	v_mov_b32_e32 v11, 0
	v_mov_b32_e32 v14, v0
.LBB190_25:                             ; =>This Inner Loop Header: Depth=1
	ds_read_b32 v15, v13
	v_add_u32_e32 v14, 0x80, v14
	v_cmp_le_i32_e64 s[8:9], s37, v14
	s_or_b64 s[18:19], s[8:9], s[18:19]
	s_waitcnt lgkmcnt(0)
	v_sub_f32_e32 v15, v15, v12
	v_mul_f32_e32 v15, 0x3fb8aa3b, v15
	v_exp_f32_e32 v15, v15
	ds_write_b32 v13, v15
	v_add_f32_e32 v11, v11, v15
	v_add_u32_e32 v13, 0x200, v13
	s_andn2_b64 exec, exec, s[18:19]
	s_cbranch_execnz .LBB190_25
; %bb.26:
	s_or_b64 exec, exec, s[18:19]
.LBB190_27:
	s_or_b64 exec, exec, s[12:13]
	ds_bpermute_b32 v4, v4, v11
	s_waitcnt lgkmcnt(0)
	v_add_f32_e32 v4, v11, v4
	ds_bpermute_b32 v5, v5, v4
	s_waitcnt lgkmcnt(0)
	v_add_f32_e32 v4, v4, v5
	ds_bpermute_b32 v5, v8, v4
	v_xor_b32_e32 v8, 2, v2
	v_cmp_lt_i32_e64 s[8:9], v8, v3
	s_waitcnt lgkmcnt(0)
	v_add_f32_e32 v4, v4, v5
	ds_bpermute_b32 v5, v9, v4
	v_cndmask_b32_e64 v2, v2, v8, s[8:9]
	v_lshlrev_b32_e32 v98, 2, v2
	s_waitcnt lgkmcnt(0)
	v_add_f32_e32 v3, v4, v5
	ds_bpermute_b32 v2, v98, v3
	s_waitcnt lgkmcnt(0)
	v_add_f32_e32 v2, v3, v2
	ds_bpermute_b32 v3, v97, v2
	s_waitcnt lgkmcnt(0)
	v_add_f32_e32 v2, v2, v3
	s_and_saveexec_b64 s[8:9], vcc
	s_cbranch_execz .LBB190_29
; %bb.28:
	ds_write_b32 v6, v2 offset:1032
.LBB190_29:
	s_or_b64 exec, exec, s[8:9]
	s_waitcnt lgkmcnt(0)
	s_barrier
	s_and_saveexec_b64 s[8:9], s[2:3]
	s_cbranch_execz .LBB190_31
; %bb.30:
	ds_read_b32 v2, v7 offset:1032
.LBB190_31:
	s_or_b64 exec, exec, s[8:9]
	s_waitcnt lgkmcnt(0)
	ds_bpermute_b32 v3, v97, v2
	s_waitcnt lgkmcnt(0)
	v_add_f32_e32 v2, v2, v3
	ds_bpermute_b32 v2, v10, v2
	s_and_saveexec_b64 s[2:3], s[6:7]
	s_cbranch_execz .LBB190_44
; %bb.32:
	s_waitcnt lgkmcnt(0)
	v_add_f32_e32 v2, 0x358637bd, v2
	v_div_scale_f32 v3, s[6:7], v2, v2, 1.0
	v_rcp_f32_e32 v4, v3
	v_div_scale_f32 v5, vcc, 1.0, v2, 1.0
	s_movk_i32 s6, 0x7f
	v_fma_f32 v6, -v3, v4, 1.0
	v_fmac_f32_e32 v4, v6, v4
	v_mul_f32_e32 v6, v5, v4
	v_fma_f32 v7, -v3, v6, v5
	v_fmac_f32_e32 v6, v7, v4
	v_fma_f32 v3, -v3, v6, v5
	v_div_fmas_f32 v3, v3, v4, v6
	v_xad_u32 v4, v0, -1, s37
	v_div_fixup_f32 v2, v3, v2, 1.0
	v_cmp_lt_u32_e32 vcc, s6, v4
	s_mov_b64 s[8:9], -1
	v_mov_b32_e32 v3, v0
	s_and_saveexec_b64 s[6:7], vcc
	s_cbranch_execz .LBB190_41
; %bb.33:
	v_lshrrev_b32_e32 v4, 7, v4
	v_add_u32_e32 v6, -1, v4
	v_lshrrev_b32_e32 v5, 1, v6
	v_mov_b32_e32 v3, v2
	v_add_u32_e32 v5, 1, v5
	v_cmp_lt_u32_e32 vcc, 13, v6
	v_mov_b32_e32 v8, 0
	s_and_saveexec_b64 s[8:9], vcc
	s_cbranch_execz .LBB190_37
; %bb.34:
	v_mov_b32_e32 v7, 0x410
	v_and_b32_e32 v6, -8, v5
	v_lshl_add_u32 v7, v0, 2, v7
	s_mov_b32 s18, 0
	s_mov_b64 s[12:13], 0
.LBB190_35:                             ; =>This Inner Loop Header: Depth=1
	ds_read2st64_b32 v[8:9], v7 offset1:2
	ds_read2st64_b32 v[10:11], v7 offset0:4 offset1:6
	ds_read2st64_b32 v[12:13], v7 offset0:8 offset1:10
	;; [unrolled: 1-line block ×3, first 2 shown]
	v_add_u32_e32 v6, -8, v6
	s_waitcnt lgkmcnt(3)
	v_pk_mul_f32 v[8:9], v[2:3], v[8:9]
	s_waitcnt lgkmcnt(2)
	v_pk_mul_f32 v[10:11], v[2:3], v[10:11]
	ds_write2st64_b32 v7, v8, v9 offset1:2
	ds_write2st64_b32 v7, v10, v11 offset0:4 offset1:6
	ds_read2st64_b32 v[10:11], v7 offset0:16 offset1:18
	s_waitcnt lgkmcnt(4)
	v_pk_mul_f32 v[8:9], v[2:3], v[12:13]
	ds_write2st64_b32 v7, v8, v9 offset0:8 offset1:10
	s_waitcnt lgkmcnt(4)
	v_pk_mul_f32 v[8:9], v[2:3], v[14:15]
	ds_write2st64_b32 v7, v8, v9 offset0:12 offset1:14
	ds_read2st64_b32 v[8:9], v7 offset0:20 offset1:22
	s_waitcnt lgkmcnt(3)
	v_pk_mul_f32 v[10:11], v[2:3], v[10:11]
	ds_read2st64_b32 v[12:13], v7 offset0:24 offset1:26
	ds_write2st64_b32 v7, v10, v11 offset0:16 offset1:18
	ds_read2st64_b32 v[10:11], v7 offset0:28 offset1:30
	s_waitcnt lgkmcnt(3)
	v_pk_mul_f32 v[8:9], v[2:3], v[8:9]
	ds_write2st64_b32 v7, v8, v9 offset0:20 offset1:22
	s_waitcnt lgkmcnt(3)
	v_pk_mul_f32 v[8:9], v[2:3], v[12:13]
	ds_write2st64_b32 v7, v8, v9 offset0:24 offset1:26
	s_waitcnt lgkmcnt(2)
	v_pk_mul_f32 v[8:9], v[2:3], v[10:11]
	s_add_i32 s18, s18, 16
	v_cmp_eq_u32_e32 vcc, 0, v6
	ds_write2st64_b32 v7, v8, v9 offset0:28 offset1:30
	v_add_u32_e32 v7, 0x2000, v7
	s_or_b64 s[12:13], vcc, s[12:13]
	v_mov_b32_e32 v8, s18
	s_andn2_b64 exec, exec, s[12:13]
	s_cbranch_execnz .LBB190_35
; %bb.36:
	s_or_b64 exec, exec, s[12:13]
.LBB190_37:
	s_or_b64 exec, exec, s[8:9]
	v_and_b32_e32 v5, 7, v5
	v_cmp_ne_u32_e32 vcc, 0, v5
	s_and_saveexec_b64 s[8:9], vcc
	s_cbranch_execz .LBB190_40
; %bb.38:
	v_lshlrev_b32_e32 v6, 9, v8
	v_lshlrev_b32_e32 v7, 2, v0
	s_movk_i32 s12, 0x410
	v_add3_u32 v6, v6, v7, s12
	s_mov_b64 s[12:13], 0
.LBB190_39:                             ; =>This Inner Loop Header: Depth=1
	ds_read2st64_b32 v[8:9], v6 offset1:2
	v_add_u32_e32 v5, -1, v5
	v_cmp_eq_u32_e32 vcc, 0, v5
	s_or_b64 s[12:13], vcc, s[12:13]
	s_waitcnt lgkmcnt(0)
	v_pk_mul_f32 v[8:9], v[2:3], v[8:9]
	ds_write2st64_b32 v6, v8, v9 offset1:2
	v_add_u32_e32 v6, 0x400, v6
	s_andn2_b64 exec, exec, s[12:13]
	s_cbranch_execnz .LBB190_39
.LBB190_40:
	s_or_b64 exec, exec, s[8:9]
	v_add_u32_e32 v4, 1, v4
	v_and_b32_e32 v5, 0x3fffffe, v4
	v_cmp_ne_u32_e32 vcc, v4, v5
	v_lshl_add_u32 v3, v5, 7, v0
	s_orn2_b64 s[8:9], vcc, exec
.LBB190_41:
	s_or_b64 exec, exec, s[6:7]
	s_and_b64 exec, exec, s[8:9]
	s_cbranch_execz .LBB190_44
; %bb.42:
	v_mov_b32_e32 v4, 0x410
	v_lshl_add_u32 v4, v3, 2, v4
	s_mov_b64 s[6:7], 0
.LBB190_43:                             ; =>This Inner Loop Header: Depth=1
	ds_read_b32 v5, v4
	v_add_u32_e32 v3, 0x80, v3
	v_cmp_le_i32_e32 vcc, s37, v3
	s_or_b64 s[6:7], vcc, s[6:7]
	s_waitcnt lgkmcnt(0)
	v_mul_f32_e32 v5, v2, v5
	ds_write_b32 v4, v5
	v_add_u32_e32 v4, 0x200, v4
	s_andn2_b64 exec, exec, s[6:7]
	s_cbranch_execnz .LBB190_43
.LBB190_44:
	s_or_b64 exec, exec, s[2:3]
	v_mov_b32_e32 v20, 0
	v_mov_b32_e32 v21, 0
	;; [unrolled: 1-line block ×16, first 2 shown]
	s_waitcnt lgkmcnt(0)
	s_barrier
	s_and_saveexec_b64 s[2:3], s[0:1]
	s_cbranch_execz .LBB190_82
; %bb.45:
	s_sub_i32 s18, s16, s21
	s_ashr_i32 s0, s43, 31
	s_add_u32 s6, s10, s43
	s_addc_u32 s7, s11, s0
	s_abs_i32 s19, s22
	v_cvt_f32_u32_e32 v2, s19
	v_lshlrev_b32_e32 v3, 2, v0
	s_sub_i32 s0, 0, s19
	v_and_b32_e32 v99, 12, v3
	v_rcp_iflag_f32_e32 v2, v2
	s_add_i32 s22, s20, -1
	v_and_b32_e32 v22, 0xfc, v3
	v_or_b32_e32 v24, 0xf00, v3
	v_mul_f32_e32 v2, 0x4f7ffffe, v2
	v_cvt_u32_f32_e32 v2, v2
	v_mov_b32_e32 v23, 0
	s_mov_b32 s21, s17
	v_mov_b32_e32 v25, v23
	v_mul_lo_u32 v3, s0, v2
	s_lshl_b64 s[0:1], s[34:35], 2
	v_mul_hi_u32 v3, v2, v3
	s_add_u32 s0, s30, s0
	v_add_u32_e32 v100, v2, v3
	v_and_b32_e32 v2, 60, v34
	v_mov_b32_e32 v3, v23
	s_addc_u32 s1, s31, s1
	v_lshl_add_u64 v[28:29], s[0:1], 0, v[2:3]
	v_lshlrev_b32_e32 v2, 4, v26
	v_lshl_or_b32 v2, v95, 6, v2
	v_add_u32_e32 v101, 0x410, v2
	s_mov_b64 s[8:9], 0
	v_mov_b32_e32 v7, v23
	v_mov_b32_e32 v6, v23
	;; [unrolled: 1-line block ×16, first 2 shown]
	s_branch .LBB190_48
.LBB190_46:                             ;   in Loop: Header=BB190_48 Depth=1
	s_or_b64 exec, exec, s[0:1]
	v_mul_f32_e32 v93, v3, v93
	v_mul_f32_e32 v89, v3, v89
	;; [unrolled: 1-line block ×16, first 2 shown]
	v_fmac_f32_e32 v93, v2, v92
	v_fmac_f32_e32 v89, v2, v88
	;; [unrolled: 1-line block ×48, first 2 shown]
	v_add_f32_e32 v6, v6, v93
	v_add_f32_e32 v9, v9, v89
	v_add_f32_e32 v8, v8, v85
	v_add_f32_e32 v11, v11, v81
	v_add_f32_e32 v10, v10, v77
	v_add_f32_e32 v13, v13, v73
	v_add_f32_e32 v12, v12, v69
	v_add_f32_e32 v15, v15, v65
	v_add_f32_e32 v14, v14, v61
	v_add_f32_e32 v17, v17, v57
	v_add_f32_e32 v16, v16, v53
	v_add_f32_e32 v19, v19, v47
	v_add_f32_e32 v18, v18, v41
	v_add_f32_e32 v21, v21, v37
	v_add_f32_e32 v20, v20, v33
	v_add_f32_e32 v7, v7, v3
.LBB190_47:                             ;   in Loop: Header=BB190_48 Depth=1
	s_or_b64 exec, exec, s[10:11]
	v_add_u32_e32 v95, 2, v95
	v_cmp_le_i32_e32 vcc, s20, v95
	v_lshl_add_u64 v[28:29], v[28:29], 0, 8
	v_add_u32_e32 v96, 32, v96
	s_or_b64 s[8:9], vcc, s[8:9]
	v_add_u32_e32 v101, 0x80, v101
	s_andn2_b64 exec, exec, s[8:9]
	s_cbranch_execz .LBB190_81
.LBB190_48:                             ; =>This Inner Loop Header: Depth=1
	v_mul_hi_u32 v2, v96, s42
	v_mul_lo_u32 v3, v2, s29
	v_sub_u32_e32 v3, v96, v3
	v_add_u32_e32 v4, 1, v2
	v_cmp_le_u32_e32 vcc, s29, v3
	s_nop 1
	v_cndmask_b32_e32 v2, v2, v4, vcc
	v_subrev_u32_e32 v4, s29, v3
	v_cndmask_b32_e32 v3, v3, v4, vcc
	v_add_u32_e32 v4, 1, v2
	v_cmp_le_u32_e32 vcc, s29, v3
	s_nop 1
	v_cndmask_b32_e32 v2, v2, v4, vcc
	v_xor_b32_e32 v2, s23, v2
	v_subrev_u32_e32 v2, s23, v2
	v_add_u32_e32 v3, s36, v2
	v_sub_u32_e32 v5, 0, v3
	v_ashrrev_i32_e32 v4, 31, v3
	v_max_i32_e32 v3, v3, v5
	v_mul_hi_u32 v5, v3, v100
	v_mul_lo_u32 v5, v5, s19
	v_sub_u32_e32 v3, v3, v5
	v_subrev_u32_e32 v5, s19, v3
	v_cmp_le_u32_e32 vcc, s19, v3
	v_cmp_lt_i32_e64 s[0:1], s18, v2
	s_nop 0
	v_cndmask_b32_e32 v3, v3, v5, vcc
	v_subrev_u32_e32 v5, s19, v3
	v_cmp_le_u32_e32 vcc, s19, v3
	s_nop 1
	v_cndmask_b32_e32 v3, v3, v5, vcc
	v_xor_b32_e32 v3, v3, v4
	v_sub_u32_e32 v3, v3, v4
	v_cmp_eq_u32_e32 vcc, 0, v3
	s_or_b64 s[0:1], vcc, s[0:1]
	s_and_saveexec_b64 s[10:11], s[0:1]
	s_cbranch_execz .LBB190_47
; %bb.49:                               ;   in Loop: Header=BB190_48 Depth=1
	global_load_dword v4, v[28:29], off
	v_mov_b64_e32 v[2:3], s[6:7]
	s_load_dword s12, s[14:15], 0x0
	v_add_u32_e32 v102, v99, v96
	v_cmp_eq_u32_e32 vcc, s22, v95
	v_add_u32_e32 v104, 1, v102
	v_add_u32_e32 v103, 2, v102
	;; [unrolled: 1-line block ×3, first 2 shown]
	s_waitcnt vmcnt(0)
	v_mad_i64_i32 v[42:43], s[0:1], v4, s21, v[2:3]
	v_lshl_add_u64 v[48:49], v[42:43], 0, v[22:23]
	global_load_dword v30, v[48:49], off
	ds_read_b128 v[2:5], v101
	s_waitcnt vmcnt(0)
	v_and_b32_e32 v31, 0xffff, v30
	v_lshrrev_b32_e32 v32, 16, v30
	v_cvt_pk_f32_fp8_e32 v[30:31], v31
	v_cvt_pk_f32_fp8_e32 v[34:35], v32
	s_waitcnt lgkmcnt(0)
	v_pk_mul_f32 v[32:33], s[12:13], v[30:31] op_sel_hi:[0,1]
	v_pk_mul_f32 v[30:31], s[12:13], v[34:35] op_sel_hi:[0,1]
	s_and_saveexec_b64 s[16:17], vcc
; %bb.50:                               ;   in Loop: Header=BB190_48 Depth=1
	v_cmp_gt_i32_e64 s[0:1], s33, v102
	s_nop 1
	v_cndmask_b32_e64 v32, 0, v32, s[0:1]
	v_cmp_gt_i32_e64 s[0:1], s33, v104
	s_nop 1
	v_cndmask_b32_e64 v33, 0, v33, s[0:1]
	;; [unrolled: 3-line block ×4, first 2 shown]
; %bb.51:                               ;   in Loop: Header=BB190_48 Depth=1
	s_or_b64 exec, exec, s[16:17]
	global_load_dword v34, v[48:49], off offset:256
	s_mov_b32 s13, s12
	s_waitcnt vmcnt(0)
	v_and_b32_e32 v35, 0xffff, v34
	v_lshrrev_b32_e32 v36, 16, v34
	v_cvt_pk_f32_fp8_e32 v[34:35], v35
	v_cvt_pk_f32_fp8_e32 v[38:39], v36
	v_pk_mul_f32 v[36:37], s[12:13], v[34:35]
	v_pk_mul_f32 v[34:35], s[12:13], v[38:39]
	s_and_saveexec_b64 s[16:17], vcc
; %bb.52:                               ;   in Loop: Header=BB190_48 Depth=1
	v_cmp_gt_i32_e64 s[0:1], s33, v102
	s_nop 1
	v_cndmask_b32_e64 v36, 0, v36, s[0:1]
	v_cmp_gt_i32_e64 s[0:1], s33, v104
	s_nop 1
	v_cndmask_b32_e64 v37, 0, v37, s[0:1]
	v_cmp_gt_i32_e64 s[0:1], s33, v103
	s_nop 1
	v_cndmask_b32_e64 v34, 0, v34, s[0:1]
	v_cmp_gt_i32_e64 s[0:1], s33, v105
	s_nop 1
	v_cndmask_b32_e64 v35, 0, v35, s[0:1]
; %bb.53:                               ;   in Loop: Header=BB190_48 Depth=1
	s_or_b64 exec, exec, s[16:17]
	global_load_dword v38, v[48:49], off offset:512
	s_waitcnt vmcnt(0)
	v_and_b32_e32 v39, 0xffff, v38
	v_lshrrev_b32_e32 v40, 16, v38
	v_cvt_pk_f32_fp8_e32 v[38:39], v39
	v_cvt_pk_f32_fp8_e32 v[44:45], v40
	v_pk_mul_f32 v[40:41], s[12:13], v[38:39]
	v_pk_mul_f32 v[38:39], s[12:13], v[44:45]
	s_and_saveexec_b64 s[16:17], vcc
; %bb.54:                               ;   in Loop: Header=BB190_48 Depth=1
	v_cmp_gt_i32_e64 s[0:1], s33, v102
	s_nop 1
	v_cndmask_b32_e64 v40, 0, v40, s[0:1]
	v_cmp_gt_i32_e64 s[0:1], s33, v104
	s_nop 1
	v_cndmask_b32_e64 v41, 0, v41, s[0:1]
	v_cmp_gt_i32_e64 s[0:1], s33, v103
	s_nop 1
	v_cndmask_b32_e64 v38, 0, v38, s[0:1]
	v_cmp_gt_i32_e64 s[0:1], s33, v105
	s_nop 1
	v_cndmask_b32_e64 v39, 0, v39, s[0:1]
; %bb.55:                               ;   in Loop: Header=BB190_48 Depth=1
	s_or_b64 exec, exec, s[16:17]
	global_load_dword v44, v[48:49], off offset:768
	;; [unrolled: 24-line block ×13, first 2 shown]
	s_waitcnt vmcnt(0)
	v_and_b32_e32 v49, 0xffff, v48
	v_lshrrev_b32_e32 v90, 16, v48
	v_cvt_pk_f32_fp8_e32 v[48:49], v49
	v_cvt_pk_f32_fp8_e32 v[90:91], v90
	v_pk_mul_f32 v[92:93], s[12:13], v[48:49]
	v_pk_mul_f32 v[90:91], s[12:13], v[90:91]
	s_and_saveexec_b64 s[16:17], vcc
; %bb.78:                               ;   in Loop: Header=BB190_48 Depth=1
	v_cmp_gt_i32_e64 s[0:1], s33, v102
	s_nop 1
	v_cndmask_b32_e64 v92, 0, v92, s[0:1]
	v_cmp_gt_i32_e64 s[0:1], s33, v104
	s_nop 1
	v_cndmask_b32_e64 v93, 0, v93, s[0:1]
	;; [unrolled: 3-line block ×4, first 2 shown]
; %bb.79:                               ;   in Loop: Header=BB190_48 Depth=1
	s_or_b64 exec, exec, s[16:17]
	v_lshl_add_u64 v[42:43], v[42:43], 0, v[24:25]
	global_load_dword v42, v[42:43], off
	s_waitcnt vmcnt(0)
	v_and_b32_e32 v43, 0xffff, v42
	v_lshrrev_b32_e32 v48, 16, v42
	v_cvt_pk_f32_fp8_e32 v[42:43], v43
	v_cvt_pk_f32_fp8_e32 v[106:107], v48
	v_pk_mul_f32 v[48:49], s[12:13], v[42:43]
	v_pk_mul_f32 v[42:43], s[12:13], v[106:107]
	s_and_saveexec_b64 s[0:1], vcc
	s_cbranch_execz .LBB190_46
; %bb.80:                               ;   in Loop: Header=BB190_48 Depth=1
	v_cmp_gt_i32_e32 vcc, s33, v102
	s_nop 1
	v_cndmask_b32_e32 v48, 0, v48, vcc
	v_cmp_gt_i32_e32 vcc, s33, v104
	s_nop 1
	v_cndmask_b32_e32 v49, 0, v49, vcc
	;; [unrolled: 3-line block ×4, first 2 shown]
	s_branch .LBB190_46
.LBB190_81:
	s_or_b64 exec, exec, s[8:9]
.LBB190_82:
	s_or_b64 exec, exec, s[2:3]
	ds_bpermute_b32 v4, v98, v18
	ds_bpermute_b32 v5, v98, v19
	;; [unrolled: 1-line block ×6, first 2 shown]
	s_waitcnt lgkmcnt(4)
	v_pk_add_f32 v[4:5], v[18:19], v[4:5]
	ds_bpermute_b32 v18, v97, v4
	ds_bpermute_b32 v19, v97, v5
	s_waitcnt lgkmcnt(4)
	v_pk_add_f32 v[2:3], v[20:21], v[2:3]
	ds_bpermute_b32 v20, v97, v2
	ds_bpermute_b32 v21, v97, v3
	s_waitcnt lgkmcnt(4)
	v_pk_add_f32 v[16:17], v[16:17], v[22:23]
	s_waitcnt lgkmcnt(2)
	v_pk_add_f32 v[4:5], v[4:5], v[18:19]
	ds_bpermute_b32 v18, v98, v12
	ds_bpermute_b32 v19, v98, v13
	;; [unrolled: 1-line block ×4, first 2 shown]
	s_waitcnt lgkmcnt(4)
	v_pk_add_f32 v[2:3], v[2:3], v[20:21]
	ds_bpermute_b32 v20, v97, v16
	s_waitcnt lgkmcnt(3)
	v_pk_add_f32 v[12:13], v[12:13], v[18:19]
	ds_bpermute_b32 v18, v98, v10
	ds_bpermute_b32 v19, v98, v11
	;; [unrolled: 1-line block ×6, first 2 shown]
	s_waitcnt lgkmcnt(4)
	v_pk_add_f32 v[10:11], v[10:11], v[18:19]
	ds_bpermute_b32 v29, v98, v7
	ds_bpermute_b32 v18, v97, v10
	;; [unrolled: 1-line block ×3, first 2 shown]
	v_pk_add_f32 v[14:15], v[14:15], v[22:23]
	s_waitcnt lgkmcnt(6)
	v_pk_add_f32 v[16:17], v[16:17], v[20:21]
	ds_bpermute_b32 v20, v97, v14
	ds_bpermute_b32 v21, v97, v15
	s_waitcnt lgkmcnt(6)
	v_pk_add_f32 v[8:9], v[8:9], v[24:25]
	ds_bpermute_b32 v22, v97, v12
	ds_bpermute_b32 v23, v97, v13
	ds_bpermute_b32 v24, v97, v8
	ds_bpermute_b32 v25, v97, v9
	s_waitcnt lgkmcnt(8)
	v_pk_add_f32 v[6:7], v[6:7], v[28:29]
	s_waitcnt lgkmcnt(6)
	v_pk_add_f32 v[10:11], v[10:11], v[18:19]
	ds_bpermute_b32 v18, v97, v6
	ds_bpermute_b32 v19, v97, v7
	s_waitcnt lgkmcnt(6)
	v_pk_add_f32 v[14:15], v[14:15], v[20:21]
	v_and_b32_e32 v20, 0x3c3, v0
	s_waitcnt lgkmcnt(4)
	v_pk_add_f32 v[12:13], v[12:13], v[22:23]
	s_waitcnt lgkmcnt(2)
	v_pk_add_f32 v[8:9], v[8:9], v[24:25]
	v_cmp_ne_u32_e32 vcc, 64, v20
	s_waitcnt lgkmcnt(0)
	s_barrier
	s_and_saveexec_b64 s[0:1], vcc
	s_xor_b64 s[0:1], exec, s[0:1]
; %bb.83:
                                        ; implicit-def: $vgpr27
; %bb.84:
	s_or_saveexec_b64 s[0:1], s[0:1]
	v_pk_add_f32 v[6:7], v[6:7], v[18:19]
	s_xor_b64 exec, exec, s[0:1]
	s_cbranch_execz .LBB190_86
; %bb.85:
	v_add_u32_e32 v18, 0x410, v27
	ds_write2_b32 v18, v2, v3 offset1:16
	ds_write2_b32 v18, v4, v5 offset0:32 offset1:48
	ds_write2_b32 v18, v16, v17 offset0:64 offset1:80
	;; [unrolled: 1-line block ×7, first 2 shown]
.LBB190_86:
	s_or_b64 exec, exec, s[0:1]
	v_cmp_gt_u32_e32 vcc, 64, v0
	s_waitcnt lgkmcnt(0)
	s_barrier
	s_and_saveexec_b64 s[0:1], vcc
	s_cbranch_execz .LBB190_105
; %bb.87:
	v_cmp_eq_u32_e32 vcc, 0, v26
	s_and_saveexec_b64 s[2:3], vcc
	s_cbranch_execnz .LBB190_108
; %bb.88:
	s_or_b64 exec, exec, s[2:3]
	s_and_saveexec_b64 s[2:3], vcc
	s_cbranch_execnz .LBB190_109
.LBB190_89:
	s_or_b64 exec, exec, s[2:3]
	s_and_saveexec_b64 s[2:3], vcc
	s_cbranch_execnz .LBB190_110
.LBB190_90:
	s_or_b64 exec, exec, s[2:3]
	s_and_saveexec_b64 s[2:3], vcc
	s_cbranch_execnz .LBB190_111
.LBB190_91:
	s_or_b64 exec, exec, s[2:3]
	s_and_saveexec_b64 s[2:3], vcc
	s_cbranch_execnz .LBB190_112
.LBB190_92:
	s_or_b64 exec, exec, s[2:3]
	s_and_saveexec_b64 s[2:3], vcc
	s_cbranch_execnz .LBB190_113
.LBB190_93:
	s_or_b64 exec, exec, s[2:3]
	s_and_saveexec_b64 s[2:3], vcc
	s_cbranch_execnz .LBB190_114
.LBB190_94:
	s_or_b64 exec, exec, s[2:3]
	s_and_saveexec_b64 s[2:3], vcc
	s_cbranch_execnz .LBB190_115
.LBB190_95:
	s_or_b64 exec, exec, s[2:3]
	s_and_saveexec_b64 s[2:3], vcc
	s_cbranch_execnz .LBB190_116
.LBB190_96:
	s_or_b64 exec, exec, s[2:3]
	s_and_saveexec_b64 s[2:3], vcc
	s_cbranch_execnz .LBB190_117
.LBB190_97:
	s_or_b64 exec, exec, s[2:3]
	s_and_saveexec_b64 s[2:3], vcc
	s_cbranch_execnz .LBB190_118
.LBB190_98:
	s_or_b64 exec, exec, s[2:3]
	s_and_saveexec_b64 s[2:3], vcc
	s_cbranch_execnz .LBB190_119
.LBB190_99:
	s_or_b64 exec, exec, s[2:3]
	s_and_saveexec_b64 s[2:3], vcc
	s_cbranch_execnz .LBB190_120
.LBB190_100:
	s_or_b64 exec, exec, s[2:3]
	s_and_saveexec_b64 s[2:3], vcc
	s_cbranch_execnz .LBB190_121
.LBB190_101:
	s_or_b64 exec, exec, s[2:3]
	s_and_saveexec_b64 s[2:3], vcc
	s_cbranch_execnz .LBB190_122
.LBB190_102:
	s_or_b64 exec, exec, s[2:3]
	s_and_saveexec_b64 s[2:3], vcc
	s_cbranch_execz .LBB190_104
.LBB190_103:
	v_mov_b32_e32 v0, 0x410
	v_lshl_add_u32 v0, v94, 2, v0
	ds_read_b32 v0, v0 offset:960
	s_waitcnt lgkmcnt(0)
	v_add_f32_e32 v7, v7, v0
.LBB190_104:
	s_or_b64 exec, exec, s[2:3]
.LBB190_105:
	s_or_b64 exec, exec, s[0:1]
	v_cmp_eq_u32_e32 vcc, 0, v20
	s_barrier
	s_and_saveexec_b64 s[0:1], vcc
	s_cbranch_execz .LBB190_107
; %bb.106:
	s_mul_i32 s0, s24, s25
	s_mul_i32 s0, s0, s5
	s_lshl_b32 s0, s0, 8
	s_ashr_i32 s1, s0, 31
	s_lshl_b64 s[0:1], s[0:1], 2
	s_add_u32 s2, s26, s0
	s_mul_i32 s0, s25, s28
	s_addc_u32 s3, s27, s1
	s_ashr_i32 s1, s0, 31
	s_lshl_b64 s[0:1], s[0:1], 2
	s_add_u32 s2, s2, s0
	s_addc_u32 s3, s3, s1
	s_lshl_b32 s0, s4, 8
	s_ashr_i32 s1, s0, 31
	s_lshl_b64 s[0:1], s[0:1], 2
	s_add_u32 s0, s2, s0
	s_addc_u32 s1, s3, s1
	global_store_dword v1, v2, s[0:1]
	global_store_dword v1, v3, s[0:1] offset:64
	global_store_dword v1, v4, s[0:1] offset:128
	;; [unrolled: 1-line block ×15, first 2 shown]
.LBB190_107:
	s_endpgm
.LBB190_108:
	v_mov_b32_e32 v0, 0x410
	v_lshl_add_u32 v0, v94, 2, v0
	ds_read_b32 v0, v0
	s_waitcnt lgkmcnt(0)
	v_add_f32_e32 v2, v2, v0
	s_or_b64 exec, exec, s[2:3]
	s_and_saveexec_b64 s[2:3], vcc
	s_cbranch_execz .LBB190_89
.LBB190_109:
	v_mov_b32_e32 v0, 0x410
	v_lshl_add_u32 v0, v94, 2, v0
	ds_read_b32 v0, v0 offset:64
	s_waitcnt lgkmcnt(0)
	v_add_f32_e32 v3, v3, v0
	s_or_b64 exec, exec, s[2:3]
	s_and_saveexec_b64 s[2:3], vcc
	s_cbranch_execz .LBB190_90
.LBB190_110:
	v_mov_b32_e32 v0, 0x410
	v_lshl_add_u32 v0, v94, 2, v0
	ds_read_b32 v0, v0 offset:128
	s_waitcnt lgkmcnt(0)
	v_add_f32_e32 v4, v4, v0
	s_or_b64 exec, exec, s[2:3]
	s_and_saveexec_b64 s[2:3], vcc
	s_cbranch_execz .LBB190_91
.LBB190_111:
	v_mov_b32_e32 v0, 0x410
	v_lshl_add_u32 v0, v94, 2, v0
	ds_read_b32 v0, v0 offset:192
	s_waitcnt lgkmcnt(0)
	v_add_f32_e32 v5, v5, v0
	s_or_b64 exec, exec, s[2:3]
	s_and_saveexec_b64 s[2:3], vcc
	s_cbranch_execz .LBB190_92
.LBB190_112:
	v_mov_b32_e32 v0, 0x410
	v_lshl_add_u32 v0, v94, 2, v0
	ds_read_b32 v0, v0 offset:256
	s_waitcnt lgkmcnt(0)
	v_add_f32_e32 v16, v16, v0
	s_or_b64 exec, exec, s[2:3]
	s_and_saveexec_b64 s[2:3], vcc
	s_cbranch_execz .LBB190_93
.LBB190_113:
	v_mov_b32_e32 v0, 0x410
	v_lshl_add_u32 v0, v94, 2, v0
	ds_read_b32 v0, v0 offset:320
	s_waitcnt lgkmcnt(0)
	v_add_f32_e32 v17, v17, v0
	s_or_b64 exec, exec, s[2:3]
	s_and_saveexec_b64 s[2:3], vcc
	s_cbranch_execz .LBB190_94
.LBB190_114:
	v_mov_b32_e32 v0, 0x410
	v_lshl_add_u32 v0, v94, 2, v0
	ds_read_b32 v0, v0 offset:384
	s_waitcnt lgkmcnt(0)
	v_add_f32_e32 v14, v14, v0
	s_or_b64 exec, exec, s[2:3]
	s_and_saveexec_b64 s[2:3], vcc
	s_cbranch_execz .LBB190_95
.LBB190_115:
	v_mov_b32_e32 v0, 0x410
	v_lshl_add_u32 v0, v94, 2, v0
	ds_read_b32 v0, v0 offset:448
	s_waitcnt lgkmcnt(0)
	v_add_f32_e32 v15, v15, v0
	s_or_b64 exec, exec, s[2:3]
	s_and_saveexec_b64 s[2:3], vcc
	s_cbranch_execz .LBB190_96
.LBB190_116:
	v_mov_b32_e32 v0, 0x410
	v_lshl_add_u32 v0, v94, 2, v0
	ds_read_b32 v0, v0 offset:512
	s_waitcnt lgkmcnt(0)
	v_add_f32_e32 v12, v12, v0
	s_or_b64 exec, exec, s[2:3]
	s_and_saveexec_b64 s[2:3], vcc
	s_cbranch_execz .LBB190_97
.LBB190_117:
	v_mov_b32_e32 v0, 0x410
	v_lshl_add_u32 v0, v94, 2, v0
	ds_read_b32 v0, v0 offset:576
	s_waitcnt lgkmcnt(0)
	v_add_f32_e32 v13, v13, v0
	s_or_b64 exec, exec, s[2:3]
	s_and_saveexec_b64 s[2:3], vcc
	s_cbranch_execz .LBB190_98
.LBB190_118:
	v_mov_b32_e32 v0, 0x410
	v_lshl_add_u32 v0, v94, 2, v0
	ds_read_b32 v0, v0 offset:640
	s_waitcnt lgkmcnt(0)
	v_add_f32_e32 v10, v10, v0
	s_or_b64 exec, exec, s[2:3]
	s_and_saveexec_b64 s[2:3], vcc
	s_cbranch_execz .LBB190_99
.LBB190_119:
	v_mov_b32_e32 v0, 0x410
	v_lshl_add_u32 v0, v94, 2, v0
	ds_read_b32 v0, v0 offset:704
	s_waitcnt lgkmcnt(0)
	v_add_f32_e32 v11, v11, v0
	s_or_b64 exec, exec, s[2:3]
	s_and_saveexec_b64 s[2:3], vcc
	s_cbranch_execz .LBB190_100
.LBB190_120:
	v_mov_b32_e32 v0, 0x410
	v_lshl_add_u32 v0, v94, 2, v0
	ds_read_b32 v0, v0 offset:768
	s_waitcnt lgkmcnt(0)
	v_add_f32_e32 v8, v8, v0
	s_or_b64 exec, exec, s[2:3]
	s_and_saveexec_b64 s[2:3], vcc
	s_cbranch_execz .LBB190_101
.LBB190_121:
	v_mov_b32_e32 v0, 0x410
	v_lshl_add_u32 v0, v94, 2, v0
	ds_read_b32 v0, v0 offset:832
	s_waitcnt lgkmcnt(0)
	v_add_f32_e32 v9, v9, v0
	s_or_b64 exec, exec, s[2:3]
	s_and_saveexec_b64 s[2:3], vcc
	s_cbranch_execz .LBB190_102
.LBB190_122:
	v_mov_b32_e32 v0, 0x410
	v_lshl_add_u32 v0, v94, 2, v0
	ds_read_b32 v0, v0 offset:896
	s_waitcnt lgkmcnt(0)
	v_add_f32_e32 v6, v6, v0
	s_or_b64 exec, exec, s[2:3]
	s_and_saveexec_b64 s[2:3], vcc
	s_cbranch_execnz .LBB190_103
	s_branch .LBB190_104
	.section	.rodata,"a",@progbits
	.p2align	6, 0x0
	.amdhsa_kernel _ZN4vllm25paged_attention_v1_kernelIfhLi256ELi16ELi128ELNS_18Fp8KVCacheDataTypeE1ELb1EEEvPT_PKS2_PKT0_S8_ifPKiSA_iPKfiiiSC_SC_iiiii
		.amdhsa_group_segment_fixed_size 1040
		.amdhsa_private_segment_fixed_size 0
		.amdhsa_kernarg_size 384
		.amdhsa_user_sgpr_count 2
		.amdhsa_user_sgpr_dispatch_ptr 0
		.amdhsa_user_sgpr_queue_ptr 0
		.amdhsa_user_sgpr_kernarg_segment_ptr 1
		.amdhsa_user_sgpr_dispatch_id 0
		.amdhsa_user_sgpr_kernarg_preload_length 0
		.amdhsa_user_sgpr_kernarg_preload_offset 0
		.amdhsa_user_sgpr_private_segment_size 0
		.amdhsa_uses_dynamic_stack 0
		.amdhsa_enable_private_segment 0
		.amdhsa_system_sgpr_workgroup_id_x 1
		.amdhsa_system_sgpr_workgroup_id_y 1
		.amdhsa_system_sgpr_workgroup_id_z 1
		.amdhsa_system_sgpr_workgroup_info 0
		.amdhsa_system_vgpr_workitem_id 0
		.amdhsa_next_free_vgpr 108
		.amdhsa_next_free_sgpr 48
		.amdhsa_accum_offset 108
		.amdhsa_reserve_vcc 1
		.amdhsa_float_round_mode_32 0
		.amdhsa_float_round_mode_16_64 0
		.amdhsa_float_denorm_mode_32 3
		.amdhsa_float_denorm_mode_16_64 3
		.amdhsa_dx10_clamp 1
		.amdhsa_ieee_mode 1
		.amdhsa_fp16_overflow 0
		.amdhsa_tg_split 0
		.amdhsa_exception_fp_ieee_invalid_op 0
		.amdhsa_exception_fp_denorm_src 0
		.amdhsa_exception_fp_ieee_div_zero 0
		.amdhsa_exception_fp_ieee_overflow 0
		.amdhsa_exception_fp_ieee_underflow 0
		.amdhsa_exception_fp_ieee_inexact 0
		.amdhsa_exception_int_div_zero 0
	.end_amdhsa_kernel
	.section	.text._ZN4vllm25paged_attention_v1_kernelIfhLi256ELi16ELi128ELNS_18Fp8KVCacheDataTypeE1ELb1EEEvPT_PKS2_PKT0_S8_ifPKiSA_iPKfiiiSC_SC_iiiii,"axG",@progbits,_ZN4vllm25paged_attention_v1_kernelIfhLi256ELi16ELi128ELNS_18Fp8KVCacheDataTypeE1ELb1EEEvPT_PKS2_PKT0_S8_ifPKiSA_iPKfiiiSC_SC_iiiii,comdat
.Lfunc_end190:
	.size	_ZN4vllm25paged_attention_v1_kernelIfhLi256ELi16ELi128ELNS_18Fp8KVCacheDataTypeE1ELb1EEEvPT_PKS2_PKT0_S8_ifPKiSA_iPKfiiiSC_SC_iiiii, .Lfunc_end190-_ZN4vllm25paged_attention_v1_kernelIfhLi256ELi16ELi128ELNS_18Fp8KVCacheDataTypeE1ELb1EEEvPT_PKS2_PKT0_S8_ifPKiSA_iPKfiiiSC_SC_iiiii
                                        ; -- End function
	.section	.AMDGPU.csdata,"",@progbits
; Kernel info:
; codeLenInByte = 9640
; NumSgprs: 54
; NumVgprs: 108
; NumAgprs: 0
; TotalNumVgprs: 108
; ScratchSize: 0
; MemoryBound: 0
; FloatMode: 240
; IeeeMode: 1
; LDSByteSize: 1040 bytes/workgroup (compile time only)
; SGPRBlocks: 6
; VGPRBlocks: 13
; NumSGPRsForWavesPerEU: 54
; NumVGPRsForWavesPerEU: 108
; AccumOffset: 108
; Occupancy: 4
; WaveLimiterHint : 1
; COMPUTE_PGM_RSRC2:SCRATCH_EN: 0
; COMPUTE_PGM_RSRC2:USER_SGPR: 2
; COMPUTE_PGM_RSRC2:TRAP_HANDLER: 0
; COMPUTE_PGM_RSRC2:TGID_X_EN: 1
; COMPUTE_PGM_RSRC2:TGID_Y_EN: 1
; COMPUTE_PGM_RSRC2:TGID_Z_EN: 1
; COMPUTE_PGM_RSRC2:TIDIG_COMP_CNT: 0
; COMPUTE_PGM_RSRC3_GFX90A:ACCUM_OFFSET: 26
; COMPUTE_PGM_RSRC3_GFX90A:TG_SPLIT: 0
	.section	.text._ZN4vllm25paged_attention_v1_kernelIfhLi32ELi16ELi128ELNS_18Fp8KVCacheDataTypeE1ELb0EEEvPT_PKS2_PKT0_S8_ifPKiSA_iPKfiiiSC_SC_iiiii,"axG",@progbits,_ZN4vllm25paged_attention_v1_kernelIfhLi32ELi16ELi128ELNS_18Fp8KVCacheDataTypeE1ELb0EEEvPT_PKS2_PKT0_S8_ifPKiSA_iPKfiiiSC_SC_iiiii,comdat
	.protected	_ZN4vllm25paged_attention_v1_kernelIfhLi32ELi16ELi128ELNS_18Fp8KVCacheDataTypeE1ELb0EEEvPT_PKS2_PKT0_S8_ifPKiSA_iPKfiiiSC_SC_iiiii ; -- Begin function _ZN4vllm25paged_attention_v1_kernelIfhLi32ELi16ELi128ELNS_18Fp8KVCacheDataTypeE1ELb0EEEvPT_PKS2_PKT0_S8_ifPKiSA_iPKfiiiSC_SC_iiiii
	.globl	_ZN4vllm25paged_attention_v1_kernelIfhLi32ELi16ELi128ELNS_18Fp8KVCacheDataTypeE1ELb0EEEvPT_PKS2_PKT0_S8_ifPKiSA_iPKfiiiSC_SC_iiiii
	.p2align	8
	.type	_ZN4vllm25paged_attention_v1_kernelIfhLi32ELi16ELi128ELNS_18Fp8KVCacheDataTypeE1ELb0EEEvPT_PKS2_PKT0_S8_ifPKiSA_iPKfiiiSC_SC_iiiii,@function
_ZN4vllm25paged_attention_v1_kernelIfhLi32ELi16ELi128ELNS_18Fp8KVCacheDataTypeE1ELb0EEEvPT_PKS2_PKT0_S8_ifPKiSA_iPKfiiiSC_SC_iiiii: ; @_ZN4vllm25paged_attention_v1_kernelIfhLi32ELi16ELi128ELNS_18Fp8KVCacheDataTypeE1ELb0EEEvPT_PKS2_PKT0_S8_ifPKiSA_iPKfiiiSC_SC_iiiii
; %bb.0:
	s_load_dword s5, s[0:1], 0x80
	s_load_dwordx2 s[6:7], s[0:1], 0x30
	s_load_dwordx2 s[28:29], s[0:1], 0x20
	s_mov_b32 s16, s3
	s_ashr_i32 s17, s3, 31
	s_lshl_b64 s[8:9], s[16:17], 2
	s_waitcnt lgkmcnt(0)
	s_add_u32 s6, s6, s8
	s_addc_u32 s7, s7, s9
	s_abs_i32 s3, s28
	v_cvt_f32_u32_e32 v1, s3
	s_sub_i32 s10, 0, s3
	s_abs_i32 s9, s5
	s_xor_b32 s8, s5, s28
	v_rcp_iflag_f32_e32 v1, v1
	s_ashr_i32 s8, s8, 31
	s_mov_b32 s28, 0
	v_mul_f32_e32 v1, 0x4f7ffffe, v1
	v_cvt_u32_f32_e32 v1, v1
	s_nop 0
	v_readfirstlane_b32 s11, v1
	s_mul_i32 s10, s10, s11
	s_mul_hi_u32 s10, s11, s10
	s_add_i32 s11, s11, s10
	s_mul_hi_u32 s10, s9, s11
	s_mul_i32 s11, s10, s3
	s_sub_i32 s9, s9, s11
	s_add_i32 s11, s10, 1
	s_sub_i32 s12, s9, s3
	s_cmp_ge_u32 s9, s3
	s_cselect_b32 s10, s11, s10
	s_cselect_b32 s9, s12, s9
	s_add_i32 s11, s10, 1
	s_cmp_ge_u32 s9, s3
	s_cselect_b32 s3, s11, s10
	s_xor_b32 s3, s3, s8
	s_sub_i32 s12, s3, s8
	s_abs_i32 s10, s12
	v_cvt_f32_u32_e32 v1, s10
	s_load_dwordx2 s[8:9], s[0:1], 0x40
	s_sub_i32 s3, 0, s10
	s_abs_i32 s11, s2
	v_rcp_iflag_f32_e32 v1, v1
	s_nop 0
	v_mul_f32_e32 v1, 0x4f7ffffe, v1
	v_cvt_u32_f32_e32 v1, v1
	s_nop 0
	v_readfirstlane_b32 s13, v1
	s_mul_i32 s3, s3, s13
	s_mul_hi_u32 s3, s13, s3
	s_add_i32 s13, s13, s3
	s_waitcnt lgkmcnt(0)
	s_cmp_eq_u64 s[8:9], 0
	s_mul_hi_u32 s20, s11, s13
	s_cbranch_scc1 .LBB191_2
; %bb.1:
	s_ashr_i32 s3, s2, 31
	s_lshl_b64 s[14:15], s[2:3], 2
	s_add_u32 s8, s8, s14
	s_addc_u32 s9, s9, s15
	s_load_dword s28, s[8:9], 0x0
.LBB191_2:
	s_load_dword s17, s[6:7], 0x0
	s_ashr_i32 s7, s12, 31
	s_load_dwordx4 s[12:15], s[0:1], 0x48
	v_lshrrev_b32_e32 v22, 2, v0
	s_ashr_i32 s6, s2, 31
	v_and_b32_e32 v10, 3, v0
	s_lshl_b32 s18, s2, 5
	v_cmp_gt_u32_e32 vcc, 32, v0
	v_lshlrev_b32_e32 v16, 2, v0
	v_lshlrev_b32_e32 v1, 2, v22
	s_and_saveexec_b64 s[2:3], vcc
	s_cbranch_execz .LBB191_4
; %bb.3:
	s_load_dwordx2 s[8:9], s[0:1], 0x8
	s_waitcnt lgkmcnt(0)
	s_mul_i32 s22, s16, s12
	s_ashr_i32 s23, s22, 31
	s_lshl_b64 s[22:23], s[22:23], 2
	v_lshl_add_u32 v3, v10, 5, v1
	s_add_u32 s12, s8, s22
	s_addc_u32 s15, s9, s23
	s_ashr_i32 s19, s18, 31
	s_lshl_b64 s[8:9], s[18:19], 2
	s_add_u32 s8, s12, s8
	s_addc_u32 s9, s15, s9
	global_load_dword v2, v16, s[8:9]
	s_waitcnt vmcnt(0)
	ds_write_b32 v3, v2
.LBB191_4:
	s_or_b64 exec, exec, s[2:3]
	s_waitcnt lgkmcnt(0)
	s_add_i32 s3, s17, 15
	s_ashr_i32 s8, s3, 31
	s_lshr_b32 s8, s8, 28
	s_add_i32 s3, s3, s8
	s_ashr_i32 s19, s3, 4
	s_xor_b32 s3, s6, s7
	s_mul_i32 s6, s20, s10
	s_sub_i32 s6, s11, s6
	s_add_i32 s7, s20, 1
	s_sub_i32 s8, s6, s10
	s_load_dwordx2 s[22:23], s[0:1], 0x28
	s_load_dword s2, s[0:1], 0x38
	s_cmp_ge_u32 s6, s10
	s_cselect_b32 s7, s7, s20
	s_cselect_b32 s6, s8, s6
	s_add_i32 s8, s7, 1
	s_cmp_ge_u32 s6, s10
	s_cselect_b32 s6, s8, s7
	v_lshrrev_b32_e32 v23, 6, v0
	s_xor_b32 s6, s6, s3
	s_waitcnt lgkmcnt(0)
	s_mul_i32 s24, s16, s2
	s_sub_i32 s33, s6, s3
	s_ashr_i32 s25, s24, 31
	v_cmp_gt_i32_e64 s[2:3], s19, v23
	v_cmp_le_i32_e32 vcc, s19, v23
	v_mbcnt_lo_u32_b32 v11, -1, 0
	s_barrier
	s_waitcnt lgkmcnt(0)
                                        ; implicit-def: $sgpr15
                                        ; implicit-def: $vgpr18
                                        ; implicit-def: $vgpr19
	s_and_saveexec_b64 s[6:7], vcc
	s_xor_b64 s[6:7], exec, s[6:7]
; %bb.5:
	v_mbcnt_hi_u32_b32 v18, -1, v11
	v_and_b32_e32 v2, 64, v18
	v_add_u32_e32 v19, 64, v2
	s_mov_b32 s15, 0xff7fffff
                                        ; implicit-def: $vgpr11
; %bb.6:
	s_or_saveexec_b64 s[30:31], s[6:7]
	s_load_dwordx2 s[20:21], s[0:1], 0x0
	s_load_dwordx2 s[26:27], s[0:1], 0x18
	s_load_dword s12, s[0:1], 0x88
	s_load_dwordx4 s[8:11], s[0:1], 0x58
	v_mov_b32_e32 v20, s15
	s_mul_i32 s33, s33, s14
	v_lshrrev_b32_e32 v17, 4, v0
	s_xor_b64 exec, exec, s[30:31]
	s_cbranch_execz .LBB191_12
; %bb.7:
	s_load_dwordx2 s[0:1], s[0:1], 0x10
	v_mbcnt_hi_u32_b32 v18, -1, v11
	v_and_b32_e32 v11, 64, v18
	s_ashr_i32 s6, s33, 31
	v_add_u32_e32 v19, 64, v11
	v_xor_b32_e32 v11, 2, v18
	v_bfe_u32 v20, v0, 2, 4
	s_waitcnt lgkmcnt(0)
	s_add_u32 s0, s0, s33
	v_lshlrev_b32_e32 v6, 5, v10
	v_cmp_lt_i32_e32 vcc, v11, v19
	v_lshlrev_b32_e32 v14, 4, v20
	s_addc_u32 s1, s1, s6
	v_mov_b32_e32 v15, 0
	ds_read_b128 v[2:5], v6
	ds_read_b128 v[6:9], v6 offset:16
	v_cndmask_b32_e32 v11, v18, v11, vcc
	s_load_dword s35, s[8:9], 0x0
	v_lshl_add_u64 v[12:13], s[0:1], 0, v[14:15]
	v_lshlrev_b32_e32 v21, 2, v11
	v_xor_b32_e32 v11, 1, v18
	s_sub_i32 s36, 1, s17
	v_lshlrev_b32_e32 v14, 2, v20
	s_lshl_b64 s[6:7], s[24:25], 2
	v_cmp_lt_i32_e32 vcc, v11, v19
	v_lshl_or_b32 v14, v23, 6, v14
	s_add_u32 s6, s22, s6
	v_cndmask_b32_e32 v11, v18, v11, vcc
	v_add_u32_e32 v26, 0x90, v14
	v_and_b32_e32 v14, 60, v17
	s_addc_u32 s7, s23, s7
	s_mov_b32 s34, s13
	v_lshlrev_b32_e32 v24, 2, v11
	v_cmp_eq_u32_e32 vcc, 0, v10
	v_cmp_neq_f32_e64 s[0:1], s28, 0
	v_mov_b32_e32 v11, v15
	v_lshl_or_b32 v25, v23, 4, v20
	v_lshl_add_u64 v[14:15], s[6:7], 0, v[14:15]
	s_mov_b64 s[8:9], 0
	v_mov_b32_e32 v20, 0xff7fffff
	v_mov_b32_e32 v27, v23
	s_branch .LBB191_9
.LBB191_8:                              ;   in Loop: Header=BB191_9 Depth=1
	s_or_b64 exec, exec, s[14:15]
	v_add_u32_e32 v27, 2, v27
	v_cmp_le_i32_e64 s[6:7], s19, v27
	v_add_u32_e32 v25, 32, v25
	v_add_u32_e32 v26, 0x80, v26
	s_or_b64 s[8:9], s[6:7], s[8:9]
	v_lshl_add_u64 v[14:15], v[14:15], 0, 8
	s_andn2_b64 exec, exec, s[8:9]
	s_cbranch_execz .LBB191_11
.LBB191_9:                              ; =>This Inner Loop Header: Depth=1
	global_load_dword v28, v[14:15], off
	s_waitcnt vmcnt(0) lgkmcnt(0)
	v_mad_i64_i32 v[28:29], s[6:7], v28, s34, v[12:13]
	v_lshl_add_u64 v[28:29], v[28:29], 0, v[10:11]
	global_load_ubyte v30, v[28:29], off
	global_load_ubyte v31, v[28:29], off offset:4
	global_load_ubyte v32, v[28:29], off offset:8
	;; [unrolled: 1-line block ×7, first 2 shown]
	s_waitcnt vmcnt(7)
	v_cvt_f32_fp8_sdwa v28, v30 src0_sel:BYTE_0
	s_waitcnt vmcnt(6)
	v_cvt_f32_fp8_sdwa v29, v31 src0_sel:BYTE_0
	;; [unrolled: 2-line block ×5, first 2 shown]
	s_waitcnt lgkmcnt(0)
	v_mul_f32_e32 v29, s35, v29
	s_waitcnt vmcnt(2)
	v_cvt_f32_fp8_sdwa v33, v35 src0_sel:BYTE_0
	v_mul_f32_e32 v28, s35, v28
	v_mul_f32_e32 v29, v3, v29
	s_waitcnt vmcnt(1)
	v_cvt_f32_fp8_sdwa v34, v36 src0_sel:BYTE_0
	v_mul_f32_e32 v30, s35, v30
	v_fmac_f32_e32 v29, v2, v28
	s_waitcnt vmcnt(0)
	v_cvt_f32_fp8_sdwa v35, v37 src0_sel:BYTE_0
	v_mul_f32_e32 v31, s35, v31
	v_fmac_f32_e32 v29, v4, v30
	v_mul_f32_e32 v32, s35, v32
	v_fmac_f32_e32 v29, v5, v31
	;; [unrolled: 2-line block ×5, first 2 shown]
	v_fmac_f32_e32 v29, v9, v35
	ds_bpermute_b32 v28, v21, v29
	s_waitcnt lgkmcnt(0)
	v_add_f32_e32 v28, v29, v28
	ds_bpermute_b32 v29, v24, v28
	s_and_saveexec_b64 s[14:15], vcc
	s_cbranch_execz .LBB191_8
; %bb.10:                               ;   in Loop: Header=BB191_9 Depth=1
	v_add_u32_e32 v30, s36, v25
	v_cvt_f32_i32_e32 v30, v30
	s_waitcnt lgkmcnt(0)
	v_add_f32_e32 v28, v28, v29
	v_cmp_gt_i32_e64 s[6:7], s17, v25
	v_max_f32_e32 v29, v20, v20
	v_mul_f32_e32 v30, s28, v30
	v_cndmask_b32_e64 v30, 0, v30, s[0:1]
	v_fmac_f32_e32 v30, s29, v28
	v_cndmask_b32_e64 v28, 0, v30, s[6:7]
	ds_write_b32 v26, v28
	v_max_f32_e32 v28, v29, v30
	v_cndmask_b32_e64 v20, v20, v28, s[6:7]
	s_branch .LBB191_8
.LBB191_11:
	s_or_b64 exec, exec, s[8:9]
.LBB191_12:
	s_or_b64 exec, exec, s[30:31]
	v_xor_b32_e32 v2, 32, v18
	v_cmp_lt_i32_e32 vcc, v2, v19
	v_xor_b32_e32 v5, 16, v18
	v_max_f32_e32 v4, v20, v20
	v_cndmask_b32_e32 v2, v18, v2, vcc
	v_lshlrev_b32_e32 v2, 2, v2
	ds_bpermute_b32 v3, v2, v20
	v_cmp_lt_i32_e32 vcc, v5, v19
	v_xor_b32_e32 v6, 8, v18
	v_xor_b32_e32 v7, 4, v18
	v_and_b32_e32 v11, 63, v0
	s_waitcnt lgkmcnt(0)
	v_max_f32_e32 v3, v3, v3
	v_max_f32_e32 v4, v4, v3
	v_cndmask_b32_e32 v3, v18, v5, vcc
	v_lshlrev_b32_e32 v3, 2, v3
	ds_bpermute_b32 v5, v3, v4
	v_cmp_lt_i32_e32 vcc, v6, v19
	s_waitcnt lgkmcnt(0)
	v_max_f32_e32 v5, v5, v5
	v_max_f32_e32 v4, v4, v5
	v_cndmask_b32_e32 v5, v18, v6, vcc
	v_lshlrev_b32_e32 v6, 2, v5
	ds_bpermute_b32 v5, v6, v4
	v_cmp_lt_i32_e32 vcc, v7, v19
	s_waitcnt lgkmcnt(0)
	v_max_f32_e32 v5, v5, v5
	v_max_f32_e32 v5, v4, v5
	v_cndmask_b32_e32 v4, v18, v7, vcc
	v_lshlrev_b32_e32 v7, 2, v4
	ds_bpermute_b32 v8, v7, v5
	v_cmp_eq_u32_e32 vcc, 0, v11
	v_lshlrev_b32_e32 v4, 2, v23
	s_and_saveexec_b64 s[0:1], vcc
	s_cbranch_execz .LBB191_14
; %bb.13:
	s_waitcnt lgkmcnt(0)
	v_max_f32_e32 v8, v8, v8
	v_max_f32_e32 v5, v5, v5
	;; [unrolled: 1-line block ×3, first 2 shown]
	ds_write_b32 v4, v5 offset:128
.LBB191_14:
	s_or_b64 exec, exec, s[0:1]
	v_cmp_gt_u32_e64 s[0:1], 2, v11
	s_waitcnt lgkmcnt(0)
	v_mov_b32_e32 v8, 0xff7fffff
	v_lshlrev_b32_e32 v5, 2, v11
	s_barrier
	s_and_saveexec_b64 s[6:7], s[0:1]
	s_cbranch_execz .LBB191_16
; %bb.15:
	ds_read_b32 v8, v5 offset:128
.LBB191_16:
	s_or_b64 exec, exec, s[6:7]
	v_xor_b32_e32 v9, 1, v18
	v_cmp_lt_i32_e64 s[6:7], v9, v19
	v_lshlrev_b32_e32 v12, 2, v18
	s_nop 0
	v_cndmask_b32_e64 v9, v18, v9, s[6:7]
	v_lshlrev_b32_e32 v24, 2, v9
	s_waitcnt lgkmcnt(0)
	ds_bpermute_b32 v9, v24, v8
	v_max_f32_e32 v8, v8, v8
	s_lshl_b32 s6, s19, 4
	s_min_i32 s30, s6, s17
	v_cmp_gt_i32_e64 s[6:7], s30, v0
	s_waitcnt lgkmcnt(0)
	v_max_f32_e32 v9, v9, v9
	v_max_f32_e32 v9, v8, v9
	v_and_b32_e32 v8, 0xffffff00, v12
	ds_bpermute_b32 v12, v8, v9
	v_mov_b32_e32 v9, 0
	s_and_saveexec_b64 s[14:15], s[6:7]
	s_cbranch_execz .LBB191_20
; %bb.17:
	v_mov_b32_e32 v9, 0x90
	v_lshl_add_u32 v13, v0, 2, v9
	s_mov_b64 s[28:29], 0
	v_mov_b32_e32 v9, 0
	v_mov_b32_e32 v14, v0
.LBB191_18:                             ; =>This Inner Loop Header: Depth=1
	ds_read_b32 v15, v13
	v_add_u32_e32 v14, 0x80, v14
	v_cmp_le_i32_e64 s[8:9], s30, v14
	s_or_b64 s[28:29], s[8:9], s[28:29]
	s_waitcnt lgkmcnt(0)
	v_sub_f32_e32 v15, v15, v12
	v_mul_f32_e32 v15, 0x3fb8aa3b, v15
	v_exp_f32_e32 v15, v15
	ds_write_b32 v13, v15
	v_add_f32_e32 v9, v9, v15
	v_add_u32_e32 v13, 0x200, v13
	s_andn2_b64 exec, exec, s[28:29]
	s_cbranch_execnz .LBB191_18
; %bb.19:
	s_or_b64 exec, exec, s[28:29]
.LBB191_20:
	s_or_b64 exec, exec, s[14:15]
	ds_bpermute_b32 v2, v2, v9
	s_waitcnt lgkmcnt(0)
	v_add_f32_e32 v2, v9, v2
	ds_bpermute_b32 v3, v3, v2
	s_waitcnt lgkmcnt(0)
	v_add_f32_e32 v2, v2, v3
	ds_bpermute_b32 v3, v6, v2
	v_xor_b32_e32 v6, 2, v18
	v_cmp_lt_i32_e64 s[8:9], v6, v19
	s_waitcnt lgkmcnt(0)
	v_add_f32_e32 v2, v2, v3
	ds_bpermute_b32 v3, v7, v2
	v_cndmask_b32_e64 v6, v18, v6, s[8:9]
	v_lshlrev_b32_e32 v25, 2, v6
	s_waitcnt lgkmcnt(0)
	v_add_f32_e32 v2, v2, v3
	ds_bpermute_b32 v3, v25, v2
	s_waitcnt lgkmcnt(0)
	v_add_f32_e32 v2, v2, v3
	ds_bpermute_b32 v3, v24, v2
	s_waitcnt lgkmcnt(0)
	v_add_f32_e32 v2, v2, v3
	s_and_saveexec_b64 s[8:9], vcc
	s_cbranch_execz .LBB191_22
; %bb.21:
	ds_write_b32 v4, v2 offset:136
.LBB191_22:
	s_or_b64 exec, exec, s[8:9]
	s_waitcnt lgkmcnt(0)
	s_barrier
	s_and_saveexec_b64 s[8:9], s[0:1]
	s_cbranch_execz .LBB191_24
; %bb.23:
	ds_read_b32 v2, v5 offset:136
.LBB191_24:
	s_or_b64 exec, exec, s[8:9]
	s_waitcnt lgkmcnt(0)
	ds_bpermute_b32 v3, v24, v2
	s_waitcnt lgkmcnt(0)
	v_add_f32_e32 v2, v2, v3
	ds_bpermute_b32 v2, v8, v2
	s_and_saveexec_b64 s[0:1], s[6:7]
	s_cbranch_execz .LBB191_37
; %bb.25:
	s_waitcnt lgkmcnt(0)
	v_add_f32_e32 v2, 0x358637bd, v2
	v_div_scale_f32 v3, s[6:7], v2, v2, 1.0
	v_rcp_f32_e32 v4, v3
	v_div_scale_f32 v5, vcc, 1.0, v2, 1.0
	s_movk_i32 s6, 0x7f
	v_fma_f32 v6, -v3, v4, 1.0
	v_fmac_f32_e32 v4, v6, v4
	v_mul_f32_e32 v6, v5, v4
	v_fma_f32 v7, -v3, v6, v5
	v_fmac_f32_e32 v6, v7, v4
	v_fma_f32 v3, -v3, v6, v5
	v_div_fmas_f32 v3, v3, v4, v6
	v_xad_u32 v4, v0, -1, s30
	v_div_fixup_f32 v2, v3, v2, 1.0
	v_cmp_lt_u32_e32 vcc, s6, v4
	s_mov_b64 s[8:9], -1
	v_mov_b32_e32 v3, v0
	s_and_saveexec_b64 s[6:7], vcc
	s_cbranch_execz .LBB191_34
; %bb.26:
	v_lshrrev_b32_e32 v4, 7, v4
	v_add_u32_e32 v6, -1, v4
	v_lshrrev_b32_e32 v5, 1, v6
	v_mov_b32_e32 v3, v2
	v_add_u32_e32 v5, 1, v5
	v_cmp_lt_u32_e32 vcc, 13, v6
	v_mov_b32_e32 v8, 0
	s_and_saveexec_b64 s[8:9], vcc
	s_cbranch_execz .LBB191_30
; %bb.27:
	v_mov_b32_e32 v7, 0x90
	v_and_b32_e32 v6, -8, v5
	v_lshl_add_u32 v7, v0, 2, v7
	s_mov_b32 s28, 0
	s_mov_b64 s[14:15], 0
.LBB191_28:                             ; =>This Inner Loop Header: Depth=1
	ds_read2st64_b32 v[8:9], v7 offset1:2
	ds_read2st64_b32 v[12:13], v7 offset0:4 offset1:6
	ds_read2st64_b32 v[14:15], v7 offset0:8 offset1:10
	;; [unrolled: 1-line block ×3, first 2 shown]
	v_add_u32_e32 v6, -8, v6
	s_waitcnt lgkmcnt(3)
	v_pk_mul_f32 v[8:9], v[2:3], v[8:9]
	s_waitcnt lgkmcnt(2)
	v_pk_mul_f32 v[12:13], v[2:3], v[12:13]
	ds_write2st64_b32 v7, v8, v9 offset1:2
	ds_write2st64_b32 v7, v12, v13 offset0:4 offset1:6
	ds_read2st64_b32 v[12:13], v7 offset0:16 offset1:18
	s_waitcnt lgkmcnt(4)
	v_pk_mul_f32 v[8:9], v[2:3], v[14:15]
	ds_write2st64_b32 v7, v8, v9 offset0:8 offset1:10
	s_waitcnt lgkmcnt(4)
	v_pk_mul_f32 v[8:9], v[2:3], v[18:19]
	ds_write2st64_b32 v7, v8, v9 offset0:12 offset1:14
	ds_read2st64_b32 v[8:9], v7 offset0:20 offset1:22
	s_waitcnt lgkmcnt(3)
	v_pk_mul_f32 v[12:13], v[2:3], v[12:13]
	ds_read2st64_b32 v[14:15], v7 offset0:24 offset1:26
	ds_write2st64_b32 v7, v12, v13 offset0:16 offset1:18
	ds_read2st64_b32 v[12:13], v7 offset0:28 offset1:30
	s_waitcnt lgkmcnt(3)
	v_pk_mul_f32 v[8:9], v[2:3], v[8:9]
	ds_write2st64_b32 v7, v8, v9 offset0:20 offset1:22
	s_waitcnt lgkmcnt(3)
	v_pk_mul_f32 v[8:9], v[2:3], v[14:15]
	ds_write2st64_b32 v7, v8, v9 offset0:24 offset1:26
	s_waitcnt lgkmcnt(2)
	v_pk_mul_f32 v[8:9], v[2:3], v[12:13]
	s_add_i32 s28, s28, 16
	v_cmp_eq_u32_e32 vcc, 0, v6
	ds_write2st64_b32 v7, v8, v9 offset0:28 offset1:30
	v_add_u32_e32 v7, 0x2000, v7
	s_or_b64 s[14:15], vcc, s[14:15]
	v_mov_b32_e32 v8, s28
	s_andn2_b64 exec, exec, s[14:15]
	s_cbranch_execnz .LBB191_28
; %bb.29:
	s_or_b64 exec, exec, s[14:15]
.LBB191_30:
	s_or_b64 exec, exec, s[8:9]
	v_and_b32_e32 v5, 7, v5
	v_cmp_ne_u32_e32 vcc, 0, v5
	s_and_saveexec_b64 s[8:9], vcc
	s_cbranch_execz .LBB191_33
; %bb.31:
	v_lshlrev_b32_e32 v6, 9, v8
	s_movk_i32 s14, 0x90
	v_add3_u32 v6, v6, v16, s14
	s_mov_b64 s[14:15], 0
.LBB191_32:                             ; =>This Inner Loop Header: Depth=1
	ds_read2st64_b32 v[8:9], v6 offset1:2
	v_add_u32_e32 v5, -1, v5
	v_cmp_eq_u32_e32 vcc, 0, v5
	s_or_b64 s[14:15], vcc, s[14:15]
	s_waitcnt lgkmcnt(0)
	v_pk_mul_f32 v[8:9], v[2:3], v[8:9]
	ds_write2st64_b32 v6, v8, v9 offset1:2
	v_add_u32_e32 v6, 0x400, v6
	s_andn2_b64 exec, exec, s[14:15]
	s_cbranch_execnz .LBB191_32
.LBB191_33:
	s_or_b64 exec, exec, s[8:9]
	v_add_u32_e32 v4, 1, v4
	v_and_b32_e32 v5, 0x3fffffe, v4
	v_cmp_ne_u32_e32 vcc, v4, v5
	v_lshl_add_u32 v3, v5, 7, v0
	s_orn2_b64 s[8:9], vcc, exec
.LBB191_34:
	s_or_b64 exec, exec, s[6:7]
	s_and_b64 exec, exec, s[8:9]
	s_cbranch_execz .LBB191_37
; %bb.35:
	v_mov_b32_e32 v4, 0x90
	v_lshl_add_u32 v4, v3, 2, v4
	s_mov_b64 s[6:7], 0
.LBB191_36:                             ; =>This Inner Loop Header: Depth=1
	ds_read_b32 v5, v4
	v_add_u32_e32 v3, 0x80, v3
	v_cmp_le_i32_e32 vcc, s30, v3
	s_or_b64 s[6:7], vcc, s[6:7]
	s_waitcnt lgkmcnt(0)
	v_mul_f32_e32 v5, v2, v5
	ds_write_b32 v4, v5
	v_add_u32_e32 v4, 0x200, v4
	s_andn2_b64 exec, exec, s[6:7]
	s_cbranch_execnz .LBB191_36
.LBB191_37:
	s_or_b64 exec, exec, s[0:1]
	v_mov_b32_e32 v7, 0
	v_mov_b32_e32 v6, 0
	s_waitcnt lgkmcnt(0)
	s_barrier
	s_and_saveexec_b64 s[6:7], s[2:3]
	s_cbranch_execz .LBB191_45
; %bb.38:
	s_ashr_i32 s1, s33, 31
	s_load_dword s2, s[10:11], 0x0
	s_add_u32 s0, s26, s33
	s_addc_u32 s1, s27, s1
	v_and_b32_e32 v6, 0xfc, v16
	v_mov_b32_e32 v7, 0
	v_and_b32_e32 v2, 12, v16
	s_add_i32 s14, s19, -1
	v_lshl_add_u64 v[8:9], s[0:1], 0, v[6:7]
	v_lshlrev_b32_e32 v3, 4, v23
	s_lshl_b64 s[0:1], s[24:25], 2
	v_or3_b32 v26, v3, v2, 3
	v_lshlrev_b32_e32 v2, 4, v10
	s_add_u32 s0, s22, s0
	v_lshl_or_b32 v2, v23, 6, v2
	v_and_b32_e32 v6, 60, v17
	s_addc_u32 s1, s23, s1
	s_waitcnt lgkmcnt(0)
	s_mov_b32 s3, s2
	v_add_u32_e32 v27, 0x90, v2
	v_lshl_add_u64 v[12:13], s[0:1], 0, v[6:7]
	s_mov_b64 s[8:9], 0
	v_mov_b32_e32 v6, v7
	s_branch .LBB191_40
.LBB191_39:                             ;   in Loop: Header=BB191_40 Depth=1
	s_or_b64 exec, exec, s[0:1]
	s_waitcnt lgkmcnt(0)
	v_mul_f32_e32 v17, v3, v17
	v_mul_f32_e32 v3, v3, v21
	v_fmac_f32_e32 v17, v2, v16
	v_fmac_f32_e32 v3, v2, v20
	;; [unrolled: 1-line block ×4, first 2 shown]
	v_add_u32_e32 v23, 2, v23
	v_fmac_f32_e32 v17, v5, v15
	v_fmac_f32_e32 v3, v5, v19
	v_cmp_le_i32_e32 vcc, s19, v23
	v_add_f32_e32 v6, v6, v17
	v_add_f32_e32 v7, v7, v3
	v_add_u32_e32 v26, 32, v26
	v_add_u32_e32 v27, 0x80, v27
	s_or_b64 s[8:9], vcc, s[8:9]
	v_lshl_add_u64 v[12:13], v[12:13], 0, 8
	s_andn2_b64 exec, exec, s[8:9]
	s_cbranch_execz .LBB191_44
.LBB191_40:                             ; =>This Inner Loop Header: Depth=1
	global_load_dword v2, v[12:13], off
	v_add_u32_e32 v28, -3, v26
	v_cmp_eq_u32_e32 vcc, s14, v23
	v_add_u32_e32 v29, -2, v26
	v_add_u32_e32 v30, -1, v26
	s_waitcnt vmcnt(0)
	v_mad_i64_i32 v[18:19], s[0:1], v2, s13, v[8:9]
	global_load_dword v14, v[18:19], off
	ds_read_b128 v[2:5], v27
	s_waitcnt vmcnt(0)
	v_and_b32_e32 v15, 0xffff, v14
	v_lshrrev_b32_e32 v16, 16, v14
	v_cvt_pk_f32_fp8_e32 v[14:15], v15
	v_cvt_pk_f32_fp8_e32 v[20:21], v16
	v_pk_mul_f32 v[16:17], s[2:3], v[14:15]
	v_pk_mul_f32 v[14:15], s[2:3], v[20:21]
	s_and_saveexec_b64 s[10:11], vcc
; %bb.41:                               ;   in Loop: Header=BB191_40 Depth=1
	v_cmp_gt_i32_e64 s[0:1], s17, v28
	s_nop 1
	v_cndmask_b32_e64 v16, 0, v16, s[0:1]
	v_cmp_gt_i32_e64 s[0:1], s17, v29
	s_nop 1
	v_cndmask_b32_e64 v17, 0, v17, s[0:1]
	;; [unrolled: 3-line block ×4, first 2 shown]
; %bb.42:                               ;   in Loop: Header=BB191_40 Depth=1
	s_or_b64 exec, exec, s[10:11]
	global_load_dword v18, v[18:19], off offset:256
	s_waitcnt vmcnt(0)
	v_and_b32_e32 v19, 0xffff, v18
	v_lshrrev_b32_e32 v20, 16, v18
	v_cvt_pk_f32_fp8_e32 v[18:19], v19
	v_cvt_pk_f32_fp8_e32 v[32:33], v20
	v_pk_mul_f32 v[20:21], s[2:3], v[18:19]
	v_pk_mul_f32 v[18:19], s[2:3], v[32:33]
	s_and_saveexec_b64 s[0:1], vcc
	s_cbranch_execz .LBB191_39
; %bb.43:                               ;   in Loop: Header=BB191_40 Depth=1
	v_cmp_gt_i32_e32 vcc, s17, v28
	s_nop 1
	v_cndmask_b32_e32 v20, 0, v20, vcc
	v_cmp_gt_i32_e32 vcc, s17, v29
	s_nop 1
	v_cndmask_b32_e32 v21, 0, v21, vcc
	;; [unrolled: 3-line block ×4, first 2 shown]
	s_branch .LBB191_39
.LBB191_44:
	s_or_b64 exec, exec, s[8:9]
.LBB191_45:
	s_or_b64 exec, exec, s[6:7]
	ds_bpermute_b32 v2, v25, v6
	ds_bpermute_b32 v3, v25, v7
	v_and_b32_e32 v4, 0x3c3, v0
	v_cmp_eq_u32_e32 vcc, 64, v4
	s_waitcnt lgkmcnt(0)
	s_barrier
	v_pk_add_f32 v[2:3], v[6:7], v[2:3]
	ds_bpermute_b32 v6, v24, v2
	ds_bpermute_b32 v7, v24, v3
	s_waitcnt lgkmcnt(0)
	v_pk_add_f32 v[2:3], v[2:3], v[6:7]
	s_and_saveexec_b64 s[0:1], vcc
	s_cbranch_execz .LBB191_47
; %bb.46:
	v_add_u32_e32 v6, 0x90, v11
	v_add_u32_e32 v5, 0x90, v0
	ds_write_b32 v6, v2
	ds_write_b32 v5, v3
.LBB191_47:
	s_or_b64 exec, exec, s[0:1]
	v_cmp_gt_u32_e32 vcc, 64, v0
	s_waitcnt lgkmcnt(0)
	s_barrier
	s_and_saveexec_b64 s[0:1], vcc
	s_cbranch_execz .LBB191_53
; %bb.48:
	v_cmp_eq_u32_e32 vcc, 0, v10
	s_and_saveexec_b64 s[2:3], vcc
	s_cbranch_execz .LBB191_50
; %bb.49:
	v_mov_b32_e32 v0, 0x90
	v_lshl_add_u32 v0, v22, 2, v0
	ds_read_b32 v0, v0
	s_waitcnt lgkmcnt(0)
	v_add_f32_e32 v2, v2, v0
.LBB191_50:
	s_or_b64 exec, exec, s[2:3]
	s_and_saveexec_b64 s[2:3], vcc
	s_cbranch_execz .LBB191_52
; %bb.51:
	v_mov_b32_e32 v0, 0x90
	v_lshl_add_u32 v0, v22, 2, v0
	ds_read_b32 v0, v0 offset:64
	s_waitcnt lgkmcnt(0)
	v_add_f32_e32 v3, v3, v0
.LBB191_52:
	s_or_b64 exec, exec, s[2:3]
.LBB191_53:
	s_or_b64 exec, exec, s[0:1]
	v_cmp_eq_u32_e32 vcc, 0, v4
	s_barrier
	s_and_saveexec_b64 s[0:1], vcc
	s_cbranch_execz .LBB191_55
; %bb.54:
	s_mul_i32 s0, s16, s12
	s_mul_i32 s0, s0, s5
	s_lshl_b32 s0, s0, 5
	s_ashr_i32 s1, s0, 31
	s_lshl_b64 s[0:1], s[0:1], 2
	s_add_u32 s2, s20, s0
	s_mul_i32 s0, s12, s18
	s_addc_u32 s3, s21, s1
	s_ashr_i32 s1, s0, 31
	s_lshl_b64 s[0:1], s[0:1], 2
	s_add_u32 s2, s2, s0
	s_addc_u32 s3, s3, s1
	s_lshl_b32 s0, s4, 5
	s_ashr_i32 s1, s0, 31
	s_lshl_b64 s[0:1], s[0:1], 2
	s_add_u32 s0, s2, s0
	s_addc_u32 s1, s3, s1
	global_store_dword v1, v2, s[0:1]
	global_store_dword v1, v3, s[0:1] offset:64
.LBB191_55:
	s_endpgm
	.section	.rodata,"a",@progbits
	.p2align	6, 0x0
	.amdhsa_kernel _ZN4vllm25paged_attention_v1_kernelIfhLi32ELi16ELi128ELNS_18Fp8KVCacheDataTypeE1ELb0EEEvPT_PKS2_PKT0_S8_ifPKiSA_iPKfiiiSC_SC_iiiii
		.amdhsa_group_segment_fixed_size 144
		.amdhsa_private_segment_fixed_size 0
		.amdhsa_kernarg_size 384
		.amdhsa_user_sgpr_count 2
		.amdhsa_user_sgpr_dispatch_ptr 0
		.amdhsa_user_sgpr_queue_ptr 0
		.amdhsa_user_sgpr_kernarg_segment_ptr 1
		.amdhsa_user_sgpr_dispatch_id 0
		.amdhsa_user_sgpr_kernarg_preload_length 0
		.amdhsa_user_sgpr_kernarg_preload_offset 0
		.amdhsa_user_sgpr_private_segment_size 0
		.amdhsa_uses_dynamic_stack 0
		.amdhsa_enable_private_segment 0
		.amdhsa_system_sgpr_workgroup_id_x 1
		.amdhsa_system_sgpr_workgroup_id_y 1
		.amdhsa_system_sgpr_workgroup_id_z 1
		.amdhsa_system_sgpr_workgroup_info 0
		.amdhsa_system_vgpr_workitem_id 0
		.amdhsa_next_free_vgpr 38
		.amdhsa_next_free_sgpr 37
		.amdhsa_accum_offset 40
		.amdhsa_reserve_vcc 1
		.amdhsa_float_round_mode_32 0
		.amdhsa_float_round_mode_16_64 0
		.amdhsa_float_denorm_mode_32 3
		.amdhsa_float_denorm_mode_16_64 3
		.amdhsa_dx10_clamp 1
		.amdhsa_ieee_mode 1
		.amdhsa_fp16_overflow 0
		.amdhsa_tg_split 0
		.amdhsa_exception_fp_ieee_invalid_op 0
		.amdhsa_exception_fp_denorm_src 0
		.amdhsa_exception_fp_ieee_div_zero 0
		.amdhsa_exception_fp_ieee_overflow 0
		.amdhsa_exception_fp_ieee_underflow 0
		.amdhsa_exception_fp_ieee_inexact 0
		.amdhsa_exception_int_div_zero 0
	.end_amdhsa_kernel
	.section	.text._ZN4vllm25paged_attention_v1_kernelIfhLi32ELi16ELi128ELNS_18Fp8KVCacheDataTypeE1ELb0EEEvPT_PKS2_PKT0_S8_ifPKiSA_iPKfiiiSC_SC_iiiii,"axG",@progbits,_ZN4vllm25paged_attention_v1_kernelIfhLi32ELi16ELi128ELNS_18Fp8KVCacheDataTypeE1ELb0EEEvPT_PKS2_PKT0_S8_ifPKiSA_iPKfiiiSC_SC_iiiii,comdat
.Lfunc_end191:
	.size	_ZN4vllm25paged_attention_v1_kernelIfhLi32ELi16ELi128ELNS_18Fp8KVCacheDataTypeE1ELb0EEEvPT_PKS2_PKT0_S8_ifPKiSA_iPKfiiiSC_SC_iiiii, .Lfunc_end191-_ZN4vllm25paged_attention_v1_kernelIfhLi32ELi16ELi128ELNS_18Fp8KVCacheDataTypeE1ELb0EEEvPT_PKS2_PKT0_S8_ifPKiSA_iPKfiiiSC_SC_iiiii
                                        ; -- End function
	.section	.AMDGPU.csdata,"",@progbits
; Kernel info:
; codeLenInByte = 3452
; NumSgprs: 43
; NumVgprs: 38
; NumAgprs: 0
; TotalNumVgprs: 38
; ScratchSize: 0
; MemoryBound: 0
; FloatMode: 240
; IeeeMode: 1
; LDSByteSize: 144 bytes/workgroup (compile time only)
; SGPRBlocks: 5
; VGPRBlocks: 4
; NumSGPRsForWavesPerEU: 43
; NumVGPRsForWavesPerEU: 38
; AccumOffset: 40
; Occupancy: 8
; WaveLimiterHint : 1
; COMPUTE_PGM_RSRC2:SCRATCH_EN: 0
; COMPUTE_PGM_RSRC2:USER_SGPR: 2
; COMPUTE_PGM_RSRC2:TRAP_HANDLER: 0
; COMPUTE_PGM_RSRC2:TGID_X_EN: 1
; COMPUTE_PGM_RSRC2:TGID_Y_EN: 1
; COMPUTE_PGM_RSRC2:TGID_Z_EN: 1
; COMPUTE_PGM_RSRC2:TIDIG_COMP_CNT: 0
; COMPUTE_PGM_RSRC3_GFX90A:ACCUM_OFFSET: 9
; COMPUTE_PGM_RSRC3_GFX90A:TG_SPLIT: 0
	.section	.text._ZN4vllm25paged_attention_v1_kernelIfhLi64ELi16ELi128ELNS_18Fp8KVCacheDataTypeE1ELb0EEEvPT_PKS2_PKT0_S8_ifPKiSA_iPKfiiiSC_SC_iiiii,"axG",@progbits,_ZN4vllm25paged_attention_v1_kernelIfhLi64ELi16ELi128ELNS_18Fp8KVCacheDataTypeE1ELb0EEEvPT_PKS2_PKT0_S8_ifPKiSA_iPKfiiiSC_SC_iiiii,comdat
	.protected	_ZN4vllm25paged_attention_v1_kernelIfhLi64ELi16ELi128ELNS_18Fp8KVCacheDataTypeE1ELb0EEEvPT_PKS2_PKT0_S8_ifPKiSA_iPKfiiiSC_SC_iiiii ; -- Begin function _ZN4vllm25paged_attention_v1_kernelIfhLi64ELi16ELi128ELNS_18Fp8KVCacheDataTypeE1ELb0EEEvPT_PKS2_PKT0_S8_ifPKiSA_iPKfiiiSC_SC_iiiii
	.globl	_ZN4vllm25paged_attention_v1_kernelIfhLi64ELi16ELi128ELNS_18Fp8KVCacheDataTypeE1ELb0EEEvPT_PKS2_PKT0_S8_ifPKiSA_iPKfiiiSC_SC_iiiii
	.p2align	8
	.type	_ZN4vllm25paged_attention_v1_kernelIfhLi64ELi16ELi128ELNS_18Fp8KVCacheDataTypeE1ELb0EEEvPT_PKS2_PKT0_S8_ifPKiSA_iPKfiiiSC_SC_iiiii,@function
_ZN4vllm25paged_attention_v1_kernelIfhLi64ELi16ELi128ELNS_18Fp8KVCacheDataTypeE1ELb0EEEvPT_PKS2_PKT0_S8_ifPKiSA_iPKfiiiSC_SC_iiiii: ; @_ZN4vllm25paged_attention_v1_kernelIfhLi64ELi16ELi128ELNS_18Fp8KVCacheDataTypeE1ELb0EEEvPT_PKS2_PKT0_S8_ifPKiSA_iPKfiiiSC_SC_iiiii
; %bb.0:
	s_load_dword s5, s[0:1], 0x80
	s_load_dwordx2 s[6:7], s[0:1], 0x30
	s_load_dwordx2 s[10:11], s[0:1], 0x20
	s_mov_b32 s20, s3
	s_ashr_i32 s21, s3, 31
	s_lshl_b64 s[8:9], s[20:21], 2
	s_waitcnt lgkmcnt(0)
	s_add_u32 s6, s6, s8
	s_addc_u32 s7, s7, s9
	s_abs_i32 s3, s10
	v_cvt_f32_u32_e32 v1, s3
	s_xor_b32 s8, s5, s10
	s_sub_i32 s10, 0, s3
	s_abs_i32 s9, s5
	v_rcp_iflag_f32_e32 v1, v1
	s_ashr_i32 s8, s8, 31
	v_mul_f32_e32 v1, 0x4f7ffffe, v1
	v_cvt_u32_f32_e32 v1, v1
	s_nop 0
	v_readfirstlane_b32 s12, v1
	s_mul_i32 s10, s10, s12
	s_mul_hi_u32 s10, s12, s10
	s_add_i32 s12, s12, s10
	s_mul_hi_u32 s10, s9, s12
	s_mul_i32 s12, s10, s3
	s_sub_i32 s9, s9, s12
	s_add_i32 s12, s10, 1
	s_sub_i32 s13, s9, s3
	s_cmp_ge_u32 s9, s3
	s_cselect_b32 s10, s12, s10
	s_cselect_b32 s9, s13, s9
	s_add_i32 s12, s10, 1
	s_cmp_ge_u32 s9, s3
	s_cselect_b32 s3, s12, s10
	s_xor_b32 s3, s3, s8
	s_sub_i32 s12, s3, s8
	s_abs_i32 s16, s12
	v_cvt_f32_u32_e32 v1, s16
	s_load_dwordx2 s[8:9], s[0:1], 0x40
	s_sub_i32 s3, 0, s16
	s_abs_i32 s17, s2
	v_rcp_iflag_f32_e32 v1, v1
	s_mov_b32 s10, 0
	v_mul_f32_e32 v1, 0x4f7ffffe, v1
	v_cvt_u32_f32_e32 v1, v1
	s_nop 0
	v_readfirstlane_b32 s13, v1
	s_mul_i32 s3, s3, s13
	s_mul_hi_u32 s3, s13, s3
	s_add_i32 s13, s13, s3
	s_waitcnt lgkmcnt(0)
	s_cmp_eq_u64 s[8:9], 0
	s_mul_hi_u32 s18, s17, s13
	s_cbranch_scc1 .LBB192_2
; %bb.1:
	s_ashr_i32 s3, s2, 31
	s_lshl_b64 s[14:15], s[2:3], 2
	s_add_u32 s8, s8, s14
	s_addc_u32 s9, s9, s15
	s_load_dword s10, s[8:9], 0x0
.LBB192_2:
	s_load_dword s33, s[6:7], 0x0
	s_ashr_i32 s7, s12, 31
	s_load_dwordx4 s[12:15], s[0:1], 0x48
	v_lshrrev_b32_e32 v32, 2, v0
	s_ashr_i32 s6, s2, 31
	v_and_b32_e32 v18, 3, v0
	s_lshl_b32 s22, s2, 6
	v_cmp_gt_u32_e64 s[8:9], 64, v0
	v_lshlrev_b32_e32 v24, 2, v0
	v_lshlrev_b32_e32 v1, 2, v32
	s_and_saveexec_b64 s[2:3], s[8:9]
	s_cbranch_execz .LBB192_4
; %bb.3:
	s_load_dwordx2 s[24:25], s[0:1], 0x8
	s_waitcnt lgkmcnt(0)
	s_mul_i32 s26, s20, s12
	s_ashr_i32 s27, s26, 31
	s_lshl_b64 s[26:27], s[26:27], 2
	v_lshl_add_u32 v3, v18, 6, v1
	s_add_u32 s12, s24, s26
	s_addc_u32 s15, s25, s27
	s_ashr_i32 s23, s22, 31
	s_lshl_b64 s[24:25], s[22:23], 2
	s_add_u32 s24, s12, s24
	s_addc_u32 s25, s15, s25
	global_load_dword v2, v24, s[24:25]
	s_waitcnt vmcnt(0)
	ds_write_b32 v3, v2
.LBB192_4:
	s_or_b64 exec, exec, s[2:3]
	s_waitcnt lgkmcnt(0)
	s_add_i32 s3, s33, 15
	s_ashr_i32 s12, s3, 31
	s_lshr_b32 s12, s12, 28
	s_add_i32 s3, s3, s12
	s_ashr_i32 s23, s3, 4
	s_xor_b32 s3, s6, s7
	s_mul_i32 s6, s18, s16
	s_sub_i32 s6, s17, s6
	s_add_i32 s7, s18, 1
	s_sub_i32 s12, s6, s16
	s_load_dwordx2 s[26:27], s[0:1], 0x28
	s_load_dword s2, s[0:1], 0x38
	s_cmp_ge_u32 s6, s16
	s_cselect_b32 s7, s7, s18
	s_cselect_b32 s6, s12, s6
	s_add_i32 s12, s7, 1
	s_cmp_ge_u32 s6, s16
	s_cselect_b32 s6, s12, s7
	v_lshrrev_b32_e32 v33, 6, v0
	s_xor_b32 s6, s6, s3
	s_waitcnt lgkmcnt(0)
	s_mul_i32 s28, s20, s2
	s_sub_i32 s12, s6, s3
	s_ashr_i32 s29, s28, 31
	v_cmp_gt_i32_e64 s[2:3], s23, v33
	v_cmp_le_i32_e32 vcc, s23, v33
	v_mbcnt_lo_u32_b32 v19, -1, 0
	s_barrier
	s_waitcnt lgkmcnt(0)
                                        ; implicit-def: $sgpr15
                                        ; implicit-def: $vgpr26
                                        ; implicit-def: $vgpr27
	s_and_saveexec_b64 s[6:7], vcc
	s_xor_b64 s[6:7], exec, s[6:7]
; %bb.5:
	v_mbcnt_hi_u32_b32 v26, -1, v19
	v_and_b32_e32 v2, 64, v26
	v_add_u32_e32 v27, 64, v2
	s_mov_b32 s15, 0xff7fffff
                                        ; implicit-def: $vgpr19
; %bb.6:
	s_or_saveexec_b64 s[34:35], s[6:7]
	s_load_dwordx2 s[24:25], s[0:1], 0x0
	s_load_dwordx2 s[30:31], s[0:1], 0x18
	s_load_dword s21, s[0:1], 0x88
	s_load_dwordx4 s[16:19], s[0:1], 0x58
	v_mov_b32_e32 v28, s15
	s_mul_i32 s12, s12, s14
	v_lshrrev_b32_e32 v25, 4, v0
	s_xor_b64 exec, exec, s[34:35]
	s_cbranch_execz .LBB192_12
; %bb.7:
	s_load_dwordx2 s[0:1], s[0:1], 0x10
	v_mbcnt_hi_u32_b32 v26, -1, v19
	v_lshlrev_b32_e32 v14, 6, v18
	v_and_b32_e32 v19, 64, v26
	s_ashr_i32 s6, s12, 31
	ds_read_b128 v[2:5], v14
	ds_read_b128 v[6:9], v14 offset:16
	ds_read_b128 v[10:13], v14 offset:32
	;; [unrolled: 1-line block ×3, first 2 shown]
	v_add_u32_e32 v27, 64, v19
	v_xor_b32_e32 v19, 2, v26
	v_bfe_u32 v28, v0, 2, 4
	s_waitcnt lgkmcnt(0)
	s_add_u32 s0, s0, s12
	v_cmp_lt_i32_e32 vcc, v19, v27
	v_lshlrev_b32_e32 v22, 4, v28
	s_addc_u32 s1, s1, s6
	v_mov_b32_e32 v23, 0
	v_cndmask_b32_e32 v19, v26, v19, vcc
	s_load_dword s37, s[16:17], 0x0
	v_lshl_add_u64 v[20:21], s[0:1], 0, v[22:23]
	v_lshlrev_b32_e32 v29, 2, v19
	v_xor_b32_e32 v19, 1, v26
	s_sub_i32 s38, 1, s33
	v_lshlrev_b32_e32 v22, 2, v28
	s_lshl_b64 s[6:7], s[28:29], 2
	v_cmp_lt_i32_e32 vcc, v19, v27
	v_lshl_or_b32 v22, v33, 6, v22
	s_add_u32 s6, s26, s6
	v_cndmask_b32_e32 v19, v26, v19, vcc
	v_add_u32_e32 v34, 0x110, v22
	v_and_b32_e32 v22, 60, v25
	s_addc_u32 s7, s27, s7
	s_mov_b32 s36, s13
	v_lshlrev_b32_e32 v30, 2, v19
	v_cmp_eq_u32_e32 vcc, 0, v18
	v_cmp_neq_f32_e64 s[0:1], s10, 0
	v_mov_b32_e32 v19, v23
	v_lshl_or_b32 v31, v33, 4, v28
	v_lshl_add_u64 v[22:23], s[6:7], 0, v[22:23]
	s_mov_b64 s[14:15], 0
	v_mov_b32_e32 v28, 0xff7fffff
	v_mov_b32_e32 v35, v33
	s_branch .LBB192_9
.LBB192_8:                              ;   in Loop: Header=BB192_9 Depth=1
	s_or_b64 exec, exec, s[16:17]
	v_add_u32_e32 v35, 2, v35
	v_cmp_le_i32_e64 s[6:7], s23, v35
	v_add_u32_e32 v31, 32, v31
	v_add_u32_e32 v34, 0x80, v34
	s_or_b64 s[14:15], s[6:7], s[14:15]
	v_lshl_add_u64 v[22:23], v[22:23], 0, 8
	s_andn2_b64 exec, exec, s[14:15]
	s_cbranch_execz .LBB192_11
.LBB192_9:                              ; =>This Inner Loop Header: Depth=1
	global_load_dword v36, v[22:23], off
	s_waitcnt vmcnt(0) lgkmcnt(0)
	v_mad_i64_i32 v[36:37], s[6:7], v36, s36, v[20:21]
	v_lshl_add_u64 v[36:37], v[36:37], 0, v[18:19]
	global_load_ubyte v38, v[36:37], off
	global_load_ubyte v39, v[36:37], off offset:4
	global_load_ubyte v40, v[36:37], off offset:8
	;; [unrolled: 1-line block ×14, first 2 shown]
	s_nop 0
	global_load_ubyte v36, v[36:37], off offset:780
	s_waitcnt vmcnt(15)
	v_cvt_f32_fp8_sdwa v37, v38 src0_sel:BYTE_0
	s_waitcnt vmcnt(14)
	v_cvt_f32_fp8_sdwa v38, v39 src0_sel:BYTE_0
	;; [unrolled: 2-line block ×5, first 2 shown]
	s_waitcnt lgkmcnt(0)
	v_mul_f32_e32 v38, s37, v38
	s_waitcnt vmcnt(10)
	v_cvt_f32_fp8_sdwa v42, v43 src0_sel:BYTE_0
	v_mul_f32_e32 v37, s37, v37
	v_mul_f32_e32 v38, v3, v38
	s_waitcnt vmcnt(9)
	v_cvt_f32_fp8_sdwa v43, v44 src0_sel:BYTE_0
	v_mul_f32_e32 v39, s37, v39
	v_fmac_f32_e32 v38, v2, v37
	s_waitcnt vmcnt(8)
	v_cvt_f32_fp8_sdwa v44, v45 src0_sel:BYTE_0
	v_mul_f32_e32 v40, s37, v40
	v_fmac_f32_e32 v38, v4, v39
	;; [unrolled: 4-line block ×10, first 2 shown]
	v_mul_f32_e32 v49, s37, v49
	v_fmac_f32_e32 v38, v13, v48
	v_mul_f32_e32 v50, s37, v50
	v_fmac_f32_e32 v38, v14, v49
	;; [unrolled: 2-line block ×4, first 2 shown]
	v_fmac_f32_e32 v38, v17, v36
	ds_bpermute_b32 v36, v29, v38
	s_waitcnt lgkmcnt(0)
	v_add_f32_e32 v36, v38, v36
	ds_bpermute_b32 v37, v30, v36
	s_and_saveexec_b64 s[16:17], vcc
	s_cbranch_execz .LBB192_8
; %bb.10:                               ;   in Loop: Header=BB192_9 Depth=1
	v_add_u32_e32 v38, s38, v31
	v_cvt_f32_i32_e32 v38, v38
	s_waitcnt lgkmcnt(0)
	v_add_f32_e32 v36, v36, v37
	v_cmp_gt_i32_e64 s[6:7], s33, v31
	v_max_f32_e32 v37, v28, v28
	v_mul_f32_e32 v38, s10, v38
	v_cndmask_b32_e64 v38, 0, v38, s[0:1]
	v_fmac_f32_e32 v38, s11, v36
	v_cndmask_b32_e64 v36, 0, v38, s[6:7]
	ds_write_b32 v34, v36
	v_max_f32_e32 v36, v37, v38
	v_cndmask_b32_e64 v28, v28, v36, s[6:7]
	s_branch .LBB192_8
.LBB192_11:
	s_or_b64 exec, exec, s[14:15]
.LBB192_12:
	s_or_b64 exec, exec, s[34:35]
	v_xor_b32_e32 v2, 32, v26
	v_cmp_lt_i32_e32 vcc, v2, v27
	v_xor_b32_e32 v5, 16, v26
	v_max_f32_e32 v4, v28, v28
	v_cndmask_b32_e32 v2, v26, v2, vcc
	v_lshlrev_b32_e32 v2, 2, v2
	ds_bpermute_b32 v3, v2, v28
	v_cmp_lt_i32_e32 vcc, v5, v27
	v_xor_b32_e32 v6, 8, v26
	v_xor_b32_e32 v7, 4, v26
	v_and_b32_e32 v19, 63, v0
	s_waitcnt lgkmcnt(0)
	v_max_f32_e32 v3, v3, v3
	v_max_f32_e32 v4, v4, v3
	v_cndmask_b32_e32 v3, v26, v5, vcc
	v_lshlrev_b32_e32 v3, 2, v3
	ds_bpermute_b32 v5, v3, v4
	v_cmp_lt_i32_e32 vcc, v6, v27
	s_waitcnt lgkmcnt(0)
	v_max_f32_e32 v5, v5, v5
	v_max_f32_e32 v4, v4, v5
	v_cndmask_b32_e32 v5, v26, v6, vcc
	v_lshlrev_b32_e32 v6, 2, v5
	ds_bpermute_b32 v5, v6, v4
	v_cmp_lt_i32_e32 vcc, v7, v27
	s_waitcnt lgkmcnt(0)
	v_max_f32_e32 v5, v5, v5
	v_max_f32_e32 v5, v4, v5
	v_cndmask_b32_e32 v4, v26, v7, vcc
	v_lshlrev_b32_e32 v7, 2, v4
	ds_bpermute_b32 v8, v7, v5
	v_cmp_eq_u32_e32 vcc, 0, v19
	v_lshlrev_b32_e32 v4, 2, v33
	s_and_saveexec_b64 s[0:1], vcc
	s_cbranch_execz .LBB192_14
; %bb.13:
	s_waitcnt lgkmcnt(0)
	v_max_f32_e32 v8, v8, v8
	v_max_f32_e32 v5, v5, v5
	;; [unrolled: 1-line block ×3, first 2 shown]
	ds_write_b32 v4, v5 offset:256
.LBB192_14:
	s_or_b64 exec, exec, s[0:1]
	v_cmp_gt_u32_e64 s[0:1], 2, v19
	s_waitcnt lgkmcnt(0)
	v_mov_b32_e32 v8, 0xff7fffff
	v_lshlrev_b32_e32 v5, 2, v19
	s_barrier
	s_and_saveexec_b64 s[6:7], s[0:1]
	s_cbranch_execz .LBB192_16
; %bb.15:
	ds_read_b32 v8, v5 offset:256
.LBB192_16:
	s_or_b64 exec, exec, s[6:7]
	v_xor_b32_e32 v9, 1, v26
	v_cmp_lt_i32_e64 s[6:7], v9, v27
	v_lshlrev_b32_e32 v10, 2, v26
	s_nop 0
	v_cndmask_b32_e64 v9, v26, v9, s[6:7]
	v_lshlrev_b32_e32 v34, 2, v9
	s_waitcnt lgkmcnt(0)
	ds_bpermute_b32 v9, v34, v8
	v_max_f32_e32 v8, v8, v8
	s_lshl_b32 s6, s23, 4
	s_min_i32 s34, s6, s33
	v_cmp_gt_i32_e64 s[6:7], s34, v0
	s_waitcnt lgkmcnt(0)
	v_max_f32_e32 v9, v9, v9
	v_max_f32_e32 v9, v8, v9
	v_and_b32_e32 v8, 0xffffff00, v10
	ds_bpermute_b32 v10, v8, v9
	v_mov_b32_e32 v9, 0
	s_and_saveexec_b64 s[14:15], s[6:7]
	s_cbranch_execz .LBB192_20
; %bb.17:
	v_mov_b32_e32 v9, 0x110
	v_lshl_add_u32 v11, v0, 2, v9
	s_mov_b64 s[16:17], 0
	v_mov_b32_e32 v9, 0
	v_mov_b32_e32 v12, v0
.LBB192_18:                             ; =>This Inner Loop Header: Depth=1
	ds_read_b32 v13, v11
	v_add_u32_e32 v12, 0x80, v12
	v_cmp_le_i32_e64 s[10:11], s34, v12
	s_or_b64 s[16:17], s[10:11], s[16:17]
	s_waitcnt lgkmcnt(0)
	v_sub_f32_e32 v13, v13, v10
	v_mul_f32_e32 v13, 0x3fb8aa3b, v13
	v_exp_f32_e32 v13, v13
	ds_write_b32 v11, v13
	v_add_f32_e32 v9, v9, v13
	v_add_u32_e32 v11, 0x200, v11
	s_andn2_b64 exec, exec, s[16:17]
	s_cbranch_execnz .LBB192_18
; %bb.19:
	s_or_b64 exec, exec, s[16:17]
.LBB192_20:
	s_or_b64 exec, exec, s[14:15]
	ds_bpermute_b32 v2, v2, v9
	s_waitcnt lgkmcnt(0)
	v_add_f32_e32 v2, v9, v2
	ds_bpermute_b32 v3, v3, v2
	s_waitcnt lgkmcnt(0)
	v_add_f32_e32 v2, v2, v3
	ds_bpermute_b32 v3, v6, v2
	v_xor_b32_e32 v6, 2, v26
	v_cmp_lt_i32_e64 s[10:11], v6, v27
	s_waitcnt lgkmcnt(0)
	v_add_f32_e32 v2, v2, v3
	ds_bpermute_b32 v3, v7, v2
	v_cndmask_b32_e64 v6, v26, v6, s[10:11]
	v_lshlrev_b32_e32 v35, 2, v6
	s_waitcnt lgkmcnt(0)
	v_add_f32_e32 v2, v2, v3
	ds_bpermute_b32 v3, v35, v2
	s_waitcnt lgkmcnt(0)
	v_add_f32_e32 v2, v2, v3
	ds_bpermute_b32 v3, v34, v2
	s_waitcnt lgkmcnt(0)
	v_add_f32_e32 v2, v2, v3
	s_and_saveexec_b64 s[10:11], vcc
	s_cbranch_execz .LBB192_22
; %bb.21:
	ds_write_b32 v4, v2 offset:264
.LBB192_22:
	s_or_b64 exec, exec, s[10:11]
	s_waitcnt lgkmcnt(0)
	s_barrier
	s_and_saveexec_b64 s[10:11], s[0:1]
	s_cbranch_execz .LBB192_24
; %bb.23:
	ds_read_b32 v2, v5 offset:264
.LBB192_24:
	s_or_b64 exec, exec, s[10:11]
	s_waitcnt lgkmcnt(0)
	ds_bpermute_b32 v3, v34, v2
	s_waitcnt lgkmcnt(0)
	v_add_f32_e32 v2, v2, v3
	ds_bpermute_b32 v2, v8, v2
	s_and_saveexec_b64 s[0:1], s[6:7]
	s_cbranch_execz .LBB192_37
; %bb.25:
	s_waitcnt lgkmcnt(0)
	v_add_f32_e32 v2, 0x358637bd, v2
	v_div_scale_f32 v3, s[6:7], v2, v2, 1.0
	v_rcp_f32_e32 v4, v3
	v_div_scale_f32 v5, vcc, 1.0, v2, 1.0
	s_movk_i32 s6, 0x7f
	v_fma_f32 v6, -v3, v4, 1.0
	v_fmac_f32_e32 v4, v6, v4
	v_mul_f32_e32 v6, v5, v4
	v_fma_f32 v7, -v3, v6, v5
	v_fmac_f32_e32 v6, v7, v4
	v_fma_f32 v3, -v3, v6, v5
	v_div_fmas_f32 v3, v3, v4, v6
	v_xad_u32 v4, v0, -1, s34
	v_div_fixup_f32 v2, v3, v2, 1.0
	v_cmp_lt_u32_e32 vcc, s6, v4
	s_mov_b64 s[10:11], -1
	v_mov_b32_e32 v3, v0
	s_and_saveexec_b64 s[6:7], vcc
	s_cbranch_execz .LBB192_34
; %bb.26:
	v_lshrrev_b32_e32 v4, 7, v4
	v_add_u32_e32 v6, -1, v4
	v_lshrrev_b32_e32 v5, 1, v6
	v_mov_b32_e32 v3, v2
	v_add_u32_e32 v5, 1, v5
	v_cmp_lt_u32_e32 vcc, 13, v6
	v_mov_b32_e32 v8, 0
	s_and_saveexec_b64 s[10:11], vcc
	s_cbranch_execz .LBB192_30
; %bb.27:
	v_mov_b32_e32 v7, 0x110
	v_and_b32_e32 v6, -8, v5
	v_lshl_add_u32 v7, v0, 2, v7
	s_mov_b32 s16, 0
	s_mov_b64 s[14:15], 0
.LBB192_28:                             ; =>This Inner Loop Header: Depth=1
	ds_read2st64_b32 v[8:9], v7 offset1:2
	ds_read2st64_b32 v[10:11], v7 offset0:4 offset1:6
	ds_read2st64_b32 v[12:13], v7 offset0:8 offset1:10
	;; [unrolled: 1-line block ×3, first 2 shown]
	v_add_u32_e32 v6, -8, v6
	s_waitcnt lgkmcnt(3)
	v_pk_mul_f32 v[8:9], v[2:3], v[8:9]
	s_waitcnt lgkmcnt(2)
	v_pk_mul_f32 v[10:11], v[2:3], v[10:11]
	ds_write2st64_b32 v7, v8, v9 offset1:2
	ds_write2st64_b32 v7, v10, v11 offset0:4 offset1:6
	ds_read2st64_b32 v[10:11], v7 offset0:16 offset1:18
	s_waitcnt lgkmcnt(4)
	v_pk_mul_f32 v[8:9], v[2:3], v[12:13]
	ds_write2st64_b32 v7, v8, v9 offset0:8 offset1:10
	s_waitcnt lgkmcnt(4)
	v_pk_mul_f32 v[8:9], v[2:3], v[14:15]
	ds_write2st64_b32 v7, v8, v9 offset0:12 offset1:14
	ds_read2st64_b32 v[8:9], v7 offset0:20 offset1:22
	s_waitcnt lgkmcnt(3)
	v_pk_mul_f32 v[10:11], v[2:3], v[10:11]
	ds_read2st64_b32 v[12:13], v7 offset0:24 offset1:26
	ds_write2st64_b32 v7, v10, v11 offset0:16 offset1:18
	ds_read2st64_b32 v[10:11], v7 offset0:28 offset1:30
	s_waitcnt lgkmcnt(3)
	v_pk_mul_f32 v[8:9], v[2:3], v[8:9]
	ds_write2st64_b32 v7, v8, v9 offset0:20 offset1:22
	s_waitcnt lgkmcnt(3)
	v_pk_mul_f32 v[8:9], v[2:3], v[12:13]
	ds_write2st64_b32 v7, v8, v9 offset0:24 offset1:26
	s_waitcnt lgkmcnt(2)
	v_pk_mul_f32 v[8:9], v[2:3], v[10:11]
	s_add_i32 s16, s16, 16
	v_cmp_eq_u32_e32 vcc, 0, v6
	ds_write2st64_b32 v7, v8, v9 offset0:28 offset1:30
	v_add_u32_e32 v7, 0x2000, v7
	s_or_b64 s[14:15], vcc, s[14:15]
	v_mov_b32_e32 v8, s16
	s_andn2_b64 exec, exec, s[14:15]
	s_cbranch_execnz .LBB192_28
; %bb.29:
	s_or_b64 exec, exec, s[14:15]
.LBB192_30:
	s_or_b64 exec, exec, s[10:11]
	v_and_b32_e32 v5, 7, v5
	v_cmp_ne_u32_e32 vcc, 0, v5
	s_and_saveexec_b64 s[10:11], vcc
	s_cbranch_execz .LBB192_33
; %bb.31:
	v_lshlrev_b32_e32 v6, 9, v8
	s_movk_i32 s14, 0x110
	v_add3_u32 v6, v6, v24, s14
	s_mov_b64 s[14:15], 0
.LBB192_32:                             ; =>This Inner Loop Header: Depth=1
	ds_read2st64_b32 v[8:9], v6 offset1:2
	v_add_u32_e32 v5, -1, v5
	v_cmp_eq_u32_e32 vcc, 0, v5
	s_or_b64 s[14:15], vcc, s[14:15]
	s_waitcnt lgkmcnt(0)
	v_pk_mul_f32 v[8:9], v[2:3], v[8:9]
	ds_write2st64_b32 v6, v8, v9 offset1:2
	v_add_u32_e32 v6, 0x400, v6
	s_andn2_b64 exec, exec, s[14:15]
	s_cbranch_execnz .LBB192_32
.LBB192_33:
	s_or_b64 exec, exec, s[10:11]
	v_add_u32_e32 v4, 1, v4
	v_and_b32_e32 v5, 0x3fffffe, v4
	v_cmp_ne_u32_e32 vcc, v4, v5
	v_lshl_add_u32 v3, v5, 7, v0
	s_orn2_b64 s[10:11], vcc, exec
.LBB192_34:
	s_or_b64 exec, exec, s[6:7]
	s_and_b64 exec, exec, s[10:11]
	s_cbranch_execz .LBB192_37
; %bb.35:
	v_mov_b32_e32 v4, 0x110
	v_lshl_add_u32 v4, v3, 2, v4
	s_mov_b64 s[6:7], 0
.LBB192_36:                             ; =>This Inner Loop Header: Depth=1
	ds_read_b32 v5, v4
	v_add_u32_e32 v3, 0x80, v3
	v_cmp_le_i32_e32 vcc, s34, v3
	s_or_b64 s[6:7], vcc, s[6:7]
	s_waitcnt lgkmcnt(0)
	v_mul_f32_e32 v5, v2, v5
	ds_write_b32 v4, v5
	v_add_u32_e32 v4, 0x200, v4
	s_andn2_b64 exec, exec, s[6:7]
	s_cbranch_execnz .LBB192_36
.LBB192_37:
	s_or_b64 exec, exec, s[0:1]
	v_mov_b32_e32 v9, 0
	v_mov_b32_e32 v8, 0
	;; [unrolled: 1-line block ×4, first 2 shown]
	s_waitcnt lgkmcnt(0)
	s_barrier
	s_and_saveexec_b64 s[6:7], s[2:3]
	s_cbranch_execz .LBB192_49
; %bb.38:
	s_ashr_i32 s1, s12, 31
	s_load_dword s2, s[18:19], 0x0
	s_add_u32 s0, s30, s12
	s_addc_u32 s1, s31, s1
	v_and_b32_e32 v6, 0xfc, v24
	v_mov_b32_e32 v7, 0
	v_and_b32_e32 v2, 12, v24
	s_add_i32 s15, s23, -1
	v_lshl_add_u64 v[10:11], s[0:1], 0, v[6:7]
	v_lshlrev_b32_e32 v3, 4, v33
	s_lshl_b64 s[0:1], s[28:29], 2
	v_or3_b32 v36, v3, v2, 3
	v_lshlrev_b32_e32 v2, 4, v18
	s_add_u32 s0, s26, s0
	v_lshl_or_b32 v2, v33, 6, v2
	v_and_b32_e32 v6, 60, v25
	s_addc_u32 s1, s27, s1
	s_mov_b32 s14, s13
	s_waitcnt lgkmcnt(0)
	s_mov_b32 s3, s2
	v_add_u32_e32 v37, 0x110, v2
	v_lshl_add_u64 v[12:13], s[0:1], 0, v[6:7]
	s_mov_b64 s[10:11], 0
	v_mov_b32_e32 v6, v7
	v_mov_b32_e32 v8, v7
	;; [unrolled: 1-line block ×3, first 2 shown]
	s_branch .LBB192_40
.LBB192_39:                             ;   in Loop: Header=BB192_40 Depth=1
	s_or_b64 exec, exec, s[0:1]
	s_waitcnt lgkmcnt(0)
	v_mul_f32_e32 v17, v3, v17
	v_fmac_f32_e32 v17, v2, v16
	v_fmac_f32_e32 v17, v4, v14
	v_mul_f32_e32 v14, v3, v25
	v_fmac_f32_e32 v14, v2, v24
	v_fmac_f32_e32 v14, v4, v22
	;; [unrolled: 1-line block ×3, first 2 shown]
	v_add_f32_e32 v7, v7, v14
	v_mul_f32_e32 v14, v3, v29
	v_mul_f32_e32 v3, v3, v31
	v_fmac_f32_e32 v14, v2, v28
	v_fmac_f32_e32 v3, v2, v30
	;; [unrolled: 1-line block ×4, first 2 shown]
	v_add_u32_e32 v33, 2, v33
	v_fmac_f32_e32 v17, v5, v15
	v_fmac_f32_e32 v14, v5, v27
	;; [unrolled: 1-line block ×3, first 2 shown]
	v_cmp_le_i32_e32 vcc, s23, v33
	v_add_f32_e32 v6, v6, v17
	v_add_f32_e32 v8, v8, v14
	;; [unrolled: 1-line block ×3, first 2 shown]
	v_add_u32_e32 v36, 32, v36
	v_add_u32_e32 v37, 0x80, v37
	s_or_b64 s[10:11], vcc, s[10:11]
	v_lshl_add_u64 v[12:13], v[12:13], 0, 8
	s_andn2_b64 exec, exec, s[10:11]
	s_cbranch_execz .LBB192_48
.LBB192_40:                             ; =>This Inner Loop Header: Depth=1
	global_load_dword v2, v[12:13], off
	v_add_u32_e32 v38, -3, v36
	v_cmp_eq_u32_e32 vcc, s15, v33
	v_add_u32_e32 v39, -2, v36
	v_add_u32_e32 v40, -1, v36
	s_waitcnt vmcnt(0)
	v_mad_i64_i32 v[20:21], s[0:1], v2, s14, v[10:11]
	global_load_dword v14, v[20:21], off
	ds_read_b128 v[2:5], v37
	s_waitcnt vmcnt(0)
	v_and_b32_e32 v15, 0xffff, v14
	v_lshrrev_b32_e32 v16, 16, v14
	v_cvt_pk_f32_fp8_e32 v[14:15], v15
	v_cvt_pk_f32_fp8_e32 v[22:23], v16
	v_pk_mul_f32 v[16:17], s[2:3], v[14:15]
	v_pk_mul_f32 v[14:15], s[2:3], v[22:23]
	s_and_saveexec_b64 s[12:13], vcc
; %bb.41:                               ;   in Loop: Header=BB192_40 Depth=1
	v_cmp_gt_i32_e64 s[0:1], s33, v38
	s_nop 1
	v_cndmask_b32_e64 v16, 0, v16, s[0:1]
	v_cmp_gt_i32_e64 s[0:1], s33, v39
	s_nop 1
	v_cndmask_b32_e64 v17, 0, v17, s[0:1]
	v_cmp_gt_i32_e64 s[0:1], s33, v40
	s_nop 1
	v_cndmask_b32_e64 v14, 0, v14, s[0:1]
	v_cmp_gt_i32_e64 s[0:1], s33, v36
	s_nop 1
	v_cndmask_b32_e64 v15, 0, v15, s[0:1]
; %bb.42:                               ;   in Loop: Header=BB192_40 Depth=1
	s_or_b64 exec, exec, s[12:13]
	global_load_dword v22, v[20:21], off offset:256
	s_waitcnt vmcnt(0)
	v_and_b32_e32 v23, 0xffff, v22
	v_lshrrev_b32_e32 v24, 16, v22
	v_cvt_pk_f32_fp8_e32 v[22:23], v23
	v_cvt_pk_f32_fp8_e32 v[26:27], v24
	v_pk_mul_f32 v[24:25], s[2:3], v[22:23]
	v_pk_mul_f32 v[22:23], s[2:3], v[26:27]
	s_and_saveexec_b64 s[12:13], vcc
; %bb.43:                               ;   in Loop: Header=BB192_40 Depth=1
	v_cmp_gt_i32_e64 s[0:1], s33, v38
	s_nop 1
	v_cndmask_b32_e64 v24, 0, v24, s[0:1]
	v_cmp_gt_i32_e64 s[0:1], s33, v39
	s_nop 1
	v_cndmask_b32_e64 v25, 0, v25, s[0:1]
	v_cmp_gt_i32_e64 s[0:1], s33, v40
	s_nop 1
	v_cndmask_b32_e64 v22, 0, v22, s[0:1]
	v_cmp_gt_i32_e64 s[0:1], s33, v36
	s_nop 1
	v_cndmask_b32_e64 v23, 0, v23, s[0:1]
; %bb.44:                               ;   in Loop: Header=BB192_40 Depth=1
	s_or_b64 exec, exec, s[12:13]
	global_load_dword v26, v[20:21], off offset:512
	;; [unrolled: 24-line block ×3, first 2 shown]
	s_waitcnt vmcnt(0)
	v_and_b32_e32 v21, 0xffff, v20
	v_lshrrev_b32_e32 v30, 16, v20
	v_cvt_pk_f32_fp8_e32 v[20:21], v21
	v_cvt_pk_f32_fp8_e32 v[42:43], v30
	v_pk_mul_f32 v[30:31], s[2:3], v[20:21]
	v_pk_mul_f32 v[20:21], s[2:3], v[42:43]
	s_and_saveexec_b64 s[0:1], vcc
	s_cbranch_execz .LBB192_39
; %bb.47:                               ;   in Loop: Header=BB192_40 Depth=1
	v_cmp_gt_i32_e32 vcc, s33, v38
	s_nop 1
	v_cndmask_b32_e32 v30, 0, v30, vcc
	v_cmp_gt_i32_e32 vcc, s33, v39
	s_nop 1
	v_cndmask_b32_e32 v31, 0, v31, vcc
	;; [unrolled: 3-line block ×4, first 2 shown]
	s_branch .LBB192_39
.LBB192_48:
	s_or_b64 exec, exec, s[10:11]
.LBB192_49:
	s_or_b64 exec, exec, s[6:7]
	ds_bpermute_b32 v2, v35, v6
	ds_bpermute_b32 v3, v35, v7
	;; [unrolled: 1-line block ×4, first 2 shown]
	v_and_b32_e32 v0, 0x3c3, v0
	v_cmp_eq_u32_e32 vcc, 64, v0
	s_waitcnt lgkmcnt(2)
	v_pk_add_f32 v[2:3], v[6:7], v[2:3]
	ds_bpermute_b32 v6, v34, v2
	s_waitcnt lgkmcnt(1)
	v_pk_add_f32 v[4:5], v[8:9], v[4:5]
	ds_bpermute_b32 v7, v34, v3
	ds_bpermute_b32 v8, v34, v4
	;; [unrolled: 1-line block ×3, first 2 shown]
	s_waitcnt lgkmcnt(0)
	s_barrier
	v_pk_add_f32 v[2:3], v[2:3], v[6:7]
	v_pk_add_f32 v[4:5], v[4:5], v[8:9]
	s_and_saveexec_b64 s[0:1], vcc
	s_cbranch_execz .LBB192_51
; %bb.50:
	v_add_u32_e32 v6, 0x110, v19
	ds_write2_b32 v6, v2, v3 offset1:16
	ds_write2_b32 v6, v4, v5 offset0:32 offset1:48
.LBB192_51:
	s_or_b64 exec, exec, s[0:1]
	s_waitcnt lgkmcnt(0)
	s_barrier
	s_and_saveexec_b64 s[0:1], s[8:9]
	s_cbranch_execz .LBB192_58
; %bb.52:
	v_cmp_eq_u32_e32 vcc, 0, v18
	s_and_saveexec_b64 s[2:3], vcc
	s_cbranch_execnz .LBB192_61
; %bb.53:
	s_or_b64 exec, exec, s[2:3]
	s_and_saveexec_b64 s[2:3], vcc
	s_cbranch_execnz .LBB192_62
.LBB192_54:
	s_or_b64 exec, exec, s[2:3]
	s_and_saveexec_b64 s[2:3], vcc
	s_cbranch_execnz .LBB192_63
.LBB192_55:
	s_or_b64 exec, exec, s[2:3]
	s_and_saveexec_b64 s[2:3], vcc
	s_cbranch_execz .LBB192_57
.LBB192_56:
	v_mov_b32_e32 v6, 0x110
	v_lshl_add_u32 v6, v32, 2, v6
	ds_read_b32 v6, v6 offset:192
	s_waitcnt lgkmcnt(0)
	v_add_f32_e32 v5, v5, v6
.LBB192_57:
	s_or_b64 exec, exec, s[2:3]
.LBB192_58:
	s_or_b64 exec, exec, s[0:1]
	v_cmp_eq_u32_e32 vcc, 0, v0
	s_barrier
	s_and_saveexec_b64 s[0:1], vcc
	s_cbranch_execz .LBB192_60
; %bb.59:
	s_mul_i32 s0, s20, s21
	s_mul_i32 s0, s0, s5
	s_lshl_b32 s0, s0, 6
	s_ashr_i32 s1, s0, 31
	s_lshl_b64 s[0:1], s[0:1], 2
	s_add_u32 s2, s24, s0
	s_mul_i32 s0, s21, s22
	s_addc_u32 s3, s25, s1
	s_ashr_i32 s1, s0, 31
	s_lshl_b64 s[0:1], s[0:1], 2
	s_add_u32 s2, s2, s0
	s_addc_u32 s3, s3, s1
	s_lshl_b32 s0, s4, 6
	s_ashr_i32 s1, s0, 31
	s_lshl_b64 s[0:1], s[0:1], 2
	s_add_u32 s0, s2, s0
	s_addc_u32 s1, s3, s1
	global_store_dword v1, v2, s[0:1]
	global_store_dword v1, v3, s[0:1] offset:64
	global_store_dword v1, v4, s[0:1] offset:128
	;; [unrolled: 1-line block ×3, first 2 shown]
.LBB192_60:
	s_endpgm
.LBB192_61:
	v_mov_b32_e32 v6, 0x110
	v_lshl_add_u32 v6, v32, 2, v6
	ds_read_b32 v6, v6
	s_waitcnt lgkmcnt(0)
	v_add_f32_e32 v2, v2, v6
	s_or_b64 exec, exec, s[2:3]
	s_and_saveexec_b64 s[2:3], vcc
	s_cbranch_execz .LBB192_54
.LBB192_62:
	v_mov_b32_e32 v6, 0x110
	v_lshl_add_u32 v6, v32, 2, v6
	ds_read_b32 v6, v6 offset:64
	s_waitcnt lgkmcnt(0)
	v_add_f32_e32 v3, v3, v6
	s_or_b64 exec, exec, s[2:3]
	s_and_saveexec_b64 s[2:3], vcc
	s_cbranch_execz .LBB192_55
.LBB192_63:
	v_mov_b32_e32 v6, 0x110
	v_lshl_add_u32 v6, v32, 2, v6
	ds_read_b32 v6, v6 offset:128
	s_waitcnt lgkmcnt(0)
	v_add_f32_e32 v4, v4, v6
	s_or_b64 exec, exec, s[2:3]
	s_and_saveexec_b64 s[2:3], vcc
	s_cbranch_execnz .LBB192_56
	s_branch .LBB192_57
	.section	.rodata,"a",@progbits
	.p2align	6, 0x0
	.amdhsa_kernel _ZN4vllm25paged_attention_v1_kernelIfhLi64ELi16ELi128ELNS_18Fp8KVCacheDataTypeE1ELb0EEEvPT_PKS2_PKT0_S8_ifPKiSA_iPKfiiiSC_SC_iiiii
		.amdhsa_group_segment_fixed_size 272
		.amdhsa_private_segment_fixed_size 0
		.amdhsa_kernarg_size 384
		.amdhsa_user_sgpr_count 2
		.amdhsa_user_sgpr_dispatch_ptr 0
		.amdhsa_user_sgpr_queue_ptr 0
		.amdhsa_user_sgpr_kernarg_segment_ptr 1
		.amdhsa_user_sgpr_dispatch_id 0
		.amdhsa_user_sgpr_kernarg_preload_length 0
		.amdhsa_user_sgpr_kernarg_preload_offset 0
		.amdhsa_user_sgpr_private_segment_size 0
		.amdhsa_uses_dynamic_stack 0
		.amdhsa_enable_private_segment 0
		.amdhsa_system_sgpr_workgroup_id_x 1
		.amdhsa_system_sgpr_workgroup_id_y 1
		.amdhsa_system_sgpr_workgroup_id_z 1
		.amdhsa_system_sgpr_workgroup_info 0
		.amdhsa_system_vgpr_workitem_id 0
		.amdhsa_next_free_vgpr 53
		.amdhsa_next_free_sgpr 39
		.amdhsa_accum_offset 56
		.amdhsa_reserve_vcc 1
		.amdhsa_float_round_mode_32 0
		.amdhsa_float_round_mode_16_64 0
		.amdhsa_float_denorm_mode_32 3
		.amdhsa_float_denorm_mode_16_64 3
		.amdhsa_dx10_clamp 1
		.amdhsa_ieee_mode 1
		.amdhsa_fp16_overflow 0
		.amdhsa_tg_split 0
		.amdhsa_exception_fp_ieee_invalid_op 0
		.amdhsa_exception_fp_denorm_src 0
		.amdhsa_exception_fp_ieee_div_zero 0
		.amdhsa_exception_fp_ieee_overflow 0
		.amdhsa_exception_fp_ieee_underflow 0
		.amdhsa_exception_fp_ieee_inexact 0
		.amdhsa_exception_int_div_zero 0
	.end_amdhsa_kernel
	.section	.text._ZN4vllm25paged_attention_v1_kernelIfhLi64ELi16ELi128ELNS_18Fp8KVCacheDataTypeE1ELb0EEEvPT_PKS2_PKT0_S8_ifPKiSA_iPKfiiiSC_SC_iiiii,"axG",@progbits,_ZN4vllm25paged_attention_v1_kernelIfhLi64ELi16ELi128ELNS_18Fp8KVCacheDataTypeE1ELb0EEEvPT_PKS2_PKT0_S8_ifPKiSA_iPKfiiiSC_SC_iiiii,comdat
.Lfunc_end192:
	.size	_ZN4vllm25paged_attention_v1_kernelIfhLi64ELi16ELi128ELNS_18Fp8KVCacheDataTypeE1ELb0EEEvPT_PKS2_PKT0_S8_ifPKiSA_iPKfiiiSC_SC_iiiii, .Lfunc_end192-_ZN4vllm25paged_attention_v1_kernelIfhLi64ELi16ELi128ELNS_18Fp8KVCacheDataTypeE1ELb0EEEvPT_PKS2_PKT0_S8_ifPKiSA_iPKfiiiSC_SC_iiiii
                                        ; -- End function
	.section	.AMDGPU.csdata,"",@progbits
; Kernel info:
; codeLenInByte = 4212
; NumSgprs: 45
; NumVgprs: 53
; NumAgprs: 0
; TotalNumVgprs: 53
; ScratchSize: 0
; MemoryBound: 0
; FloatMode: 240
; IeeeMode: 1
; LDSByteSize: 272 bytes/workgroup (compile time only)
; SGPRBlocks: 5
; VGPRBlocks: 6
; NumSGPRsForWavesPerEU: 45
; NumVGPRsForWavesPerEU: 53
; AccumOffset: 56
; Occupancy: 8
; WaveLimiterHint : 1
; COMPUTE_PGM_RSRC2:SCRATCH_EN: 0
; COMPUTE_PGM_RSRC2:USER_SGPR: 2
; COMPUTE_PGM_RSRC2:TRAP_HANDLER: 0
; COMPUTE_PGM_RSRC2:TGID_X_EN: 1
; COMPUTE_PGM_RSRC2:TGID_Y_EN: 1
; COMPUTE_PGM_RSRC2:TGID_Z_EN: 1
; COMPUTE_PGM_RSRC2:TIDIG_COMP_CNT: 0
; COMPUTE_PGM_RSRC3_GFX90A:ACCUM_OFFSET: 13
; COMPUTE_PGM_RSRC3_GFX90A:TG_SPLIT: 0
	.section	.text._ZN4vllm25paged_attention_v1_kernelIfhLi80ELi16ELi128ELNS_18Fp8KVCacheDataTypeE1ELb0EEEvPT_PKS2_PKT0_S8_ifPKiSA_iPKfiiiSC_SC_iiiii,"axG",@progbits,_ZN4vllm25paged_attention_v1_kernelIfhLi80ELi16ELi128ELNS_18Fp8KVCacheDataTypeE1ELb0EEEvPT_PKS2_PKT0_S8_ifPKiSA_iPKfiiiSC_SC_iiiii,comdat
	.protected	_ZN4vllm25paged_attention_v1_kernelIfhLi80ELi16ELi128ELNS_18Fp8KVCacheDataTypeE1ELb0EEEvPT_PKS2_PKT0_S8_ifPKiSA_iPKfiiiSC_SC_iiiii ; -- Begin function _ZN4vllm25paged_attention_v1_kernelIfhLi80ELi16ELi128ELNS_18Fp8KVCacheDataTypeE1ELb0EEEvPT_PKS2_PKT0_S8_ifPKiSA_iPKfiiiSC_SC_iiiii
	.globl	_ZN4vllm25paged_attention_v1_kernelIfhLi80ELi16ELi128ELNS_18Fp8KVCacheDataTypeE1ELb0EEEvPT_PKS2_PKT0_S8_ifPKiSA_iPKfiiiSC_SC_iiiii
	.p2align	8
	.type	_ZN4vllm25paged_attention_v1_kernelIfhLi80ELi16ELi128ELNS_18Fp8KVCacheDataTypeE1ELb0EEEvPT_PKS2_PKT0_S8_ifPKiSA_iPKfiiiSC_SC_iiiii,@function
_ZN4vllm25paged_attention_v1_kernelIfhLi80ELi16ELi128ELNS_18Fp8KVCacheDataTypeE1ELb0EEEvPT_PKS2_PKT0_S8_ifPKiSA_iPKfiiiSC_SC_iiiii: ; @_ZN4vllm25paged_attention_v1_kernelIfhLi80ELi16ELi128ELNS_18Fp8KVCacheDataTypeE1ELb0EEEvPT_PKS2_PKT0_S8_ifPKiSA_iPKfiiiSC_SC_iiiii
; %bb.0:
	s_load_dword s5, s[0:1], 0x80
	s_load_dwordx2 s[6:7], s[0:1], 0x30
	s_load_dwordx2 s[28:29], s[0:1], 0x20
	s_mov_b32 s16, s3
	s_ashr_i32 s17, s3, 31
	s_lshl_b64 s[8:9], s[16:17], 2
	s_waitcnt lgkmcnt(0)
	s_add_u32 s6, s6, s8
	s_addc_u32 s7, s7, s9
	s_abs_i32 s3, s28
	v_cvt_f32_u32_e32 v1, s3
	s_sub_i32 s10, 0, s3
	s_abs_i32 s9, s5
	s_xor_b32 s8, s5, s28
	v_rcp_iflag_f32_e32 v1, v1
	s_ashr_i32 s8, s8, 31
	s_mov_b32 s28, 0
	v_mul_f32_e32 v1, 0x4f7ffffe, v1
	v_cvt_u32_f32_e32 v1, v1
	s_nop 0
	v_readfirstlane_b32 s11, v1
	s_mul_i32 s10, s10, s11
	s_mul_hi_u32 s10, s11, s10
	s_add_i32 s11, s11, s10
	s_mul_hi_u32 s10, s9, s11
	s_mul_i32 s11, s10, s3
	s_sub_i32 s9, s9, s11
	s_add_i32 s11, s10, 1
	s_sub_i32 s12, s9, s3
	s_cmp_ge_u32 s9, s3
	s_cselect_b32 s10, s11, s10
	s_cselect_b32 s9, s12, s9
	s_add_i32 s11, s10, 1
	s_cmp_ge_u32 s9, s3
	s_cselect_b32 s3, s11, s10
	s_xor_b32 s3, s3, s8
	s_sub_i32 s12, s3, s8
	s_abs_i32 s10, s12
	v_cvt_f32_u32_e32 v1, s10
	s_load_dwordx2 s[8:9], s[0:1], 0x40
	s_sub_i32 s3, 0, s10
	s_abs_i32 s11, s2
	v_rcp_iflag_f32_e32 v1, v1
	s_nop 0
	v_mul_f32_e32 v1, 0x4f7ffffe, v1
	v_cvt_u32_f32_e32 v1, v1
	s_nop 0
	v_readfirstlane_b32 s13, v1
	s_mul_i32 s3, s3, s13
	s_mul_hi_u32 s3, s13, s3
	s_add_i32 s13, s13, s3
	s_waitcnt lgkmcnt(0)
	s_cmp_eq_u64 s[8:9], 0
	s_mul_hi_u32 s20, s11, s13
	s_cbranch_scc1 .LBB193_2
; %bb.1:
	s_ashr_i32 s3, s2, 31
	s_lshl_b64 s[14:15], s[2:3], 2
	s_add_u32 s8, s8, s14
	s_addc_u32 s9, s9, s15
	s_load_dword s28, s[8:9], 0x0
.LBB193_2:
	s_load_dword s17, s[6:7], 0x0
	s_ashr_i32 s7, s12, 31
	s_load_dwordx4 s[12:15], s[0:1], 0x48
	v_lshrrev_b32_e32 v36, 2, v0
	s_movk_i32 s8, 0x50
	s_ashr_i32 s6, s2, 31
	v_and_b32_e32 v22, 3, v0
	s_mul_i32 s18, s2, 0x50
	v_cmp_gt_u32_e32 vcc, s8, v0
	v_lshlrev_b32_e32 v28, 2, v0
	v_lshlrev_b32_e32 v1, 2, v36
	s_and_saveexec_b64 s[2:3], vcc
	s_cbranch_execz .LBB193_4
; %bb.3:
	s_load_dwordx2 s[22:23], s[0:1], 0x8
	s_waitcnt lgkmcnt(0)
	s_mul_i32 s24, s16, s12
	s_ashr_i32 s25, s24, 31
	s_lshl_b64 s[24:25], s[24:25], 2
	v_mad_u32_u24 v3, v22, s8, v1
	s_add_u32 s9, s22, s24
	s_addc_u32 s12, s23, s25
	s_ashr_i32 s19, s18, 31
	s_lshl_b64 s[22:23], s[18:19], 2
	s_add_u32 s22, s9, s22
	s_addc_u32 s23, s12, s23
	global_load_dword v2, v28, s[22:23]
	s_waitcnt vmcnt(0)
	ds_write_b32 v3, v2
.LBB193_4:
	s_or_b64 exec, exec, s[2:3]
	s_waitcnt lgkmcnt(0)
	s_add_i32 s3, s17, 15
	s_ashr_i32 s8, s3, 31
	s_lshr_b32 s8, s8, 28
	s_add_i32 s3, s3, s8
	s_ashr_i32 s19, s3, 4
	s_xor_b32 s3, s6, s7
	s_mul_i32 s6, s20, s10
	s_sub_i32 s6, s11, s6
	s_add_i32 s7, s20, 1
	s_sub_i32 s8, s6, s10
	s_load_dwordx2 s[22:23], s[0:1], 0x28
	s_load_dword s2, s[0:1], 0x38
	s_cmp_ge_u32 s6, s10
	s_cselect_b32 s7, s7, s20
	s_cselect_b32 s6, s8, s6
	s_add_i32 s8, s7, 1
	s_cmp_ge_u32 s6, s10
	s_cselect_b32 s6, s8, s7
	v_lshrrev_b32_e32 v37, 6, v0
	s_xor_b32 s6, s6, s3
	s_waitcnt lgkmcnt(0)
	s_mul_i32 s24, s16, s2
	s_sub_i32 s33, s6, s3
	s_ashr_i32 s25, s24, 31
	v_cmp_gt_i32_e64 s[6:7], s19, v37
	v_cmp_le_i32_e32 vcc, s19, v37
	v_mbcnt_lo_u32_b32 v23, -1, 0
	s_barrier
	s_waitcnt lgkmcnt(0)
                                        ; implicit-def: $sgpr15
                                        ; implicit-def: $vgpr30
                                        ; implicit-def: $vgpr31
	s_and_saveexec_b64 s[2:3], vcc
	s_xor_b64 s[2:3], exec, s[2:3]
; %bb.5:
	v_mbcnt_hi_u32_b32 v30, -1, v23
	v_and_b32_e32 v2, 64, v30
	v_add_u32_e32 v31, 64, v2
	s_mov_b32 s15, 0xff7fffff
                                        ; implicit-def: $vgpr23
; %bb.6:
	s_or_saveexec_b64 s[30:31], s[2:3]
	s_load_dwordx2 s[20:21], s[0:1], 0x0
	s_load_dwordx2 s[26:27], s[0:1], 0x18
	s_load_dword s12, s[0:1], 0x88
	s_load_dwordx4 s[8:11], s[0:1], 0x58
	v_mov_b32_e32 v32, s15
	s_mul_i32 s33, s33, s14
	v_lshrrev_b32_e32 v29, 4, v0
	s_xor_b64 exec, exec, s[30:31]
	s_cbranch_execz .LBB193_12
; %bb.7:
	s_load_dwordx2 s[0:1], s[0:1], 0x10
	v_mul_u32_u24_e32 v18, 0x50, v22
	v_mbcnt_hi_u32_b32 v30, -1, v23
	ds_read_b128 v[2:5], v18
	ds_read_b128 v[6:9], v18 offset:16
	ds_read_b128 v[10:13], v18 offset:32
	;; [unrolled: 1-line block ×4, first 2 shown]
	v_and_b32_e32 v23, 64, v30
	s_ashr_i32 s2, s33, 31
	v_add_u32_e32 v31, 64, v23
	v_xor_b32_e32 v23, 2, v30
	v_bfe_u32 v32, v0, 2, 4
	s_waitcnt lgkmcnt(0)
	s_add_u32 s0, s0, s33
	v_cmp_lt_i32_e32 vcc, v23, v31
	v_lshlrev_b32_e32 v26, 4, v32
	s_addc_u32 s1, s1, s2
	v_mov_b32_e32 v27, 0
	v_cndmask_b32_e32 v23, v30, v23, vcc
	s_load_dword s35, s[8:9], 0x0
	v_lshl_add_u64 v[24:25], s[0:1], 0, v[26:27]
	v_lshlrev_b32_e32 v33, 2, v23
	v_xor_b32_e32 v23, 1, v30
	s_sub_i32 s36, 1, s17
	v_lshlrev_b32_e32 v26, 2, v32
	s_lshl_b64 s[0:1], s[24:25], 2
	v_cmp_lt_i32_e32 vcc, v23, v31
	v_lshl_or_b32 v26, v37, 6, v26
	s_add_u32 s0, s22, s0
	v_cndmask_b32_e32 v23, v30, v23, vcc
	v_add_u32_e32 v38, 0x150, v26
	v_and_b32_e32 v26, 60, v29
	s_addc_u32 s1, s23, s1
	s_mov_b32 s34, s13
	v_lshlrev_b32_e32 v34, 2, v23
	v_cmp_eq_u32_e32 vcc, 0, v22
	v_cmp_neq_f32_e64 s[2:3], s28, 0
	v_mov_b32_e32 v23, v27
	v_lshl_or_b32 v35, v37, 4, v32
	v_lshl_add_u64 v[26:27], s[0:1], 0, v[26:27]
	s_mov_b64 s[8:9], 0
	v_mov_b32_e32 v32, 0xff7fffff
	v_mov_b32_e32 v39, v37
	s_branch .LBB193_9
.LBB193_8:                              ;   in Loop: Header=BB193_9 Depth=1
	s_or_b64 exec, exec, s[14:15]
	v_add_u32_e32 v39, 2, v39
	v_cmp_le_i32_e64 s[0:1], s19, v39
	v_add_u32_e32 v35, 32, v35
	v_add_u32_e32 v38, 0x80, v38
	s_or_b64 s[8:9], s[0:1], s[8:9]
	v_lshl_add_u64 v[26:27], v[26:27], 0, 8
	s_andn2_b64 exec, exec, s[8:9]
	s_cbranch_execz .LBB193_11
.LBB193_9:                              ; =>This Inner Loop Header: Depth=1
	global_load_dword v40, v[26:27], off
	s_waitcnt vmcnt(0) lgkmcnt(0)
	v_mad_i64_i32 v[40:41], s[0:1], v40, s34, v[24:25]
	v_lshl_add_u64 v[40:41], v[40:41], 0, v[22:23]
	global_load_ubyte v42, v[40:41], off
	global_load_ubyte v43, v[40:41], off offset:4
	global_load_ubyte v44, v[40:41], off offset:8
	;; [unrolled: 1-line block ×19, first 2 shown]
	s_waitcnt vmcnt(19)
	v_cvt_f32_fp8_sdwa v40, v42 src0_sel:BYTE_0
	s_waitcnt vmcnt(18)
	v_cvt_f32_fp8_sdwa v41, v43 src0_sel:BYTE_0
	s_waitcnt vmcnt(17)
	v_cvt_f32_fp8_sdwa v42, v44 src0_sel:BYTE_0
	s_waitcnt vmcnt(16)
	v_cvt_f32_fp8_sdwa v43, v45 src0_sel:BYTE_0
	s_waitcnt vmcnt(15)
	v_cvt_f32_fp8_sdwa v44, v46 src0_sel:BYTE_0
	s_waitcnt lgkmcnt(0)
	v_mul_f32_e32 v41, s35, v41
	s_waitcnt vmcnt(14)
	v_cvt_f32_fp8_sdwa v45, v47 src0_sel:BYTE_0
	v_mul_f32_e32 v40, s35, v40
	v_mul_f32_e32 v41, v3, v41
	s_waitcnt vmcnt(13)
	v_cvt_f32_fp8_sdwa v46, v48 src0_sel:BYTE_0
	v_mul_f32_e32 v42, s35, v42
	v_fmac_f32_e32 v41, v2, v40
	s_waitcnt vmcnt(12)
	v_cvt_f32_fp8_sdwa v47, v49 src0_sel:BYTE_0
	v_mul_f32_e32 v43, s35, v43
	v_fmac_f32_e32 v41, v4, v42
	;; [unrolled: 4-line block ×14, first 2 shown]
	v_mul_f32_e32 v56, s35, v56
	v_fmac_f32_e32 v41, v17, v55
	v_mul_f32_e32 v57, s35, v57
	v_fmac_f32_e32 v41, v18, v56
	;; [unrolled: 2-line block ×4, first 2 shown]
	v_fmac_f32_e32 v41, v21, v59
	ds_bpermute_b32 v40, v33, v41
	s_waitcnt lgkmcnt(0)
	v_add_f32_e32 v40, v41, v40
	ds_bpermute_b32 v41, v34, v40
	s_and_saveexec_b64 s[14:15], vcc
	s_cbranch_execz .LBB193_8
; %bb.10:                               ;   in Loop: Header=BB193_9 Depth=1
	v_add_u32_e32 v42, s36, v35
	v_cvt_f32_i32_e32 v42, v42
	s_waitcnt lgkmcnt(0)
	v_add_f32_e32 v40, v40, v41
	v_cmp_gt_i32_e64 s[0:1], s17, v35
	v_max_f32_e32 v41, v32, v32
	v_mul_f32_e32 v42, s28, v42
	v_cndmask_b32_e64 v42, 0, v42, s[2:3]
	v_fmac_f32_e32 v42, s29, v40
	v_cndmask_b32_e64 v40, 0, v42, s[0:1]
	ds_write_b32 v38, v40
	v_max_f32_e32 v40, v41, v42
	v_cndmask_b32_e64 v32, v32, v40, s[0:1]
	s_branch .LBB193_8
.LBB193_11:
	s_or_b64 exec, exec, s[8:9]
.LBB193_12:
	s_or_b64 exec, exec, s[30:31]
	v_xor_b32_e32 v2, 32, v30
	v_cmp_lt_i32_e32 vcc, v2, v31
	v_xor_b32_e32 v5, 16, v30
	v_max_f32_e32 v4, v32, v32
	v_cndmask_b32_e32 v2, v30, v2, vcc
	v_lshlrev_b32_e32 v2, 2, v2
	ds_bpermute_b32 v3, v2, v32
	v_cmp_lt_i32_e32 vcc, v5, v31
	v_xor_b32_e32 v6, 8, v30
	v_xor_b32_e32 v7, 4, v30
	v_and_b32_e32 v23, 63, v0
	s_waitcnt lgkmcnt(0)
	v_max_f32_e32 v3, v3, v3
	v_max_f32_e32 v4, v4, v3
	v_cndmask_b32_e32 v3, v30, v5, vcc
	v_lshlrev_b32_e32 v3, 2, v3
	ds_bpermute_b32 v5, v3, v4
	v_cmp_lt_i32_e32 vcc, v6, v31
	s_waitcnt lgkmcnt(0)
	v_max_f32_e32 v5, v5, v5
	v_max_f32_e32 v4, v4, v5
	v_cndmask_b32_e32 v5, v30, v6, vcc
	v_lshlrev_b32_e32 v6, 2, v5
	ds_bpermute_b32 v5, v6, v4
	v_cmp_lt_i32_e32 vcc, v7, v31
	s_waitcnt lgkmcnt(0)
	v_max_f32_e32 v5, v5, v5
	v_max_f32_e32 v5, v4, v5
	v_cndmask_b32_e32 v4, v30, v7, vcc
	v_lshlrev_b32_e32 v7, 2, v4
	ds_bpermute_b32 v8, v7, v5
	v_cmp_eq_u32_e32 vcc, 0, v23
	v_lshlrev_b32_e32 v4, 2, v37
	s_and_saveexec_b64 s[0:1], vcc
	s_cbranch_execz .LBB193_14
; %bb.13:
	s_waitcnt lgkmcnt(0)
	v_max_f32_e32 v8, v8, v8
	v_max_f32_e32 v5, v5, v5
	;; [unrolled: 1-line block ×3, first 2 shown]
	ds_write_b32 v4, v5 offset:320
.LBB193_14:
	s_or_b64 exec, exec, s[0:1]
	v_cmp_gt_u32_e64 s[0:1], 2, v23
	s_waitcnt lgkmcnt(0)
	v_mov_b32_e32 v8, 0xff7fffff
	v_lshlrev_b32_e32 v5, 2, v23
	s_barrier
	s_and_saveexec_b64 s[2:3], s[0:1]
	s_cbranch_execz .LBB193_16
; %bb.15:
	ds_read_b32 v8, v5 offset:320
.LBB193_16:
	s_or_b64 exec, exec, s[2:3]
	v_xor_b32_e32 v9, 1, v30
	v_cmp_lt_i32_e64 s[2:3], v9, v31
	v_lshlrev_b32_e32 v10, 2, v30
	s_nop 0
	v_cndmask_b32_e64 v9, v30, v9, s[2:3]
	v_lshlrev_b32_e32 v38, 2, v9
	s_waitcnt lgkmcnt(0)
	ds_bpermute_b32 v9, v38, v8
	v_max_f32_e32 v8, v8, v8
	s_lshl_b32 s2, s19, 4
	s_min_i32 s30, s2, s17
	v_cmp_gt_i32_e64 s[2:3], s30, v0
	s_waitcnt lgkmcnt(0)
	v_max_f32_e32 v9, v9, v9
	v_max_f32_e32 v9, v8, v9
	v_and_b32_e32 v8, 0xffffff00, v10
	ds_bpermute_b32 v10, v8, v9
	v_mov_b32_e32 v9, 0
	s_and_saveexec_b64 s[14:15], s[2:3]
	s_cbranch_execz .LBB193_20
; %bb.17:
	v_mov_b32_e32 v9, 0x150
	v_lshl_add_u32 v11, v0, 2, v9
	s_mov_b64 s[28:29], 0
	v_mov_b32_e32 v9, 0
	v_mov_b32_e32 v12, v0
.LBB193_18:                             ; =>This Inner Loop Header: Depth=1
	ds_read_b32 v13, v11
	v_add_u32_e32 v12, 0x80, v12
	v_cmp_le_i32_e64 s[8:9], s30, v12
	s_or_b64 s[28:29], s[8:9], s[28:29]
	s_waitcnt lgkmcnt(0)
	v_sub_f32_e32 v13, v13, v10
	v_mul_f32_e32 v13, 0x3fb8aa3b, v13
	v_exp_f32_e32 v13, v13
	ds_write_b32 v11, v13
	v_add_f32_e32 v9, v9, v13
	v_add_u32_e32 v11, 0x200, v11
	s_andn2_b64 exec, exec, s[28:29]
	s_cbranch_execnz .LBB193_18
; %bb.19:
	s_or_b64 exec, exec, s[28:29]
.LBB193_20:
	s_or_b64 exec, exec, s[14:15]
	ds_bpermute_b32 v2, v2, v9
	s_waitcnt lgkmcnt(0)
	v_add_f32_e32 v2, v9, v2
	ds_bpermute_b32 v3, v3, v2
	s_waitcnt lgkmcnt(0)
	v_add_f32_e32 v2, v2, v3
	ds_bpermute_b32 v3, v6, v2
	v_xor_b32_e32 v6, 2, v30
	v_cmp_lt_i32_e64 s[8:9], v6, v31
	s_waitcnt lgkmcnt(0)
	v_add_f32_e32 v2, v2, v3
	ds_bpermute_b32 v3, v7, v2
	v_cndmask_b32_e64 v6, v30, v6, s[8:9]
	v_lshlrev_b32_e32 v39, 2, v6
	s_waitcnt lgkmcnt(0)
	v_add_f32_e32 v2, v2, v3
	ds_bpermute_b32 v3, v39, v2
	s_waitcnt lgkmcnt(0)
	v_add_f32_e32 v2, v2, v3
	ds_bpermute_b32 v3, v38, v2
	s_waitcnt lgkmcnt(0)
	v_add_f32_e32 v2, v2, v3
	s_and_saveexec_b64 s[8:9], vcc
	s_cbranch_execz .LBB193_22
; %bb.21:
	ds_write_b32 v4, v2 offset:328
.LBB193_22:
	s_or_b64 exec, exec, s[8:9]
	s_waitcnt lgkmcnt(0)
	s_barrier
	s_and_saveexec_b64 s[8:9], s[0:1]
	s_cbranch_execz .LBB193_24
; %bb.23:
	ds_read_b32 v2, v5 offset:328
.LBB193_24:
	s_or_b64 exec, exec, s[8:9]
	s_waitcnt lgkmcnt(0)
	ds_bpermute_b32 v3, v38, v2
	s_waitcnt lgkmcnt(0)
	v_add_f32_e32 v2, v2, v3
	ds_bpermute_b32 v2, v8, v2
	s_and_saveexec_b64 s[0:1], s[2:3]
	s_cbranch_execz .LBB193_37
; %bb.25:
	s_waitcnt lgkmcnt(0)
	v_add_f32_e32 v2, 0x358637bd, v2
	v_div_scale_f32 v3, s[2:3], v2, v2, 1.0
	v_rcp_f32_e32 v4, v3
	v_div_scale_f32 v5, vcc, 1.0, v2, 1.0
	s_movk_i32 s2, 0x7f
	v_fma_f32 v6, -v3, v4, 1.0
	v_fmac_f32_e32 v4, v6, v4
	v_mul_f32_e32 v6, v5, v4
	v_fma_f32 v7, -v3, v6, v5
	v_fmac_f32_e32 v6, v7, v4
	v_fma_f32 v3, -v3, v6, v5
	v_div_fmas_f32 v3, v3, v4, v6
	v_xad_u32 v4, v0, -1, s30
	v_div_fixup_f32 v2, v3, v2, 1.0
	v_cmp_lt_u32_e32 vcc, s2, v4
	s_mov_b64 s[8:9], -1
	v_mov_b32_e32 v3, v0
	s_and_saveexec_b64 s[2:3], vcc
	s_cbranch_execz .LBB193_34
; %bb.26:
	v_lshrrev_b32_e32 v4, 7, v4
	v_add_u32_e32 v6, -1, v4
	v_lshrrev_b32_e32 v5, 1, v6
	v_mov_b32_e32 v3, v2
	v_add_u32_e32 v5, 1, v5
	v_cmp_lt_u32_e32 vcc, 13, v6
	v_mov_b32_e32 v8, 0
	s_and_saveexec_b64 s[8:9], vcc
	s_cbranch_execz .LBB193_30
; %bb.27:
	v_mov_b32_e32 v7, 0x150
	v_and_b32_e32 v6, -8, v5
	v_lshl_add_u32 v7, v0, 2, v7
	s_mov_b32 s28, 0
	s_mov_b64 s[14:15], 0
.LBB193_28:                             ; =>This Inner Loop Header: Depth=1
	ds_read2st64_b32 v[8:9], v7 offset1:2
	ds_read2st64_b32 v[10:11], v7 offset0:4 offset1:6
	ds_read2st64_b32 v[12:13], v7 offset0:8 offset1:10
	;; [unrolled: 1-line block ×3, first 2 shown]
	v_add_u32_e32 v6, -8, v6
	s_waitcnt lgkmcnt(3)
	v_pk_mul_f32 v[8:9], v[2:3], v[8:9]
	s_waitcnt lgkmcnt(2)
	v_pk_mul_f32 v[10:11], v[2:3], v[10:11]
	ds_write2st64_b32 v7, v8, v9 offset1:2
	ds_write2st64_b32 v7, v10, v11 offset0:4 offset1:6
	ds_read2st64_b32 v[10:11], v7 offset0:16 offset1:18
	s_waitcnt lgkmcnt(4)
	v_pk_mul_f32 v[8:9], v[2:3], v[12:13]
	ds_write2st64_b32 v7, v8, v9 offset0:8 offset1:10
	s_waitcnt lgkmcnt(4)
	v_pk_mul_f32 v[8:9], v[2:3], v[14:15]
	ds_write2st64_b32 v7, v8, v9 offset0:12 offset1:14
	ds_read2st64_b32 v[8:9], v7 offset0:20 offset1:22
	s_waitcnt lgkmcnt(3)
	v_pk_mul_f32 v[10:11], v[2:3], v[10:11]
	ds_read2st64_b32 v[12:13], v7 offset0:24 offset1:26
	ds_write2st64_b32 v7, v10, v11 offset0:16 offset1:18
	ds_read2st64_b32 v[10:11], v7 offset0:28 offset1:30
	s_waitcnt lgkmcnt(3)
	v_pk_mul_f32 v[8:9], v[2:3], v[8:9]
	ds_write2st64_b32 v7, v8, v9 offset0:20 offset1:22
	s_waitcnt lgkmcnt(3)
	v_pk_mul_f32 v[8:9], v[2:3], v[12:13]
	ds_write2st64_b32 v7, v8, v9 offset0:24 offset1:26
	s_waitcnt lgkmcnt(2)
	v_pk_mul_f32 v[8:9], v[2:3], v[10:11]
	s_add_i32 s28, s28, 16
	v_cmp_eq_u32_e32 vcc, 0, v6
	ds_write2st64_b32 v7, v8, v9 offset0:28 offset1:30
	v_add_u32_e32 v7, 0x2000, v7
	s_or_b64 s[14:15], vcc, s[14:15]
	v_mov_b32_e32 v8, s28
	s_andn2_b64 exec, exec, s[14:15]
	s_cbranch_execnz .LBB193_28
; %bb.29:
	s_or_b64 exec, exec, s[14:15]
.LBB193_30:
	s_or_b64 exec, exec, s[8:9]
	v_and_b32_e32 v5, 7, v5
	v_cmp_ne_u32_e32 vcc, 0, v5
	s_and_saveexec_b64 s[8:9], vcc
	s_cbranch_execz .LBB193_33
; %bb.31:
	v_lshlrev_b32_e32 v6, 9, v8
	s_movk_i32 s14, 0x150
	v_add3_u32 v6, v6, v28, s14
	s_mov_b64 s[14:15], 0
.LBB193_32:                             ; =>This Inner Loop Header: Depth=1
	ds_read2st64_b32 v[8:9], v6 offset1:2
	v_add_u32_e32 v5, -1, v5
	v_cmp_eq_u32_e32 vcc, 0, v5
	s_or_b64 s[14:15], vcc, s[14:15]
	s_waitcnt lgkmcnt(0)
	v_pk_mul_f32 v[8:9], v[2:3], v[8:9]
	ds_write2st64_b32 v6, v8, v9 offset1:2
	v_add_u32_e32 v6, 0x400, v6
	s_andn2_b64 exec, exec, s[14:15]
	s_cbranch_execnz .LBB193_32
.LBB193_33:
	s_or_b64 exec, exec, s[8:9]
	v_add_u32_e32 v4, 1, v4
	v_and_b32_e32 v5, 0x3fffffe, v4
	v_cmp_ne_u32_e32 vcc, v4, v5
	v_lshl_add_u32 v3, v5, 7, v0
	s_orn2_b64 s[8:9], vcc, exec
.LBB193_34:
	s_or_b64 exec, exec, s[2:3]
	s_and_b64 exec, exec, s[8:9]
	s_cbranch_execz .LBB193_37
; %bb.35:
	v_mov_b32_e32 v4, 0x150
	v_lshl_add_u32 v4, v3, 2, v4
	s_mov_b64 s[2:3], 0
.LBB193_36:                             ; =>This Inner Loop Header: Depth=1
	ds_read_b32 v5, v4
	v_add_u32_e32 v3, 0x80, v3
	v_cmp_le_i32_e32 vcc, s30, v3
	s_or_b64 s[2:3], vcc, s[2:3]
	s_waitcnt lgkmcnt(0)
	v_mul_f32_e32 v5, v2, v5
	ds_write_b32 v4, v5
	v_add_u32_e32 v4, 0x200, v4
	s_andn2_b64 exec, exec, s[2:3]
	s_cbranch_execnz .LBB193_36
.LBB193_37:
	s_or_b64 exec, exec, s[0:1]
	v_mov_b32_e32 v40, 0
	v_mov_b32_e32 v9, 0
	;; [unrolled: 1-line block ×5, first 2 shown]
	s_waitcnt lgkmcnt(0)
	s_barrier
	s_and_saveexec_b64 s[2:3], s[6:7]
	s_cbranch_execz .LBB193_51
; %bb.38:
	s_ashr_i32 s1, s33, 31
	s_load_dword s6, s[10:11], 0x0
	s_add_u32 s0, s26, s33
	s_addc_u32 s1, s27, s1
	v_and_b32_e32 v6, 0xfc, v28
	v_mov_b32_e32 v7, 0
	v_and_b32_e32 v2, 12, v28
	s_add_i32 s14, s19, -1
	v_lshl_add_u64 v[10:11], s[0:1], 0, v[6:7]
	v_lshlrev_b32_e32 v3, 4, v37
	s_lshl_b64 s[0:1], s[24:25], 2
	v_or3_b32 v41, v3, v2, 3
	v_lshlrev_b32_e32 v2, 4, v22
	s_add_u32 s0, s22, s0
	v_lshl_or_b32 v2, v37, 6, v2
	v_and_b32_e32 v6, 60, v29
	s_addc_u32 s1, s23, s1
	s_waitcnt lgkmcnt(0)
	s_mov_b32 s7, s6
	v_add_u32_e32 v42, 0x150, v2
	v_lshl_add_u64 v[12:13], s[0:1], 0, v[6:7]
	s_mov_b64 s[8:9], 0
	v_mov_b32_e32 v6, v7
	v_mov_b32_e32 v8, v7
	;; [unrolled: 1-line block ×4, first 2 shown]
	s_branch .LBB193_40
.LBB193_39:                             ;   in Loop: Header=BB193_40 Depth=1
	s_or_b64 exec, exec, s[0:1]
	s_waitcnt lgkmcnt(0)
	v_mul_f32_e32 v17, v3, v17
	v_fmac_f32_e32 v17, v2, v16
	v_fmac_f32_e32 v17, v4, v14
	v_mul_f32_e32 v14, v3, v25
	v_fmac_f32_e32 v14, v2, v24
	v_fmac_f32_e32 v14, v4, v20
	;; [unrolled: 1-line block ×3, first 2 shown]
	v_add_f32_e32 v7, v7, v14
	v_mul_f32_e32 v14, v3, v29
	v_fmac_f32_e32 v14, v2, v28
	v_fmac_f32_e32 v14, v4, v26
	;; [unrolled: 1-line block ×3, first 2 shown]
	v_add_f32_e32 v8, v8, v14
	v_mul_f32_e32 v14, v3, v33
	v_mul_f32_e32 v3, v3, v35
	v_fmac_f32_e32 v14, v2, v32
	v_fmac_f32_e32 v3, v2, v34
	;; [unrolled: 1-line block ×4, first 2 shown]
	v_add_u32_e32 v37, 2, v37
	v_fmac_f32_e32 v17, v5, v15
	v_fmac_f32_e32 v14, v5, v31
	;; [unrolled: 1-line block ×3, first 2 shown]
	v_cmp_le_i32_e32 vcc, s19, v37
	v_add_f32_e32 v6, v6, v17
	v_add_f32_e32 v9, v9, v14
	;; [unrolled: 1-line block ×3, first 2 shown]
	v_add_u32_e32 v41, 32, v41
	v_add_u32_e32 v42, 0x80, v42
	s_or_b64 s[8:9], vcc, s[8:9]
	v_lshl_add_u64 v[12:13], v[12:13], 0, 8
	s_andn2_b64 exec, exec, s[8:9]
	s_cbranch_execz .LBB193_50
.LBB193_40:                             ; =>This Inner Loop Header: Depth=1
	global_load_dword v2, v[12:13], off
	v_add_u32_e32 v43, -3, v41
	v_cmp_eq_u32_e32 vcc, s14, v37
	v_add_u32_e32 v44, -2, v41
	v_add_u32_e32 v45, -1, v41
	s_waitcnt vmcnt(0)
	v_mad_i64_i32 v[18:19], s[0:1], v2, s13, v[10:11]
	global_load_dword v14, v[18:19], off
	ds_read_b128 v[2:5], v42
	s_waitcnt vmcnt(0)
	v_and_b32_e32 v15, 0xffff, v14
	v_lshrrev_b32_e32 v16, 16, v14
	v_cvt_pk_f32_fp8_e32 v[14:15], v15
	v_cvt_pk_f32_fp8_e32 v[20:21], v16
	v_pk_mul_f32 v[16:17], s[6:7], v[14:15]
	v_pk_mul_f32 v[14:15], s[6:7], v[20:21]
	s_and_saveexec_b64 s[10:11], vcc
; %bb.41:                               ;   in Loop: Header=BB193_40 Depth=1
	v_cmp_gt_i32_e64 s[0:1], s17, v43
	s_nop 1
	v_cndmask_b32_e64 v16, 0, v16, s[0:1]
	v_cmp_gt_i32_e64 s[0:1], s17, v44
	s_nop 1
	v_cndmask_b32_e64 v17, 0, v17, s[0:1]
	v_cmp_gt_i32_e64 s[0:1], s17, v45
	s_nop 1
	v_cndmask_b32_e64 v14, 0, v14, s[0:1]
	v_cmp_gt_i32_e64 s[0:1], s17, v41
	s_nop 1
	v_cndmask_b32_e64 v15, 0, v15, s[0:1]
; %bb.42:                               ;   in Loop: Header=BB193_40 Depth=1
	s_or_b64 exec, exec, s[10:11]
	global_load_dword v20, v[18:19], off offset:256
	s_waitcnt vmcnt(0)
	v_and_b32_e32 v21, 0xffff, v20
	v_lshrrev_b32_e32 v24, 16, v20
	v_cvt_pk_f32_fp8_e32 v[20:21], v21
	v_cvt_pk_f32_fp8_e32 v[26:27], v24
	v_pk_mul_f32 v[24:25], s[6:7], v[20:21]
	v_pk_mul_f32 v[20:21], s[6:7], v[26:27]
	s_and_saveexec_b64 s[10:11], vcc
; %bb.43:                               ;   in Loop: Header=BB193_40 Depth=1
	v_cmp_gt_i32_e64 s[0:1], s17, v43
	s_nop 1
	v_cndmask_b32_e64 v24, 0, v24, s[0:1]
	v_cmp_gt_i32_e64 s[0:1], s17, v44
	s_nop 1
	v_cndmask_b32_e64 v25, 0, v25, s[0:1]
	v_cmp_gt_i32_e64 s[0:1], s17, v45
	s_nop 1
	v_cndmask_b32_e64 v20, 0, v20, s[0:1]
	v_cmp_gt_i32_e64 s[0:1], s17, v41
	s_nop 1
	v_cndmask_b32_e64 v21, 0, v21, s[0:1]
; %bb.44:                               ;   in Loop: Header=BB193_40 Depth=1
	s_or_b64 exec, exec, s[10:11]
	global_load_dword v26, v[18:19], off offset:512
	;; [unrolled: 24-line block ×4, first 2 shown]
	s_waitcnt vmcnt(0)
	v_and_b32_e32 v19, 0xffff, v18
	v_lshrrev_b32_e32 v34, 16, v18
	v_cvt_pk_f32_fp8_e32 v[18:19], v19
	v_cvt_pk_f32_fp8_e32 v[46:47], v34
	v_pk_mul_f32 v[34:35], s[6:7], v[18:19]
	v_pk_mul_f32 v[18:19], s[6:7], v[46:47]
	s_and_saveexec_b64 s[0:1], vcc
	s_cbranch_execz .LBB193_39
; %bb.49:                               ;   in Loop: Header=BB193_40 Depth=1
	v_cmp_gt_i32_e32 vcc, s17, v43
	s_nop 1
	v_cndmask_b32_e32 v34, 0, v34, vcc
	v_cmp_gt_i32_e32 vcc, s17, v44
	s_nop 1
	v_cndmask_b32_e32 v35, 0, v35, vcc
	;; [unrolled: 3-line block ×4, first 2 shown]
	s_branch .LBB193_39
.LBB193_50:
	s_or_b64 exec, exec, s[8:9]
.LBB193_51:
	s_or_b64 exec, exec, s[2:3]
	ds_bpermute_b32 v2, v39, v6
	ds_bpermute_b32 v3, v39, v7
	;; [unrolled: 1-line block ×5, first 2 shown]
	s_waitcnt lgkmcnt(0)
	v_pk_add_f32 v[2:3], v[6:7], v[2:3]
	ds_bpermute_b32 v6, v38, v2
	v_pk_add_f32 v[4:5], v[8:9], v[4:5]
	ds_bpermute_b32 v7, v38, v3
	ds_bpermute_b32 v8, v38, v4
	;; [unrolled: 1-line block ×3, first 2 shown]
	v_add_f32_e32 v10, v40, v10
	ds_bpermute_b32 v11, v38, v10
	s_waitcnt lgkmcnt(3)
	v_pk_add_f32 v[6:7], v[2:3], v[6:7]
	s_barrier
	s_waitcnt lgkmcnt(1)
	v_pk_add_f32 v[2:3], v[4:5], v[8:9]
	v_and_b32_e32 v5, 0x3c3, v0
	s_waitcnt lgkmcnt(0)
	v_add_f32_e32 v4, v10, v11
	v_cmp_eq_u32_e32 vcc, 64, v5
	s_and_saveexec_b64 s[0:1], vcc
	s_cbranch_execz .LBB193_53
; %bb.52:
	v_add_u32_e32 v8, 0x150, v23
	ds_write2_b32 v8, v6, v7 offset1:16
	ds_write2_b32 v8, v2, v3 offset0:32 offset1:48
	ds_write_b32 v8, v4 offset:256
.LBB193_53:
	s_or_b64 exec, exec, s[0:1]
	v_cmp_gt_u32_e32 vcc, 64, v0
	s_waitcnt lgkmcnt(0)
	s_barrier
	s_and_saveexec_b64 s[0:1], vcc
	s_cbranch_execz .LBB193_61
; %bb.54:
	v_cmp_eq_u32_e32 vcc, 0, v22
	s_and_saveexec_b64 s[2:3], vcc
	s_cbranch_execnz .LBB193_64
; %bb.55:
	s_or_b64 exec, exec, s[2:3]
	s_and_saveexec_b64 s[2:3], vcc
	s_cbranch_execnz .LBB193_65
.LBB193_56:
	s_or_b64 exec, exec, s[2:3]
	s_and_saveexec_b64 s[2:3], vcc
	s_cbranch_execnz .LBB193_66
.LBB193_57:
	s_or_b64 exec, exec, s[2:3]
	s_and_saveexec_b64 s[2:3], vcc
	s_cbranch_execnz .LBB193_67
.LBB193_58:
	s_or_b64 exec, exec, s[2:3]
	s_and_saveexec_b64 s[2:3], vcc
	s_cbranch_execz .LBB193_60
.LBB193_59:
	v_mov_b32_e32 v0, 0x150
	v_lshl_add_u32 v0, v36, 2, v0
	ds_read_b32 v0, v0 offset:256
	s_waitcnt lgkmcnt(0)
	v_add_f32_e32 v4, v4, v0
.LBB193_60:
	s_or_b64 exec, exec, s[2:3]
.LBB193_61:
	s_or_b64 exec, exec, s[0:1]
	v_cmp_eq_u32_e32 vcc, 0, v5
	s_barrier
	s_and_saveexec_b64 s[0:1], vcc
	s_cbranch_execz .LBB193_63
; %bb.62:
	s_mul_i32 s0, s16, s12
	s_mul_i32 s0, s0, s5
	s_mulk_i32 s0, 0x50
	s_ashr_i32 s1, s0, 31
	s_lshl_b64 s[0:1], s[0:1], 2
	s_add_u32 s2, s20, s0
	s_mul_i32 s0, s12, s18
	s_addc_u32 s3, s21, s1
	s_ashr_i32 s1, s0, 31
	s_lshl_b64 s[0:1], s[0:1], 2
	s_add_u32 s2, s2, s0
	s_mul_i32 s0, s4, 0x50
	s_addc_u32 s3, s3, s1
	s_ashr_i32 s1, s0, 31
	s_lshl_b64 s[0:1], s[0:1], 2
	s_add_u32 s0, s2, s0
	s_addc_u32 s1, s3, s1
	global_store_dword v1, v6, s[0:1]
	global_store_dword v1, v7, s[0:1] offset:64
	global_store_dword v1, v2, s[0:1] offset:128
	;; [unrolled: 1-line block ×4, first 2 shown]
.LBB193_63:
	s_endpgm
.LBB193_64:
	v_mov_b32_e32 v0, 0x150
	v_lshl_add_u32 v0, v36, 2, v0
	ds_read_b32 v0, v0
	s_waitcnt lgkmcnt(0)
	v_add_f32_e32 v6, v6, v0
	s_or_b64 exec, exec, s[2:3]
	s_and_saveexec_b64 s[2:3], vcc
	s_cbranch_execz .LBB193_56
.LBB193_65:
	v_mov_b32_e32 v0, 0x150
	v_lshl_add_u32 v0, v36, 2, v0
	ds_read_b32 v0, v0 offset:64
	s_waitcnt lgkmcnt(0)
	v_add_f32_e32 v7, v7, v0
	s_or_b64 exec, exec, s[2:3]
	s_and_saveexec_b64 s[2:3], vcc
	s_cbranch_execz .LBB193_57
.LBB193_66:
	v_mov_b32_e32 v0, 0x150
	v_lshl_add_u32 v0, v36, 2, v0
	ds_read_b32 v0, v0 offset:128
	s_waitcnt lgkmcnt(0)
	v_add_f32_e32 v2, v2, v0
	s_or_b64 exec, exec, s[2:3]
	s_and_saveexec_b64 s[2:3], vcc
	s_cbranch_execz .LBB193_58
.LBB193_67:
	v_mov_b32_e32 v0, 0x150
	v_lshl_add_u32 v0, v36, 2, v0
	ds_read_b32 v0, v0 offset:192
	s_waitcnt lgkmcnt(0)
	v_add_f32_e32 v3, v3, v0
	s_or_b64 exec, exec, s[2:3]
	s_and_saveexec_b64 s[2:3], vcc
	s_cbranch_execnz .LBB193_59
	s_branch .LBB193_60
	.section	.rodata,"a",@progbits
	.p2align	6, 0x0
	.amdhsa_kernel _ZN4vllm25paged_attention_v1_kernelIfhLi80ELi16ELi128ELNS_18Fp8KVCacheDataTypeE1ELb0EEEvPT_PKS2_PKT0_S8_ifPKiSA_iPKfiiiSC_SC_iiiii
		.amdhsa_group_segment_fixed_size 336
		.amdhsa_private_segment_fixed_size 0
		.amdhsa_kernarg_size 384
		.amdhsa_user_sgpr_count 2
		.amdhsa_user_sgpr_dispatch_ptr 0
		.amdhsa_user_sgpr_queue_ptr 0
		.amdhsa_user_sgpr_kernarg_segment_ptr 1
		.amdhsa_user_sgpr_dispatch_id 0
		.amdhsa_user_sgpr_kernarg_preload_length 0
		.amdhsa_user_sgpr_kernarg_preload_offset 0
		.amdhsa_user_sgpr_private_segment_size 0
		.amdhsa_uses_dynamic_stack 0
		.amdhsa_enable_private_segment 0
		.amdhsa_system_sgpr_workgroup_id_x 1
		.amdhsa_system_sgpr_workgroup_id_y 1
		.amdhsa_system_sgpr_workgroup_id_z 1
		.amdhsa_system_sgpr_workgroup_info 0
		.amdhsa_system_vgpr_workitem_id 0
		.amdhsa_next_free_vgpr 62
		.amdhsa_next_free_sgpr 37
		.amdhsa_accum_offset 64
		.amdhsa_reserve_vcc 1
		.amdhsa_float_round_mode_32 0
		.amdhsa_float_round_mode_16_64 0
		.amdhsa_float_denorm_mode_32 3
		.amdhsa_float_denorm_mode_16_64 3
		.amdhsa_dx10_clamp 1
		.amdhsa_ieee_mode 1
		.amdhsa_fp16_overflow 0
		.amdhsa_tg_split 0
		.amdhsa_exception_fp_ieee_invalid_op 0
		.amdhsa_exception_fp_denorm_src 0
		.amdhsa_exception_fp_ieee_div_zero 0
		.amdhsa_exception_fp_ieee_overflow 0
		.amdhsa_exception_fp_ieee_underflow 0
		.amdhsa_exception_fp_ieee_inexact 0
		.amdhsa_exception_int_div_zero 0
	.end_amdhsa_kernel
	.section	.text._ZN4vllm25paged_attention_v1_kernelIfhLi80ELi16ELi128ELNS_18Fp8KVCacheDataTypeE1ELb0EEEvPT_PKS2_PKT0_S8_ifPKiSA_iPKfiiiSC_SC_iiiii,"axG",@progbits,_ZN4vllm25paged_attention_v1_kernelIfhLi80ELi16ELi128ELNS_18Fp8KVCacheDataTypeE1ELb0EEEvPT_PKS2_PKT0_S8_ifPKiSA_iPKfiiiSC_SC_iiiii,comdat
.Lfunc_end193:
	.size	_ZN4vllm25paged_attention_v1_kernelIfhLi80ELi16ELi128ELNS_18Fp8KVCacheDataTypeE1ELb0EEEvPT_PKS2_PKT0_S8_ifPKiSA_iPKfiiiSC_SC_iiiii, .Lfunc_end193-_ZN4vllm25paged_attention_v1_kernelIfhLi80ELi16ELi128ELNS_18Fp8KVCacheDataTypeE1ELb0EEEvPT_PKS2_PKT0_S8_ifPKiSA_iPKfiiiSC_SC_iiiii
                                        ; -- End function
	.section	.AMDGPU.csdata,"",@progbits
; Kernel info:
; codeLenInByte = 4608
; NumSgprs: 43
; NumVgprs: 62
; NumAgprs: 0
; TotalNumVgprs: 62
; ScratchSize: 0
; MemoryBound: 0
; FloatMode: 240
; IeeeMode: 1
; LDSByteSize: 336 bytes/workgroup (compile time only)
; SGPRBlocks: 5
; VGPRBlocks: 7
; NumSGPRsForWavesPerEU: 43
; NumVGPRsForWavesPerEU: 62
; AccumOffset: 64
; Occupancy: 8
; WaveLimiterHint : 1
; COMPUTE_PGM_RSRC2:SCRATCH_EN: 0
; COMPUTE_PGM_RSRC2:USER_SGPR: 2
; COMPUTE_PGM_RSRC2:TRAP_HANDLER: 0
; COMPUTE_PGM_RSRC2:TGID_X_EN: 1
; COMPUTE_PGM_RSRC2:TGID_Y_EN: 1
; COMPUTE_PGM_RSRC2:TGID_Z_EN: 1
; COMPUTE_PGM_RSRC2:TIDIG_COMP_CNT: 0
; COMPUTE_PGM_RSRC3_GFX90A:ACCUM_OFFSET: 15
; COMPUTE_PGM_RSRC3_GFX90A:TG_SPLIT: 0
	.section	.text._ZN4vllm25paged_attention_v1_kernelIfhLi96ELi16ELi128ELNS_18Fp8KVCacheDataTypeE1ELb0EEEvPT_PKS2_PKT0_S8_ifPKiSA_iPKfiiiSC_SC_iiiii,"axG",@progbits,_ZN4vllm25paged_attention_v1_kernelIfhLi96ELi16ELi128ELNS_18Fp8KVCacheDataTypeE1ELb0EEEvPT_PKS2_PKT0_S8_ifPKiSA_iPKfiiiSC_SC_iiiii,comdat
	.protected	_ZN4vllm25paged_attention_v1_kernelIfhLi96ELi16ELi128ELNS_18Fp8KVCacheDataTypeE1ELb0EEEvPT_PKS2_PKT0_S8_ifPKiSA_iPKfiiiSC_SC_iiiii ; -- Begin function _ZN4vllm25paged_attention_v1_kernelIfhLi96ELi16ELi128ELNS_18Fp8KVCacheDataTypeE1ELb0EEEvPT_PKS2_PKT0_S8_ifPKiSA_iPKfiiiSC_SC_iiiii
	.globl	_ZN4vllm25paged_attention_v1_kernelIfhLi96ELi16ELi128ELNS_18Fp8KVCacheDataTypeE1ELb0EEEvPT_PKS2_PKT0_S8_ifPKiSA_iPKfiiiSC_SC_iiiii
	.p2align	8
	.type	_ZN4vllm25paged_attention_v1_kernelIfhLi96ELi16ELi128ELNS_18Fp8KVCacheDataTypeE1ELb0EEEvPT_PKS2_PKT0_S8_ifPKiSA_iPKfiiiSC_SC_iiiii,@function
_ZN4vllm25paged_attention_v1_kernelIfhLi96ELi16ELi128ELNS_18Fp8KVCacheDataTypeE1ELb0EEEvPT_PKS2_PKT0_S8_ifPKiSA_iPKfiiiSC_SC_iiiii: ; @_ZN4vllm25paged_attention_v1_kernelIfhLi96ELi16ELi128ELNS_18Fp8KVCacheDataTypeE1ELb0EEEvPT_PKS2_PKT0_S8_ifPKiSA_iPKfiiiSC_SC_iiiii
; %bb.0:
	s_load_dword s5, s[0:1], 0x80
	s_load_dwordx2 s[6:7], s[0:1], 0x30
	s_load_dwordx2 s[28:29], s[0:1], 0x20
	s_mov_b32 s16, s3
	s_ashr_i32 s17, s3, 31
	s_lshl_b64 s[8:9], s[16:17], 2
	s_waitcnt lgkmcnt(0)
	s_add_u32 s6, s6, s8
	s_addc_u32 s7, s7, s9
	s_abs_i32 s3, s28
	v_cvt_f32_u32_e32 v1, s3
	s_sub_i32 s10, 0, s3
	s_abs_i32 s9, s5
	s_xor_b32 s8, s5, s28
	v_rcp_iflag_f32_e32 v1, v1
	s_ashr_i32 s8, s8, 31
	s_mov_b32 s28, 0
	v_mul_f32_e32 v1, 0x4f7ffffe, v1
	v_cvt_u32_f32_e32 v1, v1
	s_nop 0
	v_readfirstlane_b32 s11, v1
	s_mul_i32 s10, s10, s11
	s_mul_hi_u32 s10, s11, s10
	s_add_i32 s11, s11, s10
	s_mul_hi_u32 s10, s9, s11
	s_mul_i32 s11, s10, s3
	s_sub_i32 s9, s9, s11
	s_add_i32 s11, s10, 1
	s_sub_i32 s12, s9, s3
	s_cmp_ge_u32 s9, s3
	s_cselect_b32 s10, s11, s10
	s_cselect_b32 s9, s12, s9
	s_add_i32 s11, s10, 1
	s_cmp_ge_u32 s9, s3
	s_cselect_b32 s3, s11, s10
	s_xor_b32 s3, s3, s8
	s_sub_i32 s12, s3, s8
	s_abs_i32 s10, s12
	v_cvt_f32_u32_e32 v1, s10
	s_load_dwordx2 s[8:9], s[0:1], 0x40
	s_sub_i32 s3, 0, s10
	s_abs_i32 s11, s2
	v_rcp_iflag_f32_e32 v1, v1
	s_nop 0
	v_mul_f32_e32 v1, 0x4f7ffffe, v1
	v_cvt_u32_f32_e32 v1, v1
	s_nop 0
	v_readfirstlane_b32 s13, v1
	s_mul_i32 s3, s3, s13
	s_mul_hi_u32 s3, s13, s3
	s_add_i32 s13, s13, s3
	s_waitcnt lgkmcnt(0)
	s_cmp_eq_u64 s[8:9], 0
	s_mul_hi_u32 s20, s11, s13
	s_cbranch_scc1 .LBB194_2
; %bb.1:
	s_ashr_i32 s3, s2, 31
	s_lshl_b64 s[14:15], s[2:3], 2
	s_add_u32 s8, s8, s14
	s_addc_u32 s9, s9, s15
	s_load_dword s28, s[8:9], 0x0
.LBB194_2:
	s_load_dword s17, s[6:7], 0x0
	s_ashr_i32 s7, s12, 31
	s_load_dwordx4 s[12:15], s[0:1], 0x48
	v_lshrrev_b32_e32 v42, 2, v0
	s_movk_i32 s8, 0x60
	s_ashr_i32 s6, s2, 31
	v_and_b32_e32 v26, 3, v0
	s_mul_i32 s18, s2, 0x60
	v_cmp_gt_u32_e32 vcc, s8, v0
	v_lshlrev_b32_e32 v32, 2, v0
	v_lshlrev_b32_e32 v1, 2, v42
	s_and_saveexec_b64 s[2:3], vcc
	s_cbranch_execz .LBB194_4
; %bb.3:
	s_load_dwordx2 s[22:23], s[0:1], 0x8
	s_waitcnt lgkmcnt(0)
	s_mul_i32 s24, s16, s12
	s_ashr_i32 s25, s24, 31
	s_lshl_b64 s[24:25], s[24:25], 2
	v_mad_u32_u24 v3, v26, s8, v1
	s_add_u32 s9, s22, s24
	s_addc_u32 s12, s23, s25
	s_ashr_i32 s19, s18, 31
	s_lshl_b64 s[22:23], s[18:19], 2
	s_add_u32 s22, s9, s22
	s_addc_u32 s23, s12, s23
	global_load_dword v2, v32, s[22:23]
	s_waitcnt vmcnt(0)
	ds_write_b32 v3, v2
.LBB194_4:
	s_or_b64 exec, exec, s[2:3]
	s_waitcnt lgkmcnt(0)
	s_add_i32 s3, s17, 15
	s_ashr_i32 s8, s3, 31
	s_lshr_b32 s8, s8, 28
	s_add_i32 s3, s3, s8
	s_ashr_i32 s19, s3, 4
	s_xor_b32 s3, s6, s7
	s_mul_i32 s6, s20, s10
	s_sub_i32 s6, s11, s6
	s_add_i32 s7, s20, 1
	s_sub_i32 s8, s6, s10
	s_load_dwordx2 s[22:23], s[0:1], 0x28
	s_load_dword s2, s[0:1], 0x38
	s_cmp_ge_u32 s6, s10
	s_cselect_b32 s7, s7, s20
	s_cselect_b32 s6, s8, s6
	s_add_i32 s8, s7, 1
	s_cmp_ge_u32 s6, s10
	s_cselect_b32 s6, s8, s7
	v_lshrrev_b32_e32 v43, 6, v0
	s_xor_b32 s6, s6, s3
	s_waitcnt lgkmcnt(0)
	s_mul_i32 s24, s16, s2
	s_sub_i32 s33, s6, s3
	s_ashr_i32 s25, s24, 31
	v_cmp_gt_i32_e64 s[6:7], s19, v43
	v_cmp_le_i32_e32 vcc, s19, v43
	v_mbcnt_lo_u32_b32 v27, -1, 0
	s_barrier
	s_waitcnt lgkmcnt(0)
                                        ; implicit-def: $sgpr15
                                        ; implicit-def: $vgpr34
                                        ; implicit-def: $vgpr35
	s_and_saveexec_b64 s[2:3], vcc
	s_xor_b64 s[2:3], exec, s[2:3]
; %bb.5:
	v_mbcnt_hi_u32_b32 v34, -1, v27
	v_and_b32_e32 v2, 64, v34
	v_add_u32_e32 v35, 64, v2
	s_mov_b32 s15, 0xff7fffff
                                        ; implicit-def: $vgpr27
; %bb.6:
	s_or_saveexec_b64 s[30:31], s[2:3]
	s_load_dwordx2 s[20:21], s[0:1], 0x0
	s_load_dwordx2 s[26:27], s[0:1], 0x18
	s_load_dword s12, s[0:1], 0x88
	s_load_dwordx4 s[8:11], s[0:1], 0x58
	v_mov_b32_e32 v36, s15
	s_mul_i32 s33, s33, s14
	v_lshrrev_b32_e32 v33, 4, v0
	s_xor_b64 exec, exec, s[30:31]
	s_cbranch_execz .LBB194_12
; %bb.7:
	s_load_dwordx2 s[0:1], s[0:1], 0x10
	v_mul_u32_u24_e32 v22, 0x60, v26
	ds_read_b128 v[2:5], v22
	ds_read_b128 v[6:9], v22 offset:16
	ds_read_b128 v[10:13], v22 offset:32
	;; [unrolled: 1-line block ×5, first 2 shown]
	v_mbcnt_hi_u32_b32 v34, -1, v27
	v_and_b32_e32 v27, 64, v34
	s_ashr_i32 s2, s33, 31
	v_add_u32_e32 v35, 64, v27
	v_xor_b32_e32 v27, 2, v34
	v_bfe_u32 v36, v0, 2, 4
	s_waitcnt lgkmcnt(0)
	s_add_u32 s0, s0, s33
	v_cmp_lt_i32_e32 vcc, v27, v35
	v_lshlrev_b32_e32 v30, 4, v36
	s_addc_u32 s1, s1, s2
	v_mov_b32_e32 v31, 0
	v_cndmask_b32_e32 v27, v34, v27, vcc
	s_load_dword s35, s[8:9], 0x0
	v_lshl_add_u64 v[28:29], s[0:1], 0, v[30:31]
	v_lshlrev_b32_e32 v37, 2, v27
	v_xor_b32_e32 v27, 1, v34
	s_sub_i32 s36, 1, s17
	v_lshlrev_b32_e32 v30, 2, v36
	s_lshl_b64 s[0:1], s[24:25], 2
	v_cmp_lt_i32_e32 vcc, v27, v35
	v_lshl_or_b32 v30, v43, 6, v30
	s_add_u32 s0, s22, s0
	v_cndmask_b32_e32 v27, v34, v27, vcc
	v_add_u32_e32 v40, 0x190, v30
	v_and_b32_e32 v30, 60, v33
	s_addc_u32 s1, s23, s1
	s_mov_b32 s34, s13
	v_lshlrev_b32_e32 v38, 2, v27
	v_cmp_eq_u32_e32 vcc, 0, v26
	v_cmp_neq_f32_e64 s[2:3], s28, 0
	v_mov_b32_e32 v27, v31
	v_lshl_or_b32 v39, v43, 4, v36
	v_lshl_add_u64 v[30:31], s[0:1], 0, v[30:31]
	s_mov_b64 s[8:9], 0
	v_mov_b32_e32 v36, 0xff7fffff
	v_mov_b32_e32 v41, v43
	s_branch .LBB194_9
.LBB194_8:                              ;   in Loop: Header=BB194_9 Depth=1
	s_or_b64 exec, exec, s[14:15]
	v_add_u32_e32 v41, 2, v41
	v_cmp_le_i32_e64 s[0:1], s19, v41
	v_add_u32_e32 v39, 32, v39
	v_add_u32_e32 v40, 0x80, v40
	s_or_b64 s[8:9], s[0:1], s[8:9]
	v_lshl_add_u64 v[30:31], v[30:31], 0, 8
	s_andn2_b64 exec, exec, s[8:9]
	s_cbranch_execz .LBB194_11
.LBB194_9:                              ; =>This Inner Loop Header: Depth=1
	global_load_dword v44, v[30:31], off
	s_waitcnt vmcnt(0) lgkmcnt(0)
	v_mad_i64_i32 v[44:45], s[0:1], v44, s34, v[28:29]
	v_lshl_add_u64 v[44:45], v[44:45], 0, v[26:27]
	global_load_ubyte v46, v[44:45], off
	global_load_ubyte v47, v[44:45], off offset:4
	global_load_ubyte v48, v[44:45], off offset:8
	;; [unrolled: 1-line block ×22, first 2 shown]
	s_nop 0
	global_load_ubyte v44, v[44:45], off offset:1292
	s_waitcnt vmcnt(23)
	v_cvt_f32_fp8_sdwa v45, v46 src0_sel:BYTE_0
	s_waitcnt vmcnt(22)
	v_cvt_f32_fp8_sdwa v46, v47 src0_sel:BYTE_0
	s_waitcnt vmcnt(21)
	v_cvt_f32_fp8_sdwa v47, v48 src0_sel:BYTE_0
	s_waitcnt vmcnt(20)
	v_cvt_f32_fp8_sdwa v48, v49 src0_sel:BYTE_0
	s_waitcnt vmcnt(19)
	v_cvt_f32_fp8_sdwa v49, v50 src0_sel:BYTE_0
	s_waitcnt lgkmcnt(0)
	v_mul_f32_e32 v46, s35, v46
	s_waitcnt vmcnt(18)
	v_cvt_f32_fp8_sdwa v50, v51 src0_sel:BYTE_0
	v_mul_f32_e32 v45, s35, v45
	v_mul_f32_e32 v46, v3, v46
	s_waitcnt vmcnt(17)
	v_cvt_f32_fp8_sdwa v51, v52 src0_sel:BYTE_0
	v_mul_f32_e32 v47, s35, v47
	v_fmac_f32_e32 v46, v2, v45
	s_waitcnt vmcnt(16)
	v_cvt_f32_fp8_sdwa v52, v53 src0_sel:BYTE_0
	v_mul_f32_e32 v48, s35, v48
	v_fmac_f32_e32 v46, v4, v47
	;; [unrolled: 4-line block ×18, first 2 shown]
	v_mul_f32_e32 v65, s35, v65
	v_fmac_f32_e32 v46, v21, v64
	v_mul_f32_e32 v66, s35, v66
	v_fmac_f32_e32 v46, v22, v65
	;; [unrolled: 2-line block ×4, first 2 shown]
	v_fmac_f32_e32 v46, v25, v44
	ds_bpermute_b32 v44, v37, v46
	s_waitcnt lgkmcnt(0)
	v_add_f32_e32 v44, v46, v44
	ds_bpermute_b32 v45, v38, v44
	s_and_saveexec_b64 s[14:15], vcc
	s_cbranch_execz .LBB194_8
; %bb.10:                               ;   in Loop: Header=BB194_9 Depth=1
	v_add_u32_e32 v46, s36, v39
	v_cvt_f32_i32_e32 v46, v46
	s_waitcnt lgkmcnt(0)
	v_add_f32_e32 v44, v44, v45
	v_cmp_gt_i32_e64 s[0:1], s17, v39
	v_max_f32_e32 v45, v36, v36
	v_mul_f32_e32 v46, s28, v46
	v_cndmask_b32_e64 v46, 0, v46, s[2:3]
	v_fmac_f32_e32 v46, s29, v44
	v_cndmask_b32_e64 v44, 0, v46, s[0:1]
	ds_write_b32 v40, v44
	v_max_f32_e32 v44, v45, v46
	v_cndmask_b32_e64 v36, v36, v44, s[0:1]
	s_branch .LBB194_8
.LBB194_11:
	s_or_b64 exec, exec, s[8:9]
.LBB194_12:
	s_or_b64 exec, exec, s[30:31]
	v_xor_b32_e32 v2, 32, v34
	v_cmp_lt_i32_e32 vcc, v2, v35
	v_xor_b32_e32 v5, 16, v34
	v_max_f32_e32 v4, v36, v36
	v_cndmask_b32_e32 v2, v34, v2, vcc
	v_lshlrev_b32_e32 v2, 2, v2
	ds_bpermute_b32 v3, v2, v36
	v_cmp_lt_i32_e32 vcc, v5, v35
	v_xor_b32_e32 v6, 8, v34
	v_xor_b32_e32 v7, 4, v34
	v_and_b32_e32 v27, 63, v0
	s_waitcnt lgkmcnt(0)
	v_max_f32_e32 v3, v3, v3
	v_max_f32_e32 v4, v4, v3
	v_cndmask_b32_e32 v3, v34, v5, vcc
	v_lshlrev_b32_e32 v3, 2, v3
	ds_bpermute_b32 v5, v3, v4
	v_cmp_lt_i32_e32 vcc, v6, v35
	s_waitcnt lgkmcnt(0)
	v_max_f32_e32 v5, v5, v5
	v_max_f32_e32 v4, v4, v5
	v_cndmask_b32_e32 v5, v34, v6, vcc
	v_lshlrev_b32_e32 v6, 2, v5
	ds_bpermute_b32 v5, v6, v4
	v_cmp_lt_i32_e32 vcc, v7, v35
	s_waitcnt lgkmcnt(0)
	v_max_f32_e32 v5, v5, v5
	v_max_f32_e32 v5, v4, v5
	v_cndmask_b32_e32 v4, v34, v7, vcc
	v_lshlrev_b32_e32 v7, 2, v4
	ds_bpermute_b32 v8, v7, v5
	v_cmp_eq_u32_e32 vcc, 0, v27
	v_lshlrev_b32_e32 v4, 2, v43
	s_and_saveexec_b64 s[0:1], vcc
	s_cbranch_execz .LBB194_14
; %bb.13:
	s_waitcnt lgkmcnt(0)
	v_max_f32_e32 v8, v8, v8
	v_max_f32_e32 v5, v5, v5
	;; [unrolled: 1-line block ×3, first 2 shown]
	ds_write_b32 v4, v5 offset:384
.LBB194_14:
	s_or_b64 exec, exec, s[0:1]
	v_cmp_gt_u32_e64 s[0:1], 2, v27
	s_waitcnt lgkmcnt(0)
	v_mov_b32_e32 v8, 0xff7fffff
	v_lshlrev_b32_e32 v5, 2, v27
	s_barrier
	s_and_saveexec_b64 s[2:3], s[0:1]
	s_cbranch_execz .LBB194_16
; %bb.15:
	ds_read_b32 v8, v5 offset:384
.LBB194_16:
	s_or_b64 exec, exec, s[2:3]
	v_xor_b32_e32 v9, 1, v34
	v_cmp_lt_i32_e64 s[2:3], v9, v35
	v_lshlrev_b32_e32 v10, 2, v34
	s_nop 0
	v_cndmask_b32_e64 v9, v34, v9, s[2:3]
	v_lshlrev_b32_e32 v44, 2, v9
	s_waitcnt lgkmcnt(0)
	ds_bpermute_b32 v9, v44, v8
	v_max_f32_e32 v8, v8, v8
	s_lshl_b32 s2, s19, 4
	s_min_i32 s30, s2, s17
	v_cmp_gt_i32_e64 s[2:3], s30, v0
	s_waitcnt lgkmcnt(0)
	v_max_f32_e32 v9, v9, v9
	v_max_f32_e32 v9, v8, v9
	v_and_b32_e32 v8, 0xffffff00, v10
	ds_bpermute_b32 v10, v8, v9
	v_mov_b32_e32 v9, 0
	s_and_saveexec_b64 s[14:15], s[2:3]
	s_cbranch_execz .LBB194_20
; %bb.17:
	v_mov_b32_e32 v9, 0x190
	v_lshl_add_u32 v11, v0, 2, v9
	s_mov_b64 s[28:29], 0
	v_mov_b32_e32 v9, 0
	v_mov_b32_e32 v12, v0
.LBB194_18:                             ; =>This Inner Loop Header: Depth=1
	ds_read_b32 v13, v11
	v_add_u32_e32 v12, 0x80, v12
	v_cmp_le_i32_e64 s[8:9], s30, v12
	s_or_b64 s[28:29], s[8:9], s[28:29]
	s_waitcnt lgkmcnt(0)
	v_sub_f32_e32 v13, v13, v10
	v_mul_f32_e32 v13, 0x3fb8aa3b, v13
	v_exp_f32_e32 v13, v13
	ds_write_b32 v11, v13
	v_add_f32_e32 v9, v9, v13
	v_add_u32_e32 v11, 0x200, v11
	s_andn2_b64 exec, exec, s[28:29]
	s_cbranch_execnz .LBB194_18
; %bb.19:
	s_or_b64 exec, exec, s[28:29]
.LBB194_20:
	s_or_b64 exec, exec, s[14:15]
	ds_bpermute_b32 v2, v2, v9
	s_waitcnt lgkmcnt(0)
	v_add_f32_e32 v2, v9, v2
	ds_bpermute_b32 v3, v3, v2
	s_waitcnt lgkmcnt(0)
	v_add_f32_e32 v2, v2, v3
	ds_bpermute_b32 v3, v6, v2
	v_xor_b32_e32 v6, 2, v34
	v_cmp_lt_i32_e64 s[8:9], v6, v35
	s_waitcnt lgkmcnt(0)
	v_add_f32_e32 v2, v2, v3
	ds_bpermute_b32 v3, v7, v2
	v_cndmask_b32_e64 v6, v34, v6, s[8:9]
	v_lshlrev_b32_e32 v45, 2, v6
	s_waitcnt lgkmcnt(0)
	v_add_f32_e32 v2, v2, v3
	ds_bpermute_b32 v3, v45, v2
	s_waitcnt lgkmcnt(0)
	v_add_f32_e32 v2, v2, v3
	ds_bpermute_b32 v3, v44, v2
	s_waitcnt lgkmcnt(0)
	v_add_f32_e32 v2, v2, v3
	s_and_saveexec_b64 s[8:9], vcc
	s_cbranch_execz .LBB194_22
; %bb.21:
	ds_write_b32 v4, v2 offset:392
.LBB194_22:
	s_or_b64 exec, exec, s[8:9]
	s_waitcnt lgkmcnt(0)
	s_barrier
	s_and_saveexec_b64 s[8:9], s[0:1]
	s_cbranch_execz .LBB194_24
; %bb.23:
	ds_read_b32 v2, v5 offset:392
.LBB194_24:
	s_or_b64 exec, exec, s[8:9]
	s_waitcnt lgkmcnt(0)
	ds_bpermute_b32 v3, v44, v2
	s_waitcnt lgkmcnt(0)
	v_add_f32_e32 v2, v2, v3
	ds_bpermute_b32 v2, v8, v2
	s_and_saveexec_b64 s[0:1], s[2:3]
	s_cbranch_execz .LBB194_37
; %bb.25:
	s_waitcnt lgkmcnt(0)
	v_add_f32_e32 v2, 0x358637bd, v2
	v_div_scale_f32 v3, s[2:3], v2, v2, 1.0
	v_rcp_f32_e32 v4, v3
	v_div_scale_f32 v5, vcc, 1.0, v2, 1.0
	s_movk_i32 s2, 0x7f
	v_fma_f32 v6, -v3, v4, 1.0
	v_fmac_f32_e32 v4, v6, v4
	v_mul_f32_e32 v6, v5, v4
	v_fma_f32 v7, -v3, v6, v5
	v_fmac_f32_e32 v6, v7, v4
	v_fma_f32 v3, -v3, v6, v5
	v_div_fmas_f32 v3, v3, v4, v6
	v_xad_u32 v4, v0, -1, s30
	v_div_fixup_f32 v2, v3, v2, 1.0
	v_cmp_lt_u32_e32 vcc, s2, v4
	s_mov_b64 s[8:9], -1
	v_mov_b32_e32 v3, v0
	s_and_saveexec_b64 s[2:3], vcc
	s_cbranch_execz .LBB194_34
; %bb.26:
	v_lshrrev_b32_e32 v4, 7, v4
	v_add_u32_e32 v6, -1, v4
	v_lshrrev_b32_e32 v5, 1, v6
	v_mov_b32_e32 v3, v2
	v_add_u32_e32 v5, 1, v5
	v_cmp_lt_u32_e32 vcc, 13, v6
	v_mov_b32_e32 v8, 0
	s_and_saveexec_b64 s[8:9], vcc
	s_cbranch_execz .LBB194_30
; %bb.27:
	v_mov_b32_e32 v7, 0x190
	v_and_b32_e32 v6, -8, v5
	v_lshl_add_u32 v7, v0, 2, v7
	s_mov_b32 s28, 0
	s_mov_b64 s[14:15], 0
.LBB194_28:                             ; =>This Inner Loop Header: Depth=1
	ds_read2st64_b32 v[8:9], v7 offset1:2
	ds_read2st64_b32 v[10:11], v7 offset0:4 offset1:6
	ds_read2st64_b32 v[12:13], v7 offset0:8 offset1:10
	;; [unrolled: 1-line block ×3, first 2 shown]
	v_add_u32_e32 v6, -8, v6
	s_waitcnt lgkmcnt(3)
	v_pk_mul_f32 v[8:9], v[2:3], v[8:9]
	s_waitcnt lgkmcnt(2)
	v_pk_mul_f32 v[10:11], v[2:3], v[10:11]
	ds_write2st64_b32 v7, v8, v9 offset1:2
	ds_write2st64_b32 v7, v10, v11 offset0:4 offset1:6
	ds_read2st64_b32 v[10:11], v7 offset0:16 offset1:18
	s_waitcnt lgkmcnt(4)
	v_pk_mul_f32 v[8:9], v[2:3], v[12:13]
	ds_write2st64_b32 v7, v8, v9 offset0:8 offset1:10
	s_waitcnt lgkmcnt(4)
	v_pk_mul_f32 v[8:9], v[2:3], v[14:15]
	ds_write2st64_b32 v7, v8, v9 offset0:12 offset1:14
	ds_read2st64_b32 v[8:9], v7 offset0:20 offset1:22
	s_waitcnt lgkmcnt(3)
	v_pk_mul_f32 v[10:11], v[2:3], v[10:11]
	ds_read2st64_b32 v[12:13], v7 offset0:24 offset1:26
	ds_write2st64_b32 v7, v10, v11 offset0:16 offset1:18
	ds_read2st64_b32 v[10:11], v7 offset0:28 offset1:30
	s_waitcnt lgkmcnt(3)
	v_pk_mul_f32 v[8:9], v[2:3], v[8:9]
	ds_write2st64_b32 v7, v8, v9 offset0:20 offset1:22
	s_waitcnt lgkmcnt(3)
	v_pk_mul_f32 v[8:9], v[2:3], v[12:13]
	ds_write2st64_b32 v7, v8, v9 offset0:24 offset1:26
	s_waitcnt lgkmcnt(2)
	v_pk_mul_f32 v[8:9], v[2:3], v[10:11]
	s_add_i32 s28, s28, 16
	v_cmp_eq_u32_e32 vcc, 0, v6
	ds_write2st64_b32 v7, v8, v9 offset0:28 offset1:30
	v_add_u32_e32 v7, 0x2000, v7
	s_or_b64 s[14:15], vcc, s[14:15]
	v_mov_b32_e32 v8, s28
	s_andn2_b64 exec, exec, s[14:15]
	s_cbranch_execnz .LBB194_28
; %bb.29:
	s_or_b64 exec, exec, s[14:15]
.LBB194_30:
	s_or_b64 exec, exec, s[8:9]
	v_and_b32_e32 v5, 7, v5
	v_cmp_ne_u32_e32 vcc, 0, v5
	s_and_saveexec_b64 s[8:9], vcc
	s_cbranch_execz .LBB194_33
; %bb.31:
	v_lshlrev_b32_e32 v6, 9, v8
	s_movk_i32 s14, 0x190
	v_add3_u32 v6, v6, v32, s14
	s_mov_b64 s[14:15], 0
.LBB194_32:                             ; =>This Inner Loop Header: Depth=1
	ds_read2st64_b32 v[8:9], v6 offset1:2
	v_add_u32_e32 v5, -1, v5
	v_cmp_eq_u32_e32 vcc, 0, v5
	s_or_b64 s[14:15], vcc, s[14:15]
	s_waitcnt lgkmcnt(0)
	v_pk_mul_f32 v[8:9], v[2:3], v[8:9]
	ds_write2st64_b32 v6, v8, v9 offset1:2
	v_add_u32_e32 v6, 0x400, v6
	s_andn2_b64 exec, exec, s[14:15]
	s_cbranch_execnz .LBB194_32
.LBB194_33:
	s_or_b64 exec, exec, s[8:9]
	v_add_u32_e32 v4, 1, v4
	v_and_b32_e32 v5, 0x3fffffe, v4
	v_cmp_ne_u32_e32 vcc, v4, v5
	v_lshl_add_u32 v3, v5, 7, v0
	s_orn2_b64 s[8:9], vcc, exec
.LBB194_34:
	s_or_b64 exec, exec, s[2:3]
	s_and_b64 exec, exec, s[8:9]
	s_cbranch_execz .LBB194_37
; %bb.35:
	v_mov_b32_e32 v4, 0x190
	v_lshl_add_u32 v4, v3, 2, v4
	s_mov_b64 s[2:3], 0
.LBB194_36:                             ; =>This Inner Loop Header: Depth=1
	ds_read_b32 v5, v4
	v_add_u32_e32 v3, 0x80, v3
	v_cmp_le_i32_e32 vcc, s30, v3
	s_or_b64 s[2:3], vcc, s[2:3]
	s_waitcnt lgkmcnt(0)
	v_mul_f32_e32 v5, v2, v5
	ds_write_b32 v4, v5
	v_add_u32_e32 v4, 0x200, v4
	s_andn2_b64 exec, exec, s[2:3]
	s_cbranch_execnz .LBB194_36
.LBB194_37:
	s_or_b64 exec, exec, s[0:1]
	v_mov_b32_e32 v9, 0
	v_mov_b32_e32 v8, 0
	;; [unrolled: 1-line block ×6, first 2 shown]
	s_waitcnt lgkmcnt(0)
	s_barrier
	s_and_saveexec_b64 s[2:3], s[6:7]
	s_cbranch_execz .LBB194_53
; %bb.38:
	s_ashr_i32 s1, s33, 31
	s_load_dword s6, s[10:11], 0x0
	s_add_u32 s0, s26, s33
	s_addc_u32 s1, s27, s1
	v_and_b32_e32 v6, 0xfc, v32
	v_mov_b32_e32 v7, 0
	v_and_b32_e32 v2, 12, v32
	s_add_i32 s14, s19, -1
	v_lshl_add_u64 v[12:13], s[0:1], 0, v[6:7]
	v_lshlrev_b32_e32 v3, 4, v43
	s_lshl_b64 s[0:1], s[24:25], 2
	v_or3_b32 v46, v3, v2, 3
	v_lshlrev_b32_e32 v2, 4, v26
	s_add_u32 s0, s22, s0
	v_lshl_or_b32 v2, v43, 6, v2
	v_and_b32_e32 v6, 60, v33
	s_addc_u32 s1, s23, s1
	s_waitcnt lgkmcnt(0)
	s_mov_b32 s7, s6
	v_add_u32_e32 v47, 0x190, v2
	v_lshl_add_u64 v[14:15], s[0:1], 0, v[6:7]
	s_mov_b64 s[8:9], 0
	v_mov_b32_e32 v6, v7
	v_mov_b32_e32 v10, v7
	;; [unrolled: 1-line block ×5, first 2 shown]
	s_branch .LBB194_40
.LBB194_39:                             ;   in Loop: Header=BB194_40 Depth=1
	s_or_b64 exec, exec, s[0:1]
	s_waitcnt lgkmcnt(0)
	v_mul_f32_e32 v19, v3, v19
	v_fmac_f32_e32 v19, v2, v18
	v_fmac_f32_e32 v19, v4, v16
	v_mul_f32_e32 v16, v3, v25
	v_fmac_f32_e32 v16, v2, v24
	v_fmac_f32_e32 v16, v4, v22
	v_fmac_f32_e32 v16, v5, v23
	v_add_f32_e32 v7, v7, v16
	v_mul_f32_e32 v16, v3, v31
	v_fmac_f32_e32 v16, v2, v30
	v_fmac_f32_e32 v16, v4, v28
	v_fmac_f32_e32 v16, v5, v29
	v_add_f32_e32 v10, v10, v16
	;; [unrolled: 5-line block ×3, first 2 shown]
	v_mul_f32_e32 v16, v3, v39
	v_mul_f32_e32 v3, v3, v41
	v_fmac_f32_e32 v16, v2, v38
	v_fmac_f32_e32 v3, v2, v40
	v_fmac_f32_e32 v16, v4, v36
	v_fmac_f32_e32 v3, v4, v20
	v_add_u32_e32 v43, 2, v43
	v_fmac_f32_e32 v19, v5, v17
	v_fmac_f32_e32 v16, v5, v37
	;; [unrolled: 1-line block ×3, first 2 shown]
	v_cmp_le_i32_e32 vcc, s19, v43
	v_add_f32_e32 v6, v6, v19
	v_add_f32_e32 v8, v8, v16
	;; [unrolled: 1-line block ×3, first 2 shown]
	v_add_u32_e32 v46, 32, v46
	v_add_u32_e32 v47, 0x80, v47
	s_or_b64 s[8:9], vcc, s[8:9]
	v_lshl_add_u64 v[14:15], v[14:15], 0, 8
	s_andn2_b64 exec, exec, s[8:9]
	s_cbranch_execz .LBB194_52
.LBB194_40:                             ; =>This Inner Loop Header: Depth=1
	global_load_dword v2, v[14:15], off
	v_add_u32_e32 v48, -3, v46
	v_cmp_eq_u32_e32 vcc, s14, v43
	v_add_u32_e32 v49, -2, v46
	v_add_u32_e32 v50, -1, v46
	s_waitcnt vmcnt(0)
	v_mad_i64_i32 v[20:21], s[0:1], v2, s13, v[12:13]
	global_load_dword v16, v[20:21], off
	ds_read_b128 v[2:5], v47
	s_waitcnt vmcnt(0)
	v_and_b32_e32 v17, 0xffff, v16
	v_lshrrev_b32_e32 v18, 16, v16
	v_cvt_pk_f32_fp8_e32 v[16:17], v17
	v_cvt_pk_f32_fp8_e32 v[22:23], v18
	v_pk_mul_f32 v[18:19], s[6:7], v[16:17]
	v_pk_mul_f32 v[16:17], s[6:7], v[22:23]
	s_and_saveexec_b64 s[10:11], vcc
; %bb.41:                               ;   in Loop: Header=BB194_40 Depth=1
	v_cmp_gt_i32_e64 s[0:1], s17, v48
	s_nop 1
	v_cndmask_b32_e64 v18, 0, v18, s[0:1]
	v_cmp_gt_i32_e64 s[0:1], s17, v49
	s_nop 1
	v_cndmask_b32_e64 v19, 0, v19, s[0:1]
	v_cmp_gt_i32_e64 s[0:1], s17, v50
	s_nop 1
	v_cndmask_b32_e64 v16, 0, v16, s[0:1]
	v_cmp_gt_i32_e64 s[0:1], s17, v46
	s_nop 1
	v_cndmask_b32_e64 v17, 0, v17, s[0:1]
; %bb.42:                               ;   in Loop: Header=BB194_40 Depth=1
	s_or_b64 exec, exec, s[10:11]
	global_load_dword v22, v[20:21], off offset:256
	s_waitcnt vmcnt(0)
	v_and_b32_e32 v23, 0xffff, v22
	v_lshrrev_b32_e32 v24, 16, v22
	v_cvt_pk_f32_fp8_e32 v[22:23], v23
	v_cvt_pk_f32_fp8_e32 v[28:29], v24
	v_pk_mul_f32 v[24:25], s[6:7], v[22:23]
	v_pk_mul_f32 v[22:23], s[6:7], v[28:29]
	s_and_saveexec_b64 s[10:11], vcc
; %bb.43:                               ;   in Loop: Header=BB194_40 Depth=1
	v_cmp_gt_i32_e64 s[0:1], s17, v48
	s_nop 1
	v_cndmask_b32_e64 v24, 0, v24, s[0:1]
	v_cmp_gt_i32_e64 s[0:1], s17, v49
	s_nop 1
	v_cndmask_b32_e64 v25, 0, v25, s[0:1]
	v_cmp_gt_i32_e64 s[0:1], s17, v50
	s_nop 1
	v_cndmask_b32_e64 v22, 0, v22, s[0:1]
	v_cmp_gt_i32_e64 s[0:1], s17, v46
	s_nop 1
	v_cndmask_b32_e64 v23, 0, v23, s[0:1]
; %bb.44:                               ;   in Loop: Header=BB194_40 Depth=1
	s_or_b64 exec, exec, s[10:11]
	global_load_dword v28, v[20:21], off offset:512
	s_waitcnt vmcnt(0)
	v_and_b32_e32 v29, 0xffff, v28
	v_lshrrev_b32_e32 v30, 16, v28
	v_cvt_pk_f32_fp8_e32 v[28:29], v29
	v_cvt_pk_f32_fp8_e32 v[32:33], v30
	v_pk_mul_f32 v[30:31], s[6:7], v[28:29]
	v_pk_mul_f32 v[28:29], s[6:7], v[32:33]
	s_and_saveexec_b64 s[10:11], vcc
; %bb.45:                               ;   in Loop: Header=BB194_40 Depth=1
	v_cmp_gt_i32_e64 s[0:1], s17, v48
	s_nop 1
	v_cndmask_b32_e64 v30, 0, v30, s[0:1]
	v_cmp_gt_i32_e64 s[0:1], s17, v49
	s_nop 1
	v_cndmask_b32_e64 v31, 0, v31, s[0:1]
	v_cmp_gt_i32_e64 s[0:1], s17, v50
	s_nop 1
	v_cndmask_b32_e64 v28, 0, v28, s[0:1]
	v_cmp_gt_i32_e64 s[0:1], s17, v46
	s_nop 1
	v_cndmask_b32_e64 v29, 0, v29, s[0:1]
; %bb.46:                               ;   in Loop: Header=BB194_40 Depth=1
	s_or_b64 exec, exec, s[10:11]
	global_load_dword v32, v[20:21], off offset:768
	s_waitcnt vmcnt(0)
	v_and_b32_e32 v33, 0xffff, v32
	v_lshrrev_b32_e32 v34, 16, v32
	v_cvt_pk_f32_fp8_e32 v[32:33], v33
	v_cvt_pk_f32_fp8_e32 v[36:37], v34
	v_pk_mul_f32 v[34:35], s[6:7], v[32:33]
	v_pk_mul_f32 v[32:33], s[6:7], v[36:37]
	s_and_saveexec_b64 s[10:11], vcc
; %bb.47:                               ;   in Loop: Header=BB194_40 Depth=1
	v_cmp_gt_i32_e64 s[0:1], s17, v48
	s_nop 1
	v_cndmask_b32_e64 v34, 0, v34, s[0:1]
	v_cmp_gt_i32_e64 s[0:1], s17, v49
	s_nop 1
	v_cndmask_b32_e64 v35, 0, v35, s[0:1]
	v_cmp_gt_i32_e64 s[0:1], s17, v50
	s_nop 1
	v_cndmask_b32_e64 v32, 0, v32, s[0:1]
	v_cmp_gt_i32_e64 s[0:1], s17, v46
	s_nop 1
	v_cndmask_b32_e64 v33, 0, v33, s[0:1]
; %bb.48:                               ;   in Loop: Header=BB194_40 Depth=1
	s_or_b64 exec, exec, s[10:11]
	global_load_dword v36, v[20:21], off offset:1024
	s_waitcnt vmcnt(0)
	v_and_b32_e32 v37, 0xffff, v36
	v_lshrrev_b32_e32 v38, 16, v36
	v_cvt_pk_f32_fp8_e32 v[36:37], v37
	v_cvt_pk_f32_fp8_e32 v[40:41], v38
	v_pk_mul_f32 v[38:39], s[6:7], v[36:37]
	v_pk_mul_f32 v[36:37], s[6:7], v[40:41]
	s_and_saveexec_b64 s[10:11], vcc
; %bb.49:                               ;   in Loop: Header=BB194_40 Depth=1
	v_cmp_gt_i32_e64 s[0:1], s17, v48
	s_nop 1
	v_cndmask_b32_e64 v38, 0, v38, s[0:1]
	v_cmp_gt_i32_e64 s[0:1], s17, v49
	s_nop 1
	v_cndmask_b32_e64 v39, 0, v39, s[0:1]
	v_cmp_gt_i32_e64 s[0:1], s17, v50
	s_nop 1
	v_cndmask_b32_e64 v36, 0, v36, s[0:1]
	v_cmp_gt_i32_e64 s[0:1], s17, v46
	s_nop 1
	v_cndmask_b32_e64 v37, 0, v37, s[0:1]
; %bb.50:                               ;   in Loop: Header=BB194_40 Depth=1
	s_or_b64 exec, exec, s[10:11]
	global_load_dword v20, v[20:21], off offset:1280
	s_waitcnt vmcnt(0)
	v_and_b32_e32 v21, 0xffff, v20
	v_lshrrev_b32_e32 v40, 16, v20
	v_cvt_pk_f32_fp8_e32 v[20:21], v21
	v_cvt_pk_f32_fp8_e32 v[52:53], v40
	v_pk_mul_f32 v[40:41], s[6:7], v[20:21]
	v_pk_mul_f32 v[20:21], s[6:7], v[52:53]
	s_and_saveexec_b64 s[0:1], vcc
	s_cbranch_execz .LBB194_39
; %bb.51:                               ;   in Loop: Header=BB194_40 Depth=1
	v_cmp_gt_i32_e32 vcc, s17, v48
	s_nop 1
	v_cndmask_b32_e32 v40, 0, v40, vcc
	v_cmp_gt_i32_e32 vcc, s17, v49
	s_nop 1
	v_cndmask_b32_e32 v41, 0, v41, vcc
	;; [unrolled: 3-line block ×4, first 2 shown]
	s_branch .LBB194_39
.LBB194_52:
	s_or_b64 exec, exec, s[8:9]
.LBB194_53:
	s_or_b64 exec, exec, s[2:3]
	ds_bpermute_b32 v2, v45, v6
	ds_bpermute_b32 v3, v45, v7
	;; [unrolled: 1-line block ×6, first 2 shown]
	s_waitcnt lgkmcnt(4)
	v_pk_add_f32 v[2:3], v[6:7], v[2:3]
	ds_bpermute_b32 v6, v44, v2
	s_waitcnt lgkmcnt(3)
	v_pk_add_f32 v[4:5], v[10:11], v[4:5]
	ds_bpermute_b32 v7, v44, v3
	;; [unrolled: 3-line block ×3, first 2 shown]
	ds_bpermute_b32 v11, v44, v5
	ds_bpermute_b32 v12, v44, v8
	;; [unrolled: 1-line block ×3, first 2 shown]
	s_waitcnt lgkmcnt(4)
	v_pk_add_f32 v[6:7], v[2:3], v[6:7]
	s_waitcnt lgkmcnt(0)
	v_pk_add_f32 v[2:3], v[4:5], v[10:11]
	s_barrier
	v_pk_add_f32 v[4:5], v[8:9], v[12:13]
	v_and_b32_e32 v8, 0x3c3, v0
	v_cmp_eq_u32_e32 vcc, 64, v8
	s_and_saveexec_b64 s[0:1], vcc
	s_cbranch_execz .LBB194_55
; %bb.54:
	v_add_u32_e32 v9, 0x190, v27
	ds_write2_b32 v9, v6, v7 offset1:16
	ds_write2_b32 v9, v2, v3 offset0:32 offset1:48
	ds_write2_b32 v9, v4, v5 offset0:64 offset1:80
.LBB194_55:
	s_or_b64 exec, exec, s[0:1]
	v_cmp_gt_u32_e32 vcc, 64, v0
	s_waitcnt lgkmcnt(0)
	s_barrier
	s_and_saveexec_b64 s[0:1], vcc
	s_cbranch_execz .LBB194_64
; %bb.56:
	v_cmp_eq_u32_e32 vcc, 0, v26
	s_and_saveexec_b64 s[2:3], vcc
	s_cbranch_execnz .LBB194_67
; %bb.57:
	s_or_b64 exec, exec, s[2:3]
	s_and_saveexec_b64 s[2:3], vcc
	s_cbranch_execnz .LBB194_68
.LBB194_58:
	s_or_b64 exec, exec, s[2:3]
	s_and_saveexec_b64 s[2:3], vcc
	s_cbranch_execnz .LBB194_69
.LBB194_59:
	s_or_b64 exec, exec, s[2:3]
	s_and_saveexec_b64 s[2:3], vcc
	s_cbranch_execnz .LBB194_70
.LBB194_60:
	s_or_b64 exec, exec, s[2:3]
	s_and_saveexec_b64 s[2:3], vcc
	s_cbranch_execnz .LBB194_71
.LBB194_61:
	s_or_b64 exec, exec, s[2:3]
	s_and_saveexec_b64 s[2:3], vcc
	s_cbranch_execz .LBB194_63
.LBB194_62:
	v_mov_b32_e32 v0, 0x190
	v_lshl_add_u32 v0, v42, 2, v0
	ds_read_b32 v0, v0 offset:320
	s_waitcnt lgkmcnt(0)
	v_add_f32_e32 v5, v5, v0
.LBB194_63:
	s_or_b64 exec, exec, s[2:3]
.LBB194_64:
	s_or_b64 exec, exec, s[0:1]
	v_cmp_eq_u32_e32 vcc, 0, v8
	s_barrier
	s_and_saveexec_b64 s[0:1], vcc
	s_cbranch_execz .LBB194_66
; %bb.65:
	s_mul_i32 s0, s16, s12
	s_mul_i32 s0, s0, s5
	s_mulk_i32 s0, 0x60
	s_ashr_i32 s1, s0, 31
	s_lshl_b64 s[0:1], s[0:1], 2
	s_add_u32 s2, s20, s0
	s_mul_i32 s0, s12, s18
	s_addc_u32 s3, s21, s1
	s_ashr_i32 s1, s0, 31
	s_lshl_b64 s[0:1], s[0:1], 2
	s_add_u32 s2, s2, s0
	s_mul_i32 s0, s4, 0x60
	s_addc_u32 s3, s3, s1
	s_ashr_i32 s1, s0, 31
	s_lshl_b64 s[0:1], s[0:1], 2
	s_add_u32 s0, s2, s0
	s_addc_u32 s1, s3, s1
	global_store_dword v1, v6, s[0:1]
	global_store_dword v1, v7, s[0:1] offset:64
	global_store_dword v1, v2, s[0:1] offset:128
	;; [unrolled: 1-line block ×5, first 2 shown]
.LBB194_66:
	s_endpgm
.LBB194_67:
	v_mov_b32_e32 v0, 0x190
	v_lshl_add_u32 v0, v42, 2, v0
	ds_read_b32 v0, v0
	s_waitcnt lgkmcnt(0)
	v_add_f32_e32 v6, v6, v0
	s_or_b64 exec, exec, s[2:3]
	s_and_saveexec_b64 s[2:3], vcc
	s_cbranch_execz .LBB194_58
.LBB194_68:
	v_mov_b32_e32 v0, 0x190
	v_lshl_add_u32 v0, v42, 2, v0
	ds_read_b32 v0, v0 offset:64
	s_waitcnt lgkmcnt(0)
	v_add_f32_e32 v7, v7, v0
	s_or_b64 exec, exec, s[2:3]
	s_and_saveexec_b64 s[2:3], vcc
	s_cbranch_execz .LBB194_59
.LBB194_69:
	v_mov_b32_e32 v0, 0x190
	v_lshl_add_u32 v0, v42, 2, v0
	ds_read_b32 v0, v0 offset:128
	s_waitcnt lgkmcnt(0)
	v_add_f32_e32 v2, v2, v0
	s_or_b64 exec, exec, s[2:3]
	s_and_saveexec_b64 s[2:3], vcc
	s_cbranch_execz .LBB194_60
.LBB194_70:
	v_mov_b32_e32 v0, 0x190
	v_lshl_add_u32 v0, v42, 2, v0
	ds_read_b32 v0, v0 offset:192
	s_waitcnt lgkmcnt(0)
	v_add_f32_e32 v3, v3, v0
	s_or_b64 exec, exec, s[2:3]
	s_and_saveexec_b64 s[2:3], vcc
	s_cbranch_execz .LBB194_61
.LBB194_71:
	v_mov_b32_e32 v0, 0x190
	v_lshl_add_u32 v0, v42, 2, v0
	ds_read_b32 v0, v0 offset:256
	s_waitcnt lgkmcnt(0)
	v_add_f32_e32 v4, v4, v0
	s_or_b64 exec, exec, s[2:3]
	s_and_saveexec_b64 s[2:3], vcc
	s_cbranch_execnz .LBB194_62
	s_branch .LBB194_63
	.section	.rodata,"a",@progbits
	.p2align	6, 0x0
	.amdhsa_kernel _ZN4vllm25paged_attention_v1_kernelIfhLi96ELi16ELi128ELNS_18Fp8KVCacheDataTypeE1ELb0EEEvPT_PKS2_PKT0_S8_ifPKiSA_iPKfiiiSC_SC_iiiii
		.amdhsa_group_segment_fixed_size 400
		.amdhsa_private_segment_fixed_size 0
		.amdhsa_kernarg_size 384
		.amdhsa_user_sgpr_count 2
		.amdhsa_user_sgpr_dispatch_ptr 0
		.amdhsa_user_sgpr_queue_ptr 0
		.amdhsa_user_sgpr_kernarg_segment_ptr 1
		.amdhsa_user_sgpr_dispatch_id 0
		.amdhsa_user_sgpr_kernarg_preload_length 0
		.amdhsa_user_sgpr_kernarg_preload_offset 0
		.amdhsa_user_sgpr_private_segment_size 0
		.amdhsa_uses_dynamic_stack 0
		.amdhsa_enable_private_segment 0
		.amdhsa_system_sgpr_workgroup_id_x 1
		.amdhsa_system_sgpr_workgroup_id_y 1
		.amdhsa_system_sgpr_workgroup_id_z 1
		.amdhsa_system_sgpr_workgroup_info 0
		.amdhsa_system_vgpr_workitem_id 0
		.amdhsa_next_free_vgpr 69
		.amdhsa_next_free_sgpr 37
		.amdhsa_accum_offset 72
		.amdhsa_reserve_vcc 1
		.amdhsa_float_round_mode_32 0
		.amdhsa_float_round_mode_16_64 0
		.amdhsa_float_denorm_mode_32 3
		.amdhsa_float_denorm_mode_16_64 3
		.amdhsa_dx10_clamp 1
		.amdhsa_ieee_mode 1
		.amdhsa_fp16_overflow 0
		.amdhsa_tg_split 0
		.amdhsa_exception_fp_ieee_invalid_op 0
		.amdhsa_exception_fp_denorm_src 0
		.amdhsa_exception_fp_ieee_div_zero 0
		.amdhsa_exception_fp_ieee_overflow 0
		.amdhsa_exception_fp_ieee_underflow 0
		.amdhsa_exception_fp_ieee_inexact 0
		.amdhsa_exception_int_div_zero 0
	.end_amdhsa_kernel
	.section	.text._ZN4vllm25paged_attention_v1_kernelIfhLi96ELi16ELi128ELNS_18Fp8KVCacheDataTypeE1ELb0EEEvPT_PKS2_PKT0_S8_ifPKiSA_iPKfiiiSC_SC_iiiii,"axG",@progbits,_ZN4vllm25paged_attention_v1_kernelIfhLi96ELi16ELi128ELNS_18Fp8KVCacheDataTypeE1ELb0EEEvPT_PKS2_PKT0_S8_ifPKiSA_iPKfiiiSC_SC_iiiii,comdat
.Lfunc_end194:
	.size	_ZN4vllm25paged_attention_v1_kernelIfhLi96ELi16ELi128ELNS_18Fp8KVCacheDataTypeE1ELb0EEEvPT_PKS2_PKT0_S8_ifPKiSA_iPKfiiiSC_SC_iiiii, .Lfunc_end194-_ZN4vllm25paged_attention_v1_kernelIfhLi96ELi16ELi128ELNS_18Fp8KVCacheDataTypeE1ELb0EEEvPT_PKS2_PKT0_S8_ifPKiSA_iPKfiiiSC_SC_iiiii
                                        ; -- End function
	.section	.AMDGPU.csdata,"",@progbits
; Kernel info:
; codeLenInByte = 4988
; NumSgprs: 43
; NumVgprs: 69
; NumAgprs: 0
; TotalNumVgprs: 69
; ScratchSize: 0
; MemoryBound: 0
; FloatMode: 240
; IeeeMode: 1
; LDSByteSize: 400 bytes/workgroup (compile time only)
; SGPRBlocks: 5
; VGPRBlocks: 8
; NumSGPRsForWavesPerEU: 43
; NumVGPRsForWavesPerEU: 69
; AccumOffset: 72
; Occupancy: 7
; WaveLimiterHint : 1
; COMPUTE_PGM_RSRC2:SCRATCH_EN: 0
; COMPUTE_PGM_RSRC2:USER_SGPR: 2
; COMPUTE_PGM_RSRC2:TRAP_HANDLER: 0
; COMPUTE_PGM_RSRC2:TGID_X_EN: 1
; COMPUTE_PGM_RSRC2:TGID_Y_EN: 1
; COMPUTE_PGM_RSRC2:TGID_Z_EN: 1
; COMPUTE_PGM_RSRC2:TIDIG_COMP_CNT: 0
; COMPUTE_PGM_RSRC3_GFX90A:ACCUM_OFFSET: 17
; COMPUTE_PGM_RSRC3_GFX90A:TG_SPLIT: 0
	.section	.text._ZN4vllm25paged_attention_v1_kernelIfhLi112ELi16ELi128ELNS_18Fp8KVCacheDataTypeE1ELb0EEEvPT_PKS2_PKT0_S8_ifPKiSA_iPKfiiiSC_SC_iiiii,"axG",@progbits,_ZN4vllm25paged_attention_v1_kernelIfhLi112ELi16ELi128ELNS_18Fp8KVCacheDataTypeE1ELb0EEEvPT_PKS2_PKT0_S8_ifPKiSA_iPKfiiiSC_SC_iiiii,comdat
	.protected	_ZN4vllm25paged_attention_v1_kernelIfhLi112ELi16ELi128ELNS_18Fp8KVCacheDataTypeE1ELb0EEEvPT_PKS2_PKT0_S8_ifPKiSA_iPKfiiiSC_SC_iiiii ; -- Begin function _ZN4vllm25paged_attention_v1_kernelIfhLi112ELi16ELi128ELNS_18Fp8KVCacheDataTypeE1ELb0EEEvPT_PKS2_PKT0_S8_ifPKiSA_iPKfiiiSC_SC_iiiii
	.globl	_ZN4vllm25paged_attention_v1_kernelIfhLi112ELi16ELi128ELNS_18Fp8KVCacheDataTypeE1ELb0EEEvPT_PKS2_PKT0_S8_ifPKiSA_iPKfiiiSC_SC_iiiii
	.p2align	8
	.type	_ZN4vllm25paged_attention_v1_kernelIfhLi112ELi16ELi128ELNS_18Fp8KVCacheDataTypeE1ELb0EEEvPT_PKS2_PKT0_S8_ifPKiSA_iPKfiiiSC_SC_iiiii,@function
_ZN4vllm25paged_attention_v1_kernelIfhLi112ELi16ELi128ELNS_18Fp8KVCacheDataTypeE1ELb0EEEvPT_PKS2_PKT0_S8_ifPKiSA_iPKfiiiSC_SC_iiiii: ; @_ZN4vllm25paged_attention_v1_kernelIfhLi112ELi16ELi128ELNS_18Fp8KVCacheDataTypeE1ELb0EEEvPT_PKS2_PKT0_S8_ifPKiSA_iPKfiiiSC_SC_iiiii
; %bb.0:
	s_load_dword s5, s[0:1], 0x80
	s_load_dwordx2 s[6:7], s[0:1], 0x30
	s_load_dwordx2 s[28:29], s[0:1], 0x20
	s_mov_b32 s16, s3
	s_ashr_i32 s17, s3, 31
	s_lshl_b64 s[8:9], s[16:17], 2
	s_waitcnt lgkmcnt(0)
	s_add_u32 s6, s6, s8
	s_addc_u32 s7, s7, s9
	s_abs_i32 s3, s28
	v_cvt_f32_u32_e32 v1, s3
	s_sub_i32 s10, 0, s3
	s_abs_i32 s9, s5
	s_xor_b32 s8, s5, s28
	v_rcp_iflag_f32_e32 v1, v1
	s_ashr_i32 s8, s8, 31
	s_mov_b32 s28, 0
	v_mul_f32_e32 v1, 0x4f7ffffe, v1
	v_cvt_u32_f32_e32 v1, v1
	s_nop 0
	v_readfirstlane_b32 s11, v1
	s_mul_i32 s10, s10, s11
	s_mul_hi_u32 s10, s11, s10
	s_add_i32 s11, s11, s10
	s_mul_hi_u32 s10, s9, s11
	s_mul_i32 s11, s10, s3
	s_sub_i32 s9, s9, s11
	s_add_i32 s11, s10, 1
	s_sub_i32 s12, s9, s3
	s_cmp_ge_u32 s9, s3
	s_cselect_b32 s10, s11, s10
	s_cselect_b32 s9, s12, s9
	s_add_i32 s11, s10, 1
	s_cmp_ge_u32 s9, s3
	s_cselect_b32 s3, s11, s10
	s_xor_b32 s3, s3, s8
	s_sub_i32 s12, s3, s8
	s_abs_i32 s10, s12
	v_cvt_f32_u32_e32 v1, s10
	s_load_dwordx2 s[8:9], s[0:1], 0x40
	s_sub_i32 s3, 0, s10
	s_abs_i32 s11, s2
	v_rcp_iflag_f32_e32 v1, v1
	s_nop 0
	v_mul_f32_e32 v1, 0x4f7ffffe, v1
	v_cvt_u32_f32_e32 v1, v1
	s_nop 0
	v_readfirstlane_b32 s13, v1
	s_mul_i32 s3, s3, s13
	s_mul_hi_u32 s3, s13, s3
	s_add_i32 s13, s13, s3
	s_waitcnt lgkmcnt(0)
	s_cmp_eq_u64 s[8:9], 0
	s_mul_hi_u32 s20, s11, s13
	s_cbranch_scc1 .LBB195_2
; %bb.1:
	s_ashr_i32 s3, s2, 31
	s_lshl_b64 s[14:15], s[2:3], 2
	s_add_u32 s8, s8, s14
	s_addc_u32 s9, s9, s15
	s_load_dword s28, s[8:9], 0x0
.LBB195_2:
	s_load_dword s17, s[6:7], 0x0
	s_ashr_i32 s7, s12, 31
	s_load_dwordx4 s[12:15], s[0:1], 0x48
	v_lshrrev_b32_e32 v46, 2, v0
	s_movk_i32 s8, 0x70
	s_ashr_i32 s6, s2, 31
	v_and_b32_e32 v30, 3, v0
	s_mul_i32 s18, s2, 0x70
	v_cmp_gt_u32_e32 vcc, s8, v0
	v_lshlrev_b32_e32 v36, 2, v0
	v_lshlrev_b32_e32 v1, 2, v46
	s_and_saveexec_b64 s[2:3], vcc
	s_cbranch_execz .LBB195_4
; %bb.3:
	s_load_dwordx2 s[22:23], s[0:1], 0x8
	s_waitcnt lgkmcnt(0)
	s_mul_i32 s24, s16, s12
	s_ashr_i32 s25, s24, 31
	s_lshl_b64 s[24:25], s[24:25], 2
	v_mad_u32_u24 v3, v30, s8, v1
	s_add_u32 s9, s22, s24
	s_addc_u32 s12, s23, s25
	s_ashr_i32 s19, s18, 31
	s_lshl_b64 s[22:23], s[18:19], 2
	s_add_u32 s22, s9, s22
	s_addc_u32 s23, s12, s23
	global_load_dword v2, v36, s[22:23]
	s_waitcnt vmcnt(0)
	ds_write_b32 v3, v2
.LBB195_4:
	s_or_b64 exec, exec, s[2:3]
	s_waitcnt lgkmcnt(0)
	s_add_i32 s3, s17, 15
	s_ashr_i32 s8, s3, 31
	s_lshr_b32 s8, s8, 28
	s_add_i32 s3, s3, s8
	s_ashr_i32 s19, s3, 4
	s_xor_b32 s3, s6, s7
	s_mul_i32 s6, s20, s10
	s_sub_i32 s6, s11, s6
	s_add_i32 s7, s20, 1
	s_sub_i32 s8, s6, s10
	s_load_dwordx2 s[22:23], s[0:1], 0x28
	s_load_dword s2, s[0:1], 0x38
	s_cmp_ge_u32 s6, s10
	s_cselect_b32 s7, s7, s20
	s_cselect_b32 s6, s8, s6
	s_add_i32 s8, s7, 1
	s_cmp_ge_u32 s6, s10
	s_cselect_b32 s6, s8, s7
	v_lshrrev_b32_e32 v47, 6, v0
	s_xor_b32 s6, s6, s3
	s_waitcnt lgkmcnt(0)
	s_mul_i32 s24, s16, s2
	s_sub_i32 s33, s6, s3
	s_ashr_i32 s25, s24, 31
	v_cmp_gt_i32_e64 s[6:7], s19, v47
	v_cmp_le_i32_e32 vcc, s19, v47
	v_mbcnt_lo_u32_b32 v31, -1, 0
	s_barrier
	s_waitcnt lgkmcnt(0)
                                        ; implicit-def: $sgpr15
                                        ; implicit-def: $vgpr38
                                        ; implicit-def: $vgpr39
	s_and_saveexec_b64 s[2:3], vcc
	s_xor_b64 s[2:3], exec, s[2:3]
; %bb.5:
	v_mbcnt_hi_u32_b32 v38, -1, v31
	v_and_b32_e32 v2, 64, v38
	v_add_u32_e32 v39, 64, v2
	s_mov_b32 s15, 0xff7fffff
                                        ; implicit-def: $vgpr31
; %bb.6:
	s_or_saveexec_b64 s[30:31], s[2:3]
	s_load_dwordx2 s[20:21], s[0:1], 0x0
	s_load_dwordx2 s[26:27], s[0:1], 0x18
	s_load_dword s12, s[0:1], 0x88
	s_load_dwordx4 s[8:11], s[0:1], 0x58
	v_mov_b32_e32 v40, s15
	s_mul_i32 s33, s33, s14
	v_lshrrev_b32_e32 v37, 4, v0
	s_xor_b64 exec, exec, s[30:31]
	s_cbranch_execz .LBB195_12
; %bb.7:
	s_load_dwordx2 s[0:1], s[0:1], 0x10
	v_mul_u32_u24_e32 v26, 0x70, v30
	ds_read_b128 v[2:5], v26
	ds_read_b128 v[6:9], v26 offset:16
	ds_read_b128 v[10:13], v26 offset:32
	;; [unrolled: 1-line block ×6, first 2 shown]
	v_mbcnt_hi_u32_b32 v38, -1, v31
	v_and_b32_e32 v31, 64, v38
	s_ashr_i32 s2, s33, 31
	v_add_u32_e32 v39, 64, v31
	v_xor_b32_e32 v31, 2, v38
	v_bfe_u32 v40, v0, 2, 4
	s_waitcnt lgkmcnt(0)
	s_add_u32 s0, s0, s33
	v_cmp_lt_i32_e32 vcc, v31, v39
	v_lshlrev_b32_e32 v34, 4, v40
	s_addc_u32 s1, s1, s2
	v_mov_b32_e32 v35, 0
	v_cndmask_b32_e32 v31, v38, v31, vcc
	s_load_dword s35, s[8:9], 0x0
	v_lshl_add_u64 v[32:33], s[0:1], 0, v[34:35]
	v_lshlrev_b32_e32 v41, 2, v31
	v_xor_b32_e32 v31, 1, v38
	s_sub_i32 s36, 1, s17
	v_lshlrev_b32_e32 v34, 2, v40
	s_lshl_b64 s[0:1], s[24:25], 2
	v_cmp_lt_i32_e32 vcc, v31, v39
	v_lshl_or_b32 v34, v47, 6, v34
	s_add_u32 s0, s22, s0
	v_cndmask_b32_e32 v31, v38, v31, vcc
	v_add_u32_e32 v44, 0x1d0, v34
	v_and_b32_e32 v34, 60, v37
	s_addc_u32 s1, s23, s1
	s_mov_b32 s34, s13
	v_lshlrev_b32_e32 v42, 2, v31
	v_cmp_eq_u32_e32 vcc, 0, v30
	v_cmp_neq_f32_e64 s[2:3], s28, 0
	v_mov_b32_e32 v31, v35
	v_lshl_or_b32 v43, v47, 4, v40
	v_lshl_add_u64 v[34:35], s[0:1], 0, v[34:35]
	s_mov_b64 s[8:9], 0
	v_mov_b32_e32 v40, 0xff7fffff
	v_mov_b32_e32 v45, v47
	s_branch .LBB195_9
.LBB195_8:                              ;   in Loop: Header=BB195_9 Depth=1
	s_or_b64 exec, exec, s[14:15]
	v_add_u32_e32 v45, 2, v45
	v_cmp_le_i32_e64 s[0:1], s19, v45
	v_add_u32_e32 v43, 32, v43
	v_add_u32_e32 v44, 0x80, v44
	s_or_b64 s[8:9], s[0:1], s[8:9]
	v_lshl_add_u64 v[34:35], v[34:35], 0, 8
	s_andn2_b64 exec, exec, s[8:9]
	s_cbranch_execz .LBB195_11
.LBB195_9:                              ; =>This Inner Loop Header: Depth=1
	global_load_dword v48, v[34:35], off
	s_waitcnt vmcnt(0) lgkmcnt(0)
	v_mad_i64_i32 v[48:49], s[0:1], v48, s34, v[32:33]
	v_lshl_add_u64 v[48:49], v[48:49], 0, v[30:31]
	global_load_ubyte v50, v[48:49], off
	global_load_ubyte v51, v[48:49], off offset:4
	global_load_ubyte v52, v[48:49], off offset:8
	;; [unrolled: 1-line block ×26, first 2 shown]
	s_nop 0
	global_load_ubyte v48, v[48:49], off offset:1548
	s_waitcnt vmcnt(27)
	v_cvt_f32_fp8_sdwa v49, v50 src0_sel:BYTE_0
	s_waitcnt vmcnt(26)
	v_cvt_f32_fp8_sdwa v50, v51 src0_sel:BYTE_0
	;; [unrolled: 2-line block ×5, first 2 shown]
	s_waitcnt lgkmcnt(0)
	v_mul_f32_e32 v50, s35, v50
	s_waitcnt vmcnt(22)
	v_cvt_f32_fp8_sdwa v54, v55 src0_sel:BYTE_0
	v_mul_f32_e32 v49, s35, v49
	v_mul_f32_e32 v50, v3, v50
	s_waitcnt vmcnt(21)
	v_cvt_f32_fp8_sdwa v55, v56 src0_sel:BYTE_0
	v_mul_f32_e32 v51, s35, v51
	v_fmac_f32_e32 v50, v2, v49
	s_waitcnt vmcnt(20)
	v_cvt_f32_fp8_sdwa v56, v57 src0_sel:BYTE_0
	v_mul_f32_e32 v52, s35, v52
	v_fmac_f32_e32 v50, v4, v51
	;; [unrolled: 4-line block ×22, first 2 shown]
	v_mul_f32_e32 v73, s35, v73
	v_fmac_f32_e32 v50, v25, v72
	v_mul_f32_e32 v74, s35, v74
	v_fmac_f32_e32 v50, v26, v73
	;; [unrolled: 2-line block ×4, first 2 shown]
	v_fmac_f32_e32 v50, v29, v48
	ds_bpermute_b32 v48, v41, v50
	s_waitcnt lgkmcnt(0)
	v_add_f32_e32 v48, v50, v48
	ds_bpermute_b32 v49, v42, v48
	s_and_saveexec_b64 s[14:15], vcc
	s_cbranch_execz .LBB195_8
; %bb.10:                               ;   in Loop: Header=BB195_9 Depth=1
	v_add_u32_e32 v50, s36, v43
	v_cvt_f32_i32_e32 v50, v50
	s_waitcnt lgkmcnt(0)
	v_add_f32_e32 v48, v48, v49
	v_cmp_gt_i32_e64 s[0:1], s17, v43
	v_max_f32_e32 v49, v40, v40
	v_mul_f32_e32 v50, s28, v50
	v_cndmask_b32_e64 v50, 0, v50, s[2:3]
	v_fmac_f32_e32 v50, s29, v48
	v_cndmask_b32_e64 v48, 0, v50, s[0:1]
	ds_write_b32 v44, v48
	v_max_f32_e32 v48, v49, v50
	v_cndmask_b32_e64 v40, v40, v48, s[0:1]
	s_branch .LBB195_8
.LBB195_11:
	s_or_b64 exec, exec, s[8:9]
.LBB195_12:
	s_or_b64 exec, exec, s[30:31]
	v_xor_b32_e32 v2, 32, v38
	v_cmp_lt_i32_e32 vcc, v2, v39
	v_xor_b32_e32 v5, 16, v38
	v_max_f32_e32 v4, v40, v40
	v_cndmask_b32_e32 v2, v38, v2, vcc
	v_lshlrev_b32_e32 v2, 2, v2
	ds_bpermute_b32 v3, v2, v40
	v_cmp_lt_i32_e32 vcc, v5, v39
	v_xor_b32_e32 v6, 8, v38
	v_xor_b32_e32 v7, 4, v38
	v_and_b32_e32 v31, 63, v0
	s_waitcnt lgkmcnt(0)
	v_max_f32_e32 v3, v3, v3
	v_max_f32_e32 v4, v4, v3
	v_cndmask_b32_e32 v3, v38, v5, vcc
	v_lshlrev_b32_e32 v3, 2, v3
	ds_bpermute_b32 v5, v3, v4
	v_cmp_lt_i32_e32 vcc, v6, v39
	s_waitcnt lgkmcnt(0)
	v_max_f32_e32 v5, v5, v5
	v_max_f32_e32 v4, v4, v5
	v_cndmask_b32_e32 v5, v38, v6, vcc
	v_lshlrev_b32_e32 v6, 2, v5
	ds_bpermute_b32 v5, v6, v4
	v_cmp_lt_i32_e32 vcc, v7, v39
	s_waitcnt lgkmcnt(0)
	v_max_f32_e32 v5, v5, v5
	v_max_f32_e32 v5, v4, v5
	v_cndmask_b32_e32 v4, v38, v7, vcc
	v_lshlrev_b32_e32 v7, 2, v4
	ds_bpermute_b32 v8, v7, v5
	v_cmp_eq_u32_e32 vcc, 0, v31
	v_lshlrev_b32_e32 v4, 2, v47
	s_and_saveexec_b64 s[0:1], vcc
	s_cbranch_execz .LBB195_14
; %bb.13:
	s_waitcnt lgkmcnt(0)
	v_max_f32_e32 v8, v8, v8
	v_max_f32_e32 v5, v5, v5
	;; [unrolled: 1-line block ×3, first 2 shown]
	ds_write_b32 v4, v5 offset:448
.LBB195_14:
	s_or_b64 exec, exec, s[0:1]
	v_cmp_gt_u32_e64 s[0:1], 2, v31
	s_waitcnt lgkmcnt(0)
	v_mov_b32_e32 v8, 0xff7fffff
	v_lshlrev_b32_e32 v5, 2, v31
	s_barrier
	s_and_saveexec_b64 s[2:3], s[0:1]
	s_cbranch_execz .LBB195_16
; %bb.15:
	ds_read_b32 v8, v5 offset:448
.LBB195_16:
	s_or_b64 exec, exec, s[2:3]
	v_xor_b32_e32 v9, 1, v38
	v_cmp_lt_i32_e64 s[2:3], v9, v39
	v_lshlrev_b32_e32 v10, 2, v38
	s_nop 0
	v_cndmask_b32_e64 v9, v38, v9, s[2:3]
	v_lshlrev_b32_e32 v48, 2, v9
	s_waitcnt lgkmcnt(0)
	ds_bpermute_b32 v9, v48, v8
	v_max_f32_e32 v8, v8, v8
	s_lshl_b32 s2, s19, 4
	s_min_i32 s30, s2, s17
	v_cmp_gt_i32_e64 s[2:3], s30, v0
	s_waitcnt lgkmcnt(0)
	v_max_f32_e32 v9, v9, v9
	v_max_f32_e32 v9, v8, v9
	v_and_b32_e32 v8, 0xffffff00, v10
	ds_bpermute_b32 v10, v8, v9
	v_mov_b32_e32 v9, 0
	s_and_saveexec_b64 s[14:15], s[2:3]
	s_cbranch_execz .LBB195_20
; %bb.17:
	v_mov_b32_e32 v9, 0x1d0
	v_lshl_add_u32 v11, v0, 2, v9
	s_mov_b64 s[28:29], 0
	v_mov_b32_e32 v9, 0
	v_mov_b32_e32 v12, v0
.LBB195_18:                             ; =>This Inner Loop Header: Depth=1
	ds_read_b32 v13, v11
	v_add_u32_e32 v12, 0x80, v12
	v_cmp_le_i32_e64 s[8:9], s30, v12
	s_or_b64 s[28:29], s[8:9], s[28:29]
	s_waitcnt lgkmcnt(0)
	v_sub_f32_e32 v13, v13, v10
	v_mul_f32_e32 v13, 0x3fb8aa3b, v13
	v_exp_f32_e32 v13, v13
	ds_write_b32 v11, v13
	v_add_f32_e32 v9, v9, v13
	v_add_u32_e32 v11, 0x200, v11
	s_andn2_b64 exec, exec, s[28:29]
	s_cbranch_execnz .LBB195_18
; %bb.19:
	s_or_b64 exec, exec, s[28:29]
.LBB195_20:
	s_or_b64 exec, exec, s[14:15]
	ds_bpermute_b32 v2, v2, v9
	s_waitcnt lgkmcnt(0)
	v_add_f32_e32 v2, v9, v2
	ds_bpermute_b32 v3, v3, v2
	s_waitcnt lgkmcnt(0)
	v_add_f32_e32 v2, v2, v3
	ds_bpermute_b32 v3, v6, v2
	v_xor_b32_e32 v6, 2, v38
	v_cmp_lt_i32_e64 s[8:9], v6, v39
	s_waitcnt lgkmcnt(0)
	v_add_f32_e32 v2, v2, v3
	ds_bpermute_b32 v3, v7, v2
	v_cndmask_b32_e64 v6, v38, v6, s[8:9]
	v_lshlrev_b32_e32 v49, 2, v6
	s_waitcnt lgkmcnt(0)
	v_add_f32_e32 v2, v2, v3
	ds_bpermute_b32 v3, v49, v2
	s_waitcnt lgkmcnt(0)
	v_add_f32_e32 v2, v2, v3
	ds_bpermute_b32 v3, v48, v2
	s_waitcnt lgkmcnt(0)
	v_add_f32_e32 v2, v2, v3
	s_and_saveexec_b64 s[8:9], vcc
	s_cbranch_execz .LBB195_22
; %bb.21:
	ds_write_b32 v4, v2 offset:456
.LBB195_22:
	s_or_b64 exec, exec, s[8:9]
	s_waitcnt lgkmcnt(0)
	s_barrier
	s_and_saveexec_b64 s[8:9], s[0:1]
	s_cbranch_execz .LBB195_24
; %bb.23:
	ds_read_b32 v2, v5 offset:456
.LBB195_24:
	s_or_b64 exec, exec, s[8:9]
	s_waitcnt lgkmcnt(0)
	ds_bpermute_b32 v3, v48, v2
	s_waitcnt lgkmcnt(0)
	v_add_f32_e32 v2, v2, v3
	ds_bpermute_b32 v2, v8, v2
	s_and_saveexec_b64 s[0:1], s[2:3]
	s_cbranch_execz .LBB195_37
; %bb.25:
	s_waitcnt lgkmcnt(0)
	v_add_f32_e32 v2, 0x358637bd, v2
	v_div_scale_f32 v3, s[2:3], v2, v2, 1.0
	v_rcp_f32_e32 v4, v3
	v_div_scale_f32 v5, vcc, 1.0, v2, 1.0
	s_movk_i32 s2, 0x7f
	v_fma_f32 v6, -v3, v4, 1.0
	v_fmac_f32_e32 v4, v6, v4
	v_mul_f32_e32 v6, v5, v4
	v_fma_f32 v7, -v3, v6, v5
	v_fmac_f32_e32 v6, v7, v4
	v_fma_f32 v3, -v3, v6, v5
	v_div_fmas_f32 v3, v3, v4, v6
	v_xad_u32 v4, v0, -1, s30
	v_div_fixup_f32 v2, v3, v2, 1.0
	v_cmp_lt_u32_e32 vcc, s2, v4
	s_mov_b64 s[8:9], -1
	v_mov_b32_e32 v3, v0
	s_and_saveexec_b64 s[2:3], vcc
	s_cbranch_execz .LBB195_34
; %bb.26:
	v_lshrrev_b32_e32 v4, 7, v4
	v_add_u32_e32 v6, -1, v4
	v_lshrrev_b32_e32 v5, 1, v6
	v_mov_b32_e32 v3, v2
	v_add_u32_e32 v5, 1, v5
	v_cmp_lt_u32_e32 vcc, 13, v6
	v_mov_b32_e32 v8, 0
	s_and_saveexec_b64 s[8:9], vcc
	s_cbranch_execz .LBB195_30
; %bb.27:
	v_mov_b32_e32 v7, 0x1d0
	v_and_b32_e32 v6, -8, v5
	v_lshl_add_u32 v7, v0, 2, v7
	s_mov_b32 s28, 0
	s_mov_b64 s[14:15], 0
.LBB195_28:                             ; =>This Inner Loop Header: Depth=1
	ds_read2st64_b32 v[8:9], v7 offset1:2
	ds_read2st64_b32 v[10:11], v7 offset0:4 offset1:6
	ds_read2st64_b32 v[12:13], v7 offset0:8 offset1:10
	;; [unrolled: 1-line block ×3, first 2 shown]
	v_add_u32_e32 v6, -8, v6
	s_waitcnt lgkmcnt(3)
	v_pk_mul_f32 v[8:9], v[2:3], v[8:9]
	s_waitcnt lgkmcnt(2)
	v_pk_mul_f32 v[10:11], v[2:3], v[10:11]
	ds_write2st64_b32 v7, v8, v9 offset1:2
	ds_write2st64_b32 v7, v10, v11 offset0:4 offset1:6
	ds_read2st64_b32 v[10:11], v7 offset0:16 offset1:18
	s_waitcnt lgkmcnt(4)
	v_pk_mul_f32 v[8:9], v[2:3], v[12:13]
	ds_write2st64_b32 v7, v8, v9 offset0:8 offset1:10
	s_waitcnt lgkmcnt(4)
	v_pk_mul_f32 v[8:9], v[2:3], v[14:15]
	ds_write2st64_b32 v7, v8, v9 offset0:12 offset1:14
	ds_read2st64_b32 v[8:9], v7 offset0:20 offset1:22
	s_waitcnt lgkmcnt(3)
	v_pk_mul_f32 v[10:11], v[2:3], v[10:11]
	ds_read2st64_b32 v[12:13], v7 offset0:24 offset1:26
	ds_write2st64_b32 v7, v10, v11 offset0:16 offset1:18
	ds_read2st64_b32 v[10:11], v7 offset0:28 offset1:30
	s_waitcnt lgkmcnt(3)
	v_pk_mul_f32 v[8:9], v[2:3], v[8:9]
	ds_write2st64_b32 v7, v8, v9 offset0:20 offset1:22
	s_waitcnt lgkmcnt(3)
	v_pk_mul_f32 v[8:9], v[2:3], v[12:13]
	ds_write2st64_b32 v7, v8, v9 offset0:24 offset1:26
	s_waitcnt lgkmcnt(2)
	v_pk_mul_f32 v[8:9], v[2:3], v[10:11]
	s_add_i32 s28, s28, 16
	v_cmp_eq_u32_e32 vcc, 0, v6
	ds_write2st64_b32 v7, v8, v9 offset0:28 offset1:30
	v_add_u32_e32 v7, 0x2000, v7
	s_or_b64 s[14:15], vcc, s[14:15]
	v_mov_b32_e32 v8, s28
	s_andn2_b64 exec, exec, s[14:15]
	s_cbranch_execnz .LBB195_28
; %bb.29:
	s_or_b64 exec, exec, s[14:15]
.LBB195_30:
	s_or_b64 exec, exec, s[8:9]
	v_and_b32_e32 v5, 7, v5
	v_cmp_ne_u32_e32 vcc, 0, v5
	s_and_saveexec_b64 s[8:9], vcc
	s_cbranch_execz .LBB195_33
; %bb.31:
	v_lshlrev_b32_e32 v6, 9, v8
	s_movk_i32 s14, 0x1d0
	v_add3_u32 v6, v6, v36, s14
	s_mov_b64 s[14:15], 0
.LBB195_32:                             ; =>This Inner Loop Header: Depth=1
	ds_read2st64_b32 v[8:9], v6 offset1:2
	v_add_u32_e32 v5, -1, v5
	v_cmp_eq_u32_e32 vcc, 0, v5
	s_or_b64 s[14:15], vcc, s[14:15]
	s_waitcnt lgkmcnt(0)
	v_pk_mul_f32 v[8:9], v[2:3], v[8:9]
	ds_write2st64_b32 v6, v8, v9 offset1:2
	v_add_u32_e32 v6, 0x400, v6
	s_andn2_b64 exec, exec, s[14:15]
	s_cbranch_execnz .LBB195_32
.LBB195_33:
	s_or_b64 exec, exec, s[8:9]
	v_add_u32_e32 v4, 1, v4
	v_and_b32_e32 v5, 0x3fffffe, v4
	v_cmp_ne_u32_e32 vcc, v4, v5
	v_lshl_add_u32 v3, v5, 7, v0
	s_orn2_b64 s[8:9], vcc, exec
.LBB195_34:
	s_or_b64 exec, exec, s[2:3]
	s_and_b64 exec, exec, s[8:9]
	s_cbranch_execz .LBB195_37
; %bb.35:
	v_mov_b32_e32 v4, 0x1d0
	v_lshl_add_u32 v4, v3, 2, v4
	s_mov_b64 s[2:3], 0
.LBB195_36:                             ; =>This Inner Loop Header: Depth=1
	ds_read_b32 v5, v4
	v_add_u32_e32 v3, 0x80, v3
	v_cmp_le_i32_e32 vcc, s30, v3
	s_or_b64 s[2:3], vcc, s[2:3]
	s_waitcnt lgkmcnt(0)
	v_mul_f32_e32 v5, v2, v5
	ds_write_b32 v4, v5
	v_add_u32_e32 v4, 0x200, v4
	s_andn2_b64 exec, exec, s[2:3]
	s_cbranch_execnz .LBB195_36
.LBB195_37:
	s_or_b64 exec, exec, s[0:1]
	v_mov_b32_e32 v50, 0
	v_mov_b32_e32 v7, 0
	;; [unrolled: 1-line block ×7, first 2 shown]
	s_waitcnt lgkmcnt(0)
	s_barrier
	s_and_saveexec_b64 s[2:3], s[6:7]
	s_cbranch_execz .LBB195_55
; %bb.38:
	s_ashr_i32 s1, s33, 31
	s_load_dword s6, s[10:11], 0x0
	s_add_u32 s0, s26, s33
	s_addc_u32 s1, s27, s1
	v_and_b32_e32 v8, 0xfc, v36
	v_mov_b32_e32 v9, 0
	v_and_b32_e32 v2, 12, v36
	s_add_i32 s14, s19, -1
	v_lshl_add_u64 v[12:13], s[0:1], 0, v[8:9]
	v_lshlrev_b32_e32 v3, 4, v47
	s_lshl_b64 s[0:1], s[24:25], 2
	v_or3_b32 v51, v3, v2, 3
	v_lshlrev_b32_e32 v2, 4, v30
	s_add_u32 s0, s22, s0
	v_lshl_or_b32 v2, v47, 6, v2
	v_and_b32_e32 v8, 60, v37
	s_addc_u32 s1, s23, s1
	s_waitcnt lgkmcnt(0)
	s_mov_b32 s7, s6
	v_add_u32_e32 v52, 0x1d0, v2
	v_lshl_add_u64 v[14:15], s[0:1], 0, v[8:9]
	s_mov_b64 s[8:9], 0
	v_mov_b32_e32 v8, v9
	v_mov_b32_e32 v10, v9
	;; [unrolled: 1-line block ×6, first 2 shown]
	s_branch .LBB195_40
.LBB195_39:                             ;   in Loop: Header=BB195_40 Depth=1
	s_or_b64 exec, exec, s[0:1]
	s_waitcnt lgkmcnt(0)
	v_mul_f32_e32 v19, v3, v19
	v_fmac_f32_e32 v19, v2, v18
	v_fmac_f32_e32 v19, v4, v16
	v_mul_f32_e32 v16, v3, v25
	v_fmac_f32_e32 v16, v2, v24
	v_fmac_f32_e32 v16, v4, v22
	v_fmac_f32_e32 v16, v5, v23
	v_add_f32_e32 v9, v9, v16
	v_mul_f32_e32 v16, v3, v29
	v_fmac_f32_e32 v16, v2, v28
	v_fmac_f32_e32 v16, v4, v26
	v_fmac_f32_e32 v16, v5, v27
	v_add_f32_e32 v10, v10, v16
	;; [unrolled: 5-line block ×4, first 2 shown]
	v_mul_f32_e32 v16, v3, v43
	v_mul_f32_e32 v3, v3, v45
	v_fmac_f32_e32 v16, v2, v42
	v_fmac_f32_e32 v3, v2, v44
	;; [unrolled: 1-line block ×4, first 2 shown]
	v_add_u32_e32 v47, 2, v47
	v_fmac_f32_e32 v19, v5, v17
	v_fmac_f32_e32 v16, v5, v41
	v_fmac_f32_e32 v3, v5, v21
	v_cmp_le_i32_e32 vcc, s19, v47
	v_add_f32_e32 v8, v8, v19
	v_add_f32_e32 v7, v7, v16
	;; [unrolled: 1-line block ×3, first 2 shown]
	v_add_u32_e32 v51, 32, v51
	v_add_u32_e32 v52, 0x80, v52
	s_or_b64 s[8:9], vcc, s[8:9]
	v_lshl_add_u64 v[14:15], v[14:15], 0, 8
	s_andn2_b64 exec, exec, s[8:9]
	s_cbranch_execz .LBB195_54
.LBB195_40:                             ; =>This Inner Loop Header: Depth=1
	global_load_dword v2, v[14:15], off
	v_add_u32_e32 v53, -3, v51
	v_cmp_eq_u32_e32 vcc, s14, v47
	v_add_u32_e32 v54, -2, v51
	v_add_u32_e32 v55, -1, v51
	s_waitcnt vmcnt(0)
	v_mad_i64_i32 v[20:21], s[0:1], v2, s13, v[12:13]
	global_load_dword v16, v[20:21], off
	ds_read_b128 v[2:5], v52
	s_waitcnt vmcnt(0)
	v_and_b32_e32 v17, 0xffff, v16
	v_lshrrev_b32_e32 v18, 16, v16
	v_cvt_pk_f32_fp8_e32 v[16:17], v17
	v_cvt_pk_f32_fp8_e32 v[22:23], v18
	v_pk_mul_f32 v[18:19], s[6:7], v[16:17]
	v_pk_mul_f32 v[16:17], s[6:7], v[22:23]
	s_and_saveexec_b64 s[10:11], vcc
; %bb.41:                               ;   in Loop: Header=BB195_40 Depth=1
	v_cmp_gt_i32_e64 s[0:1], s17, v53
	s_nop 1
	v_cndmask_b32_e64 v18, 0, v18, s[0:1]
	v_cmp_gt_i32_e64 s[0:1], s17, v54
	s_nop 1
	v_cndmask_b32_e64 v19, 0, v19, s[0:1]
	v_cmp_gt_i32_e64 s[0:1], s17, v55
	s_nop 1
	v_cndmask_b32_e64 v16, 0, v16, s[0:1]
	v_cmp_gt_i32_e64 s[0:1], s17, v51
	s_nop 1
	v_cndmask_b32_e64 v17, 0, v17, s[0:1]
; %bb.42:                               ;   in Loop: Header=BB195_40 Depth=1
	s_or_b64 exec, exec, s[10:11]
	global_load_dword v22, v[20:21], off offset:256
	s_waitcnt vmcnt(0)
	v_and_b32_e32 v23, 0xffff, v22
	v_lshrrev_b32_e32 v24, 16, v22
	v_cvt_pk_f32_fp8_e32 v[22:23], v23
	v_cvt_pk_f32_fp8_e32 v[26:27], v24
	v_pk_mul_f32 v[24:25], s[6:7], v[22:23]
	v_pk_mul_f32 v[22:23], s[6:7], v[26:27]
	s_and_saveexec_b64 s[10:11], vcc
; %bb.43:                               ;   in Loop: Header=BB195_40 Depth=1
	v_cmp_gt_i32_e64 s[0:1], s17, v53
	s_nop 1
	v_cndmask_b32_e64 v24, 0, v24, s[0:1]
	v_cmp_gt_i32_e64 s[0:1], s17, v54
	s_nop 1
	v_cndmask_b32_e64 v25, 0, v25, s[0:1]
	v_cmp_gt_i32_e64 s[0:1], s17, v55
	s_nop 1
	v_cndmask_b32_e64 v22, 0, v22, s[0:1]
	v_cmp_gt_i32_e64 s[0:1], s17, v51
	s_nop 1
	v_cndmask_b32_e64 v23, 0, v23, s[0:1]
; %bb.44:                               ;   in Loop: Header=BB195_40 Depth=1
	s_or_b64 exec, exec, s[10:11]
	global_load_dword v26, v[20:21], off offset:512
	;; [unrolled: 24-line block ×6, first 2 shown]
	s_waitcnt vmcnt(0)
	v_and_b32_e32 v21, 0xffff, v20
	v_lshrrev_b32_e32 v44, 16, v20
	v_cvt_pk_f32_fp8_e32 v[20:21], v21
	v_cvt_pk_f32_fp8_e32 v[56:57], v44
	v_pk_mul_f32 v[44:45], s[6:7], v[20:21]
	v_pk_mul_f32 v[20:21], s[6:7], v[56:57]
	s_and_saveexec_b64 s[0:1], vcc
	s_cbranch_execz .LBB195_39
; %bb.53:                               ;   in Loop: Header=BB195_40 Depth=1
	v_cmp_gt_i32_e32 vcc, s17, v53
	s_nop 1
	v_cndmask_b32_e32 v44, 0, v44, vcc
	v_cmp_gt_i32_e32 vcc, s17, v54
	s_nop 1
	v_cndmask_b32_e32 v45, 0, v45, vcc
	;; [unrolled: 3-line block ×4, first 2 shown]
	s_branch .LBB195_39
.LBB195_54:
	s_or_b64 exec, exec, s[8:9]
.LBB195_55:
	s_or_b64 exec, exec, s[2:3]
	ds_bpermute_b32 v2, v49, v8
	ds_bpermute_b32 v3, v49, v9
	;; [unrolled: 1-line block ×7, first 2 shown]
	s_waitcnt lgkmcnt(5)
	v_pk_add_f32 v[2:3], v[8:9], v[2:3]
	s_waitcnt lgkmcnt(3)
	v_pk_add_f32 v[6:7], v[6:7], v[12:13]
	ds_bpermute_b32 v8, v48, v2
	ds_bpermute_b32 v9, v48, v3
	s_waitcnt lgkmcnt(3)
	v_pk_add_f32 v[4:5], v[10:11], v[4:5]
	ds_bpermute_b32 v12, v48, v6
	ds_bpermute_b32 v13, v48, v7
	s_waitcnt lgkmcnt(4)
	v_add_f32_e32 v14, v50, v14
	ds_bpermute_b32 v10, v48, v4
	ds_bpermute_b32 v11, v48, v5
	;; [unrolled: 1-line block ×3, first 2 shown]
	s_waitcnt lgkmcnt(5)
	v_pk_add_f32 v[8:9], v[2:3], v[8:9]
	s_waitcnt lgkmcnt(3)
	v_pk_add_f32 v[2:3], v[6:7], v[12:13]
	v_and_b32_e32 v7, 0x3c3, v0
	s_waitcnt lgkmcnt(1)
	v_pk_add_f32 v[4:5], v[4:5], v[10:11]
	s_waitcnt lgkmcnt(0)
	v_add_f32_e32 v6, v14, v15
	v_cmp_eq_u32_e32 vcc, 64, v7
	s_barrier
	s_and_saveexec_b64 s[0:1], vcc
	s_cbranch_execz .LBB195_57
; %bb.56:
	v_add_u32_e32 v10, 0x1d0, v31
	ds_write2_b32 v10, v8, v9 offset1:16
	ds_write2_b32 v10, v4, v5 offset0:32 offset1:48
	ds_write2_b32 v10, v2, v3 offset0:64 offset1:80
	ds_write_b32 v10, v6 offset:384
.LBB195_57:
	s_or_b64 exec, exec, s[0:1]
	v_cmp_gt_u32_e32 vcc, 64, v0
	s_waitcnt lgkmcnt(0)
	s_barrier
	s_and_saveexec_b64 s[0:1], vcc
	s_cbranch_execz .LBB195_67
; %bb.58:
	v_cmp_eq_u32_e32 vcc, 0, v30
	s_and_saveexec_b64 s[2:3], vcc
	s_cbranch_execnz .LBB195_70
; %bb.59:
	s_or_b64 exec, exec, s[2:3]
	s_and_saveexec_b64 s[2:3], vcc
	s_cbranch_execnz .LBB195_71
.LBB195_60:
	s_or_b64 exec, exec, s[2:3]
	s_and_saveexec_b64 s[2:3], vcc
	s_cbranch_execnz .LBB195_72
.LBB195_61:
	s_or_b64 exec, exec, s[2:3]
	s_and_saveexec_b64 s[2:3], vcc
	s_cbranch_execnz .LBB195_73
.LBB195_62:
	s_or_b64 exec, exec, s[2:3]
	s_and_saveexec_b64 s[2:3], vcc
	s_cbranch_execnz .LBB195_74
.LBB195_63:
	s_or_b64 exec, exec, s[2:3]
	s_and_saveexec_b64 s[2:3], vcc
	s_cbranch_execnz .LBB195_75
.LBB195_64:
	s_or_b64 exec, exec, s[2:3]
	s_and_saveexec_b64 s[2:3], vcc
	s_cbranch_execz .LBB195_66
.LBB195_65:
	v_mov_b32_e32 v0, 0x1d0
	v_lshl_add_u32 v0, v46, 2, v0
	ds_read_b32 v0, v0 offset:384
	s_waitcnt lgkmcnt(0)
	v_add_f32_e32 v6, v6, v0
.LBB195_66:
	s_or_b64 exec, exec, s[2:3]
.LBB195_67:
	s_or_b64 exec, exec, s[0:1]
	v_cmp_eq_u32_e32 vcc, 0, v7
	s_barrier
	s_and_saveexec_b64 s[0:1], vcc
	s_cbranch_execz .LBB195_69
; %bb.68:
	s_mul_i32 s0, s16, s12
	s_mul_i32 s0, s0, s5
	s_mulk_i32 s0, 0x70
	s_ashr_i32 s1, s0, 31
	s_lshl_b64 s[0:1], s[0:1], 2
	s_add_u32 s2, s20, s0
	s_mul_i32 s0, s12, s18
	s_addc_u32 s3, s21, s1
	s_ashr_i32 s1, s0, 31
	s_lshl_b64 s[0:1], s[0:1], 2
	s_add_u32 s2, s2, s0
	s_mul_i32 s0, s4, 0x70
	s_addc_u32 s3, s3, s1
	s_ashr_i32 s1, s0, 31
	s_lshl_b64 s[0:1], s[0:1], 2
	s_add_u32 s0, s2, s0
	s_addc_u32 s1, s3, s1
	global_store_dword v1, v8, s[0:1]
	global_store_dword v1, v9, s[0:1] offset:64
	global_store_dword v1, v4, s[0:1] offset:128
	global_store_dword v1, v5, s[0:1] offset:192
	global_store_dword v1, v2, s[0:1] offset:256
	global_store_dword v1, v3, s[0:1] offset:320
	global_store_dword v1, v6, s[0:1] offset:384
.LBB195_69:
	s_endpgm
.LBB195_70:
	v_mov_b32_e32 v0, 0x1d0
	v_lshl_add_u32 v0, v46, 2, v0
	ds_read_b32 v0, v0
	s_waitcnt lgkmcnt(0)
	v_add_f32_e32 v8, v8, v0
	s_or_b64 exec, exec, s[2:3]
	s_and_saveexec_b64 s[2:3], vcc
	s_cbranch_execz .LBB195_60
.LBB195_71:
	v_mov_b32_e32 v0, 0x1d0
	v_lshl_add_u32 v0, v46, 2, v0
	ds_read_b32 v0, v0 offset:64
	s_waitcnt lgkmcnt(0)
	v_add_f32_e32 v9, v9, v0
	s_or_b64 exec, exec, s[2:3]
	s_and_saveexec_b64 s[2:3], vcc
	s_cbranch_execz .LBB195_61
.LBB195_72:
	v_mov_b32_e32 v0, 0x1d0
	v_lshl_add_u32 v0, v46, 2, v0
	ds_read_b32 v0, v0 offset:128
	s_waitcnt lgkmcnt(0)
	v_add_f32_e32 v4, v4, v0
	s_or_b64 exec, exec, s[2:3]
	s_and_saveexec_b64 s[2:3], vcc
	s_cbranch_execz .LBB195_62
.LBB195_73:
	v_mov_b32_e32 v0, 0x1d0
	v_lshl_add_u32 v0, v46, 2, v0
	ds_read_b32 v0, v0 offset:192
	s_waitcnt lgkmcnt(0)
	v_add_f32_e32 v5, v5, v0
	s_or_b64 exec, exec, s[2:3]
	s_and_saveexec_b64 s[2:3], vcc
	s_cbranch_execz .LBB195_63
.LBB195_74:
	v_mov_b32_e32 v0, 0x1d0
	v_lshl_add_u32 v0, v46, 2, v0
	ds_read_b32 v0, v0 offset:256
	s_waitcnt lgkmcnt(0)
	v_add_f32_e32 v2, v2, v0
	s_or_b64 exec, exec, s[2:3]
	s_and_saveexec_b64 s[2:3], vcc
	s_cbranch_execz .LBB195_64
.LBB195_75:
	v_mov_b32_e32 v0, 0x1d0
	v_lshl_add_u32 v0, v46, 2, v0
	ds_read_b32 v0, v0 offset:320
	s_waitcnt lgkmcnt(0)
	v_add_f32_e32 v3, v3, v0
	s_or_b64 exec, exec, s[2:3]
	s_and_saveexec_b64 s[2:3], vcc
	s_cbranch_execnz .LBB195_65
	s_branch .LBB195_66
	.section	.rodata,"a",@progbits
	.p2align	6, 0x0
	.amdhsa_kernel _ZN4vllm25paged_attention_v1_kernelIfhLi112ELi16ELi128ELNS_18Fp8KVCacheDataTypeE1ELb0EEEvPT_PKS2_PKT0_S8_ifPKiSA_iPKfiiiSC_SC_iiiii
		.amdhsa_group_segment_fixed_size 464
		.amdhsa_private_segment_fixed_size 0
		.amdhsa_kernarg_size 384
		.amdhsa_user_sgpr_count 2
		.amdhsa_user_sgpr_dispatch_ptr 0
		.amdhsa_user_sgpr_queue_ptr 0
		.amdhsa_user_sgpr_kernarg_segment_ptr 1
		.amdhsa_user_sgpr_dispatch_id 0
		.amdhsa_user_sgpr_kernarg_preload_length 0
		.amdhsa_user_sgpr_kernarg_preload_offset 0
		.amdhsa_user_sgpr_private_segment_size 0
		.amdhsa_uses_dynamic_stack 0
		.amdhsa_enable_private_segment 0
		.amdhsa_system_sgpr_workgroup_id_x 1
		.amdhsa_system_sgpr_workgroup_id_y 1
		.amdhsa_system_sgpr_workgroup_id_z 1
		.amdhsa_system_sgpr_workgroup_info 0
		.amdhsa_system_vgpr_workitem_id 0
		.amdhsa_next_free_vgpr 77
		.amdhsa_next_free_sgpr 37
		.amdhsa_accum_offset 80
		.amdhsa_reserve_vcc 1
		.amdhsa_float_round_mode_32 0
		.amdhsa_float_round_mode_16_64 0
		.amdhsa_float_denorm_mode_32 3
		.amdhsa_float_denorm_mode_16_64 3
		.amdhsa_dx10_clamp 1
		.amdhsa_ieee_mode 1
		.amdhsa_fp16_overflow 0
		.amdhsa_tg_split 0
		.amdhsa_exception_fp_ieee_invalid_op 0
		.amdhsa_exception_fp_denorm_src 0
		.amdhsa_exception_fp_ieee_div_zero 0
		.amdhsa_exception_fp_ieee_overflow 0
		.amdhsa_exception_fp_ieee_underflow 0
		.amdhsa_exception_fp_ieee_inexact 0
		.amdhsa_exception_int_div_zero 0
	.end_amdhsa_kernel
	.section	.text._ZN4vllm25paged_attention_v1_kernelIfhLi112ELi16ELi128ELNS_18Fp8KVCacheDataTypeE1ELb0EEEvPT_PKS2_PKT0_S8_ifPKiSA_iPKfiiiSC_SC_iiiii,"axG",@progbits,_ZN4vllm25paged_attention_v1_kernelIfhLi112ELi16ELi128ELNS_18Fp8KVCacheDataTypeE1ELb0EEEvPT_PKS2_PKT0_S8_ifPKiSA_iPKfiiiSC_SC_iiiii,comdat
.Lfunc_end195:
	.size	_ZN4vllm25paged_attention_v1_kernelIfhLi112ELi16ELi128ELNS_18Fp8KVCacheDataTypeE1ELb0EEEvPT_PKS2_PKT0_S8_ifPKiSA_iPKfiiiSC_SC_iiiii, .Lfunc_end195-_ZN4vllm25paged_attention_v1_kernelIfhLi112ELi16ELi128ELNS_18Fp8KVCacheDataTypeE1ELb0EEEvPT_PKS2_PKT0_S8_ifPKiSA_iPKfiiiSC_SC_iiiii
                                        ; -- End function
	.section	.AMDGPU.csdata,"",@progbits
; Kernel info:
; codeLenInByte = 5380
; NumSgprs: 43
; NumVgprs: 77
; NumAgprs: 0
; TotalNumVgprs: 77
; ScratchSize: 0
; MemoryBound: 0
; FloatMode: 240
; IeeeMode: 1
; LDSByteSize: 464 bytes/workgroup (compile time only)
; SGPRBlocks: 5
; VGPRBlocks: 9
; NumSGPRsForWavesPerEU: 43
; NumVGPRsForWavesPerEU: 77
; AccumOffset: 80
; Occupancy: 6
; WaveLimiterHint : 1
; COMPUTE_PGM_RSRC2:SCRATCH_EN: 0
; COMPUTE_PGM_RSRC2:USER_SGPR: 2
; COMPUTE_PGM_RSRC2:TRAP_HANDLER: 0
; COMPUTE_PGM_RSRC2:TGID_X_EN: 1
; COMPUTE_PGM_RSRC2:TGID_Y_EN: 1
; COMPUTE_PGM_RSRC2:TGID_Z_EN: 1
; COMPUTE_PGM_RSRC2:TIDIG_COMP_CNT: 0
; COMPUTE_PGM_RSRC3_GFX90A:ACCUM_OFFSET: 19
; COMPUTE_PGM_RSRC3_GFX90A:TG_SPLIT: 0
	.section	.text._ZN4vllm25paged_attention_v1_kernelIfhLi120ELi16ELi128ELNS_18Fp8KVCacheDataTypeE1ELb0EEEvPT_PKS2_PKT0_S8_ifPKiSA_iPKfiiiSC_SC_iiiii,"axG",@progbits,_ZN4vllm25paged_attention_v1_kernelIfhLi120ELi16ELi128ELNS_18Fp8KVCacheDataTypeE1ELb0EEEvPT_PKS2_PKT0_S8_ifPKiSA_iPKfiiiSC_SC_iiiii,comdat
	.protected	_ZN4vllm25paged_attention_v1_kernelIfhLi120ELi16ELi128ELNS_18Fp8KVCacheDataTypeE1ELb0EEEvPT_PKS2_PKT0_S8_ifPKiSA_iPKfiiiSC_SC_iiiii ; -- Begin function _ZN4vllm25paged_attention_v1_kernelIfhLi120ELi16ELi128ELNS_18Fp8KVCacheDataTypeE1ELb0EEEvPT_PKS2_PKT0_S8_ifPKiSA_iPKfiiiSC_SC_iiiii
	.globl	_ZN4vllm25paged_attention_v1_kernelIfhLi120ELi16ELi128ELNS_18Fp8KVCacheDataTypeE1ELb0EEEvPT_PKS2_PKT0_S8_ifPKiSA_iPKfiiiSC_SC_iiiii
	.p2align	8
	.type	_ZN4vllm25paged_attention_v1_kernelIfhLi120ELi16ELi128ELNS_18Fp8KVCacheDataTypeE1ELb0EEEvPT_PKS2_PKT0_S8_ifPKiSA_iPKfiiiSC_SC_iiiii,@function
_ZN4vllm25paged_attention_v1_kernelIfhLi120ELi16ELi128ELNS_18Fp8KVCacheDataTypeE1ELb0EEEvPT_PKS2_PKT0_S8_ifPKiSA_iPKfiiiSC_SC_iiiii: ; @_ZN4vllm25paged_attention_v1_kernelIfhLi120ELi16ELi128ELNS_18Fp8KVCacheDataTypeE1ELb0EEEvPT_PKS2_PKT0_S8_ifPKiSA_iPKfiiiSC_SC_iiiii
; %bb.0:
	s_load_dword s5, s[0:1], 0x80
	s_load_dwordx2 s[6:7], s[0:1], 0x30
	s_load_dwordx2 s[28:29], s[0:1], 0x20
	s_mov_b32 s16, s3
	s_ashr_i32 s17, s3, 31
	s_lshl_b64 s[8:9], s[16:17], 2
	s_waitcnt lgkmcnt(0)
	s_add_u32 s6, s6, s8
	s_addc_u32 s7, s7, s9
	s_abs_i32 s3, s28
	v_cvt_f32_u32_e32 v1, s3
	s_sub_i32 s10, 0, s3
	s_abs_i32 s9, s5
	s_xor_b32 s8, s5, s28
	v_rcp_iflag_f32_e32 v1, v1
	s_ashr_i32 s8, s8, 31
	s_mov_b32 s28, 0
	v_mul_f32_e32 v1, 0x4f7ffffe, v1
	v_cvt_u32_f32_e32 v1, v1
	s_nop 0
	v_readfirstlane_b32 s11, v1
	s_mul_i32 s10, s10, s11
	s_mul_hi_u32 s10, s11, s10
	s_add_i32 s11, s11, s10
	s_mul_hi_u32 s10, s9, s11
	s_mul_i32 s11, s10, s3
	s_sub_i32 s9, s9, s11
	s_add_i32 s11, s10, 1
	s_sub_i32 s12, s9, s3
	s_cmp_ge_u32 s9, s3
	s_cselect_b32 s10, s11, s10
	s_cselect_b32 s9, s12, s9
	s_add_i32 s11, s10, 1
	s_cmp_ge_u32 s9, s3
	s_cselect_b32 s3, s11, s10
	s_xor_b32 s3, s3, s8
	s_sub_i32 s12, s3, s8
	s_abs_i32 s10, s12
	v_cvt_f32_u32_e32 v1, s10
	s_load_dwordx2 s[8:9], s[0:1], 0x40
	s_sub_i32 s3, 0, s10
	s_abs_i32 s11, s2
	v_rcp_iflag_f32_e32 v1, v1
	s_nop 0
	v_mul_f32_e32 v1, 0x4f7ffffe, v1
	v_cvt_u32_f32_e32 v1, v1
	s_nop 0
	v_readfirstlane_b32 s13, v1
	s_mul_i32 s3, s3, s13
	s_mul_hi_u32 s3, s13, s3
	s_add_i32 s13, s13, s3
	s_waitcnt lgkmcnt(0)
	s_cmp_eq_u64 s[8:9], 0
	s_mul_hi_u32 s17, s11, s13
	s_cbranch_scc1 .LBB196_2
; %bb.1:
	s_ashr_i32 s3, s2, 31
	s_lshl_b64 s[14:15], s[2:3], 2
	s_add_u32 s8, s8, s14
	s_addc_u32 s9, s9, s15
	s_load_dword s28, s[8:9], 0x0
.LBB196_2:
	s_load_dword s33, s[6:7], 0x0
	s_ashr_i32 s7, s12, 31
	s_load_dwordx4 s[12:15], s[0:1], 0x48
	v_lshrrev_b32_e32 v56, 2, v0
	s_movk_i32 s8, 0x78
	s_ashr_i32 s6, s2, 31
	v_and_b32_e32 v30, 3, v0
	s_mul_i32 s18, s2, 0x78
	v_cmp_gt_u32_e32 vcc, s8, v0
	v_lshlrev_b32_e32 v38, 2, v0
	v_lshlrev_b32_e32 v1, 2, v56
	s_and_saveexec_b64 s[2:3], vcc
	s_cbranch_execz .LBB196_4
; %bb.3:
	s_load_dwordx2 s[20:21], s[0:1], 0x8
	s_waitcnt lgkmcnt(0)
	s_mul_i32 s22, s16, s12
	s_ashr_i32 s23, s22, 31
	s_lshl_b64 s[22:23], s[22:23], 2
	v_mad_u32_u24 v3, v30, s8, v1
	s_add_u32 s9, s20, s22
	s_addc_u32 s12, s21, s23
	s_ashr_i32 s19, s18, 31
	s_lshl_b64 s[20:21], s[18:19], 2
	s_add_u32 s20, s9, s20
	s_addc_u32 s21, s12, s21
	global_load_dword v2, v38, s[20:21]
	s_waitcnt vmcnt(0)
	ds_write_b32 v3, v2
.LBB196_4:
	s_or_b64 exec, exec, s[2:3]
	s_waitcnt lgkmcnt(0)
	s_add_i32 s3, s33, 15
	s_ashr_i32 s8, s3, 31
	s_lshr_b32 s8, s8, 28
	s_add_i32 s3, s3, s8
	s_ashr_i32 s19, s3, 4
	s_xor_b32 s3, s6, s7
	s_mul_i32 s6, s17, s10
	s_sub_i32 s6, s11, s6
	s_add_i32 s7, s17, 1
	s_sub_i32 s8, s6, s10
	s_load_dwordx2 s[22:23], s[0:1], 0x28
	s_load_dword s2, s[0:1], 0x38
	s_cmp_ge_u32 s6, s10
	s_cselect_b32 s7, s7, s17
	s_cselect_b32 s6, s8, s6
	s_add_i32 s8, s7, 1
	s_cmp_ge_u32 s6, s10
	s_cselect_b32 s6, s8, s7
	v_lshrrev_b32_e32 v57, 6, v0
	s_xor_b32 s6, s6, s3
	s_waitcnt lgkmcnt(0)
	s_mul_i32 s24, s16, s2
	s_sub_i32 s12, s6, s3
	s_ashr_i32 s25, s24, 31
	v_cmp_gt_i32_e64 s[6:7], s19, v57
	v_cmp_le_i32_e32 vcc, s19, v57
	v_mbcnt_lo_u32_b32 v31, -1, 0
	s_barrier
	s_waitcnt lgkmcnt(0)
                                        ; implicit-def: $sgpr15
                                        ; implicit-def: $vgpr40
                                        ; implicit-def: $vgpr41
	s_and_saveexec_b64 s[2:3], vcc
	s_xor_b64 s[2:3], exec, s[2:3]
; %bb.5:
	v_mbcnt_hi_u32_b32 v40, -1, v31
	v_and_b32_e32 v2, 64, v40
	v_add_u32_e32 v41, 64, v2
	s_mov_b32 s15, 0xff7fffff
                                        ; implicit-def: $vgpr31
; %bb.6:
	s_or_saveexec_b64 s[30:31], s[2:3]
	s_load_dwordx2 s[20:21], s[0:1], 0x0
	s_load_dwordx2 s[26:27], s[0:1], 0x18
	s_load_dword s17, s[0:1], 0x88
	s_load_dwordx4 s[8:11], s[0:1], 0x58
	v_mov_b32_e32 v42, s15
	s_mul_i32 s12, s12, s14
	v_lshrrev_b32_e32 v39, 4, v0
	s_xor_b64 exec, exec, s[30:31]
	s_cbranch_execz .LBB196_12
; %bb.7:
	v_mul_u32_u24_e32 v34, 0x78, v30
	s_load_dwordx2 s[0:1], s[0:1], 0x10
	ds_read2_b64 v[2:5], v34 offset1:1
	ds_read2_b64 v[6:9], v34 offset0:2 offset1:3
	ds_read2_b64 v[10:13], v34 offset0:4 offset1:5
	;; [unrolled: 1-line block ×6, first 2 shown]
	ds_read_b64 v[34:35], v34 offset:112
	v_mbcnt_hi_u32_b32 v40, -1, v31
	v_and_b32_e32 v31, 64, v40
	s_ashr_i32 s2, s12, 31
	v_add_u32_e32 v41, 64, v31
	v_xor_b32_e32 v31, 2, v40
	v_bfe_u32 v42, v0, 2, 4
	s_waitcnt lgkmcnt(0)
	s_add_u32 s0, s0, s12
	v_cmp_lt_i32_e32 vcc, v31, v41
	v_lshlrev_b32_e32 v36, 4, v42
	s_addc_u32 s1, s1, s2
	v_mov_b32_e32 v37, 0
	v_cndmask_b32_e32 v31, v40, v31, vcc
	s_load_dword s35, s[8:9], 0x0
	v_lshl_add_u64 v[32:33], s[0:1], 0, v[36:37]
	v_lshlrev_b32_e32 v43, 2, v31
	v_xor_b32_e32 v31, 1, v40
	s_sub_i32 s36, 1, s33
	v_lshlrev_b32_e32 v36, 2, v42
	s_lshl_b64 s[0:1], s[24:25], 2
	v_cmp_lt_i32_e32 vcc, v31, v41
	v_lshl_or_b32 v36, v57, 6, v36
	s_add_u32 s0, s22, s0
	v_cndmask_b32_e32 v31, v40, v31, vcc
	v_add_u32_e32 v46, 0x1f0, v36
	v_and_b32_e32 v36, 60, v39
	s_addc_u32 s1, s23, s1
	s_mov_b32 s34, s13
	v_lshlrev_b32_e32 v44, 2, v31
	v_cmp_eq_u32_e32 vcc, 0, v30
	v_cmp_neq_f32_e64 s[2:3], s28, 0
	v_mov_b32_e32 v31, v37
	v_lshl_or_b32 v45, v57, 4, v42
	v_lshl_add_u64 v[36:37], s[0:1], 0, v[36:37]
	s_mov_b64 s[8:9], 0
	v_mov_b32_e32 v42, 0xff7fffff
	v_mov_b32_e32 v47, v57
	s_branch .LBB196_9
.LBB196_8:                              ;   in Loop: Header=BB196_9 Depth=1
	s_or_b64 exec, exec, s[14:15]
	v_add_u32_e32 v47, 2, v47
	v_cmp_le_i32_e64 s[0:1], s19, v47
	v_add_u32_e32 v45, 32, v45
	v_add_u32_e32 v46, 0x80, v46
	s_or_b64 s[8:9], s[0:1], s[8:9]
	v_lshl_add_u64 v[36:37], v[36:37], 0, 8
	s_andn2_b64 exec, exec, s[8:9]
	s_cbranch_execz .LBB196_11
.LBB196_9:                              ; =>This Inner Loop Header: Depth=1
	global_load_dword v48, v[36:37], off
	s_waitcnt vmcnt(0) lgkmcnt(0)
	v_mad_i64_i32 v[48:49], s[0:1], v48, s34, v[32:33]
	v_lshl_add_u64 v[48:49], v[48:49], 0, v[30:31]
	global_load_ubyte v50, v[48:49], off
	global_load_ubyte v51, v[48:49], off offset:4
	global_load_ubyte v52, v[48:49], off offset:8
	global_load_ubyte v53, v[48:49], off offset:12
	global_load_ubyte v54, v[48:49], off offset:256
	global_load_ubyte v55, v[48:49], off offset:260
	global_load_ubyte v58, v[48:49], off offset:264
	global_load_ubyte v59, v[48:49], off offset:268
	global_load_ubyte v60, v[48:49], off offset:512
	global_load_ubyte v61, v[48:49], off offset:516
	global_load_ubyte v62, v[48:49], off offset:520
	global_load_ubyte v63, v[48:49], off offset:524
	global_load_ubyte v64, v[48:49], off offset:768
	global_load_ubyte v65, v[48:49], off offset:772
	global_load_ubyte v66, v[48:49], off offset:776
	global_load_ubyte v67, v[48:49], off offset:780
	global_load_ubyte v68, v[48:49], off offset:1024
	global_load_ubyte v69, v[48:49], off offset:1028
	global_load_ubyte v70, v[48:49], off offset:1032
	global_load_ubyte v71, v[48:49], off offset:1036
	global_load_ubyte v72, v[48:49], off offset:1280
	global_load_ubyte v73, v[48:49], off offset:1284
	global_load_ubyte v74, v[48:49], off offset:1288
	global_load_ubyte v75, v[48:49], off offset:1292
	global_load_ubyte v76, v[48:49], off offset:1536
	global_load_ubyte v77, v[48:49], off offset:1540
	global_load_ubyte v78, v[48:49], off offset:1544
	global_load_ubyte v79, v[48:49], off offset:1548
	global_load_ubyte v80, v[48:49], off offset:1792
	s_nop 0
	global_load_ubyte v48, v[48:49], off offset:1796
	s_waitcnt vmcnt(29)
	v_cvt_f32_fp8_sdwa v49, v50 src0_sel:BYTE_0
	s_waitcnt vmcnt(28)
	v_cvt_f32_fp8_sdwa v50, v51 src0_sel:BYTE_0
	;; [unrolled: 2-line block ×5, first 2 shown]
	s_waitcnt lgkmcnt(0)
	v_mul_f32_e32 v50, s35, v50
	s_waitcnt vmcnt(24)
	v_cvt_f32_fp8_sdwa v54, v55 src0_sel:BYTE_0
	v_mul_f32_e32 v49, s35, v49
	v_mul_f32_e32 v50, v3, v50
	s_waitcnt vmcnt(23)
	v_cvt_f32_fp8_sdwa v55, v58 src0_sel:BYTE_0
	v_mul_f32_e32 v51, s35, v51
	v_fmac_f32_e32 v50, v2, v49
	s_waitcnt vmcnt(22)
	v_cvt_f32_fp8_sdwa v58, v59 src0_sel:BYTE_0
	v_mul_f32_e32 v52, s35, v52
	v_fmac_f32_e32 v50, v4, v51
	s_waitcnt vmcnt(21)
	v_cvt_f32_fp8_sdwa v59, v60 src0_sel:BYTE_0
	v_mul_f32_e32 v53, s35, v53
	v_fmac_f32_e32 v50, v5, v52
	s_waitcnt vmcnt(20)
	v_cvt_f32_fp8_sdwa v60, v61 src0_sel:BYTE_0
	v_mul_f32_e32 v54, s35, v54
	v_fmac_f32_e32 v50, v6, v53
	s_waitcnt vmcnt(19)
	v_cvt_f32_fp8_sdwa v61, v62 src0_sel:BYTE_0
	v_mul_f32_e32 v55, s35, v55
	v_fmac_f32_e32 v50, v7, v54
	s_waitcnt vmcnt(18)
	v_cvt_f32_fp8_sdwa v62, v63 src0_sel:BYTE_0
	v_mul_f32_e32 v58, s35, v58
	v_fmac_f32_e32 v50, v8, v55
	s_waitcnt vmcnt(17)
	v_cvt_f32_fp8_sdwa v63, v64 src0_sel:BYTE_0
	v_mul_f32_e32 v59, s35, v59
	v_fmac_f32_e32 v50, v9, v58
	s_waitcnt vmcnt(16)
	v_cvt_f32_fp8_sdwa v64, v65 src0_sel:BYTE_0
	v_mul_f32_e32 v60, s35, v60
	v_fmac_f32_e32 v50, v10, v59
	s_waitcnt vmcnt(15)
	v_cvt_f32_fp8_sdwa v65, v66 src0_sel:BYTE_0
	v_mul_f32_e32 v61, s35, v61
	v_fmac_f32_e32 v50, v11, v60
	s_waitcnt vmcnt(14)
	v_cvt_f32_fp8_sdwa v66, v67 src0_sel:BYTE_0
	v_mul_f32_e32 v62, s35, v62
	v_fmac_f32_e32 v50, v12, v61
	s_waitcnt vmcnt(13)
	v_cvt_f32_fp8_sdwa v67, v68 src0_sel:BYTE_0
	v_mul_f32_e32 v63, s35, v63
	v_fmac_f32_e32 v50, v13, v62
	s_waitcnt vmcnt(12)
	v_cvt_f32_fp8_sdwa v68, v69 src0_sel:BYTE_0
	v_mul_f32_e32 v64, s35, v64
	v_fmac_f32_e32 v50, v14, v63
	s_waitcnt vmcnt(11)
	v_cvt_f32_fp8_sdwa v69, v70 src0_sel:BYTE_0
	v_mul_f32_e32 v65, s35, v65
	v_fmac_f32_e32 v50, v15, v64
	s_waitcnt vmcnt(10)
	v_cvt_f32_fp8_sdwa v70, v71 src0_sel:BYTE_0
	v_mul_f32_e32 v66, s35, v66
	v_fmac_f32_e32 v50, v16, v65
	s_waitcnt vmcnt(9)
	v_cvt_f32_fp8_sdwa v71, v72 src0_sel:BYTE_0
	v_mul_f32_e32 v67, s35, v67
	v_fmac_f32_e32 v50, v17, v66
	s_waitcnt vmcnt(8)
	v_cvt_f32_fp8_sdwa v72, v73 src0_sel:BYTE_0
	v_mul_f32_e32 v68, s35, v68
	v_fmac_f32_e32 v50, v18, v67
	s_waitcnt vmcnt(7)
	v_cvt_f32_fp8_sdwa v73, v74 src0_sel:BYTE_0
	v_mul_f32_e32 v69, s35, v69
	v_fmac_f32_e32 v50, v19, v68
	s_waitcnt vmcnt(6)
	v_cvt_f32_fp8_sdwa v74, v75 src0_sel:BYTE_0
	v_mul_f32_e32 v70, s35, v70
	v_fmac_f32_e32 v50, v20, v69
	s_waitcnt vmcnt(5)
	v_cvt_f32_fp8_sdwa v75, v76 src0_sel:BYTE_0
	v_mul_f32_e32 v71, s35, v71
	v_fmac_f32_e32 v50, v21, v70
	s_waitcnt vmcnt(4)
	v_cvt_f32_fp8_sdwa v76, v77 src0_sel:BYTE_0
	v_mul_f32_e32 v72, s35, v72
	v_fmac_f32_e32 v50, v22, v71
	s_waitcnt vmcnt(3)
	v_cvt_f32_fp8_sdwa v77, v78 src0_sel:BYTE_0
	v_mul_f32_e32 v73, s35, v73
	v_fmac_f32_e32 v50, v23, v72
	s_waitcnt vmcnt(2)
	v_cvt_f32_fp8_sdwa v78, v79 src0_sel:BYTE_0
	v_mul_f32_e32 v74, s35, v74
	v_fmac_f32_e32 v50, v24, v73
	s_waitcnt vmcnt(1)
	v_cvt_f32_fp8_sdwa v79, v80 src0_sel:BYTE_0
	v_mul_f32_e32 v75, s35, v75
	v_fmac_f32_e32 v50, v25, v74
	s_waitcnt vmcnt(0)
	v_cvt_f32_fp8_sdwa v48, v48 src0_sel:BYTE_0
	v_mul_f32_e32 v76, s35, v76
	v_fmac_f32_e32 v50, v26, v75
	v_mul_f32_e32 v77, s35, v77
	v_fmac_f32_e32 v50, v27, v76
	v_mul_f32_e32 v78, s35, v78
	v_fmac_f32_e32 v50, v28, v77
	;; [unrolled: 2-line block ×4, first 2 shown]
	v_fmac_f32_e32 v50, v35, v48
	ds_bpermute_b32 v48, v43, v50
	s_waitcnt lgkmcnt(0)
	v_add_f32_e32 v48, v50, v48
	ds_bpermute_b32 v49, v44, v48
	s_and_saveexec_b64 s[14:15], vcc
	s_cbranch_execz .LBB196_8
; %bb.10:                               ;   in Loop: Header=BB196_9 Depth=1
	v_add_u32_e32 v50, s36, v45
	v_cvt_f32_i32_e32 v50, v50
	s_waitcnt lgkmcnt(0)
	v_add_f32_e32 v48, v48, v49
	v_cmp_gt_i32_e64 s[0:1], s33, v45
	v_max_f32_e32 v49, v42, v42
	v_mul_f32_e32 v50, s28, v50
	v_cndmask_b32_e64 v50, 0, v50, s[2:3]
	v_fmac_f32_e32 v50, s29, v48
	v_cndmask_b32_e64 v48, 0, v50, s[0:1]
	ds_write_b32 v46, v48
	v_max_f32_e32 v48, v49, v50
	v_cndmask_b32_e64 v42, v42, v48, s[0:1]
	s_branch .LBB196_8
.LBB196_11:
	s_or_b64 exec, exec, s[8:9]
.LBB196_12:
	s_or_b64 exec, exec, s[30:31]
	v_xor_b32_e32 v2, 32, v40
	v_cmp_lt_i32_e32 vcc, v2, v41
	v_xor_b32_e32 v5, 16, v40
	v_max_f32_e32 v4, v42, v42
	v_cndmask_b32_e32 v2, v40, v2, vcc
	v_lshlrev_b32_e32 v2, 2, v2
	ds_bpermute_b32 v3, v2, v42
	v_cmp_lt_i32_e32 vcc, v5, v41
	v_xor_b32_e32 v6, 8, v40
	v_xor_b32_e32 v8, 4, v40
	s_waitcnt lgkmcnt(0)
	v_max_f32_e32 v3, v3, v3
	v_max_f32_e32 v4, v4, v3
	v_cndmask_b32_e32 v3, v40, v5, vcc
	v_lshlrev_b32_e32 v3, 2, v3
	ds_bpermute_b32 v5, v3, v4
	v_cmp_lt_i32_e32 vcc, v6, v41
	s_waitcnt lgkmcnt(0)
	v_max_f32_e32 v5, v5, v5
	v_max_f32_e32 v4, v4, v5
	v_cndmask_b32_e32 v5, v40, v6, vcc
	v_lshlrev_b32_e32 v7, 2, v5
	ds_bpermute_b32 v5, v7, v4
	v_cmp_lt_i32_e32 vcc, v8, v41
	s_waitcnt lgkmcnt(0)
	v_max_f32_e32 v5, v5, v5
	v_max_f32_e32 v6, v4, v5
	v_cndmask_b32_e32 v4, v40, v8, vcc
	v_lshlrev_b32_e32 v8, 2, v4
	ds_bpermute_b32 v9, v8, v6
	v_and_b32_e32 v4, 63, v0
	v_cmp_eq_u32_e32 vcc, 0, v4
	v_lshlrev_b32_e32 v5, 2, v57
	s_and_saveexec_b64 s[0:1], vcc
	s_cbranch_execz .LBB196_14
; %bb.13:
	s_waitcnt lgkmcnt(0)
	v_max_f32_e32 v9, v9, v9
	v_max_f32_e32 v6, v6, v6
	;; [unrolled: 1-line block ×3, first 2 shown]
	ds_write_b32 v5, v6 offset:480
.LBB196_14:
	s_or_b64 exec, exec, s[0:1]
	v_cmp_gt_u32_e64 s[0:1], 2, v4
	s_waitcnt lgkmcnt(0)
	v_mov_b32_e32 v9, 0xff7fffff
	v_lshlrev_b32_e32 v6, 2, v4
	s_barrier
	s_and_saveexec_b64 s[2:3], s[0:1]
	s_cbranch_execz .LBB196_16
; %bb.15:
	ds_read_b32 v9, v6 offset:480
.LBB196_16:
	s_or_b64 exec, exec, s[2:3]
	v_xor_b32_e32 v10, 1, v40
	v_cmp_lt_i32_e64 s[2:3], v10, v41
	v_lshlrev_b32_e32 v11, 2, v40
	s_nop 0
	v_cndmask_b32_e64 v10, v40, v10, s[2:3]
	v_lshlrev_b32_e32 v31, 2, v10
	s_waitcnt lgkmcnt(0)
	ds_bpermute_b32 v10, v31, v9
	v_max_f32_e32 v9, v9, v9
	s_lshl_b32 s2, s19, 4
	s_min_i32 s30, s2, s33
	v_cmp_gt_i32_e64 s[2:3], s30, v0
	s_waitcnt lgkmcnt(0)
	v_max_f32_e32 v10, v10, v10
	v_max_f32_e32 v10, v9, v10
	v_and_b32_e32 v9, 0xffffff00, v11
	ds_bpermute_b32 v11, v9, v10
	v_mov_b32_e32 v10, 0
	s_and_saveexec_b64 s[14:15], s[2:3]
	s_cbranch_execz .LBB196_20
; %bb.17:
	v_mov_b32_e32 v10, 0x1f0
	v_lshl_add_u32 v12, v0, 2, v10
	s_mov_b64 s[28:29], 0
	v_mov_b32_e32 v10, 0
	v_mov_b32_e32 v13, v0
.LBB196_18:                             ; =>This Inner Loop Header: Depth=1
	ds_read_b32 v14, v12
	v_add_u32_e32 v13, 0x80, v13
	v_cmp_le_i32_e64 s[8:9], s30, v13
	s_or_b64 s[28:29], s[8:9], s[28:29]
	s_waitcnt lgkmcnt(0)
	v_sub_f32_e32 v14, v14, v11
	v_mul_f32_e32 v14, 0x3fb8aa3b, v14
	v_exp_f32_e32 v14, v14
	ds_write_b32 v12, v14
	v_add_f32_e32 v10, v10, v14
	v_add_u32_e32 v12, 0x200, v12
	s_andn2_b64 exec, exec, s[28:29]
	s_cbranch_execnz .LBB196_18
; %bb.19:
	s_or_b64 exec, exec, s[28:29]
.LBB196_20:
	s_or_b64 exec, exec, s[14:15]
	ds_bpermute_b32 v2, v2, v10
	s_waitcnt lgkmcnt(0)
	v_add_f32_e32 v2, v10, v2
	ds_bpermute_b32 v3, v3, v2
	s_waitcnt lgkmcnt(0)
	v_add_f32_e32 v2, v2, v3
	ds_bpermute_b32 v3, v7, v2
	v_xor_b32_e32 v7, 2, v40
	v_cmp_lt_i32_e64 s[8:9], v7, v41
	s_waitcnt lgkmcnt(0)
	v_add_f32_e32 v2, v2, v3
	ds_bpermute_b32 v3, v8, v2
	v_cndmask_b32_e64 v7, v40, v7, s[8:9]
	v_lshlrev_b32_e32 v58, 2, v7
	s_waitcnt lgkmcnt(0)
	v_add_f32_e32 v2, v2, v3
	ds_bpermute_b32 v3, v58, v2
	s_waitcnt lgkmcnt(0)
	v_add_f32_e32 v2, v2, v3
	ds_bpermute_b32 v3, v31, v2
	s_waitcnt lgkmcnt(0)
	v_add_f32_e32 v2, v2, v3
	s_and_saveexec_b64 s[8:9], vcc
	s_cbranch_execz .LBB196_22
; %bb.21:
	ds_write_b32 v5, v2 offset:488
.LBB196_22:
	s_or_b64 exec, exec, s[8:9]
	s_waitcnt lgkmcnt(0)
	s_barrier
	s_and_saveexec_b64 s[8:9], s[0:1]
	s_cbranch_execz .LBB196_24
; %bb.23:
	ds_read_b32 v2, v6 offset:488
.LBB196_24:
	s_or_b64 exec, exec, s[8:9]
	s_waitcnt lgkmcnt(0)
	ds_bpermute_b32 v3, v31, v2
	s_waitcnt lgkmcnt(0)
	v_add_f32_e32 v2, v2, v3
	ds_bpermute_b32 v2, v9, v2
	s_and_saveexec_b64 s[0:1], s[2:3]
	s_cbranch_execz .LBB196_37
; %bb.25:
	s_waitcnt lgkmcnt(0)
	v_add_f32_e32 v2, 0x358637bd, v2
	v_div_scale_f32 v3, s[2:3], v2, v2, 1.0
	v_rcp_f32_e32 v5, v3
	v_div_scale_f32 v6, vcc, 1.0, v2, 1.0
	s_movk_i32 s2, 0x7f
	v_fma_f32 v7, -v3, v5, 1.0
	v_fmac_f32_e32 v5, v7, v5
	v_mul_f32_e32 v7, v6, v5
	v_fma_f32 v8, -v3, v7, v6
	v_fmac_f32_e32 v7, v8, v5
	v_fma_f32 v3, -v3, v7, v6
	v_div_fmas_f32 v3, v3, v5, v7
	v_xad_u32 v5, v0, -1, s30
	v_div_fixup_f32 v2, v3, v2, 1.0
	v_cmp_lt_u32_e32 vcc, s2, v5
	s_mov_b64 s[8:9], -1
	v_mov_b32_e32 v3, v0
	s_and_saveexec_b64 s[2:3], vcc
	s_cbranch_execz .LBB196_34
; %bb.26:
	v_lshrrev_b32_e32 v5, 7, v5
	v_add_u32_e32 v7, -1, v5
	v_lshrrev_b32_e32 v6, 1, v7
	v_mov_b32_e32 v3, v2
	v_add_u32_e32 v6, 1, v6
	v_cmp_lt_u32_e32 vcc, 13, v7
	v_mov_b32_e32 v9, 0
	s_and_saveexec_b64 s[8:9], vcc
	s_cbranch_execz .LBB196_30
; %bb.27:
	v_mov_b32_e32 v8, 0x1f0
	v_and_b32_e32 v7, -8, v6
	v_lshl_add_u32 v8, v0, 2, v8
	s_mov_b32 s28, 0
	s_mov_b64 s[14:15], 0
.LBB196_28:                             ; =>This Inner Loop Header: Depth=1
	ds_read2st64_b32 v[10:11], v8 offset1:2
	ds_read2st64_b32 v[12:13], v8 offset0:4 offset1:6
	ds_read2st64_b32 v[14:15], v8 offset0:8 offset1:10
	;; [unrolled: 1-line block ×3, first 2 shown]
	v_add_u32_e32 v7, -8, v7
	s_waitcnt lgkmcnt(3)
	v_pk_mul_f32 v[10:11], v[2:3], v[10:11]
	s_waitcnt lgkmcnt(2)
	v_pk_mul_f32 v[12:13], v[2:3], v[12:13]
	ds_write2st64_b32 v8, v10, v11 offset1:2
	ds_write2st64_b32 v8, v12, v13 offset0:4 offset1:6
	ds_read2st64_b32 v[12:13], v8 offset0:16 offset1:18
	s_waitcnt lgkmcnt(4)
	v_pk_mul_f32 v[10:11], v[2:3], v[14:15]
	ds_write2st64_b32 v8, v10, v11 offset0:8 offset1:10
	s_waitcnt lgkmcnt(4)
	v_pk_mul_f32 v[10:11], v[2:3], v[16:17]
	ds_write2st64_b32 v8, v10, v11 offset0:12 offset1:14
	ds_read2st64_b32 v[10:11], v8 offset0:20 offset1:22
	s_waitcnt lgkmcnt(3)
	v_pk_mul_f32 v[12:13], v[2:3], v[12:13]
	ds_read2st64_b32 v[14:15], v8 offset0:24 offset1:26
	ds_write2st64_b32 v8, v12, v13 offset0:16 offset1:18
	ds_read2st64_b32 v[12:13], v8 offset0:28 offset1:30
	s_waitcnt lgkmcnt(3)
	v_pk_mul_f32 v[10:11], v[2:3], v[10:11]
	ds_write2st64_b32 v8, v10, v11 offset0:20 offset1:22
	s_waitcnt lgkmcnt(3)
	v_pk_mul_f32 v[10:11], v[2:3], v[14:15]
	ds_write2st64_b32 v8, v10, v11 offset0:24 offset1:26
	s_waitcnt lgkmcnt(2)
	v_pk_mul_f32 v[10:11], v[2:3], v[12:13]
	s_add_i32 s28, s28, 16
	v_cmp_eq_u32_e32 vcc, 0, v7
	ds_write2st64_b32 v8, v10, v11 offset0:28 offset1:30
	v_add_u32_e32 v8, 0x2000, v8
	s_or_b64 s[14:15], vcc, s[14:15]
	v_mov_b32_e32 v9, s28
	s_andn2_b64 exec, exec, s[14:15]
	s_cbranch_execnz .LBB196_28
; %bb.29:
	s_or_b64 exec, exec, s[14:15]
.LBB196_30:
	s_or_b64 exec, exec, s[8:9]
	v_and_b32_e32 v6, 7, v6
	v_cmp_ne_u32_e32 vcc, 0, v6
	s_and_saveexec_b64 s[8:9], vcc
	s_cbranch_execz .LBB196_33
; %bb.31:
	v_lshlrev_b32_e32 v7, 9, v9
	s_movk_i32 s14, 0x1f0
	v_add3_u32 v7, v7, v38, s14
	s_mov_b64 s[14:15], 0
.LBB196_32:                             ; =>This Inner Loop Header: Depth=1
	ds_read2st64_b32 v[8:9], v7 offset1:2
	v_add_u32_e32 v6, -1, v6
	v_cmp_eq_u32_e32 vcc, 0, v6
	s_or_b64 s[14:15], vcc, s[14:15]
	s_waitcnt lgkmcnt(0)
	v_pk_mul_f32 v[8:9], v[2:3], v[8:9]
	ds_write2st64_b32 v7, v8, v9 offset1:2
	v_add_u32_e32 v7, 0x400, v7
	s_andn2_b64 exec, exec, s[14:15]
	s_cbranch_execnz .LBB196_32
.LBB196_33:
	s_or_b64 exec, exec, s[8:9]
	v_add_u32_e32 v5, 1, v5
	v_and_b32_e32 v6, 0x3fffffe, v5
	v_cmp_ne_u32_e32 vcc, v5, v6
	v_lshl_add_u32 v3, v6, 7, v0
	s_orn2_b64 s[8:9], vcc, exec
.LBB196_34:
	s_or_b64 exec, exec, s[2:3]
	s_and_b64 exec, exec, s[8:9]
	s_cbranch_execz .LBB196_37
; %bb.35:
	v_mov_b32_e32 v5, 0x1f0
	v_lshl_add_u32 v5, v3, 2, v5
	s_mov_b64 s[2:3], 0
.LBB196_36:                             ; =>This Inner Loop Header: Depth=1
	ds_read_b32 v6, v5
	v_add_u32_e32 v3, 0x80, v3
	v_cmp_le_i32_e32 vcc, s30, v3
	s_or_b64 s[2:3], vcc, s[2:3]
	s_waitcnt lgkmcnt(0)
	v_mul_f32_e32 v6, v2, v6
	ds_write_b32 v5, v6
	v_add_u32_e32 v5, 0x200, v5
	s_andn2_b64 exec, exec, s[2:3]
	s_cbranch_execnz .LBB196_36
.LBB196_37:
	s_or_b64 exec, exec, s[0:1]
	v_mov_b32_e32 v7, 0
	v_lshrrev_b32_e32 v59, 2, v4
	v_mov_b32_e32 v6, 0
	v_mov_b32_e32 v9, 0
	;; [unrolled: 1-line block ×7, first 2 shown]
	s_waitcnt lgkmcnt(0)
	s_barrier
	s_and_saveexec_b64 s[8:9], s[6:7]
	s_cbranch_execz .LBB196_59
; %bb.38:
	v_and_b32_e32 v2, 12, v38
	s_ashr_i32 s1, s12, 31
	s_load_dword s6, s[10:11], 0x0
	v_or_b32_e32 v3, 0x70, v59
	s_movk_i32 s2, 0x78
	s_add_u32 s0, s26, s12
	v_cmp_gt_u32_e32 vcc, s2, v3
	v_lshl_or_b32 v16, v3, 4, v2
	v_lshlrev_b32_e32 v3, 4, v57
	s_addc_u32 s1, s27, s1
	s_add_i32 s15, s19, -1
	v_lshl_or_b32 v14, v59, 4, v2
	v_or3_b32 v60, v3, v2, 3
	v_lshlrev_b32_e32 v2, 4, v30
	s_lshl_b64 s[2:3], s[24:25], 2
	v_mov_b32_e32 v15, 0
	v_lshl_or_b32 v2, v57, 6, v2
	s_add_u32 s2, s22, s2
	v_add_u32_e32 v61, 0x1f0, v2
	v_and_b32_e32 v2, 60, v39
	v_mov_b32_e32 v3, v15
	s_addc_u32 s3, s23, s3
	s_mov_b32 s14, s13
	s_waitcnt lgkmcnt(0)
	s_mov_b32 s7, s6
	v_mov_b32_e32 v17, v15
	v_lshl_add_u64 v[18:19], s[2:3], 0, v[2:3]
	s_mov_b64 s[10:11], 0
	v_mov_b64_e32 v[20:21], s[0:1]
	v_mov_b32_e32 v12, v15
	v_mov_b32_e32 v13, v15
	;; [unrolled: 1-line block ×8, first 2 shown]
	s_branch .LBB196_41
.LBB196_39:                             ;   in Loop: Header=BB196_41 Depth=1
	s_or_b64 exec, exec, s[12:13]
	s_waitcnt lgkmcnt(0)
	v_mul_f32_e32 v55, v3, v55
	v_fmac_f32_e32 v55, v2, v54
	v_fmac_f32_e32 v55, v4, v32
	;; [unrolled: 1-line block ×3, first 2 shown]
	v_add_f32_e32 v7, v7, v55
.LBB196_40:                             ;   in Loop: Header=BB196_41 Depth=1
	s_or_b64 exec, exec, s[2:3]
	s_waitcnt lgkmcnt(0)
	v_mul_f32_e32 v25, v3, v25
	v_fmac_f32_e32 v25, v2, v24
	v_fmac_f32_e32 v25, v4, v22
	v_mul_f32_e32 v22, v3, v29
	v_fmac_f32_e32 v22, v2, v28
	v_fmac_f32_e32 v22, v4, v26
	v_fmac_f32_e32 v22, v5, v27
	v_add_f32_e32 v13, v13, v22
	v_mul_f32_e32 v22, v3, v37
	v_fmac_f32_e32 v22, v2, v36
	v_fmac_f32_e32 v22, v4, v34
	v_fmac_f32_e32 v22, v5, v35
	v_add_f32_e32 v10, v10, v22
	;; [unrolled: 5-line block ×4, first 2 shown]
	v_mul_f32_e32 v22, v3, v51
	v_mul_f32_e32 v3, v3, v53
	v_fmac_f32_e32 v22, v2, v50
	v_fmac_f32_e32 v3, v2, v52
	;; [unrolled: 1-line block ×4, first 2 shown]
	v_add_u32_e32 v57, 2, v57
	v_fmac_f32_e32 v25, v5, v23
	v_fmac_f32_e32 v22, v5, v49
	;; [unrolled: 1-line block ×3, first 2 shown]
	v_cmp_le_i32_e64 s[0:1], s19, v57
	v_add_f32_e32 v12, v12, v25
	v_add_f32_e32 v9, v9, v22
	;; [unrolled: 1-line block ×3, first 2 shown]
	v_add_u32_e32 v60, 32, v60
	v_add_u32_e32 v61, 0x80, v61
	s_or_b64 s[10:11], s[0:1], s[10:11]
	v_lshl_add_u64 v[18:19], v[18:19], 0, 8
	s_andn2_b64 exec, exec, s[10:11]
	s_cbranch_execz .LBB196_58
.LBB196_41:                             ; =>This Inner Loop Header: Depth=1
	global_load_dword v2, v[18:19], off
	v_add_u32_e32 v62, -3, v60
	s_waitcnt vmcnt(0)
	v_mad_i64_i32 v[32:33], s[0:1], v2, s14, v[20:21]
	v_lshl_add_u64 v[38:39], v[32:33], 0, v[14:15]
	global_load_dword v22, v[38:39], off
	ds_read_b128 v[2:5], v61
	v_cmp_eq_u32_e64 s[0:1], s15, v57
	s_waitcnt vmcnt(0)
	v_and_b32_e32 v23, 0xffff, v22
	v_lshrrev_b32_e32 v24, 16, v22
	v_cvt_pk_f32_fp8_e32 v[22:23], v23
	v_cvt_pk_f32_fp8_e32 v[26:27], v24
	v_pk_mul_f32 v[24:25], s[6:7], v[22:23]
	v_pk_mul_f32 v[22:23], s[6:7], v[26:27]
	s_and_saveexec_b64 s[12:13], s[0:1]
; %bb.42:                               ;   in Loop: Header=BB196_41 Depth=1
	v_cmp_gt_i32_e64 s[2:3], s33, v62
	v_add_u32_e32 v26, -2, v60
	s_nop 0
	v_cndmask_b32_e64 v24, 0, v24, s[2:3]
	v_cmp_gt_i32_e64 s[2:3], s33, v26
	v_add_u32_e32 v26, -1, v60
	s_nop 0
	v_cndmask_b32_e64 v25, 0, v25, s[2:3]
	v_cmp_gt_i32_e64 s[2:3], s33, v26
	s_nop 1
	v_cndmask_b32_e64 v22, 0, v22, s[2:3]
	v_cmp_gt_i32_e64 s[2:3], s33, v60
	s_nop 1
	v_cndmask_b32_e64 v23, 0, v23, s[2:3]
; %bb.43:                               ;   in Loop: Header=BB196_41 Depth=1
	s_or_b64 exec, exec, s[12:13]
	global_load_dword v26, v[38:39], off offset:256
	s_waitcnt vmcnt(0)
	v_and_b32_e32 v27, 0xffff, v26
	v_lshrrev_b32_e32 v28, 16, v26
	v_cvt_pk_f32_fp8_e32 v[26:27], v27
	v_cvt_pk_f32_fp8_e32 v[34:35], v28
	v_pk_mul_f32 v[28:29], s[6:7], v[26:27]
	v_pk_mul_f32 v[26:27], s[6:7], v[34:35]
	s_and_saveexec_b64 s[12:13], s[0:1]
; %bb.44:                               ;   in Loop: Header=BB196_41 Depth=1
	v_cmp_gt_i32_e64 s[2:3], s33, v62
	v_add_u32_e32 v34, -2, v60
	s_nop 0
	v_cndmask_b32_e64 v28, 0, v28, s[2:3]
	v_cmp_gt_i32_e64 s[2:3], s33, v34
	v_add_u32_e32 v34, -1, v60
	s_nop 0
	v_cndmask_b32_e64 v29, 0, v29, s[2:3]
	v_cmp_gt_i32_e64 s[2:3], s33, v34
	s_nop 1
	v_cndmask_b32_e64 v26, 0, v26, s[2:3]
	v_cmp_gt_i32_e64 s[2:3], s33, v60
	s_nop 1
	v_cndmask_b32_e64 v27, 0, v27, s[2:3]
; %bb.45:                               ;   in Loop: Header=BB196_41 Depth=1
	s_or_b64 exec, exec, s[12:13]
	global_load_dword v34, v[38:39], off offset:512
	;; [unrolled: 26-line block ×6, first 2 shown]
	s_waitcnt vmcnt(0)
	v_and_b32_e32 v39, 0xffff, v38
	v_lshrrev_b32_e32 v52, 16, v38
	v_cvt_pk_f32_fp8_e32 v[38:39], v39
	v_cvt_pk_f32_fp8_e32 v[54:55], v52
	v_pk_mul_f32 v[52:53], s[6:7], v[38:39]
	v_pk_mul_f32 v[38:39], s[6:7], v[54:55]
	s_and_saveexec_b64 s[12:13], s[0:1]
; %bb.54:                               ;   in Loop: Header=BB196_41 Depth=1
	v_cmp_gt_i32_e64 s[2:3], s33, v62
	v_add_u32_e32 v54, -2, v60
	s_nop 0
	v_cndmask_b32_e64 v52, 0, v52, s[2:3]
	v_cmp_gt_i32_e64 s[2:3], s33, v54
	v_add_u32_e32 v54, -1, v60
	s_nop 0
	v_cndmask_b32_e64 v53, 0, v53, s[2:3]
	v_cmp_gt_i32_e64 s[2:3], s33, v54
	s_nop 1
	v_cndmask_b32_e64 v38, 0, v38, s[2:3]
	v_cmp_gt_i32_e64 s[2:3], s33, v60
	s_nop 1
	v_cndmask_b32_e64 v39, 0, v39, s[2:3]
; %bb.55:                               ;   in Loop: Header=BB196_41 Depth=1
	s_or_b64 exec, exec, s[12:13]
	s_and_saveexec_b64 s[2:3], vcc
	s_cbranch_execz .LBB196_40
; %bb.56:                               ;   in Loop: Header=BB196_41 Depth=1
	v_lshl_add_u64 v[32:33], v[32:33], 0, v[16:17]
	global_load_dword v32, v[32:33], off
	s_waitcnt vmcnt(0)
	v_and_b32_e32 v33, 0xffff, v32
	v_lshrrev_b32_e32 v54, 16, v32
	v_cvt_pk_f32_fp8_e32 v[32:33], v33
	v_cvt_pk_f32_fp8_e32 v[64:65], v54
	v_pk_mul_f32 v[54:55], s[6:7], v[32:33]
	v_pk_mul_f32 v[32:33], s[6:7], v[64:65]
	s_and_saveexec_b64 s[12:13], s[0:1]
	s_cbranch_execz .LBB196_39
; %bb.57:                               ;   in Loop: Header=BB196_41 Depth=1
	v_cmp_gt_i32_e64 s[0:1], s33, v62
	v_add_u32_e32 v62, -2, v60
	s_nop 0
	v_cndmask_b32_e64 v54, 0, v54, s[0:1]
	v_cmp_gt_i32_e64 s[0:1], s33, v62
	v_add_u32_e32 v62, -1, v60
	s_nop 0
	v_cndmask_b32_e64 v55, 0, v55, s[0:1]
	v_cmp_gt_i32_e64 s[0:1], s33, v62
	s_nop 1
	v_cndmask_b32_e64 v32, 0, v32, s[0:1]
	v_cmp_gt_i32_e64 s[0:1], s33, v60
	s_nop 1
	v_cndmask_b32_e64 v33, 0, v33, s[0:1]
	s_branch .LBB196_39
.LBB196_58:
	s_or_b64 exec, exec, s[10:11]
.LBB196_59:
	s_or_b64 exec, exec, s[8:9]
	ds_bpermute_b32 v4, v58, v10
	ds_bpermute_b32 v5, v58, v11
	;; [unrolled: 1-line block ×6, first 2 shown]
	s_waitcnt lgkmcnt(4)
	v_pk_add_f32 v[4:5], v[10:11], v[4:5]
	ds_bpermute_b32 v10, v58, v8
	ds_bpermute_b32 v11, v58, v9
	s_waitcnt lgkmcnt(4)
	v_pk_add_f32 v[2:3], v[12:13], v[2:3]
	ds_bpermute_b32 v14, v31, v4
	ds_bpermute_b32 v15, v31, v5
	s_waitcnt lgkmcnt(4)
	v_pk_add_f32 v[16:17], v[6:7], v[16:17]
	s_waitcnt lgkmcnt(2)
	v_pk_add_f32 v[10:11], v[8:9], v[10:11]
	ds_bpermute_b32 v18, v31, v10
	ds_bpermute_b32 v19, v31, v11
	;; [unrolled: 1-line block ×6, first 2 shown]
	s_waitcnt lgkmcnt(6)
	v_pk_add_f32 v[6:7], v[4:5], v[14:15]
	s_waitcnt lgkmcnt(4)
	v_pk_add_f32 v[4:5], v[10:11], v[18:19]
	v_and_b32_e32 v10, 0x3c0, v0
	s_waitcnt lgkmcnt(2)
	v_pk_add_f32 v[8:9], v[2:3], v[12:13]
	s_waitcnt lgkmcnt(0)
	v_pk_add_f32 v[2:3], v[16:17], v[20:21]
	v_cmp_eq_u32_e32 vcc, 64, v10
	s_barrier
	s_and_saveexec_b64 s[2:3], vcc
	s_cbranch_execz .LBB196_64
; %bb.60:
	v_cmp_eq_u32_e32 vcc, 0, v30
	s_and_saveexec_b64 s[0:1], vcc
	s_cbranch_execz .LBB196_62
; %bb.61:
	v_mov_b32_e32 v10, 0x1f0
	v_lshl_add_u32 v10, v59, 2, v10
	ds_write2_b32 v10, v8, v9 offset1:16
	ds_write2_b32 v10, v6, v7 offset0:32 offset1:48
	ds_write2_b32 v10, v4, v5 offset0:64 offset1:80
	ds_write_b32 v10, v2 offset:384
.LBB196_62:
	s_or_b64 exec, exec, s[0:1]
	v_or_b32_e32 v10, 0x70, v59
	s_movk_i32 s0, 0x78
	v_cmp_gt_u32_e64 s[0:1], s0, v10
	s_and_b64 s[0:1], vcc, s[0:1]
	s_and_b64 exec, exec, s[0:1]
	s_cbranch_execz .LBB196_64
; %bb.63:
	v_mov_b32_e32 v10, 0x1f0
	v_lshl_add_u32 v10, v59, 2, v10
	ds_write_b32 v10, v3 offset:448
.LBB196_64:
	s_or_b64 exec, exec, s[2:3]
	v_cmp_gt_u32_e32 vcc, 64, v0
	s_waitcnt lgkmcnt(0)
	s_barrier
	s_and_saveexec_b64 s[6:7], vcc
	s_cbranch_execz .LBB196_82
; %bb.65:
	v_cmp_eq_u32_e64 s[0:1], 0, v30
	s_and_saveexec_b64 s[2:3], s[0:1]
	s_cbranch_execz .LBB196_67
; %bb.66:
	v_mov_b32_e32 v0, 0x1f0
	v_lshl_add_u32 v0, v56, 2, v0
	ds_read_b32 v0, v0
	s_waitcnt lgkmcnt(0)
	v_add_f32_e32 v8, v8, v0
.LBB196_67:
	s_or_b64 exec, exec, s[2:3]
	v_or_b32_e32 v0, 16, v56
	s_movk_i32 s8, 0x78
	v_cmp_gt_u32_e64 s[2:3], s8, v0
	s_and_b64 s[10:11], s[0:1], s[2:3]
	s_and_saveexec_b64 s[2:3], s[10:11]
	s_cbranch_execz .LBB196_69
; %bb.68:
	v_mov_b32_e32 v0, 0x1f0
	v_lshl_add_u32 v0, v56, 2, v0
	ds_read_b32 v0, v0 offset:64
	s_waitcnt lgkmcnt(0)
	v_add_f32_e32 v9, v9, v0
.LBB196_69:
	s_or_b64 exec, exec, s[2:3]
	v_or_b32_e32 v0, 32, v56
	v_cmp_gt_u32_e64 s[2:3], s8, v0
	s_and_b64 s[8:9], s[0:1], s[2:3]
	s_and_saveexec_b64 s[2:3], s[8:9]
	s_cbranch_execz .LBB196_71
; %bb.70:
	v_mov_b32_e32 v0, 0x1f0
	v_lshl_add_u32 v0, v56, 2, v0
	ds_read_b32 v0, v0 offset:128
	s_waitcnt lgkmcnt(0)
	v_add_f32_e32 v6, v6, v0
.LBB196_71:
	s_or_b64 exec, exec, s[2:3]
	v_or_b32_e32 v0, 48, v56
	s_movk_i32 s8, 0x78
	v_cmp_gt_u32_e64 s[2:3], s8, v0
	s_and_b64 s[10:11], s[0:1], s[2:3]
	s_and_saveexec_b64 s[2:3], s[10:11]
	s_cbranch_execz .LBB196_73
; %bb.72:
	v_mov_b32_e32 v0, 0x1f0
	v_lshl_add_u32 v0, v56, 2, v0
	ds_read_b32 v0, v0 offset:192
	s_waitcnt lgkmcnt(0)
	v_add_f32_e32 v7, v7, v0
.LBB196_73:
	s_or_b64 exec, exec, s[2:3]
	v_or_b32_e32 v0, 64, v56
	v_cmp_gt_u32_e64 s[2:3], s8, v0
	s_and_b64 s[8:9], s[0:1], s[2:3]
	s_and_saveexec_b64 s[2:3], s[8:9]
	s_cbranch_execz .LBB196_75
; %bb.74:
	v_mov_b32_e32 v0, 0x1f0
	v_lshl_add_u32 v0, v56, 2, v0
	ds_read_b32 v0, v0 offset:256
	s_waitcnt lgkmcnt(0)
	v_add_f32_e32 v4, v4, v0
.LBB196_75:
	;; [unrolled: 27-line block ×3, first 2 shown]
	s_or_b64 exec, exec, s[2:3]
	v_or_b32_e32 v0, 0x70, v56
	s_movk_i32 s2, 0x78
	v_cmp_gt_u32_e64 s[2:3], s2, v0
	s_and_b64 s[2:3], s[0:1], s[2:3]
	s_and_saveexec_b64 s[0:1], s[2:3]
	s_cbranch_execz .LBB196_81
; %bb.80:
	v_mov_b32_e32 v0, 0x1f0
	v_lshl_add_u32 v0, v56, 2, v0
	ds_read_b32 v0, v0 offset:448
	s_waitcnt lgkmcnt(0)
	v_add_f32_e32 v3, v3, v0
.LBB196_81:
	s_or_b64 exec, exec, s[0:1]
.LBB196_82:
	s_or_b64 exec, exec, s[6:7]
	s_barrier
	s_and_saveexec_b64 s[0:1], vcc
	s_cbranch_execz .LBB196_99
; %bb.83:
	s_mul_i32 s0, s16, s17
	s_mul_i32 s0, s0, s5
	s_mulk_i32 s0, 0x78
	s_ashr_i32 s1, s0, 31
	s_lshl_b64 s[0:1], s[0:1], 2
	s_add_u32 s2, s20, s0
	s_mul_i32 s0, s17, s18
	s_addc_u32 s3, s21, s1
	s_ashr_i32 s1, s0, 31
	s_lshl_b64 s[0:1], s[0:1], 2
	s_add_u32 s2, s2, s0
	s_mul_i32 s0, s4, 0x78
	s_addc_u32 s3, s3, s1
	s_ashr_i32 s1, s0, 31
	s_lshl_b64 s[0:1], s[0:1], 2
	s_add_u32 s2, s2, s0
	s_movk_i32 s5, 0x78
	s_addc_u32 s3, s3, s1
	v_cmp_eq_u32_e32 vcc, 0, v30
	s_and_saveexec_b64 s[0:1], vcc
	s_cbranch_execz .LBB196_85
; %bb.84:
	global_store_dword v1, v8, s[2:3]
.LBB196_85:
	s_or_b64 exec, exec, s[0:1]
	v_or_b32_e32 v0, 16, v56
	v_cmp_gt_u32_e64 s[0:1], s5, v0
	s_and_b64 s[4:5], vcc, s[0:1]
	s_and_saveexec_b64 s[0:1], s[4:5]
	s_cbranch_execz .LBB196_87
; %bb.86:
	global_store_dword v1, v9, s[2:3] offset:64
.LBB196_87:
	s_or_b64 exec, exec, s[0:1]
	v_or_b32_e32 v0, 32, v56
	s_movk_i32 s4, 0x78
	v_cmp_gt_u32_e64 s[0:1], s4, v0
	s_and_b64 s[6:7], vcc, s[0:1]
	s_and_saveexec_b64 s[0:1], s[6:7]
	s_cbranch_execz .LBB196_89
; %bb.88:
	global_store_dword v1, v6, s[2:3] offset:128
.LBB196_89:
	s_or_b64 exec, exec, s[0:1]
	v_or_b32_e32 v0, 48, v56
	v_cmp_gt_u32_e64 s[0:1], s4, v0
	s_and_b64 s[4:5], vcc, s[0:1]
	s_and_saveexec_b64 s[0:1], s[4:5]
	s_cbranch_execz .LBB196_91
; %bb.90:
	global_store_dword v1, v7, s[2:3] offset:192
.LBB196_91:
	s_or_b64 exec, exec, s[0:1]
	v_or_b32_e32 v0, 64, v56
	s_movk_i32 s4, 0x78
	v_cmp_gt_u32_e64 s[0:1], s4, v0
	s_and_b64 s[6:7], vcc, s[0:1]
	s_and_saveexec_b64 s[0:1], s[6:7]
	s_cbranch_execz .LBB196_93
; %bb.92:
	global_store_dword v1, v4, s[2:3] offset:256
.LBB196_93:
	;; [unrolled: 19-line block ×3, first 2 shown]
	s_or_b64 exec, exec, s[0:1]
	v_or_b32_e32 v0, 0x70, v56
	v_cmp_gt_u32_e64 s[0:1], s4, v0
	s_and_b64 s[0:1], vcc, s[0:1]
	s_and_b64 exec, exec, s[0:1]
	s_cbranch_execz .LBB196_99
; %bb.98:
	global_store_dword v1, v3, s[2:3] offset:448
.LBB196_99:
	s_endpgm
	.section	.rodata,"a",@progbits
	.p2align	6, 0x0
	.amdhsa_kernel _ZN4vllm25paged_attention_v1_kernelIfhLi120ELi16ELi128ELNS_18Fp8KVCacheDataTypeE1ELb0EEEvPT_PKS2_PKT0_S8_ifPKiSA_iPKfiiiSC_SC_iiiii
		.amdhsa_group_segment_fixed_size 496
		.amdhsa_private_segment_fixed_size 0
		.amdhsa_kernarg_size 384
		.amdhsa_user_sgpr_count 2
		.amdhsa_user_sgpr_dispatch_ptr 0
		.amdhsa_user_sgpr_queue_ptr 0
		.amdhsa_user_sgpr_kernarg_segment_ptr 1
		.amdhsa_user_sgpr_dispatch_id 0
		.amdhsa_user_sgpr_kernarg_preload_length 0
		.amdhsa_user_sgpr_kernarg_preload_offset 0
		.amdhsa_user_sgpr_private_segment_size 0
		.amdhsa_uses_dynamic_stack 0
		.amdhsa_enable_private_segment 0
		.amdhsa_system_sgpr_workgroup_id_x 1
		.amdhsa_system_sgpr_workgroup_id_y 1
		.amdhsa_system_sgpr_workgroup_id_z 1
		.amdhsa_system_sgpr_workgroup_info 0
		.amdhsa_system_vgpr_workitem_id 0
		.amdhsa_next_free_vgpr 81
		.amdhsa_next_free_sgpr 37
		.amdhsa_accum_offset 84
		.amdhsa_reserve_vcc 1
		.amdhsa_float_round_mode_32 0
		.amdhsa_float_round_mode_16_64 0
		.amdhsa_float_denorm_mode_32 3
		.amdhsa_float_denorm_mode_16_64 3
		.amdhsa_dx10_clamp 1
		.amdhsa_ieee_mode 1
		.amdhsa_fp16_overflow 0
		.amdhsa_tg_split 0
		.amdhsa_exception_fp_ieee_invalid_op 0
		.amdhsa_exception_fp_denorm_src 0
		.amdhsa_exception_fp_ieee_div_zero 0
		.amdhsa_exception_fp_ieee_overflow 0
		.amdhsa_exception_fp_ieee_underflow 0
		.amdhsa_exception_fp_ieee_inexact 0
		.amdhsa_exception_int_div_zero 0
	.end_amdhsa_kernel
	.section	.text._ZN4vllm25paged_attention_v1_kernelIfhLi120ELi16ELi128ELNS_18Fp8KVCacheDataTypeE1ELb0EEEvPT_PKS2_PKT0_S8_ifPKiSA_iPKfiiiSC_SC_iiiii,"axG",@progbits,_ZN4vllm25paged_attention_v1_kernelIfhLi120ELi16ELi128ELNS_18Fp8KVCacheDataTypeE1ELb0EEEvPT_PKS2_PKT0_S8_ifPKiSA_iPKfiiiSC_SC_iiiii,comdat
.Lfunc_end196:
	.size	_ZN4vllm25paged_attention_v1_kernelIfhLi120ELi16ELi128ELNS_18Fp8KVCacheDataTypeE1ELb0EEEvPT_PKS2_PKT0_S8_ifPKiSA_iPKfiiiSC_SC_iiiii, .Lfunc_end196-_ZN4vllm25paged_attention_v1_kernelIfhLi120ELi16ELi128ELNS_18Fp8KVCacheDataTypeE1ELb0EEEvPT_PKS2_PKT0_S8_ifPKiSA_iPKfiiiSC_SC_iiiii
                                        ; -- End function
	.section	.AMDGPU.csdata,"",@progbits
; Kernel info:
; codeLenInByte = 6232
; NumSgprs: 43
; NumVgprs: 81
; NumAgprs: 0
; TotalNumVgprs: 81
; ScratchSize: 0
; MemoryBound: 0
; FloatMode: 240
; IeeeMode: 1
; LDSByteSize: 496 bytes/workgroup (compile time only)
; SGPRBlocks: 5
; VGPRBlocks: 10
; NumSGPRsForWavesPerEU: 43
; NumVGPRsForWavesPerEU: 81
; AccumOffset: 84
; Occupancy: 5
; WaveLimiterHint : 1
; COMPUTE_PGM_RSRC2:SCRATCH_EN: 0
; COMPUTE_PGM_RSRC2:USER_SGPR: 2
; COMPUTE_PGM_RSRC2:TRAP_HANDLER: 0
; COMPUTE_PGM_RSRC2:TGID_X_EN: 1
; COMPUTE_PGM_RSRC2:TGID_Y_EN: 1
; COMPUTE_PGM_RSRC2:TGID_Z_EN: 1
; COMPUTE_PGM_RSRC2:TIDIG_COMP_CNT: 0
; COMPUTE_PGM_RSRC3_GFX90A:ACCUM_OFFSET: 20
; COMPUTE_PGM_RSRC3_GFX90A:TG_SPLIT: 0
	.section	.text._ZN4vllm25paged_attention_v1_kernelIfhLi128ELi16ELi128ELNS_18Fp8KVCacheDataTypeE1ELb0EEEvPT_PKS2_PKT0_S8_ifPKiSA_iPKfiiiSC_SC_iiiii,"axG",@progbits,_ZN4vllm25paged_attention_v1_kernelIfhLi128ELi16ELi128ELNS_18Fp8KVCacheDataTypeE1ELb0EEEvPT_PKS2_PKT0_S8_ifPKiSA_iPKfiiiSC_SC_iiiii,comdat
	.protected	_ZN4vllm25paged_attention_v1_kernelIfhLi128ELi16ELi128ELNS_18Fp8KVCacheDataTypeE1ELb0EEEvPT_PKS2_PKT0_S8_ifPKiSA_iPKfiiiSC_SC_iiiii ; -- Begin function _ZN4vllm25paged_attention_v1_kernelIfhLi128ELi16ELi128ELNS_18Fp8KVCacheDataTypeE1ELb0EEEvPT_PKS2_PKT0_S8_ifPKiSA_iPKfiiiSC_SC_iiiii
	.globl	_ZN4vllm25paged_attention_v1_kernelIfhLi128ELi16ELi128ELNS_18Fp8KVCacheDataTypeE1ELb0EEEvPT_PKS2_PKT0_S8_ifPKiSA_iPKfiiiSC_SC_iiiii
	.p2align	8
	.type	_ZN4vllm25paged_attention_v1_kernelIfhLi128ELi16ELi128ELNS_18Fp8KVCacheDataTypeE1ELb0EEEvPT_PKS2_PKT0_S8_ifPKiSA_iPKfiiiSC_SC_iiiii,@function
_ZN4vllm25paged_attention_v1_kernelIfhLi128ELi16ELi128ELNS_18Fp8KVCacheDataTypeE1ELb0EEEvPT_PKS2_PKT0_S8_ifPKiSA_iPKfiiiSC_SC_iiiii: ; @_ZN4vllm25paged_attention_v1_kernelIfhLi128ELi16ELi128ELNS_18Fp8KVCacheDataTypeE1ELb0EEEvPT_PKS2_PKT0_S8_ifPKiSA_iPKfiiiSC_SC_iiiii
; %bb.0:
	s_load_dword s5, s[0:1], 0x80
	s_load_dwordx2 s[6:7], s[0:1], 0x30
	s_load_dwordx2 s[28:29], s[0:1], 0x20
	s_mov_b32 s16, s3
	s_ashr_i32 s17, s3, 31
	s_lshl_b64 s[8:9], s[16:17], 2
	s_waitcnt lgkmcnt(0)
	s_add_u32 s6, s6, s8
	s_addc_u32 s7, s7, s9
	s_abs_i32 s3, s28
	v_cvt_f32_u32_e32 v1, s3
	s_sub_i32 s10, 0, s3
	s_abs_i32 s9, s5
	s_xor_b32 s8, s5, s28
	v_rcp_iflag_f32_e32 v1, v1
	s_ashr_i32 s8, s8, 31
	s_mov_b32 s28, 0
	v_mul_f32_e32 v1, 0x4f7ffffe, v1
	v_cvt_u32_f32_e32 v1, v1
	s_nop 0
	v_readfirstlane_b32 s11, v1
	s_mul_i32 s10, s10, s11
	s_mul_hi_u32 s10, s11, s10
	s_add_i32 s11, s11, s10
	s_mul_hi_u32 s10, s9, s11
	s_mul_i32 s11, s10, s3
	s_sub_i32 s9, s9, s11
	s_add_i32 s11, s10, 1
	s_sub_i32 s12, s9, s3
	s_cmp_ge_u32 s9, s3
	s_cselect_b32 s10, s11, s10
	s_cselect_b32 s9, s12, s9
	s_add_i32 s11, s10, 1
	s_cmp_ge_u32 s9, s3
	s_cselect_b32 s3, s11, s10
	s_xor_b32 s3, s3, s8
	s_sub_i32 s12, s3, s8
	s_abs_i32 s10, s12
	v_cvt_f32_u32_e32 v1, s10
	s_load_dwordx2 s[8:9], s[0:1], 0x40
	s_sub_i32 s3, 0, s10
	s_abs_i32 s11, s2
	v_rcp_iflag_f32_e32 v1, v1
	s_nop 0
	v_mul_f32_e32 v1, 0x4f7ffffe, v1
	v_cvt_u32_f32_e32 v1, v1
	s_nop 0
	v_readfirstlane_b32 s13, v1
	s_mul_i32 s3, s3, s13
	s_mul_hi_u32 s3, s13, s3
	s_add_i32 s13, s13, s3
	s_waitcnt lgkmcnt(0)
	s_cmp_eq_u64 s[8:9], 0
	s_mul_hi_u32 s20, s11, s13
	s_cbranch_scc1 .LBB197_2
; %bb.1:
	s_ashr_i32 s3, s2, 31
	s_lshl_b64 s[14:15], s[2:3], 2
	s_add_u32 s8, s8, s14
	s_addc_u32 s9, s9, s15
	s_load_dword s28, s[8:9], 0x0
.LBB197_2:
	s_load_dword s17, s[6:7], 0x0
	s_ashr_i32 s7, s12, 31
	s_load_dwordx4 s[12:15], s[0:1], 0x48
	s_ashr_i32 s6, s2, 31
	v_lshrrev_b32_e32 v52, 2, v0
	s_lshl_b32 s18, s2, 7
	s_movk_i32 s2, 0x80
	v_and_b32_e32 v34, 3, v0
	v_cmp_gt_u32_e32 vcc, s2, v0
	v_lshlrev_b32_e32 v40, 2, v0
	v_lshlrev_b32_e32 v1, 2, v52
	s_and_saveexec_b64 s[2:3], vcc
	s_cbranch_execz .LBB197_4
; %bb.3:
	s_load_dwordx2 s[8:9], s[0:1], 0x8
	s_waitcnt lgkmcnt(0)
	s_mul_i32 s22, s16, s12
	s_ashr_i32 s23, s22, 31
	s_lshl_b64 s[22:23], s[22:23], 2
	v_lshl_add_u32 v3, v34, 7, v1
	s_add_u32 s12, s8, s22
	s_addc_u32 s15, s9, s23
	s_ashr_i32 s19, s18, 31
	s_lshl_b64 s[8:9], s[18:19], 2
	s_add_u32 s8, s12, s8
	s_addc_u32 s9, s15, s9
	global_load_dword v2, v40, s[8:9]
	s_waitcnt vmcnt(0)
	ds_write_b32 v3, v2
.LBB197_4:
	s_or_b64 exec, exec, s[2:3]
	s_waitcnt lgkmcnt(0)
	s_add_i32 s3, s17, 15
	s_ashr_i32 s8, s3, 31
	s_lshr_b32 s8, s8, 28
	s_add_i32 s3, s3, s8
	s_ashr_i32 s19, s3, 4
	s_xor_b32 s3, s6, s7
	s_mul_i32 s6, s20, s10
	s_sub_i32 s6, s11, s6
	s_add_i32 s7, s20, 1
	s_sub_i32 s8, s6, s10
	s_load_dwordx2 s[22:23], s[0:1], 0x28
	s_load_dword s2, s[0:1], 0x38
	s_cmp_ge_u32 s6, s10
	s_cselect_b32 s7, s7, s20
	s_cselect_b32 s6, s8, s6
	s_add_i32 s8, s7, 1
	s_cmp_ge_u32 s6, s10
	s_cselect_b32 s6, s8, s7
	v_lshrrev_b32_e32 v53, 6, v0
	s_xor_b32 s6, s6, s3
	s_waitcnt lgkmcnt(0)
	s_mul_i32 s24, s16, s2
	s_sub_i32 s33, s6, s3
	s_ashr_i32 s25, s24, 31
	v_cmp_gt_i32_e64 s[6:7], s19, v53
	v_cmp_le_i32_e32 vcc, s19, v53
	v_mbcnt_lo_u32_b32 v35, -1, 0
	s_barrier
	s_waitcnt lgkmcnt(0)
                                        ; implicit-def: $sgpr15
                                        ; implicit-def: $vgpr42
                                        ; implicit-def: $vgpr43
	s_and_saveexec_b64 s[2:3], vcc
	s_xor_b64 s[2:3], exec, s[2:3]
; %bb.5:
	v_mbcnt_hi_u32_b32 v42, -1, v35
	v_and_b32_e32 v2, 64, v42
	v_add_u32_e32 v43, 64, v2
	s_mov_b32 s15, 0xff7fffff
                                        ; implicit-def: $vgpr35
; %bb.6:
	s_or_saveexec_b64 s[30:31], s[2:3]
	s_load_dwordx2 s[20:21], s[0:1], 0x0
	s_load_dwordx2 s[26:27], s[0:1], 0x18
	s_load_dword s12, s[0:1], 0x88
	s_load_dwordx4 s[8:11], s[0:1], 0x58
	v_mov_b32_e32 v44, s15
	s_mul_i32 s33, s33, s14
	v_lshrrev_b32_e32 v41, 4, v0
	s_xor_b64 exec, exec, s[30:31]
	s_cbranch_execz .LBB197_12
; %bb.7:
	v_lshlrev_b32_e32 v30, 7, v34
	s_load_dwordx2 s[0:1], s[0:1], 0x10
	ds_read_b128 v[2:5], v30
	ds_read_b128 v[6:9], v30 offset:16
	ds_read_b128 v[10:13], v30 offset:32
	ds_read_b128 v[14:17], v30 offset:48
	ds_read_b128 v[18:21], v30 offset:64
	ds_read_b128 v[22:25], v30 offset:80
	ds_read_b128 v[26:29], v30 offset:96
	ds_read_b128 v[30:33], v30 offset:112
	v_mbcnt_hi_u32_b32 v42, -1, v35
	v_and_b32_e32 v35, 64, v42
	s_ashr_i32 s2, s33, 31
	v_add_u32_e32 v43, 64, v35
	v_xor_b32_e32 v35, 2, v42
	v_bfe_u32 v44, v0, 2, 4
	s_waitcnt lgkmcnt(0)
	s_add_u32 s0, s0, s33
	v_cmp_lt_i32_e32 vcc, v35, v43
	v_lshlrev_b32_e32 v38, 4, v44
	s_addc_u32 s1, s1, s2
	v_mov_b32_e32 v39, 0
	v_cndmask_b32_e32 v35, v42, v35, vcc
	s_load_dword s35, s[8:9], 0x0
	v_lshl_add_u64 v[36:37], s[0:1], 0, v[38:39]
	v_lshlrev_b32_e32 v45, 2, v35
	v_xor_b32_e32 v35, 1, v42
	s_sub_i32 s36, 1, s17
	v_lshlrev_b32_e32 v38, 2, v44
	s_lshl_b64 s[0:1], s[24:25], 2
	v_cmp_lt_i32_e32 vcc, v35, v43
	v_lshl_or_b32 v38, v53, 6, v38
	s_add_u32 s0, s22, s0
	v_cndmask_b32_e32 v35, v42, v35, vcc
	v_add_u32_e32 v48, 0x210, v38
	v_and_b32_e32 v38, 60, v41
	s_addc_u32 s1, s23, s1
	s_mov_b32 s34, s13
	v_lshlrev_b32_e32 v46, 2, v35
	v_cmp_eq_u32_e32 vcc, 0, v34
	v_cmp_neq_f32_e64 s[2:3], s28, 0
	v_mov_b32_e32 v35, v39
	v_lshl_or_b32 v47, v53, 4, v44
	v_lshl_add_u64 v[38:39], s[0:1], 0, v[38:39]
	s_mov_b64 s[8:9], 0
	v_mov_b32_e32 v44, 0xff7fffff
	v_mov_b32_e32 v49, v53
	s_branch .LBB197_9
.LBB197_8:                              ;   in Loop: Header=BB197_9 Depth=1
	s_or_b64 exec, exec, s[14:15]
	v_add_u32_e32 v49, 2, v49
	v_cmp_le_i32_e64 s[0:1], s19, v49
	v_add_u32_e32 v47, 32, v47
	v_add_u32_e32 v48, 0x80, v48
	s_or_b64 s[8:9], s[0:1], s[8:9]
	v_lshl_add_u64 v[38:39], v[38:39], 0, 8
	s_andn2_b64 exec, exec, s[8:9]
	s_cbranch_execz .LBB197_11
.LBB197_9:                              ; =>This Inner Loop Header: Depth=1
	global_load_dword v50, v[38:39], off
	s_waitcnt vmcnt(0) lgkmcnt(0)
	v_mad_i64_i32 v[50:51], s[0:1], v50, s34, v[36:37]
	v_lshl_add_u64 v[50:51], v[50:51], 0, v[34:35]
	global_load_ubyte v54, v[50:51], off
	global_load_ubyte v55, v[50:51], off offset:4
	global_load_ubyte v56, v[50:51], off offset:8
	;; [unrolled: 1-line block ×30, first 2 shown]
	s_nop 0
	global_load_ubyte v50, v[50:51], off offset:1804
	s_waitcnt vmcnt(31)
	v_cvt_f32_fp8_sdwa v51, v54 src0_sel:BYTE_0
	s_waitcnt vmcnt(30)
	v_cvt_f32_fp8_sdwa v54, v55 src0_sel:BYTE_0
	;; [unrolled: 2-line block ×5, first 2 shown]
	s_waitcnt lgkmcnt(0)
	v_mul_f32_e32 v54, s35, v54
	s_waitcnt vmcnt(26)
	v_cvt_f32_fp8_sdwa v58, v59 src0_sel:BYTE_0
	v_mul_f32_e32 v51, s35, v51
	v_mul_f32_e32 v54, v3, v54
	s_waitcnt vmcnt(25)
	v_cvt_f32_fp8_sdwa v59, v60 src0_sel:BYTE_0
	v_mul_f32_e32 v55, s35, v55
	v_fmac_f32_e32 v54, v2, v51
	s_waitcnt vmcnt(24)
	v_cvt_f32_fp8_sdwa v60, v61 src0_sel:BYTE_0
	v_mul_f32_e32 v56, s35, v56
	v_fmac_f32_e32 v54, v4, v55
	;; [unrolled: 4-line block ×26, first 2 shown]
	v_mul_f32_e32 v81, s35, v81
	v_fmac_f32_e32 v54, v29, v80
	v_mul_f32_e32 v82, s35, v82
	v_fmac_f32_e32 v54, v30, v81
	;; [unrolled: 2-line block ×4, first 2 shown]
	v_fmac_f32_e32 v54, v33, v50
	ds_bpermute_b32 v50, v45, v54
	s_waitcnt lgkmcnt(0)
	v_add_f32_e32 v50, v54, v50
	ds_bpermute_b32 v51, v46, v50
	s_and_saveexec_b64 s[14:15], vcc
	s_cbranch_execz .LBB197_8
; %bb.10:                               ;   in Loop: Header=BB197_9 Depth=1
	v_add_u32_e32 v54, s36, v47
	v_cvt_f32_i32_e32 v54, v54
	s_waitcnt lgkmcnt(0)
	v_add_f32_e32 v50, v50, v51
	v_cmp_gt_i32_e64 s[0:1], s17, v47
	v_max_f32_e32 v51, v44, v44
	v_mul_f32_e32 v54, s28, v54
	v_cndmask_b32_e64 v54, 0, v54, s[2:3]
	v_fmac_f32_e32 v54, s29, v50
	v_cndmask_b32_e64 v50, 0, v54, s[0:1]
	ds_write_b32 v48, v50
	v_max_f32_e32 v50, v51, v54
	v_cndmask_b32_e64 v44, v44, v50, s[0:1]
	s_branch .LBB197_8
.LBB197_11:
	s_or_b64 exec, exec, s[8:9]
.LBB197_12:
	s_or_b64 exec, exec, s[30:31]
	v_xor_b32_e32 v2, 32, v42
	v_cmp_lt_i32_e32 vcc, v2, v43
	v_xor_b32_e32 v5, 16, v42
	v_max_f32_e32 v4, v44, v44
	v_cndmask_b32_e32 v2, v42, v2, vcc
	v_lshlrev_b32_e32 v2, 2, v2
	ds_bpermute_b32 v3, v2, v44
	v_cmp_lt_i32_e32 vcc, v5, v43
	v_xor_b32_e32 v6, 8, v42
	v_xor_b32_e32 v7, 4, v42
	v_and_b32_e32 v35, 63, v0
	s_waitcnt lgkmcnt(0)
	v_max_f32_e32 v3, v3, v3
	v_max_f32_e32 v4, v4, v3
	v_cndmask_b32_e32 v3, v42, v5, vcc
	v_lshlrev_b32_e32 v3, 2, v3
	ds_bpermute_b32 v5, v3, v4
	v_cmp_lt_i32_e32 vcc, v6, v43
	s_waitcnt lgkmcnt(0)
	v_max_f32_e32 v5, v5, v5
	v_max_f32_e32 v4, v4, v5
	v_cndmask_b32_e32 v5, v42, v6, vcc
	v_lshlrev_b32_e32 v6, 2, v5
	ds_bpermute_b32 v5, v6, v4
	v_cmp_lt_i32_e32 vcc, v7, v43
	s_waitcnt lgkmcnt(0)
	v_max_f32_e32 v5, v5, v5
	v_max_f32_e32 v5, v4, v5
	v_cndmask_b32_e32 v4, v42, v7, vcc
	v_lshlrev_b32_e32 v7, 2, v4
	ds_bpermute_b32 v8, v7, v5
	v_cmp_eq_u32_e32 vcc, 0, v35
	v_lshlrev_b32_e32 v4, 2, v53
	s_and_saveexec_b64 s[0:1], vcc
	s_cbranch_execz .LBB197_14
; %bb.13:
	s_waitcnt lgkmcnt(0)
	v_max_f32_e32 v8, v8, v8
	v_max_f32_e32 v5, v5, v5
	v_max_f32_e32 v5, v5, v8
	ds_write_b32 v4, v5 offset:512
.LBB197_14:
	s_or_b64 exec, exec, s[0:1]
	v_cmp_gt_u32_e64 s[0:1], 2, v35
	s_waitcnt lgkmcnt(0)
	v_mov_b32_e32 v8, 0xff7fffff
	v_lshlrev_b32_e32 v5, 2, v35
	s_barrier
	s_and_saveexec_b64 s[2:3], s[0:1]
	s_cbranch_execz .LBB197_16
; %bb.15:
	ds_read_b32 v8, v5 offset:512
.LBB197_16:
	s_or_b64 exec, exec, s[2:3]
	v_xor_b32_e32 v9, 1, v42
	v_cmp_lt_i32_e64 s[2:3], v9, v43
	v_lshlrev_b32_e32 v10, 2, v42
	s_nop 0
	v_cndmask_b32_e64 v9, v42, v9, s[2:3]
	v_lshlrev_b32_e32 v54, 2, v9
	s_waitcnt lgkmcnt(0)
	ds_bpermute_b32 v9, v54, v8
	v_max_f32_e32 v8, v8, v8
	s_lshl_b32 s2, s19, 4
	s_min_i32 s30, s2, s17
	v_cmp_gt_i32_e64 s[2:3], s30, v0
	s_waitcnt lgkmcnt(0)
	v_max_f32_e32 v9, v9, v9
	v_max_f32_e32 v9, v8, v9
	v_and_b32_e32 v8, 0xffffff00, v10
	ds_bpermute_b32 v10, v8, v9
	v_mov_b32_e32 v9, 0
	s_and_saveexec_b64 s[14:15], s[2:3]
	s_cbranch_execz .LBB197_20
; %bb.17:
	v_mov_b32_e32 v9, 0x210
	v_lshl_add_u32 v11, v0, 2, v9
	s_mov_b64 s[28:29], 0
	v_mov_b32_e32 v9, 0
	v_mov_b32_e32 v12, v0
.LBB197_18:                             ; =>This Inner Loop Header: Depth=1
	ds_read_b32 v13, v11
	v_add_u32_e32 v12, 0x80, v12
	v_cmp_le_i32_e64 s[8:9], s30, v12
	s_or_b64 s[28:29], s[8:9], s[28:29]
	s_waitcnt lgkmcnt(0)
	v_sub_f32_e32 v13, v13, v10
	v_mul_f32_e32 v13, 0x3fb8aa3b, v13
	v_exp_f32_e32 v13, v13
	ds_write_b32 v11, v13
	v_add_f32_e32 v9, v9, v13
	v_add_u32_e32 v11, 0x200, v11
	s_andn2_b64 exec, exec, s[28:29]
	s_cbranch_execnz .LBB197_18
; %bb.19:
	s_or_b64 exec, exec, s[28:29]
.LBB197_20:
	s_or_b64 exec, exec, s[14:15]
	ds_bpermute_b32 v2, v2, v9
	s_waitcnt lgkmcnt(0)
	v_add_f32_e32 v2, v9, v2
	ds_bpermute_b32 v3, v3, v2
	s_waitcnt lgkmcnt(0)
	v_add_f32_e32 v2, v2, v3
	ds_bpermute_b32 v3, v6, v2
	v_xor_b32_e32 v6, 2, v42
	v_cmp_lt_i32_e64 s[8:9], v6, v43
	s_waitcnt lgkmcnt(0)
	v_add_f32_e32 v2, v2, v3
	ds_bpermute_b32 v3, v7, v2
	v_cndmask_b32_e64 v6, v42, v6, s[8:9]
	v_lshlrev_b32_e32 v55, 2, v6
	s_waitcnt lgkmcnt(0)
	v_add_f32_e32 v2, v2, v3
	ds_bpermute_b32 v3, v55, v2
	s_waitcnt lgkmcnt(0)
	v_add_f32_e32 v2, v2, v3
	ds_bpermute_b32 v3, v54, v2
	s_waitcnt lgkmcnt(0)
	v_add_f32_e32 v2, v2, v3
	s_and_saveexec_b64 s[8:9], vcc
	s_cbranch_execz .LBB197_22
; %bb.21:
	ds_write_b32 v4, v2 offset:520
.LBB197_22:
	s_or_b64 exec, exec, s[8:9]
	s_waitcnt lgkmcnt(0)
	s_barrier
	s_and_saveexec_b64 s[8:9], s[0:1]
	s_cbranch_execz .LBB197_24
; %bb.23:
	ds_read_b32 v2, v5 offset:520
.LBB197_24:
	s_or_b64 exec, exec, s[8:9]
	s_waitcnt lgkmcnt(0)
	ds_bpermute_b32 v3, v54, v2
	s_waitcnt lgkmcnt(0)
	v_add_f32_e32 v2, v2, v3
	ds_bpermute_b32 v2, v8, v2
	s_and_saveexec_b64 s[0:1], s[2:3]
	s_cbranch_execz .LBB197_37
; %bb.25:
	s_waitcnt lgkmcnt(0)
	v_add_f32_e32 v2, 0x358637bd, v2
	v_div_scale_f32 v3, s[2:3], v2, v2, 1.0
	v_rcp_f32_e32 v4, v3
	v_div_scale_f32 v5, vcc, 1.0, v2, 1.0
	s_movk_i32 s2, 0x7f
	v_fma_f32 v6, -v3, v4, 1.0
	v_fmac_f32_e32 v4, v6, v4
	v_mul_f32_e32 v6, v5, v4
	v_fma_f32 v7, -v3, v6, v5
	v_fmac_f32_e32 v6, v7, v4
	v_fma_f32 v3, -v3, v6, v5
	v_div_fmas_f32 v3, v3, v4, v6
	v_xad_u32 v4, v0, -1, s30
	v_div_fixup_f32 v2, v3, v2, 1.0
	v_cmp_lt_u32_e32 vcc, s2, v4
	s_mov_b64 s[8:9], -1
	v_mov_b32_e32 v3, v0
	s_and_saveexec_b64 s[2:3], vcc
	s_cbranch_execz .LBB197_34
; %bb.26:
	v_lshrrev_b32_e32 v4, 7, v4
	v_add_u32_e32 v6, -1, v4
	v_lshrrev_b32_e32 v5, 1, v6
	v_mov_b32_e32 v3, v2
	v_add_u32_e32 v5, 1, v5
	v_cmp_lt_u32_e32 vcc, 13, v6
	v_mov_b32_e32 v8, 0
	s_and_saveexec_b64 s[8:9], vcc
	s_cbranch_execz .LBB197_30
; %bb.27:
	v_mov_b32_e32 v7, 0x210
	v_and_b32_e32 v6, -8, v5
	v_lshl_add_u32 v7, v0, 2, v7
	s_mov_b32 s28, 0
	s_mov_b64 s[14:15], 0
.LBB197_28:                             ; =>This Inner Loop Header: Depth=1
	ds_read2st64_b32 v[8:9], v7 offset1:2
	ds_read2st64_b32 v[10:11], v7 offset0:4 offset1:6
	ds_read2st64_b32 v[12:13], v7 offset0:8 offset1:10
	;; [unrolled: 1-line block ×3, first 2 shown]
	v_add_u32_e32 v6, -8, v6
	s_waitcnt lgkmcnt(3)
	v_pk_mul_f32 v[8:9], v[2:3], v[8:9]
	s_waitcnt lgkmcnt(2)
	v_pk_mul_f32 v[10:11], v[2:3], v[10:11]
	ds_write2st64_b32 v7, v8, v9 offset1:2
	ds_write2st64_b32 v7, v10, v11 offset0:4 offset1:6
	ds_read2st64_b32 v[10:11], v7 offset0:16 offset1:18
	s_waitcnt lgkmcnt(4)
	v_pk_mul_f32 v[8:9], v[2:3], v[12:13]
	ds_write2st64_b32 v7, v8, v9 offset0:8 offset1:10
	s_waitcnt lgkmcnt(4)
	v_pk_mul_f32 v[8:9], v[2:3], v[14:15]
	ds_write2st64_b32 v7, v8, v9 offset0:12 offset1:14
	ds_read2st64_b32 v[8:9], v7 offset0:20 offset1:22
	s_waitcnt lgkmcnt(3)
	v_pk_mul_f32 v[10:11], v[2:3], v[10:11]
	ds_read2st64_b32 v[12:13], v7 offset0:24 offset1:26
	ds_write2st64_b32 v7, v10, v11 offset0:16 offset1:18
	ds_read2st64_b32 v[10:11], v7 offset0:28 offset1:30
	s_waitcnt lgkmcnt(3)
	v_pk_mul_f32 v[8:9], v[2:3], v[8:9]
	ds_write2st64_b32 v7, v8, v9 offset0:20 offset1:22
	s_waitcnt lgkmcnt(3)
	v_pk_mul_f32 v[8:9], v[2:3], v[12:13]
	ds_write2st64_b32 v7, v8, v9 offset0:24 offset1:26
	s_waitcnt lgkmcnt(2)
	v_pk_mul_f32 v[8:9], v[2:3], v[10:11]
	s_add_i32 s28, s28, 16
	v_cmp_eq_u32_e32 vcc, 0, v6
	ds_write2st64_b32 v7, v8, v9 offset0:28 offset1:30
	v_add_u32_e32 v7, 0x2000, v7
	s_or_b64 s[14:15], vcc, s[14:15]
	v_mov_b32_e32 v8, s28
	s_andn2_b64 exec, exec, s[14:15]
	s_cbranch_execnz .LBB197_28
; %bb.29:
	s_or_b64 exec, exec, s[14:15]
.LBB197_30:
	s_or_b64 exec, exec, s[8:9]
	v_and_b32_e32 v5, 7, v5
	v_cmp_ne_u32_e32 vcc, 0, v5
	s_and_saveexec_b64 s[8:9], vcc
	s_cbranch_execz .LBB197_33
; %bb.31:
	v_lshlrev_b32_e32 v6, 9, v8
	s_movk_i32 s14, 0x210
	v_add3_u32 v6, v6, v40, s14
	s_mov_b64 s[14:15], 0
.LBB197_32:                             ; =>This Inner Loop Header: Depth=1
	ds_read2st64_b32 v[8:9], v6 offset1:2
	v_add_u32_e32 v5, -1, v5
	v_cmp_eq_u32_e32 vcc, 0, v5
	s_or_b64 s[14:15], vcc, s[14:15]
	s_waitcnt lgkmcnt(0)
	v_pk_mul_f32 v[8:9], v[2:3], v[8:9]
	ds_write2st64_b32 v6, v8, v9 offset1:2
	v_add_u32_e32 v6, 0x400, v6
	s_andn2_b64 exec, exec, s[14:15]
	s_cbranch_execnz .LBB197_32
.LBB197_33:
	s_or_b64 exec, exec, s[8:9]
	v_add_u32_e32 v4, 1, v4
	v_and_b32_e32 v5, 0x3fffffe, v4
	v_cmp_ne_u32_e32 vcc, v4, v5
	v_lshl_add_u32 v3, v5, 7, v0
	s_orn2_b64 s[8:9], vcc, exec
.LBB197_34:
	s_or_b64 exec, exec, s[2:3]
	s_and_b64 exec, exec, s[8:9]
	s_cbranch_execz .LBB197_37
; %bb.35:
	v_mov_b32_e32 v4, 0x210
	v_lshl_add_u32 v4, v3, 2, v4
	s_mov_b64 s[2:3], 0
.LBB197_36:                             ; =>This Inner Loop Header: Depth=1
	ds_read_b32 v5, v4
	v_add_u32_e32 v3, 0x80, v3
	v_cmp_le_i32_e32 vcc, s30, v3
	s_or_b64 s[2:3], vcc, s[2:3]
	s_waitcnt lgkmcnt(0)
	v_mul_f32_e32 v5, v2, v5
	ds_write_b32 v4, v5
	v_add_u32_e32 v4, 0x200, v4
	s_andn2_b64 exec, exec, s[2:3]
	s_cbranch_execnz .LBB197_36
.LBB197_37:
	s_or_b64 exec, exec, s[0:1]
	v_mov_b32_e32 v7, 0
	v_mov_b32_e32 v6, 0
	;; [unrolled: 1-line block ×8, first 2 shown]
	s_waitcnt lgkmcnt(0)
	s_barrier
	s_and_saveexec_b64 s[2:3], s[6:7]
	s_cbranch_execz .LBB197_57
; %bb.38:
	s_ashr_i32 s1, s33, 31
	s_load_dword s6, s[10:11], 0x0
	s_add_u32 s0, s26, s33
	s_addc_u32 s1, s27, s1
	v_and_b32_e32 v10, 0xfc, v40
	v_mov_b32_e32 v11, 0
	v_and_b32_e32 v2, 12, v40
	s_add_i32 s14, s19, -1
	v_lshl_add_u64 v[14:15], s[0:1], 0, v[10:11]
	v_lshlrev_b32_e32 v3, 4, v53
	s_lshl_b64 s[0:1], s[24:25], 2
	v_or3_b32 v56, v3, v2, 3
	v_lshlrev_b32_e32 v2, 4, v34
	s_add_u32 s0, s22, s0
	v_lshl_or_b32 v2, v53, 6, v2
	v_and_b32_e32 v10, 60, v41
	s_addc_u32 s1, s23, s1
	s_waitcnt lgkmcnt(0)
	s_mov_b32 s7, s6
	v_add_u32_e32 v57, 0x210, v2
	v_lshl_add_u64 v[16:17], s[0:1], 0, v[10:11]
	s_mov_b64 s[8:9], 0
	v_mov_b32_e32 v10, v11
	v_mov_b32_e32 v12, v11
	;; [unrolled: 1-line block ×7, first 2 shown]
	s_branch .LBB197_40
.LBB197_39:                             ;   in Loop: Header=BB197_40 Depth=1
	s_or_b64 exec, exec, s[0:1]
	s_waitcnt lgkmcnt(0)
	v_mul_f32_e32 v21, v3, v21
	v_fmac_f32_e32 v21, v2, v20
	v_fmac_f32_e32 v21, v4, v18
	v_mul_f32_e32 v18, v3, v27
	v_fmac_f32_e32 v18, v2, v26
	v_fmac_f32_e32 v18, v4, v24
	v_fmac_f32_e32 v18, v5, v25
	v_add_f32_e32 v11, v11, v18
	v_mul_f32_e32 v18, v3, v31
	v_fmac_f32_e32 v18, v2, v30
	v_fmac_f32_e32 v18, v4, v28
	v_fmac_f32_e32 v18, v5, v29
	v_add_f32_e32 v12, v12, v18
	;; [unrolled: 5-line block ×5, first 2 shown]
	v_mul_f32_e32 v18, v3, v49
	v_mul_f32_e32 v3, v3, v51
	v_fmac_f32_e32 v18, v2, v48
	v_fmac_f32_e32 v3, v2, v50
	;; [unrolled: 1-line block ×4, first 2 shown]
	v_add_u32_e32 v53, 2, v53
	v_fmac_f32_e32 v21, v5, v19
	v_fmac_f32_e32 v18, v5, v47
	;; [unrolled: 1-line block ×3, first 2 shown]
	v_cmp_le_i32_e32 vcc, s19, v53
	v_add_f32_e32 v10, v10, v21
	v_add_f32_e32 v6, v6, v18
	;; [unrolled: 1-line block ×3, first 2 shown]
	v_add_u32_e32 v56, 32, v56
	v_add_u32_e32 v57, 0x80, v57
	s_or_b64 s[8:9], vcc, s[8:9]
	v_lshl_add_u64 v[16:17], v[16:17], 0, 8
	s_andn2_b64 exec, exec, s[8:9]
	s_cbranch_execz .LBB197_56
.LBB197_40:                             ; =>This Inner Loop Header: Depth=1
	global_load_dword v2, v[16:17], off
	v_add_u32_e32 v58, -3, v56
	v_cmp_eq_u32_e32 vcc, s14, v53
	v_add_u32_e32 v59, -2, v56
	v_add_u32_e32 v60, -1, v56
	s_waitcnt vmcnt(0)
	v_mad_i64_i32 v[22:23], s[0:1], v2, s13, v[14:15]
	global_load_dword v18, v[22:23], off
	ds_read_b128 v[2:5], v57
	s_waitcnt vmcnt(0)
	v_and_b32_e32 v19, 0xffff, v18
	v_lshrrev_b32_e32 v20, 16, v18
	v_cvt_pk_f32_fp8_e32 v[18:19], v19
	v_cvt_pk_f32_fp8_e32 v[24:25], v20
	v_pk_mul_f32 v[20:21], s[6:7], v[18:19]
	v_pk_mul_f32 v[18:19], s[6:7], v[24:25]
	s_and_saveexec_b64 s[10:11], vcc
; %bb.41:                               ;   in Loop: Header=BB197_40 Depth=1
	v_cmp_gt_i32_e64 s[0:1], s17, v58
	s_nop 1
	v_cndmask_b32_e64 v20, 0, v20, s[0:1]
	v_cmp_gt_i32_e64 s[0:1], s17, v59
	s_nop 1
	v_cndmask_b32_e64 v21, 0, v21, s[0:1]
	v_cmp_gt_i32_e64 s[0:1], s17, v60
	s_nop 1
	v_cndmask_b32_e64 v18, 0, v18, s[0:1]
	v_cmp_gt_i32_e64 s[0:1], s17, v56
	s_nop 1
	v_cndmask_b32_e64 v19, 0, v19, s[0:1]
; %bb.42:                               ;   in Loop: Header=BB197_40 Depth=1
	s_or_b64 exec, exec, s[10:11]
	global_load_dword v24, v[22:23], off offset:256
	s_waitcnt vmcnt(0)
	v_and_b32_e32 v25, 0xffff, v24
	v_lshrrev_b32_e32 v26, 16, v24
	v_cvt_pk_f32_fp8_e32 v[24:25], v25
	v_cvt_pk_f32_fp8_e32 v[28:29], v26
	v_pk_mul_f32 v[26:27], s[6:7], v[24:25]
	v_pk_mul_f32 v[24:25], s[6:7], v[28:29]
	s_and_saveexec_b64 s[10:11], vcc
; %bb.43:                               ;   in Loop: Header=BB197_40 Depth=1
	v_cmp_gt_i32_e64 s[0:1], s17, v58
	s_nop 1
	v_cndmask_b32_e64 v26, 0, v26, s[0:1]
	v_cmp_gt_i32_e64 s[0:1], s17, v59
	s_nop 1
	v_cndmask_b32_e64 v27, 0, v27, s[0:1]
	v_cmp_gt_i32_e64 s[0:1], s17, v60
	s_nop 1
	v_cndmask_b32_e64 v24, 0, v24, s[0:1]
	v_cmp_gt_i32_e64 s[0:1], s17, v56
	s_nop 1
	v_cndmask_b32_e64 v25, 0, v25, s[0:1]
; %bb.44:                               ;   in Loop: Header=BB197_40 Depth=1
	s_or_b64 exec, exec, s[10:11]
	global_load_dword v28, v[22:23], off offset:512
	;; [unrolled: 24-line block ×7, first 2 shown]
	s_waitcnt vmcnt(0)
	v_and_b32_e32 v23, 0xffff, v22
	v_lshrrev_b32_e32 v50, 16, v22
	v_cvt_pk_f32_fp8_e32 v[22:23], v23
	v_cvt_pk_f32_fp8_e32 v[62:63], v50
	v_pk_mul_f32 v[50:51], s[6:7], v[22:23]
	v_pk_mul_f32 v[22:23], s[6:7], v[62:63]
	s_and_saveexec_b64 s[0:1], vcc
	s_cbranch_execz .LBB197_39
; %bb.55:                               ;   in Loop: Header=BB197_40 Depth=1
	v_cmp_gt_i32_e32 vcc, s17, v58
	s_nop 1
	v_cndmask_b32_e32 v50, 0, v50, vcc
	v_cmp_gt_i32_e32 vcc, s17, v59
	s_nop 1
	v_cndmask_b32_e32 v51, 0, v51, vcc
	;; [unrolled: 3-line block ×4, first 2 shown]
	s_branch .LBB197_39
.LBB197_56:
	s_or_b64 exec, exec, s[8:9]
.LBB197_57:
	s_or_b64 exec, exec, s[2:3]
	ds_bpermute_b32 v4, v55, v12
	ds_bpermute_b32 v5, v55, v13
	;; [unrolled: 1-line block ×6, first 2 shown]
	s_waitcnt lgkmcnt(4)
	v_pk_add_f32 v[4:5], v[12:13], v[4:5]
	ds_bpermute_b32 v12, v55, v8
	ds_bpermute_b32 v13, v55, v9
	s_waitcnt lgkmcnt(4)
	v_pk_add_f32 v[2:3], v[10:11], v[2:3]
	ds_bpermute_b32 v10, v54, v2
	ds_bpermute_b32 v11, v54, v3
	s_waitcnt lgkmcnt(4)
	v_pk_add_f32 v[16:17], v[6:7], v[16:17]
	s_waitcnt lgkmcnt(2)
	v_pk_add_f32 v[12:13], v[8:9], v[12:13]
	ds_bpermute_b32 v14, v54, v4
	ds_bpermute_b32 v15, v54, v5
	;; [unrolled: 1-line block ×6, first 2 shown]
	s_waitcnt lgkmcnt(6)
	v_pk_add_f32 v[8:9], v[2:3], v[10:11]
	v_and_b32_e32 v10, 0x3c3, v0
	s_waitcnt lgkmcnt(4)
	v_pk_add_f32 v[6:7], v[4:5], v[14:15]
	s_waitcnt lgkmcnt(2)
	v_pk_add_f32 v[2:3], v[12:13], v[18:19]
	;; [unrolled: 2-line block ×3, first 2 shown]
	v_cmp_eq_u32_e32 vcc, 64, v10
	s_barrier
	s_and_saveexec_b64 s[0:1], vcc
	s_cbranch_execz .LBB197_59
; %bb.58:
	v_add_u32_e32 v11, 0x210, v35
	ds_write2_b32 v11, v8, v9 offset1:16
	ds_write2_b32 v11, v6, v7 offset0:32 offset1:48
	ds_write2_b32 v11, v2, v3 offset0:64 offset1:80
	;; [unrolled: 1-line block ×3, first 2 shown]
.LBB197_59:
	s_or_b64 exec, exec, s[0:1]
	v_cmp_gt_u32_e32 vcc, 64, v0
	s_waitcnt lgkmcnt(0)
	s_barrier
	s_and_saveexec_b64 s[0:1], vcc
	s_cbranch_execz .LBB197_70
; %bb.60:
	v_cmp_eq_u32_e32 vcc, 0, v34
	s_and_saveexec_b64 s[2:3], vcc
	s_cbranch_execnz .LBB197_73
; %bb.61:
	s_or_b64 exec, exec, s[2:3]
	s_and_saveexec_b64 s[2:3], vcc
	s_cbranch_execnz .LBB197_74
.LBB197_62:
	s_or_b64 exec, exec, s[2:3]
	s_and_saveexec_b64 s[2:3], vcc
	s_cbranch_execnz .LBB197_75
.LBB197_63:
	s_or_b64 exec, exec, s[2:3]
	s_and_saveexec_b64 s[2:3], vcc
	s_cbranch_execnz .LBB197_76
.LBB197_64:
	s_or_b64 exec, exec, s[2:3]
	s_and_saveexec_b64 s[2:3], vcc
	s_cbranch_execnz .LBB197_77
.LBB197_65:
	s_or_b64 exec, exec, s[2:3]
	s_and_saveexec_b64 s[2:3], vcc
	s_cbranch_execnz .LBB197_78
.LBB197_66:
	s_or_b64 exec, exec, s[2:3]
	s_and_saveexec_b64 s[2:3], vcc
	s_cbranch_execnz .LBB197_79
.LBB197_67:
	s_or_b64 exec, exec, s[2:3]
	s_and_saveexec_b64 s[2:3], vcc
	s_cbranch_execz .LBB197_69
.LBB197_68:
	v_mov_b32_e32 v0, 0x210
	v_lshl_add_u32 v0, v52, 2, v0
	ds_read_b32 v0, v0 offset:448
	s_waitcnt lgkmcnt(0)
	v_add_f32_e32 v5, v5, v0
.LBB197_69:
	s_or_b64 exec, exec, s[2:3]
.LBB197_70:
	s_or_b64 exec, exec, s[0:1]
	v_cmp_eq_u32_e32 vcc, 0, v10
	s_barrier
	s_and_saveexec_b64 s[0:1], vcc
	s_cbranch_execz .LBB197_72
; %bb.71:
	s_mul_i32 s0, s16, s12
	s_mul_i32 s0, s0, s5
	s_lshl_b32 s0, s0, 7
	s_ashr_i32 s1, s0, 31
	s_lshl_b64 s[0:1], s[0:1], 2
	s_add_u32 s2, s20, s0
	s_mul_i32 s0, s12, s18
	s_addc_u32 s3, s21, s1
	s_ashr_i32 s1, s0, 31
	s_lshl_b64 s[0:1], s[0:1], 2
	s_add_u32 s2, s2, s0
	s_addc_u32 s3, s3, s1
	s_lshl_b32 s0, s4, 7
	s_ashr_i32 s1, s0, 31
	s_lshl_b64 s[0:1], s[0:1], 2
	s_add_u32 s0, s2, s0
	s_addc_u32 s1, s3, s1
	global_store_dword v1, v8, s[0:1]
	global_store_dword v1, v9, s[0:1] offset:64
	global_store_dword v1, v6, s[0:1] offset:128
	;; [unrolled: 1-line block ×7, first 2 shown]
.LBB197_72:
	s_endpgm
.LBB197_73:
	v_mov_b32_e32 v0, 0x210
	v_lshl_add_u32 v0, v52, 2, v0
	ds_read_b32 v0, v0
	s_waitcnt lgkmcnt(0)
	v_add_f32_e32 v8, v8, v0
	s_or_b64 exec, exec, s[2:3]
	s_and_saveexec_b64 s[2:3], vcc
	s_cbranch_execz .LBB197_62
.LBB197_74:
	v_mov_b32_e32 v0, 0x210
	v_lshl_add_u32 v0, v52, 2, v0
	ds_read_b32 v0, v0 offset:64
	s_waitcnt lgkmcnt(0)
	v_add_f32_e32 v9, v9, v0
	s_or_b64 exec, exec, s[2:3]
	s_and_saveexec_b64 s[2:3], vcc
	s_cbranch_execz .LBB197_63
.LBB197_75:
	v_mov_b32_e32 v0, 0x210
	v_lshl_add_u32 v0, v52, 2, v0
	ds_read_b32 v0, v0 offset:128
	s_waitcnt lgkmcnt(0)
	v_add_f32_e32 v6, v6, v0
	s_or_b64 exec, exec, s[2:3]
	s_and_saveexec_b64 s[2:3], vcc
	s_cbranch_execz .LBB197_64
.LBB197_76:
	v_mov_b32_e32 v0, 0x210
	v_lshl_add_u32 v0, v52, 2, v0
	ds_read_b32 v0, v0 offset:192
	s_waitcnt lgkmcnt(0)
	v_add_f32_e32 v7, v7, v0
	s_or_b64 exec, exec, s[2:3]
	s_and_saveexec_b64 s[2:3], vcc
	s_cbranch_execz .LBB197_65
.LBB197_77:
	v_mov_b32_e32 v0, 0x210
	v_lshl_add_u32 v0, v52, 2, v0
	ds_read_b32 v0, v0 offset:256
	s_waitcnt lgkmcnt(0)
	v_add_f32_e32 v2, v2, v0
	s_or_b64 exec, exec, s[2:3]
	s_and_saveexec_b64 s[2:3], vcc
	s_cbranch_execz .LBB197_66
.LBB197_78:
	v_mov_b32_e32 v0, 0x210
	v_lshl_add_u32 v0, v52, 2, v0
	ds_read_b32 v0, v0 offset:320
	s_waitcnt lgkmcnt(0)
	v_add_f32_e32 v3, v3, v0
	s_or_b64 exec, exec, s[2:3]
	s_and_saveexec_b64 s[2:3], vcc
	s_cbranch_execz .LBB197_67
.LBB197_79:
	v_mov_b32_e32 v0, 0x210
	v_lshl_add_u32 v0, v52, 2, v0
	ds_read_b32 v0, v0 offset:384
	s_waitcnt lgkmcnt(0)
	v_add_f32_e32 v4, v4, v0
	s_or_b64 exec, exec, s[2:3]
	s_and_saveexec_b64 s[2:3], vcc
	s_cbranch_execnz .LBB197_68
	s_branch .LBB197_69
	.section	.rodata,"a",@progbits
	.p2align	6, 0x0
	.amdhsa_kernel _ZN4vllm25paged_attention_v1_kernelIfhLi128ELi16ELi128ELNS_18Fp8KVCacheDataTypeE1ELb0EEEvPT_PKS2_PKT0_S8_ifPKiSA_iPKfiiiSC_SC_iiiii
		.amdhsa_group_segment_fixed_size 528
		.amdhsa_private_segment_fixed_size 0
		.amdhsa_kernarg_size 384
		.amdhsa_user_sgpr_count 2
		.amdhsa_user_sgpr_dispatch_ptr 0
		.amdhsa_user_sgpr_queue_ptr 0
		.amdhsa_user_sgpr_kernarg_segment_ptr 1
		.amdhsa_user_sgpr_dispatch_id 0
		.amdhsa_user_sgpr_kernarg_preload_length 0
		.amdhsa_user_sgpr_kernarg_preload_offset 0
		.amdhsa_user_sgpr_private_segment_size 0
		.amdhsa_uses_dynamic_stack 0
		.amdhsa_enable_private_segment 0
		.amdhsa_system_sgpr_workgroup_id_x 1
		.amdhsa_system_sgpr_workgroup_id_y 1
		.amdhsa_system_sgpr_workgroup_id_z 1
		.amdhsa_system_sgpr_workgroup_info 0
		.amdhsa_system_vgpr_workitem_id 0
		.amdhsa_next_free_vgpr 85
		.amdhsa_next_free_sgpr 37
		.amdhsa_accum_offset 88
		.amdhsa_reserve_vcc 1
		.amdhsa_float_round_mode_32 0
		.amdhsa_float_round_mode_16_64 0
		.amdhsa_float_denorm_mode_32 3
		.amdhsa_float_denorm_mode_16_64 3
		.amdhsa_dx10_clamp 1
		.amdhsa_ieee_mode 1
		.amdhsa_fp16_overflow 0
		.amdhsa_tg_split 0
		.amdhsa_exception_fp_ieee_invalid_op 0
		.amdhsa_exception_fp_denorm_src 0
		.amdhsa_exception_fp_ieee_div_zero 0
		.amdhsa_exception_fp_ieee_overflow 0
		.amdhsa_exception_fp_ieee_underflow 0
		.amdhsa_exception_fp_ieee_inexact 0
		.amdhsa_exception_int_div_zero 0
	.end_amdhsa_kernel
	.section	.text._ZN4vllm25paged_attention_v1_kernelIfhLi128ELi16ELi128ELNS_18Fp8KVCacheDataTypeE1ELb0EEEvPT_PKS2_PKT0_S8_ifPKiSA_iPKfiiiSC_SC_iiiii,"axG",@progbits,_ZN4vllm25paged_attention_v1_kernelIfhLi128ELi16ELi128ELNS_18Fp8KVCacheDataTypeE1ELb0EEEvPT_PKS2_PKT0_S8_ifPKiSA_iPKfiiiSC_SC_iiiii,comdat
.Lfunc_end197:
	.size	_ZN4vllm25paged_attention_v1_kernelIfhLi128ELi16ELi128ELNS_18Fp8KVCacheDataTypeE1ELb0EEEvPT_PKS2_PKT0_S8_ifPKiSA_iPKfiiiSC_SC_iiiii, .Lfunc_end197-_ZN4vllm25paged_attention_v1_kernelIfhLi128ELi16ELi128ELNS_18Fp8KVCacheDataTypeE1ELb0EEEvPT_PKS2_PKT0_S8_ifPKiSA_iPKfiiiSC_SC_iiiii
                                        ; -- End function
	.section	.AMDGPU.csdata,"",@progbits
; Kernel info:
; codeLenInByte = 5740
; NumSgprs: 43
; NumVgprs: 85
; NumAgprs: 0
; TotalNumVgprs: 85
; ScratchSize: 0
; MemoryBound: 0
; FloatMode: 240
; IeeeMode: 1
; LDSByteSize: 528 bytes/workgroup (compile time only)
; SGPRBlocks: 5
; VGPRBlocks: 10
; NumSGPRsForWavesPerEU: 43
; NumVGPRsForWavesPerEU: 85
; AccumOffset: 88
; Occupancy: 5
; WaveLimiterHint : 1
; COMPUTE_PGM_RSRC2:SCRATCH_EN: 0
; COMPUTE_PGM_RSRC2:USER_SGPR: 2
; COMPUTE_PGM_RSRC2:TRAP_HANDLER: 0
; COMPUTE_PGM_RSRC2:TGID_X_EN: 1
; COMPUTE_PGM_RSRC2:TGID_Y_EN: 1
; COMPUTE_PGM_RSRC2:TGID_Z_EN: 1
; COMPUTE_PGM_RSRC2:TIDIG_COMP_CNT: 0
; COMPUTE_PGM_RSRC3_GFX90A:ACCUM_OFFSET: 21
; COMPUTE_PGM_RSRC3_GFX90A:TG_SPLIT: 0
	.section	.text._ZN4vllm25paged_attention_v1_kernelIfhLi192ELi16ELi128ELNS_18Fp8KVCacheDataTypeE1ELb0EEEvPT_PKS2_PKT0_S8_ifPKiSA_iPKfiiiSC_SC_iiiii,"axG",@progbits,_ZN4vllm25paged_attention_v1_kernelIfhLi192ELi16ELi128ELNS_18Fp8KVCacheDataTypeE1ELb0EEEvPT_PKS2_PKT0_S8_ifPKiSA_iPKfiiiSC_SC_iiiii,comdat
	.protected	_ZN4vllm25paged_attention_v1_kernelIfhLi192ELi16ELi128ELNS_18Fp8KVCacheDataTypeE1ELb0EEEvPT_PKS2_PKT0_S8_ifPKiSA_iPKfiiiSC_SC_iiiii ; -- Begin function _ZN4vllm25paged_attention_v1_kernelIfhLi192ELi16ELi128ELNS_18Fp8KVCacheDataTypeE1ELb0EEEvPT_PKS2_PKT0_S8_ifPKiSA_iPKfiiiSC_SC_iiiii
	.globl	_ZN4vllm25paged_attention_v1_kernelIfhLi192ELi16ELi128ELNS_18Fp8KVCacheDataTypeE1ELb0EEEvPT_PKS2_PKT0_S8_ifPKiSA_iPKfiiiSC_SC_iiiii
	.p2align	8
	.type	_ZN4vllm25paged_attention_v1_kernelIfhLi192ELi16ELi128ELNS_18Fp8KVCacheDataTypeE1ELb0EEEvPT_PKS2_PKT0_S8_ifPKiSA_iPKfiiiSC_SC_iiiii,@function
_ZN4vllm25paged_attention_v1_kernelIfhLi192ELi16ELi128ELNS_18Fp8KVCacheDataTypeE1ELb0EEEvPT_PKS2_PKT0_S8_ifPKiSA_iPKfiiiSC_SC_iiiii: ; @_ZN4vllm25paged_attention_v1_kernelIfhLi192ELi16ELi128ELNS_18Fp8KVCacheDataTypeE1ELb0EEEvPT_PKS2_PKT0_S8_ifPKiSA_iPKfiiiSC_SC_iiiii
; %bb.0:
	s_load_dword s5, s[0:1], 0x80
	s_load_dwordx2 s[6:7], s[0:1], 0x30
	s_load_dwordx2 s[30:31], s[0:1], 0x20
	s_mov_b32 s20, s3
	s_ashr_i32 s21, s3, 31
	s_lshl_b64 s[8:9], s[20:21], 2
	s_waitcnt lgkmcnt(0)
	s_add_u32 s6, s6, s8
	s_addc_u32 s7, s7, s9
	s_abs_i32 s3, s30
	v_cvt_f32_u32_e32 v1, s3
	s_sub_i32 s10, 0, s3
	s_abs_i32 s9, s5
	s_xor_b32 s8, s5, s30
	v_rcp_iflag_f32_e32 v1, v1
	s_ashr_i32 s8, s8, 31
	s_mov_b32 s33, 0
	v_mul_f32_e32 v1, 0x4f7ffffe, v1
	v_cvt_u32_f32_e32 v1, v1
	s_nop 0
	v_readfirstlane_b32 s11, v1
	s_mul_i32 s10, s10, s11
	s_mul_hi_u32 s10, s11, s10
	s_add_i32 s11, s11, s10
	s_mul_hi_u32 s10, s9, s11
	s_mul_i32 s11, s10, s3
	s_sub_i32 s9, s9, s11
	s_add_i32 s11, s10, 1
	s_sub_i32 s12, s9, s3
	s_cmp_ge_u32 s9, s3
	s_cselect_b32 s10, s11, s10
	s_cselect_b32 s9, s12, s9
	s_add_i32 s11, s10, 1
	s_cmp_ge_u32 s9, s3
	s_cselect_b32 s3, s11, s10
	s_xor_b32 s3, s3, s8
	s_sub_i32 s34, s3, s8
	s_abs_i32 s28, s34
	v_cvt_f32_u32_e32 v1, s28
	s_load_dwordx2 s[8:9], s[0:1], 0x40
	s_sub_i32 s3, 0, s28
	s_abs_i32 s29, s2
	v_rcp_iflag_f32_e32 v1, v1
	s_nop 0
	v_mul_f32_e32 v1, 0x4f7ffffe, v1
	v_cvt_u32_f32_e32 v1, v1
	s_nop 0
	v_readfirstlane_b32 s12, v1
	s_mul_i32 s3, s3, s12
	s_mul_hi_u32 s3, s12, s3
	s_add_i32 s12, s12, s3
	s_waitcnt lgkmcnt(0)
	s_cmp_eq_u64 s[8:9], 0
	s_cbranch_scc1 .LBB198_2
; %bb.1:
	s_ashr_i32 s3, s2, 31
	s_lshl_b64 s[10:11], s[2:3], 2
	s_add_u32 s8, s8, s10
	s_addc_u32 s9, s9, s11
	s_load_dword s33, s[8:9], 0x0
.LBB198_2:
	s_load_dwordx2 s[22:23], s[0:1], 0x0
	s_nop 0
	s_load_dwordx4 s[8:11], s[0:1], 0x10
	s_mul_hi_u32 s3, s29, s12
	s_load_dword s21, s[0:1], 0x88
	s_load_dword s30, s[6:7], 0x0
	s_load_dwordx2 s[26:27], s[0:1], 0x28
	s_load_dwordx4 s[12:15], s[0:1], 0x48
	v_lshrrev_b32_e32 v72, 2, v0
	s_waitcnt lgkmcnt(0)
	s_movk_i32 s15, 0xc0
	s_mul_i32 s24, s2, 0xc0
	v_and_b32_e32 v50, 3, v0
	s_ashr_i32 s25, s24, 31
	v_cmp_gt_u32_e32 vcc, s15, v0
	v_lshlrev_b32_e32 v1, 2, v72
	s_and_saveexec_b64 s[6:7], vcc
	s_cbranch_execz .LBB198_5
; %bb.3:
	s_load_dwordx2 s[16:17], s[0:1], 0x8
	s_mul_i32 s18, s20, s12
	s_ashr_i32 s19, s18, 31
	s_lshl_b64 s[18:19], s[18:19], 2
	s_lshl_b64 s[36:37], s[24:25], 2
	s_add_u32 s12, s18, s36
	v_mad_u32_u24 v5, v50, s15, v1
	s_addc_u32 s15, s19, s37
	v_or_b32_e32 v2, v1, v50
	s_waitcnt lgkmcnt(0)
	s_add_u32 s16, s16, s12
	v_lshlrev_b32_e32 v2, 2, v2
	v_mov_b32_e32 v3, 0
	s_addc_u32 s17, s17, s15
	v_subrev_u32_e32 v4, 32, v72
	v_lshl_add_u64 v[2:3], s[16:17], 0, v[2:3]
	s_mov_b64 s[16:17], 0
	s_mov_b64 s[18:19], 0x200
.LBB198_4:                              ; =>This Inner Loop Header: Depth=1
	global_load_dword v6, v[2:3], off
	v_add_u32_e32 v4, 32, v4
	v_cmp_lt_u32_e32 vcc, 15, v4
	v_lshl_add_u64 v[2:3], v[2:3], 0, s[18:19]
	s_or_b64 s[16:17], vcc, s[16:17]
	s_waitcnt vmcnt(0)
	ds_write_b32 v5, v6
	v_add_u32_e32 v5, 0x80, v5
	s_andn2_b64 exec, exec, s[16:17]
	s_cbranch_execnz .LBB198_4
.LBB198_5:
	s_or_b64 exec, exec, s[6:7]
	s_add_i32 s12, s30, 15
	s_ashr_i32 s2, s2, 31
	s_ashr_i32 s6, s34, 31
	;; [unrolled: 1-line block ×3, first 2 shown]
	s_lshr_b32 s15, s15, 28
	s_xor_b32 s2, s2, s6
	s_mul_i32 s6, s3, s28
	s_add_i32 s12, s12, s15
	s_sub_i32 s6, s29, s6
	s_ashr_i32 s12, s12, 4
	s_add_i32 s15, s3, 1
	s_sub_i32 s16, s6, s28
	s_load_dword s7, s[0:1], 0x38
	s_cmp_ge_u32 s6, s28
	s_cselect_b32 s3, s15, s3
	s_cselect_b32 s6, s16, s6
	s_add_i32 s15, s3, 1
	s_cmp_ge_u32 s6, s28
	s_cselect_b32 s3, s15, s3
	v_lshrrev_b32_e32 v73, 6, v0
	s_xor_b32 s3, s3, s2
	s_waitcnt lgkmcnt(0)
	s_mul_i32 s28, s20, s7
	s_sub_i32 s25, s3, s2
	s_ashr_i32 s29, s28, 31
	v_cmp_gt_i32_e64 s[6:7], s12, v73
	v_cmp_le_i32_e32 vcc, s12, v73
	v_mbcnt_lo_u32_b32 v42, -1, 0
	s_barrier
	s_waitcnt lgkmcnt(0)
                                        ; implicit-def: $sgpr15
                                        ; implicit-def: $vgpr59
                                        ; implicit-def: $vgpr60
	s_and_saveexec_b64 s[2:3], vcc
	s_xor_b64 s[2:3], exec, s[2:3]
; %bb.6:
	v_mbcnt_hi_u32_b32 v59, -1, v42
	v_and_b32_e32 v2, 64, v59
	v_add_u32_e32 v60, 64, v2
	s_mov_b32 s15, 0xff7fffff
                                        ; implicit-def: $vgpr42
; %bb.7:
	s_or_saveexec_b64 s[34:35], s[2:3]
	s_load_dwordx4 s[16:19], s[0:1], 0x58
	v_mov_b32_e32 v63, s15
	s_mul_i32 s25, s25, s14
	v_lshrrev_b32_e32 v58, 4, v0
	s_xor_b64 exec, exec, s[34:35]
	s_cbranch_execz .LBB198_13
; %bb.8:
	v_mbcnt_hi_u32_b32 v59, -1, v42
	v_mul_u32_u24_e32 v46, 0xc0, v50
	v_and_b32_e32 v42, 64, v59
	ds_read_b128 v[2:5], v46
	ds_read_b128 v[6:9], v46 offset:16
	ds_read_b128 v[10:13], v46 offset:32
	;; [unrolled: 1-line block ×9, first 2 shown]
	v_add_u32_e32 v60, 64, v42
	v_xor_b32_e32 v42, 2, v59
	v_cmp_lt_i32_e32 vcc, v42, v60
	v_bfe_u32 v43, v0, 2, 4
	s_ashr_i32 s1, s25, 31
	v_cndmask_b32_e32 v42, v59, v42, vcc
	v_lshlrev_b32_e32 v61, 2, v42
	v_xor_b32_e32 v42, 1, v59
	v_cmp_lt_i32_e32 vcc, v42, v60
	s_add_u32 s0, s8, s25
	s_addc_u32 s1, s9, s1
	v_cndmask_b32_e32 v42, v59, v42, vcc
	v_lshlrev_b32_e32 v62, 2, v42
	v_lshlrev_b32_e32 v42, 2, v43
	v_lshl_or_b32 v42, v73, 6, v42
	v_lshlrev_b32_e32 v54, 4, v43
	v_mov_b32_e32 v55, 0
	s_waitcnt lgkmcnt(0)
	s_load_dword s16, s[16:17], 0x0
	v_lshl_or_b32 v64, v73, 4, v43
	v_add_u32_e32 v65, 0x310, v42
	ds_read_b128 v[42:45], v46 offset:160
	ds_read_b128 v[46:49], v46 offset:176
	v_lshl_add_u64 v[52:53], s[0:1], 0, v[54:55]
	s_sub_i32 s17, 1, s30
	s_lshl_b64 s[0:1], s[28:29], 2
	s_add_u32 s0, s26, s0
	v_and_b32_e32 v54, 60, v58
	s_addc_u32 s1, s27, s1
	s_mov_b32 s36, s13
	v_cmp_eq_u32_e32 vcc, 0, v50
	v_cmp_neq_f32_e64 s[2:3], s33, 0
	v_mov_b32_e32 v51, v55
	v_lshl_add_u64 v[54:55], s[0:1], 0, v[54:55]
	s_mov_b64 s[8:9], 0
	v_mov_b32_e32 v63, 0xff7fffff
	v_mov_b32_e32 v66, v73
	s_branch .LBB198_10
.LBB198_9:                              ;   in Loop: Header=BB198_10 Depth=1
	s_or_b64 exec, exec, s[14:15]
	v_add_u32_e32 v66, 2, v66
	v_cmp_le_i32_e64 s[0:1], s12, v66
	v_add_u32_e32 v64, 32, v64
	v_add_u32_e32 v65, 0x80, v65
	s_or_b64 s[8:9], s[0:1], s[8:9]
	v_lshl_add_u64 v[54:55], v[54:55], 0, 8
	s_andn2_b64 exec, exec, s[8:9]
	s_cbranch_execz .LBB198_12
.LBB198_10:                             ; =>This Inner Loop Header: Depth=1
	global_load_dword v56, v[54:55], off
	s_waitcnt vmcnt(0) lgkmcnt(0)
	v_mad_i64_i32 v[56:57], s[0:1], v56, s36, v[52:53]
	v_lshl_add_u64 v[56:57], v[56:57], 0, v[50:51]
	global_load_ubyte v67, v[56:57], off
	global_load_ubyte v68, v[56:57], off offset:4
	global_load_ubyte v69, v[56:57], off offset:8
	global_load_ubyte v70, v[56:57], off offset:12
	global_load_ubyte v71, v[56:57], off offset:256
	global_load_ubyte v74, v[56:57], off offset:260
	global_load_ubyte v75, v[56:57], off offset:264
	global_load_ubyte v76, v[56:57], off offset:268
	global_load_ubyte v77, v[56:57], off offset:512
	global_load_ubyte v78, v[56:57], off offset:516
	global_load_ubyte v79, v[56:57], off offset:520
	global_load_ubyte v80, v[56:57], off offset:524
	global_load_ubyte v81, v[56:57], off offset:768
	global_load_ubyte v82, v[56:57], off offset:772
	global_load_ubyte v83, v[56:57], off offset:776
	global_load_ubyte v84, v[56:57], off offset:780
	global_load_ubyte v85, v[56:57], off offset:1024
	global_load_ubyte v86, v[56:57], off offset:1028
	global_load_ubyte v87, v[56:57], off offset:1032
	global_load_ubyte v88, v[56:57], off offset:1036
	global_load_ubyte v89, v[56:57], off offset:1280
	global_load_ubyte v90, v[56:57], off offset:1284
	global_load_ubyte v91, v[56:57], off offset:1288
	global_load_ubyte v92, v[56:57], off offset:1292
	global_load_ubyte v93, v[56:57], off offset:1536
	global_load_ubyte v94, v[56:57], off offset:1540
	global_load_ubyte v95, v[56:57], off offset:1544
	global_load_ubyte v96, v[56:57], off offset:1548
	global_load_ubyte v97, v[56:57], off offset:1792
	global_load_ubyte v98, v[56:57], off offset:1796
	global_load_ubyte v99, v[56:57], off offset:1800
	global_load_ubyte v100, v[56:57], off offset:1804
	global_load_ubyte v101, v[56:57], off offset:2048
	global_load_ubyte v102, v[56:57], off offset:2052
	global_load_ubyte v103, v[56:57], off offset:2056
	global_load_ubyte v104, v[56:57], off offset:2060
	global_load_ubyte v105, v[56:57], off offset:2304
	global_load_ubyte v106, v[56:57], off offset:2308
	global_load_ubyte v107, v[56:57], off offset:2312
	global_load_ubyte v108, v[56:57], off offset:2316
	global_load_ubyte v109, v[56:57], off offset:2560
	global_load_ubyte v110, v[56:57], off offset:2564
	global_load_ubyte v111, v[56:57], off offset:2568
	global_load_ubyte v112, v[56:57], off offset:2572
	global_load_ubyte v113, v[56:57], off offset:2816
	global_load_ubyte v114, v[56:57], off offset:2820
	global_load_ubyte v115, v[56:57], off offset:2824
	s_nop 0
	global_load_ubyte v56, v[56:57], off offset:2828
	s_waitcnt vmcnt(47)
	v_cvt_f32_fp8_sdwa v57, v67 src0_sel:BYTE_0
	s_waitcnt vmcnt(46)
	v_cvt_f32_fp8_sdwa v67, v68 src0_sel:BYTE_0
	;; [unrolled: 2-line block ×5, first 2 shown]
	s_waitcnt lgkmcnt(0)
	v_mul_f32_e32 v67, s16, v67
	s_waitcnt vmcnt(42)
	v_cvt_f32_fp8_sdwa v71, v74 src0_sel:BYTE_0
	v_mul_f32_e32 v57, s16, v57
	v_mul_f32_e32 v67, v3, v67
	s_waitcnt vmcnt(41)
	v_cvt_f32_fp8_sdwa v74, v75 src0_sel:BYTE_0
	v_mul_f32_e32 v68, s16, v68
	v_fmac_f32_e32 v67, v2, v57
	s_waitcnt vmcnt(40)
	v_cvt_f32_fp8_sdwa v75, v76 src0_sel:BYTE_0
	v_mul_f32_e32 v69, s16, v69
	v_fmac_f32_e32 v67, v4, v68
	;; [unrolled: 4-line block ×42, first 2 shown]
	v_mul_f32_e32 v112, s16, v112
	v_fmac_f32_e32 v67, v45, v111
	v_mul_f32_e32 v113, s16, v113
	v_fmac_f32_e32 v67, v46, v112
	;; [unrolled: 2-line block ×4, first 2 shown]
	v_fmac_f32_e32 v67, v49, v56
	ds_bpermute_b32 v56, v61, v67
	s_waitcnt lgkmcnt(0)
	v_add_f32_e32 v56, v67, v56
	ds_bpermute_b32 v57, v62, v56
	s_and_saveexec_b64 s[14:15], vcc
	s_cbranch_execz .LBB198_9
; %bb.11:                               ;   in Loop: Header=BB198_10 Depth=1
	v_add_u32_e32 v67, s17, v64
	v_cvt_f32_i32_e32 v67, v67
	s_waitcnt lgkmcnt(0)
	v_add_f32_e32 v56, v56, v57
	v_cmp_gt_i32_e64 s[0:1], s30, v64
	v_max_f32_e32 v57, v63, v63
	v_mul_f32_e32 v67, s33, v67
	v_cndmask_b32_e64 v67, 0, v67, s[2:3]
	v_fmac_f32_e32 v67, s31, v56
	v_cndmask_b32_e64 v56, 0, v67, s[0:1]
	ds_write_b32 v65, v56
	v_max_f32_e32 v56, v57, v67
	v_cndmask_b32_e64 v63, v63, v56, s[0:1]
	s_branch .LBB198_9
.LBB198_12:
	s_or_b64 exec, exec, s[8:9]
.LBB198_13:
	s_or_b64 exec, exec, s[34:35]
	v_xor_b32_e32 v2, 32, v59
	v_cmp_lt_i32_e32 vcc, v2, v60
	v_xor_b32_e32 v5, 16, v59
	v_max_f32_e32 v4, v63, v63
	v_cndmask_b32_e32 v2, v59, v2, vcc
	v_lshlrev_b32_e32 v2, 2, v2
	ds_bpermute_b32 v3, v2, v63
	v_cmp_lt_i32_e32 vcc, v5, v60
	v_xor_b32_e32 v6, 8, v59
	v_xor_b32_e32 v7, 4, v59
	v_and_b32_e32 v51, 63, v0
	s_waitcnt lgkmcnt(0)
	v_max_f32_e32 v3, v3, v3
	v_max_f32_e32 v4, v4, v3
	v_cndmask_b32_e32 v3, v59, v5, vcc
	v_lshlrev_b32_e32 v3, 2, v3
	ds_bpermute_b32 v5, v3, v4
	v_cmp_lt_i32_e32 vcc, v6, v60
	s_waitcnt lgkmcnt(0)
	v_max_f32_e32 v5, v5, v5
	v_max_f32_e32 v4, v4, v5
	v_cndmask_b32_e32 v5, v59, v6, vcc
	v_lshlrev_b32_e32 v6, 2, v5
	ds_bpermute_b32 v5, v6, v4
	v_cmp_lt_i32_e32 vcc, v7, v60
	s_waitcnt lgkmcnt(0)
	v_max_f32_e32 v5, v5, v5
	v_max_f32_e32 v5, v4, v5
	v_cndmask_b32_e32 v4, v59, v7, vcc
	v_lshlrev_b32_e32 v7, 2, v4
	ds_bpermute_b32 v8, v7, v5
	v_cmp_eq_u32_e32 vcc, 0, v51
	v_lshlrev_b32_e32 v4, 2, v73
	s_and_saveexec_b64 s[0:1], vcc
	s_cbranch_execz .LBB198_15
; %bb.14:
	s_waitcnt lgkmcnt(0)
	v_max_f32_e32 v8, v8, v8
	v_max_f32_e32 v5, v5, v5
	;; [unrolled: 1-line block ×3, first 2 shown]
	ds_write_b32 v4, v5 offset:768
.LBB198_15:
	s_or_b64 exec, exec, s[0:1]
	v_cmp_gt_u32_e64 s[0:1], 2, v51
	s_waitcnt lgkmcnt(0)
	v_mov_b32_e32 v8, 0xff7fffff
	v_lshlrev_b32_e32 v5, 2, v51
	s_barrier
	s_and_saveexec_b64 s[2:3], s[0:1]
	s_cbranch_execz .LBB198_17
; %bb.16:
	ds_read_b32 v8, v5 offset:768
.LBB198_17:
	s_or_b64 exec, exec, s[2:3]
	v_xor_b32_e32 v9, 1, v59
	v_cmp_lt_i32_e64 s[2:3], v9, v60
	v_lshlrev_b32_e32 v10, 2, v59
	s_nop 0
	v_cndmask_b32_e64 v9, v59, v9, s[2:3]
	v_lshlrev_b32_e32 v74, 2, v9
	s_waitcnt lgkmcnt(0)
	ds_bpermute_b32 v9, v74, v8
	v_max_f32_e32 v8, v8, v8
	s_lshl_b32 s2, s12, 4
	s_min_i32 s31, s2, s30
	v_cmp_gt_i32_e64 s[2:3], s31, v0
	s_waitcnt lgkmcnt(0)
	v_max_f32_e32 v9, v9, v9
	v_max_f32_e32 v9, v8, v9
	v_and_b32_e32 v8, 0xffffff00, v10
	ds_bpermute_b32 v10, v8, v9
	v_mov_b32_e32 v9, 0
	s_and_saveexec_b64 s[14:15], s[2:3]
	s_cbranch_execz .LBB198_21
; %bb.18:
	v_mov_b32_e32 v9, 0x310
	v_lshl_add_u32 v11, v0, 2, v9
	s_mov_b64 s[16:17], 0
	v_mov_b32_e32 v9, 0
	v_mov_b32_e32 v12, v0
.LBB198_19:                             ; =>This Inner Loop Header: Depth=1
	ds_read_b32 v13, v11
	v_add_u32_e32 v12, 0x80, v12
	v_cmp_le_i32_e64 s[8:9], s31, v12
	s_or_b64 s[16:17], s[8:9], s[16:17]
	s_waitcnt lgkmcnt(0)
	v_sub_f32_e32 v13, v13, v10
	v_mul_f32_e32 v13, 0x3fb8aa3b, v13
	v_exp_f32_e32 v13, v13
	ds_write_b32 v11, v13
	v_add_f32_e32 v9, v9, v13
	v_add_u32_e32 v11, 0x200, v11
	s_andn2_b64 exec, exec, s[16:17]
	s_cbranch_execnz .LBB198_19
; %bb.20:
	s_or_b64 exec, exec, s[16:17]
.LBB198_21:
	s_or_b64 exec, exec, s[14:15]
	ds_bpermute_b32 v2, v2, v9
	s_waitcnt lgkmcnt(0)
	v_add_f32_e32 v2, v9, v2
	ds_bpermute_b32 v3, v3, v2
	s_waitcnt lgkmcnt(0)
	v_add_f32_e32 v2, v2, v3
	ds_bpermute_b32 v3, v6, v2
	v_xor_b32_e32 v6, 2, v59
	v_cmp_lt_i32_e64 s[8:9], v6, v60
	s_waitcnt lgkmcnt(0)
	v_add_f32_e32 v2, v2, v3
	ds_bpermute_b32 v3, v7, v2
	v_cndmask_b32_e64 v6, v59, v6, s[8:9]
	v_lshlrev_b32_e32 v75, 2, v6
	s_waitcnt lgkmcnt(0)
	v_add_f32_e32 v2, v2, v3
	ds_bpermute_b32 v3, v75, v2
	s_waitcnt lgkmcnt(0)
	v_add_f32_e32 v2, v2, v3
	ds_bpermute_b32 v3, v74, v2
	s_waitcnt lgkmcnt(0)
	v_add_f32_e32 v2, v2, v3
	s_and_saveexec_b64 s[8:9], vcc
	s_cbranch_execz .LBB198_23
; %bb.22:
	ds_write_b32 v4, v2 offset:776
.LBB198_23:
	s_or_b64 exec, exec, s[8:9]
	s_waitcnt lgkmcnt(0)
	s_barrier
	s_and_saveexec_b64 s[8:9], s[0:1]
	s_cbranch_execz .LBB198_25
; %bb.24:
	ds_read_b32 v2, v5 offset:776
.LBB198_25:
	s_or_b64 exec, exec, s[8:9]
	s_waitcnt lgkmcnt(0)
	ds_bpermute_b32 v3, v74, v2
	s_waitcnt lgkmcnt(0)
	v_add_f32_e32 v2, v2, v3
	ds_bpermute_b32 v2, v8, v2
	s_and_saveexec_b64 s[0:1], s[2:3]
	s_cbranch_execz .LBB198_38
; %bb.26:
	s_waitcnt lgkmcnt(0)
	v_add_f32_e32 v2, 0x358637bd, v2
	v_div_scale_f32 v3, s[2:3], v2, v2, 1.0
	v_rcp_f32_e32 v4, v3
	v_div_scale_f32 v5, vcc, 1.0, v2, 1.0
	s_movk_i32 s2, 0x7f
	v_fma_f32 v6, -v3, v4, 1.0
	v_fmac_f32_e32 v4, v6, v4
	v_mul_f32_e32 v6, v5, v4
	v_fma_f32 v7, -v3, v6, v5
	v_fmac_f32_e32 v6, v7, v4
	v_fma_f32 v3, -v3, v6, v5
	v_div_fmas_f32 v3, v3, v4, v6
	v_xad_u32 v4, v0, -1, s31
	v_div_fixup_f32 v2, v3, v2, 1.0
	v_cmp_lt_u32_e32 vcc, s2, v4
	s_mov_b64 s[8:9], -1
	v_mov_b32_e32 v3, v0
	s_and_saveexec_b64 s[2:3], vcc
	s_cbranch_execz .LBB198_35
; %bb.27:
	v_lshrrev_b32_e32 v4, 7, v4
	v_add_u32_e32 v6, -1, v4
	v_lshrrev_b32_e32 v5, 1, v6
	v_mov_b32_e32 v3, v2
	v_add_u32_e32 v5, 1, v5
	v_cmp_lt_u32_e32 vcc, 13, v6
	v_mov_b32_e32 v8, 0
	s_and_saveexec_b64 s[8:9], vcc
	s_cbranch_execz .LBB198_31
; %bb.28:
	v_mov_b32_e32 v7, 0x310
	v_and_b32_e32 v6, -8, v5
	v_lshl_add_u32 v7, v0, 2, v7
	s_mov_b32 s16, 0
	s_mov_b64 s[14:15], 0
.LBB198_29:                             ; =>This Inner Loop Header: Depth=1
	ds_read2st64_b32 v[8:9], v7 offset1:2
	ds_read2st64_b32 v[10:11], v7 offset0:4 offset1:6
	ds_read2st64_b32 v[12:13], v7 offset0:8 offset1:10
	;; [unrolled: 1-line block ×3, first 2 shown]
	v_add_u32_e32 v6, -8, v6
	s_waitcnt lgkmcnt(3)
	v_pk_mul_f32 v[8:9], v[2:3], v[8:9]
	s_waitcnt lgkmcnt(2)
	v_pk_mul_f32 v[10:11], v[2:3], v[10:11]
	ds_write2st64_b32 v7, v8, v9 offset1:2
	ds_write2st64_b32 v7, v10, v11 offset0:4 offset1:6
	ds_read2st64_b32 v[10:11], v7 offset0:16 offset1:18
	s_waitcnt lgkmcnt(4)
	v_pk_mul_f32 v[8:9], v[2:3], v[12:13]
	ds_write2st64_b32 v7, v8, v9 offset0:8 offset1:10
	s_waitcnt lgkmcnt(4)
	v_pk_mul_f32 v[8:9], v[2:3], v[14:15]
	ds_write2st64_b32 v7, v8, v9 offset0:12 offset1:14
	ds_read2st64_b32 v[8:9], v7 offset0:20 offset1:22
	s_waitcnt lgkmcnt(3)
	v_pk_mul_f32 v[10:11], v[2:3], v[10:11]
	ds_read2st64_b32 v[12:13], v7 offset0:24 offset1:26
	ds_write2st64_b32 v7, v10, v11 offset0:16 offset1:18
	ds_read2st64_b32 v[10:11], v7 offset0:28 offset1:30
	s_waitcnt lgkmcnt(3)
	v_pk_mul_f32 v[8:9], v[2:3], v[8:9]
	ds_write2st64_b32 v7, v8, v9 offset0:20 offset1:22
	s_waitcnt lgkmcnt(3)
	v_pk_mul_f32 v[8:9], v[2:3], v[12:13]
	ds_write2st64_b32 v7, v8, v9 offset0:24 offset1:26
	s_waitcnt lgkmcnt(2)
	v_pk_mul_f32 v[8:9], v[2:3], v[10:11]
	s_add_i32 s16, s16, 16
	v_cmp_eq_u32_e32 vcc, 0, v6
	ds_write2st64_b32 v7, v8, v9 offset0:28 offset1:30
	v_add_u32_e32 v7, 0x2000, v7
	s_or_b64 s[14:15], vcc, s[14:15]
	v_mov_b32_e32 v8, s16
	s_andn2_b64 exec, exec, s[14:15]
	s_cbranch_execnz .LBB198_29
; %bb.30:
	s_or_b64 exec, exec, s[14:15]
.LBB198_31:
	s_or_b64 exec, exec, s[8:9]
	v_and_b32_e32 v5, 7, v5
	v_cmp_ne_u32_e32 vcc, 0, v5
	s_and_saveexec_b64 s[8:9], vcc
	s_cbranch_execz .LBB198_34
; %bb.32:
	v_lshlrev_b32_e32 v6, 9, v8
	v_lshlrev_b32_e32 v7, 2, v0
	s_movk_i32 s14, 0x310
	v_add3_u32 v6, v6, v7, s14
	s_mov_b64 s[14:15], 0
.LBB198_33:                             ; =>This Inner Loop Header: Depth=1
	ds_read2st64_b32 v[8:9], v6 offset1:2
	v_add_u32_e32 v5, -1, v5
	v_cmp_eq_u32_e32 vcc, 0, v5
	s_or_b64 s[14:15], vcc, s[14:15]
	s_waitcnt lgkmcnt(0)
	v_pk_mul_f32 v[8:9], v[2:3], v[8:9]
	ds_write2st64_b32 v6, v8, v9 offset1:2
	v_add_u32_e32 v6, 0x400, v6
	s_andn2_b64 exec, exec, s[14:15]
	s_cbranch_execnz .LBB198_33
.LBB198_34:
	s_or_b64 exec, exec, s[8:9]
	v_add_u32_e32 v4, 1, v4
	v_and_b32_e32 v5, 0x3fffffe, v4
	v_cmp_ne_u32_e32 vcc, v4, v5
	v_lshl_add_u32 v3, v5, 7, v0
	s_orn2_b64 s[8:9], vcc, exec
.LBB198_35:
	s_or_b64 exec, exec, s[2:3]
	s_and_b64 exec, exec, s[8:9]
	s_cbranch_execz .LBB198_38
; %bb.36:
	v_mov_b32_e32 v4, 0x310
	v_lshl_add_u32 v4, v3, 2, v4
	s_mov_b64 s[2:3], 0
.LBB198_37:                             ; =>This Inner Loop Header: Depth=1
	ds_read_b32 v5, v4
	v_add_u32_e32 v3, 0x80, v3
	v_cmp_le_i32_e32 vcc, s31, v3
	s_or_b64 s[2:3], vcc, s[2:3]
	s_waitcnt lgkmcnt(0)
	v_mul_f32_e32 v5, v2, v5
	ds_write_b32 v4, v5
	v_add_u32_e32 v4, 0x200, v4
	s_andn2_b64 exec, exec, s[2:3]
	s_cbranch_execnz .LBB198_37
.LBB198_38:
	s_or_b64 exec, exec, s[0:1]
	v_mov_b32_e32 v7, 0
	v_mov_b32_e32 v6, 0
	;; [unrolled: 1-line block ×12, first 2 shown]
	s_waitcnt lgkmcnt(0)
	s_barrier
	s_and_saveexec_b64 s[2:3], s[6:7]
	s_cbranch_execz .LBB198_66
; %bb.39:
	s_ashr_i32 s1, s25, 31
	v_lshlrev_b32_e32 v2, 2, v0
	s_load_dword s6, s[18:19], 0x0
	s_add_u32 s0, s10, s25
	s_addc_u32 s1, s11, s1
	v_and_b32_e32 v6, 0xfc, v2
	v_mov_b32_e32 v7, 0
	v_and_b32_e32 v3, 12, v2
	s_add_i32 s14, s12, -1
	v_lshl_add_u64 v[18:19], s[0:1], 0, v[6:7]
	v_lshlrev_b32_e32 v2, 4, v73
	s_lshl_b64 s[0:1], s[28:29], 2
	v_or3_b32 v76, v2, v3, 3
	v_lshlrev_b32_e32 v2, 4, v50
	s_add_u32 s0, s26, s0
	v_lshl_or_b32 v2, v73, 6, v2
	v_and_b32_e32 v6, 60, v58
	s_addc_u32 s1, s27, s1
	s_waitcnt lgkmcnt(0)
	s_mov_b32 s7, s6
	v_add_u32_e32 v77, 0x310, v2
	v_lshl_add_u64 v[20:21], s[0:1], 0, v[6:7]
	s_mov_b64 s[8:9], 0
	v_mov_b32_e32 v6, v7
	v_mov_b32_e32 v9, v7
	;; [unrolled: 1-line block ×11, first 2 shown]
	s_branch .LBB198_41
.LBB198_40:                             ;   in Loop: Header=BB198_41 Depth=1
	s_or_b64 exec, exec, s[0:1]
	s_waitcnt lgkmcnt(0)
	v_mul_f32_e32 v71, v3, v71
	v_mul_f32_e32 v65, v3, v65
	;; [unrolled: 1-line block ×12, first 2 shown]
	v_fmac_f32_e32 v71, v2, v70
	v_fmac_f32_e32 v65, v2, v64
	;; [unrolled: 1-line block ×24, first 2 shown]
	v_add_u32_e32 v73, 2, v73
	v_fmac_f32_e32 v71, v5, v69
	v_fmac_f32_e32 v65, v5, v63
	;; [unrolled: 1-line block ×12, first 2 shown]
	v_cmp_le_i32_e32 vcc, s12, v73
	v_add_f32_e32 v6, v6, v71
	v_add_f32_e32 v9, v9, v65
	v_add_f32_e32 v8, v8, v61
	v_add_f32_e32 v11, v11, v57
	v_add_f32_e32 v10, v10, v53
	v_add_f32_e32 v13, v13, v47
	v_add_f32_e32 v12, v12, v43
	v_add_f32_e32 v15, v15, v39
	v_add_f32_e32 v14, v14, v33
	v_add_f32_e32 v17, v17, v29
	v_add_f32_e32 v16, v16, v25
	v_add_f32_e32 v7, v7, v3
	v_add_u32_e32 v76, 32, v76
	v_add_u32_e32 v77, 0x80, v77
	s_or_b64 s[8:9], vcc, s[8:9]
	v_lshl_add_u64 v[20:21], v[20:21], 0, 8
	s_andn2_b64 exec, exec, s[8:9]
	s_cbranch_execz .LBB198_65
.LBB198_41:                             ; =>This Inner Loop Header: Depth=1
	global_load_dword v2, v[20:21], off
	v_add_u32_e32 v78, -3, v76
	v_cmp_eq_u32_e32 vcc, s14, v73
	v_add_u32_e32 v79, -2, v76
	v_add_u32_e32 v80, -1, v76
	s_waitcnt vmcnt(0)
	v_mad_i64_i32 v[34:35], s[0:1], v2, s13, v[18:19]
	global_load_dword v22, v[34:35], off
	ds_read_b128 v[2:5], v77
	s_waitcnt vmcnt(0)
	v_and_b32_e32 v23, 0xffff, v22
	v_lshrrev_b32_e32 v24, 16, v22
	v_cvt_pk_f32_fp8_e32 v[22:23], v23
	v_cvt_pk_f32_fp8_e32 v[26:27], v24
	v_pk_mul_f32 v[24:25], s[6:7], v[22:23]
	v_pk_mul_f32 v[22:23], s[6:7], v[26:27]
	s_and_saveexec_b64 s[10:11], vcc
; %bb.42:                               ;   in Loop: Header=BB198_41 Depth=1
	v_cmp_gt_i32_e64 s[0:1], s30, v78
	s_nop 1
	v_cndmask_b32_e64 v24, 0, v24, s[0:1]
	v_cmp_gt_i32_e64 s[0:1], s30, v79
	s_nop 1
	v_cndmask_b32_e64 v25, 0, v25, s[0:1]
	v_cmp_gt_i32_e64 s[0:1], s30, v80
	s_nop 1
	v_cndmask_b32_e64 v22, 0, v22, s[0:1]
	v_cmp_gt_i32_e64 s[0:1], s30, v76
	s_nop 1
	v_cndmask_b32_e64 v23, 0, v23, s[0:1]
; %bb.43:                               ;   in Loop: Header=BB198_41 Depth=1
	s_or_b64 exec, exec, s[10:11]
	global_load_dword v26, v[34:35], off offset:256
	s_waitcnt vmcnt(0)
	v_and_b32_e32 v27, 0xffff, v26
	v_lshrrev_b32_e32 v28, 16, v26
	v_cvt_pk_f32_fp8_e32 v[26:27], v27
	v_cvt_pk_f32_fp8_e32 v[30:31], v28
	v_pk_mul_f32 v[28:29], s[6:7], v[26:27]
	v_pk_mul_f32 v[26:27], s[6:7], v[30:31]
	s_and_saveexec_b64 s[10:11], vcc
; %bb.44:                               ;   in Loop: Header=BB198_41 Depth=1
	v_cmp_gt_i32_e64 s[0:1], s30, v78
	s_nop 1
	v_cndmask_b32_e64 v28, 0, v28, s[0:1]
	v_cmp_gt_i32_e64 s[0:1], s30, v79
	s_nop 1
	v_cndmask_b32_e64 v29, 0, v29, s[0:1]
	v_cmp_gt_i32_e64 s[0:1], s30, v80
	s_nop 1
	v_cndmask_b32_e64 v26, 0, v26, s[0:1]
	v_cmp_gt_i32_e64 s[0:1], s30, v76
	s_nop 1
	v_cndmask_b32_e64 v27, 0, v27, s[0:1]
; %bb.45:                               ;   in Loop: Header=BB198_41 Depth=1
	s_or_b64 exec, exec, s[10:11]
	global_load_dword v30, v[34:35], off offset:512
	;; [unrolled: 24-line block ×11, first 2 shown]
	s_waitcnt vmcnt(0)
	v_and_b32_e32 v35, 0xffff, v34
	v_lshrrev_b32_e32 v66, 16, v34
	v_cvt_pk_f32_fp8_e32 v[34:35], v35
	v_cvt_pk_f32_fp8_e32 v[82:83], v66
	v_pk_mul_f32 v[66:67], s[6:7], v[34:35]
	v_pk_mul_f32 v[34:35], s[6:7], v[82:83]
	s_and_saveexec_b64 s[0:1], vcc
	s_cbranch_execz .LBB198_40
; %bb.64:                               ;   in Loop: Header=BB198_41 Depth=1
	v_cmp_gt_i32_e32 vcc, s30, v78
	s_nop 1
	v_cndmask_b32_e32 v66, 0, v66, vcc
	v_cmp_gt_i32_e32 vcc, s30, v79
	s_nop 1
	v_cndmask_b32_e32 v67, 0, v67, vcc
	;; [unrolled: 3-line block ×4, first 2 shown]
	s_branch .LBB198_40
.LBB198_65:
	s_or_b64 exec, exec, s[8:9]
.LBB198_66:
	s_or_b64 exec, exec, s[2:3]
	ds_bpermute_b32 v2, v75, v16
	ds_bpermute_b32 v3, v75, v17
	;; [unrolled: 1-line block ×6, first 2 shown]
	s_waitcnt lgkmcnt(4)
	v_pk_add_f32 v[2:3], v[16:17], v[2:3]
	ds_bpermute_b32 v16, v74, v2
	ds_bpermute_b32 v17, v74, v3
	;; [unrolled: 1-line block ×4, first 2 shown]
	s_waitcnt lgkmcnt(4)
	v_pk_add_f32 v[4:5], v[14:15], v[4:5]
	ds_bpermute_b32 v28, v75, v6
	s_waitcnt lgkmcnt(3)
	v_pk_add_f32 v[2:3], v[2:3], v[16:17]
	v_pk_add_f32 v[16:17], v[12:13], v[18:19]
	ds_bpermute_b32 v12, v75, v10
	ds_bpermute_b32 v13, v75, v11
	;; [unrolled: 1-line block ×7, first 2 shown]
	s_waitcnt lgkmcnt(5)
	v_pk_add_f32 v[22:23], v[10:11], v[12:13]
	v_pk_add_f32 v[20:21], v[8:9], v[20:21]
	ds_bpermute_b32 v24, v74, v22
	ds_bpermute_b32 v25, v74, v23
	;; [unrolled: 1-line block ×4, first 2 shown]
	s_waitcnt lgkmcnt(8)
	v_pk_add_f32 v[6:7], v[6:7], v[28:29]
	s_waitcnt lgkmcnt(6)
	v_pk_add_f32 v[12:13], v[4:5], v[14:15]
	ds_bpermute_b32 v14, v74, v6
	ds_bpermute_b32 v15, v74, v7
	s_waitcnt lgkmcnt(6)
	v_pk_add_f32 v[10:11], v[16:17], v[18:19]
	v_and_b32_e32 v16, 0x3c3, v0
	s_waitcnt lgkmcnt(4)
	v_pk_add_f32 v[8:9], v[22:23], v[24:25]
	s_waitcnt lgkmcnt(2)
	v_pk_add_f32 v[4:5], v[20:21], v[26:27]
	v_cmp_ne_u32_e32 vcc, 64, v16
	s_waitcnt lgkmcnt(0)
	s_barrier
	s_and_saveexec_b64 s[0:1], vcc
	s_xor_b64 s[0:1], exec, s[0:1]
; %bb.67:
                                        ; implicit-def: $vgpr51
; %bb.68:
	s_or_saveexec_b64 s[0:1], s[0:1]
	v_pk_add_f32 v[6:7], v[6:7], v[14:15]
	s_xor_b64 exec, exec, s[0:1]
	s_cbranch_execz .LBB198_70
; %bb.69:
	v_add_u32_e32 v14, 0x310, v51
	ds_write2_b32 v14, v2, v3 offset1:16
	ds_write2_b32 v14, v12, v13 offset0:32 offset1:48
	ds_write2_b32 v14, v10, v11 offset0:64 offset1:80
	;; [unrolled: 1-line block ×5, first 2 shown]
.LBB198_70:
	s_or_b64 exec, exec, s[0:1]
	v_cmp_gt_u32_e32 vcc, 64, v0
	s_waitcnt lgkmcnt(0)
	s_barrier
	s_and_saveexec_b64 s[0:1], vcc
	s_cbranch_execz .LBB198_85
; %bb.71:
	v_cmp_eq_u32_e32 vcc, 0, v50
	s_and_saveexec_b64 s[2:3], vcc
	s_cbranch_execnz .LBB198_88
; %bb.72:
	s_or_b64 exec, exec, s[2:3]
	s_and_saveexec_b64 s[2:3], vcc
	s_cbranch_execnz .LBB198_89
.LBB198_73:
	s_or_b64 exec, exec, s[2:3]
	s_and_saveexec_b64 s[2:3], vcc
	s_cbranch_execnz .LBB198_90
.LBB198_74:
	s_or_b64 exec, exec, s[2:3]
	s_and_saveexec_b64 s[2:3], vcc
	s_cbranch_execnz .LBB198_91
.LBB198_75:
	s_or_b64 exec, exec, s[2:3]
	s_and_saveexec_b64 s[2:3], vcc
	s_cbranch_execnz .LBB198_92
.LBB198_76:
	s_or_b64 exec, exec, s[2:3]
	s_and_saveexec_b64 s[2:3], vcc
	s_cbranch_execnz .LBB198_93
.LBB198_77:
	s_or_b64 exec, exec, s[2:3]
	s_and_saveexec_b64 s[2:3], vcc
	s_cbranch_execnz .LBB198_94
.LBB198_78:
	s_or_b64 exec, exec, s[2:3]
	s_and_saveexec_b64 s[2:3], vcc
	s_cbranch_execnz .LBB198_95
.LBB198_79:
	s_or_b64 exec, exec, s[2:3]
	s_and_saveexec_b64 s[2:3], vcc
	s_cbranch_execnz .LBB198_96
.LBB198_80:
	s_or_b64 exec, exec, s[2:3]
	s_and_saveexec_b64 s[2:3], vcc
	s_cbranch_execnz .LBB198_97
.LBB198_81:
	s_or_b64 exec, exec, s[2:3]
	s_and_saveexec_b64 s[2:3], vcc
	s_cbranch_execnz .LBB198_98
.LBB198_82:
	s_or_b64 exec, exec, s[2:3]
	s_and_saveexec_b64 s[2:3], vcc
	s_cbranch_execz .LBB198_84
.LBB198_83:
	v_mov_b32_e32 v0, 0x310
	v_lshl_add_u32 v0, v72, 2, v0
	ds_read_b32 v0, v0 offset:704
	s_waitcnt lgkmcnt(0)
	v_add_f32_e32 v7, v7, v0
.LBB198_84:
	s_or_b64 exec, exec, s[2:3]
.LBB198_85:
	s_or_b64 exec, exec, s[0:1]
	v_cmp_eq_u32_e32 vcc, 0, v16
	s_barrier
	s_and_saveexec_b64 s[0:1], vcc
	s_cbranch_execz .LBB198_87
; %bb.86:
	s_mul_i32 s0, s20, s21
	s_mul_i32 s0, s0, s5
	s_mulk_i32 s0, 0xc0
	s_ashr_i32 s1, s0, 31
	s_lshl_b64 s[0:1], s[0:1], 2
	s_add_u32 s2, s22, s0
	s_mul_i32 s0, s21, s24
	s_addc_u32 s3, s23, s1
	s_ashr_i32 s1, s0, 31
	s_lshl_b64 s[0:1], s[0:1], 2
	s_add_u32 s2, s2, s0
	s_mul_i32 s0, s4, 0xc0
	s_addc_u32 s3, s3, s1
	s_ashr_i32 s1, s0, 31
	s_lshl_b64 s[0:1], s[0:1], 2
	s_add_u32 s0, s2, s0
	s_addc_u32 s1, s3, s1
	global_store_dword v1, v2, s[0:1]
	global_store_dword v1, v3, s[0:1] offset:64
	global_store_dword v1, v12, s[0:1] offset:128
	;; [unrolled: 1-line block ×11, first 2 shown]
.LBB198_87:
	s_endpgm
.LBB198_88:
	v_mov_b32_e32 v0, 0x310
	v_lshl_add_u32 v0, v72, 2, v0
	ds_read_b32 v0, v0
	s_waitcnt lgkmcnt(0)
	v_add_f32_e32 v2, v2, v0
	s_or_b64 exec, exec, s[2:3]
	s_and_saveexec_b64 s[2:3], vcc
	s_cbranch_execz .LBB198_73
.LBB198_89:
	v_mov_b32_e32 v0, 0x310
	v_lshl_add_u32 v0, v72, 2, v0
	ds_read_b32 v0, v0 offset:64
	s_waitcnt lgkmcnt(0)
	v_add_f32_e32 v3, v3, v0
	s_or_b64 exec, exec, s[2:3]
	s_and_saveexec_b64 s[2:3], vcc
	s_cbranch_execz .LBB198_74
.LBB198_90:
	v_mov_b32_e32 v0, 0x310
	v_lshl_add_u32 v0, v72, 2, v0
	ds_read_b32 v0, v0 offset:128
	s_waitcnt lgkmcnt(0)
	v_add_f32_e32 v12, v12, v0
	s_or_b64 exec, exec, s[2:3]
	s_and_saveexec_b64 s[2:3], vcc
	s_cbranch_execz .LBB198_75
.LBB198_91:
	v_mov_b32_e32 v0, 0x310
	v_lshl_add_u32 v0, v72, 2, v0
	ds_read_b32 v0, v0 offset:192
	s_waitcnt lgkmcnt(0)
	v_add_f32_e32 v13, v13, v0
	s_or_b64 exec, exec, s[2:3]
	s_and_saveexec_b64 s[2:3], vcc
	s_cbranch_execz .LBB198_76
.LBB198_92:
	v_mov_b32_e32 v0, 0x310
	v_lshl_add_u32 v0, v72, 2, v0
	ds_read_b32 v0, v0 offset:256
	s_waitcnt lgkmcnt(0)
	v_add_f32_e32 v10, v10, v0
	s_or_b64 exec, exec, s[2:3]
	s_and_saveexec_b64 s[2:3], vcc
	s_cbranch_execz .LBB198_77
.LBB198_93:
	v_mov_b32_e32 v0, 0x310
	v_lshl_add_u32 v0, v72, 2, v0
	ds_read_b32 v0, v0 offset:320
	s_waitcnt lgkmcnt(0)
	v_add_f32_e32 v11, v11, v0
	s_or_b64 exec, exec, s[2:3]
	s_and_saveexec_b64 s[2:3], vcc
	s_cbranch_execz .LBB198_78
.LBB198_94:
	v_mov_b32_e32 v0, 0x310
	v_lshl_add_u32 v0, v72, 2, v0
	ds_read_b32 v0, v0 offset:384
	s_waitcnt lgkmcnt(0)
	v_add_f32_e32 v8, v8, v0
	s_or_b64 exec, exec, s[2:3]
	s_and_saveexec_b64 s[2:3], vcc
	s_cbranch_execz .LBB198_79
.LBB198_95:
	v_mov_b32_e32 v0, 0x310
	v_lshl_add_u32 v0, v72, 2, v0
	ds_read_b32 v0, v0 offset:448
	s_waitcnt lgkmcnt(0)
	v_add_f32_e32 v9, v9, v0
	s_or_b64 exec, exec, s[2:3]
	s_and_saveexec_b64 s[2:3], vcc
	s_cbranch_execz .LBB198_80
.LBB198_96:
	v_mov_b32_e32 v0, 0x310
	v_lshl_add_u32 v0, v72, 2, v0
	ds_read_b32 v0, v0 offset:512
	s_waitcnt lgkmcnt(0)
	v_add_f32_e32 v4, v4, v0
	s_or_b64 exec, exec, s[2:3]
	s_and_saveexec_b64 s[2:3], vcc
	s_cbranch_execz .LBB198_81
.LBB198_97:
	v_mov_b32_e32 v0, 0x310
	v_lshl_add_u32 v0, v72, 2, v0
	ds_read_b32 v0, v0 offset:576
	s_waitcnt lgkmcnt(0)
	v_add_f32_e32 v5, v5, v0
	s_or_b64 exec, exec, s[2:3]
	s_and_saveexec_b64 s[2:3], vcc
	s_cbranch_execz .LBB198_82
.LBB198_98:
	v_mov_b32_e32 v0, 0x310
	v_lshl_add_u32 v0, v72, 2, v0
	ds_read_b32 v0, v0 offset:640
	s_waitcnt lgkmcnt(0)
	v_add_f32_e32 v6, v6, v0
	s_or_b64 exec, exec, s[2:3]
	s_and_saveexec_b64 s[2:3], vcc
	s_cbranch_execnz .LBB198_83
	s_branch .LBB198_84
	.section	.rodata,"a",@progbits
	.p2align	6, 0x0
	.amdhsa_kernel _ZN4vllm25paged_attention_v1_kernelIfhLi192ELi16ELi128ELNS_18Fp8KVCacheDataTypeE1ELb0EEEvPT_PKS2_PKT0_S8_ifPKiSA_iPKfiiiSC_SC_iiiii
		.amdhsa_group_segment_fixed_size 784
		.amdhsa_private_segment_fixed_size 0
		.amdhsa_kernarg_size 384
		.amdhsa_user_sgpr_count 2
		.amdhsa_user_sgpr_dispatch_ptr 0
		.amdhsa_user_sgpr_queue_ptr 0
		.amdhsa_user_sgpr_kernarg_segment_ptr 1
		.amdhsa_user_sgpr_dispatch_id 0
		.amdhsa_user_sgpr_kernarg_preload_length 0
		.amdhsa_user_sgpr_kernarg_preload_offset 0
		.amdhsa_user_sgpr_private_segment_size 0
		.amdhsa_uses_dynamic_stack 0
		.amdhsa_enable_private_segment 0
		.amdhsa_system_sgpr_workgroup_id_x 1
		.amdhsa_system_sgpr_workgroup_id_y 1
		.amdhsa_system_sgpr_workgroup_id_z 1
		.amdhsa_system_sgpr_workgroup_info 0
		.amdhsa_system_vgpr_workitem_id 0
		.amdhsa_next_free_vgpr 116
		.amdhsa_next_free_sgpr 38
		.amdhsa_accum_offset 116
		.amdhsa_reserve_vcc 1
		.amdhsa_float_round_mode_32 0
		.amdhsa_float_round_mode_16_64 0
		.amdhsa_float_denorm_mode_32 3
		.amdhsa_float_denorm_mode_16_64 3
		.amdhsa_dx10_clamp 1
		.amdhsa_ieee_mode 1
		.amdhsa_fp16_overflow 0
		.amdhsa_tg_split 0
		.amdhsa_exception_fp_ieee_invalid_op 0
		.amdhsa_exception_fp_denorm_src 0
		.amdhsa_exception_fp_ieee_div_zero 0
		.amdhsa_exception_fp_ieee_overflow 0
		.amdhsa_exception_fp_ieee_underflow 0
		.amdhsa_exception_fp_ieee_inexact 0
		.amdhsa_exception_int_div_zero 0
	.end_amdhsa_kernel
	.section	.text._ZN4vllm25paged_attention_v1_kernelIfhLi192ELi16ELi128ELNS_18Fp8KVCacheDataTypeE1ELb0EEEvPT_PKS2_PKT0_S8_ifPKiSA_iPKfiiiSC_SC_iiiii,"axG",@progbits,_ZN4vllm25paged_attention_v1_kernelIfhLi192ELi16ELi128ELNS_18Fp8KVCacheDataTypeE1ELb0EEEvPT_PKS2_PKT0_S8_ifPKiSA_iPKfiiiSC_SC_iiiii,comdat
.Lfunc_end198:
	.size	_ZN4vllm25paged_attention_v1_kernelIfhLi192ELi16ELi128ELNS_18Fp8KVCacheDataTypeE1ELb0EEEvPT_PKS2_PKT0_S8_ifPKiSA_iPKfiiiSC_SC_iiiii, .Lfunc_end198-_ZN4vllm25paged_attention_v1_kernelIfhLi192ELi16ELi128ELNS_18Fp8KVCacheDataTypeE1ELb0EEEvPT_PKS2_PKT0_S8_ifPKiSA_iPKfiiiSC_SC_iiiii
                                        ; -- End function
	.section	.AMDGPU.csdata,"",@progbits
; Kernel info:
; codeLenInByte = 7348
; NumSgprs: 44
; NumVgprs: 116
; NumAgprs: 0
; TotalNumVgprs: 116
; ScratchSize: 0
; MemoryBound: 0
; FloatMode: 240
; IeeeMode: 1
; LDSByteSize: 784 bytes/workgroup (compile time only)
; SGPRBlocks: 5
; VGPRBlocks: 14
; NumSGPRsForWavesPerEU: 44
; NumVGPRsForWavesPerEU: 116
; AccumOffset: 116
; Occupancy: 4
; WaveLimiterHint : 1
; COMPUTE_PGM_RSRC2:SCRATCH_EN: 0
; COMPUTE_PGM_RSRC2:USER_SGPR: 2
; COMPUTE_PGM_RSRC2:TRAP_HANDLER: 0
; COMPUTE_PGM_RSRC2:TGID_X_EN: 1
; COMPUTE_PGM_RSRC2:TGID_Y_EN: 1
; COMPUTE_PGM_RSRC2:TGID_Z_EN: 1
; COMPUTE_PGM_RSRC2:TIDIG_COMP_CNT: 0
; COMPUTE_PGM_RSRC3_GFX90A:ACCUM_OFFSET: 28
; COMPUTE_PGM_RSRC3_GFX90A:TG_SPLIT: 0
	.section	.text._ZN4vllm25paged_attention_v1_kernelIfhLi256ELi16ELi128ELNS_18Fp8KVCacheDataTypeE1ELb0EEEvPT_PKS2_PKT0_S8_ifPKiSA_iPKfiiiSC_SC_iiiii,"axG",@progbits,_ZN4vllm25paged_attention_v1_kernelIfhLi256ELi16ELi128ELNS_18Fp8KVCacheDataTypeE1ELb0EEEvPT_PKS2_PKT0_S8_ifPKiSA_iPKfiiiSC_SC_iiiii,comdat
	.protected	_ZN4vllm25paged_attention_v1_kernelIfhLi256ELi16ELi128ELNS_18Fp8KVCacheDataTypeE1ELb0EEEvPT_PKS2_PKT0_S8_ifPKiSA_iPKfiiiSC_SC_iiiii ; -- Begin function _ZN4vllm25paged_attention_v1_kernelIfhLi256ELi16ELi128ELNS_18Fp8KVCacheDataTypeE1ELb0EEEvPT_PKS2_PKT0_S8_ifPKiSA_iPKfiiiSC_SC_iiiii
	.globl	_ZN4vllm25paged_attention_v1_kernelIfhLi256ELi16ELi128ELNS_18Fp8KVCacheDataTypeE1ELb0EEEvPT_PKS2_PKT0_S8_ifPKiSA_iPKfiiiSC_SC_iiiii
	.p2align	8
	.type	_ZN4vllm25paged_attention_v1_kernelIfhLi256ELi16ELi128ELNS_18Fp8KVCacheDataTypeE1ELb0EEEvPT_PKS2_PKT0_S8_ifPKiSA_iPKfiiiSC_SC_iiiii,@function
_ZN4vllm25paged_attention_v1_kernelIfhLi256ELi16ELi128ELNS_18Fp8KVCacheDataTypeE1ELb0EEEvPT_PKS2_PKT0_S8_ifPKiSA_iPKfiiiSC_SC_iiiii: ; @_ZN4vllm25paged_attention_v1_kernelIfhLi256ELi16ELi128ELNS_18Fp8KVCacheDataTypeE1ELb0EEEvPT_PKS2_PKT0_S8_ifPKiSA_iPKfiiiSC_SC_iiiii
; %bb.0:
	s_load_dword s5, s[0:1], 0x80
	s_load_dwordx2 s[6:7], s[0:1], 0x30
	s_load_dwordx2 s[30:31], s[0:1], 0x20
	s_mov_b32 s20, s3
	s_ashr_i32 s21, s3, 31
	s_lshl_b64 s[8:9], s[20:21], 2
	s_waitcnt lgkmcnt(0)
	s_add_u32 s6, s6, s8
	s_addc_u32 s7, s7, s9
	s_abs_i32 s3, s30
	v_cvt_f32_u32_e32 v1, s3
	s_sub_i32 s10, 0, s3
	s_abs_i32 s9, s5
	s_xor_b32 s8, s5, s30
	v_rcp_iflag_f32_e32 v1, v1
	s_ashr_i32 s8, s8, 31
	v_mov_b32_e32 v97, v0
	s_mov_b32 s33, 0
	v_mul_f32_e32 v1, 0x4f7ffffe, v1
	v_cvt_u32_f32_e32 v1, v1
	s_nop 0
	v_readfirstlane_b32 s11, v1
	s_mul_i32 s10, s10, s11
	s_mul_hi_u32 s10, s11, s10
	s_add_i32 s11, s11, s10
	s_mul_hi_u32 s10, s9, s11
	s_mul_i32 s11, s10, s3
	s_sub_i32 s9, s9, s11
	s_add_i32 s11, s10, 1
	s_sub_i32 s12, s9, s3
	s_cmp_ge_u32 s9, s3
	s_cselect_b32 s10, s11, s10
	s_cselect_b32 s9, s12, s9
	s_add_i32 s11, s10, 1
	s_cmp_ge_u32 s9, s3
	s_cselect_b32 s3, s11, s10
	s_xor_b32 s3, s3, s8
	s_sub_i32 s34, s3, s8
	s_abs_i32 s28, s34
	v_cvt_f32_u32_e32 v1, s28
	s_load_dwordx2 s[8:9], s[0:1], 0x40
	s_sub_i32 s3, 0, s28
	s_abs_i32 s29, s2
	v_rcp_iflag_f32_e32 v1, v1
	s_nop 0
	v_mul_f32_e32 v1, 0x4f7ffffe, v1
	v_cvt_u32_f32_e32 v1, v1
	s_nop 0
	v_readfirstlane_b32 s12, v1
	s_mul_i32 s3, s3, s12
	s_mul_hi_u32 s3, s12, s3
	s_add_i32 s12, s12, s3
	s_waitcnt lgkmcnt(0)
	s_cmp_eq_u64 s[8:9], 0
	s_cbranch_scc1 .LBB199_2
; %bb.1:
	s_ashr_i32 s3, s2, 31
	s_lshl_b64 s[10:11], s[2:3], 2
	s_add_u32 s8, s8, s10
	s_addc_u32 s9, s9, s11
	s_load_dword s33, s[8:9], 0x0
.LBB199_2:
	s_load_dwordx2 s[22:23], s[0:1], 0x0
	s_nop 0
	s_load_dwordx4 s[8:11], s[0:1], 0x10
	s_mul_hi_u32 s3, s29, s12
	s_load_dword s21, s[0:1], 0x88
	s_load_dword s30, s[6:7], 0x0
	s_load_dwordx2 s[26:27], s[0:1], 0x28
	s_load_dwordx4 s[12:15], s[0:1], 0x48
	v_lshrrev_b32_e32 v96, 2, v97
	s_lshl_b32 s24, s2, 8
	s_movk_i32 s6, 0x100
	v_and_b32_e32 v0, 3, v97
	s_ashr_i32 s25, s24, 31
	v_cmp_gt_u32_e32 vcc, s6, v97
	v_lshlrev_b32_e32 v66, 2, v96
	scratch_store_dwordx2 off, v[0:1], off offset:24 ; 8-byte Folded Spill
	s_and_saveexec_b64 s[6:7], vcc
	s_cbranch_execz .LBB199_5
; %bb.3:
	s_load_dwordx2 s[16:17], s[0:1], 0x8
	s_waitcnt lgkmcnt(0)
	s_mul_i32 s18, s20, s12
	s_ashr_i32 s19, s18, 31
	s_lshl_b64 s[18:19], s[18:19], 2
	s_lshl_b64 s[36:37], s[24:25], 2
	s_add_u32 s12, s18, s36
	v_and_b32_e32 v0, 3, v97
	s_addc_u32 s15, s19, s37
	v_or_b32_e32 v2, v66, v0
	s_add_u32 s16, s16, s12
	v_lshlrev_b32_e32 v2, 2, v2
	v_mov_b32_e32 v3, 0
	s_addc_u32 s17, s17, s15
	v_subrev_u32_e32 v4, 32, v96
	v_lshl_add_u32 v5, v0, 8, v66
	v_lshl_add_u64 v[2:3], s[16:17], 0, v[2:3]
	s_mov_b64 s[16:17], 0
	s_mov_b64 s[18:19], 0x200
.LBB199_4:                              ; =>This Inner Loop Header: Depth=1
	global_load_dword v6, v[2:3], off
	v_add_co_u32_e32 v4, vcc, 32, v4
	s_xor_b64 s[36:37], vcc, -1
	s_and_b64 s[36:37], exec, s[36:37]
	v_lshl_add_u64 v[2:3], v[2:3], 0, s[18:19]
	s_or_b64 s[16:17], s[36:37], s[16:17]
	s_waitcnt vmcnt(0)
	ds_write_b32 v5, v6
	v_add_u32_e32 v5, 0x80, v5
	s_andn2_b64 exec, exec, s[16:17]
	s_cbranch_execnz .LBB199_4
.LBB199_5:
	s_or_b64 exec, exec, s[6:7]
	s_waitcnt lgkmcnt(0)
	s_add_i32 s12, s30, 15
	s_ashr_i32 s2, s2, 31
	s_ashr_i32 s6, s34, 31
	;; [unrolled: 1-line block ×3, first 2 shown]
	s_lshr_b32 s15, s15, 28
	s_xor_b32 s2, s2, s6
	s_mul_i32 s6, s3, s28
	s_add_i32 s12, s12, s15
	s_sub_i32 s6, s29, s6
	s_ashr_i32 s12, s12, 4
	s_add_i32 s15, s3, 1
	s_sub_i32 s16, s6, s28
	s_load_dword s7, s[0:1], 0x38
	s_cmp_ge_u32 s6, s28
	s_cselect_b32 s3, s15, s3
	s_cselect_b32 s6, s16, s6
	s_add_i32 s15, s3, 1
	s_cmp_ge_u32 s6, s28
	s_cselect_b32 s3, s15, s3
	v_lshrrev_b32_e32 v105, 6, v97
	s_xor_b32 s3, s3, s2
	s_waitcnt lgkmcnt(0)
	s_mul_i32 s28, s20, s7
	s_sub_i32 s25, s3, s2
	s_ashr_i32 s29, s28, 31
	v_cmp_gt_i32_e64 s[6:7], s12, v105
	v_cmp_le_i32_e32 vcc, s12, v105
	v_mbcnt_lo_u32_b32 v42, -1, 0
	s_barrier
	s_waitcnt lgkmcnt(0)
                                        ; implicit-def: $sgpr15
                                        ; implicit-def: $vgpr13
                                        ; implicit-def: $vgpr14
	s_and_saveexec_b64 s[2:3], vcc
	s_xor_b64 s[2:3], exec, s[2:3]
; %bb.6:
	v_mbcnt_hi_u32_b32 v13, -1, v42
	v_and_b32_e32 v2, 64, v13
	v_add_u32_e32 v14, 64, v2
	s_mov_b32 s15, 0xff7fffff
                                        ; implicit-def: $vgpr42
; %bb.7:
	s_or_saveexec_b64 s[34:35], s[2:3]
	s_load_dwordx4 s[16:19], s[0:1], 0x58
	v_mov_b32_e32 v0, s15
	s_mul_i32 s25, s25, s14
	v_lshrrev_b32_e32 v44, 4, v97
	s_xor_b64 exec, exec, s[34:35]
	s_cbranch_execz .LBB199_13
; %bb.8:
	s_ashr_i32 s1, s25, 31
	v_bfe_u32 v43, v97, 2, 4
	s_add_u32 s0, s8, s25
	s_addc_u32 s1, s9, s1
	v_lshlrev_b32_e32 v70, 4, v43
	v_mov_b32_e32 v71, 0
	v_lshl_add_u64 v[0:1], s[0:1], 0, v[70:71]
	scratch_store_dwordx2 off, v[0:1], off offset:36 ; 8-byte Folded Spill
	scratch_load_dwordx2 v[0:1], off, off offset:24 ; 8-byte Folded Reload
	s_waitcnt vmcnt(0)
	v_mbcnt_hi_u32_b32 v1, -1, v42
	v_and_b32_e32 v42, 64, v1
	v_add_u32_e32 v2, 64, v42
	v_xor_b32_e32 v42, 2, v1
	v_cmp_lt_i32_e32 vcc, v42, v2
	scratch_store_dword off, v97, off offset:52 ; 4-byte Folded Spill
	v_lshl_or_b32 v80, v105, 4, v43
	v_cndmask_b32_e32 v42, v1, v42, vcc
	v_lshlrev_b32_e32 v3, 2, v42
	v_xor_b32_e32 v42, 1, v1
	v_cmp_lt_i32_e32 vcc, v42, v2
	v_and_b32_e32 v70, 60, v44
	s_lshl_b64 s[0:1], s[28:29], 2
	v_cndmask_b32_e32 v42, v1, v42, vcc
	s_mov_b32 s36, s13
	v_cmp_neq_f32_e64 s[2:3], s33, 0
	s_mov_b64 s[8:9], 0
	v_mov_b32_e32 v82, v105
	v_lshlrev_b32_e32 v62, 8, v0
	ds_read_b128 v[88:91], v62
	ds_read_b128 v[6:9], v62 offset:16
	ds_read_b128 v[10:13], v62 offset:32
	;; [unrolled: 1-line block ×9, first 2 shown]
	scratch_store_dword off, v1, off offset:64 ; 4-byte Folded Spill
	v_lshlrev_b32_e32 v1, 2, v42
	scratch_store_dword off, v1, off offset:48 ; 4-byte Folded Spill
	v_mov_b32_e32 v1, v71
	v_lshlrev_b32_e32 v42, 2, v43
	scratch_store_dword off, v3, off offset:44 ; 4-byte Folded Spill
	scratch_store_dword off, v2, off offset:68 ; 4-byte Folded Spill
	scratch_store_dwordx2 off, v[0:1], off offset:24 ; 8-byte Folded Spill
	v_lshl_or_b32 v42, v105, 6, v42
	scratch_store_dword off, v44, off offset:60 ; 4-byte Folded Spill
	s_waitcnt lgkmcnt(0)
	s_load_dword s16, s[16:17], 0x0
	v_add_u32_e32 v81, 0x410, v42
	ds_read_b128 v[42:45], v62 offset:160
	ds_read_b128 v[46:49], v62 offset:176
	;; [unrolled: 1-line block ×6, first 2 shown]
	s_sub_i32 s17, 1, s30
	s_add_u32 s0, s26, s0
	s_addc_u32 s1, s27, s1
	v_cmp_eq_u32_e32 vcc, 0, v0
	v_lshl_add_u64 v[70:71], s[0:1], 0, v[70:71]
	v_mov_b32_e32 v0, 0xff7fffff
	scratch_store_dword off, v0, off offset:32 ; 4-byte Folded Spill
	scratch_store_dword off, v105, off offset:56 ; 4-byte Folded Spill
	s_branch .LBB199_10
.LBB199_9:                              ;   in Loop: Header=BB199_10 Depth=1
	s_or_b64 exec, exec, s[14:15]
	v_add_u32_e32 v82, 2, v82
	v_cmp_le_i32_e64 s[0:1], s12, v82
	v_add_u32_e32 v80, 32, v80
	v_add_u32_e32 v81, 0x80, v81
	s_or_b64 s[8:9], s[0:1], s[8:9]
	v_lshl_add_u64 v[70:71], v[70:71], 0, 8
	s_andn2_b64 exec, exec, s[8:9]
	s_cbranch_execz .LBB199_12
.LBB199_10:                             ; =>This Inner Loop Header: Depth=1
	global_load_dword v72, v[70:71], off
	scratch_load_dwordx2 v[0:1], off, off offset:36 ; 8-byte Folded Reload
	s_waitcnt vmcnt(0) lgkmcnt(0)
	v_mad_i64_i32 v[72:73], s[0:1], v72, s36, v[0:1]
	scratch_load_dwordx2 v[0:1], off, off offset:24 ; 8-byte Folded Reload
	s_waitcnt vmcnt(0)
	v_lshl_add_u64 v[72:73], v[72:73], 0, v[0:1]
	global_load_ubyte v112, v[72:73], off
	global_load_ubyte v113, v[72:73], off offset:4
	global_load_ubyte v114, v[72:73], off offset:8
	;; [unrolled: 1-line block ×51, first 2 shown]
	s_waitcnt vmcnt(35)
	v_cvt_f32_fp8_sdwa v74, v74 src0_sel:BYTE_0
	s_waitcnt vmcnt(34)
	v_cvt_f32_fp8_sdwa v96, v96 src0_sel:BYTE_0
	;; [unrolled: 2-line block ×5, first 2 shown]
	s_waitcnt lgkmcnt(0)
	v_mul_f32_e32 v74, s16, v74
	s_waitcnt vmcnt(30)
	v_cvt_f32_fp8_sdwa v76, v76 src0_sel:BYTE_0
	v_mul_f32_e32 v96, s16, v96
	s_waitcnt vmcnt(29)
	v_cvt_f32_fp8_sdwa v0, v0 src0_sel:BYTE_0
	v_mul_f32_e32 v1, s16, v1
	v_mul_f32_e32 v66, s16, v66
	;; [unrolled: 1-line block ×5, first 2 shown]
	s_waitcnt vmcnt(28)
	v_cvt_f32_fp8_sdwa v77, v77 src0_sel:BYTE_0
	s_waitcnt vmcnt(27)
	v_cvt_f32_fp8_sdwa v78, v78 src0_sel:BYTE_0
	;; [unrolled: 2-line block ×5, first 2 shown]
	v_mul_f32_e32 v77, s16, v77
	s_waitcnt vmcnt(23)
	v_cvt_f32_fp8_sdwa v79, v79 src0_sel:BYTE_0
	v_mul_f32_e32 v78, s16, v78
	s_waitcnt vmcnt(22)
	v_cvt_f32_fp8_sdwa v97, v97 src0_sel:BYTE_0
	;; [unrolled: 3-line block ×8, first 2 shown]
	s_waitcnt vmcnt(0)
	scratch_store_dword off, v83, off offset:4 ; 4-byte Folded Spill
	global_load_ubyte v83, v[72:73], off offset:3328
	v_mul_f32_e32 v3, s16, v3
	v_cvt_f32_fp8_sdwa v111, v111 src0_sel:BYTE_0
	v_mul_f32_e32 v4, s16, v4
	v_cvt_f32_fp8_sdwa v110, v110 src0_sel:BYTE_0
	;; [unrolled: 2-line block ×15, first 2 shown]
	v_mul_f32_e32 v98, s16, v98
	v_mul_f32_e32 v100, s16, v100
	s_waitcnt vmcnt(0)
	scratch_store_dword off, v83, off       ; 4-byte Folded Spill
	global_load_ubyte v83, v[72:73], off offset:3332
	s_waitcnt vmcnt(0)
	scratch_store_dword off, v83, off offset:8 ; 4-byte Folded Spill
	global_load_ubyte v83, v[72:73], off offset:3336
	s_waitcnt vmcnt(0)
	scratch_store_dword off, v83, off offset:12 ; 4-byte Folded Spill
	global_load_ubyte v85, v[72:73], off offset:3340
	s_nop 0
	global_load_ubyte v83, v[72:73], off offset:3584
	s_waitcnt vmcnt(0)
	scratch_store_dword off, v83, off offset:16 ; 4-byte Folded Spill
	global_load_ubyte v83, v[72:73], off offset:3588
	s_waitcnt vmcnt(0)
	scratch_store_dword off, v83, off offset:20 ; 4-byte Folded Spill
	global_load_ubyte v87, v[72:73], off offset:3592
	global_load_ubyte v92, v[72:73], off offset:3596
	s_nop 0
	global_load_ubyte v83, v[72:73], off offset:3840
	global_load_ubyte v93, v[72:73], off offset:3844
	;; [unrolled: 1-line block ×3, first 2 shown]
	s_nop 0
	global_load_ubyte v73, v[72:73], off offset:3852
	v_cvt_f32_fp8_sdwa v72, v112 src0_sel:BYTE_0
	v_cvt_f32_fp8_sdwa v112, v113 src0_sel:BYTE_0
	v_mul_f32_e32 v113, s16, v72
	v_mul_f32_e32 v72, s16, v112
	v_cvt_f32_fp8_sdwa v112, v114 src0_sel:BYTE_0
	v_mul_f32_e32 v72, v89, v72
	v_fmac_f32_e32 v72, v88, v113
	v_cvt_f32_fp8_sdwa v113, v126 src0_sel:BYTE_0
	v_mul_f32_e32 v112, s16, v112
	v_fmac_f32_e32 v72, v90, v112
	v_cvt_f32_fp8_sdwa v112, v115 src0_sel:BYTE_0
	v_cvt_f32_fp8_sdwa v114, v127 src0_sel:BYTE_0
	v_mul_f32_e32 v113, s16, v113
	v_mul_f32_e32 v112, s16, v112
	v_fmac_f32_e32 v72, v91, v112
	v_cvt_f32_fp8_sdwa v112, v116 src0_sel:BYTE_0
	v_mul_f32_e32 v114, s16, v114
	v_mul_f32_e32 v112, s16, v112
	v_fmac_f32_e32 v72, v6, v112
	v_cvt_f32_fp8_sdwa v112, v117 src0_sel:BYTE_0
	s_waitcnt vmcnt(0)
	v_cvt_f32_fp8_sdwa v73, v73 src0_sel:BYTE_0
	v_mul_f32_e32 v112, s16, v112
	v_fmac_f32_e32 v72, v7, v112
	v_cvt_f32_fp8_sdwa v112, v118 src0_sel:BYTE_0
	v_mul_f32_e32 v73, s16, v73
	v_mul_f32_e32 v112, s16, v112
	v_fmac_f32_e32 v72, v8, v112
	v_cvt_f32_fp8_sdwa v112, v119 src0_sel:BYTE_0
	s_nop 0
	v_mul_f32_e32 v112, s16, v112
	v_fmac_f32_e32 v72, v9, v112
	v_cvt_f32_fp8_sdwa v112, v120 src0_sel:BYTE_0
	s_nop 0
	;; [unrolled: 4-line block ×7, first 2 shown]
	v_mul_f32_e32 v112, s16, v112
	v_fmac_f32_e32 v72, v15, v112
	v_fmac_f32_e32 v72, v16, v113
	;; [unrolled: 1-line block ×10, first 2 shown]
	scratch_load_dword v0, off, off offset:4 ; 4-byte Folded Reload
	v_fmac_f32_e32 v72, v25, v77
	v_fmac_f32_e32 v72, v26, v78
	;; [unrolled: 1-line block ×11, first 2 shown]
	scratch_load_dword v5, off, off offset:8 ; 4-byte Folded Reload
	scratch_load_dword v66, off, off offset:12 ; 4-byte Folded Reload
	;; [unrolled: 1-line block ×4, first 2 shown]
	v_fmac_f32_e32 v72, v36, v84
	scratch_load_dword v4, off, off         ; 4-byte Folded Reload
	v_fmac_f32_e32 v72, v37, v86
	v_fmac_f32_e32 v72, v38, v111
	;; [unrolled: 1-line block ×12, first 2 shown]
	v_mul_f32_e32 v1, s16, v102
	v_fmac_f32_e32 v72, v49, v100
	v_mul_f32_e32 v2, s16, v103
	v_fmac_f32_e32 v72, v50, v1
	;; [unrolled: 2-line block ×3, first 2 shown]
	v_fmac_f32_e32 v72, v52, v3
	v_cvt_f32_fp8_sdwa v67, v85 src0_sel:BYTE_0
	v_cvt_f32_fp8_sdwa v74, v87 src0_sel:BYTE_0
	;; [unrolled: 1-line block ×4, first 2 shown]
	v_mul_f32_e32 v67, s16, v67
	v_cvt_f32_fp8_sdwa v77, v93 src0_sel:BYTE_0
	v_mul_f32_e32 v74, s16, v74
	v_cvt_f32_fp8_sdwa v78, v94 src0_sel:BYTE_0
	v_mul_f32_e32 v75, s16, v75
	v_mul_f32_e32 v76, s16, v76
	;; [unrolled: 1-line block ×4, first 2 shown]
	s_waitcnt vmcnt(5)
	v_cvt_f32_fp8_sdwa v0, v0 src0_sel:BYTE_0
	s_nop 0
	v_mul_f32_e32 v0, s16, v0
	v_fmac_f32_e32 v72, v53, v0
	scratch_load_dword v0, off, off offset:44 ; 4-byte Folded Reload
	s_waitcnt vmcnt(5)
	v_cvt_f32_fp8_sdwa v5, v5 src0_sel:BYTE_0
	s_waitcnt vmcnt(4)
	v_cvt_f32_fp8_sdwa v66, v66 src0_sel:BYTE_0
	;; [unrolled: 2-line block ×4, first 2 shown]
	v_mul_f32_e32 v5, s16, v5
	s_waitcnt vmcnt(1)
	v_cvt_f32_fp8_sdwa v4, v4 src0_sel:BYTE_0
	v_mul_f32_e32 v66, s16, v66
	v_mul_f32_e32 v68, s16, v68
	;; [unrolled: 1-line block ×4, first 2 shown]
	v_fmac_f32_e32 v72, v54, v4
	v_fmac_f32_e32 v72, v55, v5
	;; [unrolled: 1-line block ×12, first 2 shown]
	s_waitcnt vmcnt(0)
	ds_bpermute_b32 v0, v0, v72
	s_waitcnt lgkmcnt(0)
	v_add_f32_e32 v72, v72, v0
	scratch_load_dword v0, off, off offset:48 ; 4-byte Folded Reload
	s_waitcnt vmcnt(0)
	ds_bpermute_b32 v73, v0, v72
	s_and_saveexec_b64 s[14:15], vcc
	s_cbranch_execz .LBB199_9
; %bb.11:                               ;   in Loop: Header=BB199_10 Depth=1
	scratch_load_dword v3, off, off offset:32 ; 4-byte Folded Reload
	v_add_u32_e32 v0, s17, v80
	v_cvt_f32_i32_e32 v0, v0
	s_waitcnt lgkmcnt(0)
	v_add_f32_e32 v1, v72, v73
	v_cmp_gt_i32_e64 s[0:1], s30, v80
	v_mul_f32_e32 v0, s33, v0
	v_cndmask_b32_e64 v0, 0, v0, s[2:3]
	v_fmac_f32_e32 v0, s31, v1
	v_cndmask_b32_e64 v1, 0, v0, s[0:1]
	ds_write_b32 v81, v1
	s_waitcnt vmcnt(0)
	v_max_f32_e32 v2, v3, v3
	v_max_f32_e32 v0, v2, v0
	v_cndmask_b32_e64 v3, v3, v0, s[0:1]
	scratch_store_dword off, v3, off offset:32 ; 4-byte Folded Spill
	s_branch .LBB199_9
.LBB199_12:
	s_or_b64 exec, exec, s[8:9]
	scratch_load_dword v97, off, off offset:52 ; 4-byte Folded Reload
	scratch_load_dword v105, off, off offset:56 ; 4-byte Folded Reload
	;; [unrolled: 1-line block ×6, first 2 shown]
	s_waitcnt vmcnt(5)
	v_lshrrev_b32_e32 v96, 2, v97
	v_lshlrev_b32_e32 v66, 2, v96
.LBB199_13:
	s_or_b64 exec, exec, s[34:35]
	s_waitcnt vmcnt(2)
	v_xor_b32_e32 v2, 32, v13
	s_waitcnt vmcnt(1)
	v_cmp_lt_i32_e32 vcc, v2, v14
	v_xor_b32_e32 v5, 16, v13
	s_waitcnt vmcnt(0)
	v_max_f32_e32 v4, v0, v0
	v_cndmask_b32_e32 v2, v13, v2, vcc
	v_lshlrev_b32_e32 v2, 2, v2
	ds_bpermute_b32 v3, v2, v0
	v_cmp_lt_i32_e32 vcc, v5, v14
	v_xor_b32_e32 v6, 8, v13
	v_xor_b32_e32 v7, 4, v13
	v_and_b32_e32 v67, 63, v97
	s_waitcnt lgkmcnt(0)
	v_max_f32_e32 v3, v3, v3
	v_max_f32_e32 v4, v4, v3
	v_cndmask_b32_e32 v3, v13, v5, vcc
	v_lshlrev_b32_e32 v3, 2, v3
	ds_bpermute_b32 v5, v3, v4
	v_cmp_lt_i32_e32 vcc, v6, v14
	s_waitcnt lgkmcnt(0)
	v_max_f32_e32 v5, v5, v5
	v_max_f32_e32 v4, v4, v5
	v_cndmask_b32_e32 v5, v13, v6, vcc
	v_lshlrev_b32_e32 v6, 2, v5
	ds_bpermute_b32 v5, v6, v4
	v_cmp_lt_i32_e32 vcc, v7, v14
	s_waitcnt lgkmcnt(0)
	v_max_f32_e32 v5, v5, v5
	v_max_f32_e32 v5, v4, v5
	v_cndmask_b32_e32 v4, v13, v7, vcc
	v_lshlrev_b32_e32 v7, 2, v4
	ds_bpermute_b32 v8, v7, v5
	v_cmp_eq_u32_e32 vcc, 0, v67
	v_lshlrev_b32_e32 v4, 2, v105
	s_and_saveexec_b64 s[0:1], vcc
	s_cbranch_execz .LBB199_15
; %bb.14:
	s_waitcnt lgkmcnt(0)
	v_max_f32_e32 v0, v8, v8
	v_max_f32_e32 v1, v5, v5
	;; [unrolled: 1-line block ×3, first 2 shown]
	ds_write_b32 v4, v0 offset:1024
.LBB199_15:
	s_or_b64 exec, exec, s[0:1]
	v_cmp_gt_u32_e64 s[0:1], 2, v67
	s_waitcnt lgkmcnt(0)
	v_mov_b32_e32 v8, 0xff7fffff
	v_lshlrev_b32_e32 v5, 2, v67
	s_barrier
	s_and_saveexec_b64 s[2:3], s[0:1]
	s_cbranch_execz .LBB199_17
; %bb.16:
	ds_read_b32 v8, v5 offset:1024
.LBB199_17:
	s_or_b64 exec, exec, s[2:3]
	v_xor_b32_e32 v0, 1, v13
	v_cmp_lt_i32_e64 s[2:3], v0, v14
	s_waitcnt lgkmcnt(0)
	v_max_f32_e32 v1, v8, v8
	v_mov_b32_e32 v9, 0
	v_cndmask_b32_e64 v0, v13, v0, s[2:3]
	v_lshlrev_b32_e32 v98, 2, v0
	ds_bpermute_b32 v0, v98, v8
	v_lshlrev_b32_e32 v8, 2, v13
	v_and_b32_e32 v8, 0xffffff00, v8
	s_lshl_b32 s2, s12, 4
	s_min_i32 s31, s2, s30
	s_waitcnt lgkmcnt(0)
	v_max_f32_e32 v0, v0, v0
	v_max_f32_e32 v0, v1, v0
	ds_bpermute_b32 v10, v8, v0
	v_cmp_gt_i32_e64 s[2:3], s31, v97
	s_and_saveexec_b64 s[14:15], s[2:3]
	s_cbranch_execz .LBB199_21
; %bb.18:
	v_mov_b32_e32 v0, 0x410
	v_lshl_add_u32 v11, v97, 2, v0
	s_mov_b64 s[16:17], 0
	v_mov_b32_e32 v9, 0
	v_mov_b32_e32 v12, v97
.LBB199_19:                             ; =>This Inner Loop Header: Depth=1
	ds_read_b32 v0, v11
	v_add_u32_e32 v12, 0x80, v12
	v_cmp_le_i32_e64 s[8:9], s31, v12
	s_or_b64 s[16:17], s[8:9], s[16:17]
	s_waitcnt lgkmcnt(0)
	v_sub_f32_e32 v0, v0, v10
	v_mul_f32_e32 v0, 0x3fb8aa3b, v0
	v_exp_f32_e32 v0, v0
	ds_write_b32 v11, v0
	v_add_f32_e32 v9, v9, v0
	v_add_u32_e32 v11, 0x200, v11
	s_andn2_b64 exec, exec, s[16:17]
	s_cbranch_execnz .LBB199_19
; %bb.20:
	s_or_b64 exec, exec, s[16:17]
.LBB199_21:
	s_or_b64 exec, exec, s[14:15]
	ds_bpermute_b32 v0, v2, v9
	v_xor_b32_e32 v2, 2, v13
	v_cmp_lt_i32_e64 s[8:9], v2, v14
	s_waitcnt lgkmcnt(0)
	v_add_f32_e32 v0, v9, v0
	ds_bpermute_b32 v1, v3, v0
	v_cndmask_b32_e64 v2, v13, v2, s[8:9]
	v_lshlrev_b32_e32 v99, 2, v2
	s_waitcnt lgkmcnt(0)
	v_add_f32_e32 v0, v0, v1
	ds_bpermute_b32 v1, v6, v0
	s_waitcnt lgkmcnt(0)
	v_add_f32_e32 v0, v0, v1
	ds_bpermute_b32 v1, v7, v0
	;; [unrolled: 3-line block ×4, first 2 shown]
	s_waitcnt lgkmcnt(0)
	v_add_f32_e32 v2, v0, v1
	s_and_saveexec_b64 s[8:9], vcc
	s_cbranch_execz .LBB199_23
; %bb.22:
	ds_write_b32 v4, v2 offset:1032
.LBB199_23:
	s_or_b64 exec, exec, s[8:9]
	s_waitcnt lgkmcnt(0)
	s_barrier
	s_and_saveexec_b64 s[8:9], s[0:1]
	s_cbranch_execz .LBB199_25
; %bb.24:
	ds_read_b32 v2, v5 offset:1032
.LBB199_25:
	s_or_b64 exec, exec, s[8:9]
	s_waitcnt lgkmcnt(0)
	ds_bpermute_b32 v0, v98, v2
	s_waitcnt lgkmcnt(0)
	v_add_f32_e32 v0, v2, v0
	ds_bpermute_b32 v2, v8, v0
	s_and_saveexec_b64 s[0:1], s[2:3]
	s_cbranch_execz .LBB199_38
; %bb.26:
	s_waitcnt lgkmcnt(0)
	v_add_f32_e32 v0, 0x358637bd, v2
	v_div_scale_f32 v1, s[2:3], v0, v0, 1.0
	v_rcp_f32_e32 v2, v1
	v_div_scale_f32 v3, vcc, 1.0, v0, 1.0
	s_movk_i32 s2, 0x7f
	v_fma_f32 v4, -v1, v2, 1.0
	v_fmac_f32_e32 v2, v4, v2
	v_mul_f32_e32 v4, v3, v2
	v_fma_f32 v5, -v1, v4, v3
	v_fmac_f32_e32 v4, v5, v2
	v_fma_f32 v1, -v1, v4, v3
	v_div_fmas_f32 v1, v1, v2, v4
	v_xad_u32 v4, v97, -1, s31
	v_div_fixup_f32 v2, v1, v0, 1.0
	v_cmp_lt_u32_e32 vcc, s2, v4
	s_mov_b64 s[8:9], -1
	v_mov_b32_e32 v3, v97
	s_and_saveexec_b64 s[2:3], vcc
	s_cbranch_execz .LBB199_35
; %bb.27:
	v_lshrrev_b32_e32 v4, 7, v4
	v_add_u32_e32 v0, -1, v4
	v_lshrrev_b32_e32 v1, 1, v0
	v_mov_b32_e32 v3, v2
	v_add_u32_e32 v5, 1, v1
	v_cmp_lt_u32_e32 vcc, 13, v0
	v_mov_b32_e32 v8, 0
	s_and_saveexec_b64 s[8:9], vcc
	s_cbranch_execz .LBB199_31
; %bb.28:
	v_mov_b32_e32 v0, 0x410
	v_and_b32_e32 v6, -8, v5
	v_lshl_add_u32 v7, v97, 2, v0
	s_mov_b32 s16, 0
	s_mov_b64 s[14:15], 0
.LBB199_29:                             ; =>This Inner Loop Header: Depth=1
	ds_read2st64_b32 v[8:9], v7 offset1:2
	ds_read2st64_b32 v[10:11], v7 offset0:4 offset1:6
	ds_read2st64_b32 v[12:13], v7 offset0:8 offset1:10
	;; [unrolled: 1-line block ×3, first 2 shown]
	v_add_u32_e32 v6, -8, v6
	s_waitcnt lgkmcnt(3)
	v_pk_mul_f32 v[8:9], v[2:3], v[8:9]
	s_waitcnt lgkmcnt(2)
	v_pk_mul_f32 v[10:11], v[2:3], v[10:11]
	ds_write2st64_b32 v7, v8, v9 offset1:2
	ds_write2st64_b32 v7, v10, v11 offset0:4 offset1:6
	ds_read2st64_b32 v[10:11], v7 offset0:16 offset1:18
	s_waitcnt lgkmcnt(4)
	v_pk_mul_f32 v[8:9], v[2:3], v[12:13]
	ds_write2st64_b32 v7, v8, v9 offset0:8 offset1:10
	s_waitcnt lgkmcnt(4)
	v_pk_mul_f32 v[8:9], v[2:3], v[14:15]
	ds_write2st64_b32 v7, v8, v9 offset0:12 offset1:14
	ds_read2st64_b32 v[8:9], v7 offset0:20 offset1:22
	s_waitcnt lgkmcnt(3)
	v_pk_mul_f32 v[10:11], v[2:3], v[10:11]
	ds_read2st64_b32 v[12:13], v7 offset0:24 offset1:26
	ds_write2st64_b32 v7, v10, v11 offset0:16 offset1:18
	ds_read2st64_b32 v[10:11], v7 offset0:28 offset1:30
	s_waitcnt lgkmcnt(3)
	v_pk_mul_f32 v[8:9], v[2:3], v[8:9]
	ds_write2st64_b32 v7, v8, v9 offset0:20 offset1:22
	s_waitcnt lgkmcnt(3)
	v_pk_mul_f32 v[8:9], v[2:3], v[12:13]
	ds_write2st64_b32 v7, v8, v9 offset0:24 offset1:26
	s_waitcnt lgkmcnt(2)
	v_pk_mul_f32 v[8:9], v[2:3], v[10:11]
	s_add_i32 s16, s16, 16
	v_cmp_eq_u32_e32 vcc, 0, v6
	ds_write2st64_b32 v7, v8, v9 offset0:28 offset1:30
	v_add_u32_e32 v7, 0x2000, v7
	s_or_b64 s[14:15], vcc, s[14:15]
	v_mov_b32_e32 v8, s16
	s_andn2_b64 exec, exec, s[14:15]
	s_cbranch_execnz .LBB199_29
; %bb.30:
	s_or_b64 exec, exec, s[14:15]
.LBB199_31:
	s_or_b64 exec, exec, s[8:9]
	v_and_b32_e32 v5, 7, v5
	v_cmp_ne_u32_e32 vcc, 0, v5
	s_and_saveexec_b64 s[8:9], vcc
	s_cbranch_execz .LBB199_34
; %bb.32:
	v_lshlrev_b32_e32 v0, 9, v8
	v_lshlrev_b32_e32 v1, 2, v97
	s_movk_i32 s14, 0x410
	v_add3_u32 v6, v0, v1, s14
	s_mov_b64 s[14:15], 0
.LBB199_33:                             ; =>This Inner Loop Header: Depth=1
	ds_read2st64_b32 v[8:9], v6 offset1:2
	v_add_u32_e32 v5, -1, v5
	v_cmp_eq_u32_e32 vcc, 0, v5
	s_or_b64 s[14:15], vcc, s[14:15]
	s_waitcnt lgkmcnt(0)
	v_pk_mul_f32 v[8:9], v[2:3], v[8:9]
	ds_write2st64_b32 v6, v8, v9 offset1:2
	v_add_u32_e32 v6, 0x400, v6
	s_andn2_b64 exec, exec, s[14:15]
	s_cbranch_execnz .LBB199_33
.LBB199_34:
	s_or_b64 exec, exec, s[8:9]
	v_add_u32_e32 v0, 1, v4
	v_and_b32_e32 v1, 0x3fffffe, v0
	v_cmp_ne_u32_e32 vcc, v0, v1
	v_lshl_add_u32 v3, v1, 7, v97
	s_orn2_b64 s[8:9], vcc, exec
.LBB199_35:
	s_or_b64 exec, exec, s[2:3]
	s_and_b64 exec, exec, s[8:9]
	s_cbranch_execz .LBB199_38
; %bb.36:
	v_mov_b32_e32 v0, 0x410
	v_lshl_add_u32 v4, v3, 2, v0
	s_mov_b64 s[2:3], 0
.LBB199_37:                             ; =>This Inner Loop Header: Depth=1
	ds_read_b32 v0, v4
	v_add_u32_e32 v3, 0x80, v3
	v_cmp_le_i32_e32 vcc, s31, v3
	s_or_b64 s[2:3], vcc, s[2:3]
	s_waitcnt lgkmcnt(0)
	v_mul_f32_e32 v0, v2, v0
	ds_write_b32 v4, v0
	v_add_u32_e32 v4, 0x200, v4
	s_andn2_b64 exec, exec, s[2:3]
	s_cbranch_execnz .LBB199_37
.LBB199_38:
	s_or_b64 exec, exec, s[0:1]
	v_mov_b32_e32 v20, 0
	v_mov_b32_e32 v21, 0
	;; [unrolled: 1-line block ×16, first 2 shown]
	s_waitcnt lgkmcnt(0)
	s_barrier
	s_and_saveexec_b64 s[2:3], s[6:7]
	s_cbranch_execz .LBB199_74
; %bb.39:
	v_lshlrev_b32_e32 v0, 2, v97
	v_and_b32_e32 v1, 12, v0
	v_and_b32_e32 v22, 0xfc, v0
	v_or_b32_e32 v24, 0xf00, v0
	v_lshlrev_b32_e32 v0, 4, v105
	v_or3_b32 v100, v0, v1, 3
	scratch_load_dwordx2 v[0:1], off, off offset:24 ; 8-byte Folded Reload
	s_load_dword s6, s[18:19], 0x0
	s_ashr_i32 s1, s25, 31
	s_add_u32 s0, s10, s25
	s_addc_u32 s1, s11, s1
	s_add_i32 s14, s12, -1
	s_lshl_b64 s[8:9], s[28:29], 2
	v_mov_b32_e32 v23, 0
	s_add_u32 s8, s26, s8
	v_and_b32_e32 v2, 60, v44
	v_mov_b32_e32 v3, v23
	s_addc_u32 s9, s27, s9
	s_waitcnt lgkmcnt(0)
	s_mov_b32 s7, s6
	v_mov_b32_e32 v25, v23
	v_lshl_add_u64 v[26:27], s[8:9], 0, v[2:3]
	s_mov_b64 s[8:9], 0
	v_mov_b64_e32 v[28:29], s[0:1]
	v_mov_b32_e32 v7, v23
	v_mov_b32_e32 v6, v23
	;; [unrolled: 1-line block ×16, first 2 shown]
	s_waitcnt vmcnt(0)
	v_lshlrev_b32_e32 v0, 4, v0
	v_lshl_or_b32 v0, v105, 6, v0
	v_add_u32_e32 v101, 0x410, v0
	s_branch .LBB199_41
.LBB199_40:                             ;   in Loop: Header=BB199_41 Depth=1
	s_or_b64 exec, exec, s[0:1]
	s_waitcnt lgkmcnt(0)
	v_mul_f32_e32 v0, v3, v95
	v_fmac_f32_e32 v0, v2, v94
	v_fmac_f32_e32 v0, v4, v92
	v_fmac_f32_e32 v0, v5, v93
	v_add_f32_e32 v6, v6, v0
	v_mul_f32_e32 v0, v3, v91
	v_fmac_f32_e32 v0, v2, v90
	v_fmac_f32_e32 v0, v4, v88
	v_fmac_f32_e32 v0, v5, v89
	v_add_f32_e32 v9, v9, v0
	;; [unrolled: 5-line block ×15, first 2 shown]
	v_mul_f32_e32 v0, v3, v49
	v_fmac_f32_e32 v0, v2, v48
	v_fmac_f32_e32 v0, v4, v42
	v_add_u32_e32 v105, 2, v105
	v_fmac_f32_e32 v0, v5, v43
	v_cmp_le_i32_e32 vcc, s12, v105
	v_add_f32_e32 v7, v7, v0
	v_add_u32_e32 v100, 32, v100
	v_add_u32_e32 v101, 0x80, v101
	s_or_b64 s[8:9], vcc, s[8:9]
	v_lshl_add_u64 v[26:27], v[26:27], 0, 8
	s_andn2_b64 exec, exec, s[8:9]
	s_cbranch_execz .LBB199_73
.LBB199_41:                             ; =>This Inner Loop Header: Depth=1
	global_load_dword v0, v[26:27], off
	ds_read_b128 v[2:5], v101
	v_add_u32_e32 v102, -3, v100
	v_cmp_eq_u32_e32 vcc, s14, v105
	v_add_u32_e32 v103, -2, v100
	v_add_u32_e32 v104, -1, v100
	s_waitcnt vmcnt(0)
	v_mad_i64_i32 v[42:43], s[0:1], v0, s13, v[28:29]
	v_lshl_add_u64 v[48:49], v[42:43], 0, v[22:23]
	global_load_dword v0, v[48:49], off
	s_waitcnt vmcnt(0)
	v_and_b32_e32 v1, 0xffff, v0
	v_lshrrev_b32_e32 v0, 16, v0
	v_cvt_pk_f32_fp8_e32 v[30:31], v1
	v_cvt_pk_f32_fp8_e32 v[34:35], v0
	v_pk_mul_f32 v[32:33], s[6:7], v[30:31]
	v_pk_mul_f32 v[30:31], s[6:7], v[34:35]
	s_and_saveexec_b64 s[10:11], vcc
; %bb.42:                               ;   in Loop: Header=BB199_41 Depth=1
	v_cmp_gt_i32_e64 s[0:1], s30, v102
	s_nop 1
	v_cndmask_b32_e64 v32, 0, v32, s[0:1]
	v_cmp_gt_i32_e64 s[0:1], s30, v103
	s_nop 1
	v_cndmask_b32_e64 v33, 0, v33, s[0:1]
	v_cmp_gt_i32_e64 s[0:1], s30, v104
	s_nop 1
	v_cndmask_b32_e64 v30, 0, v30, s[0:1]
	v_cmp_gt_i32_e64 s[0:1], s30, v100
	s_nop 1
	v_cndmask_b32_e64 v31, 0, v31, s[0:1]
; %bb.43:                               ;   in Loop: Header=BB199_41 Depth=1
	s_or_b64 exec, exec, s[10:11]
	global_load_dword v0, v[48:49], off offset:256
	s_waitcnt vmcnt(0)
	v_and_b32_e32 v1, 0xffff, v0
	v_lshrrev_b32_e32 v0, 16, v0
	v_cvt_pk_f32_fp8_e32 v[34:35], v1
	v_cvt_pk_f32_fp8_e32 v[38:39], v0
	v_pk_mul_f32 v[36:37], s[6:7], v[34:35]
	v_pk_mul_f32 v[34:35], s[6:7], v[38:39]
	s_and_saveexec_b64 s[10:11], vcc
; %bb.44:                               ;   in Loop: Header=BB199_41 Depth=1
	v_cmp_gt_i32_e64 s[0:1], s30, v102
	s_nop 1
	v_cndmask_b32_e64 v36, 0, v36, s[0:1]
	v_cmp_gt_i32_e64 s[0:1], s30, v103
	s_nop 1
	v_cndmask_b32_e64 v37, 0, v37, s[0:1]
	v_cmp_gt_i32_e64 s[0:1], s30, v104
	s_nop 1
	v_cndmask_b32_e64 v34, 0, v34, s[0:1]
	v_cmp_gt_i32_e64 s[0:1], s30, v100
	s_nop 1
	v_cndmask_b32_e64 v35, 0, v35, s[0:1]
; %bb.45:                               ;   in Loop: Header=BB199_41 Depth=1
	s_or_b64 exec, exec, s[10:11]
	global_load_dword v0, v[48:49], off offset:512
	;; [unrolled: 24-line block ×14, first 2 shown]
	s_waitcnt vmcnt(0)
	v_and_b32_e32 v1, 0xffff, v0
	v_lshrrev_b32_e32 v0, 16, v0
	v_cvt_pk_f32_fp8_e32 v[48:49], v1
	v_cvt_pk_f32_fp8_e32 v[92:93], v0
	v_pk_mul_f32 v[94:95], s[6:7], v[48:49]
	v_pk_mul_f32 v[92:93], s[6:7], v[92:93]
	s_and_saveexec_b64 s[10:11], vcc
; %bb.70:                               ;   in Loop: Header=BB199_41 Depth=1
	v_cmp_gt_i32_e64 s[0:1], s30, v102
	s_nop 1
	v_cndmask_b32_e64 v94, 0, v94, s[0:1]
	v_cmp_gt_i32_e64 s[0:1], s30, v103
	s_nop 1
	v_cndmask_b32_e64 v95, 0, v95, s[0:1]
	;; [unrolled: 3-line block ×4, first 2 shown]
; %bb.71:                               ;   in Loop: Header=BB199_41 Depth=1
	s_or_b64 exec, exec, s[10:11]
	v_lshl_add_u64 v[42:43], v[42:43], 0, v[24:25]
	global_load_dword v0, v[42:43], off
	s_waitcnt vmcnt(0)
	v_and_b32_e32 v1, 0xffff, v0
	v_lshrrev_b32_e32 v0, 16, v0
	v_cvt_pk_f32_fp8_e32 v[42:43], v1
	v_cvt_pk_f32_fp8_e32 v[106:107], v0
	v_pk_mul_f32 v[48:49], s[6:7], v[42:43]
	v_pk_mul_f32 v[42:43], s[6:7], v[106:107]
	s_and_saveexec_b64 s[0:1], vcc
	s_cbranch_execz .LBB199_40
; %bb.72:                               ;   in Loop: Header=BB199_41 Depth=1
	v_cmp_gt_i32_e32 vcc, s30, v102
	s_nop 1
	v_cndmask_b32_e32 v48, 0, v48, vcc
	v_cmp_gt_i32_e32 vcc, s30, v103
	s_nop 1
	v_cndmask_b32_e32 v49, 0, v49, vcc
	;; [unrolled: 3-line block ×4, first 2 shown]
	s_branch .LBB199_40
.LBB199_73:
	s_or_b64 exec, exec, s[8:9]
.LBB199_74:
	s_or_b64 exec, exec, s[2:3]
	ds_bpermute_b32 v4, v99, v18
	ds_bpermute_b32 v5, v99, v19
	;; [unrolled: 1-line block ×6, first 2 shown]
	s_waitcnt lgkmcnt(4)
	v_pk_add_f32 v[4:5], v[18:19], v[4:5]
	ds_bpermute_b32 v18, v98, v4
	ds_bpermute_b32 v19, v98, v5
	s_waitcnt lgkmcnt(4)
	v_pk_add_f32 v[2:3], v[20:21], v[2:3]
	ds_bpermute_b32 v20, v98, v2
	ds_bpermute_b32 v21, v98, v3
	s_waitcnt lgkmcnt(4)
	v_pk_add_f32 v[16:17], v[16:17], v[22:23]
	s_waitcnt lgkmcnt(2)
	v_pk_add_f32 v[4:5], v[4:5], v[18:19]
	ds_bpermute_b32 v18, v99, v12
	ds_bpermute_b32 v19, v99, v13
	;; [unrolled: 1-line block ×4, first 2 shown]
	s_waitcnt lgkmcnt(4)
	v_pk_add_f32 v[2:3], v[2:3], v[20:21]
	ds_bpermute_b32 v20, v98, v16
	s_waitcnt lgkmcnt(3)
	v_pk_add_f32 v[12:13], v[12:13], v[18:19]
	ds_bpermute_b32 v18, v99, v10
	ds_bpermute_b32 v19, v99, v11
	;; [unrolled: 1-line block ×6, first 2 shown]
	s_waitcnt lgkmcnt(4)
	v_pk_add_f32 v[10:11], v[10:11], v[18:19]
	ds_bpermute_b32 v27, v99, v7
	ds_bpermute_b32 v18, v98, v10
	;; [unrolled: 1-line block ×3, first 2 shown]
	v_pk_add_f32 v[14:15], v[14:15], v[22:23]
	s_waitcnt lgkmcnt(6)
	v_pk_add_f32 v[16:17], v[16:17], v[20:21]
	ds_bpermute_b32 v20, v98, v14
	ds_bpermute_b32 v21, v98, v15
	s_waitcnt lgkmcnt(6)
	v_pk_add_f32 v[8:9], v[8:9], v[24:25]
	ds_bpermute_b32 v22, v98, v12
	ds_bpermute_b32 v23, v98, v13
	ds_bpermute_b32 v24, v98, v8
	ds_bpermute_b32 v25, v98, v9
	s_waitcnt lgkmcnt(8)
	v_pk_add_f32 v[6:7], v[6:7], v[26:27]
	s_waitcnt lgkmcnt(6)
	v_pk_add_f32 v[10:11], v[10:11], v[18:19]
	ds_bpermute_b32 v18, v98, v6
	ds_bpermute_b32 v19, v98, v7
	s_waitcnt lgkmcnt(6)
	v_pk_add_f32 v[14:15], v[14:15], v[20:21]
	v_and_b32_e32 v20, 0x3c3, v97
	s_waitcnt lgkmcnt(4)
	v_pk_add_f32 v[12:13], v[12:13], v[22:23]
	s_waitcnt lgkmcnt(2)
	v_pk_add_f32 v[8:9], v[8:9], v[24:25]
	v_cmp_ne_u32_e32 vcc, 64, v20
	s_waitcnt lgkmcnt(0)
	s_barrier
	s_and_saveexec_b64 s[0:1], vcc
	s_xor_b64 s[0:1], exec, s[0:1]
; %bb.75:
                                        ; implicit-def: $vgpr67
; %bb.76:
	s_or_saveexec_b64 s[0:1], s[0:1]
	v_pk_add_f32 v[6:7], v[6:7], v[18:19]
	s_xor_b64 exec, exec, s[0:1]
	s_cbranch_execz .LBB199_78
; %bb.77:
	v_add_u32_e32 v0, 0x410, v67
	ds_write2_b32 v0, v2, v3 offset1:16
	ds_write2_b32 v0, v4, v5 offset0:32 offset1:48
	ds_write2_b32 v0, v16, v17 offset0:64 offset1:80
	;; [unrolled: 1-line block ×7, first 2 shown]
.LBB199_78:
	s_or_b64 exec, exec, s[0:1]
	v_cmp_gt_u32_e32 vcc, 64, v97
	s_waitcnt lgkmcnt(0)
	s_barrier
	s_and_saveexec_b64 s[0:1], vcc
	s_cbranch_execz .LBB199_97
; %bb.79:
	scratch_load_dwordx2 v[0:1], off, off offset:24 ; 8-byte Folded Reload
	s_waitcnt vmcnt(0)
	v_cmp_eq_u32_e32 vcc, 0, v0
	s_and_saveexec_b64 s[2:3], vcc
	s_cbranch_execnz .LBB199_100
; %bb.80:
	s_or_b64 exec, exec, s[2:3]
	s_and_saveexec_b64 s[2:3], vcc
	s_cbranch_execnz .LBB199_101
.LBB199_81:
	s_or_b64 exec, exec, s[2:3]
	s_and_saveexec_b64 s[2:3], vcc
	s_cbranch_execnz .LBB199_102
.LBB199_82:
	s_or_b64 exec, exec, s[2:3]
	s_and_saveexec_b64 s[2:3], vcc
	s_cbranch_execnz .LBB199_103
.LBB199_83:
	s_or_b64 exec, exec, s[2:3]
	s_and_saveexec_b64 s[2:3], vcc
	s_cbranch_execnz .LBB199_104
.LBB199_84:
	s_or_b64 exec, exec, s[2:3]
	s_and_saveexec_b64 s[2:3], vcc
	s_cbranch_execnz .LBB199_105
.LBB199_85:
	s_or_b64 exec, exec, s[2:3]
	s_and_saveexec_b64 s[2:3], vcc
	s_cbranch_execnz .LBB199_106
.LBB199_86:
	s_or_b64 exec, exec, s[2:3]
	s_and_saveexec_b64 s[2:3], vcc
	s_cbranch_execnz .LBB199_107
.LBB199_87:
	s_or_b64 exec, exec, s[2:3]
	s_and_saveexec_b64 s[2:3], vcc
	s_cbranch_execnz .LBB199_108
.LBB199_88:
	s_or_b64 exec, exec, s[2:3]
	s_and_saveexec_b64 s[2:3], vcc
	s_cbranch_execnz .LBB199_109
.LBB199_89:
	s_or_b64 exec, exec, s[2:3]
	s_and_saveexec_b64 s[2:3], vcc
	s_cbranch_execnz .LBB199_110
.LBB199_90:
	s_or_b64 exec, exec, s[2:3]
	s_and_saveexec_b64 s[2:3], vcc
	s_cbranch_execnz .LBB199_111
.LBB199_91:
	s_or_b64 exec, exec, s[2:3]
	s_and_saveexec_b64 s[2:3], vcc
	s_cbranch_execnz .LBB199_112
.LBB199_92:
	s_or_b64 exec, exec, s[2:3]
	s_and_saveexec_b64 s[2:3], vcc
	s_cbranch_execnz .LBB199_113
.LBB199_93:
	s_or_b64 exec, exec, s[2:3]
	s_and_saveexec_b64 s[2:3], vcc
	s_cbranch_execnz .LBB199_114
.LBB199_94:
	s_or_b64 exec, exec, s[2:3]
	s_and_saveexec_b64 s[2:3], vcc
	s_cbranch_execz .LBB199_96
.LBB199_95:
	v_mov_b32_e32 v0, 0x410
	v_lshl_add_u32 v0, v96, 2, v0
	ds_read_b32 v0, v0 offset:960
	s_waitcnt lgkmcnt(0)
	v_add_f32_e32 v7, v7, v0
.LBB199_96:
	s_or_b64 exec, exec, s[2:3]
.LBB199_97:
	s_or_b64 exec, exec, s[0:1]
	v_cmp_eq_u32_e32 vcc, 0, v20
	s_barrier
	s_and_saveexec_b64 s[0:1], vcc
	s_cbranch_execz .LBB199_99
; %bb.98:
	s_mul_i32 s0, s20, s21
	s_mul_i32 s0, s0, s5
	s_lshl_b32 s0, s0, 8
	s_ashr_i32 s1, s0, 31
	s_lshl_b64 s[0:1], s[0:1], 2
	s_add_u32 s2, s22, s0
	s_mul_i32 s0, s21, s24
	s_addc_u32 s3, s23, s1
	s_ashr_i32 s1, s0, 31
	s_lshl_b64 s[0:1], s[0:1], 2
	s_add_u32 s2, s2, s0
	s_addc_u32 s3, s3, s1
	s_lshl_b32 s0, s4, 8
	s_ashr_i32 s1, s0, 31
	s_lshl_b64 s[0:1], s[0:1], 2
	s_add_u32 s0, s2, s0
	s_addc_u32 s1, s3, s1
	global_store_dword v66, v2, s[0:1]
	global_store_dword v66, v3, s[0:1] offset:64
	global_store_dword v66, v4, s[0:1] offset:128
	global_store_dword v66, v5, s[0:1] offset:192
	global_store_dword v66, v16, s[0:1] offset:256
	global_store_dword v66, v17, s[0:1] offset:320
	global_store_dword v66, v14, s[0:1] offset:384
	global_store_dword v66, v15, s[0:1] offset:448
	global_store_dword v66, v12, s[0:1] offset:512
	global_store_dword v66, v13, s[0:1] offset:576
	global_store_dword v66, v10, s[0:1] offset:640
	global_store_dword v66, v11, s[0:1] offset:704
	global_store_dword v66, v8, s[0:1] offset:768
	global_store_dword v66, v9, s[0:1] offset:832
	global_store_dword v66, v6, s[0:1] offset:896
	global_store_dword v66, v7, s[0:1] offset:960
.LBB199_99:
	s_endpgm
.LBB199_100:
	v_mov_b32_e32 v0, 0x410
	v_lshl_add_u32 v0, v96, 2, v0
	ds_read_b32 v0, v0
	s_waitcnt lgkmcnt(0)
	v_add_f32_e32 v2, v2, v0
	s_or_b64 exec, exec, s[2:3]
	s_and_saveexec_b64 s[2:3], vcc
	s_cbranch_execz .LBB199_81
.LBB199_101:
	v_mov_b32_e32 v0, 0x410
	v_lshl_add_u32 v0, v96, 2, v0
	ds_read_b32 v0, v0 offset:64
	s_waitcnt lgkmcnt(0)
	v_add_f32_e32 v3, v3, v0
	s_or_b64 exec, exec, s[2:3]
	s_and_saveexec_b64 s[2:3], vcc
	s_cbranch_execz .LBB199_82
.LBB199_102:
	v_mov_b32_e32 v0, 0x410
	v_lshl_add_u32 v0, v96, 2, v0
	ds_read_b32 v0, v0 offset:128
	s_waitcnt lgkmcnt(0)
	v_add_f32_e32 v4, v4, v0
	s_or_b64 exec, exec, s[2:3]
	s_and_saveexec_b64 s[2:3], vcc
	s_cbranch_execz .LBB199_83
.LBB199_103:
	v_mov_b32_e32 v0, 0x410
	v_lshl_add_u32 v0, v96, 2, v0
	ds_read_b32 v0, v0 offset:192
	s_waitcnt lgkmcnt(0)
	v_add_f32_e32 v5, v5, v0
	s_or_b64 exec, exec, s[2:3]
	s_and_saveexec_b64 s[2:3], vcc
	s_cbranch_execz .LBB199_84
.LBB199_104:
	v_mov_b32_e32 v0, 0x410
	v_lshl_add_u32 v0, v96, 2, v0
	ds_read_b32 v0, v0 offset:256
	s_waitcnt lgkmcnt(0)
	v_add_f32_e32 v16, v16, v0
	s_or_b64 exec, exec, s[2:3]
	s_and_saveexec_b64 s[2:3], vcc
	s_cbranch_execz .LBB199_85
.LBB199_105:
	v_mov_b32_e32 v0, 0x410
	v_lshl_add_u32 v0, v96, 2, v0
	ds_read_b32 v0, v0 offset:320
	s_waitcnt lgkmcnt(0)
	v_add_f32_e32 v17, v17, v0
	s_or_b64 exec, exec, s[2:3]
	s_and_saveexec_b64 s[2:3], vcc
	s_cbranch_execz .LBB199_86
.LBB199_106:
	v_mov_b32_e32 v0, 0x410
	v_lshl_add_u32 v0, v96, 2, v0
	ds_read_b32 v0, v0 offset:384
	s_waitcnt lgkmcnt(0)
	v_add_f32_e32 v14, v14, v0
	s_or_b64 exec, exec, s[2:3]
	s_and_saveexec_b64 s[2:3], vcc
	s_cbranch_execz .LBB199_87
.LBB199_107:
	v_mov_b32_e32 v0, 0x410
	v_lshl_add_u32 v0, v96, 2, v0
	ds_read_b32 v0, v0 offset:448
	s_waitcnt lgkmcnt(0)
	v_add_f32_e32 v15, v15, v0
	s_or_b64 exec, exec, s[2:3]
	s_and_saveexec_b64 s[2:3], vcc
	s_cbranch_execz .LBB199_88
.LBB199_108:
	v_mov_b32_e32 v0, 0x410
	v_lshl_add_u32 v0, v96, 2, v0
	ds_read_b32 v0, v0 offset:512
	s_waitcnt lgkmcnt(0)
	v_add_f32_e32 v12, v12, v0
	s_or_b64 exec, exec, s[2:3]
	s_and_saveexec_b64 s[2:3], vcc
	s_cbranch_execz .LBB199_89
.LBB199_109:
	v_mov_b32_e32 v0, 0x410
	v_lshl_add_u32 v0, v96, 2, v0
	ds_read_b32 v0, v0 offset:576
	s_waitcnt lgkmcnt(0)
	v_add_f32_e32 v13, v13, v0
	s_or_b64 exec, exec, s[2:3]
	s_and_saveexec_b64 s[2:3], vcc
	s_cbranch_execz .LBB199_90
.LBB199_110:
	v_mov_b32_e32 v0, 0x410
	v_lshl_add_u32 v0, v96, 2, v0
	ds_read_b32 v0, v0 offset:640
	s_waitcnt lgkmcnt(0)
	v_add_f32_e32 v10, v10, v0
	s_or_b64 exec, exec, s[2:3]
	s_and_saveexec_b64 s[2:3], vcc
	s_cbranch_execz .LBB199_91
.LBB199_111:
	v_mov_b32_e32 v0, 0x410
	v_lshl_add_u32 v0, v96, 2, v0
	ds_read_b32 v0, v0 offset:704
	s_waitcnt lgkmcnt(0)
	v_add_f32_e32 v11, v11, v0
	s_or_b64 exec, exec, s[2:3]
	s_and_saveexec_b64 s[2:3], vcc
	s_cbranch_execz .LBB199_92
.LBB199_112:
	v_mov_b32_e32 v0, 0x410
	v_lshl_add_u32 v0, v96, 2, v0
	ds_read_b32 v0, v0 offset:768
	s_waitcnt lgkmcnt(0)
	v_add_f32_e32 v8, v8, v0
	s_or_b64 exec, exec, s[2:3]
	s_and_saveexec_b64 s[2:3], vcc
	s_cbranch_execz .LBB199_93
.LBB199_113:
	v_mov_b32_e32 v0, 0x410
	v_lshl_add_u32 v0, v96, 2, v0
	ds_read_b32 v0, v0 offset:832
	s_waitcnt lgkmcnt(0)
	v_add_f32_e32 v9, v9, v0
	s_or_b64 exec, exec, s[2:3]
	s_and_saveexec_b64 s[2:3], vcc
	s_cbranch_execz .LBB199_94
.LBB199_114:
	v_mov_b32_e32 v0, 0x410
	v_lshl_add_u32 v0, v96, 2, v0
	ds_read_b32 v0, v0 offset:896
	s_waitcnt lgkmcnt(0)
	v_add_f32_e32 v6, v6, v0
	s_or_b64 exec, exec, s[2:3]
	s_and_saveexec_b64 s[2:3], vcc
	s_cbranch_execnz .LBB199_95
	s_branch .LBB199_96
	.section	.rodata,"a",@progbits
	.p2align	6, 0x0
	.amdhsa_kernel _ZN4vllm25paged_attention_v1_kernelIfhLi256ELi16ELi128ELNS_18Fp8KVCacheDataTypeE1ELb0EEEvPT_PKS2_PKT0_S8_ifPKiSA_iPKfiiiSC_SC_iiiii
		.amdhsa_group_segment_fixed_size 1040
		.amdhsa_private_segment_fixed_size 76
		.amdhsa_kernarg_size 384
		.amdhsa_user_sgpr_count 2
		.amdhsa_user_sgpr_dispatch_ptr 0
		.amdhsa_user_sgpr_queue_ptr 0
		.amdhsa_user_sgpr_kernarg_segment_ptr 1
		.amdhsa_user_sgpr_dispatch_id 0
		.amdhsa_user_sgpr_kernarg_preload_length 0
		.amdhsa_user_sgpr_kernarg_preload_offset 0
		.amdhsa_user_sgpr_private_segment_size 0
		.amdhsa_uses_dynamic_stack 0
		.amdhsa_enable_private_segment 1
		.amdhsa_system_sgpr_workgroup_id_x 1
		.amdhsa_system_sgpr_workgroup_id_y 1
		.amdhsa_system_sgpr_workgroup_id_z 1
		.amdhsa_system_sgpr_workgroup_info 0
		.amdhsa_system_vgpr_workitem_id 0
		.amdhsa_next_free_vgpr 128
		.amdhsa_next_free_sgpr 38
		.amdhsa_accum_offset 128
		.amdhsa_reserve_vcc 1
		.amdhsa_float_round_mode_32 0
		.amdhsa_float_round_mode_16_64 0
		.amdhsa_float_denorm_mode_32 3
		.amdhsa_float_denorm_mode_16_64 3
		.amdhsa_dx10_clamp 1
		.amdhsa_ieee_mode 1
		.amdhsa_fp16_overflow 0
		.amdhsa_tg_split 0
		.amdhsa_exception_fp_ieee_invalid_op 0
		.amdhsa_exception_fp_denorm_src 0
		.amdhsa_exception_fp_ieee_div_zero 0
		.amdhsa_exception_fp_ieee_overflow 0
		.amdhsa_exception_fp_ieee_underflow 0
		.amdhsa_exception_fp_ieee_inexact 0
		.amdhsa_exception_int_div_zero 0
	.end_amdhsa_kernel
	.section	.text._ZN4vllm25paged_attention_v1_kernelIfhLi256ELi16ELi128ELNS_18Fp8KVCacheDataTypeE1ELb0EEEvPT_PKS2_PKT0_S8_ifPKiSA_iPKfiiiSC_SC_iiiii,"axG",@progbits,_ZN4vllm25paged_attention_v1_kernelIfhLi256ELi16ELi128ELNS_18Fp8KVCacheDataTypeE1ELb0EEEvPT_PKS2_PKT0_S8_ifPKiSA_iPKfiiiSC_SC_iiiii,comdat
.Lfunc_end199:
	.size	_ZN4vllm25paged_attention_v1_kernelIfhLi256ELi16ELi128ELNS_18Fp8KVCacheDataTypeE1ELb0EEEvPT_PKS2_PKT0_S8_ifPKiSA_iPKfiiiSC_SC_iiiii, .Lfunc_end199-_ZN4vllm25paged_attention_v1_kernelIfhLi256ELi16ELi128ELNS_18Fp8KVCacheDataTypeE1ELb0EEEvPT_PKS2_PKT0_S8_ifPKiSA_iPKfiiiSC_SC_iiiii
                                        ; -- End function
	.section	.AMDGPU.csdata,"",@progbits
; Kernel info:
; codeLenInByte = 9172
; NumSgprs: 44
; NumVgprs: 128
; NumAgprs: 0
; TotalNumVgprs: 128
; ScratchSize: 76
; MemoryBound: 0
; FloatMode: 240
; IeeeMode: 1
; LDSByteSize: 1040 bytes/workgroup (compile time only)
; SGPRBlocks: 5
; VGPRBlocks: 15
; NumSGPRsForWavesPerEU: 44
; NumVGPRsForWavesPerEU: 128
; AccumOffset: 128
; Occupancy: 4
; WaveLimiterHint : 1
; COMPUTE_PGM_RSRC2:SCRATCH_EN: 1
; COMPUTE_PGM_RSRC2:USER_SGPR: 2
; COMPUTE_PGM_RSRC2:TRAP_HANDLER: 0
; COMPUTE_PGM_RSRC2:TGID_X_EN: 1
; COMPUTE_PGM_RSRC2:TGID_Y_EN: 1
; COMPUTE_PGM_RSRC2:TGID_Z_EN: 1
; COMPUTE_PGM_RSRC2:TIDIG_COMP_CNT: 0
; COMPUTE_PGM_RSRC3_GFX90A:ACCUM_OFFSET: 31
; COMPUTE_PGM_RSRC3_GFX90A:TG_SPLIT: 0
	.section	.text._ZN4vllm25paged_attention_v1_kernelIfhLi32ELi32ELi128ELNS_18Fp8KVCacheDataTypeE1ELb1EEEvPT_PKS2_PKT0_S8_ifPKiSA_iPKfiiiSC_SC_iiiii,"axG",@progbits,_ZN4vllm25paged_attention_v1_kernelIfhLi32ELi32ELi128ELNS_18Fp8KVCacheDataTypeE1ELb1EEEvPT_PKS2_PKT0_S8_ifPKiSA_iPKfiiiSC_SC_iiiii,comdat
	.protected	_ZN4vllm25paged_attention_v1_kernelIfhLi32ELi32ELi128ELNS_18Fp8KVCacheDataTypeE1ELb1EEEvPT_PKS2_PKT0_S8_ifPKiSA_iPKfiiiSC_SC_iiiii ; -- Begin function _ZN4vllm25paged_attention_v1_kernelIfhLi32ELi32ELi128ELNS_18Fp8KVCacheDataTypeE1ELb1EEEvPT_PKS2_PKT0_S8_ifPKiSA_iPKfiiiSC_SC_iiiii
	.globl	_ZN4vllm25paged_attention_v1_kernelIfhLi32ELi32ELi128ELNS_18Fp8KVCacheDataTypeE1ELb1EEEvPT_PKS2_PKT0_S8_ifPKiSA_iPKfiiiSC_SC_iiiii
	.p2align	8
	.type	_ZN4vllm25paged_attention_v1_kernelIfhLi32ELi32ELi128ELNS_18Fp8KVCacheDataTypeE1ELb1EEEvPT_PKS2_PKT0_S8_ifPKiSA_iPKfiiiSC_SC_iiiii,@function
_ZN4vllm25paged_attention_v1_kernelIfhLi32ELi32ELi128ELNS_18Fp8KVCacheDataTypeE1ELb1EEEvPT_PKS2_PKT0_S8_ifPKiSA_iPKfiiiSC_SC_iiiii: ; @_ZN4vllm25paged_attention_v1_kernelIfhLi32ELi32ELi128ELNS_18Fp8KVCacheDataTypeE1ELb1EEEvPT_PKS2_PKT0_S8_ifPKiSA_iPKfiiiSC_SC_iiiii
; %bb.0:
	s_load_dword s5, s[0:1], 0x80
	s_load_dwordx2 s[6:7], s[0:1], 0x30
	s_load_dwordx2 s[36:37], s[0:1], 0x20
	s_mov_b32 s10, s3
	s_ashr_i32 s11, s3, 31
	s_lshl_b64 s[8:9], s[10:11], 2
	s_waitcnt lgkmcnt(0)
	s_add_u32 s6, s6, s8
	s_addc_u32 s7, s7, s9
	s_abs_i32 s3, s36
	v_cvt_f32_u32_e32 v1, s3
	s_sub_i32 s11, 0, s3
	s_abs_i32 s9, s5
	s_xor_b32 s8, s5, s36
	v_rcp_iflag_f32_e32 v1, v1
	s_ashr_i32 s8, s8, 31
	s_mov_b32 s44, 0
	v_mul_f32_e32 v1, 0x4f7ffffe, v1
	v_cvt_u32_f32_e32 v1, v1
	s_nop 0
	v_readfirstlane_b32 s12, v1
	s_mul_i32 s11, s11, s12
	s_mul_hi_u32 s11, s12, s11
	s_add_i32 s12, s12, s11
	s_mul_hi_u32 s11, s9, s12
	s_mul_i32 s12, s11, s3
	s_sub_i32 s9, s9, s12
	s_add_i32 s12, s11, 1
	s_sub_i32 s13, s9, s3
	s_cmp_ge_u32 s9, s3
	s_cselect_b32 s11, s12, s11
	s_cselect_b32 s9, s13, s9
	s_add_i32 s12, s11, 1
	s_cmp_ge_u32 s9, s3
	s_cselect_b32 s3, s12, s11
	s_xor_b32 s3, s3, s8
	s_sub_i32 s14, s3, s8
	s_abs_i32 s11, s14
	v_cvt_f32_u32_e32 v1, s11
	s_load_dwordx2 s[8:9], s[0:1], 0x40
	s_sub_i32 s3, 0, s11
	s_abs_i32 s12, s2
	v_rcp_iflag_f32_e32 v1, v1
	s_nop 0
	v_mul_f32_e32 v1, 0x4f7ffffe, v1
	v_cvt_u32_f32_e32 v1, v1
	s_nop 0
	v_readfirstlane_b32 s13, v1
	s_mul_i32 s3, s3, s13
	s_mul_hi_u32 s3, s13, s3
	s_add_i32 s13, s13, s3
	s_waitcnt lgkmcnt(0)
	s_cmp_eq_u64 s[8:9], 0
	s_mul_hi_u32 s13, s12, s13
	s_cbranch_scc1 .LBB200_2
; %bb.1:
	s_ashr_i32 s3, s2, 31
	s_lshl_b64 s[16:17], s[2:3], 2
	s_add_u32 s8, s8, s16
	s_addc_u32 s9, s9, s17
	s_load_dword s44, s[8:9], 0x0
.LBB200_2:
	s_load_dword s33, s[6:7], 0x0
	s_load_dwordx4 s[16:19], s[0:1], 0x48
	s_ashr_i32 s8, s2, 31
	s_ashr_i32 s9, s14, 31
	v_and_b32_e32 v6, 1, v0
	s_lshl_b32 s24, s2, 5
	v_cmp_gt_u32_e32 vcc, 16, v0
	v_lshlrev_b32_e32 v8, 2, v0
	s_and_saveexec_b64 s[6:7], vcc
	s_cbranch_execz .LBB200_4
; %bb.3:
	s_load_dwordx2 s[14:15], s[0:1], 0x8
	s_waitcnt lgkmcnt(0)
	s_mul_i32 s20, s10, s16
	s_ashr_i32 s21, s20, 31
	s_lshl_b64 s[20:21], s[20:21], 2
	v_lshlrev_b32_e32 v1, 3, v0
	s_add_u32 s3, s14, s20
	s_addc_u32 s16, s15, s21
	s_ashr_i32 s25, s24, 31
	s_lshl_b64 s[14:15], s[24:25], 2
	s_add_u32 s14, s3, s14
	s_addc_u32 s15, s16, s15
	global_load_dwordx2 v[2:3], v1, s[14:15]
	v_and_b32_e32 v1, 0xff8, v8
	v_lshl_add_u32 v1, v6, 6, v1
	s_waitcnt vmcnt(0)
	ds_write_b64 v1, v[2:3]
.LBB200_4:
	s_or_b64 exec, exec, s[6:7]
	s_mul_i32 s7, s13, s11
	s_sub_i32 s7, s12, s7
	s_xor_b32 s6, s8, s9
	s_add_i32 s8, s13, 1
	s_sub_i32 s9, s7, s11
	s_load_dwordx4 s[20:23], s[0:1], 0x68
	s_load_dword s3, s[0:1], 0x78
	s_cmp_ge_u32 s7, s11
	s_cselect_b32 s8, s8, s13
	s_cselect_b32 s7, s9, s7
	s_add_i32 s9, s8, 1
	s_cmp_ge_u32 s7, s11
	s_cselect_b32 s7, s9, s8
	s_waitcnt lgkmcnt(0)
	s_abs_i32 s25, s23
	v_cvt_f32_u32_e32 v1, s25
	s_xor_b32 s7, s7, s6
	s_sub_i32 s43, s7, s6
	s_sub_i32 s6, 0, s25
	v_rcp_iflag_f32_e32 v1, v1
	s_add_i32 s11, s33, -1
	s_abs_i32 s8, s11
	v_mul_f32_e32 v1, 0x4f7ffffe, v1
	v_cvt_u32_f32_e32 v1, v1
	s_barrier
	v_readfirstlane_b32 s42, v1
	s_mul_i32 s6, s6, s42
	s_mul_hi_u32 s6, s42, s6
	s_add_i32 s42, s42, s6
	s_cmp_lt_i32 s3, 0
	s_mul_hi_u32 s9, s8, s42
	s_cbranch_scc0 .LBB200_6
; %bb.5:
	s_mul_i32 s6, s20, s36
	s_add_i32 s6, s43, s6
	s_mul_i32 s6, s6, s3
	s_sub_i32 s36, 1, s6
	s_mov_b64 s[6:7], 0
	s_branch .LBB200_7
.LBB200_6:
	s_mov_b64 s[6:7], -1
                                        ; implicit-def: $sgpr36
.LBB200_7:
	s_load_dwordx2 s[28:29], s[0:1], 0x28
	s_ashr_i32 s16, s11, 31
	s_andn2_b64 vcc, exec, s[6:7]
	s_ashr_i32 s23, s23, 31
	s_cbranch_vccnz .LBB200_9
; %bb.8:
	s_mul_i32 s6, s5, s20
	s_add_i32 s2, s6, s2
	s_mul_i32 s2, s2, s3
	s_add_i32 s36, s2, 1
.LBB200_9:
	s_load_dword s2, s[0:1], 0x38
	s_load_dwordx2 s[26:27], s[0:1], 0x0
	s_load_dwordx2 s[34:35], s[0:1], 0x18
	s_load_dword s11, s[0:1], 0x88
	s_load_dwordx4 s[12:15], s[0:1], 0x58
	s_mul_i32 s3, s9, s25
	s_waitcnt lgkmcnt(0)
	s_mul_i32 s30, s10, s2
	s_sub_i32 s3, s8, s3
	s_ashr_i32 s31, s30, 31
	s_xor_b32 s2, s16, s23
	s_add_i32 s6, s9, 1
	s_sub_i32 s7, s3, s25
	s_cmp_ge_u32 s3, s25
	s_cselect_b32 s6, s6, s9
	s_cselect_b32 s3, s7, s3
	s_add_i32 s7, s6, 1
	s_cmp_ge_u32 s3, s25
	s_cselect_b32 s3, s7, s6
	s_xor_b32 s3, s3, s2
	s_sub_i32 s16, s3, s2
	s_add_i32 s2, s33, 31
	s_ashr_i32 s3, s2, 31
	s_lshr_b32 s3, s3, 27
	s_add_i32 s2, s2, s3
	s_ashr_i32 s20, s2, 5
	v_lshrrev_b32_e32 v1, 6, v0
	v_cmp_gt_i32_e64 s[2:3], s20, v1
	v_mov_b32_e32 v13, 0xff7fffff
	s_mul_i32 s43, s43, s18
	v_lshrrev_b32_e32 v9, 4, v0
	v_lshlrev_b32_e32 v30, 5, v1
	v_mbcnt_lo_u32_b32 v10, -1, 0
	s_and_saveexec_b64 s[18:19], s[2:3]
	s_cbranch_execz .LBB200_19
; %bb.10:
	s_load_dwordx2 s[0:1], s[0:1], 0x10
	s_sub_i32 s45, s16, s21
	s_ashr_i32 s7, s43, 31
	v_bfe_u32 v11, v0, 1, 5
	v_mov_b32_e32 v3, 0
	s_waitcnt lgkmcnt(0)
	s_add_u32 s6, s0, s43
	s_addc_u32 s7, s1, s7
	s_abs_i32 s46, s22
	v_cvt_f32_u32_e32 v2, s46
	v_lshlrev_b32_e32 v13, 2, v11
	v_cmp_eq_u32_e32 vcc, 0, v6
	v_lshlrev_b32_e32 v12, 6, v6
	v_rcp_iflag_f32_e32 v4, v2
	v_lshlrev_b32_e32 v2, 4, v11
	v_lshl_or_b32 v13, v1, 7, v13
	v_add_u32_e32 v16, 0x90, v13
	v_mul_f32_e32 v4, 0x4f7ffffe, v4
	v_cvt_u32_f32_e32 v7, v4
	v_lshl_add_u64 v[4:5], s[6:7], 0, v[2:3]
	s_sub_i32 s6, 0, s46
	v_lshlrev_b32_e32 v2, 1, v6
	v_mul_lo_u32 v6, s6, v7
	s_lshl_b64 s[6:7], s[30:31], 2
	v_mul_hi_u32 v6, v7, v6
	s_add_u32 s6, s28, s6
	v_subrev_u32_e32 v13, s33, v11
	v_mbcnt_hi_u32_b32 v19, -1, v10
	v_add_u32_e32 v14, v7, v6
	v_and_b32_e32 v6, 60, v9
	v_mov_b32_e32 v7, v3
	s_addc_u32 s7, s29, s7
	v_add_u32_e32 v17, 1, v13
	v_and_b32_e32 v13, 64, v19
	s_mov_b32 s47, s17
	v_cmp_neq_f32_e64 s[0:1], s44, 0
	v_lshl_add_u64 v[6:7], s[6:7], 0, v[6:7]
	v_lshlrev_b32_e32 v15, 5, v1
	s_mov_b64 s[38:39], 0
	v_mov_b32_e32 v18, 0xff7fffff
	v_xor_b32_e32 v20, 1, v19
	v_add_u32_e32 v21, 64, v13
	v_mov_b32_e32 v13, 0xff7fffff
	v_mov_b32_e32 v22, v1
	s_branch .LBB200_13
.LBB200_11:                             ;   in Loop: Header=BB200_13 Depth=1
	s_or_b64 exec, exec, s[40:41]
.LBB200_12:                             ;   in Loop: Header=BB200_13 Depth=1
	s_or_b64 exec, exec, s[8:9]
	v_add_u32_e32 v22, 2, v22
	v_cmp_le_i32_e64 s[6:7], s20, v22
	v_lshl_add_u64 v[6:7], v[6:7], 0, 8
	v_add_u32_e32 v15, 64, v15
	s_or_b64 s[38:39], s[6:7], s[38:39]
	v_add_u32_e32 v16, 0x100, v16
	s_andn2_b64 exec, exec, s[38:39]
	s_cbranch_execz .LBB200_18
.LBB200_13:                             ; =>This Inner Loop Header: Depth=1
	v_mul_hi_u32 v23, v15, s42
	s_waitcnt lgkmcnt(0)
	v_mul_lo_u32 v24, v23, s25
	v_sub_u32_e32 v24, v15, v24
	v_add_u32_e32 v25, 1, v23
	v_cmp_le_u32_e64 s[6:7], s25, v24
	s_nop 1
	v_cndmask_b32_e64 v23, v23, v25, s[6:7]
	v_subrev_u32_e32 v25, s25, v24
	v_cndmask_b32_e64 v24, v24, v25, s[6:7]
	v_add_u32_e32 v25, 1, v23
	v_cmp_le_u32_e64 s[6:7], s25, v24
	s_nop 1
	v_cndmask_b32_e64 v23, v23, v25, s[6:7]
	v_xor_b32_e32 v23, s23, v23
	v_subrev_u32_e32 v23, s23, v23
	v_add_u32_e32 v24, s36, v23
	v_sub_u32_e32 v26, 0, v24
	v_ashrrev_i32_e32 v25, 31, v24
	v_max_i32_e32 v24, v24, v26
	v_mul_hi_u32 v26, v24, v14
	v_mul_lo_u32 v26, v26, s46
	v_sub_u32_e32 v24, v24, v26
	v_subrev_u32_e32 v26, s46, v24
	v_cmp_le_u32_e64 s[6:7], s46, v24
	v_cmp_ge_i32_e64 s[8:9], s45, v23
	s_nop 0
	v_cndmask_b32_e64 v24, v24, v26, s[6:7]
	v_subrev_u32_e32 v26, s46, v24
	v_cmp_le_u32_e64 s[6:7], s46, v24
	s_nop 1
	v_cndmask_b32_e64 v24, v24, v26, s[6:7]
	v_xor_b32_e32 v24, v24, v25
	v_sub_u32_e32 v24, v24, v25
	v_cmp_ne_u32_e64 s[6:7], 0, v24
	s_and_b64 s[6:7], s[6:7], s[8:9]
	s_and_b64 s[40:41], vcc, s[6:7]
	s_and_saveexec_b64 s[8:9], s[40:41]
	s_cbranch_execz .LBB200_15
; %bb.14:                               ;   in Loop: Header=BB200_13 Depth=1
	ds_write_b32 v16, v18
.LBB200_15:                             ;   in Loop: Header=BB200_13 Depth=1
	s_or_b64 exec, exec, s[8:9]
	s_xor_b64 s[6:7], s[6:7], -1
	s_and_saveexec_b64 s[8:9], s[6:7]
	s_cbranch_execz .LBB200_12
; %bb.16:                               ;   in Loop: Header=BB200_13 Depth=1
	global_load_dword v23, v[6:7], off
	s_waitcnt vmcnt(0)
	v_mad_i64_i32 v[24:25], s[6:7], v23, s47, v[4:5]
	v_lshl_add_u64 v[24:25], v[24:25], 0, v[2:3]
	global_load_ushort v23, v[24:25], off
	global_load_ushort v31, v[24:25], off offset:4
	global_load_ushort v46, v[24:25], off offset:8
	;; [unrolled: 1-line block ×7, first 2 shown]
	v_cmp_lt_i32_e64 s[6:7], v20, v21
	ds_read_b128 v[24:27], v12
	ds_read_b128 v[32:35], v12 offset:16
	ds_read_b128 v[36:39], v12 offset:32
	;; [unrolled: 1-line block ×3, first 2 shown]
	v_cndmask_b32_e64 v28, v19, v20, s[6:7]
	s_load_dword s6, s[12:13], 0x0
	v_lshlrev_b32_e32 v58, 2, v28
	s_waitcnt vmcnt(7)
	v_cvt_pk_f32_fp8_e32 v[28:29], v23
	s_waitcnt vmcnt(6)
	v_cvt_pk_f32_fp8_e32 v[44:45], v31
	s_waitcnt vmcnt(5)
	v_cvt_pk_f32_fp8_e32 v[46:47], v46
	s_waitcnt vmcnt(4)
	v_cvt_pk_f32_fp8_e32 v[48:49], v48
	s_waitcnt vmcnt(3)
	v_cvt_pk_f32_fp8_e32 v[50:51], v50
	s_waitcnt lgkmcnt(0)
	v_pk_mul_f32 v[44:45], s[6:7], v[44:45] op_sel_hi:[0,1]
	s_waitcnt vmcnt(2)
	v_cvt_pk_f32_fp8_e32 v[52:53], v52
	v_pk_mul_f32 v[28:29], s[6:7], v[28:29] op_sel_hi:[0,1]
	v_mul_f32_e32 v23, v26, v44
	v_mul_f32_e32 v26, v27, v45
	s_waitcnt vmcnt(1)
	v_cvt_pk_f32_fp8_e32 v[54:55], v54
	v_pk_mul_f32 v[46:47], s[6:7], v[46:47] op_sel_hi:[0,1]
	v_fmac_f32_e32 v23, v24, v28
	v_fmac_f32_e32 v26, v25, v29
	s_waitcnt vmcnt(0)
	v_cvt_pk_f32_fp8_e32 v[56:57], v56
	v_pk_mul_f32 v[48:49], s[6:7], v[48:49] op_sel_hi:[0,1]
	v_fmac_f32_e32 v23, v32, v46
	v_fmac_f32_e32 v26, v33, v47
	v_pk_mul_f32 v[50:51], s[6:7], v[50:51] op_sel_hi:[0,1]
	v_fmac_f32_e32 v23, v34, v48
	v_fmac_f32_e32 v26, v35, v49
	;; [unrolled: 3-line block ×5, first 2 shown]
	v_fmac_f32_e32 v23, v42, v56
	v_fmac_f32_e32 v26, v43, v57
	v_add_f32_e32 v23, v23, v26
	ds_bpermute_b32 v24, v58, v23
	s_and_saveexec_b64 s[40:41], vcc
	s_cbranch_execz .LBB200_11
; %bb.17:                               ;   in Loop: Header=BB200_13 Depth=1
	v_add_u32_e32 v25, v17, v15
	v_cvt_f32_i32_e32 v25, v25
	s_waitcnt lgkmcnt(0)
	v_add_f32_e32 v23, v23, v24
	v_add_u32_e32 v26, v11, v15
	v_cmp_gt_i32_e64 s[6:7], s33, v26
	v_mul_f32_e32 v24, s44, v25
	v_cndmask_b32_e64 v24, 0, v24, s[0:1]
	v_fmac_f32_e32 v24, s37, v23
	v_cndmask_b32_e64 v23, 0, v24, s[6:7]
	ds_write_b32 v16, v23
	v_max_f32_e32 v23, v13, v13
	v_max_f32_e32 v23, v23, v24
	v_cndmask_b32_e64 v13, v13, v23, s[6:7]
	s_branch .LBB200_11
.LBB200_18:
	s_or_b64 exec, exec, s[38:39]
.LBB200_19:
	s_or_b64 exec, exec, s[18:19]
	v_mbcnt_hi_u32_b32 v7, -1, v10
	v_and_b32_e32 v2, 64, v7
	v_add_u32_e32 v10, 64, v2
	v_xor_b32_e32 v2, 32, v7
	v_cmp_lt_i32_e32 vcc, v2, v10
	v_xor_b32_e32 v5, 16, v7
	v_max_f32_e32 v4, v13, v13
	v_cndmask_b32_e32 v2, v7, v2, vcc
	v_lshlrev_b32_e32 v2, 2, v2
	ds_bpermute_b32 v3, v2, v13
	v_cmp_lt_i32_e32 vcc, v5, v10
	v_xor_b32_e32 v6, 8, v7
	v_xor_b32_e32 v11, 4, v7
	v_and_b32_e32 v31, 63, v0
	s_waitcnt lgkmcnt(0)
	v_max_f32_e32 v3, v3, v3
	v_max_f32_e32 v4, v4, v3
	v_cndmask_b32_e32 v3, v7, v5, vcc
	v_lshlrev_b32_e32 v3, 2, v3
	ds_bpermute_b32 v5, v3, v4
	v_cmp_lt_i32_e32 vcc, v6, v10
	s_waitcnt lgkmcnt(0)
	v_max_f32_e32 v5, v5, v5
	v_max_f32_e32 v5, v4, v5
	v_cndmask_b32_e32 v4, v7, v6, vcc
	v_lshlrev_b32_e32 v4, 2, v4
	ds_bpermute_b32 v6, v4, v5
	v_cmp_lt_i32_e32 vcc, v11, v10
	s_waitcnt lgkmcnt(0)
	v_max_f32_e32 v6, v6, v6
	v_max_f32_e32 v5, v5, v6
	v_cndmask_b32_e32 v6, v7, v11, vcc
	v_lshlrev_b32_e32 v33, 2, v6
	ds_bpermute_b32 v6, v33, v5
	v_xor_b32_e32 v11, 2, v7
	v_cmp_lt_i32_e32 vcc, v11, v10
	s_waitcnt lgkmcnt(0)
	v_max_f32_e32 v6, v6, v6
	v_max_f32_e32 v6, v5, v6
	v_cndmask_b32_e32 v5, v7, v11, vcc
	v_lshlrev_b32_e32 v32, 2, v5
	ds_bpermute_b32 v11, v32, v6
	v_cmp_eq_u32_e32 vcc, 0, v31
	v_lshlrev_b32_e32 v5, 2, v1
	s_and_saveexec_b64 s[0:1], vcc
	s_cbranch_execz .LBB200_21
; %bb.20:
	s_waitcnt lgkmcnt(0)
	v_max_f32_e32 v11, v11, v11
	v_max_f32_e32 v6, v6, v6
	;; [unrolled: 1-line block ×3, first 2 shown]
	ds_write_b32 v5, v6 offset:128
.LBB200_21:
	s_or_b64 exec, exec, s[0:1]
	v_cmp_gt_u32_e64 s[0:1], 2, v31
	s_waitcnt lgkmcnt(0)
	v_mov_b32_e32 v11, 0xff7fffff
	v_lshlrev_b32_e32 v6, 2, v31
	s_barrier
	s_and_saveexec_b64 s[6:7], s[0:1]
	s_cbranch_execz .LBB200_23
; %bb.22:
	ds_read_b32 v11, v6 offset:128
.LBB200_23:
	s_or_b64 exec, exec, s[6:7]
	v_xor_b32_e32 v12, 1, v7
	v_cmp_lt_i32_e64 s[6:7], v12, v10
	s_nop 1
	v_cndmask_b32_e64 v10, v7, v12, s[6:7]
	v_lshlrev_b32_e32 v34, 2, v10
	s_waitcnt lgkmcnt(0)
	ds_bpermute_b32 v10, v34, v11
	v_max_f32_e32 v11, v11, v11
	v_lshlrev_b32_e32 v7, 2, v7
	v_and_b32_e32 v7, 0x100, v7
	s_lshl_b32 s6, s20, 5
	s_waitcnt lgkmcnt(0)
	v_max_f32_e32 v10, v10, v10
	v_max_f32_e32 v10, v11, v10
	ds_bpermute_b32 v11, v7, v10
	s_min_i32 s37, s6, s33
	v_cmp_gt_i32_e64 s[6:7], s37, v0
	v_mov_b32_e32 v10, 0
	s_and_saveexec_b64 s[12:13], s[6:7]
	s_cbranch_execz .LBB200_27
; %bb.24:
	v_mov_b32_e32 v10, 0x90
	v_lshl_add_u32 v12, v0, 2, v10
	s_mov_b64 s[18:19], 0
	v_mov_b32_e32 v10, 0
	v_mov_b32_e32 v13, v0
.LBB200_25:                             ; =>This Inner Loop Header: Depth=1
	ds_read_b32 v14, v12
	v_add_u32_e32 v13, 0x80, v13
	v_cmp_le_i32_e64 s[8:9], s37, v13
	s_or_b64 s[18:19], s[8:9], s[18:19]
	s_waitcnt lgkmcnt(0)
	v_sub_f32_e32 v14, v14, v11
	v_mul_f32_e32 v14, 0x3fb8aa3b, v14
	v_exp_f32_e32 v14, v14
	ds_write_b32 v12, v14
	v_add_f32_e32 v10, v10, v14
	v_add_u32_e32 v12, 0x200, v12
	s_andn2_b64 exec, exec, s[18:19]
	s_cbranch_execnz .LBB200_25
; %bb.26:
	s_or_b64 exec, exec, s[18:19]
.LBB200_27:
	s_or_b64 exec, exec, s[12:13]
	ds_bpermute_b32 v2, v2, v10
	s_waitcnt lgkmcnt(0)
	v_add_f32_e32 v2, v10, v2
	ds_bpermute_b32 v3, v3, v2
	s_waitcnt lgkmcnt(0)
	v_add_f32_e32 v2, v2, v3
	;; [unrolled: 3-line block ×6, first 2 shown]
	s_and_saveexec_b64 s[8:9], vcc
	s_cbranch_execz .LBB200_29
; %bb.28:
	ds_write_b32 v5, v2 offset:136
.LBB200_29:
	s_or_b64 exec, exec, s[8:9]
	s_waitcnt lgkmcnt(0)
	s_barrier
	s_and_saveexec_b64 s[8:9], s[0:1]
	s_cbranch_execz .LBB200_31
; %bb.30:
	ds_read_b32 v2, v6 offset:136
.LBB200_31:
	s_or_b64 exec, exec, s[8:9]
	s_waitcnt lgkmcnt(0)
	ds_bpermute_b32 v3, v34, v2
	s_waitcnt lgkmcnt(0)
	v_add_f32_e32 v2, v2, v3
	ds_bpermute_b32 v2, v7, v2
	s_and_saveexec_b64 s[0:1], s[6:7]
	s_cbranch_execz .LBB200_44
; %bb.32:
	s_waitcnt lgkmcnt(0)
	v_add_f32_e32 v2, 0x358637bd, v2
	v_div_scale_f32 v3, s[6:7], v2, v2, 1.0
	v_rcp_f32_e32 v4, v3
	v_div_scale_f32 v5, vcc, 1.0, v2, 1.0
	s_movk_i32 s6, 0x7f
	v_fma_f32 v6, -v3, v4, 1.0
	v_fmac_f32_e32 v4, v6, v4
	v_mul_f32_e32 v6, v5, v4
	v_fma_f32 v7, -v3, v6, v5
	v_fmac_f32_e32 v6, v7, v4
	v_fma_f32 v3, -v3, v6, v5
	v_div_fmas_f32 v3, v3, v4, v6
	v_xad_u32 v4, v0, -1, s37
	v_div_fixup_f32 v2, v3, v2, 1.0
	v_cmp_lt_u32_e32 vcc, s6, v4
	s_mov_b64 s[8:9], -1
	v_mov_b32_e32 v3, v0
	s_and_saveexec_b64 s[6:7], vcc
	s_cbranch_execz .LBB200_41
; %bb.33:
	v_lshrrev_b32_e32 v4, 7, v4
	v_add_u32_e32 v6, -1, v4
	v_lshrrev_b32_e32 v5, 1, v6
	v_mov_b32_e32 v3, v2
	v_add_u32_e32 v5, 1, v5
	v_cmp_lt_u32_e32 vcc, 13, v6
	v_mov_b32_e32 v10, 0
	s_and_saveexec_b64 s[8:9], vcc
	s_cbranch_execz .LBB200_37
; %bb.34:
	v_mov_b32_e32 v7, 0x90
	v_and_b32_e32 v6, -8, v5
	v_lshl_add_u32 v7, v0, 2, v7
	s_mov_b32 s18, 0
	s_mov_b64 s[12:13], 0
.LBB200_35:                             ; =>This Inner Loop Header: Depth=1
	ds_read2st64_b32 v[10:11], v7 offset1:2
	ds_read2st64_b32 v[12:13], v7 offset0:4 offset1:6
	ds_read2st64_b32 v[14:15], v7 offset0:8 offset1:10
	;; [unrolled: 1-line block ×3, first 2 shown]
	v_add_u32_e32 v6, -8, v6
	s_waitcnt lgkmcnt(3)
	v_pk_mul_f32 v[10:11], v[2:3], v[10:11]
	s_waitcnt lgkmcnt(2)
	v_pk_mul_f32 v[12:13], v[2:3], v[12:13]
	ds_write2st64_b32 v7, v10, v11 offset1:2
	ds_write2st64_b32 v7, v12, v13 offset0:4 offset1:6
	ds_read2st64_b32 v[12:13], v7 offset0:16 offset1:18
	s_waitcnt lgkmcnt(4)
	v_pk_mul_f32 v[10:11], v[2:3], v[14:15]
	ds_write2st64_b32 v7, v10, v11 offset0:8 offset1:10
	s_waitcnt lgkmcnt(4)
	v_pk_mul_f32 v[10:11], v[2:3], v[16:17]
	ds_write2st64_b32 v7, v10, v11 offset0:12 offset1:14
	ds_read2st64_b32 v[10:11], v7 offset0:20 offset1:22
	s_waitcnt lgkmcnt(3)
	v_pk_mul_f32 v[12:13], v[2:3], v[12:13]
	ds_read2st64_b32 v[14:15], v7 offset0:24 offset1:26
	ds_write2st64_b32 v7, v12, v13 offset0:16 offset1:18
	ds_read2st64_b32 v[12:13], v7 offset0:28 offset1:30
	s_waitcnt lgkmcnt(3)
	v_pk_mul_f32 v[10:11], v[2:3], v[10:11]
	ds_write2st64_b32 v7, v10, v11 offset0:20 offset1:22
	s_waitcnt lgkmcnt(3)
	v_pk_mul_f32 v[10:11], v[2:3], v[14:15]
	ds_write2st64_b32 v7, v10, v11 offset0:24 offset1:26
	s_waitcnt lgkmcnt(2)
	v_pk_mul_f32 v[10:11], v[2:3], v[12:13]
	s_add_i32 s18, s18, 16
	v_cmp_eq_u32_e32 vcc, 0, v6
	ds_write2st64_b32 v7, v10, v11 offset0:28 offset1:30
	v_add_u32_e32 v7, 0x2000, v7
	s_or_b64 s[12:13], vcc, s[12:13]
	v_mov_b32_e32 v10, s18
	s_andn2_b64 exec, exec, s[12:13]
	s_cbranch_execnz .LBB200_35
; %bb.36:
	s_or_b64 exec, exec, s[12:13]
.LBB200_37:
	s_or_b64 exec, exec, s[8:9]
	v_and_b32_e32 v5, 7, v5
	v_cmp_ne_u32_e32 vcc, 0, v5
	s_and_saveexec_b64 s[8:9], vcc
	s_cbranch_execz .LBB200_40
; %bb.38:
	v_lshlrev_b32_e32 v6, 9, v10
	s_movk_i32 s12, 0x90
	v_add3_u32 v6, v6, v8, s12
	s_mov_b64 s[12:13], 0
.LBB200_39:                             ; =>This Inner Loop Header: Depth=1
	ds_read2st64_b32 v[10:11], v6 offset1:2
	v_add_u32_e32 v5, -1, v5
	v_cmp_eq_u32_e32 vcc, 0, v5
	s_or_b64 s[12:13], vcc, s[12:13]
	s_waitcnt lgkmcnt(0)
	v_pk_mul_f32 v[10:11], v[2:3], v[10:11]
	ds_write2st64_b32 v6, v10, v11 offset1:2
	v_add_u32_e32 v6, 0x400, v6
	s_andn2_b64 exec, exec, s[12:13]
	s_cbranch_execnz .LBB200_39
.LBB200_40:
	s_or_b64 exec, exec, s[8:9]
	v_add_u32_e32 v4, 1, v4
	v_and_b32_e32 v5, 0x3fffffe, v4
	v_cmp_ne_u32_e32 vcc, v4, v5
	v_lshl_add_u32 v3, v5, 7, v0
	s_orn2_b64 s[8:9], vcc, exec
.LBB200_41:
	s_or_b64 exec, exec, s[6:7]
	s_and_b64 exec, exec, s[8:9]
	s_cbranch_execz .LBB200_44
; %bb.42:
	v_mov_b32_e32 v4, 0x90
	v_lshl_add_u32 v4, v3, 2, v4
	s_mov_b64 s[6:7], 0
.LBB200_43:                             ; =>This Inner Loop Header: Depth=1
	ds_read_b32 v5, v4
	v_add_u32_e32 v3, 0x80, v3
	v_cmp_le_i32_e32 vcc, s37, v3
	s_or_b64 s[6:7], vcc, s[6:7]
	s_waitcnt lgkmcnt(0)
	v_mul_f32_e32 v5, v2, v5
	ds_write_b32 v4, v5
	v_add_u32_e32 v4, 0x200, v4
	s_andn2_b64 exec, exec, s[6:7]
	s_cbranch_execnz .LBB200_43
.LBB200_44:
	s_or_b64 exec, exec, s[0:1]
	s_mov_b32 s0, 0
	v_mov_b32_e32 v5, 0
	v_and_b32_e32 v35, 7, v0
	v_mov_b32_e32 v4, 0
	v_mov_b32_e32 v3, 0
	s_waitcnt lgkmcnt(0)
	v_mov_b32_e32 v2, 0
	s_barrier
	s_and_saveexec_b64 s[6:7], s[2:3]
	s_cbranch_execz .LBB200_58
; %bb.45:
	s_sub_i32 s18, s16, s21
	s_ashr_i32 s1, s43, 31
	s_add_u32 s2, s34, s43
	s_addc_u32 s3, s35, s1
	s_abs_i32 s19, s22
	v_cvt_f32_u32_e32 v2, s19
	v_mov_b32_e32 v3, 0
	s_sub_i32 s1, 0, s19
	s_add_i32 s22, s20, -1
	v_rcp_iflag_f32_e32 v4, v2
	v_and_b32_e32 v2, 0xfc, v8
	v_lshl_add_u64 v[10:11], s[2:3], 0, v[2:3]
	s_lshl_b64 s[2:3], s[30:31], 2
	v_mul_f32_e32 v4, 0x4f7ffffe, v4
	v_cvt_u32_f32_e32 v4, v4
	s_add_u32 s2, s28, s2
	s_addc_u32 s3, s29, s3
	v_and_b32_e32 v36, 28, v8
	v_mul_lo_u32 v2, s1, v4
	v_mul_hi_u32 v2, v4, v2
	v_add_u32_e32 v37, v4, v2
	v_and_b32_e32 v2, 60, v9
	v_lshl_add_u64 v[12:13], s[2:3], 0, v[2:3]
	v_lshlrev_b32_e32 v2, 4, v35
	v_lshl_or_b32 v2, v1, 7, v2
	s_mov_b32 s2, s0
	s_mov_b32 s3, s0
	v_add_u32_e32 v38, 0x90, v2
	s_mov_b32 s1, s0
	v_mov_b64_e32 v[4:5], s[2:3]
	s_mov_b32 s21, s17
	s_mov_b64 s[8:9], 0
	v_mov_b64_e32 v[2:3], s[0:1]
	s_branch .LBB200_48
.LBB200_46:                             ;   in Loop: Header=BB200_48 Depth=1
	s_or_b64 exec, exec, s[0:1]
	v_mul_f32_e32 v17, v7, v17
	v_fmac_f32_e32 v17, v6, v16
	v_fmac_f32_e32 v17, v8, v14
	v_mul_f32_e32 v14, v7, v23
	v_fmac_f32_e32 v14, v6, v22
	v_fmac_f32_e32 v14, v8, v20
	;; [unrolled: 1-line block ×3, first 2 shown]
	v_add_f32_e32 v3, v3, v14
	v_mul_f32_e32 v14, v7, v27
	v_mul_f32_e32 v7, v7, v29
	v_fmac_f32_e32 v14, v6, v26
	v_fmac_f32_e32 v7, v6, v28
	;; [unrolled: 1-line block ×7, first 2 shown]
	v_add_f32_e32 v2, v2, v17
	v_add_f32_e32 v4, v4, v14
	;; [unrolled: 1-line block ×3, first 2 shown]
.LBB200_47:                             ;   in Loop: Header=BB200_48 Depth=1
	s_or_b64 exec, exec, s[2:3]
	v_add_u32_e32 v1, 2, v1
	v_cmp_le_i32_e32 vcc, s20, v1
	v_lshl_add_u64 v[12:13], v[12:13], 0, 8
	v_add_u32_e32 v30, 64, v30
	s_or_b64 s[8:9], vcc, s[8:9]
	v_add_u32_e32 v38, 0x100, v38
	s_andn2_b64 exec, exec, s[8:9]
	s_cbranch_execz .LBB200_57
.LBB200_48:                             ; =>This Inner Loop Header: Depth=1
	v_mul_hi_u32 v6, v30, s42
	v_mul_lo_u32 v7, v6, s25
	v_sub_u32_e32 v7, v30, v7
	v_add_u32_e32 v8, 1, v6
	v_cmp_le_u32_e32 vcc, s25, v7
	s_nop 1
	v_cndmask_b32_e32 v6, v6, v8, vcc
	v_subrev_u32_e32 v8, s25, v7
	v_cndmask_b32_e32 v7, v7, v8, vcc
	v_add_u32_e32 v8, 1, v6
	v_cmp_le_u32_e32 vcc, s25, v7
	s_nop 1
	v_cndmask_b32_e32 v6, v6, v8, vcc
	v_xor_b32_e32 v6, s23, v6
	v_subrev_u32_e32 v6, s23, v6
	v_add_u32_e32 v7, s36, v6
	v_sub_u32_e32 v9, 0, v7
	v_ashrrev_i32_e32 v8, 31, v7
	v_max_i32_e32 v7, v7, v9
	v_mul_hi_u32 v9, v7, v37
	v_mul_lo_u32 v9, v9, s19
	v_sub_u32_e32 v7, v7, v9
	v_subrev_u32_e32 v9, s19, v7
	v_cmp_le_u32_e32 vcc, s19, v7
	v_cmp_lt_i32_e64 s[0:1], s18, v6
	s_nop 0
	v_cndmask_b32_e32 v7, v7, v9, vcc
	v_subrev_u32_e32 v9, s19, v7
	v_cmp_le_u32_e32 vcc, s19, v7
	s_nop 1
	v_cndmask_b32_e32 v7, v7, v9, vcc
	v_xor_b32_e32 v7, v7, v8
	v_sub_u32_e32 v7, v7, v8
	v_cmp_eq_u32_e32 vcc, 0, v7
	s_or_b64 s[0:1], vcc, s[0:1]
	s_and_saveexec_b64 s[2:3], s[0:1]
	s_cbranch_execz .LBB200_47
; %bb.49:                               ;   in Loop: Header=BB200_48 Depth=1
	global_load_dword v6, v[12:13], off
	s_load_dword s12, s[14:15], 0x0
	v_add_u32_e32 v39, v36, v30
	v_cmp_eq_u32_e32 vcc, s22, v1
	v_add_u32_e32 v41, 1, v39
	v_add_u32_e32 v40, 2, v39
	;; [unrolled: 1-line block ×3, first 2 shown]
	s_waitcnt vmcnt(0)
	v_mad_i64_i32 v[18:19], s[0:1], v6, s21, v[10:11]
	global_load_dword v14, v[18:19], off
	ds_read_b128 v[6:9], v38
	s_waitcnt vmcnt(0)
	v_and_b32_e32 v15, 0xffff, v14
	v_lshrrev_b32_e32 v16, 16, v14
	v_cvt_pk_f32_fp8_e32 v[14:15], v15
	v_cvt_pk_f32_fp8_e32 v[20:21], v16
	s_waitcnt lgkmcnt(0)
	v_pk_mul_f32 v[16:17], s[12:13], v[14:15] op_sel_hi:[0,1]
	v_pk_mul_f32 v[14:15], s[12:13], v[20:21] op_sel_hi:[0,1]
	s_and_saveexec_b64 s[16:17], vcc
; %bb.50:                               ;   in Loop: Header=BB200_48 Depth=1
	v_cmp_gt_i32_e64 s[0:1], s33, v39
	s_nop 1
	v_cndmask_b32_e64 v16, 0, v16, s[0:1]
	v_cmp_gt_i32_e64 s[0:1], s33, v41
	s_nop 1
	v_cndmask_b32_e64 v17, 0, v17, s[0:1]
	;; [unrolled: 3-line block ×4, first 2 shown]
; %bb.51:                               ;   in Loop: Header=BB200_48 Depth=1
	s_or_b64 exec, exec, s[16:17]
	global_load_dword v20, v[18:19], off offset:256
	s_mov_b32 s13, s12
	s_waitcnt vmcnt(0)
	v_and_b32_e32 v21, 0xffff, v20
	v_lshrrev_b32_e32 v22, 16, v20
	v_cvt_pk_f32_fp8_e32 v[20:21], v21
	v_cvt_pk_f32_fp8_e32 v[24:25], v22
	v_pk_mul_f32 v[22:23], s[12:13], v[20:21]
	v_pk_mul_f32 v[20:21], s[12:13], v[24:25]
	s_and_saveexec_b64 s[16:17], vcc
; %bb.52:                               ;   in Loop: Header=BB200_48 Depth=1
	v_cmp_gt_i32_e64 s[0:1], s33, v39
	s_nop 1
	v_cndmask_b32_e64 v22, 0, v22, s[0:1]
	v_cmp_gt_i32_e64 s[0:1], s33, v41
	s_nop 1
	v_cndmask_b32_e64 v23, 0, v23, s[0:1]
	;; [unrolled: 3-line block ×4, first 2 shown]
; %bb.53:                               ;   in Loop: Header=BB200_48 Depth=1
	s_or_b64 exec, exec, s[16:17]
	global_load_dword v24, v[18:19], off offset:512
	s_waitcnt vmcnt(0)
	v_and_b32_e32 v25, 0xffff, v24
	v_lshrrev_b32_e32 v26, 16, v24
	v_cvt_pk_f32_fp8_e32 v[24:25], v25
	v_cvt_pk_f32_fp8_e32 v[28:29], v26
	v_pk_mul_f32 v[26:27], s[12:13], v[24:25]
	v_pk_mul_f32 v[24:25], s[12:13], v[28:29]
	s_and_saveexec_b64 s[16:17], vcc
; %bb.54:                               ;   in Loop: Header=BB200_48 Depth=1
	v_cmp_gt_i32_e64 s[0:1], s33, v39
	s_nop 1
	v_cndmask_b32_e64 v26, 0, v26, s[0:1]
	v_cmp_gt_i32_e64 s[0:1], s33, v41
	s_nop 1
	v_cndmask_b32_e64 v27, 0, v27, s[0:1]
	;; [unrolled: 3-line block ×4, first 2 shown]
; %bb.55:                               ;   in Loop: Header=BB200_48 Depth=1
	s_or_b64 exec, exec, s[16:17]
	global_load_dword v18, v[18:19], off offset:768
	s_waitcnt vmcnt(0)
	v_and_b32_e32 v19, 0xffff, v18
	v_lshrrev_b32_e32 v28, 16, v18
	v_cvt_pk_f32_fp8_e32 v[18:19], v19
	v_cvt_pk_f32_fp8_e32 v[44:45], v28
	v_pk_mul_f32 v[28:29], s[12:13], v[18:19]
	v_pk_mul_f32 v[18:19], s[12:13], v[44:45]
	s_and_saveexec_b64 s[0:1], vcc
	s_cbranch_execz .LBB200_46
; %bb.56:                               ;   in Loop: Header=BB200_48 Depth=1
	v_cmp_gt_i32_e32 vcc, s33, v39
	s_nop 1
	v_cndmask_b32_e32 v28, 0, v28, vcc
	v_cmp_gt_i32_e32 vcc, s33, v41
	s_nop 1
	v_cndmask_b32_e32 v29, 0, v29, vcc
	;; [unrolled: 3-line block ×4, first 2 shown]
	s_branch .LBB200_46
.LBB200_57:
	s_or_b64 exec, exec, s[8:9]
.LBB200_58:
	s_or_b64 exec, exec, s[6:7]
	ds_bpermute_b32 v6, v33, v2
	ds_bpermute_b32 v7, v33, v3
	;; [unrolled: 1-line block ×4, first 2 shown]
	v_and_b32_e32 v1, 0x3c7, v0
	v_cmp_eq_u32_e32 vcc, 64, v1
	s_waitcnt lgkmcnt(2)
	v_pk_add_f32 v[2:3], v[2:3], v[6:7]
	ds_bpermute_b32 v6, v32, v2
	s_waitcnt lgkmcnt(1)
	v_pk_add_f32 v[4:5], v[4:5], v[8:9]
	ds_bpermute_b32 v7, v32, v3
	ds_bpermute_b32 v8, v32, v4
	ds_bpermute_b32 v9, v32, v5
	s_waitcnt lgkmcnt(0)
	s_barrier
	v_pk_add_f32 v[2:3], v[2:3], v[6:7]
	ds_bpermute_b32 v6, v34, v2
	v_pk_add_f32 v[4:5], v[4:5], v[8:9]
	ds_bpermute_b32 v7, v34, v3
	ds_bpermute_b32 v8, v34, v4
	;; [unrolled: 1-line block ×3, first 2 shown]
	s_waitcnt lgkmcnt(0)
	v_pk_add_f32 v[2:3], v[2:3], v[6:7]
	v_pk_add_f32 v[4:5], v[4:5], v[8:9]
	s_and_saveexec_b64 s[0:1], vcc
	s_cbranch_execz .LBB200_60
; %bb.59:
	v_lshrrev_b32_e32 v6, 1, v31
	v_add_u32_e32 v6, 0x90, v6
	ds_write2_b32 v6, v2, v3 offset1:8
	ds_write2_b32 v6, v4, v5 offset0:16 offset1:24
.LBB200_60:
	s_or_b64 exec, exec, s[0:1]
	v_cmp_gt_u32_e32 vcc, 64, v0
	s_waitcnt lgkmcnt(0)
	s_barrier
	s_and_saveexec_b64 s[0:1], vcc
	s_cbranch_execz .LBB200_67
; %bb.61:
	v_cmp_eq_u32_e32 vcc, 0, v35
	v_lshrrev_b32_e32 v6, 3, v0
	s_and_saveexec_b64 s[2:3], vcc
	s_cbranch_execnz .LBB200_70
; %bb.62:
	s_or_b64 exec, exec, s[2:3]
	s_and_saveexec_b64 s[2:3], vcc
	s_cbranch_execnz .LBB200_71
.LBB200_63:
	s_or_b64 exec, exec, s[2:3]
	s_and_saveexec_b64 s[2:3], vcc
	s_cbranch_execnz .LBB200_72
.LBB200_64:
	s_or_b64 exec, exec, s[2:3]
	s_and_saveexec_b64 s[2:3], vcc
	s_cbranch_execz .LBB200_66
.LBB200_65:
	v_mov_b32_e32 v7, 0x90
	v_lshl_add_u32 v6, v6, 2, v7
	ds_read_b32 v6, v6 offset:96
	s_waitcnt lgkmcnt(0)
	v_add_f32_e32 v5, v5, v6
.LBB200_66:
	s_or_b64 exec, exec, s[2:3]
.LBB200_67:
	s_or_b64 exec, exec, s[0:1]
	v_cmp_eq_u32_e32 vcc, 0, v1
	s_barrier
	s_and_saveexec_b64 s[0:1], vcc
	s_cbranch_execz .LBB200_69
; %bb.68:
	s_mul_i32 s0, s10, s11
	s_mul_i32 s0, s0, s5
	s_lshl_b32 s0, s0, 5
	s_ashr_i32 s1, s0, 31
	s_lshl_b64 s[0:1], s[0:1], 2
	s_add_u32 s2, s26, s0
	s_mul_i32 s0, s11, s24
	s_addc_u32 s3, s27, s1
	s_ashr_i32 s1, s0, 31
	s_lshl_b64 s[0:1], s[0:1], 2
	s_add_u32 s2, s2, s0
	s_addc_u32 s3, s3, s1
	s_lshl_b32 s0, s4, 5
	s_ashr_i32 s1, s0, 31
	s_lshl_b64 s[0:1], s[0:1], 2
	s_add_u32 s0, s2, s0
	s_addc_u32 s1, s3, s1
	v_lshrrev_b32_e32 v0, 1, v0
	global_store_dword v0, v2, s[0:1]
	global_store_dword v0, v3, s[0:1] offset:32
	global_store_dword v0, v4, s[0:1] offset:64
	;; [unrolled: 1-line block ×3, first 2 shown]
.LBB200_69:
	s_endpgm
.LBB200_70:
	v_mov_b32_e32 v7, 0x90
	v_lshl_add_u32 v7, v6, 2, v7
	ds_read_b32 v7, v7
	s_waitcnt lgkmcnt(0)
	v_add_f32_e32 v2, v2, v7
	s_or_b64 exec, exec, s[2:3]
	s_and_saveexec_b64 s[2:3], vcc
	s_cbranch_execz .LBB200_63
.LBB200_71:
	v_mov_b32_e32 v7, 0x90
	v_lshl_add_u32 v7, v6, 2, v7
	ds_read_b32 v7, v7 offset:32
	s_waitcnt lgkmcnt(0)
	v_add_f32_e32 v3, v3, v7
	s_or_b64 exec, exec, s[2:3]
	s_and_saveexec_b64 s[2:3], vcc
	s_cbranch_execz .LBB200_64
.LBB200_72:
	v_mov_b32_e32 v7, 0x90
	v_lshl_add_u32 v7, v6, 2, v7
	ds_read_b32 v7, v7 offset:64
	s_waitcnt lgkmcnt(0)
	v_add_f32_e32 v4, v4, v7
	s_or_b64 exec, exec, s[2:3]
	s_and_saveexec_b64 s[2:3], vcc
	s_cbranch_execnz .LBB200_65
	s_branch .LBB200_66
	.section	.rodata,"a",@progbits
	.p2align	6, 0x0
	.amdhsa_kernel _ZN4vllm25paged_attention_v1_kernelIfhLi32ELi32ELi128ELNS_18Fp8KVCacheDataTypeE1ELb1EEEvPT_PKS2_PKT0_S8_ifPKiSA_iPKfiiiSC_SC_iiiii
		.amdhsa_group_segment_fixed_size 144
		.amdhsa_private_segment_fixed_size 0
		.amdhsa_kernarg_size 384
		.amdhsa_user_sgpr_count 2
		.amdhsa_user_sgpr_dispatch_ptr 0
		.amdhsa_user_sgpr_queue_ptr 0
		.amdhsa_user_sgpr_kernarg_segment_ptr 1
		.amdhsa_user_sgpr_dispatch_id 0
		.amdhsa_user_sgpr_kernarg_preload_length 0
		.amdhsa_user_sgpr_kernarg_preload_offset 0
		.amdhsa_user_sgpr_private_segment_size 0
		.amdhsa_uses_dynamic_stack 0
		.amdhsa_enable_private_segment 0
		.amdhsa_system_sgpr_workgroup_id_x 1
		.amdhsa_system_sgpr_workgroup_id_y 1
		.amdhsa_system_sgpr_workgroup_id_z 1
		.amdhsa_system_sgpr_workgroup_info 0
		.amdhsa_system_vgpr_workitem_id 0
		.amdhsa_next_free_vgpr 59
		.amdhsa_next_free_sgpr 48
		.amdhsa_accum_offset 60
		.amdhsa_reserve_vcc 1
		.amdhsa_float_round_mode_32 0
		.amdhsa_float_round_mode_16_64 0
		.amdhsa_float_denorm_mode_32 3
		.amdhsa_float_denorm_mode_16_64 3
		.amdhsa_dx10_clamp 1
		.amdhsa_ieee_mode 1
		.amdhsa_fp16_overflow 0
		.amdhsa_tg_split 0
		.amdhsa_exception_fp_ieee_invalid_op 0
		.amdhsa_exception_fp_denorm_src 0
		.amdhsa_exception_fp_ieee_div_zero 0
		.amdhsa_exception_fp_ieee_overflow 0
		.amdhsa_exception_fp_ieee_underflow 0
		.amdhsa_exception_fp_ieee_inexact 0
		.amdhsa_exception_int_div_zero 0
	.end_amdhsa_kernel
	.section	.text._ZN4vllm25paged_attention_v1_kernelIfhLi32ELi32ELi128ELNS_18Fp8KVCacheDataTypeE1ELb1EEEvPT_PKS2_PKT0_S8_ifPKiSA_iPKfiiiSC_SC_iiiii,"axG",@progbits,_ZN4vllm25paged_attention_v1_kernelIfhLi32ELi32ELi128ELNS_18Fp8KVCacheDataTypeE1ELb1EEEvPT_PKS2_PKT0_S8_ifPKiSA_iPKfiiiSC_SC_iiiii,comdat
.Lfunc_end200:
	.size	_ZN4vllm25paged_attention_v1_kernelIfhLi32ELi32ELi128ELNS_18Fp8KVCacheDataTypeE1ELb1EEEvPT_PKS2_PKT0_S8_ifPKiSA_iPKfiiiSC_SC_iiiii, .Lfunc_end200-_ZN4vllm25paged_attention_v1_kernelIfhLi32ELi32ELi128ELNS_18Fp8KVCacheDataTypeE1ELb1EEEvPT_PKS2_PKT0_S8_ifPKiSA_iPKfiiiSC_SC_iiiii
                                        ; -- End function
	.section	.AMDGPU.csdata,"",@progbits
; Kernel info:
; codeLenInByte = 4792
; NumSgprs: 54
; NumVgprs: 59
; NumAgprs: 0
; TotalNumVgprs: 59
; ScratchSize: 0
; MemoryBound: 0
; FloatMode: 240
; IeeeMode: 1
; LDSByteSize: 144 bytes/workgroup (compile time only)
; SGPRBlocks: 6
; VGPRBlocks: 7
; NumSGPRsForWavesPerEU: 54
; NumVGPRsForWavesPerEU: 59
; AccumOffset: 60
; Occupancy: 8
; WaveLimiterHint : 1
; COMPUTE_PGM_RSRC2:SCRATCH_EN: 0
; COMPUTE_PGM_RSRC2:USER_SGPR: 2
; COMPUTE_PGM_RSRC2:TRAP_HANDLER: 0
; COMPUTE_PGM_RSRC2:TGID_X_EN: 1
; COMPUTE_PGM_RSRC2:TGID_Y_EN: 1
; COMPUTE_PGM_RSRC2:TGID_Z_EN: 1
; COMPUTE_PGM_RSRC2:TIDIG_COMP_CNT: 0
; COMPUTE_PGM_RSRC3_GFX90A:ACCUM_OFFSET: 14
; COMPUTE_PGM_RSRC3_GFX90A:TG_SPLIT: 0
	.section	.text._ZN4vllm25paged_attention_v1_kernelIfhLi64ELi32ELi128ELNS_18Fp8KVCacheDataTypeE1ELb1EEEvPT_PKS2_PKT0_S8_ifPKiSA_iPKfiiiSC_SC_iiiii,"axG",@progbits,_ZN4vllm25paged_attention_v1_kernelIfhLi64ELi32ELi128ELNS_18Fp8KVCacheDataTypeE1ELb1EEEvPT_PKS2_PKT0_S8_ifPKiSA_iPKfiiiSC_SC_iiiii,comdat
	.protected	_ZN4vllm25paged_attention_v1_kernelIfhLi64ELi32ELi128ELNS_18Fp8KVCacheDataTypeE1ELb1EEEvPT_PKS2_PKT0_S8_ifPKiSA_iPKfiiiSC_SC_iiiii ; -- Begin function _ZN4vllm25paged_attention_v1_kernelIfhLi64ELi32ELi128ELNS_18Fp8KVCacheDataTypeE1ELb1EEEvPT_PKS2_PKT0_S8_ifPKiSA_iPKfiiiSC_SC_iiiii
	.globl	_ZN4vllm25paged_attention_v1_kernelIfhLi64ELi32ELi128ELNS_18Fp8KVCacheDataTypeE1ELb1EEEvPT_PKS2_PKT0_S8_ifPKiSA_iPKfiiiSC_SC_iiiii
	.p2align	8
	.type	_ZN4vllm25paged_attention_v1_kernelIfhLi64ELi32ELi128ELNS_18Fp8KVCacheDataTypeE1ELb1EEEvPT_PKS2_PKT0_S8_ifPKiSA_iPKfiiiSC_SC_iiiii,@function
_ZN4vllm25paged_attention_v1_kernelIfhLi64ELi32ELi128ELNS_18Fp8KVCacheDataTypeE1ELb1EEEvPT_PKS2_PKT0_S8_ifPKiSA_iPKfiiiSC_SC_iiiii: ; @_ZN4vllm25paged_attention_v1_kernelIfhLi64ELi32ELi128ELNS_18Fp8KVCacheDataTypeE1ELb1EEEvPT_PKS2_PKT0_S8_ifPKiSA_iPKfiiiSC_SC_iiiii
; %bb.0:
	s_load_dword s5, s[0:1], 0x80
	s_load_dwordx2 s[6:7], s[0:1], 0x30
	s_load_dwordx2 s[36:37], s[0:1], 0x20
	s_mov_b32 s24, s3
	s_ashr_i32 s25, s3, 31
	s_lshl_b64 s[8:9], s[24:25], 2
	s_waitcnt lgkmcnt(0)
	s_add_u32 s6, s6, s8
	s_addc_u32 s7, s7, s9
	s_abs_i32 s3, s36
	v_cvt_f32_u32_e32 v1, s3
	s_sub_i32 s10, 0, s3
	s_abs_i32 s9, s5
	s_xor_b32 s8, s5, s36
	v_rcp_iflag_f32_e32 v1, v1
	s_ashr_i32 s8, s8, 31
	s_mov_b32 s44, 0
	v_mul_f32_e32 v1, 0x4f7ffffe, v1
	v_cvt_u32_f32_e32 v1, v1
	s_nop 0
	v_readfirstlane_b32 s11, v1
	s_mul_i32 s10, s10, s11
	s_mul_hi_u32 s10, s11, s10
	s_add_i32 s11, s11, s10
	s_mul_hi_u32 s10, s9, s11
	s_mul_i32 s11, s10, s3
	s_sub_i32 s9, s9, s11
	s_add_i32 s11, s10, 1
	s_sub_i32 s12, s9, s3
	s_cmp_ge_u32 s9, s3
	s_cselect_b32 s10, s11, s10
	s_cselect_b32 s9, s12, s9
	s_add_i32 s11, s10, 1
	s_cmp_ge_u32 s9, s3
	s_cselect_b32 s3, s11, s10
	s_xor_b32 s3, s3, s8
	s_sub_i32 s12, s3, s8
	s_abs_i32 s10, s12
	v_cvt_f32_u32_e32 v1, s10
	s_load_dwordx2 s[8:9], s[0:1], 0x40
	s_sub_i32 s3, 0, s10
	s_abs_i32 s11, s2
	v_rcp_iflag_f32_e32 v1, v1
	s_nop 0
	v_mul_f32_e32 v1, 0x4f7ffffe, v1
	v_cvt_u32_f32_e32 v1, v1
	s_nop 0
	v_readfirstlane_b32 s13, v1
	s_mul_i32 s3, s3, s13
	s_mul_hi_u32 s3, s13, s3
	s_add_i32 s13, s13, s3
	s_waitcnt lgkmcnt(0)
	s_cmp_eq_u64 s[8:9], 0
	s_mul_hi_u32 s16, s11, s13
	s_cbranch_scc1 .LBB201_2
; %bb.1:
	s_ashr_i32 s3, s2, 31
	s_lshl_b64 s[14:15], s[2:3], 2
	s_add_u32 s8, s8, s14
	s_addc_u32 s9, s9, s15
	s_load_dword s44, s[8:9], 0x0
.LBB201_2:
	s_load_dword s25, s[6:7], 0x0
	s_ashr_i32 s9, s12, 31
	s_load_dwordx4 s[12:15], s[0:1], 0x48
	s_ashr_i32 s8, s2, 31
	v_and_b32_e32 v6, 1, v0
	s_lshl_b32 s26, s2, 6
	v_cmp_gt_u32_e32 vcc, 32, v0
	v_lshlrev_b32_e32 v10, 2, v0
	s_and_saveexec_b64 s[6:7], vcc
	s_cbranch_execz .LBB201_4
; %bb.3:
	s_load_dwordx2 s[18:19], s[0:1], 0x8
	s_waitcnt lgkmcnt(0)
	s_mul_i32 s20, s24, s12
	s_ashr_i32 s21, s20, 31
	s_lshl_b64 s[20:21], s[20:21], 2
	v_lshlrev_b32_e32 v1, 3, v0
	s_add_u32 s3, s18, s20
	s_addc_u32 s12, s19, s21
	s_ashr_i32 s27, s26, 31
	s_lshl_b64 s[18:19], s[26:27], 2
	s_add_u32 s18, s3, s18
	s_addc_u32 s19, s12, s19
	global_load_dwordx2 v[2:3], v1, s[18:19]
	v_and_b32_e32 v1, 0xff8, v10
	v_lshl_add_u32 v1, v6, 7, v1
	s_waitcnt vmcnt(0)
	ds_write_b64 v1, v[2:3]
.LBB201_4:
	s_or_b64 exec, exec, s[6:7]
	s_mul_i32 s7, s16, s10
	s_sub_i32 s7, s11, s7
	s_xor_b32 s6, s8, s9
	s_add_i32 s8, s16, 1
	s_sub_i32 s9, s7, s10
	s_load_dwordx4 s[20:23], s[0:1], 0x68
	s_load_dword s3, s[0:1], 0x78
	s_cmp_ge_u32 s7, s10
	s_cselect_b32 s8, s8, s16
	s_cselect_b32 s7, s9, s7
	s_add_i32 s9, s8, 1
	s_cmp_ge_u32 s7, s10
	s_cselect_b32 s7, s9, s8
	s_waitcnt lgkmcnt(0)
	s_abs_i32 s27, s23
	v_cvt_f32_u32_e32 v1, s27
	s_xor_b32 s7, s7, s6
	s_sub_i32 s43, s7, s6
	s_sub_i32 s6, 0, s27
	v_rcp_iflag_f32_e32 v1, v1
	s_add_i32 s12, s25, -1
	s_abs_i32 s8, s12
	v_mul_f32_e32 v1, 0x4f7ffffe, v1
	v_cvt_u32_f32_e32 v1, v1
	s_barrier
	v_readfirstlane_b32 s33, v1
	s_mul_i32 s6, s6, s33
	s_mul_hi_u32 s6, s33, s6
	s_add_i32 s33, s33, s6
	s_cmp_lt_i32 s3, 0
	s_mul_hi_u32 s9, s8, s33
	s_cbranch_scc0 .LBB201_6
; %bb.5:
	s_mul_i32 s6, s20, s36
	s_add_i32 s6, s43, s6
	s_mul_i32 s6, s6, s3
	s_sub_i32 s36, 1, s6
	s_mov_b64 s[6:7], 0
	s_branch .LBB201_7
.LBB201_6:
	s_mov_b64 s[6:7], -1
                                        ; implicit-def: $sgpr36
.LBB201_7:
	s_load_dwordx2 s[10:11], s[0:1], 0x28
	s_ashr_i32 s12, s12, 31
	s_andn2_b64 vcc, exec, s[6:7]
	s_ashr_i32 s23, s23, 31
	s_cbranch_vccnz .LBB201_9
; %bb.8:
	s_mul_i32 s6, s5, s20
	s_add_i32 s2, s6, s2
	s_mul_i32 s2, s2, s3
	s_add_i32 s36, s2, 1
.LBB201_9:
	s_load_dword s2, s[0:1], 0x38
	s_load_dwordx2 s[28:29], s[0:1], 0x0
	s_load_dwordx2 s[34:35], s[0:1], 0x18
	s_load_dword s20, s[0:1], 0x88
	s_load_dwordx4 s[16:19], s[0:1], 0x58
	s_mul_i32 s3, s9, s27
	s_waitcnt lgkmcnt(0)
	s_mul_i32 s30, s24, s2
	s_sub_i32 s3, s8, s3
	s_ashr_i32 s31, s30, 31
	s_xor_b32 s2, s12, s23
	s_add_i32 s6, s9, 1
	s_sub_i32 s7, s3, s27
	s_cmp_ge_u32 s3, s27
	s_cselect_b32 s6, s6, s9
	s_cselect_b32 s3, s7, s3
	s_add_i32 s7, s6, 1
	s_cmp_ge_u32 s3, s27
	s_cselect_b32 s3, s7, s6
	s_xor_b32 s3, s3, s2
	s_sub_i32 s12, s3, s2
	s_add_i32 s2, s25, 31
	s_ashr_i32 s3, s2, 31
	s_lshr_b32 s3, s3, 27
	s_add_i32 s2, s2, s3
	s_ashr_i32 s42, s2, 5
	v_lshrrev_b32_e32 v1, 6, v0
	v_cmp_gt_i32_e64 s[6:7], s42, v1
	v_mov_b32_e32 v13, 0xff7fffff
	s_mul_i32 s43, s43, s14
	v_lshrrev_b32_e32 v11, 4, v0
	v_lshlrev_b32_e32 v50, 5, v1
	v_mbcnt_lo_u32_b32 v8, -1, 0
	s_and_saveexec_b64 s[14:15], s[6:7]
	s_cbranch_execz .LBB201_19
; %bb.10:
	s_load_dwordx2 s[0:1], s[0:1], 0x10
	s_sub_i32 s45, s12, s21
	s_ashr_i32 s2, s43, 31
	v_bfe_u32 v9, v0, 1, 5
	v_mov_b32_e32 v3, 0
	s_waitcnt lgkmcnt(0)
	s_add_u32 s0, s0, s43
	s_addc_u32 s1, s1, s2
	s_abs_i32 s46, s22
	v_cvt_f32_u32_e32 v2, s46
	v_lshlrev_b32_e32 v13, 2, v9
	v_cmp_eq_u32_e32 vcc, 0, v6
	v_lshlrev_b32_e32 v12, 7, v6
	v_rcp_iflag_f32_e32 v4, v2
	v_lshlrev_b32_e32 v2, 4, v9
	v_lshl_or_b32 v13, v1, 7, v13
	v_add_u32_e32 v16, 0x110, v13
	v_mul_f32_e32 v4, 0x4f7ffffe, v4
	v_cvt_u32_f32_e32 v7, v4
	v_lshl_add_u64 v[4:5], s[0:1], 0, v[2:3]
	s_sub_i32 s0, 0, s46
	v_lshlrev_b32_e32 v2, 1, v6
	v_mul_lo_u32 v6, s0, v7
	s_lshl_b64 s[0:1], s[30:31], 2
	v_mul_hi_u32 v6, v7, v6
	s_add_u32 s0, s10, s0
	v_subrev_u32_e32 v13, s25, v9
	v_mbcnt_hi_u32_b32 v19, -1, v8
	v_add_u32_e32 v14, v7, v6
	v_and_b32_e32 v6, 60, v11
	v_mov_b32_e32 v7, v3
	s_addc_u32 s1, s11, s1
	v_add_u32_e32 v17, 1, v13
	v_and_b32_e32 v13, 64, v19
	s_mov_b32 s47, s13
	v_cmp_neq_f32_e64 s[2:3], s44, 0
	v_lshl_add_u64 v[6:7], s[0:1], 0, v[6:7]
	v_lshlrev_b32_e32 v15, 5, v1
	s_mov_b64 s[38:39], 0
	v_mov_b32_e32 v18, 0xff7fffff
	v_xor_b32_e32 v20, 1, v19
	v_add_u32_e32 v21, 64, v13
	v_mov_b32_e32 v13, 0xff7fffff
	v_mov_b32_e32 v22, v1
	s_branch .LBB201_13
.LBB201_11:                             ;   in Loop: Header=BB201_13 Depth=1
	s_or_b64 exec, exec, s[40:41]
.LBB201_12:                             ;   in Loop: Header=BB201_13 Depth=1
	s_or_b64 exec, exec, s[8:9]
	v_add_u32_e32 v22, 2, v22
	v_cmp_le_i32_e64 s[0:1], s42, v22
	v_lshl_add_u64 v[6:7], v[6:7], 0, 8
	v_add_u32_e32 v15, 64, v15
	s_or_b64 s[38:39], s[0:1], s[38:39]
	v_add_u32_e32 v16, 0x100, v16
	s_andn2_b64 exec, exec, s[38:39]
	s_cbranch_execz .LBB201_18
.LBB201_13:                             ; =>This Inner Loop Header: Depth=1
	v_mul_hi_u32 v23, v15, s33
	s_waitcnt lgkmcnt(0)
	v_mul_lo_u32 v24, v23, s27
	v_sub_u32_e32 v24, v15, v24
	v_add_u32_e32 v25, 1, v23
	v_cmp_le_u32_e64 s[0:1], s27, v24
	s_nop 1
	v_cndmask_b32_e64 v23, v23, v25, s[0:1]
	v_subrev_u32_e32 v25, s27, v24
	v_cndmask_b32_e64 v24, v24, v25, s[0:1]
	v_add_u32_e32 v25, 1, v23
	v_cmp_le_u32_e64 s[0:1], s27, v24
	s_nop 1
	v_cndmask_b32_e64 v23, v23, v25, s[0:1]
	v_xor_b32_e32 v23, s23, v23
	v_subrev_u32_e32 v23, s23, v23
	v_add_u32_e32 v24, s36, v23
	v_sub_u32_e32 v26, 0, v24
	v_ashrrev_i32_e32 v25, 31, v24
	v_max_i32_e32 v24, v24, v26
	v_mul_hi_u32 v26, v24, v14
	v_mul_lo_u32 v26, v26, s46
	v_sub_u32_e32 v24, v24, v26
	v_subrev_u32_e32 v26, s46, v24
	v_cmp_le_u32_e64 s[0:1], s46, v24
	v_cmp_ge_i32_e64 s[8:9], s45, v23
	s_nop 0
	v_cndmask_b32_e64 v24, v24, v26, s[0:1]
	v_subrev_u32_e32 v26, s46, v24
	v_cmp_le_u32_e64 s[0:1], s46, v24
	s_nop 1
	v_cndmask_b32_e64 v24, v24, v26, s[0:1]
	v_xor_b32_e32 v24, v24, v25
	v_sub_u32_e32 v24, v24, v25
	v_cmp_ne_u32_e64 s[0:1], 0, v24
	s_and_b64 s[0:1], s[0:1], s[8:9]
	s_and_b64 s[40:41], vcc, s[0:1]
	s_and_saveexec_b64 s[8:9], s[40:41]
	s_cbranch_execz .LBB201_15
; %bb.14:                               ;   in Loop: Header=BB201_13 Depth=1
	ds_write_b32 v16, v18
.LBB201_15:                             ;   in Loop: Header=BB201_13 Depth=1
	s_or_b64 exec, exec, s[8:9]
	s_xor_b64 s[0:1], s[0:1], -1
	s_and_saveexec_b64 s[8:9], s[0:1]
	s_cbranch_execz .LBB201_12
; %bb.16:                               ;   in Loop: Header=BB201_13 Depth=1
	global_load_dword v23, v[6:7], off
	s_waitcnt vmcnt(0)
	v_mad_i64_i32 v[24:25], s[0:1], v23, s47, v[4:5]
	v_lshl_add_u64 v[24:25], v[24:25], 0, v[2:3]
	global_load_ushort v23, v[24:25], off offset:8
	global_load_ushort v51, v[24:25], off offset:12
	;; [unrolled: 1-line block ×7, first 2 shown]
	global_load_ushort v60, v[24:25], off
	global_load_ushort v74, v[24:25], off offset:1024
	global_load_ushort v76, v[24:25], off offset:1028
	;; [unrolled: 1-line block ×8, first 2 shown]
	v_cmp_lt_i32_e64 s[0:1], v20, v21
	ds_read_b128 v[24:27], v12
	ds_read_b128 v[28:31], v12 offset:16
	ds_read_b128 v[32:35], v12 offset:32
	;; [unrolled: 1-line block ×3, first 2 shown]
	s_load_dword s40, s[16:17], 0x0
	v_cndmask_b32_e64 v49, v19, v20, s[0:1]
	v_lshlrev_b32_e32 v90, 2, v49
	ds_read_b128 v[40:43], v12 offset:64
	ds_read_b128 v[44:47], v12 offset:80
	;; [unrolled: 1-line block ×4, first 2 shown]
	s_waitcnt vmcnt(15)
	v_cvt_pk_f32_fp8_e32 v[62:63], v23
	s_waitcnt vmcnt(14)
	v_cvt_pk_f32_fp8_e32 v[64:65], v51
	;; [unrolled: 2-line block ×5, first 2 shown]
	s_waitcnt lgkmcnt(0)
	v_pk_mul_f32 v[62:63], s[40:41], v[62:63] op_sel_hi:[0,1]
	s_waitcnt vmcnt(9)
	v_cvt_pk_f32_fp8_e32 v[48:49], v48
	s_waitcnt vmcnt(8)
	v_cvt_pk_f32_fp8_e32 v[60:61], v60
	v_cvt_pk_f32_fp8_e32 v[72:73], v72
	v_pk_mul_f32 v[64:65], s[40:41], v[64:65] op_sel_hi:[0,1]
	v_pk_mul_f32 v[48:49], s[40:41], v[48:49] op_sel_hi:[0,1]
	;; [unrolled: 1-line block ×3, first 2 shown]
	v_mul_f32_e32 v23, v26, v48
	v_mul_f32_e32 v26, v27, v49
	v_fmac_f32_e32 v23, v24, v60
	v_fmac_f32_e32 v26, v25, v61
	;; [unrolled: 1-line block ×4, first 2 shown]
	s_waitcnt vmcnt(7)
	v_cvt_pk_f32_fp8_e32 v[74:75], v74
	v_pk_mul_f32 v[66:67], s[40:41], v[66:67] op_sel_hi:[0,1]
	v_fmac_f32_e32 v23, v30, v64
	v_fmac_f32_e32 v26, v31, v65
	s_waitcnt vmcnt(6)
	v_cvt_pk_f32_fp8_e32 v[76:77], v76
	v_pk_mul_f32 v[68:69], s[40:41], v[68:69] op_sel_hi:[0,1]
	v_fmac_f32_e32 v23, v32, v66
	v_fmac_f32_e32 v26, v33, v67
	;; [unrolled: 5-line block ×8, first 2 shown]
	v_pk_mul_f32 v[82:83], s[40:41], v[82:83] op_sel_hi:[0,1]
	v_fmac_f32_e32 v23, v46, v80
	v_fmac_f32_e32 v26, v47, v81
	v_pk_mul_f32 v[84:85], s[40:41], v[84:85] op_sel_hi:[0,1]
	v_fmac_f32_e32 v23, v52, v82
	v_fmac_f32_e32 v26, v53, v83
	;; [unrolled: 3-line block ×4, first 2 shown]
	v_fmac_f32_e32 v23, v58, v88
	v_fmac_f32_e32 v26, v59, v89
	v_add_f32_e32 v23, v23, v26
	ds_bpermute_b32 v24, v90, v23
	s_and_saveexec_b64 s[40:41], vcc
	s_cbranch_execz .LBB201_11
; %bb.17:                               ;   in Loop: Header=BB201_13 Depth=1
	v_add_u32_e32 v25, v17, v15
	v_cvt_f32_i32_e32 v25, v25
	s_waitcnt lgkmcnt(0)
	v_add_f32_e32 v23, v23, v24
	v_add_u32_e32 v26, v9, v15
	v_cmp_gt_i32_e64 s[0:1], s25, v26
	v_mul_f32_e32 v24, s44, v25
	v_cndmask_b32_e64 v24, 0, v24, s[2:3]
	v_fmac_f32_e32 v24, s37, v23
	v_cndmask_b32_e64 v23, 0, v24, s[0:1]
	ds_write_b32 v16, v23
	v_max_f32_e32 v23, v13, v13
	v_max_f32_e32 v23, v23, v24
	v_cndmask_b32_e64 v13, v13, v23, s[0:1]
	s_branch .LBB201_11
.LBB201_18:
	s_or_b64 exec, exec, s[38:39]
.LBB201_19:
	s_or_b64 exec, exec, s[14:15]
	v_mbcnt_hi_u32_b32 v7, -1, v8
	v_and_b32_e32 v2, 64, v7
	v_add_u32_e32 v8, 64, v2
	v_xor_b32_e32 v2, 32, v7
	v_cmp_lt_i32_e32 vcc, v2, v8
	v_xor_b32_e32 v5, 16, v7
	v_max_f32_e32 v4, v13, v13
	v_cndmask_b32_e32 v2, v7, v2, vcc
	v_lshlrev_b32_e32 v2, 2, v2
	ds_bpermute_b32 v3, v2, v13
	v_cmp_lt_i32_e32 vcc, v5, v8
	v_xor_b32_e32 v6, 8, v7
	v_xor_b32_e32 v9, 4, v7
	v_and_b32_e32 v51, 63, v0
	s_waitcnt lgkmcnt(0)
	v_max_f32_e32 v3, v3, v3
	v_max_f32_e32 v4, v4, v3
	v_cndmask_b32_e32 v3, v7, v5, vcc
	v_lshlrev_b32_e32 v3, 2, v3
	ds_bpermute_b32 v5, v3, v4
	v_cmp_lt_i32_e32 vcc, v6, v8
	s_waitcnt lgkmcnt(0)
	v_max_f32_e32 v5, v5, v5
	v_max_f32_e32 v5, v4, v5
	v_cndmask_b32_e32 v4, v7, v6, vcc
	v_lshlrev_b32_e32 v4, 2, v4
	ds_bpermute_b32 v6, v4, v5
	v_cmp_lt_i32_e32 vcc, v9, v8
	s_waitcnt lgkmcnt(0)
	v_max_f32_e32 v6, v6, v6
	v_max_f32_e32 v5, v5, v6
	v_cndmask_b32_e32 v6, v7, v9, vcc
	v_lshlrev_b32_e32 v53, 2, v6
	ds_bpermute_b32 v6, v53, v5
	v_xor_b32_e32 v9, 2, v7
	v_cmp_lt_i32_e32 vcc, v9, v8
	s_waitcnt lgkmcnt(0)
	v_max_f32_e32 v6, v6, v6
	v_max_f32_e32 v6, v5, v6
	v_cndmask_b32_e32 v5, v7, v9, vcc
	v_lshlrev_b32_e32 v52, 2, v5
	ds_bpermute_b32 v9, v52, v6
	v_cmp_eq_u32_e32 vcc, 0, v51
	v_lshlrev_b32_e32 v5, 2, v1
	s_and_saveexec_b64 s[0:1], vcc
	s_cbranch_execz .LBB201_21
; %bb.20:
	s_waitcnt lgkmcnt(0)
	v_max_f32_e32 v9, v9, v9
	v_max_f32_e32 v6, v6, v6
	;; [unrolled: 1-line block ×3, first 2 shown]
	ds_write_b32 v5, v6 offset:256
.LBB201_21:
	s_or_b64 exec, exec, s[0:1]
	v_cmp_gt_u32_e64 s[0:1], 2, v51
	s_waitcnt lgkmcnt(0)
	v_mov_b32_e32 v9, 0xff7fffff
	v_lshlrev_b32_e32 v6, 2, v51
	s_barrier
	s_and_saveexec_b64 s[2:3], s[0:1]
	s_cbranch_execz .LBB201_23
; %bb.22:
	ds_read_b32 v9, v6 offset:256
.LBB201_23:
	s_or_b64 exec, exec, s[2:3]
	v_xor_b32_e32 v12, 1, v7
	v_cmp_lt_i32_e64 s[2:3], v12, v8
	s_nop 1
	v_cndmask_b32_e64 v8, v7, v12, s[2:3]
	v_lshlrev_b32_e32 v54, 2, v8
	s_waitcnt lgkmcnt(0)
	ds_bpermute_b32 v8, v54, v9
	v_max_f32_e32 v9, v9, v9
	v_lshlrev_b32_e32 v7, 2, v7
	v_and_b32_e32 v7, 0x100, v7
	s_lshl_b32 s2, s42, 5
	s_waitcnt lgkmcnt(0)
	v_max_f32_e32 v8, v8, v8
	v_max_f32_e32 v8, v9, v8
	ds_bpermute_b32 v9, v7, v8
	s_min_i32 s37, s2, s25
	v_cmp_gt_i32_e64 s[2:3], s37, v0
	v_mov_b32_e32 v8, 0
	s_and_saveexec_b64 s[14:15], s[2:3]
	s_cbranch_execz .LBB201_27
; %bb.24:
	v_mov_b32_e32 v8, 0x110
	v_lshl_add_u32 v12, v0, 2, v8
	s_mov_b64 s[16:17], 0
	v_mov_b32_e32 v8, 0
	v_mov_b32_e32 v13, v0
.LBB201_25:                             ; =>This Inner Loop Header: Depth=1
	ds_read_b32 v14, v12
	v_add_u32_e32 v13, 0x80, v13
	v_cmp_le_i32_e64 s[8:9], s37, v13
	s_or_b64 s[16:17], s[8:9], s[16:17]
	s_waitcnt lgkmcnt(0)
	v_sub_f32_e32 v14, v14, v9
	v_mul_f32_e32 v14, 0x3fb8aa3b, v14
	v_exp_f32_e32 v14, v14
	ds_write_b32 v12, v14
	v_add_f32_e32 v8, v8, v14
	v_add_u32_e32 v12, 0x200, v12
	s_andn2_b64 exec, exec, s[16:17]
	s_cbranch_execnz .LBB201_25
; %bb.26:
	s_or_b64 exec, exec, s[16:17]
.LBB201_27:
	s_or_b64 exec, exec, s[14:15]
	ds_bpermute_b32 v2, v2, v8
	s_waitcnt lgkmcnt(0)
	v_add_f32_e32 v2, v8, v2
	ds_bpermute_b32 v3, v3, v2
	s_waitcnt lgkmcnt(0)
	v_add_f32_e32 v2, v2, v3
	;; [unrolled: 3-line block ×6, first 2 shown]
	s_and_saveexec_b64 s[8:9], vcc
	s_cbranch_execz .LBB201_29
; %bb.28:
	ds_write_b32 v5, v2 offset:264
.LBB201_29:
	s_or_b64 exec, exec, s[8:9]
	s_waitcnt lgkmcnt(0)
	s_barrier
	s_and_saveexec_b64 s[8:9], s[0:1]
	s_cbranch_execz .LBB201_31
; %bb.30:
	ds_read_b32 v2, v6 offset:264
.LBB201_31:
	s_or_b64 exec, exec, s[8:9]
	s_waitcnt lgkmcnt(0)
	ds_bpermute_b32 v3, v54, v2
	s_waitcnt lgkmcnt(0)
	v_add_f32_e32 v2, v2, v3
	ds_bpermute_b32 v2, v7, v2
	s_and_saveexec_b64 s[0:1], s[2:3]
	s_cbranch_execz .LBB201_44
; %bb.32:
	s_waitcnt lgkmcnt(0)
	v_add_f32_e32 v2, 0x358637bd, v2
	v_div_scale_f32 v3, s[2:3], v2, v2, 1.0
	v_rcp_f32_e32 v4, v3
	v_div_scale_f32 v5, vcc, 1.0, v2, 1.0
	s_movk_i32 s2, 0x7f
	v_fma_f32 v6, -v3, v4, 1.0
	v_fmac_f32_e32 v4, v6, v4
	v_mul_f32_e32 v6, v5, v4
	v_fma_f32 v7, -v3, v6, v5
	v_fmac_f32_e32 v6, v7, v4
	v_fma_f32 v3, -v3, v6, v5
	v_div_fmas_f32 v3, v3, v4, v6
	v_xad_u32 v4, v0, -1, s37
	v_div_fixup_f32 v2, v3, v2, 1.0
	v_cmp_lt_u32_e32 vcc, s2, v4
	s_mov_b64 s[8:9], -1
	v_mov_b32_e32 v3, v0
	s_and_saveexec_b64 s[2:3], vcc
	s_cbranch_execz .LBB201_41
; %bb.33:
	v_lshrrev_b32_e32 v4, 7, v4
	v_add_u32_e32 v6, -1, v4
	v_lshrrev_b32_e32 v5, 1, v6
	v_mov_b32_e32 v3, v2
	v_add_u32_e32 v5, 1, v5
	v_cmp_lt_u32_e32 vcc, 13, v6
	v_mov_b32_e32 v8, 0
	s_and_saveexec_b64 s[8:9], vcc
	s_cbranch_execz .LBB201_37
; %bb.34:
	v_mov_b32_e32 v7, 0x110
	v_and_b32_e32 v6, -8, v5
	v_lshl_add_u32 v7, v0, 2, v7
	s_mov_b32 s16, 0
	s_mov_b64 s[14:15], 0
.LBB201_35:                             ; =>This Inner Loop Header: Depth=1
	ds_read2st64_b32 v[8:9], v7 offset1:2
	ds_read2st64_b32 v[12:13], v7 offset0:4 offset1:6
	ds_read2st64_b32 v[14:15], v7 offset0:8 offset1:10
	;; [unrolled: 1-line block ×3, first 2 shown]
	v_add_u32_e32 v6, -8, v6
	s_waitcnt lgkmcnt(3)
	v_pk_mul_f32 v[8:9], v[2:3], v[8:9]
	s_waitcnt lgkmcnt(2)
	v_pk_mul_f32 v[12:13], v[2:3], v[12:13]
	ds_write2st64_b32 v7, v8, v9 offset1:2
	ds_write2st64_b32 v7, v12, v13 offset0:4 offset1:6
	ds_read2st64_b32 v[12:13], v7 offset0:16 offset1:18
	s_waitcnt lgkmcnt(4)
	v_pk_mul_f32 v[8:9], v[2:3], v[14:15]
	ds_write2st64_b32 v7, v8, v9 offset0:8 offset1:10
	s_waitcnt lgkmcnt(4)
	v_pk_mul_f32 v[8:9], v[2:3], v[16:17]
	ds_write2st64_b32 v7, v8, v9 offset0:12 offset1:14
	ds_read2st64_b32 v[8:9], v7 offset0:20 offset1:22
	s_waitcnt lgkmcnt(3)
	v_pk_mul_f32 v[12:13], v[2:3], v[12:13]
	ds_read2st64_b32 v[14:15], v7 offset0:24 offset1:26
	ds_write2st64_b32 v7, v12, v13 offset0:16 offset1:18
	ds_read2st64_b32 v[12:13], v7 offset0:28 offset1:30
	s_waitcnt lgkmcnt(3)
	v_pk_mul_f32 v[8:9], v[2:3], v[8:9]
	ds_write2st64_b32 v7, v8, v9 offset0:20 offset1:22
	s_waitcnt lgkmcnt(3)
	v_pk_mul_f32 v[8:9], v[2:3], v[14:15]
	ds_write2st64_b32 v7, v8, v9 offset0:24 offset1:26
	s_waitcnt lgkmcnt(2)
	v_pk_mul_f32 v[8:9], v[2:3], v[12:13]
	s_add_i32 s16, s16, 16
	v_cmp_eq_u32_e32 vcc, 0, v6
	ds_write2st64_b32 v7, v8, v9 offset0:28 offset1:30
	v_add_u32_e32 v7, 0x2000, v7
	s_or_b64 s[14:15], vcc, s[14:15]
	v_mov_b32_e32 v8, s16
	s_andn2_b64 exec, exec, s[14:15]
	s_cbranch_execnz .LBB201_35
; %bb.36:
	s_or_b64 exec, exec, s[14:15]
.LBB201_37:
	s_or_b64 exec, exec, s[8:9]
	v_and_b32_e32 v5, 7, v5
	v_cmp_ne_u32_e32 vcc, 0, v5
	s_and_saveexec_b64 s[8:9], vcc
	s_cbranch_execz .LBB201_40
; %bb.38:
	v_lshlrev_b32_e32 v6, 9, v8
	s_movk_i32 s14, 0x110
	v_add3_u32 v6, v6, v10, s14
	s_mov_b64 s[14:15], 0
.LBB201_39:                             ; =>This Inner Loop Header: Depth=1
	ds_read2st64_b32 v[8:9], v6 offset1:2
	v_add_u32_e32 v5, -1, v5
	v_cmp_eq_u32_e32 vcc, 0, v5
	s_or_b64 s[14:15], vcc, s[14:15]
	s_waitcnt lgkmcnt(0)
	v_pk_mul_f32 v[8:9], v[2:3], v[8:9]
	ds_write2st64_b32 v6, v8, v9 offset1:2
	v_add_u32_e32 v6, 0x400, v6
	s_andn2_b64 exec, exec, s[14:15]
	s_cbranch_execnz .LBB201_39
.LBB201_40:
	s_or_b64 exec, exec, s[8:9]
	v_add_u32_e32 v4, 1, v4
	v_and_b32_e32 v5, 0x3fffffe, v4
	v_cmp_ne_u32_e32 vcc, v4, v5
	v_lshl_add_u32 v3, v5, 7, v0
	s_orn2_b64 s[8:9], vcc, exec
.LBB201_41:
	s_or_b64 exec, exec, s[2:3]
	s_and_b64 exec, exec, s[8:9]
	s_cbranch_execz .LBB201_44
; %bb.42:
	v_mov_b32_e32 v4, 0x110
	v_lshl_add_u32 v4, v3, 2, v4
	s_mov_b64 s[2:3], 0
.LBB201_43:                             ; =>This Inner Loop Header: Depth=1
	ds_read_b32 v5, v4
	v_add_u32_e32 v3, 0x80, v3
	v_cmp_le_i32_e32 vcc, s37, v3
	s_or_b64 s[2:3], vcc, s[2:3]
	s_waitcnt lgkmcnt(0)
	v_mul_f32_e32 v5, v2, v5
	ds_write_b32 v4, v5
	v_add_u32_e32 v4, 0x200, v4
	s_andn2_b64 exec, exec, s[2:3]
	s_cbranch_execnz .LBB201_43
.LBB201_44:
	s_or_b64 exec, exec, s[0:1]
	s_mov_b32 s8, 0
	v_mov_b32_e32 v9, 0
	v_and_b32_e32 v55, 7, v0
	v_mov_b32_e32 v8, 0
	v_mov_b32_e32 v7, 0
	;; [unrolled: 1-line block ×6, first 2 shown]
	s_waitcnt lgkmcnt(0)
	v_mov_b32_e32 v2, 0
	s_barrier
	s_and_saveexec_b64 s[2:3], s[6:7]
	s_cbranch_execz .LBB201_66
; %bb.45:
	s_sub_i32 s16, s12, s21
	s_ashr_i32 s1, s43, 31
	s_add_u32 s0, s34, s43
	s_addc_u32 s1, s35, s1
	s_abs_i32 s17, s22
	v_cvt_f32_u32_e32 v2, s17
	v_mov_b32_e32 v3, 0
	s_sub_i32 s6, 0, s17
	s_add_i32 s22, s42, -1
	v_rcp_iflag_f32_e32 v4, v2
	v_and_b32_e32 v2, 0xfc, v10
	v_lshl_add_u64 v[14:15], s[0:1], 0, v[2:3]
	s_lshl_b64 s[0:1], s[30:31], 2
	v_mul_f32_e32 v4, 0x4f7ffffe, v4
	v_cvt_u32_f32_e32 v4, v4
	s_add_u32 s0, s10, s0
	s_addc_u32 s1, s11, s1
	s_mov_b32 s9, s8
	v_mul_lo_u32 v2, s6, v4
	v_mul_hi_u32 v2, v4, v2
	v_add_u32_e32 v57, v4, v2
	v_and_b32_e32 v2, 60, v11
	v_lshl_add_u64 v[16:17], s[0:1], 0, v[2:3]
	v_lshlrev_b32_e32 v2, 4, v55
	v_lshl_or_b32 v2, v1, 7, v2
	s_mov_b32 s21, s13
	v_add_u32_e32 v58, 0x110, v2
	s_mov_b32 s10, s8
	s_mov_b32 s11, s8
	;; [unrolled: 1-line block ×6, first 2 shown]
	v_mov_b64_e32 v[2:3], s[8:9]
	v_and_b32_e32 v56, 28, v10
	s_mov_b64 s[6:7], 0
	v_mov_b64_e32 v[4:5], s[10:11]
	v_mov_b64_e32 v[6:7], s[12:13]
	;; [unrolled: 1-line block ×3, first 2 shown]
	s_branch .LBB201_48
.LBB201_46:                             ;   in Loop: Header=BB201_48 Depth=1
	s_or_b64 exec, exec, s[0:1]
	v_mul_f32_e32 v21, v11, v21
	v_fmac_f32_e32 v21, v10, v20
	v_fmac_f32_e32 v21, v12, v18
	v_mul_f32_e32 v18, v11, v27
	v_fmac_f32_e32 v18, v10, v26
	v_fmac_f32_e32 v18, v12, v24
	v_fmac_f32_e32 v18, v13, v25
	v_add_f32_e32 v3, v3, v18
	v_mul_f32_e32 v18, v11, v31
	v_fmac_f32_e32 v18, v10, v30
	v_fmac_f32_e32 v18, v12, v28
	v_fmac_f32_e32 v18, v13, v29
	v_add_f32_e32 v4, v4, v18
	;; [unrolled: 5-line block ×5, first 2 shown]
	v_mul_f32_e32 v18, v11, v47
	v_mul_f32_e32 v11, v11, v49
	v_fmac_f32_e32 v18, v10, v46
	v_fmac_f32_e32 v11, v10, v48
	;; [unrolled: 1-line block ×7, first 2 shown]
	v_add_f32_e32 v2, v2, v21
	v_add_f32_e32 v8, v8, v18
	;; [unrolled: 1-line block ×3, first 2 shown]
.LBB201_47:                             ;   in Loop: Header=BB201_48 Depth=1
	s_or_b64 exec, exec, s[8:9]
	v_add_u32_e32 v1, 2, v1
	v_cmp_le_i32_e32 vcc, s42, v1
	v_lshl_add_u64 v[16:17], v[16:17], 0, 8
	v_add_u32_e32 v50, 64, v50
	s_or_b64 s[6:7], vcc, s[6:7]
	v_add_u32_e32 v58, 0x100, v58
	s_andn2_b64 exec, exec, s[6:7]
	s_cbranch_execz .LBB201_65
.LBB201_48:                             ; =>This Inner Loop Header: Depth=1
	v_mul_hi_u32 v10, v50, s33
	v_mul_lo_u32 v11, v10, s27
	v_sub_u32_e32 v11, v50, v11
	v_add_u32_e32 v12, 1, v10
	v_cmp_le_u32_e32 vcc, s27, v11
	s_nop 1
	v_cndmask_b32_e32 v10, v10, v12, vcc
	v_subrev_u32_e32 v12, s27, v11
	v_cndmask_b32_e32 v11, v11, v12, vcc
	v_add_u32_e32 v12, 1, v10
	v_cmp_le_u32_e32 vcc, s27, v11
	s_nop 1
	v_cndmask_b32_e32 v10, v10, v12, vcc
	v_xor_b32_e32 v10, s23, v10
	v_subrev_u32_e32 v10, s23, v10
	v_add_u32_e32 v11, s36, v10
	v_sub_u32_e32 v13, 0, v11
	v_ashrrev_i32_e32 v12, 31, v11
	v_max_i32_e32 v11, v11, v13
	v_mul_hi_u32 v13, v11, v57
	v_mul_lo_u32 v13, v13, s17
	v_sub_u32_e32 v11, v11, v13
	v_subrev_u32_e32 v13, s17, v11
	v_cmp_le_u32_e32 vcc, s17, v11
	v_cmp_lt_i32_e64 s[0:1], s16, v10
	s_nop 0
	v_cndmask_b32_e32 v11, v11, v13, vcc
	v_subrev_u32_e32 v13, s17, v11
	v_cmp_le_u32_e32 vcc, s17, v11
	s_nop 1
	v_cndmask_b32_e32 v11, v11, v13, vcc
	v_xor_b32_e32 v11, v11, v12
	v_sub_u32_e32 v11, v11, v12
	v_cmp_eq_u32_e32 vcc, 0, v11
	s_or_b64 s[0:1], vcc, s[0:1]
	s_and_saveexec_b64 s[8:9], s[0:1]
	s_cbranch_execz .LBB201_47
; %bb.49:                               ;   in Loop: Header=BB201_48 Depth=1
	global_load_dword v10, v[16:17], off
	s_load_dword s10, s[18:19], 0x0
	v_add_u32_e32 v59, v56, v50
	v_cmp_eq_u32_e32 vcc, s22, v1
	v_add_u32_e32 v61, 1, v59
	v_add_u32_e32 v60, 2, v59
	;; [unrolled: 1-line block ×3, first 2 shown]
	s_waitcnt vmcnt(0)
	v_mad_i64_i32 v[22:23], s[0:1], v10, s21, v[14:15]
	global_load_dword v18, v[22:23], off
	ds_read_b128 v[10:13], v58
	s_waitcnt vmcnt(0)
	v_and_b32_e32 v19, 0xffff, v18
	v_lshrrev_b32_e32 v20, 16, v18
	v_cvt_pk_f32_fp8_e32 v[18:19], v19
	v_cvt_pk_f32_fp8_e32 v[24:25], v20
	s_waitcnt lgkmcnt(0)
	v_pk_mul_f32 v[20:21], s[10:11], v[18:19] op_sel_hi:[0,1]
	v_pk_mul_f32 v[18:19], s[10:11], v[24:25] op_sel_hi:[0,1]
	s_and_saveexec_b64 s[12:13], vcc
; %bb.50:                               ;   in Loop: Header=BB201_48 Depth=1
	v_cmp_gt_i32_e64 s[0:1], s25, v59
	s_nop 1
	v_cndmask_b32_e64 v20, 0, v20, s[0:1]
	v_cmp_gt_i32_e64 s[0:1], s25, v61
	s_nop 1
	v_cndmask_b32_e64 v21, 0, v21, s[0:1]
	;; [unrolled: 3-line block ×4, first 2 shown]
; %bb.51:                               ;   in Loop: Header=BB201_48 Depth=1
	s_or_b64 exec, exec, s[12:13]
	global_load_dword v24, v[22:23], off offset:256
	s_mov_b32 s11, s10
	s_waitcnt vmcnt(0)
	v_and_b32_e32 v25, 0xffff, v24
	v_lshrrev_b32_e32 v26, 16, v24
	v_cvt_pk_f32_fp8_e32 v[24:25], v25
	v_cvt_pk_f32_fp8_e32 v[28:29], v26
	v_pk_mul_f32 v[26:27], s[10:11], v[24:25]
	v_pk_mul_f32 v[24:25], s[10:11], v[28:29]
	s_and_saveexec_b64 s[12:13], vcc
; %bb.52:                               ;   in Loop: Header=BB201_48 Depth=1
	v_cmp_gt_i32_e64 s[0:1], s25, v59
	s_nop 1
	v_cndmask_b32_e64 v26, 0, v26, s[0:1]
	v_cmp_gt_i32_e64 s[0:1], s25, v61
	s_nop 1
	v_cndmask_b32_e64 v27, 0, v27, s[0:1]
	v_cmp_gt_i32_e64 s[0:1], s25, v60
	s_nop 1
	v_cndmask_b32_e64 v24, 0, v24, s[0:1]
	v_cmp_gt_i32_e64 s[0:1], s25, v62
	s_nop 1
	v_cndmask_b32_e64 v25, 0, v25, s[0:1]
; %bb.53:                               ;   in Loop: Header=BB201_48 Depth=1
	s_or_b64 exec, exec, s[12:13]
	global_load_dword v28, v[22:23], off offset:512
	s_waitcnt vmcnt(0)
	v_and_b32_e32 v29, 0xffff, v28
	v_lshrrev_b32_e32 v30, 16, v28
	v_cvt_pk_f32_fp8_e32 v[28:29], v29
	v_cvt_pk_f32_fp8_e32 v[32:33], v30
	v_pk_mul_f32 v[30:31], s[10:11], v[28:29]
	v_pk_mul_f32 v[28:29], s[10:11], v[32:33]
	s_and_saveexec_b64 s[12:13], vcc
; %bb.54:                               ;   in Loop: Header=BB201_48 Depth=1
	v_cmp_gt_i32_e64 s[0:1], s25, v59
	s_nop 1
	v_cndmask_b32_e64 v30, 0, v30, s[0:1]
	v_cmp_gt_i32_e64 s[0:1], s25, v61
	s_nop 1
	v_cndmask_b32_e64 v31, 0, v31, s[0:1]
	v_cmp_gt_i32_e64 s[0:1], s25, v60
	s_nop 1
	v_cndmask_b32_e64 v28, 0, v28, s[0:1]
	v_cmp_gt_i32_e64 s[0:1], s25, v62
	s_nop 1
	v_cndmask_b32_e64 v29, 0, v29, s[0:1]
; %bb.55:                               ;   in Loop: Header=BB201_48 Depth=1
	s_or_b64 exec, exec, s[12:13]
	global_load_dword v32, v[22:23], off offset:768
	;; [unrolled: 24-line block ×6, first 2 shown]
	s_waitcnt vmcnt(0)
	v_and_b32_e32 v23, 0xffff, v22
	v_lshrrev_b32_e32 v48, 16, v22
	v_cvt_pk_f32_fp8_e32 v[22:23], v23
	v_cvt_pk_f32_fp8_e32 v[64:65], v48
	v_pk_mul_f32 v[48:49], s[10:11], v[22:23]
	v_pk_mul_f32 v[22:23], s[10:11], v[64:65]
	s_and_saveexec_b64 s[0:1], vcc
	s_cbranch_execz .LBB201_46
; %bb.64:                               ;   in Loop: Header=BB201_48 Depth=1
	v_cmp_gt_i32_e32 vcc, s25, v59
	s_nop 1
	v_cndmask_b32_e32 v48, 0, v48, vcc
	v_cmp_gt_i32_e32 vcc, s25, v61
	s_nop 1
	v_cndmask_b32_e32 v49, 0, v49, vcc
	;; [unrolled: 3-line block ×4, first 2 shown]
	s_branch .LBB201_46
.LBB201_65:
	s_or_b64 exec, exec, s[6:7]
.LBB201_66:
	s_or_b64 exec, exec, s[2:3]
	ds_bpermute_b32 v12, v53, v4
	ds_bpermute_b32 v13, v53, v5
	;; [unrolled: 1-line block ×6, first 2 shown]
	s_waitcnt lgkmcnt(4)
	v_pk_add_f32 v[4:5], v[4:5], v[12:13]
	ds_bpermute_b32 v12, v52, v4
	ds_bpermute_b32 v13, v52, v5
	s_waitcnt lgkmcnt(4)
	v_pk_add_f32 v[2:3], v[2:3], v[10:11]
	s_waitcnt lgkmcnt(2)
	v_pk_add_f32 v[6:7], v[6:7], v[14:15]
	ds_bpermute_b32 v10, v52, v2
	ds_bpermute_b32 v11, v52, v3
	s_waitcnt lgkmcnt(2)
	v_pk_add_f32 v[4:5], v[4:5], v[12:13]
	ds_bpermute_b32 v12, v53, v8
	ds_bpermute_b32 v13, v53, v9
	;; [unrolled: 1-line block ×4, first 2 shown]
	s_waitcnt lgkmcnt(4)
	v_pk_add_f32 v[2:3], v[2:3], v[10:11]
	ds_bpermute_b32 v10, v54, v2
	s_waitcnt lgkmcnt(3)
	v_pk_add_f32 v[8:9], v[8:9], v[12:13]
	ds_bpermute_b32 v12, v52, v8
	ds_bpermute_b32 v13, v52, v9
	s_waitcnt lgkmcnt(3)
	v_pk_add_f32 v[14:15], v[6:7], v[14:15]
	ds_bpermute_b32 v11, v54, v3
	ds_bpermute_b32 v16, v54, v4
	;; [unrolled: 1-line block ×3, first 2 shown]
	s_waitcnt lgkmcnt(3)
	v_pk_add_f32 v[12:13], v[8:9], v[12:13]
	ds_bpermute_b32 v18, v54, v14
	ds_bpermute_b32 v19, v54, v15
	;; [unrolled: 1-line block ×4, first 2 shown]
	v_and_b32_e32 v1, 0x3c7, v0
	s_waitcnt lgkmcnt(6)
	v_pk_add_f32 v[8:9], v[2:3], v[10:11]
	s_waitcnt lgkmcnt(4)
	v_pk_add_f32 v[6:7], v[4:5], v[16:17]
	;; [unrolled: 2-line block ×4, first 2 shown]
	v_cmp_eq_u32_e32 vcc, 64, v1
	s_barrier
	s_and_saveexec_b64 s[0:1], vcc
	s_cbranch_execz .LBB201_68
; %bb.67:
	v_lshrrev_b32_e32 v10, 1, v51
	v_add_u32_e32 v10, 0x110, v10
	ds_write2_b32 v10, v8, v9 offset1:8
	ds_write2_b32 v10, v6, v7 offset0:16 offset1:24
	ds_write2_b32 v10, v2, v3 offset0:32 offset1:40
	;; [unrolled: 1-line block ×3, first 2 shown]
.LBB201_68:
	s_or_b64 exec, exec, s[0:1]
	v_cmp_gt_u32_e32 vcc, 64, v0
	s_waitcnt lgkmcnt(0)
	s_barrier
	s_and_saveexec_b64 s[0:1], vcc
	s_cbranch_execz .LBB201_79
; %bb.69:
	v_cmp_eq_u32_e32 vcc, 0, v55
	v_lshrrev_b32_e32 v10, 3, v0
	s_and_saveexec_b64 s[2:3], vcc
	s_cbranch_execnz .LBB201_82
; %bb.70:
	s_or_b64 exec, exec, s[2:3]
	s_and_saveexec_b64 s[2:3], vcc
	s_cbranch_execnz .LBB201_83
.LBB201_71:
	s_or_b64 exec, exec, s[2:3]
	s_and_saveexec_b64 s[2:3], vcc
	s_cbranch_execnz .LBB201_84
.LBB201_72:
	s_or_b64 exec, exec, s[2:3]
	s_and_saveexec_b64 s[2:3], vcc
	s_cbranch_execnz .LBB201_85
.LBB201_73:
	s_or_b64 exec, exec, s[2:3]
	s_and_saveexec_b64 s[2:3], vcc
	s_cbranch_execnz .LBB201_86
.LBB201_74:
	s_or_b64 exec, exec, s[2:3]
	s_and_saveexec_b64 s[2:3], vcc
	s_cbranch_execnz .LBB201_87
.LBB201_75:
	s_or_b64 exec, exec, s[2:3]
	s_and_saveexec_b64 s[2:3], vcc
	s_cbranch_execnz .LBB201_88
.LBB201_76:
	s_or_b64 exec, exec, s[2:3]
	s_and_saveexec_b64 s[2:3], vcc
	s_cbranch_execz .LBB201_78
.LBB201_77:
	v_mov_b32_e32 v11, 0x110
	v_lshl_add_u32 v10, v10, 2, v11
	ds_read_b32 v10, v10 offset:224
	s_waitcnt lgkmcnt(0)
	v_add_f32_e32 v5, v5, v10
.LBB201_78:
	s_or_b64 exec, exec, s[2:3]
.LBB201_79:
	s_or_b64 exec, exec, s[0:1]
	v_cmp_eq_u32_e32 vcc, 0, v1
	s_barrier
	s_and_saveexec_b64 s[0:1], vcc
	s_cbranch_execz .LBB201_81
; %bb.80:
	s_mul_i32 s0, s24, s20
	s_mul_i32 s0, s0, s5
	s_lshl_b32 s0, s0, 6
	s_ashr_i32 s1, s0, 31
	s_lshl_b64 s[0:1], s[0:1], 2
	s_add_u32 s2, s28, s0
	s_mul_i32 s0, s20, s26
	s_addc_u32 s3, s29, s1
	s_ashr_i32 s1, s0, 31
	s_lshl_b64 s[0:1], s[0:1], 2
	s_add_u32 s2, s2, s0
	s_addc_u32 s3, s3, s1
	s_lshl_b32 s0, s4, 6
	s_ashr_i32 s1, s0, 31
	s_lshl_b64 s[0:1], s[0:1], 2
	s_add_u32 s0, s2, s0
	s_addc_u32 s1, s3, s1
	v_lshrrev_b32_e32 v0, 1, v0
	global_store_dword v0, v8, s[0:1]
	global_store_dword v0, v9, s[0:1] offset:32
	global_store_dword v0, v6, s[0:1] offset:64
	;; [unrolled: 1-line block ×7, first 2 shown]
.LBB201_81:
	s_endpgm
.LBB201_82:
	v_mov_b32_e32 v11, 0x110
	v_lshl_add_u32 v11, v10, 2, v11
	ds_read_b32 v11, v11
	s_waitcnt lgkmcnt(0)
	v_add_f32_e32 v8, v8, v11
	s_or_b64 exec, exec, s[2:3]
	s_and_saveexec_b64 s[2:3], vcc
	s_cbranch_execz .LBB201_71
.LBB201_83:
	v_mov_b32_e32 v11, 0x110
	v_lshl_add_u32 v11, v10, 2, v11
	ds_read_b32 v11, v11 offset:32
	s_waitcnt lgkmcnt(0)
	v_add_f32_e32 v9, v9, v11
	s_or_b64 exec, exec, s[2:3]
	s_and_saveexec_b64 s[2:3], vcc
	s_cbranch_execz .LBB201_72
.LBB201_84:
	v_mov_b32_e32 v11, 0x110
	v_lshl_add_u32 v11, v10, 2, v11
	ds_read_b32 v11, v11 offset:64
	s_waitcnt lgkmcnt(0)
	v_add_f32_e32 v6, v6, v11
	s_or_b64 exec, exec, s[2:3]
	s_and_saveexec_b64 s[2:3], vcc
	s_cbranch_execz .LBB201_73
.LBB201_85:
	v_mov_b32_e32 v11, 0x110
	v_lshl_add_u32 v11, v10, 2, v11
	ds_read_b32 v11, v11 offset:96
	s_waitcnt lgkmcnt(0)
	v_add_f32_e32 v7, v7, v11
	s_or_b64 exec, exec, s[2:3]
	s_and_saveexec_b64 s[2:3], vcc
	s_cbranch_execz .LBB201_74
.LBB201_86:
	v_mov_b32_e32 v11, 0x110
	v_lshl_add_u32 v11, v10, 2, v11
	ds_read_b32 v11, v11 offset:128
	s_waitcnt lgkmcnt(0)
	v_add_f32_e32 v2, v2, v11
	s_or_b64 exec, exec, s[2:3]
	s_and_saveexec_b64 s[2:3], vcc
	s_cbranch_execz .LBB201_75
.LBB201_87:
	v_mov_b32_e32 v11, 0x110
	v_lshl_add_u32 v11, v10, 2, v11
	ds_read_b32 v11, v11 offset:160
	s_waitcnt lgkmcnt(0)
	v_add_f32_e32 v3, v3, v11
	s_or_b64 exec, exec, s[2:3]
	s_and_saveexec_b64 s[2:3], vcc
	s_cbranch_execz .LBB201_76
.LBB201_88:
	v_mov_b32_e32 v11, 0x110
	v_lshl_add_u32 v11, v10, 2, v11
	ds_read_b32 v11, v11 offset:192
	s_waitcnt lgkmcnt(0)
	v_add_f32_e32 v4, v4, v11
	s_or_b64 exec, exec, s[2:3]
	s_and_saveexec_b64 s[2:3], vcc
	s_cbranch_execnz .LBB201_77
	s_branch .LBB201_78
	.section	.rodata,"a",@progbits
	.p2align	6, 0x0
	.amdhsa_kernel _ZN4vllm25paged_attention_v1_kernelIfhLi64ELi32ELi128ELNS_18Fp8KVCacheDataTypeE1ELb1EEEvPT_PKS2_PKT0_S8_ifPKiSA_iPKfiiiSC_SC_iiiii
		.amdhsa_group_segment_fixed_size 272
		.amdhsa_private_segment_fixed_size 0
		.amdhsa_kernarg_size 384
		.amdhsa_user_sgpr_count 2
		.amdhsa_user_sgpr_dispatch_ptr 0
		.amdhsa_user_sgpr_queue_ptr 0
		.amdhsa_user_sgpr_kernarg_segment_ptr 1
		.amdhsa_user_sgpr_dispatch_id 0
		.amdhsa_user_sgpr_kernarg_preload_length 0
		.amdhsa_user_sgpr_kernarg_preload_offset 0
		.amdhsa_user_sgpr_private_segment_size 0
		.amdhsa_uses_dynamic_stack 0
		.amdhsa_enable_private_segment 0
		.amdhsa_system_sgpr_workgroup_id_x 1
		.amdhsa_system_sgpr_workgroup_id_y 1
		.amdhsa_system_sgpr_workgroup_id_z 1
		.amdhsa_system_sgpr_workgroup_info 0
		.amdhsa_system_vgpr_workitem_id 0
		.amdhsa_next_free_vgpr 91
		.amdhsa_next_free_sgpr 48
		.amdhsa_accum_offset 92
		.amdhsa_reserve_vcc 1
		.amdhsa_float_round_mode_32 0
		.amdhsa_float_round_mode_16_64 0
		.amdhsa_float_denorm_mode_32 3
		.amdhsa_float_denorm_mode_16_64 3
		.amdhsa_dx10_clamp 1
		.amdhsa_ieee_mode 1
		.amdhsa_fp16_overflow 0
		.amdhsa_tg_split 0
		.amdhsa_exception_fp_ieee_invalid_op 0
		.amdhsa_exception_fp_denorm_src 0
		.amdhsa_exception_fp_ieee_div_zero 0
		.amdhsa_exception_fp_ieee_overflow 0
		.amdhsa_exception_fp_ieee_underflow 0
		.amdhsa_exception_fp_ieee_inexact 0
		.amdhsa_exception_int_div_zero 0
	.end_amdhsa_kernel
	.section	.text._ZN4vllm25paged_attention_v1_kernelIfhLi64ELi32ELi128ELNS_18Fp8KVCacheDataTypeE1ELb1EEEvPT_PKS2_PKT0_S8_ifPKiSA_iPKfiiiSC_SC_iiiii,"axG",@progbits,_ZN4vllm25paged_attention_v1_kernelIfhLi64ELi32ELi128ELNS_18Fp8KVCacheDataTypeE1ELb1EEEvPT_PKS2_PKT0_S8_ifPKiSA_iPKfiiiSC_SC_iiiii,comdat
.Lfunc_end201:
	.size	_ZN4vllm25paged_attention_v1_kernelIfhLi64ELi32ELi128ELNS_18Fp8KVCacheDataTypeE1ELb1EEEvPT_PKS2_PKT0_S8_ifPKiSA_iPKfiiiSC_SC_iiiii, .Lfunc_end201-_ZN4vllm25paged_attention_v1_kernelIfhLi64ELi32ELi128ELNS_18Fp8KVCacheDataTypeE1ELb1EEEvPT_PKS2_PKT0_S8_ifPKiSA_iPKfiiiSC_SC_iiiii
                                        ; -- End function
	.section	.AMDGPU.csdata,"",@progbits
; Kernel info:
; codeLenInByte = 6188
; NumSgprs: 54
; NumVgprs: 91
; NumAgprs: 0
; TotalNumVgprs: 91
; ScratchSize: 0
; MemoryBound: 0
; FloatMode: 240
; IeeeMode: 1
; LDSByteSize: 272 bytes/workgroup (compile time only)
; SGPRBlocks: 6
; VGPRBlocks: 11
; NumSGPRsForWavesPerEU: 54
; NumVGPRsForWavesPerEU: 91
; AccumOffset: 92
; Occupancy: 5
; WaveLimiterHint : 1
; COMPUTE_PGM_RSRC2:SCRATCH_EN: 0
; COMPUTE_PGM_RSRC2:USER_SGPR: 2
; COMPUTE_PGM_RSRC2:TRAP_HANDLER: 0
; COMPUTE_PGM_RSRC2:TGID_X_EN: 1
; COMPUTE_PGM_RSRC2:TGID_Y_EN: 1
; COMPUTE_PGM_RSRC2:TGID_Z_EN: 1
; COMPUTE_PGM_RSRC2:TIDIG_COMP_CNT: 0
; COMPUTE_PGM_RSRC3_GFX90A:ACCUM_OFFSET: 22
; COMPUTE_PGM_RSRC3_GFX90A:TG_SPLIT: 0
	.section	.text._ZN4vllm25paged_attention_v1_kernelIfhLi80ELi32ELi128ELNS_18Fp8KVCacheDataTypeE1ELb1EEEvPT_PKS2_PKT0_S8_ifPKiSA_iPKfiiiSC_SC_iiiii,"axG",@progbits,_ZN4vllm25paged_attention_v1_kernelIfhLi80ELi32ELi128ELNS_18Fp8KVCacheDataTypeE1ELb1EEEvPT_PKS2_PKT0_S8_ifPKiSA_iPKfiiiSC_SC_iiiii,comdat
	.protected	_ZN4vllm25paged_attention_v1_kernelIfhLi80ELi32ELi128ELNS_18Fp8KVCacheDataTypeE1ELb1EEEvPT_PKS2_PKT0_S8_ifPKiSA_iPKfiiiSC_SC_iiiii ; -- Begin function _ZN4vllm25paged_attention_v1_kernelIfhLi80ELi32ELi128ELNS_18Fp8KVCacheDataTypeE1ELb1EEEvPT_PKS2_PKT0_S8_ifPKiSA_iPKfiiiSC_SC_iiiii
	.globl	_ZN4vllm25paged_attention_v1_kernelIfhLi80ELi32ELi128ELNS_18Fp8KVCacheDataTypeE1ELb1EEEvPT_PKS2_PKT0_S8_ifPKiSA_iPKfiiiSC_SC_iiiii
	.p2align	8
	.type	_ZN4vllm25paged_attention_v1_kernelIfhLi80ELi32ELi128ELNS_18Fp8KVCacheDataTypeE1ELb1EEEvPT_PKS2_PKT0_S8_ifPKiSA_iPKfiiiSC_SC_iiiii,@function
_ZN4vllm25paged_attention_v1_kernelIfhLi80ELi32ELi128ELNS_18Fp8KVCacheDataTypeE1ELb1EEEvPT_PKS2_PKT0_S8_ifPKiSA_iPKfiiiSC_SC_iiiii: ; @_ZN4vllm25paged_attention_v1_kernelIfhLi80ELi32ELi128ELNS_18Fp8KVCacheDataTypeE1ELb1EEEvPT_PKS2_PKT0_S8_ifPKiSA_iPKfiiiSC_SC_iiiii
; %bb.0:
	s_load_dword s5, s[0:1], 0x80
	s_load_dwordx2 s[6:7], s[0:1], 0x30
	s_load_dwordx2 s[36:37], s[0:1], 0x20
	s_mov_b32 s10, s3
	s_ashr_i32 s11, s3, 31
	s_lshl_b64 s[8:9], s[10:11], 2
	s_waitcnt lgkmcnt(0)
	s_add_u32 s6, s6, s8
	s_addc_u32 s7, s7, s9
	s_abs_i32 s3, s36
	v_cvt_f32_u32_e32 v1, s3
	s_sub_i32 s11, 0, s3
	s_abs_i32 s9, s5
	s_xor_b32 s8, s5, s36
	v_rcp_iflag_f32_e32 v1, v1
	s_ashr_i32 s8, s8, 31
	s_mov_b32 s45, 0
	v_mul_f32_e32 v1, 0x4f7ffffe, v1
	v_cvt_u32_f32_e32 v1, v1
	s_nop 0
	v_readfirstlane_b32 s12, v1
	s_mul_i32 s11, s11, s12
	s_mul_hi_u32 s11, s12, s11
	s_add_i32 s12, s12, s11
	s_mul_hi_u32 s11, s9, s12
	s_mul_i32 s12, s11, s3
	s_sub_i32 s9, s9, s12
	s_add_i32 s12, s11, 1
	s_sub_i32 s13, s9, s3
	s_cmp_ge_u32 s9, s3
	s_cselect_b32 s11, s12, s11
	s_cselect_b32 s9, s13, s9
	s_add_i32 s12, s11, 1
	s_cmp_ge_u32 s9, s3
	s_cselect_b32 s3, s12, s11
	s_xor_b32 s3, s3, s8
	s_sub_i32 s14, s3, s8
	s_abs_i32 s11, s14
	v_cvt_f32_u32_e32 v1, s11
	s_load_dwordx2 s[8:9], s[0:1], 0x40
	s_sub_i32 s3, 0, s11
	s_abs_i32 s12, s2
	v_rcp_iflag_f32_e32 v1, v1
	s_nop 0
	v_mul_f32_e32 v1, 0x4f7ffffe, v1
	v_cvt_u32_f32_e32 v1, v1
	s_nop 0
	v_readfirstlane_b32 s13, v1
	s_mul_i32 s3, s3, s13
	s_mul_hi_u32 s3, s13, s3
	s_add_i32 s13, s13, s3
	s_waitcnt lgkmcnt(0)
	s_cmp_eq_u64 s[8:9], 0
	s_mul_hi_u32 s13, s12, s13
	s_cbranch_scc1 .LBB202_2
; %bb.1:
	s_ashr_i32 s3, s2, 31
	s_lshl_b64 s[16:17], s[2:3], 2
	s_add_u32 s8, s8, s16
	s_addc_u32 s9, s9, s17
	s_load_dword s45, s[8:9], 0x0
.LBB202_2:
	s_load_dword s33, s[6:7], 0x0
	s_load_dwordx4 s[16:19], s[0:1], 0x48
	s_ashr_i32 s8, s2, 31
	s_ashr_i32 s9, s14, 31
	v_and_b32_e32 v2, 1, v0
	s_mul_i32 s24, s2, 0x50
	v_cmp_gt_u32_e32 vcc, 40, v0
	v_lshlrev_b32_e32 v40, 2, v0
	s_and_saveexec_b64 s[6:7], vcc
	s_cbranch_execz .LBB202_4
; %bb.3:
	s_load_dwordx2 s[14:15], s[0:1], 0x8
	s_waitcnt lgkmcnt(0)
	s_mul_i32 s20, s10, s16
	s_ashr_i32 s21, s20, 31
	s_lshl_b64 s[20:21], s[20:21], 2
	v_lshlrev_b32_e32 v1, 3, v0
	s_add_u32 s3, s14, s20
	s_addc_u32 s16, s15, s21
	s_ashr_i32 s25, s24, 31
	s_lshl_b64 s[14:15], s[24:25], 2
	s_add_u32 s14, s3, s14
	s_addc_u32 s15, s16, s15
	global_load_dwordx2 v[4:5], v1, s[14:15]
	v_and_b32_e32 v1, 0xff8, v40
	s_movk_i32 s3, 0xa0
	v_mad_u32_u24 v1, v2, s3, v1
	s_waitcnt vmcnt(0)
	ds_write_b64 v1, v[4:5]
.LBB202_4:
	s_or_b64 exec, exec, s[6:7]
	s_mul_i32 s7, s13, s11
	s_sub_i32 s7, s12, s7
	s_xor_b32 s6, s8, s9
	s_add_i32 s8, s13, 1
	s_sub_i32 s9, s7, s11
	s_load_dwordx4 s[20:23], s[0:1], 0x68
	s_load_dword s3, s[0:1], 0x78
	s_cmp_ge_u32 s7, s11
	s_cselect_b32 s8, s8, s13
	s_cselect_b32 s7, s9, s7
	s_add_i32 s9, s8, 1
	s_cmp_ge_u32 s7, s11
	s_cselect_b32 s7, s9, s8
	s_waitcnt lgkmcnt(0)
	s_abs_i32 s25, s23
	v_cvt_f32_u32_e32 v1, s25
	s_xor_b32 s7, s7, s6
	s_sub_i32 s44, s7, s6
	s_sub_i32 s6, 0, s25
	v_rcp_iflag_f32_e32 v1, v1
	s_add_i32 s11, s33, -1
	s_abs_i32 s8, s11
	v_mul_f32_e32 v1, 0x4f7ffffe, v1
	v_cvt_u32_f32_e32 v1, v1
	s_barrier
	v_readfirstlane_b32 s42, v1
	s_mul_i32 s6, s6, s42
	s_mul_hi_u32 s6, s42, s6
	s_add_i32 s42, s42, s6
	s_cmp_lt_i32 s3, 0
	s_mul_hi_u32 s9, s8, s42
	s_cbranch_scc0 .LBB202_6
; %bb.5:
	s_mul_i32 s6, s20, s36
	s_add_i32 s6, s44, s6
	s_mul_i32 s6, s6, s3
	s_sub_i32 s36, 1, s6
	s_mov_b64 s[6:7], 0
	s_branch .LBB202_7
.LBB202_6:
	s_mov_b64 s[6:7], -1
                                        ; implicit-def: $sgpr36
.LBB202_7:
	s_load_dwordx2 s[28:29], s[0:1], 0x28
	s_ashr_i32 s16, s11, 31
	s_andn2_b64 vcc, exec, s[6:7]
	s_ashr_i32 s23, s23, 31
	s_cbranch_vccnz .LBB202_9
; %bb.8:
	s_mul_i32 s6, s5, s20
	s_add_i32 s2, s6, s2
	s_mul_i32 s2, s2, s3
	s_add_i32 s36, s2, 1
.LBB202_9:
	s_load_dword s2, s[0:1], 0x38
	s_load_dwordx2 s[26:27], s[0:1], 0x0
	s_load_dwordx2 s[34:35], s[0:1], 0x18
	s_load_dword s11, s[0:1], 0x88
	s_load_dwordx4 s[12:15], s[0:1], 0x58
	s_mul_i32 s3, s9, s25
	s_waitcnt lgkmcnt(0)
	s_mul_i32 s30, s10, s2
	s_sub_i32 s3, s8, s3
	s_ashr_i32 s31, s30, 31
	s_xor_b32 s2, s16, s23
	s_add_i32 s6, s9, 1
	s_sub_i32 s7, s3, s25
	s_cmp_ge_u32 s3, s25
	s_cselect_b32 s6, s6, s9
	s_cselect_b32 s3, s7, s3
	s_add_i32 s7, s6, 1
	s_cmp_ge_u32 s3, s25
	s_cselect_b32 s3, s7, s6
	s_xor_b32 s3, s3, s2
	s_sub_i32 s43, s3, s2
	s_add_i32 s2, s33, 31
	s_ashr_i32 s3, s2, 31
	s_lshr_b32 s3, s3, 27
	s_add_i32 s2, s2, s3
	s_ashr_i32 s20, s2, 5
	v_lshrrev_b32_e32 v1, 6, v0
	v_cmp_gt_i32_e64 s[6:7], s20, v1
	v_mov_b32_e32 v45, 0xff7fffff
	s_mul_i32 s44, s44, s18
	v_lshrrev_b32_e32 v41, 4, v0
	v_lshlrev_b32_e32 v60, 5, v1
	v_mbcnt_lo_u32_b32 v42, -1, 0
	s_and_saveexec_b64 s[18:19], s[6:7]
	s_cbranch_execz .LBB202_19
; %bb.10:
	s_load_dwordx2 s[0:1], s[0:1], 0x10
	s_sub_i32 s46, s43, s21
	s_ashr_i32 s2, s44, 31
	v_bfe_u32 v43, v0, 1, 5
	v_mov_b32_e32 v35, 0
	s_waitcnt lgkmcnt(0)
	s_add_u32 s0, s0, s44
	s_addc_u32 s1, s1, s2
	s_abs_i32 s47, s22
	v_cvt_f32_u32_e32 v3, s47
	v_lshlrev_b32_e32 v34, 4, v43
	v_lshl_add_u64 v[36:37], s[0:1], 0, v[34:35]
	s_sub_i32 s0, 0, s47
	v_rcp_iflag_f32_e32 v3, v3
	v_cmp_eq_u32_e32 vcc, 0, v2
	v_mul_u32_u24_e32 v44, 0xa0, v2
	v_lshlrev_b32_e32 v34, 1, v2
	v_mul_f32_e32 v3, 0x4f7ffffe, v3
	v_cvt_u32_f32_e32 v3, v3
	v_mbcnt_hi_u32_b32 v51, -1, v42
	s_mov_b32 s48, s17
	v_cmp_neq_f32_e64 s[2:3], s45, 0
	v_mul_lo_u32 v2, s0, v3
	s_lshl_b64 s[0:1], s[30:31], 2
	v_mul_hi_u32 v2, v3, v2
	s_add_u32 s0, s28, s0
	v_add_u32_e32 v46, v3, v2
	v_and_b32_e32 v2, 60, v41
	v_mov_b32_e32 v3, v35
	s_addc_u32 s1, s29, s1
	v_lshl_add_u64 v[38:39], s[0:1], 0, v[2:3]
	v_lshlrev_b32_e32 v2, 2, v43
	v_lshl_or_b32 v2, v1, 7, v2
	v_add_u32_e32 v48, 0x150, v2
	v_subrev_u32_e32 v2, s33, v43
	v_add_u32_e32 v49, 1, v2
	v_and_b32_e32 v2, 64, v51
	v_lshlrev_b32_e32 v47, 5, v1
	s_mov_b64 s[38:39], 0
	v_mov_b32_e32 v50, 0xff7fffff
	v_xor_b32_e32 v52, 1, v51
	v_add_u32_e32 v53, 64, v2
	v_mov_b32_e32 v45, 0xff7fffff
	v_mov_b32_e32 v54, v1
	s_branch .LBB202_13
.LBB202_11:                             ;   in Loop: Header=BB202_13 Depth=1
	s_or_b64 exec, exec, s[40:41]
.LBB202_12:                             ;   in Loop: Header=BB202_13 Depth=1
	s_or_b64 exec, exec, s[8:9]
	v_add_u32_e32 v54, 2, v54
	v_cmp_le_i32_e64 s[0:1], s20, v54
	v_lshl_add_u64 v[38:39], v[38:39], 0, 8
	v_add_u32_e32 v47, 64, v47
	s_or_b64 s[38:39], s[0:1], s[38:39]
	v_add_u32_e32 v48, 0x100, v48
	s_andn2_b64 exec, exec, s[38:39]
	s_cbranch_execz .LBB202_18
.LBB202_13:                             ; =>This Inner Loop Header: Depth=1
	v_mul_hi_u32 v2, v47, s42
	s_waitcnt lgkmcnt(0)
	v_mul_lo_u32 v3, v2, s25
	v_sub_u32_e32 v3, v47, v3
	v_add_u32_e32 v4, 1, v2
	v_cmp_le_u32_e64 s[0:1], s25, v3
	s_nop 1
	v_cndmask_b32_e64 v2, v2, v4, s[0:1]
	v_subrev_u32_e32 v4, s25, v3
	v_cndmask_b32_e64 v3, v3, v4, s[0:1]
	v_add_u32_e32 v4, 1, v2
	v_cmp_le_u32_e64 s[0:1], s25, v3
	s_nop 1
	v_cndmask_b32_e64 v2, v2, v4, s[0:1]
	v_xor_b32_e32 v2, s23, v2
	v_subrev_u32_e32 v2, s23, v2
	v_add_u32_e32 v3, s36, v2
	v_sub_u32_e32 v5, 0, v3
	v_ashrrev_i32_e32 v4, 31, v3
	v_max_i32_e32 v3, v3, v5
	v_mul_hi_u32 v5, v3, v46
	v_mul_lo_u32 v5, v5, s47
	v_sub_u32_e32 v3, v3, v5
	v_subrev_u32_e32 v5, s47, v3
	v_cmp_le_u32_e64 s[0:1], s47, v3
	v_cmp_ge_i32_e64 s[8:9], s46, v2
	s_nop 0
	v_cndmask_b32_e64 v3, v3, v5, s[0:1]
	v_subrev_u32_e32 v5, s47, v3
	v_cmp_le_u32_e64 s[0:1], s47, v3
	s_nop 1
	v_cndmask_b32_e64 v3, v3, v5, s[0:1]
	v_xor_b32_e32 v3, v3, v4
	v_sub_u32_e32 v3, v3, v4
	v_cmp_ne_u32_e64 s[0:1], 0, v3
	s_and_b64 s[0:1], s[0:1], s[8:9]
	s_and_b64 s[40:41], vcc, s[0:1]
	s_and_saveexec_b64 s[8:9], s[40:41]
	s_cbranch_execz .LBB202_15
; %bb.14:                               ;   in Loop: Header=BB202_13 Depth=1
	ds_write_b32 v48, v50
.LBB202_15:                             ;   in Loop: Header=BB202_13 Depth=1
	s_or_b64 exec, exec, s[8:9]
	s_xor_b64 s[0:1], s[0:1], -1
	s_and_saveexec_b64 s[8:9], s[0:1]
	s_cbranch_execz .LBB202_12
; %bb.16:                               ;   in Loop: Header=BB202_13 Depth=1
	global_load_dword v2, v[38:39], off
	s_waitcnt vmcnt(0)
	v_mad_i64_i32 v[2:3], s[0:1], v2, s48, v[36:37]
	v_lshl_add_u64 v[2:3], v[2:3], 0, v[34:35]
	global_load_ushort v55, v[2:3], off offset:8
	global_load_ushort v61, v[2:3], off offset:12
	;; [unrolled: 1-line block ×7, first 2 shown]
	global_load_ushort v68, v[2:3], off
	global_load_ushort v78, v[2:3], off offset:1024
	global_load_ushort v79, v[2:3], off offset:1028
	;; [unrolled: 1-line block ×12, first 2 shown]
	v_cmp_lt_i32_e64 s[0:1], v52, v53
	ds_read_b128 v[56:59], v44
	ds_read_b128 v[62:65], v44 offset:16
	ds_read_b128 v[14:17], v44 offset:32
	;; [unrolled: 1-line block ×3, first 2 shown]
	s_load_dword s16, s[12:13], 0x0
	v_cndmask_b32_e64 v67, v51, v52, s[0:1]
	v_lshlrev_b32_e32 v90, 2, v67
	ds_read_b128 v[6:9], v44 offset:64
	ds_read_b128 v[2:5], v44 offset:80
	;; [unrolled: 1-line block ×6, first 2 shown]
	s_waitcnt vmcnt(19)
	v_cvt_pk_f32_fp8_e32 v[70:71], v55
	s_waitcnt vmcnt(18)
	v_cvt_pk_f32_fp8_e32 v[72:73], v61
	s_waitcnt lgkmcnt(0)
	v_pk_mul_f32 v[70:71], s[16:17], v[70:71] op_sel_hi:[0,1]
	v_pk_mul_f32 v[72:73], s[16:17], v[72:73] op_sel_hi:[0,1]
	s_waitcnt vmcnt(13)
	v_cvt_pk_f32_fp8_e32 v[66:67], v66
	s_waitcnt vmcnt(12)
	v_cvt_pk_f32_fp8_e32 v[68:69], v68
	v_pk_mul_f32 v[66:67], s[16:17], v[66:67] op_sel_hi:[0,1]
	v_mul_f32_e32 v55, v58, v66
	v_mul_f32_e32 v61, v59, v67
	v_cvt_pk_f32_fp8_e32 v[58:59], v74
	v_pk_mul_f32 v[66:67], s[16:17], v[68:69] op_sel_hi:[0,1]
	v_fmac_f32_e32 v55, v56, v66
	v_fmac_f32_e32 v61, v57, v67
	v_cvt_pk_f32_fp8_e32 v[56:57], v75
	v_cvt_pk_f32_fp8_e32 v[66:67], v76
	;; [unrolled: 1-line block ×3, first 2 shown]
	v_fmac_f32_e32 v55, v62, v70
	v_fmac_f32_e32 v61, v63, v71
	s_waitcnt vmcnt(11)
	v_cvt_pk_f32_fp8_e32 v[74:75], v78
	v_fmac_f32_e32 v55, v64, v72
	v_fmac_f32_e32 v61, v65, v73
	v_pk_mul_f32 v[58:59], s[16:17], v[58:59] op_sel_hi:[0,1]
	s_waitcnt vmcnt(10)
	v_cvt_pk_f32_fp8_e32 v[76:77], v79
	v_fmac_f32_e32 v55, v14, v58
	v_fmac_f32_e32 v61, v15, v59
	v_pk_mul_f32 v[56:57], s[16:17], v[56:57] op_sel_hi:[0,1]
	s_waitcnt vmcnt(9)
	v_cvt_pk_f32_fp8_e32 v[78:79], v80
	v_pk_mul_f32 v[58:59], s[16:17], v[66:67] op_sel_hi:[0,1]
	v_fmac_f32_e32 v55, v16, v56
	v_fmac_f32_e32 v61, v17, v57
	s_waitcnt vmcnt(8)
	v_cvt_pk_f32_fp8_e32 v[62:63], v81
	v_pk_mul_f32 v[66:67], s[16:17], v[68:69] op_sel_hi:[0,1]
	v_fmac_f32_e32 v55, v10, v58
	v_fmac_f32_e32 v61, v11, v59
	;; [unrolled: 5-line block ×10, first 2 shown]
	v_pk_mul_f32 v[80:81], s[16:17], v[82:83] op_sel_hi:[0,1]
	v_fmac_f32_e32 v55, v24, v78
	v_fmac_f32_e32 v61, v25, v79
	v_pk_mul_f32 v[82:83], s[16:17], v[84:85] op_sel_hi:[0,1]
	v_fmac_f32_e32 v55, v30, v80
	v_fmac_f32_e32 v61, v31, v81
	;; [unrolled: 3-line block ×4, first 2 shown]
	v_fmac_f32_e32 v55, v28, v14
	v_fmac_f32_e32 v61, v29, v15
	v_add_f32_e32 v2, v55, v61
	ds_bpermute_b32 v3, v90, v2
	s_and_saveexec_b64 s[40:41], vcc
	s_cbranch_execz .LBB202_11
; %bb.17:                               ;   in Loop: Header=BB202_13 Depth=1
	v_add_u32_e32 v4, v49, v47
	v_cvt_f32_i32_e32 v4, v4
	s_waitcnt lgkmcnt(0)
	v_add_f32_e32 v2, v2, v3
	v_add_u32_e32 v5, v43, v47
	v_cmp_gt_i32_e64 s[0:1], s33, v5
	v_mul_f32_e32 v3, s45, v4
	v_cndmask_b32_e64 v3, 0, v3, s[2:3]
	v_fmac_f32_e32 v3, s37, v2
	v_cndmask_b32_e64 v2, 0, v3, s[0:1]
	ds_write_b32 v48, v2
	v_max_f32_e32 v2, v45, v45
	v_max_f32_e32 v2, v2, v3
	v_cndmask_b32_e64 v45, v45, v2, s[0:1]
	s_branch .LBB202_11
.LBB202_18:
	s_or_b64 exec, exec, s[38:39]
.LBB202_19:
	s_or_b64 exec, exec, s[18:19]
	v_mbcnt_hi_u32_b32 v7, -1, v42
	v_and_b32_e32 v2, 64, v7
	v_add_u32_e32 v8, 64, v2
	v_xor_b32_e32 v2, 32, v7
	v_cmp_lt_i32_e32 vcc, v2, v8
	v_xor_b32_e32 v5, 16, v7
	v_max_f32_e32 v4, v45, v45
	v_cndmask_b32_e32 v2, v7, v2, vcc
	v_lshlrev_b32_e32 v2, 2, v2
	s_waitcnt lgkmcnt(0)
	ds_bpermute_b32 v3, v2, v45
	v_cmp_lt_i32_e32 vcc, v5, v8
	v_xor_b32_e32 v6, 8, v7
	v_xor_b32_e32 v9, 4, v7
	v_and_b32_e32 v61, 63, v0
	s_waitcnt lgkmcnt(0)
	v_max_f32_e32 v3, v3, v3
	v_max_f32_e32 v4, v4, v3
	v_cndmask_b32_e32 v3, v7, v5, vcc
	v_lshlrev_b32_e32 v3, 2, v3
	ds_bpermute_b32 v5, v3, v4
	v_cmp_lt_i32_e32 vcc, v6, v8
	s_waitcnt lgkmcnt(0)
	v_max_f32_e32 v5, v5, v5
	v_max_f32_e32 v5, v4, v5
	v_cndmask_b32_e32 v4, v7, v6, vcc
	v_lshlrev_b32_e32 v4, 2, v4
	ds_bpermute_b32 v6, v4, v5
	v_cmp_lt_i32_e32 vcc, v9, v8
	s_waitcnt lgkmcnt(0)
	v_max_f32_e32 v6, v6, v6
	v_max_f32_e32 v5, v5, v6
	v_cndmask_b32_e32 v6, v7, v9, vcc
	v_lshlrev_b32_e32 v62, 2, v6
	ds_bpermute_b32 v6, v62, v5
	v_xor_b32_e32 v9, 2, v7
	v_cmp_lt_i32_e32 vcc, v9, v8
	s_waitcnt lgkmcnt(0)
	v_max_f32_e32 v6, v6, v6
	v_max_f32_e32 v6, v5, v6
	v_cndmask_b32_e32 v5, v7, v9, vcc
	v_lshlrev_b32_e32 v63, 2, v5
	ds_bpermute_b32 v9, v63, v6
	v_cmp_eq_u32_e32 vcc, 0, v61
	v_lshlrev_b32_e32 v5, 2, v1
	s_and_saveexec_b64 s[0:1], vcc
	s_cbranch_execz .LBB202_21
; %bb.20:
	s_waitcnt lgkmcnt(0)
	v_max_f32_e32 v9, v9, v9
	v_max_f32_e32 v6, v6, v6
	;; [unrolled: 1-line block ×3, first 2 shown]
	ds_write_b32 v5, v6 offset:320
.LBB202_21:
	s_or_b64 exec, exec, s[0:1]
	v_cmp_gt_u32_e64 s[0:1], 2, v61
	s_waitcnt lgkmcnt(0)
	v_mov_b32_e32 v9, 0xff7fffff
	v_lshlrev_b32_e32 v6, 2, v61
	s_barrier
	s_and_saveexec_b64 s[2:3], s[0:1]
	s_cbranch_execz .LBB202_23
; %bb.22:
	ds_read_b32 v9, v6 offset:320
.LBB202_23:
	s_or_b64 exec, exec, s[2:3]
	v_xor_b32_e32 v10, 1, v7
	v_cmp_lt_i32_e64 s[2:3], v10, v8
	s_nop 1
	v_cndmask_b32_e64 v8, v7, v10, s[2:3]
	v_lshlrev_b32_e32 v64, 2, v8
	s_waitcnt lgkmcnt(0)
	ds_bpermute_b32 v8, v64, v9
	v_max_f32_e32 v9, v9, v9
	v_lshlrev_b32_e32 v7, 2, v7
	v_and_b32_e32 v7, 0x100, v7
	s_lshl_b32 s2, s20, 5
	s_waitcnt lgkmcnt(0)
	v_max_f32_e32 v8, v8, v8
	v_max_f32_e32 v8, v9, v8
	ds_bpermute_b32 v9, v7, v8
	s_min_i32 s16, s2, s33
	v_cmp_gt_i32_e64 s[2:3], s16, v0
	v_mov_b32_e32 v8, 0
	s_and_saveexec_b64 s[12:13], s[2:3]
	s_cbranch_execz .LBB202_27
; %bb.24:
	v_mov_b32_e32 v8, 0x150
	v_lshl_add_u32 v10, v0, 2, v8
	s_mov_b64 s[18:19], 0
	v_mov_b32_e32 v8, 0
	v_mov_b32_e32 v11, v0
.LBB202_25:                             ; =>This Inner Loop Header: Depth=1
	ds_read_b32 v12, v10
	v_add_u32_e32 v11, 0x80, v11
	v_cmp_le_i32_e64 s[8:9], s16, v11
	s_or_b64 s[18:19], s[8:9], s[18:19]
	s_waitcnt lgkmcnt(0)
	v_sub_f32_e32 v12, v12, v9
	v_mul_f32_e32 v12, 0x3fb8aa3b, v12
	v_exp_f32_e32 v12, v12
	ds_write_b32 v10, v12
	v_add_f32_e32 v8, v8, v12
	v_add_u32_e32 v10, 0x200, v10
	s_andn2_b64 exec, exec, s[18:19]
	s_cbranch_execnz .LBB202_25
; %bb.26:
	s_or_b64 exec, exec, s[18:19]
.LBB202_27:
	s_or_b64 exec, exec, s[12:13]
	ds_bpermute_b32 v2, v2, v8
	s_waitcnt lgkmcnt(0)
	v_add_f32_e32 v2, v8, v2
	ds_bpermute_b32 v3, v3, v2
	s_waitcnt lgkmcnt(0)
	v_add_f32_e32 v2, v2, v3
	ds_bpermute_b32 v3, v4, v2
	s_waitcnt lgkmcnt(0)
	v_add_f32_e32 v2, v2, v3
	ds_bpermute_b32 v3, v62, v2
	s_waitcnt lgkmcnt(0)
	v_add_f32_e32 v2, v2, v3
	ds_bpermute_b32 v3, v63, v2
	s_waitcnt lgkmcnt(0)
	v_add_f32_e32 v2, v2, v3
	ds_bpermute_b32 v3, v64, v2
	s_waitcnt lgkmcnt(0)
	v_add_f32_e32 v2, v2, v3
	s_and_saveexec_b64 s[8:9], vcc
	s_cbranch_execz .LBB202_29
; %bb.28:
	ds_write_b32 v5, v2 offset:328
.LBB202_29:
	s_or_b64 exec, exec, s[8:9]
	s_waitcnt lgkmcnt(0)
	s_barrier
	s_and_saveexec_b64 s[8:9], s[0:1]
	s_cbranch_execz .LBB202_31
; %bb.30:
	ds_read_b32 v2, v6 offset:328
.LBB202_31:
	s_or_b64 exec, exec, s[8:9]
	s_waitcnt lgkmcnt(0)
	ds_bpermute_b32 v3, v64, v2
	s_waitcnt lgkmcnt(0)
	v_add_f32_e32 v2, v2, v3
	ds_bpermute_b32 v2, v7, v2
	s_and_saveexec_b64 s[0:1], s[2:3]
	s_cbranch_execz .LBB202_44
; %bb.32:
	s_waitcnt lgkmcnt(0)
	v_add_f32_e32 v2, 0x358637bd, v2
	v_div_scale_f32 v3, s[2:3], v2, v2, 1.0
	v_rcp_f32_e32 v4, v3
	v_div_scale_f32 v5, vcc, 1.0, v2, 1.0
	s_movk_i32 s2, 0x7f
	v_fma_f32 v6, -v3, v4, 1.0
	v_fmac_f32_e32 v4, v6, v4
	v_mul_f32_e32 v6, v5, v4
	v_fma_f32 v7, -v3, v6, v5
	v_fmac_f32_e32 v6, v7, v4
	v_fma_f32 v3, -v3, v6, v5
	v_div_fmas_f32 v3, v3, v4, v6
	v_xad_u32 v4, v0, -1, s16
	v_div_fixup_f32 v2, v3, v2, 1.0
	v_cmp_lt_u32_e32 vcc, s2, v4
	s_mov_b64 s[8:9], -1
	v_mov_b32_e32 v3, v0
	s_and_saveexec_b64 s[2:3], vcc
	s_cbranch_execz .LBB202_41
; %bb.33:
	v_lshrrev_b32_e32 v4, 7, v4
	v_add_u32_e32 v6, -1, v4
	v_lshrrev_b32_e32 v5, 1, v6
	v_mov_b32_e32 v3, v2
	v_add_u32_e32 v5, 1, v5
	v_cmp_lt_u32_e32 vcc, 13, v6
	v_mov_b32_e32 v8, 0
	s_and_saveexec_b64 s[8:9], vcc
	s_cbranch_execz .LBB202_37
; %bb.34:
	v_mov_b32_e32 v7, 0x150
	v_and_b32_e32 v6, -8, v5
	v_lshl_add_u32 v7, v0, 2, v7
	s_mov_b32 s18, 0
	s_mov_b64 s[12:13], 0
.LBB202_35:                             ; =>This Inner Loop Header: Depth=1
	ds_read2st64_b32 v[8:9], v7 offset1:2
	ds_read2st64_b32 v[10:11], v7 offset0:4 offset1:6
	ds_read2st64_b32 v[12:13], v7 offset0:8 offset1:10
	;; [unrolled: 1-line block ×3, first 2 shown]
	v_add_u32_e32 v6, -8, v6
	s_waitcnt lgkmcnt(3)
	v_pk_mul_f32 v[8:9], v[2:3], v[8:9]
	s_waitcnt lgkmcnt(2)
	v_pk_mul_f32 v[10:11], v[2:3], v[10:11]
	ds_write2st64_b32 v7, v8, v9 offset1:2
	ds_write2st64_b32 v7, v10, v11 offset0:4 offset1:6
	ds_read2st64_b32 v[10:11], v7 offset0:16 offset1:18
	s_waitcnt lgkmcnt(4)
	v_pk_mul_f32 v[8:9], v[2:3], v[12:13]
	ds_write2st64_b32 v7, v8, v9 offset0:8 offset1:10
	s_waitcnt lgkmcnt(4)
	v_pk_mul_f32 v[8:9], v[2:3], v[14:15]
	ds_write2st64_b32 v7, v8, v9 offset0:12 offset1:14
	ds_read2st64_b32 v[8:9], v7 offset0:20 offset1:22
	s_waitcnt lgkmcnt(3)
	v_pk_mul_f32 v[10:11], v[2:3], v[10:11]
	ds_read2st64_b32 v[12:13], v7 offset0:24 offset1:26
	ds_write2st64_b32 v7, v10, v11 offset0:16 offset1:18
	ds_read2st64_b32 v[10:11], v7 offset0:28 offset1:30
	s_waitcnt lgkmcnt(3)
	v_pk_mul_f32 v[8:9], v[2:3], v[8:9]
	ds_write2st64_b32 v7, v8, v9 offset0:20 offset1:22
	s_waitcnt lgkmcnt(3)
	v_pk_mul_f32 v[8:9], v[2:3], v[12:13]
	ds_write2st64_b32 v7, v8, v9 offset0:24 offset1:26
	s_waitcnt lgkmcnt(2)
	v_pk_mul_f32 v[8:9], v[2:3], v[10:11]
	s_add_i32 s18, s18, 16
	v_cmp_eq_u32_e32 vcc, 0, v6
	ds_write2st64_b32 v7, v8, v9 offset0:28 offset1:30
	v_add_u32_e32 v7, 0x2000, v7
	s_or_b64 s[12:13], vcc, s[12:13]
	v_mov_b32_e32 v8, s18
	s_andn2_b64 exec, exec, s[12:13]
	s_cbranch_execnz .LBB202_35
; %bb.36:
	s_or_b64 exec, exec, s[12:13]
.LBB202_37:
	s_or_b64 exec, exec, s[8:9]
	v_and_b32_e32 v5, 7, v5
	v_cmp_ne_u32_e32 vcc, 0, v5
	s_and_saveexec_b64 s[8:9], vcc
	s_cbranch_execz .LBB202_40
; %bb.38:
	v_lshlrev_b32_e32 v6, 9, v8
	s_movk_i32 s12, 0x150
	v_add3_u32 v6, v6, v40, s12
	s_mov_b64 s[12:13], 0
.LBB202_39:                             ; =>This Inner Loop Header: Depth=1
	ds_read2st64_b32 v[8:9], v6 offset1:2
	v_add_u32_e32 v5, -1, v5
	v_cmp_eq_u32_e32 vcc, 0, v5
	s_or_b64 s[12:13], vcc, s[12:13]
	s_waitcnt lgkmcnt(0)
	v_pk_mul_f32 v[8:9], v[2:3], v[8:9]
	ds_write2st64_b32 v6, v8, v9 offset1:2
	v_add_u32_e32 v6, 0x400, v6
	s_andn2_b64 exec, exec, s[12:13]
	s_cbranch_execnz .LBB202_39
.LBB202_40:
	s_or_b64 exec, exec, s[8:9]
	v_add_u32_e32 v4, 1, v4
	v_and_b32_e32 v5, 0x3fffffe, v4
	v_cmp_ne_u32_e32 vcc, v4, v5
	v_lshl_add_u32 v3, v5, 7, v0
	s_orn2_b64 s[8:9], vcc, exec
.LBB202_41:
	s_or_b64 exec, exec, s[2:3]
	s_and_b64 exec, exec, s[8:9]
	s_cbranch_execz .LBB202_44
; %bb.42:
	v_mov_b32_e32 v4, 0x150
	v_lshl_add_u32 v4, v3, 2, v4
	s_mov_b64 s[2:3], 0
.LBB202_43:                             ; =>This Inner Loop Header: Depth=1
	ds_read_b32 v5, v4
	v_add_u32_e32 v3, 0x80, v3
	v_cmp_le_i32_e32 vcc, s16, v3
	s_or_b64 s[2:3], vcc, s[2:3]
	s_waitcnt lgkmcnt(0)
	v_mul_f32_e32 v5, v2, v5
	ds_write_b32 v4, v5
	v_add_u32_e32 v4, 0x200, v4
	s_andn2_b64 exec, exec, s[2:3]
	s_cbranch_execnz .LBB202_43
.LBB202_44:
	s_or_b64 exec, exec, s[0:1]
	v_mov_b32_e32 v7, 0
	v_and_b32_e32 v65, 7, v0
	v_mov_b32_e32 v6, 0
	v_mov_b32_e32 v9, 0
	v_mov_b32_e32 v8, 0
	v_mov_b32_e32 v11, 0
	v_mov_b32_e32 v10, 0
	v_mov_b32_e32 v13, 0
	v_mov_b32_e32 v12, 0
	v_mov_b32_e32 v15, 0
	v_mov_b32_e32 v14, 0
	s_waitcnt lgkmcnt(0)
	s_barrier
	s_and_saveexec_b64 s[2:3], s[6:7]
	s_cbranch_execz .LBB202_70
; %bb.45:
	s_sub_i32 s18, s43, s21
	s_ashr_i32 s1, s44, 31
	s_add_u32 s0, s34, s44
	s_addc_u32 s1, s35, s1
	s_abs_i32 s19, s22
	v_cvt_f32_u32_e32 v2, s19
	s_sub_i32 s6, 0, s19
	v_and_b32_e32 v6, 0xfc, v40
	v_mov_b32_e32 v7, 0
	v_rcp_iflag_f32_e32 v2, v2
	s_add_i32 s22, s20, -1
	v_lshl_add_u64 v[16:17], s[0:1], 0, v[6:7]
	s_lshl_b64 s[0:1], s[30:31], 2
	v_mul_f32_e32 v2, 0x4f7ffffe, v2
	v_cvt_u32_f32_e32 v2, v2
	s_add_u32 s0, s28, s0
	v_and_b32_e32 v6, 60, v41
	s_addc_u32 s1, s29, s1
	v_mul_lo_u32 v3, s6, v2
	v_mul_hi_u32 v3, v2, v3
	v_add_u32_e32 v67, v2, v3
	v_lshlrev_b32_e32 v2, 4, v65
	v_lshl_or_b32 v2, v1, 7, v2
	v_and_b32_e32 v66, 28, v40
	s_mov_b32 s21, s17
	v_lshl_add_u64 v[18:19], s[0:1], 0, v[6:7]
	v_add_u32_e32 v68, 0x150, v2
	s_mov_b64 s[6:7], 0
	v_mov_b32_e32 v6, v7
	v_mov_b32_e32 v9, v7
	;; [unrolled: 1-line block ×9, first 2 shown]
	s_branch .LBB202_48
.LBB202_46:                             ;   in Loop: Header=BB202_48 Depth=1
	s_or_b64 exec, exec, s[0:1]
	v_mul_f32_e32 v59, v3, v59
	v_mul_f32_e32 v53, v3, v53
	;; [unrolled: 1-line block ×10, first 2 shown]
	v_fmac_f32_e32 v59, v2, v58
	v_fmac_f32_e32 v53, v2, v52
	;; [unrolled: 1-line block ×30, first 2 shown]
	v_add_f32_e32 v6, v6, v59
	v_add_f32_e32 v9, v9, v53
	;; [unrolled: 1-line block ×10, first 2 shown]
.LBB202_47:                             ;   in Loop: Header=BB202_48 Depth=1
	s_or_b64 exec, exec, s[8:9]
	v_add_u32_e32 v1, 2, v1
	v_cmp_le_i32_e32 vcc, s20, v1
	v_lshl_add_u64 v[18:19], v[18:19], 0, 8
	v_add_u32_e32 v60, 64, v60
	s_or_b64 s[6:7], vcc, s[6:7]
	v_add_u32_e32 v68, 0x100, v68
	s_andn2_b64 exec, exec, s[6:7]
	s_cbranch_execz .LBB202_69
.LBB202_48:                             ; =>This Inner Loop Header: Depth=1
	v_mul_hi_u32 v2, v60, s42
	v_mul_lo_u32 v3, v2, s25
	v_sub_u32_e32 v3, v60, v3
	v_add_u32_e32 v4, 1, v2
	v_cmp_le_u32_e32 vcc, s25, v3
	s_nop 1
	v_cndmask_b32_e32 v2, v2, v4, vcc
	v_subrev_u32_e32 v4, s25, v3
	v_cndmask_b32_e32 v3, v3, v4, vcc
	v_add_u32_e32 v4, 1, v2
	v_cmp_le_u32_e32 vcc, s25, v3
	s_nop 1
	v_cndmask_b32_e32 v2, v2, v4, vcc
	v_xor_b32_e32 v2, s23, v2
	v_subrev_u32_e32 v2, s23, v2
	v_add_u32_e32 v3, s36, v2
	v_sub_u32_e32 v5, 0, v3
	v_ashrrev_i32_e32 v4, 31, v3
	v_max_i32_e32 v3, v3, v5
	v_mul_hi_u32 v5, v3, v67
	v_mul_lo_u32 v5, v5, s19
	v_sub_u32_e32 v3, v3, v5
	v_subrev_u32_e32 v5, s19, v3
	v_cmp_le_u32_e32 vcc, s19, v3
	v_cmp_lt_i32_e64 s[0:1], s18, v2
	s_nop 0
	v_cndmask_b32_e32 v3, v3, v5, vcc
	v_subrev_u32_e32 v5, s19, v3
	v_cmp_le_u32_e32 vcc, s19, v3
	s_nop 1
	v_cndmask_b32_e32 v3, v3, v5, vcc
	v_xor_b32_e32 v3, v3, v4
	v_sub_u32_e32 v3, v3, v4
	v_cmp_eq_u32_e32 vcc, 0, v3
	s_or_b64 s[0:1], vcc, s[0:1]
	s_and_saveexec_b64 s[8:9], s[0:1]
	s_cbranch_execz .LBB202_47
; %bb.49:                               ;   in Loop: Header=BB202_48 Depth=1
	global_load_dword v2, v[18:19], off
	s_load_dword s12, s[14:15], 0x0
	v_add_u32_e32 v69, v66, v60
	v_cmp_eq_u32_e32 vcc, s22, v1
	v_add_u32_e32 v71, 1, v69
	v_add_u32_e32 v70, 2, v69
	v_add_u32_e32 v72, 3, v69
	s_waitcnt vmcnt(0)
	v_mad_i64_i32 v[28:29], s[0:1], v2, s21, v[16:17]
	global_load_dword v20, v[28:29], off
	ds_read_b128 v[2:5], v68
	s_waitcnt vmcnt(0)
	v_and_b32_e32 v21, 0xffff, v20
	v_lshrrev_b32_e32 v22, 16, v20
	v_cvt_pk_f32_fp8_e32 v[20:21], v21
	v_cvt_pk_f32_fp8_e32 v[24:25], v22
	s_waitcnt lgkmcnt(0)
	v_pk_mul_f32 v[22:23], s[12:13], v[20:21] op_sel_hi:[0,1]
	v_pk_mul_f32 v[20:21], s[12:13], v[24:25] op_sel_hi:[0,1]
	s_and_saveexec_b64 s[16:17], vcc
; %bb.50:                               ;   in Loop: Header=BB202_48 Depth=1
	v_cmp_gt_i32_e64 s[0:1], s33, v69
	s_nop 1
	v_cndmask_b32_e64 v22, 0, v22, s[0:1]
	v_cmp_gt_i32_e64 s[0:1], s33, v71
	s_nop 1
	v_cndmask_b32_e64 v23, 0, v23, s[0:1]
	;; [unrolled: 3-line block ×4, first 2 shown]
; %bb.51:                               ;   in Loop: Header=BB202_48 Depth=1
	s_or_b64 exec, exec, s[16:17]
	global_load_dword v24, v[28:29], off offset:256
	s_mov_b32 s13, s12
	s_waitcnt vmcnt(0)
	v_and_b32_e32 v25, 0xffff, v24
	v_lshrrev_b32_e32 v26, 16, v24
	v_cvt_pk_f32_fp8_e32 v[24:25], v25
	v_cvt_pk_f32_fp8_e32 v[30:31], v26
	v_pk_mul_f32 v[26:27], s[12:13], v[24:25]
	v_pk_mul_f32 v[24:25], s[12:13], v[30:31]
	s_and_saveexec_b64 s[16:17], vcc
; %bb.52:                               ;   in Loop: Header=BB202_48 Depth=1
	v_cmp_gt_i32_e64 s[0:1], s33, v69
	s_nop 1
	v_cndmask_b32_e64 v26, 0, v26, s[0:1]
	v_cmp_gt_i32_e64 s[0:1], s33, v71
	s_nop 1
	v_cndmask_b32_e64 v27, 0, v27, s[0:1]
	v_cmp_gt_i32_e64 s[0:1], s33, v70
	s_nop 1
	v_cndmask_b32_e64 v24, 0, v24, s[0:1]
	v_cmp_gt_i32_e64 s[0:1], s33, v72
	s_nop 1
	v_cndmask_b32_e64 v25, 0, v25, s[0:1]
; %bb.53:                               ;   in Loop: Header=BB202_48 Depth=1
	s_or_b64 exec, exec, s[16:17]
	global_load_dword v30, v[28:29], off offset:512
	s_waitcnt vmcnt(0)
	v_and_b32_e32 v31, 0xffff, v30
	v_lshrrev_b32_e32 v32, 16, v30
	v_cvt_pk_f32_fp8_e32 v[30:31], v31
	v_cvt_pk_f32_fp8_e32 v[34:35], v32
	v_pk_mul_f32 v[32:33], s[12:13], v[30:31]
	v_pk_mul_f32 v[30:31], s[12:13], v[34:35]
	s_and_saveexec_b64 s[16:17], vcc
; %bb.54:                               ;   in Loop: Header=BB202_48 Depth=1
	v_cmp_gt_i32_e64 s[0:1], s33, v69
	s_nop 1
	v_cndmask_b32_e64 v32, 0, v32, s[0:1]
	v_cmp_gt_i32_e64 s[0:1], s33, v71
	s_nop 1
	v_cndmask_b32_e64 v33, 0, v33, s[0:1]
	v_cmp_gt_i32_e64 s[0:1], s33, v70
	s_nop 1
	v_cndmask_b32_e64 v30, 0, v30, s[0:1]
	v_cmp_gt_i32_e64 s[0:1], s33, v72
	s_nop 1
	v_cndmask_b32_e64 v31, 0, v31, s[0:1]
; %bb.55:                               ;   in Loop: Header=BB202_48 Depth=1
	s_or_b64 exec, exec, s[16:17]
	global_load_dword v34, v[28:29], off offset:768
	;; [unrolled: 24-line block ×8, first 2 shown]
	s_waitcnt vmcnt(0)
	v_and_b32_e32 v29, 0xffff, v28
	v_lshrrev_b32_e32 v54, 16, v28
	v_cvt_pk_f32_fp8_e32 v[28:29], v29
	v_cvt_pk_f32_fp8_e32 v[74:75], v54
	v_pk_mul_f32 v[54:55], s[12:13], v[28:29]
	v_pk_mul_f32 v[28:29], s[12:13], v[74:75]
	s_and_saveexec_b64 s[0:1], vcc
	s_cbranch_execz .LBB202_46
; %bb.68:                               ;   in Loop: Header=BB202_48 Depth=1
	v_cmp_gt_i32_e32 vcc, s33, v69
	s_nop 1
	v_cndmask_b32_e32 v54, 0, v54, vcc
	v_cmp_gt_i32_e32 vcc, s33, v71
	s_nop 1
	v_cndmask_b32_e32 v55, 0, v55, vcc
	;; [unrolled: 3-line block ×4, first 2 shown]
	s_branch .LBB202_46
.LBB202_69:
	s_or_b64 exec, exec, s[6:7]
.LBB202_70:
	s_or_b64 exec, exec, s[2:3]
	ds_bpermute_b32 v2, v62, v14
	ds_bpermute_b32 v3, v62, v15
	;; [unrolled: 1-line block ×6, first 2 shown]
	s_waitcnt lgkmcnt(4)
	v_pk_add_f32 v[2:3], v[14:15], v[2:3]
	ds_bpermute_b32 v14, v63, v2
	ds_bpermute_b32 v15, v63, v3
	s_waitcnt lgkmcnt(4)
	v_pk_add_f32 v[4:5], v[12:13], v[4:5]
	s_waitcnt lgkmcnt(2)
	v_pk_add_f32 v[10:11], v[10:11], v[16:17]
	ds_bpermute_b32 v18, v62, v8
	ds_bpermute_b32 v19, v62, v9
	s_waitcnt lgkmcnt(2)
	v_pk_add_f32 v[2:3], v[2:3], v[14:15]
	ds_bpermute_b32 v14, v63, v4
	ds_bpermute_b32 v15, v63, v5
	;; [unrolled: 1-line block ×6, first 2 shown]
	s_waitcnt lgkmcnt(6)
	v_pk_add_f32 v[8:9], v[8:9], v[18:19]
	s_waitcnt lgkmcnt(4)
	v_pk_add_f32 v[4:5], v[4:5], v[14:15]
	;; [unrolled: 2-line block ×3, first 2 shown]
	ds_bpermute_b32 v16, v63, v8
	ds_bpermute_b32 v17, v63, v9
	s_waitcnt lgkmcnt(2)
	v_pk_add_f32 v[20:21], v[6:7], v[20:21]
	ds_bpermute_b32 v14, v64, v4
	ds_bpermute_b32 v15, v64, v5
	;; [unrolled: 1-line block ×8, first 2 shown]
	s_waitcnt lgkmcnt(8)
	v_pk_add_f32 v[16:17], v[8:9], v[16:17]
	ds_bpermute_b32 v22, v64, v16
	ds_bpermute_b32 v23, v64, v17
	s_waitcnt lgkmcnt(8)
	v_pk_add_f32 v[6:7], v[4:5], v[14:15]
	s_waitcnt lgkmcnt(6)
	v_pk_add_f32 v[4:5], v[10:11], v[18:19]
	;; [unrolled: 2-line block ×4, first 2 shown]
	ds_bpermute_b32 v12, v64, v10
	ds_bpermute_b32 v13, v64, v11
	v_and_b32_e32 v1, 0x3c7, v0
	s_waitcnt lgkmcnt(2)
	v_pk_add_f32 v[2:3], v[16:17], v[22:23]
	v_cmp_ne_u32_e32 vcc, 64, v1
	s_waitcnt lgkmcnt(0)
	s_barrier
	s_and_saveexec_b64 s[0:1], vcc
	s_xor_b64 s[0:1], exec, s[0:1]
; %bb.71:
                                        ; implicit-def: $vgpr61
; %bb.72:
	s_or_saveexec_b64 s[0:1], s[0:1]
	v_pk_add_f32 v[10:11], v[10:11], v[12:13]
	s_xor_b64 exec, exec, s[0:1]
	s_cbranch_execz .LBB202_74
; %bb.73:
	v_lshrrev_b32_e32 v12, 1, v61
	v_add_u32_e32 v12, 0x150, v12
	ds_write2_b32 v12, v8, v9 offset1:8
	ds_write2_b32 v12, v6, v7 offset0:16 offset1:24
	ds_write2_b32 v12, v4, v5 offset0:32 offset1:40
	;; [unrolled: 1-line block ×4, first 2 shown]
.LBB202_74:
	s_or_b64 exec, exec, s[0:1]
	v_cmp_gt_u32_e32 vcc, 64, v0
	s_waitcnt lgkmcnt(0)
	s_barrier
	s_and_saveexec_b64 s[0:1], vcc
	s_cbranch_execz .LBB202_87
; %bb.75:
	v_cmp_eq_u32_e32 vcc, 0, v65
	v_lshrrev_b32_e32 v12, 3, v0
	s_and_saveexec_b64 s[2:3], vcc
	s_cbranch_execnz .LBB202_90
; %bb.76:
	s_or_b64 exec, exec, s[2:3]
	s_and_saveexec_b64 s[2:3], vcc
	s_cbranch_execnz .LBB202_91
.LBB202_77:
	s_or_b64 exec, exec, s[2:3]
	s_and_saveexec_b64 s[2:3], vcc
	s_cbranch_execnz .LBB202_92
.LBB202_78:
	s_or_b64 exec, exec, s[2:3]
	s_and_saveexec_b64 s[2:3], vcc
	s_cbranch_execnz .LBB202_93
.LBB202_79:
	s_or_b64 exec, exec, s[2:3]
	s_and_saveexec_b64 s[2:3], vcc
	s_cbranch_execnz .LBB202_94
.LBB202_80:
	s_or_b64 exec, exec, s[2:3]
	s_and_saveexec_b64 s[2:3], vcc
	s_cbranch_execnz .LBB202_95
.LBB202_81:
	s_or_b64 exec, exec, s[2:3]
	s_and_saveexec_b64 s[2:3], vcc
	s_cbranch_execnz .LBB202_96
.LBB202_82:
	s_or_b64 exec, exec, s[2:3]
	s_and_saveexec_b64 s[2:3], vcc
	s_cbranch_execnz .LBB202_97
.LBB202_83:
	s_or_b64 exec, exec, s[2:3]
	s_and_saveexec_b64 s[2:3], vcc
	s_cbranch_execnz .LBB202_98
.LBB202_84:
	s_or_b64 exec, exec, s[2:3]
	s_and_saveexec_b64 s[2:3], vcc
	s_cbranch_execz .LBB202_86
.LBB202_85:
	v_mov_b32_e32 v13, 0x150
	v_lshl_add_u32 v12, v12, 2, v13
	ds_read_b32 v12, v12 offset:288
	s_waitcnt lgkmcnt(0)
	v_add_f32_e32 v11, v11, v12
.LBB202_86:
	s_or_b64 exec, exec, s[2:3]
.LBB202_87:
	s_or_b64 exec, exec, s[0:1]
	v_cmp_eq_u32_e32 vcc, 0, v1
	s_barrier
	s_and_saveexec_b64 s[0:1], vcc
	s_cbranch_execz .LBB202_89
; %bb.88:
	s_mul_i32 s0, s10, s11
	s_mul_i32 s0, s0, s5
	s_mulk_i32 s0, 0x50
	s_ashr_i32 s1, s0, 31
	s_lshl_b64 s[0:1], s[0:1], 2
	s_add_u32 s2, s26, s0
	s_mul_i32 s0, s11, s24
	s_addc_u32 s3, s27, s1
	s_ashr_i32 s1, s0, 31
	s_lshl_b64 s[0:1], s[0:1], 2
	s_add_u32 s2, s2, s0
	s_mul_i32 s0, s4, 0x50
	s_addc_u32 s3, s3, s1
	s_ashr_i32 s1, s0, 31
	s_lshl_b64 s[0:1], s[0:1], 2
	s_add_u32 s0, s2, s0
	s_addc_u32 s1, s3, s1
	v_lshrrev_b32_e32 v0, 1, v0
	global_store_dword v0, v8, s[0:1]
	global_store_dword v0, v9, s[0:1] offset:32
	global_store_dword v0, v6, s[0:1] offset:64
	;; [unrolled: 1-line block ×9, first 2 shown]
.LBB202_89:
	s_endpgm
.LBB202_90:
	v_mov_b32_e32 v13, 0x150
	v_lshl_add_u32 v13, v12, 2, v13
	ds_read_b32 v13, v13
	s_waitcnt lgkmcnt(0)
	v_add_f32_e32 v8, v8, v13
	s_or_b64 exec, exec, s[2:3]
	s_and_saveexec_b64 s[2:3], vcc
	s_cbranch_execz .LBB202_77
.LBB202_91:
	v_mov_b32_e32 v13, 0x150
	v_lshl_add_u32 v13, v12, 2, v13
	ds_read_b32 v13, v13 offset:32
	s_waitcnt lgkmcnt(0)
	v_add_f32_e32 v9, v9, v13
	s_or_b64 exec, exec, s[2:3]
	s_and_saveexec_b64 s[2:3], vcc
	s_cbranch_execz .LBB202_78
.LBB202_92:
	v_mov_b32_e32 v13, 0x150
	v_lshl_add_u32 v13, v12, 2, v13
	ds_read_b32 v13, v13 offset:64
	s_waitcnt lgkmcnt(0)
	v_add_f32_e32 v6, v6, v13
	s_or_b64 exec, exec, s[2:3]
	s_and_saveexec_b64 s[2:3], vcc
	s_cbranch_execz .LBB202_79
.LBB202_93:
	v_mov_b32_e32 v13, 0x150
	v_lshl_add_u32 v13, v12, 2, v13
	ds_read_b32 v13, v13 offset:96
	s_waitcnt lgkmcnt(0)
	v_add_f32_e32 v7, v7, v13
	s_or_b64 exec, exec, s[2:3]
	s_and_saveexec_b64 s[2:3], vcc
	s_cbranch_execz .LBB202_80
.LBB202_94:
	v_mov_b32_e32 v13, 0x150
	v_lshl_add_u32 v13, v12, 2, v13
	ds_read_b32 v13, v13 offset:128
	s_waitcnt lgkmcnt(0)
	v_add_f32_e32 v4, v4, v13
	s_or_b64 exec, exec, s[2:3]
	s_and_saveexec_b64 s[2:3], vcc
	s_cbranch_execz .LBB202_81
.LBB202_95:
	v_mov_b32_e32 v13, 0x150
	v_lshl_add_u32 v13, v12, 2, v13
	ds_read_b32 v13, v13 offset:160
	s_waitcnt lgkmcnt(0)
	v_add_f32_e32 v5, v5, v13
	s_or_b64 exec, exec, s[2:3]
	s_and_saveexec_b64 s[2:3], vcc
	s_cbranch_execz .LBB202_82
.LBB202_96:
	v_mov_b32_e32 v13, 0x150
	v_lshl_add_u32 v13, v12, 2, v13
	ds_read_b32 v13, v13 offset:192
	s_waitcnt lgkmcnt(0)
	v_add_f32_e32 v2, v2, v13
	s_or_b64 exec, exec, s[2:3]
	s_and_saveexec_b64 s[2:3], vcc
	s_cbranch_execz .LBB202_83
.LBB202_97:
	v_mov_b32_e32 v13, 0x150
	v_lshl_add_u32 v13, v12, 2, v13
	ds_read_b32 v13, v13 offset:224
	s_waitcnt lgkmcnt(0)
	v_add_f32_e32 v3, v3, v13
	s_or_b64 exec, exec, s[2:3]
	s_and_saveexec_b64 s[2:3], vcc
	s_cbranch_execz .LBB202_84
.LBB202_98:
	v_mov_b32_e32 v13, 0x150
	v_lshl_add_u32 v13, v12, 2, v13
	ds_read_b32 v13, v13 offset:256
	s_waitcnt lgkmcnt(0)
	v_add_f32_e32 v10, v10, v13
	s_or_b64 exec, exec, s[2:3]
	s_and_saveexec_b64 s[2:3], vcc
	s_cbranch_execnz .LBB202_85
	s_branch .LBB202_86
	.section	.rodata,"a",@progbits
	.p2align	6, 0x0
	.amdhsa_kernel _ZN4vllm25paged_attention_v1_kernelIfhLi80ELi32ELi128ELNS_18Fp8KVCacheDataTypeE1ELb1EEEvPT_PKS2_PKT0_S8_ifPKiSA_iPKfiiiSC_SC_iiiii
		.amdhsa_group_segment_fixed_size 336
		.amdhsa_private_segment_fixed_size 0
		.amdhsa_kernarg_size 384
		.amdhsa_user_sgpr_count 2
		.amdhsa_user_sgpr_dispatch_ptr 0
		.amdhsa_user_sgpr_queue_ptr 0
		.amdhsa_user_sgpr_kernarg_segment_ptr 1
		.amdhsa_user_sgpr_dispatch_id 0
		.amdhsa_user_sgpr_kernarg_preload_length 0
		.amdhsa_user_sgpr_kernarg_preload_offset 0
		.amdhsa_user_sgpr_private_segment_size 0
		.amdhsa_uses_dynamic_stack 0
		.amdhsa_enable_private_segment 0
		.amdhsa_system_sgpr_workgroup_id_x 1
		.amdhsa_system_sgpr_workgroup_id_y 1
		.amdhsa_system_sgpr_workgroup_id_z 1
		.amdhsa_system_sgpr_workgroup_info 0
		.amdhsa_system_vgpr_workitem_id 0
		.amdhsa_next_free_vgpr 91
		.amdhsa_next_free_sgpr 49
		.amdhsa_accum_offset 92
		.amdhsa_reserve_vcc 1
		.amdhsa_float_round_mode_32 0
		.amdhsa_float_round_mode_16_64 0
		.amdhsa_float_denorm_mode_32 3
		.amdhsa_float_denorm_mode_16_64 3
		.amdhsa_dx10_clamp 1
		.amdhsa_ieee_mode 1
		.amdhsa_fp16_overflow 0
		.amdhsa_tg_split 0
		.amdhsa_exception_fp_ieee_invalid_op 0
		.amdhsa_exception_fp_denorm_src 0
		.amdhsa_exception_fp_ieee_div_zero 0
		.amdhsa_exception_fp_ieee_overflow 0
		.amdhsa_exception_fp_ieee_underflow 0
		.amdhsa_exception_fp_ieee_inexact 0
		.amdhsa_exception_int_div_zero 0
	.end_amdhsa_kernel
	.section	.text._ZN4vllm25paged_attention_v1_kernelIfhLi80ELi32ELi128ELNS_18Fp8KVCacheDataTypeE1ELb1EEEvPT_PKS2_PKT0_S8_ifPKiSA_iPKfiiiSC_SC_iiiii,"axG",@progbits,_ZN4vllm25paged_attention_v1_kernelIfhLi80ELi32ELi128ELNS_18Fp8KVCacheDataTypeE1ELb1EEEvPT_PKS2_PKT0_S8_ifPKiSA_iPKfiiiSC_SC_iiiii,comdat
.Lfunc_end202:
	.size	_ZN4vllm25paged_attention_v1_kernelIfhLi80ELi32ELi128ELNS_18Fp8KVCacheDataTypeE1ELb1EEEvPT_PKS2_PKT0_S8_ifPKiSA_iPKfiiiSC_SC_iiiii, .Lfunc_end202-_ZN4vllm25paged_attention_v1_kernelIfhLi80ELi32ELi128ELNS_18Fp8KVCacheDataTypeE1ELb1EEEvPT_PKS2_PKT0_S8_ifPKiSA_iPKfiiiSC_SC_iiiii
                                        ; -- End function
	.section	.AMDGPU.csdata,"",@progbits
; Kernel info:
; codeLenInByte = 6880
; NumSgprs: 55
; NumVgprs: 91
; NumAgprs: 0
; TotalNumVgprs: 91
; ScratchSize: 0
; MemoryBound: 0
; FloatMode: 240
; IeeeMode: 1
; LDSByteSize: 336 bytes/workgroup (compile time only)
; SGPRBlocks: 6
; VGPRBlocks: 11
; NumSGPRsForWavesPerEU: 55
; NumVGPRsForWavesPerEU: 91
; AccumOffset: 92
; Occupancy: 5
; WaveLimiterHint : 1
; COMPUTE_PGM_RSRC2:SCRATCH_EN: 0
; COMPUTE_PGM_RSRC2:USER_SGPR: 2
; COMPUTE_PGM_RSRC2:TRAP_HANDLER: 0
; COMPUTE_PGM_RSRC2:TGID_X_EN: 1
; COMPUTE_PGM_RSRC2:TGID_Y_EN: 1
; COMPUTE_PGM_RSRC2:TGID_Z_EN: 1
; COMPUTE_PGM_RSRC2:TIDIG_COMP_CNT: 0
; COMPUTE_PGM_RSRC3_GFX90A:ACCUM_OFFSET: 22
; COMPUTE_PGM_RSRC3_GFX90A:TG_SPLIT: 0
	.section	.text._ZN4vllm25paged_attention_v1_kernelIfhLi96ELi32ELi128ELNS_18Fp8KVCacheDataTypeE1ELb1EEEvPT_PKS2_PKT0_S8_ifPKiSA_iPKfiiiSC_SC_iiiii,"axG",@progbits,_ZN4vllm25paged_attention_v1_kernelIfhLi96ELi32ELi128ELNS_18Fp8KVCacheDataTypeE1ELb1EEEvPT_PKS2_PKT0_S8_ifPKiSA_iPKfiiiSC_SC_iiiii,comdat
	.protected	_ZN4vllm25paged_attention_v1_kernelIfhLi96ELi32ELi128ELNS_18Fp8KVCacheDataTypeE1ELb1EEEvPT_PKS2_PKT0_S8_ifPKiSA_iPKfiiiSC_SC_iiiii ; -- Begin function _ZN4vllm25paged_attention_v1_kernelIfhLi96ELi32ELi128ELNS_18Fp8KVCacheDataTypeE1ELb1EEEvPT_PKS2_PKT0_S8_ifPKiSA_iPKfiiiSC_SC_iiiii
	.globl	_ZN4vllm25paged_attention_v1_kernelIfhLi96ELi32ELi128ELNS_18Fp8KVCacheDataTypeE1ELb1EEEvPT_PKS2_PKT0_S8_ifPKiSA_iPKfiiiSC_SC_iiiii
	.p2align	8
	.type	_ZN4vllm25paged_attention_v1_kernelIfhLi96ELi32ELi128ELNS_18Fp8KVCacheDataTypeE1ELb1EEEvPT_PKS2_PKT0_S8_ifPKiSA_iPKfiiiSC_SC_iiiii,@function
_ZN4vllm25paged_attention_v1_kernelIfhLi96ELi32ELi128ELNS_18Fp8KVCacheDataTypeE1ELb1EEEvPT_PKS2_PKT0_S8_ifPKiSA_iPKfiiiSC_SC_iiiii: ; @_ZN4vllm25paged_attention_v1_kernelIfhLi96ELi32ELi128ELNS_18Fp8KVCacheDataTypeE1ELb1EEEvPT_PKS2_PKT0_S8_ifPKiSA_iPKfiiiSC_SC_iiiii
; %bb.0:
	s_load_dword s5, s[0:1], 0x80
	s_load_dwordx2 s[6:7], s[0:1], 0x30
	s_load_dwordx2 s[36:37], s[0:1], 0x20
	s_mov_b32 s10, s3
	s_ashr_i32 s11, s3, 31
	s_lshl_b64 s[8:9], s[10:11], 2
	s_waitcnt lgkmcnt(0)
	s_add_u32 s6, s6, s8
	s_addc_u32 s7, s7, s9
	s_abs_i32 s3, s36
	v_cvt_f32_u32_e32 v1, s3
	s_sub_i32 s11, 0, s3
	s_abs_i32 s9, s5
	s_xor_b32 s8, s5, s36
	v_rcp_iflag_f32_e32 v1, v1
	s_ashr_i32 s8, s8, 31
	s_mov_b32 s45, 0
	v_mul_f32_e32 v1, 0x4f7ffffe, v1
	v_cvt_u32_f32_e32 v1, v1
	s_nop 0
	v_readfirstlane_b32 s12, v1
	s_mul_i32 s11, s11, s12
	s_mul_hi_u32 s11, s12, s11
	s_add_i32 s12, s12, s11
	s_mul_hi_u32 s11, s9, s12
	s_mul_i32 s12, s11, s3
	s_sub_i32 s9, s9, s12
	s_add_i32 s12, s11, 1
	s_sub_i32 s13, s9, s3
	s_cmp_ge_u32 s9, s3
	s_cselect_b32 s11, s12, s11
	s_cselect_b32 s9, s13, s9
	s_add_i32 s12, s11, 1
	s_cmp_ge_u32 s9, s3
	s_cselect_b32 s3, s12, s11
	s_xor_b32 s3, s3, s8
	s_sub_i32 s14, s3, s8
	s_abs_i32 s11, s14
	v_cvt_f32_u32_e32 v1, s11
	s_load_dwordx2 s[8:9], s[0:1], 0x40
	s_sub_i32 s3, 0, s11
	s_abs_i32 s12, s2
	v_rcp_iflag_f32_e32 v1, v1
	s_nop 0
	v_mul_f32_e32 v1, 0x4f7ffffe, v1
	v_cvt_u32_f32_e32 v1, v1
	s_nop 0
	v_readfirstlane_b32 s13, v1
	s_mul_i32 s3, s3, s13
	s_mul_hi_u32 s3, s13, s3
	s_add_i32 s13, s13, s3
	s_waitcnt lgkmcnt(0)
	s_cmp_eq_u64 s[8:9], 0
	s_mul_hi_u32 s13, s12, s13
	s_cbranch_scc1 .LBB203_2
; %bb.1:
	s_ashr_i32 s3, s2, 31
	s_lshl_b64 s[16:17], s[2:3], 2
	s_add_u32 s8, s8, s16
	s_addc_u32 s9, s9, s17
	s_load_dword s45, s[8:9], 0x0
.LBB203_2:
	s_load_dword s33, s[6:7], 0x0
	s_load_dwordx4 s[16:19], s[0:1], 0x48
	s_ashr_i32 s8, s2, 31
	s_ashr_i32 s9, s14, 31
	v_and_b32_e32 v2, 1, v0
	s_mul_i32 s24, s2, 0x60
	v_cmp_gt_u32_e32 vcc, 48, v0
	v_lshlrev_b32_e32 v48, 2, v0
	s_and_saveexec_b64 s[6:7], vcc
	s_cbranch_execz .LBB203_4
; %bb.3:
	s_load_dwordx2 s[14:15], s[0:1], 0x8
	s_waitcnt lgkmcnt(0)
	s_mul_i32 s20, s10, s16
	s_ashr_i32 s21, s20, 31
	s_lshl_b64 s[20:21], s[20:21], 2
	v_lshlrev_b32_e32 v1, 3, v0
	s_add_u32 s3, s14, s20
	s_addc_u32 s16, s15, s21
	s_ashr_i32 s25, s24, 31
	s_lshl_b64 s[14:15], s[24:25], 2
	s_add_u32 s14, s3, s14
	s_addc_u32 s15, s16, s15
	global_load_dwordx2 v[4:5], v1, s[14:15]
	v_and_b32_e32 v1, 0xff8, v48
	s_movk_i32 s3, 0xc0
	v_mad_u32_u24 v1, v2, s3, v1
	s_waitcnt vmcnt(0)
	ds_write_b64 v1, v[4:5]
.LBB203_4:
	s_or_b64 exec, exec, s[6:7]
	s_mul_i32 s7, s13, s11
	s_sub_i32 s7, s12, s7
	s_xor_b32 s6, s8, s9
	s_add_i32 s8, s13, 1
	s_sub_i32 s9, s7, s11
	s_load_dwordx4 s[20:23], s[0:1], 0x68
	s_load_dword s3, s[0:1], 0x78
	s_cmp_ge_u32 s7, s11
	s_cselect_b32 s8, s8, s13
	s_cselect_b32 s7, s9, s7
	s_add_i32 s9, s8, 1
	s_cmp_ge_u32 s7, s11
	s_cselect_b32 s7, s9, s8
	s_waitcnt lgkmcnt(0)
	s_abs_i32 s25, s23
	v_cvt_f32_u32_e32 v1, s25
	s_xor_b32 s7, s7, s6
	s_sub_i32 s44, s7, s6
	s_sub_i32 s6, 0, s25
	v_rcp_iflag_f32_e32 v1, v1
	s_add_i32 s11, s33, -1
	s_abs_i32 s8, s11
	v_mul_f32_e32 v1, 0x4f7ffffe, v1
	v_cvt_u32_f32_e32 v1, v1
	s_barrier
	v_readfirstlane_b32 s42, v1
	s_mul_i32 s6, s6, s42
	s_mul_hi_u32 s6, s42, s6
	s_add_i32 s42, s42, s6
	s_cmp_lt_i32 s3, 0
	s_mul_hi_u32 s9, s8, s42
	s_cbranch_scc0 .LBB203_6
; %bb.5:
	s_mul_i32 s6, s20, s36
	s_add_i32 s6, s44, s6
	s_mul_i32 s6, s6, s3
	s_sub_i32 s36, 1, s6
	s_mov_b64 s[6:7], 0
	s_branch .LBB203_7
.LBB203_6:
	s_mov_b64 s[6:7], -1
                                        ; implicit-def: $sgpr36
.LBB203_7:
	s_load_dwordx2 s[28:29], s[0:1], 0x28
	s_ashr_i32 s16, s11, 31
	s_andn2_b64 vcc, exec, s[6:7]
	s_ashr_i32 s23, s23, 31
	s_cbranch_vccnz .LBB203_9
; %bb.8:
	s_mul_i32 s6, s5, s20
	s_add_i32 s2, s6, s2
	s_mul_i32 s2, s2, s3
	s_add_i32 s36, s2, 1
.LBB203_9:
	s_load_dword s2, s[0:1], 0x38
	s_load_dwordx2 s[26:27], s[0:1], 0x0
	s_load_dwordx2 s[34:35], s[0:1], 0x18
	s_load_dword s11, s[0:1], 0x88
	s_load_dwordx4 s[12:15], s[0:1], 0x58
	s_mul_i32 s3, s9, s25
	s_waitcnt lgkmcnt(0)
	s_mul_i32 s30, s10, s2
	s_sub_i32 s3, s8, s3
	s_ashr_i32 s31, s30, 31
	s_xor_b32 s2, s16, s23
	s_add_i32 s6, s9, 1
	s_sub_i32 s7, s3, s25
	s_cmp_ge_u32 s3, s25
	s_cselect_b32 s6, s6, s9
	s_cselect_b32 s3, s7, s3
	s_add_i32 s7, s6, 1
	s_cmp_ge_u32 s3, s25
	s_cselect_b32 s3, s7, s6
	s_xor_b32 s3, s3, s2
	s_sub_i32 s43, s3, s2
	s_add_i32 s2, s33, 31
	s_ashr_i32 s3, s2, 31
	s_lshr_b32 s3, s3, 27
	s_add_i32 s2, s2, s3
	s_ashr_i32 s20, s2, 5
	v_lshrrev_b32_e32 v1, 6, v0
	v_cmp_gt_i32_e64 s[6:7], s20, v1
	v_mov_b32_e32 v53, 0xff7fffff
	s_mul_i32 s44, s44, s18
	v_lshrrev_b32_e32 v49, 4, v0
	v_lshlrev_b32_e32 v70, 5, v1
	v_mbcnt_lo_u32_b32 v50, -1, 0
	s_and_saveexec_b64 s[18:19], s[6:7]
	s_cbranch_execz .LBB203_19
; %bb.10:
	s_load_dwordx2 s[0:1], s[0:1], 0x10
	s_sub_i32 s46, s43, s21
	s_ashr_i32 s2, s44, 31
	v_bfe_u32 v51, v0, 1, 5
	v_mov_b32_e32 v43, 0
	s_waitcnt lgkmcnt(0)
	s_add_u32 s0, s0, s44
	s_addc_u32 s1, s1, s2
	s_abs_i32 s47, s22
	v_cvt_f32_u32_e32 v3, s47
	v_lshlrev_b32_e32 v42, 4, v51
	v_lshl_add_u64 v[44:45], s[0:1], 0, v[42:43]
	s_sub_i32 s0, 0, s47
	v_rcp_iflag_f32_e32 v3, v3
	v_cmp_eq_u32_e32 vcc, 0, v2
	v_mul_u32_u24_e32 v52, 0xc0, v2
	v_lshlrev_b32_e32 v42, 1, v2
	v_mul_f32_e32 v3, 0x4f7ffffe, v3
	v_cvt_u32_f32_e32 v3, v3
	v_mbcnt_hi_u32_b32 v59, -1, v50
	s_mov_b32 s48, s17
	v_cmp_neq_f32_e64 s[2:3], s45, 0
	v_mul_lo_u32 v2, s0, v3
	s_lshl_b64 s[0:1], s[30:31], 2
	v_mul_hi_u32 v2, v3, v2
	s_add_u32 s0, s28, s0
	v_add_u32_e32 v54, v3, v2
	v_and_b32_e32 v2, 60, v49
	v_mov_b32_e32 v3, v43
	s_addc_u32 s1, s29, s1
	v_lshl_add_u64 v[46:47], s[0:1], 0, v[2:3]
	v_lshlrev_b32_e32 v2, 2, v51
	v_lshl_or_b32 v2, v1, 7, v2
	v_add_u32_e32 v56, 0x190, v2
	v_subrev_u32_e32 v2, s33, v51
	v_add_u32_e32 v57, 1, v2
	v_and_b32_e32 v2, 64, v59
	v_lshlrev_b32_e32 v55, 5, v1
	s_mov_b64 s[38:39], 0
	v_mov_b32_e32 v58, 0xff7fffff
	v_xor_b32_e32 v60, 1, v59
	v_add_u32_e32 v61, 64, v2
	v_mov_b32_e32 v53, 0xff7fffff
	v_mov_b32_e32 v62, v1
	s_branch .LBB203_13
.LBB203_11:                             ;   in Loop: Header=BB203_13 Depth=1
	s_or_b64 exec, exec, s[40:41]
.LBB203_12:                             ;   in Loop: Header=BB203_13 Depth=1
	s_or_b64 exec, exec, s[8:9]
	v_add_u32_e32 v62, 2, v62
	v_cmp_le_i32_e64 s[0:1], s20, v62
	v_lshl_add_u64 v[46:47], v[46:47], 0, 8
	v_add_u32_e32 v55, 64, v55
	s_or_b64 s[38:39], s[0:1], s[38:39]
	v_add_u32_e32 v56, 0x100, v56
	s_andn2_b64 exec, exec, s[38:39]
	s_cbranch_execz .LBB203_18
.LBB203_13:                             ; =>This Inner Loop Header: Depth=1
	v_mul_hi_u32 v2, v55, s42
	s_waitcnt lgkmcnt(0)
	v_mul_lo_u32 v3, v2, s25
	v_sub_u32_e32 v3, v55, v3
	v_add_u32_e32 v4, 1, v2
	v_cmp_le_u32_e64 s[0:1], s25, v3
	s_nop 1
	v_cndmask_b32_e64 v2, v2, v4, s[0:1]
	v_subrev_u32_e32 v4, s25, v3
	v_cndmask_b32_e64 v3, v3, v4, s[0:1]
	v_add_u32_e32 v4, 1, v2
	v_cmp_le_u32_e64 s[0:1], s25, v3
	s_nop 1
	v_cndmask_b32_e64 v2, v2, v4, s[0:1]
	v_xor_b32_e32 v2, s23, v2
	v_subrev_u32_e32 v2, s23, v2
	v_add_u32_e32 v3, s36, v2
	v_sub_u32_e32 v5, 0, v3
	v_ashrrev_i32_e32 v4, 31, v3
	v_max_i32_e32 v3, v3, v5
	v_mul_hi_u32 v5, v3, v54
	v_mul_lo_u32 v5, v5, s47
	v_sub_u32_e32 v3, v3, v5
	v_subrev_u32_e32 v5, s47, v3
	v_cmp_le_u32_e64 s[0:1], s47, v3
	v_cmp_ge_i32_e64 s[8:9], s46, v2
	s_nop 0
	v_cndmask_b32_e64 v3, v3, v5, s[0:1]
	v_subrev_u32_e32 v5, s47, v3
	v_cmp_le_u32_e64 s[0:1], s47, v3
	s_nop 1
	v_cndmask_b32_e64 v3, v3, v5, s[0:1]
	v_xor_b32_e32 v3, v3, v4
	v_sub_u32_e32 v3, v3, v4
	v_cmp_ne_u32_e64 s[0:1], 0, v3
	s_and_b64 s[0:1], s[0:1], s[8:9]
	s_and_b64 s[40:41], vcc, s[0:1]
	s_and_saveexec_b64 s[8:9], s[40:41]
	s_cbranch_execz .LBB203_15
; %bb.14:                               ;   in Loop: Header=BB203_13 Depth=1
	ds_write_b32 v56, v58
.LBB203_15:                             ;   in Loop: Header=BB203_13 Depth=1
	s_or_b64 exec, exec, s[8:9]
	s_xor_b64 s[0:1], s[0:1], -1
	s_and_saveexec_b64 s[8:9], s[0:1]
	s_cbranch_execz .LBB203_12
; %bb.16:                               ;   in Loop: Header=BB203_13 Depth=1
	global_load_dword v2, v[46:47], off
	s_waitcnt vmcnt(0)
	v_mad_i64_i32 v[2:3], s[0:1], v2, s48, v[44:45]
	v_lshl_add_u64 v[2:3], v[2:3], 0, v[42:43]
	global_load_ushort v63, v[2:3], off
	global_load_ushort v71, v[2:3], off offset:4
	global_load_ushort v78, v[2:3], off offset:8
	;; [unrolled: 1-line block ×23, first 2 shown]
	ds_read_b128 v[64:67], v52
	ds_read_b128 v[72:75], v52 offset:16
	ds_read_b128 v[6:9], v52 offset:32
	;; [unrolled: 1-line block ×3, first 2 shown]
	s_load_dword s16, s[12:13], 0x0
	v_cmp_lt_i32_e64 s[0:1], v60, v61
	ds_read_b128 v[22:25], v52 offset:64
	ds_read_b128 v[14:17], v52 offset:80
	;; [unrolled: 1-line block ×8, first 2 shown]
	v_cndmask_b32_e64 v68, v59, v60, s[0:1]
	v_lshlrev_b32_e32 v106, 2, v68
	s_waitcnt vmcnt(23)
	v_cvt_pk_f32_fp8_e32 v[68:69], v63
	s_waitcnt vmcnt(22)
	v_cvt_pk_f32_fp8_e32 v[76:77], v71
	;; [unrolled: 2-line block ×5, first 2 shown]
	s_waitcnt lgkmcnt(0)
	v_pk_mul_f32 v[76:77], s[16:17], v[76:77] op_sel_hi:[0,1]
	s_waitcnt vmcnt(18)
	v_cvt_pk_f32_fp8_e32 v[84:85], v84
	v_mul_f32_e32 v63, v66, v76
	v_mul_f32_e32 v71, v67, v77
	v_pk_mul_f32 v[68:69], s[16:17], v[68:69] op_sel_hi:[0,1]
	s_waitcnt vmcnt(17)
	v_cvt_pk_f32_fp8_e32 v[86:87], v86
	v_fmac_f32_e32 v63, v64, v68
	v_fmac_f32_e32 v71, v65, v69
	v_pk_mul_f32 v[78:79], s[16:17], v[78:79] op_sel_hi:[0,1]
	s_waitcnt vmcnt(16)
	v_cvt_pk_f32_fp8_e32 v[88:89], v88
	v_fmac_f32_e32 v63, v72, v78
	v_fmac_f32_e32 v71, v73, v79
	;; [unrolled: 5-line block ×4, first 2 shown]
	v_pk_mul_f32 v[82:83], s[16:17], v[84:85] op_sel_hi:[0,1]
	s_waitcnt vmcnt(13)
	v_cvt_pk_f32_fp8_e32 v[68:69], v92
	v_pk_mul_f32 v[84:85], s[16:17], v[86:87] op_sel_hi:[0,1]
	v_fmac_f32_e32 v63, v8, v82
	v_fmac_f32_e32 v71, v9, v83
	s_waitcnt vmcnt(12)
	v_cvt_pk_f32_fp8_e32 v[76:77], v93
	v_pk_mul_f32 v[86:87], s[16:17], v[88:89] op_sel_hi:[0,1]
	v_fmac_f32_e32 v63, v2, v84
	v_fmac_f32_e32 v71, v3, v85
	;; [unrolled: 5-line block ×14, first 2 shown]
	v_pk_mul_f32 v[96:97], s[16:17], v[98:99] op_sel_hi:[0,1]
	v_fmac_f32_e32 v63, v28, v94
	v_fmac_f32_e32 v71, v29, v95
	v_pk_mul_f32 v[98:99], s[16:17], v[100:101] op_sel_hi:[0,1]
	v_fmac_f32_e32 v63, v34, v96
	v_fmac_f32_e32 v71, v35, v97
	;; [unrolled: 3-line block ×4, first 2 shown]
	v_fmac_f32_e32 v63, v20, v6
	v_fmac_f32_e32 v71, v21, v7
	v_add_f32_e32 v2, v63, v71
	ds_bpermute_b32 v3, v106, v2
	s_and_saveexec_b64 s[40:41], vcc
	s_cbranch_execz .LBB203_11
; %bb.17:                               ;   in Loop: Header=BB203_13 Depth=1
	v_add_u32_e32 v4, v57, v55
	v_cvt_f32_i32_e32 v4, v4
	s_waitcnt lgkmcnt(0)
	v_add_f32_e32 v2, v2, v3
	v_add_u32_e32 v5, v51, v55
	v_cmp_gt_i32_e64 s[0:1], s33, v5
	v_mul_f32_e32 v3, s45, v4
	v_cndmask_b32_e64 v3, 0, v3, s[2:3]
	v_fmac_f32_e32 v3, s37, v2
	v_cndmask_b32_e64 v2, 0, v3, s[0:1]
	ds_write_b32 v56, v2
	v_max_f32_e32 v2, v53, v53
	v_max_f32_e32 v2, v2, v3
	v_cndmask_b32_e64 v53, v53, v2, s[0:1]
	s_branch .LBB203_11
.LBB203_18:
	s_or_b64 exec, exec, s[38:39]
.LBB203_19:
	s_or_b64 exec, exec, s[18:19]
	v_mbcnt_hi_u32_b32 v7, -1, v50
	v_and_b32_e32 v2, 64, v7
	v_add_u32_e32 v8, 64, v2
	v_xor_b32_e32 v2, 32, v7
	v_cmp_lt_i32_e32 vcc, v2, v8
	v_xor_b32_e32 v5, 16, v7
	v_max_f32_e32 v4, v53, v53
	v_cndmask_b32_e32 v2, v7, v2, vcc
	v_lshlrev_b32_e32 v2, 2, v2
	s_waitcnt lgkmcnt(0)
	ds_bpermute_b32 v3, v2, v53
	v_cmp_lt_i32_e32 vcc, v5, v8
	v_xor_b32_e32 v6, 8, v7
	v_xor_b32_e32 v9, 4, v7
	v_and_b32_e32 v71, 63, v0
	s_waitcnt lgkmcnt(0)
	v_max_f32_e32 v3, v3, v3
	v_max_f32_e32 v4, v4, v3
	v_cndmask_b32_e32 v3, v7, v5, vcc
	v_lshlrev_b32_e32 v3, 2, v3
	ds_bpermute_b32 v5, v3, v4
	v_cmp_lt_i32_e32 vcc, v6, v8
	s_waitcnt lgkmcnt(0)
	v_max_f32_e32 v5, v5, v5
	v_max_f32_e32 v5, v4, v5
	v_cndmask_b32_e32 v4, v7, v6, vcc
	v_lshlrev_b32_e32 v4, 2, v4
	ds_bpermute_b32 v6, v4, v5
	v_cmp_lt_i32_e32 vcc, v9, v8
	s_waitcnt lgkmcnt(0)
	v_max_f32_e32 v6, v6, v6
	v_max_f32_e32 v5, v5, v6
	v_cndmask_b32_e32 v6, v7, v9, vcc
	v_lshlrev_b32_e32 v72, 2, v6
	ds_bpermute_b32 v6, v72, v5
	v_xor_b32_e32 v9, 2, v7
	v_cmp_lt_i32_e32 vcc, v9, v8
	s_waitcnt lgkmcnt(0)
	v_max_f32_e32 v6, v6, v6
	v_max_f32_e32 v6, v5, v6
	v_cndmask_b32_e32 v5, v7, v9, vcc
	v_lshlrev_b32_e32 v73, 2, v5
	ds_bpermute_b32 v9, v73, v6
	v_cmp_eq_u32_e32 vcc, 0, v71
	v_lshlrev_b32_e32 v5, 2, v1
	s_and_saveexec_b64 s[0:1], vcc
	s_cbranch_execz .LBB203_21
; %bb.20:
	s_waitcnt lgkmcnt(0)
	v_max_f32_e32 v9, v9, v9
	v_max_f32_e32 v6, v6, v6
	;; [unrolled: 1-line block ×3, first 2 shown]
	ds_write_b32 v5, v6 offset:384
.LBB203_21:
	s_or_b64 exec, exec, s[0:1]
	v_cmp_gt_u32_e64 s[0:1], 2, v71
	s_waitcnt lgkmcnt(0)
	v_mov_b32_e32 v9, 0xff7fffff
	v_lshlrev_b32_e32 v6, 2, v71
	s_barrier
	s_and_saveexec_b64 s[2:3], s[0:1]
	s_cbranch_execz .LBB203_23
; %bb.22:
	ds_read_b32 v9, v6 offset:384
.LBB203_23:
	s_or_b64 exec, exec, s[2:3]
	v_xor_b32_e32 v10, 1, v7
	v_cmp_lt_i32_e64 s[2:3], v10, v8
	s_nop 1
	v_cndmask_b32_e64 v8, v7, v10, s[2:3]
	v_lshlrev_b32_e32 v74, 2, v8
	s_waitcnt lgkmcnt(0)
	ds_bpermute_b32 v8, v74, v9
	v_max_f32_e32 v9, v9, v9
	v_lshlrev_b32_e32 v7, 2, v7
	v_and_b32_e32 v7, 0x100, v7
	s_lshl_b32 s2, s20, 5
	s_waitcnt lgkmcnt(0)
	v_max_f32_e32 v8, v8, v8
	v_max_f32_e32 v8, v9, v8
	ds_bpermute_b32 v9, v7, v8
	s_min_i32 s16, s2, s33
	v_cmp_gt_i32_e64 s[2:3], s16, v0
	v_mov_b32_e32 v8, 0
	s_and_saveexec_b64 s[12:13], s[2:3]
	s_cbranch_execz .LBB203_27
; %bb.24:
	v_mov_b32_e32 v8, 0x190
	v_lshl_add_u32 v10, v0, 2, v8
	s_mov_b64 s[18:19], 0
	v_mov_b32_e32 v8, 0
	v_mov_b32_e32 v11, v0
.LBB203_25:                             ; =>This Inner Loop Header: Depth=1
	ds_read_b32 v12, v10
	v_add_u32_e32 v11, 0x80, v11
	v_cmp_le_i32_e64 s[8:9], s16, v11
	s_or_b64 s[18:19], s[8:9], s[18:19]
	s_waitcnt lgkmcnt(0)
	v_sub_f32_e32 v12, v12, v9
	v_mul_f32_e32 v12, 0x3fb8aa3b, v12
	v_exp_f32_e32 v12, v12
	ds_write_b32 v10, v12
	v_add_f32_e32 v8, v8, v12
	v_add_u32_e32 v10, 0x200, v10
	s_andn2_b64 exec, exec, s[18:19]
	s_cbranch_execnz .LBB203_25
; %bb.26:
	s_or_b64 exec, exec, s[18:19]
.LBB203_27:
	s_or_b64 exec, exec, s[12:13]
	ds_bpermute_b32 v2, v2, v8
	s_waitcnt lgkmcnt(0)
	v_add_f32_e32 v2, v8, v2
	ds_bpermute_b32 v3, v3, v2
	s_waitcnt lgkmcnt(0)
	v_add_f32_e32 v2, v2, v3
	;; [unrolled: 3-line block ×6, first 2 shown]
	s_and_saveexec_b64 s[8:9], vcc
	s_cbranch_execz .LBB203_29
; %bb.28:
	ds_write_b32 v5, v2 offset:392
.LBB203_29:
	s_or_b64 exec, exec, s[8:9]
	s_waitcnt lgkmcnt(0)
	s_barrier
	s_and_saveexec_b64 s[8:9], s[0:1]
	s_cbranch_execz .LBB203_31
; %bb.30:
	ds_read_b32 v2, v6 offset:392
.LBB203_31:
	s_or_b64 exec, exec, s[8:9]
	s_waitcnt lgkmcnt(0)
	ds_bpermute_b32 v3, v74, v2
	s_waitcnt lgkmcnt(0)
	v_add_f32_e32 v2, v2, v3
	ds_bpermute_b32 v2, v7, v2
	s_and_saveexec_b64 s[0:1], s[2:3]
	s_cbranch_execz .LBB203_44
; %bb.32:
	s_waitcnt lgkmcnt(0)
	v_add_f32_e32 v2, 0x358637bd, v2
	v_div_scale_f32 v3, s[2:3], v2, v2, 1.0
	v_rcp_f32_e32 v4, v3
	v_div_scale_f32 v5, vcc, 1.0, v2, 1.0
	s_movk_i32 s2, 0x7f
	v_fma_f32 v6, -v3, v4, 1.0
	v_fmac_f32_e32 v4, v6, v4
	v_mul_f32_e32 v6, v5, v4
	v_fma_f32 v7, -v3, v6, v5
	v_fmac_f32_e32 v6, v7, v4
	v_fma_f32 v3, -v3, v6, v5
	v_div_fmas_f32 v3, v3, v4, v6
	v_xad_u32 v4, v0, -1, s16
	v_div_fixup_f32 v2, v3, v2, 1.0
	v_cmp_lt_u32_e32 vcc, s2, v4
	s_mov_b64 s[8:9], -1
	v_mov_b32_e32 v3, v0
	s_and_saveexec_b64 s[2:3], vcc
	s_cbranch_execz .LBB203_41
; %bb.33:
	v_lshrrev_b32_e32 v4, 7, v4
	v_add_u32_e32 v6, -1, v4
	v_lshrrev_b32_e32 v5, 1, v6
	v_mov_b32_e32 v3, v2
	v_add_u32_e32 v5, 1, v5
	v_cmp_lt_u32_e32 vcc, 13, v6
	v_mov_b32_e32 v8, 0
	s_and_saveexec_b64 s[8:9], vcc
	s_cbranch_execz .LBB203_37
; %bb.34:
	v_mov_b32_e32 v7, 0x190
	v_and_b32_e32 v6, -8, v5
	v_lshl_add_u32 v7, v0, 2, v7
	s_mov_b32 s18, 0
	s_mov_b64 s[12:13], 0
.LBB203_35:                             ; =>This Inner Loop Header: Depth=1
	ds_read2st64_b32 v[8:9], v7 offset1:2
	ds_read2st64_b32 v[10:11], v7 offset0:4 offset1:6
	ds_read2st64_b32 v[12:13], v7 offset0:8 offset1:10
	;; [unrolled: 1-line block ×3, first 2 shown]
	v_add_u32_e32 v6, -8, v6
	s_waitcnt lgkmcnt(3)
	v_pk_mul_f32 v[8:9], v[2:3], v[8:9]
	s_waitcnt lgkmcnt(2)
	v_pk_mul_f32 v[10:11], v[2:3], v[10:11]
	ds_write2st64_b32 v7, v8, v9 offset1:2
	ds_write2st64_b32 v7, v10, v11 offset0:4 offset1:6
	ds_read2st64_b32 v[10:11], v7 offset0:16 offset1:18
	s_waitcnt lgkmcnt(4)
	v_pk_mul_f32 v[8:9], v[2:3], v[12:13]
	ds_write2st64_b32 v7, v8, v9 offset0:8 offset1:10
	s_waitcnt lgkmcnt(4)
	v_pk_mul_f32 v[8:9], v[2:3], v[14:15]
	ds_write2st64_b32 v7, v8, v9 offset0:12 offset1:14
	ds_read2st64_b32 v[8:9], v7 offset0:20 offset1:22
	s_waitcnt lgkmcnt(3)
	v_pk_mul_f32 v[10:11], v[2:3], v[10:11]
	ds_read2st64_b32 v[12:13], v7 offset0:24 offset1:26
	ds_write2st64_b32 v7, v10, v11 offset0:16 offset1:18
	ds_read2st64_b32 v[10:11], v7 offset0:28 offset1:30
	s_waitcnt lgkmcnt(3)
	v_pk_mul_f32 v[8:9], v[2:3], v[8:9]
	ds_write2st64_b32 v7, v8, v9 offset0:20 offset1:22
	s_waitcnt lgkmcnt(3)
	v_pk_mul_f32 v[8:9], v[2:3], v[12:13]
	ds_write2st64_b32 v7, v8, v9 offset0:24 offset1:26
	s_waitcnt lgkmcnt(2)
	v_pk_mul_f32 v[8:9], v[2:3], v[10:11]
	s_add_i32 s18, s18, 16
	v_cmp_eq_u32_e32 vcc, 0, v6
	ds_write2st64_b32 v7, v8, v9 offset0:28 offset1:30
	v_add_u32_e32 v7, 0x2000, v7
	s_or_b64 s[12:13], vcc, s[12:13]
	v_mov_b32_e32 v8, s18
	s_andn2_b64 exec, exec, s[12:13]
	s_cbranch_execnz .LBB203_35
; %bb.36:
	s_or_b64 exec, exec, s[12:13]
.LBB203_37:
	s_or_b64 exec, exec, s[8:9]
	v_and_b32_e32 v5, 7, v5
	v_cmp_ne_u32_e32 vcc, 0, v5
	s_and_saveexec_b64 s[8:9], vcc
	s_cbranch_execz .LBB203_40
; %bb.38:
	v_lshlrev_b32_e32 v6, 9, v8
	s_movk_i32 s12, 0x190
	v_add3_u32 v6, v6, v48, s12
	s_mov_b64 s[12:13], 0
.LBB203_39:                             ; =>This Inner Loop Header: Depth=1
	ds_read2st64_b32 v[8:9], v6 offset1:2
	v_add_u32_e32 v5, -1, v5
	v_cmp_eq_u32_e32 vcc, 0, v5
	s_or_b64 s[12:13], vcc, s[12:13]
	s_waitcnt lgkmcnt(0)
	v_pk_mul_f32 v[8:9], v[2:3], v[8:9]
	ds_write2st64_b32 v6, v8, v9 offset1:2
	v_add_u32_e32 v6, 0x400, v6
	s_andn2_b64 exec, exec, s[12:13]
	s_cbranch_execnz .LBB203_39
.LBB203_40:
	s_or_b64 exec, exec, s[8:9]
	v_add_u32_e32 v4, 1, v4
	v_and_b32_e32 v5, 0x3fffffe, v4
	v_cmp_ne_u32_e32 vcc, v4, v5
	v_lshl_add_u32 v3, v5, 7, v0
	s_orn2_b64 s[8:9], vcc, exec
.LBB203_41:
	s_or_b64 exec, exec, s[2:3]
	s_and_b64 exec, exec, s[8:9]
	s_cbranch_execz .LBB203_44
; %bb.42:
	v_mov_b32_e32 v4, 0x190
	v_lshl_add_u32 v4, v3, 2, v4
	s_mov_b64 s[2:3], 0
.LBB203_43:                             ; =>This Inner Loop Header: Depth=1
	ds_read_b32 v5, v4
	v_add_u32_e32 v3, 0x80, v3
	v_cmp_le_i32_e32 vcc, s16, v3
	s_or_b64 s[2:3], vcc, s[2:3]
	s_waitcnt lgkmcnt(0)
	v_mul_f32_e32 v5, v2, v5
	ds_write_b32 v4, v5
	v_add_u32_e32 v4, 0x200, v4
	s_andn2_b64 exec, exec, s[2:3]
	s_cbranch_execnz .LBB203_43
.LBB203_44:
	s_or_b64 exec, exec, s[0:1]
	v_mov_b32_e32 v7, 0
	v_and_b32_e32 v75, 7, v0
	v_mov_b32_e32 v6, 0
	v_mov_b32_e32 v9, 0
	;; [unrolled: 1-line block ×11, first 2 shown]
	s_waitcnt lgkmcnt(0)
	s_barrier
	s_and_saveexec_b64 s[2:3], s[6:7]
	s_cbranch_execz .LBB203_74
; %bb.45:
	s_sub_i32 s18, s43, s21
	s_ashr_i32 s1, s44, 31
	s_add_u32 s0, s34, s44
	s_addc_u32 s1, s35, s1
	s_abs_i32 s19, s22
	v_cvt_f32_u32_e32 v2, s19
	s_sub_i32 s6, 0, s19
	v_and_b32_e32 v6, 0xfc, v48
	v_mov_b32_e32 v7, 0
	v_rcp_iflag_f32_e32 v2, v2
	s_add_i32 s22, s20, -1
	v_lshl_add_u64 v[18:19], s[0:1], 0, v[6:7]
	s_lshl_b64 s[0:1], s[30:31], 2
	v_mul_f32_e32 v2, 0x4f7ffffe, v2
	v_cvt_u32_f32_e32 v2, v2
	s_add_u32 s0, s28, s0
	v_and_b32_e32 v6, 60, v49
	s_addc_u32 s1, s29, s1
	v_mul_lo_u32 v3, s6, v2
	v_mul_hi_u32 v3, v2, v3
	v_add_u32_e32 v77, v2, v3
	v_lshlrev_b32_e32 v2, 4, v75
	v_lshl_or_b32 v2, v1, 7, v2
	v_and_b32_e32 v76, 28, v48
	s_mov_b32 s21, s17
	v_lshl_add_u64 v[20:21], s[0:1], 0, v[6:7]
	v_add_u32_e32 v78, 0x190, v2
	s_mov_b64 s[6:7], 0
	v_mov_b32_e32 v6, v7
	v_mov_b32_e32 v9, v7
	;; [unrolled: 1-line block ×11, first 2 shown]
	s_branch .LBB203_48
.LBB203_46:                             ;   in Loop: Header=BB203_48 Depth=1
	s_or_b64 exec, exec, s[0:1]
	v_mul_f32_e32 v69, v3, v69
	v_mul_f32_e32 v63, v3, v63
	;; [unrolled: 1-line block ×12, first 2 shown]
	v_fmac_f32_e32 v69, v2, v68
	v_fmac_f32_e32 v63, v2, v62
	;; [unrolled: 1-line block ×36, first 2 shown]
	v_add_f32_e32 v6, v6, v69
	v_add_f32_e32 v9, v9, v63
	;; [unrolled: 1-line block ×12, first 2 shown]
.LBB203_47:                             ;   in Loop: Header=BB203_48 Depth=1
	s_or_b64 exec, exec, s[8:9]
	v_add_u32_e32 v1, 2, v1
	v_cmp_le_i32_e32 vcc, s20, v1
	v_lshl_add_u64 v[20:21], v[20:21], 0, 8
	v_add_u32_e32 v70, 64, v70
	s_or_b64 s[6:7], vcc, s[6:7]
	v_add_u32_e32 v78, 0x100, v78
	s_andn2_b64 exec, exec, s[6:7]
	s_cbranch_execz .LBB203_73
.LBB203_48:                             ; =>This Inner Loop Header: Depth=1
	v_mul_hi_u32 v2, v70, s42
	v_mul_lo_u32 v3, v2, s25
	v_sub_u32_e32 v3, v70, v3
	v_add_u32_e32 v4, 1, v2
	v_cmp_le_u32_e32 vcc, s25, v3
	s_nop 1
	v_cndmask_b32_e32 v2, v2, v4, vcc
	v_subrev_u32_e32 v4, s25, v3
	v_cndmask_b32_e32 v3, v3, v4, vcc
	v_add_u32_e32 v4, 1, v2
	v_cmp_le_u32_e32 vcc, s25, v3
	s_nop 1
	v_cndmask_b32_e32 v2, v2, v4, vcc
	v_xor_b32_e32 v2, s23, v2
	v_subrev_u32_e32 v2, s23, v2
	v_add_u32_e32 v3, s36, v2
	v_sub_u32_e32 v5, 0, v3
	v_ashrrev_i32_e32 v4, 31, v3
	v_max_i32_e32 v3, v3, v5
	v_mul_hi_u32 v5, v3, v77
	v_mul_lo_u32 v5, v5, s19
	v_sub_u32_e32 v3, v3, v5
	v_subrev_u32_e32 v5, s19, v3
	v_cmp_le_u32_e32 vcc, s19, v3
	v_cmp_lt_i32_e64 s[0:1], s18, v2
	s_nop 0
	v_cndmask_b32_e32 v3, v3, v5, vcc
	v_subrev_u32_e32 v5, s19, v3
	v_cmp_le_u32_e32 vcc, s19, v3
	s_nop 1
	v_cndmask_b32_e32 v3, v3, v5, vcc
	v_xor_b32_e32 v3, v3, v4
	v_sub_u32_e32 v3, v3, v4
	v_cmp_eq_u32_e32 vcc, 0, v3
	s_or_b64 s[0:1], vcc, s[0:1]
	s_and_saveexec_b64 s[8:9], s[0:1]
	s_cbranch_execz .LBB203_47
; %bb.49:                               ;   in Loop: Header=BB203_48 Depth=1
	global_load_dword v2, v[20:21], off
	s_load_dword s12, s[14:15], 0x0
	v_add_u32_e32 v79, v76, v70
	v_cmp_eq_u32_e32 vcc, s22, v1
	v_add_u32_e32 v81, 1, v79
	v_add_u32_e32 v80, 2, v79
	;; [unrolled: 1-line block ×3, first 2 shown]
	s_waitcnt vmcnt(0)
	v_mad_i64_i32 v[34:35], s[0:1], v2, s21, v[18:19]
	global_load_dword v22, v[34:35], off
	ds_read_b128 v[2:5], v78
	s_waitcnt vmcnt(0)
	v_and_b32_e32 v23, 0xffff, v22
	v_lshrrev_b32_e32 v24, 16, v22
	v_cvt_pk_f32_fp8_e32 v[22:23], v23
	v_cvt_pk_f32_fp8_e32 v[26:27], v24
	s_waitcnt lgkmcnt(0)
	v_pk_mul_f32 v[24:25], s[12:13], v[22:23] op_sel_hi:[0,1]
	v_pk_mul_f32 v[22:23], s[12:13], v[26:27] op_sel_hi:[0,1]
	s_and_saveexec_b64 s[16:17], vcc
; %bb.50:                               ;   in Loop: Header=BB203_48 Depth=1
	v_cmp_gt_i32_e64 s[0:1], s33, v79
	s_nop 1
	v_cndmask_b32_e64 v24, 0, v24, s[0:1]
	v_cmp_gt_i32_e64 s[0:1], s33, v81
	s_nop 1
	v_cndmask_b32_e64 v25, 0, v25, s[0:1]
	;; [unrolled: 3-line block ×4, first 2 shown]
; %bb.51:                               ;   in Loop: Header=BB203_48 Depth=1
	s_or_b64 exec, exec, s[16:17]
	global_load_dword v26, v[34:35], off offset:256
	s_mov_b32 s13, s12
	s_waitcnt vmcnt(0)
	v_and_b32_e32 v27, 0xffff, v26
	v_lshrrev_b32_e32 v28, 16, v26
	v_cvt_pk_f32_fp8_e32 v[26:27], v27
	v_cvt_pk_f32_fp8_e32 v[30:31], v28
	v_pk_mul_f32 v[28:29], s[12:13], v[26:27]
	v_pk_mul_f32 v[26:27], s[12:13], v[30:31]
	s_and_saveexec_b64 s[16:17], vcc
; %bb.52:                               ;   in Loop: Header=BB203_48 Depth=1
	v_cmp_gt_i32_e64 s[0:1], s33, v79
	s_nop 1
	v_cndmask_b32_e64 v28, 0, v28, s[0:1]
	v_cmp_gt_i32_e64 s[0:1], s33, v81
	s_nop 1
	v_cndmask_b32_e64 v29, 0, v29, s[0:1]
	v_cmp_gt_i32_e64 s[0:1], s33, v80
	s_nop 1
	v_cndmask_b32_e64 v26, 0, v26, s[0:1]
	v_cmp_gt_i32_e64 s[0:1], s33, v82
	s_nop 1
	v_cndmask_b32_e64 v27, 0, v27, s[0:1]
; %bb.53:                               ;   in Loop: Header=BB203_48 Depth=1
	s_or_b64 exec, exec, s[16:17]
	global_load_dword v30, v[34:35], off offset:512
	s_waitcnt vmcnt(0)
	v_and_b32_e32 v31, 0xffff, v30
	v_lshrrev_b32_e32 v32, 16, v30
	v_cvt_pk_f32_fp8_e32 v[30:31], v31
	v_cvt_pk_f32_fp8_e32 v[36:37], v32
	v_pk_mul_f32 v[32:33], s[12:13], v[30:31]
	v_pk_mul_f32 v[30:31], s[12:13], v[36:37]
	s_and_saveexec_b64 s[16:17], vcc
; %bb.54:                               ;   in Loop: Header=BB203_48 Depth=1
	v_cmp_gt_i32_e64 s[0:1], s33, v79
	s_nop 1
	v_cndmask_b32_e64 v32, 0, v32, s[0:1]
	v_cmp_gt_i32_e64 s[0:1], s33, v81
	s_nop 1
	v_cndmask_b32_e64 v33, 0, v33, s[0:1]
	v_cmp_gt_i32_e64 s[0:1], s33, v80
	s_nop 1
	v_cndmask_b32_e64 v30, 0, v30, s[0:1]
	v_cmp_gt_i32_e64 s[0:1], s33, v82
	s_nop 1
	v_cndmask_b32_e64 v31, 0, v31, s[0:1]
; %bb.55:                               ;   in Loop: Header=BB203_48 Depth=1
	s_or_b64 exec, exec, s[16:17]
	global_load_dword v36, v[34:35], off offset:768
	;; [unrolled: 24-line block ×10, first 2 shown]
	s_waitcnt vmcnt(0)
	v_and_b32_e32 v35, 0xffff, v34
	v_lshrrev_b32_e32 v64, 16, v34
	v_cvt_pk_f32_fp8_e32 v[34:35], v35
	v_cvt_pk_f32_fp8_e32 v[84:85], v64
	v_pk_mul_f32 v[64:65], s[12:13], v[34:35]
	v_pk_mul_f32 v[34:35], s[12:13], v[84:85]
	s_and_saveexec_b64 s[0:1], vcc
	s_cbranch_execz .LBB203_46
; %bb.72:                               ;   in Loop: Header=BB203_48 Depth=1
	v_cmp_gt_i32_e32 vcc, s33, v79
	s_nop 1
	v_cndmask_b32_e32 v64, 0, v64, vcc
	v_cmp_gt_i32_e32 vcc, s33, v81
	s_nop 1
	v_cndmask_b32_e32 v65, 0, v65, vcc
	;; [unrolled: 3-line block ×4, first 2 shown]
	s_branch .LBB203_46
.LBB203_73:
	s_or_b64 exec, exec, s[6:7]
.LBB203_74:
	s_or_b64 exec, exec, s[2:3]
	ds_bpermute_b32 v2, v72, v16
	ds_bpermute_b32 v3, v72, v17
	;; [unrolled: 1-line block ×6, first 2 shown]
	s_waitcnt lgkmcnt(4)
	v_pk_add_f32 v[2:3], v[16:17], v[2:3]
	ds_bpermute_b32 v16, v73, v2
	ds_bpermute_b32 v17, v73, v3
	s_waitcnt lgkmcnt(4)
	v_pk_add_f32 v[12:13], v[12:13], v[18:19]
	ds_bpermute_b32 v20, v72, v8
	ds_bpermute_b32 v21, v72, v9
	s_waitcnt lgkmcnt(4)
	v_pk_add_f32 v[4:5], v[14:15], v[4:5]
	s_waitcnt lgkmcnt(2)
	v_pk_add_f32 v[2:3], v[2:3], v[16:17]
	ds_bpermute_b32 v16, v74, v2
	ds_bpermute_b32 v17, v74, v3
	ds_bpermute_b32 v18, v73, v12
	ds_bpermute_b32 v19, v73, v13
	ds_bpermute_b32 v22, v72, v6
	ds_bpermute_b32 v23, v72, v7
	s_waitcnt lgkmcnt(4)
	v_pk_add_f32 v[2:3], v[2:3], v[16:17]
	ds_bpermute_b32 v16, v72, v10
	ds_bpermute_b32 v17, v72, v11
	;; [unrolled: 1-line block ×4, first 2 shown]
	v_pk_add_f32 v[8:9], v[8:9], v[20:21]
	s_waitcnt lgkmcnt(6)
	v_pk_add_f32 v[12:13], v[12:13], v[18:19]
	s_waitcnt lgkmcnt(2)
	v_pk_add_f32 v[10:11], v[10:11], v[16:17]
	ds_bpermute_b32 v16, v73, v10
	ds_bpermute_b32 v17, v73, v11
	v_pk_add_f32 v[22:23], v[6:7], v[22:23]
	s_waitcnt lgkmcnt(2)
	v_pk_add_f32 v[4:5], v[4:5], v[14:15]
	ds_bpermute_b32 v18, v74, v12
	ds_bpermute_b32 v19, v74, v13
	s_waitcnt lgkmcnt(2)
	v_pk_add_f32 v[16:17], v[10:11], v[16:17]
	ds_bpermute_b32 v10, v73, v8
	ds_bpermute_b32 v11, v73, v9
	;; [unrolled: 1-line block ×6, first 2 shown]
	s_waitcnt lgkmcnt(4)
	v_pk_add_f32 v[24:25], v[8:9], v[10:11]
	ds_bpermute_b32 v20, v74, v16
	ds_bpermute_b32 v21, v74, v17
	;; [unrolled: 1-line block ×4, first 2 shown]
	v_pk_add_f32 v[8:9], v[12:13], v[18:19]
	s_waitcnt lgkmcnt(6)
	v_pk_add_f32 v[12:13], v[22:23], v[28:29]
	s_waitcnt lgkmcnt(4)
	v_pk_add_f32 v[10:11], v[4:5], v[14:15]
	ds_bpermute_b32 v14, v74, v12
	ds_bpermute_b32 v15, v74, v13
	v_and_b32_e32 v1, 0x3c7, v0
	s_waitcnt lgkmcnt(4)
	v_pk_add_f32 v[6:7], v[16:17], v[20:21]
	s_waitcnt lgkmcnt(2)
	v_pk_add_f32 v[4:5], v[24:25], v[26:27]
	v_cmp_ne_u32_e32 vcc, 64, v1
	s_waitcnt lgkmcnt(0)
	s_barrier
	s_and_saveexec_b64 s[0:1], vcc
	s_xor_b64 s[0:1], exec, s[0:1]
; %bb.75:
                                        ; implicit-def: $vgpr71
; %bb.76:
	s_or_saveexec_b64 s[0:1], s[0:1]
	v_pk_add_f32 v[12:13], v[12:13], v[14:15]
	s_xor_b64 exec, exec, s[0:1]
	s_cbranch_execz .LBB203_78
; %bb.77:
	v_lshrrev_b32_e32 v14, 1, v71
	v_add_u32_e32 v14, 0x190, v14
	ds_write2_b32 v14, v2, v3 offset1:8
	ds_write2_b32 v14, v10, v11 offset0:16 offset1:24
	ds_write2_b32 v14, v8, v9 offset0:32 offset1:40
	ds_write2_b32 v14, v6, v7 offset0:48 offset1:56
	ds_write2_b32 v14, v4, v5 offset0:64 offset1:72
	ds_write2_b32 v14, v12, v13 offset0:80 offset1:88
.LBB203_78:
	s_or_b64 exec, exec, s[0:1]
	v_cmp_gt_u32_e32 vcc, 64, v0
	s_waitcnt lgkmcnt(0)
	s_barrier
	s_and_saveexec_b64 s[0:1], vcc
	s_cbranch_execz .LBB203_93
; %bb.79:
	v_cmp_eq_u32_e32 vcc, 0, v75
	v_lshrrev_b32_e32 v14, 3, v0
	s_and_saveexec_b64 s[2:3], vcc
	s_cbranch_execnz .LBB203_96
; %bb.80:
	s_or_b64 exec, exec, s[2:3]
	s_and_saveexec_b64 s[2:3], vcc
	s_cbranch_execnz .LBB203_97
.LBB203_81:
	s_or_b64 exec, exec, s[2:3]
	s_and_saveexec_b64 s[2:3], vcc
	s_cbranch_execnz .LBB203_98
.LBB203_82:
	s_or_b64 exec, exec, s[2:3]
	s_and_saveexec_b64 s[2:3], vcc
	s_cbranch_execnz .LBB203_99
.LBB203_83:
	s_or_b64 exec, exec, s[2:3]
	s_and_saveexec_b64 s[2:3], vcc
	s_cbranch_execnz .LBB203_100
.LBB203_84:
	s_or_b64 exec, exec, s[2:3]
	s_and_saveexec_b64 s[2:3], vcc
	s_cbranch_execnz .LBB203_101
.LBB203_85:
	s_or_b64 exec, exec, s[2:3]
	s_and_saveexec_b64 s[2:3], vcc
	s_cbranch_execnz .LBB203_102
.LBB203_86:
	s_or_b64 exec, exec, s[2:3]
	s_and_saveexec_b64 s[2:3], vcc
	s_cbranch_execnz .LBB203_103
.LBB203_87:
	s_or_b64 exec, exec, s[2:3]
	s_and_saveexec_b64 s[2:3], vcc
	s_cbranch_execnz .LBB203_104
.LBB203_88:
	s_or_b64 exec, exec, s[2:3]
	s_and_saveexec_b64 s[2:3], vcc
	s_cbranch_execnz .LBB203_105
.LBB203_89:
	s_or_b64 exec, exec, s[2:3]
	s_and_saveexec_b64 s[2:3], vcc
	s_cbranch_execnz .LBB203_106
.LBB203_90:
	s_or_b64 exec, exec, s[2:3]
	s_and_saveexec_b64 s[2:3], vcc
	s_cbranch_execz .LBB203_92
.LBB203_91:
	v_mov_b32_e32 v15, 0x190
	v_lshl_add_u32 v14, v14, 2, v15
	ds_read_b32 v14, v14 offset:352
	s_waitcnt lgkmcnt(0)
	v_add_f32_e32 v13, v13, v14
.LBB203_92:
	s_or_b64 exec, exec, s[2:3]
.LBB203_93:
	s_or_b64 exec, exec, s[0:1]
	v_cmp_eq_u32_e32 vcc, 0, v1
	s_barrier
	s_and_saveexec_b64 s[0:1], vcc
	s_cbranch_execz .LBB203_95
; %bb.94:
	s_mul_i32 s0, s10, s11
	s_mul_i32 s0, s0, s5
	s_mulk_i32 s0, 0x60
	s_ashr_i32 s1, s0, 31
	s_lshl_b64 s[0:1], s[0:1], 2
	s_add_u32 s2, s26, s0
	s_mul_i32 s0, s11, s24
	s_addc_u32 s3, s27, s1
	s_ashr_i32 s1, s0, 31
	s_lshl_b64 s[0:1], s[0:1], 2
	s_add_u32 s2, s2, s0
	s_mul_i32 s0, s4, 0x60
	s_addc_u32 s3, s3, s1
	s_ashr_i32 s1, s0, 31
	s_lshl_b64 s[0:1], s[0:1], 2
	s_add_u32 s0, s2, s0
	s_addc_u32 s1, s3, s1
	v_lshrrev_b32_e32 v0, 1, v0
	global_store_dword v0, v2, s[0:1]
	global_store_dword v0, v3, s[0:1] offset:32
	global_store_dword v0, v10, s[0:1] offset:64
	;; [unrolled: 1-line block ×11, first 2 shown]
.LBB203_95:
	s_endpgm
.LBB203_96:
	v_mov_b32_e32 v15, 0x190
	v_lshl_add_u32 v15, v14, 2, v15
	ds_read_b32 v15, v15
	s_waitcnt lgkmcnt(0)
	v_add_f32_e32 v2, v2, v15
	s_or_b64 exec, exec, s[2:3]
	s_and_saveexec_b64 s[2:3], vcc
	s_cbranch_execz .LBB203_81
.LBB203_97:
	v_mov_b32_e32 v15, 0x190
	v_lshl_add_u32 v15, v14, 2, v15
	ds_read_b32 v15, v15 offset:32
	s_waitcnt lgkmcnt(0)
	v_add_f32_e32 v3, v3, v15
	s_or_b64 exec, exec, s[2:3]
	s_and_saveexec_b64 s[2:3], vcc
	s_cbranch_execz .LBB203_82
.LBB203_98:
	v_mov_b32_e32 v15, 0x190
	v_lshl_add_u32 v15, v14, 2, v15
	ds_read_b32 v15, v15 offset:64
	s_waitcnt lgkmcnt(0)
	v_add_f32_e32 v10, v10, v15
	s_or_b64 exec, exec, s[2:3]
	s_and_saveexec_b64 s[2:3], vcc
	s_cbranch_execz .LBB203_83
.LBB203_99:
	v_mov_b32_e32 v15, 0x190
	v_lshl_add_u32 v15, v14, 2, v15
	ds_read_b32 v15, v15 offset:96
	s_waitcnt lgkmcnt(0)
	v_add_f32_e32 v11, v11, v15
	s_or_b64 exec, exec, s[2:3]
	s_and_saveexec_b64 s[2:3], vcc
	s_cbranch_execz .LBB203_84
.LBB203_100:
	v_mov_b32_e32 v15, 0x190
	v_lshl_add_u32 v15, v14, 2, v15
	ds_read_b32 v15, v15 offset:128
	s_waitcnt lgkmcnt(0)
	v_add_f32_e32 v8, v8, v15
	s_or_b64 exec, exec, s[2:3]
	s_and_saveexec_b64 s[2:3], vcc
	s_cbranch_execz .LBB203_85
.LBB203_101:
	v_mov_b32_e32 v15, 0x190
	v_lshl_add_u32 v15, v14, 2, v15
	ds_read_b32 v15, v15 offset:160
	s_waitcnt lgkmcnt(0)
	v_add_f32_e32 v9, v9, v15
	s_or_b64 exec, exec, s[2:3]
	s_and_saveexec_b64 s[2:3], vcc
	s_cbranch_execz .LBB203_86
.LBB203_102:
	v_mov_b32_e32 v15, 0x190
	v_lshl_add_u32 v15, v14, 2, v15
	ds_read_b32 v15, v15 offset:192
	s_waitcnt lgkmcnt(0)
	v_add_f32_e32 v6, v6, v15
	s_or_b64 exec, exec, s[2:3]
	s_and_saveexec_b64 s[2:3], vcc
	s_cbranch_execz .LBB203_87
.LBB203_103:
	v_mov_b32_e32 v15, 0x190
	v_lshl_add_u32 v15, v14, 2, v15
	ds_read_b32 v15, v15 offset:224
	s_waitcnt lgkmcnt(0)
	v_add_f32_e32 v7, v7, v15
	s_or_b64 exec, exec, s[2:3]
	s_and_saveexec_b64 s[2:3], vcc
	s_cbranch_execz .LBB203_88
.LBB203_104:
	v_mov_b32_e32 v15, 0x190
	v_lshl_add_u32 v15, v14, 2, v15
	ds_read_b32 v15, v15 offset:256
	s_waitcnt lgkmcnt(0)
	v_add_f32_e32 v4, v4, v15
	s_or_b64 exec, exec, s[2:3]
	s_and_saveexec_b64 s[2:3], vcc
	s_cbranch_execz .LBB203_89
.LBB203_105:
	v_mov_b32_e32 v15, 0x190
	v_lshl_add_u32 v15, v14, 2, v15
	ds_read_b32 v15, v15 offset:288
	s_waitcnt lgkmcnt(0)
	v_add_f32_e32 v5, v5, v15
	s_or_b64 exec, exec, s[2:3]
	s_and_saveexec_b64 s[2:3], vcc
	s_cbranch_execz .LBB203_90
.LBB203_106:
	v_mov_b32_e32 v15, 0x190
	v_lshl_add_u32 v15, v14, 2, v15
	ds_read_b32 v15, v15 offset:320
	s_waitcnt lgkmcnt(0)
	v_add_f32_e32 v12, v12, v15
	s_or_b64 exec, exec, s[2:3]
	s_and_saveexec_b64 s[2:3], vcc
	s_cbranch_execnz .LBB203_91
	s_branch .LBB203_92
	.section	.rodata,"a",@progbits
	.p2align	6, 0x0
	.amdhsa_kernel _ZN4vllm25paged_attention_v1_kernelIfhLi96ELi32ELi128ELNS_18Fp8KVCacheDataTypeE1ELb1EEEvPT_PKS2_PKT0_S8_ifPKiSA_iPKfiiiSC_SC_iiiii
		.amdhsa_group_segment_fixed_size 400
		.amdhsa_private_segment_fixed_size 0
		.amdhsa_kernarg_size 384
		.amdhsa_user_sgpr_count 2
		.amdhsa_user_sgpr_dispatch_ptr 0
		.amdhsa_user_sgpr_queue_ptr 0
		.amdhsa_user_sgpr_kernarg_segment_ptr 1
		.amdhsa_user_sgpr_dispatch_id 0
		.amdhsa_user_sgpr_kernarg_preload_length 0
		.amdhsa_user_sgpr_kernarg_preload_offset 0
		.amdhsa_user_sgpr_private_segment_size 0
		.amdhsa_uses_dynamic_stack 0
		.amdhsa_enable_private_segment 0
		.amdhsa_system_sgpr_workgroup_id_x 1
		.amdhsa_system_sgpr_workgroup_id_y 1
		.amdhsa_system_sgpr_workgroup_id_z 1
		.amdhsa_system_sgpr_workgroup_info 0
		.amdhsa_system_vgpr_workitem_id 0
		.amdhsa_next_free_vgpr 107
		.amdhsa_next_free_sgpr 49
		.amdhsa_accum_offset 108
		.amdhsa_reserve_vcc 1
		.amdhsa_float_round_mode_32 0
		.amdhsa_float_round_mode_16_64 0
		.amdhsa_float_denorm_mode_32 3
		.amdhsa_float_denorm_mode_16_64 3
		.amdhsa_dx10_clamp 1
		.amdhsa_ieee_mode 1
		.amdhsa_fp16_overflow 0
		.amdhsa_tg_split 0
		.amdhsa_exception_fp_ieee_invalid_op 0
		.amdhsa_exception_fp_denorm_src 0
		.amdhsa_exception_fp_ieee_div_zero 0
		.amdhsa_exception_fp_ieee_overflow 0
		.amdhsa_exception_fp_ieee_underflow 0
		.amdhsa_exception_fp_ieee_inexact 0
		.amdhsa_exception_int_div_zero 0
	.end_amdhsa_kernel
	.section	.text._ZN4vllm25paged_attention_v1_kernelIfhLi96ELi32ELi128ELNS_18Fp8KVCacheDataTypeE1ELb1EEEvPT_PKS2_PKT0_S8_ifPKiSA_iPKfiiiSC_SC_iiiii,"axG",@progbits,_ZN4vllm25paged_attention_v1_kernelIfhLi96ELi32ELi128ELNS_18Fp8KVCacheDataTypeE1ELb1EEEvPT_PKS2_PKT0_S8_ifPKiSA_iPKfiiiSC_SC_iiiii,comdat
.Lfunc_end203:
	.size	_ZN4vllm25paged_attention_v1_kernelIfhLi96ELi32ELi128ELNS_18Fp8KVCacheDataTypeE1ELb1EEEvPT_PKS2_PKT0_S8_ifPKiSA_iPKfiiiSC_SC_iiiii, .Lfunc_end203-_ZN4vllm25paged_attention_v1_kernelIfhLi96ELi32ELi128ELNS_18Fp8KVCacheDataTypeE1ELb1EEEvPT_PKS2_PKT0_S8_ifPKiSA_iPKfiiiSC_SC_iiiii
                                        ; -- End function
	.section	.AMDGPU.csdata,"",@progbits
; Kernel info:
; codeLenInByte = 7576
; NumSgprs: 55
; NumVgprs: 107
; NumAgprs: 0
; TotalNumVgprs: 107
; ScratchSize: 0
; MemoryBound: 0
; FloatMode: 240
; IeeeMode: 1
; LDSByteSize: 400 bytes/workgroup (compile time only)
; SGPRBlocks: 6
; VGPRBlocks: 13
; NumSGPRsForWavesPerEU: 55
; NumVGPRsForWavesPerEU: 107
; AccumOffset: 108
; Occupancy: 4
; WaveLimiterHint : 1
; COMPUTE_PGM_RSRC2:SCRATCH_EN: 0
; COMPUTE_PGM_RSRC2:USER_SGPR: 2
; COMPUTE_PGM_RSRC2:TRAP_HANDLER: 0
; COMPUTE_PGM_RSRC2:TGID_X_EN: 1
; COMPUTE_PGM_RSRC2:TGID_Y_EN: 1
; COMPUTE_PGM_RSRC2:TGID_Z_EN: 1
; COMPUTE_PGM_RSRC2:TIDIG_COMP_CNT: 0
; COMPUTE_PGM_RSRC3_GFX90A:ACCUM_OFFSET: 26
; COMPUTE_PGM_RSRC3_GFX90A:TG_SPLIT: 0
	.section	.text._ZN4vllm25paged_attention_v1_kernelIfhLi112ELi32ELi128ELNS_18Fp8KVCacheDataTypeE1ELb1EEEvPT_PKS2_PKT0_S8_ifPKiSA_iPKfiiiSC_SC_iiiii,"axG",@progbits,_ZN4vllm25paged_attention_v1_kernelIfhLi112ELi32ELi128ELNS_18Fp8KVCacheDataTypeE1ELb1EEEvPT_PKS2_PKT0_S8_ifPKiSA_iPKfiiiSC_SC_iiiii,comdat
	.protected	_ZN4vllm25paged_attention_v1_kernelIfhLi112ELi32ELi128ELNS_18Fp8KVCacheDataTypeE1ELb1EEEvPT_PKS2_PKT0_S8_ifPKiSA_iPKfiiiSC_SC_iiiii ; -- Begin function _ZN4vllm25paged_attention_v1_kernelIfhLi112ELi32ELi128ELNS_18Fp8KVCacheDataTypeE1ELb1EEEvPT_PKS2_PKT0_S8_ifPKiSA_iPKfiiiSC_SC_iiiii
	.globl	_ZN4vllm25paged_attention_v1_kernelIfhLi112ELi32ELi128ELNS_18Fp8KVCacheDataTypeE1ELb1EEEvPT_PKS2_PKT0_S8_ifPKiSA_iPKfiiiSC_SC_iiiii
	.p2align	8
	.type	_ZN4vllm25paged_attention_v1_kernelIfhLi112ELi32ELi128ELNS_18Fp8KVCacheDataTypeE1ELb1EEEvPT_PKS2_PKT0_S8_ifPKiSA_iPKfiiiSC_SC_iiiii,@function
_ZN4vllm25paged_attention_v1_kernelIfhLi112ELi32ELi128ELNS_18Fp8KVCacheDataTypeE1ELb1EEEvPT_PKS2_PKT0_S8_ifPKiSA_iPKfiiiSC_SC_iiiii: ; @_ZN4vllm25paged_attention_v1_kernelIfhLi112ELi32ELi128ELNS_18Fp8KVCacheDataTypeE1ELb1EEEvPT_PKS2_PKT0_S8_ifPKiSA_iPKfiiiSC_SC_iiiii
; %bb.0:
	s_load_dword s5, s[0:1], 0x80
	s_load_dwordx2 s[6:7], s[0:1], 0x30
	s_load_dwordx2 s[36:37], s[0:1], 0x20
	s_mov_b32 s10, s3
	s_ashr_i32 s11, s3, 31
	s_lshl_b64 s[8:9], s[10:11], 2
	s_waitcnt lgkmcnt(0)
	s_add_u32 s6, s6, s8
	s_addc_u32 s7, s7, s9
	s_abs_i32 s3, s36
	v_cvt_f32_u32_e32 v1, s3
	s_sub_i32 s11, 0, s3
	s_abs_i32 s9, s5
	s_xor_b32 s8, s5, s36
	v_rcp_iflag_f32_e32 v1, v1
	s_ashr_i32 s8, s8, 31
	s_mov_b32 s45, 0
	v_mul_f32_e32 v1, 0x4f7ffffe, v1
	v_cvt_u32_f32_e32 v1, v1
	s_nop 0
	v_readfirstlane_b32 s12, v1
	s_mul_i32 s11, s11, s12
	s_mul_hi_u32 s11, s12, s11
	s_add_i32 s12, s12, s11
	s_mul_hi_u32 s11, s9, s12
	s_mul_i32 s12, s11, s3
	s_sub_i32 s9, s9, s12
	s_add_i32 s12, s11, 1
	s_sub_i32 s13, s9, s3
	s_cmp_ge_u32 s9, s3
	s_cselect_b32 s11, s12, s11
	s_cselect_b32 s9, s13, s9
	s_add_i32 s12, s11, 1
	s_cmp_ge_u32 s9, s3
	s_cselect_b32 s3, s12, s11
	s_xor_b32 s3, s3, s8
	s_sub_i32 s14, s3, s8
	s_abs_i32 s11, s14
	v_cvt_f32_u32_e32 v1, s11
	s_load_dwordx2 s[8:9], s[0:1], 0x40
	s_sub_i32 s3, 0, s11
	s_abs_i32 s12, s2
	v_rcp_iflag_f32_e32 v1, v1
	s_nop 0
	v_mul_f32_e32 v1, 0x4f7ffffe, v1
	v_cvt_u32_f32_e32 v1, v1
	s_nop 0
	v_readfirstlane_b32 s13, v1
	s_mul_i32 s3, s3, s13
	s_mul_hi_u32 s3, s13, s3
	s_add_i32 s13, s13, s3
	s_waitcnt lgkmcnt(0)
	s_cmp_eq_u64 s[8:9], 0
	s_mul_hi_u32 s13, s12, s13
	s_cbranch_scc1 .LBB204_2
; %bb.1:
	s_ashr_i32 s3, s2, 31
	s_lshl_b64 s[16:17], s[2:3], 2
	s_add_u32 s8, s8, s16
	s_addc_u32 s9, s9, s17
	s_load_dword s45, s[8:9], 0x0
.LBB204_2:
	s_load_dword s33, s[6:7], 0x0
	s_load_dwordx4 s[16:19], s[0:1], 0x48
	s_ashr_i32 s8, s2, 31
	s_ashr_i32 s9, s14, 31
	v_and_b32_e32 v2, 1, v0
	s_mul_i32 s24, s2, 0x70
	v_cmp_gt_u32_e32 vcc, 56, v0
	v_lshlrev_b32_e32 v56, 2, v0
	s_and_saveexec_b64 s[6:7], vcc
	s_cbranch_execz .LBB204_4
; %bb.3:
	s_load_dwordx2 s[14:15], s[0:1], 0x8
	s_waitcnt lgkmcnt(0)
	s_mul_i32 s20, s10, s16
	s_ashr_i32 s21, s20, 31
	s_lshl_b64 s[20:21], s[20:21], 2
	v_lshlrev_b32_e32 v1, 3, v0
	s_add_u32 s3, s14, s20
	s_addc_u32 s16, s15, s21
	s_ashr_i32 s25, s24, 31
	s_lshl_b64 s[14:15], s[24:25], 2
	s_add_u32 s14, s3, s14
	s_addc_u32 s15, s16, s15
	global_load_dwordx2 v[4:5], v1, s[14:15]
	v_and_b32_e32 v1, 0xff8, v56
	s_movk_i32 s3, 0xe0
	v_mad_u32_u24 v1, v2, s3, v1
	s_waitcnt vmcnt(0)
	ds_write_b64 v1, v[4:5]
.LBB204_4:
	s_or_b64 exec, exec, s[6:7]
	s_mul_i32 s7, s13, s11
	s_sub_i32 s7, s12, s7
	s_xor_b32 s6, s8, s9
	s_add_i32 s8, s13, 1
	s_sub_i32 s9, s7, s11
	s_load_dwordx4 s[20:23], s[0:1], 0x68
	s_load_dword s3, s[0:1], 0x78
	s_cmp_ge_u32 s7, s11
	s_cselect_b32 s8, s8, s13
	s_cselect_b32 s7, s9, s7
	s_add_i32 s9, s8, 1
	s_cmp_ge_u32 s7, s11
	s_cselect_b32 s7, s9, s8
	s_waitcnt lgkmcnt(0)
	s_abs_i32 s25, s23
	v_cvt_f32_u32_e32 v1, s25
	s_xor_b32 s7, s7, s6
	s_sub_i32 s44, s7, s6
	s_sub_i32 s6, 0, s25
	v_rcp_iflag_f32_e32 v1, v1
	s_add_i32 s11, s33, -1
	s_abs_i32 s8, s11
	v_mul_f32_e32 v1, 0x4f7ffffe, v1
	v_cvt_u32_f32_e32 v1, v1
	s_barrier
	v_readfirstlane_b32 s42, v1
	s_mul_i32 s6, s6, s42
	s_mul_hi_u32 s6, s42, s6
	s_add_i32 s42, s42, s6
	s_cmp_lt_i32 s3, 0
	s_mul_hi_u32 s9, s8, s42
	s_cbranch_scc0 .LBB204_6
; %bb.5:
	s_mul_i32 s6, s20, s36
	s_add_i32 s6, s44, s6
	s_mul_i32 s6, s6, s3
	s_sub_i32 s36, 1, s6
	s_mov_b64 s[6:7], 0
	s_branch .LBB204_7
.LBB204_6:
	s_mov_b64 s[6:7], -1
                                        ; implicit-def: $sgpr36
.LBB204_7:
	s_load_dwordx2 s[28:29], s[0:1], 0x28
	s_ashr_i32 s16, s11, 31
	s_andn2_b64 vcc, exec, s[6:7]
	s_ashr_i32 s23, s23, 31
	s_cbranch_vccnz .LBB204_9
; %bb.8:
	s_mul_i32 s6, s5, s20
	s_add_i32 s2, s6, s2
	s_mul_i32 s2, s2, s3
	s_add_i32 s36, s2, 1
.LBB204_9:
	s_load_dword s2, s[0:1], 0x38
	s_load_dwordx2 s[26:27], s[0:1], 0x0
	s_load_dwordx2 s[34:35], s[0:1], 0x18
	s_load_dword s11, s[0:1], 0x88
	s_load_dwordx4 s[12:15], s[0:1], 0x58
	s_mul_i32 s3, s9, s25
	s_waitcnt lgkmcnt(0)
	s_mul_i32 s30, s10, s2
	s_sub_i32 s3, s8, s3
	s_ashr_i32 s31, s30, 31
	s_xor_b32 s2, s16, s23
	s_add_i32 s6, s9, 1
	s_sub_i32 s7, s3, s25
	s_cmp_ge_u32 s3, s25
	s_cselect_b32 s6, s6, s9
	s_cselect_b32 s3, s7, s3
	s_add_i32 s7, s6, 1
	s_cmp_ge_u32 s3, s25
	s_cselect_b32 s3, s7, s6
	s_xor_b32 s3, s3, s2
	s_sub_i32 s43, s3, s2
	s_add_i32 s2, s33, 31
	s_ashr_i32 s3, s2, 31
	s_lshr_b32 s3, s3, 27
	s_add_i32 s2, s2, s3
	s_ashr_i32 s20, s2, 5
	v_lshrrev_b32_e32 v1, 6, v0
	v_cmp_gt_i32_e64 s[6:7], s20, v1
	v_mov_b32_e32 v61, 0xff7fffff
	s_mul_i32 s44, s44, s18
	v_lshrrev_b32_e32 v57, 4, v0
	v_lshlrev_b32_e32 v80, 5, v1
	v_mbcnt_lo_u32_b32 v58, -1, 0
	s_and_saveexec_b64 s[18:19], s[6:7]
	s_cbranch_execz .LBB204_19
; %bb.10:
	s_load_dwordx2 s[0:1], s[0:1], 0x10
	s_sub_i32 s46, s43, s21
	s_ashr_i32 s2, s44, 31
	v_bfe_u32 v59, v0, 1, 5
	v_mov_b32_e32 v51, 0
	s_waitcnt lgkmcnt(0)
	s_add_u32 s0, s0, s44
	s_addc_u32 s1, s1, s2
	s_abs_i32 s47, s22
	v_cvt_f32_u32_e32 v3, s47
	v_lshlrev_b32_e32 v50, 4, v59
	v_lshl_add_u64 v[52:53], s[0:1], 0, v[50:51]
	s_sub_i32 s0, 0, s47
	v_rcp_iflag_f32_e32 v3, v3
	v_cmp_eq_u32_e32 vcc, 0, v2
	v_mul_u32_u24_e32 v60, 0xe0, v2
	v_lshlrev_b32_e32 v50, 1, v2
	v_mul_f32_e32 v3, 0x4f7ffffe, v3
	v_cvt_u32_f32_e32 v3, v3
	v_mbcnt_hi_u32_b32 v67, -1, v58
	s_mov_b32 s48, s17
	v_cmp_neq_f32_e64 s[2:3], s45, 0
	v_mul_lo_u32 v2, s0, v3
	s_lshl_b64 s[0:1], s[30:31], 2
	v_mul_hi_u32 v2, v3, v2
	s_add_u32 s0, s28, s0
	v_add_u32_e32 v62, v3, v2
	v_and_b32_e32 v2, 60, v57
	v_mov_b32_e32 v3, v51
	s_addc_u32 s1, s29, s1
	v_lshl_add_u64 v[54:55], s[0:1], 0, v[2:3]
	v_lshlrev_b32_e32 v2, 2, v59
	v_lshl_or_b32 v2, v1, 7, v2
	v_add_u32_e32 v64, 0x1d0, v2
	v_subrev_u32_e32 v2, s33, v59
	v_add_u32_e32 v65, 1, v2
	v_and_b32_e32 v2, 64, v67
	v_lshlrev_b32_e32 v63, 5, v1
	s_mov_b64 s[38:39], 0
	v_mov_b32_e32 v66, 0xff7fffff
	v_xor_b32_e32 v68, 1, v67
	v_add_u32_e32 v69, 64, v2
	v_mov_b32_e32 v61, 0xff7fffff
	v_mov_b32_e32 v70, v1
	s_branch .LBB204_13
.LBB204_11:                             ;   in Loop: Header=BB204_13 Depth=1
	s_or_b64 exec, exec, s[40:41]
.LBB204_12:                             ;   in Loop: Header=BB204_13 Depth=1
	s_or_b64 exec, exec, s[8:9]
	v_add_u32_e32 v70, 2, v70
	v_cmp_le_i32_e64 s[0:1], s20, v70
	v_lshl_add_u64 v[54:55], v[54:55], 0, 8
	v_add_u32_e32 v63, 64, v63
	s_or_b64 s[38:39], s[0:1], s[38:39]
	v_add_u32_e32 v64, 0x100, v64
	s_andn2_b64 exec, exec, s[38:39]
	s_cbranch_execz .LBB204_18
.LBB204_13:                             ; =>This Inner Loop Header: Depth=1
	v_mul_hi_u32 v2, v63, s42
	s_waitcnt lgkmcnt(0)
	v_mul_lo_u32 v3, v2, s25
	v_sub_u32_e32 v3, v63, v3
	v_add_u32_e32 v4, 1, v2
	v_cmp_le_u32_e64 s[0:1], s25, v3
	s_nop 1
	v_cndmask_b32_e64 v2, v2, v4, s[0:1]
	v_subrev_u32_e32 v4, s25, v3
	v_cndmask_b32_e64 v3, v3, v4, s[0:1]
	v_add_u32_e32 v4, 1, v2
	v_cmp_le_u32_e64 s[0:1], s25, v3
	s_nop 1
	v_cndmask_b32_e64 v2, v2, v4, s[0:1]
	v_xor_b32_e32 v2, s23, v2
	v_subrev_u32_e32 v2, s23, v2
	v_add_u32_e32 v3, s36, v2
	v_sub_u32_e32 v5, 0, v3
	v_ashrrev_i32_e32 v4, 31, v3
	v_max_i32_e32 v3, v3, v5
	v_mul_hi_u32 v5, v3, v62
	v_mul_lo_u32 v5, v5, s47
	v_sub_u32_e32 v3, v3, v5
	v_subrev_u32_e32 v5, s47, v3
	v_cmp_le_u32_e64 s[0:1], s47, v3
	v_cmp_ge_i32_e64 s[8:9], s46, v2
	s_nop 0
	v_cndmask_b32_e64 v3, v3, v5, s[0:1]
	v_subrev_u32_e32 v5, s47, v3
	v_cmp_le_u32_e64 s[0:1], s47, v3
	s_nop 1
	v_cndmask_b32_e64 v3, v3, v5, s[0:1]
	v_xor_b32_e32 v3, v3, v4
	v_sub_u32_e32 v3, v3, v4
	v_cmp_ne_u32_e64 s[0:1], 0, v3
	s_and_b64 s[0:1], s[0:1], s[8:9]
	s_and_b64 s[40:41], vcc, s[0:1]
	s_and_saveexec_b64 s[8:9], s[40:41]
	s_cbranch_execz .LBB204_15
; %bb.14:                               ;   in Loop: Header=BB204_13 Depth=1
	ds_write_b32 v64, v66
.LBB204_15:                             ;   in Loop: Header=BB204_13 Depth=1
	s_or_b64 exec, exec, s[8:9]
	s_xor_b64 s[0:1], s[0:1], -1
	s_and_saveexec_b64 s[8:9], s[0:1]
	s_cbranch_execz .LBB204_12
; %bb.16:                               ;   in Loop: Header=BB204_13 Depth=1
	global_load_dword v2, v[54:55], off
	s_waitcnt vmcnt(0)
	v_mad_i64_i32 v[2:3], s[0:1], v2, s48, v[52:53]
	v_lshl_add_u64 v[2:3], v[2:3], 0, v[50:51]
	global_load_ushort v71, v[2:3], off
	global_load_ushort v74, v[2:3], off offset:4
	global_load_ushort v76, v[2:3], off offset:8
	;; [unrolled: 1-line block ×27, first 2 shown]
	ds_read_b128 v[46:49], v60
	ds_read_b128 v[42:45], v60 offset:16
	ds_read_b128 v[38:41], v60 offset:32
	;; [unrolled: 1-line block ×3, first 2 shown]
	s_load_dword s16, s[12:13], 0x0
	ds_read_b128 v[6:9], v60 offset:64
	ds_read_b128 v[2:5], v60 offset:80
	;; [unrolled: 1-line block ×8, first 2 shown]
	v_cmp_lt_i32_e64 s[0:1], v68, v69
	s_waitcnt vmcnt(27)
	v_cvt_pk_f32_fp8_e32 v[72:73], v71
	s_waitcnt vmcnt(26)
	v_cvt_pk_f32_fp8_e32 v[74:75], v74
	;; [unrolled: 2-line block ×4, first 2 shown]
	s_waitcnt lgkmcnt(0)
	v_pk_mul_f32 v[72:73], s[16:17], v[72:73] op_sel_hi:[0,1]
	v_pk_mul_f32 v[74:75], s[16:17], v[74:75] op_sel_hi:[0,1]
	v_mul_f32_e32 v71, v48, v74
	v_mul_f32_e32 v106, v49, v75
	v_pk_mul_f32 v[76:77], s[16:17], v[76:77] op_sel_hi:[0,1]
	v_fmac_f32_e32 v71, v46, v72
	v_fmac_f32_e32 v106, v47, v73
	;; [unrolled: 1-line block ×4, first 2 shown]
	s_waitcnt vmcnt(23)
	v_cvt_pk_f32_fp8_e32 v[42:43], v81
	v_pk_mul_f32 v[76:77], s[16:17], v[78:79] op_sel_hi:[0,1]
	v_fmac_f32_e32 v71, v44, v76
	v_fmac_f32_e32 v106, v45, v77
	s_waitcnt vmcnt(22)
	v_cvt_pk_f32_fp8_e32 v[44:45], v82
	s_waitcnt vmcnt(21)
	v_cvt_pk_f32_fp8_e32 v[76:77], v83
	;; [unrolled: 2-line block ×4, first 2 shown]
	v_pk_mul_f32 v[42:43], s[16:17], v[42:43] op_sel_hi:[0,1]
	s_waitcnt vmcnt(18)
	v_cvt_pk_f32_fp8_e32 v[84:85], v86
	v_fmac_f32_e32 v71, v38, v42
	v_fmac_f32_e32 v106, v39, v43
	v_pk_mul_f32 v[44:45], s[16:17], v[44:45] op_sel_hi:[0,1]
	s_waitcnt vmcnt(17)
	v_cvt_pk_f32_fp8_e32 v[86:87], v87
	v_fmac_f32_e32 v71, v40, v44
	v_fmac_f32_e32 v106, v41, v45
	;; [unrolled: 5-line block ×5, first 2 shown]
	v_pk_mul_f32 v[82:83], s[16:17], v[84:85] op_sel_hi:[0,1]
	s_waitcnt vmcnt(13)
	v_cvt_pk_f32_fp8_e32 v[44:45], v91
	v_pk_mul_f32 v[84:85], s[16:17], v[86:87] op_sel_hi:[0,1]
	v_fmac_f32_e32 v71, v8, v82
	v_fmac_f32_e32 v106, v9, v83
	s_waitcnt vmcnt(12)
	v_cvt_pk_f32_fp8_e32 v[88:89], v92
	v_pk_mul_f32 v[38:39], s[16:17], v[38:39] op_sel_hi:[0,1]
	v_fmac_f32_e32 v71, v2, v84
	v_fmac_f32_e32 v106, v3, v85
	;; [unrolled: 5-line block ×11, first 2 shown]
	ds_read_b128 v[46:49], v60 offset:192
	ds_read_b128 v[72:75], v60 offset:208
	s_waitcnt vmcnt(2)
	v_cvt_pk_f32_fp8_e32 v[100:101], v102
	v_pk_mul_f32 v[20:21], s[16:17], v[20:21] op_sel_hi:[0,1]
	v_fmac_f32_e32 v71, v34, v76
	v_fmac_f32_e32 v106, v35, v77
	s_waitcnt vmcnt(1)
	v_cvt_pk_f32_fp8_e32 v[102:103], v103
	v_pk_mul_f32 v[78:79], s[16:17], v[78:79] op_sel_hi:[0,1]
	v_fmac_f32_e32 v71, v36, v20
	v_fmac_f32_e32 v106, v37, v21
	;; [unrolled: 5-line block ×3, first 2 shown]
	v_pk_mul_f32 v[96:97], s[16:17], v[98:99] op_sel_hi:[0,1]
	v_fmac_f32_e32 v71, v32, v94
	v_fmac_f32_e32 v106, v33, v95
	v_pk_mul_f32 v[98:99], s[16:17], v[100:101] op_sel_hi:[0,1]
	s_waitcnt lgkmcnt(1)
	v_fmac_f32_e32 v71, v46, v96
	v_fmac_f32_e32 v106, v47, v97
	v_pk_mul_f32 v[100:101], s[16:17], v[102:103] op_sel_hi:[0,1]
	v_fmac_f32_e32 v71, v48, v98
	v_fmac_f32_e32 v106, v49, v99
	v_pk_mul_f32 v[6:7], s[16:17], v[6:7] op_sel_hi:[0,1]
	s_waitcnt lgkmcnt(0)
	v_fmac_f32_e32 v71, v72, v100
	v_fmac_f32_e32 v106, v73, v101
	v_cndmask_b32_e64 v105, v67, v68, s[0:1]
	v_fmac_f32_e32 v71, v74, v6
	v_fmac_f32_e32 v106, v75, v7
	v_lshlrev_b32_e32 v105, 2, v105
	v_add_f32_e32 v2, v71, v106
	ds_bpermute_b32 v3, v105, v2
	s_and_saveexec_b64 s[40:41], vcc
	s_cbranch_execz .LBB204_11
; %bb.17:                               ;   in Loop: Header=BB204_13 Depth=1
	v_add_u32_e32 v4, v65, v63
	v_cvt_f32_i32_e32 v4, v4
	s_waitcnt lgkmcnt(0)
	v_add_f32_e32 v2, v2, v3
	v_add_u32_e32 v5, v59, v63
	v_cmp_gt_i32_e64 s[0:1], s33, v5
	v_mul_f32_e32 v3, s45, v4
	v_cndmask_b32_e64 v3, 0, v3, s[2:3]
	v_fmac_f32_e32 v3, s37, v2
	v_cndmask_b32_e64 v2, 0, v3, s[0:1]
	ds_write_b32 v64, v2
	v_max_f32_e32 v2, v61, v61
	v_max_f32_e32 v2, v2, v3
	v_cndmask_b32_e64 v61, v61, v2, s[0:1]
	s_branch .LBB204_11
.LBB204_18:
	s_or_b64 exec, exec, s[38:39]
.LBB204_19:
	s_or_b64 exec, exec, s[18:19]
	v_mbcnt_hi_u32_b32 v7, -1, v58
	v_and_b32_e32 v2, 64, v7
	v_add_u32_e32 v8, 64, v2
	v_xor_b32_e32 v2, 32, v7
	v_cmp_lt_i32_e32 vcc, v2, v8
	v_xor_b32_e32 v5, 16, v7
	v_max_f32_e32 v4, v61, v61
	v_cndmask_b32_e32 v2, v7, v2, vcc
	v_lshlrev_b32_e32 v2, 2, v2
	s_waitcnt lgkmcnt(0)
	ds_bpermute_b32 v3, v2, v61
	v_cmp_lt_i32_e32 vcc, v5, v8
	v_xor_b32_e32 v6, 8, v7
	v_xor_b32_e32 v9, 4, v7
	v_and_b32_e32 v81, 63, v0
	s_waitcnt lgkmcnt(0)
	v_max_f32_e32 v3, v3, v3
	v_max_f32_e32 v4, v4, v3
	v_cndmask_b32_e32 v3, v7, v5, vcc
	v_lshlrev_b32_e32 v3, 2, v3
	ds_bpermute_b32 v5, v3, v4
	v_cmp_lt_i32_e32 vcc, v6, v8
	s_waitcnt lgkmcnt(0)
	v_max_f32_e32 v5, v5, v5
	v_max_f32_e32 v5, v4, v5
	v_cndmask_b32_e32 v4, v7, v6, vcc
	v_lshlrev_b32_e32 v4, 2, v4
	ds_bpermute_b32 v6, v4, v5
	v_cmp_lt_i32_e32 vcc, v9, v8
	s_waitcnt lgkmcnt(0)
	v_max_f32_e32 v6, v6, v6
	v_max_f32_e32 v5, v5, v6
	v_cndmask_b32_e32 v6, v7, v9, vcc
	v_lshlrev_b32_e32 v83, 2, v6
	ds_bpermute_b32 v6, v83, v5
	v_xor_b32_e32 v9, 2, v7
	v_cmp_lt_i32_e32 vcc, v9, v8
	s_waitcnt lgkmcnt(0)
	v_max_f32_e32 v6, v6, v6
	v_max_f32_e32 v6, v5, v6
	v_cndmask_b32_e32 v5, v7, v9, vcc
	v_lshlrev_b32_e32 v82, 2, v5
	ds_bpermute_b32 v9, v82, v6
	v_cmp_eq_u32_e32 vcc, 0, v81
	v_lshlrev_b32_e32 v5, 2, v1
	s_and_saveexec_b64 s[0:1], vcc
	s_cbranch_execz .LBB204_21
; %bb.20:
	s_waitcnt lgkmcnt(0)
	v_max_f32_e32 v9, v9, v9
	v_max_f32_e32 v6, v6, v6
	;; [unrolled: 1-line block ×3, first 2 shown]
	ds_write_b32 v5, v6 offset:448
.LBB204_21:
	s_or_b64 exec, exec, s[0:1]
	v_cmp_gt_u32_e64 s[0:1], 2, v81
	s_waitcnt lgkmcnt(0)
	v_mov_b32_e32 v9, 0xff7fffff
	v_lshlrev_b32_e32 v6, 2, v81
	s_barrier
	s_and_saveexec_b64 s[2:3], s[0:1]
	s_cbranch_execz .LBB204_23
; %bb.22:
	ds_read_b32 v9, v6 offset:448
.LBB204_23:
	s_or_b64 exec, exec, s[2:3]
	v_xor_b32_e32 v10, 1, v7
	v_cmp_lt_i32_e64 s[2:3], v10, v8
	s_nop 1
	v_cndmask_b32_e64 v8, v7, v10, s[2:3]
	v_lshlrev_b32_e32 v84, 2, v8
	s_waitcnt lgkmcnt(0)
	ds_bpermute_b32 v8, v84, v9
	v_max_f32_e32 v9, v9, v9
	v_lshlrev_b32_e32 v7, 2, v7
	v_and_b32_e32 v7, 0x100, v7
	s_lshl_b32 s2, s20, 5
	s_waitcnt lgkmcnt(0)
	v_max_f32_e32 v8, v8, v8
	v_max_f32_e32 v8, v9, v8
	ds_bpermute_b32 v9, v7, v8
	s_min_i32 s16, s2, s33
	v_cmp_gt_i32_e64 s[2:3], s16, v0
	v_mov_b32_e32 v8, 0
	s_and_saveexec_b64 s[12:13], s[2:3]
	s_cbranch_execz .LBB204_27
; %bb.24:
	v_mov_b32_e32 v8, 0x1d0
	v_lshl_add_u32 v10, v0, 2, v8
	s_mov_b64 s[18:19], 0
	v_mov_b32_e32 v8, 0
	v_mov_b32_e32 v11, v0
.LBB204_25:                             ; =>This Inner Loop Header: Depth=1
	ds_read_b32 v12, v10
	v_add_u32_e32 v11, 0x80, v11
	v_cmp_le_i32_e64 s[8:9], s16, v11
	s_or_b64 s[18:19], s[8:9], s[18:19]
	s_waitcnt lgkmcnt(0)
	v_sub_f32_e32 v12, v12, v9
	v_mul_f32_e32 v12, 0x3fb8aa3b, v12
	v_exp_f32_e32 v12, v12
	ds_write_b32 v10, v12
	v_add_f32_e32 v8, v8, v12
	v_add_u32_e32 v10, 0x200, v10
	s_andn2_b64 exec, exec, s[18:19]
	s_cbranch_execnz .LBB204_25
; %bb.26:
	s_or_b64 exec, exec, s[18:19]
.LBB204_27:
	s_or_b64 exec, exec, s[12:13]
	ds_bpermute_b32 v2, v2, v8
	s_waitcnt lgkmcnt(0)
	v_add_f32_e32 v2, v8, v2
	ds_bpermute_b32 v3, v3, v2
	s_waitcnt lgkmcnt(0)
	v_add_f32_e32 v2, v2, v3
	;; [unrolled: 3-line block ×6, first 2 shown]
	s_and_saveexec_b64 s[8:9], vcc
	s_cbranch_execz .LBB204_29
; %bb.28:
	ds_write_b32 v5, v2 offset:456
.LBB204_29:
	s_or_b64 exec, exec, s[8:9]
	s_waitcnt lgkmcnt(0)
	s_barrier
	s_and_saveexec_b64 s[8:9], s[0:1]
	s_cbranch_execz .LBB204_31
; %bb.30:
	ds_read_b32 v2, v6 offset:456
.LBB204_31:
	s_or_b64 exec, exec, s[8:9]
	s_waitcnt lgkmcnt(0)
	ds_bpermute_b32 v3, v84, v2
	s_waitcnt lgkmcnt(0)
	v_add_f32_e32 v2, v2, v3
	ds_bpermute_b32 v2, v7, v2
	s_and_saveexec_b64 s[0:1], s[2:3]
	s_cbranch_execz .LBB204_44
; %bb.32:
	s_waitcnt lgkmcnt(0)
	v_add_f32_e32 v2, 0x358637bd, v2
	v_div_scale_f32 v3, s[2:3], v2, v2, 1.0
	v_rcp_f32_e32 v4, v3
	v_div_scale_f32 v5, vcc, 1.0, v2, 1.0
	s_movk_i32 s2, 0x7f
	v_fma_f32 v6, -v3, v4, 1.0
	v_fmac_f32_e32 v4, v6, v4
	v_mul_f32_e32 v6, v5, v4
	v_fma_f32 v7, -v3, v6, v5
	v_fmac_f32_e32 v6, v7, v4
	v_fma_f32 v3, -v3, v6, v5
	v_div_fmas_f32 v3, v3, v4, v6
	v_xad_u32 v4, v0, -1, s16
	v_div_fixup_f32 v2, v3, v2, 1.0
	v_cmp_lt_u32_e32 vcc, s2, v4
	s_mov_b64 s[8:9], -1
	v_mov_b32_e32 v3, v0
	s_and_saveexec_b64 s[2:3], vcc
	s_cbranch_execz .LBB204_41
; %bb.33:
	v_lshrrev_b32_e32 v4, 7, v4
	v_add_u32_e32 v6, -1, v4
	v_lshrrev_b32_e32 v5, 1, v6
	v_mov_b32_e32 v3, v2
	v_add_u32_e32 v5, 1, v5
	v_cmp_lt_u32_e32 vcc, 13, v6
	v_mov_b32_e32 v8, 0
	s_and_saveexec_b64 s[8:9], vcc
	s_cbranch_execz .LBB204_37
; %bb.34:
	v_mov_b32_e32 v7, 0x1d0
	v_and_b32_e32 v6, -8, v5
	v_lshl_add_u32 v7, v0, 2, v7
	s_mov_b32 s18, 0
	s_mov_b64 s[12:13], 0
.LBB204_35:                             ; =>This Inner Loop Header: Depth=1
	ds_read2st64_b32 v[8:9], v7 offset1:2
	ds_read2st64_b32 v[10:11], v7 offset0:4 offset1:6
	ds_read2st64_b32 v[12:13], v7 offset0:8 offset1:10
	;; [unrolled: 1-line block ×3, first 2 shown]
	v_add_u32_e32 v6, -8, v6
	s_waitcnt lgkmcnt(3)
	v_pk_mul_f32 v[8:9], v[2:3], v[8:9]
	s_waitcnt lgkmcnt(2)
	v_pk_mul_f32 v[10:11], v[2:3], v[10:11]
	ds_write2st64_b32 v7, v8, v9 offset1:2
	ds_write2st64_b32 v7, v10, v11 offset0:4 offset1:6
	ds_read2st64_b32 v[10:11], v7 offset0:16 offset1:18
	s_waitcnt lgkmcnt(4)
	v_pk_mul_f32 v[8:9], v[2:3], v[12:13]
	ds_write2st64_b32 v7, v8, v9 offset0:8 offset1:10
	s_waitcnt lgkmcnt(4)
	v_pk_mul_f32 v[8:9], v[2:3], v[14:15]
	ds_write2st64_b32 v7, v8, v9 offset0:12 offset1:14
	ds_read2st64_b32 v[8:9], v7 offset0:20 offset1:22
	s_waitcnt lgkmcnt(3)
	v_pk_mul_f32 v[10:11], v[2:3], v[10:11]
	ds_read2st64_b32 v[12:13], v7 offset0:24 offset1:26
	ds_write2st64_b32 v7, v10, v11 offset0:16 offset1:18
	ds_read2st64_b32 v[10:11], v7 offset0:28 offset1:30
	s_waitcnt lgkmcnt(3)
	v_pk_mul_f32 v[8:9], v[2:3], v[8:9]
	ds_write2st64_b32 v7, v8, v9 offset0:20 offset1:22
	s_waitcnt lgkmcnt(3)
	v_pk_mul_f32 v[8:9], v[2:3], v[12:13]
	ds_write2st64_b32 v7, v8, v9 offset0:24 offset1:26
	s_waitcnt lgkmcnt(2)
	v_pk_mul_f32 v[8:9], v[2:3], v[10:11]
	s_add_i32 s18, s18, 16
	v_cmp_eq_u32_e32 vcc, 0, v6
	ds_write2st64_b32 v7, v8, v9 offset0:28 offset1:30
	v_add_u32_e32 v7, 0x2000, v7
	s_or_b64 s[12:13], vcc, s[12:13]
	v_mov_b32_e32 v8, s18
	s_andn2_b64 exec, exec, s[12:13]
	s_cbranch_execnz .LBB204_35
; %bb.36:
	s_or_b64 exec, exec, s[12:13]
.LBB204_37:
	s_or_b64 exec, exec, s[8:9]
	v_and_b32_e32 v5, 7, v5
	v_cmp_ne_u32_e32 vcc, 0, v5
	s_and_saveexec_b64 s[8:9], vcc
	s_cbranch_execz .LBB204_40
; %bb.38:
	v_lshlrev_b32_e32 v6, 9, v8
	s_movk_i32 s12, 0x1d0
	v_add3_u32 v6, v6, v56, s12
	s_mov_b64 s[12:13], 0
.LBB204_39:                             ; =>This Inner Loop Header: Depth=1
	ds_read2st64_b32 v[8:9], v6 offset1:2
	v_add_u32_e32 v5, -1, v5
	v_cmp_eq_u32_e32 vcc, 0, v5
	s_or_b64 s[12:13], vcc, s[12:13]
	s_waitcnt lgkmcnt(0)
	v_pk_mul_f32 v[8:9], v[2:3], v[8:9]
	ds_write2st64_b32 v6, v8, v9 offset1:2
	v_add_u32_e32 v6, 0x400, v6
	s_andn2_b64 exec, exec, s[12:13]
	s_cbranch_execnz .LBB204_39
.LBB204_40:
	s_or_b64 exec, exec, s[8:9]
	v_add_u32_e32 v4, 1, v4
	v_and_b32_e32 v5, 0x3fffffe, v4
	v_cmp_ne_u32_e32 vcc, v4, v5
	v_lshl_add_u32 v3, v5, 7, v0
	s_orn2_b64 s[8:9], vcc, exec
.LBB204_41:
	s_or_b64 exec, exec, s[2:3]
	s_and_b64 exec, exec, s[8:9]
	s_cbranch_execz .LBB204_44
; %bb.42:
	v_mov_b32_e32 v4, 0x1d0
	v_lshl_add_u32 v4, v3, 2, v4
	s_mov_b64 s[2:3], 0
.LBB204_43:                             ; =>This Inner Loop Header: Depth=1
	ds_read_b32 v5, v4
	v_add_u32_e32 v3, 0x80, v3
	v_cmp_le_i32_e32 vcc, s16, v3
	s_or_b64 s[2:3], vcc, s[2:3]
	s_waitcnt lgkmcnt(0)
	v_mul_f32_e32 v5, v2, v5
	ds_write_b32 v4, v5
	v_add_u32_e32 v4, 0x200, v4
	s_andn2_b64 exec, exec, s[2:3]
	s_cbranch_execnz .LBB204_43
.LBB204_44:
	s_or_b64 exec, exec, s[0:1]
	v_mov_b32_e32 v18, 0
	v_and_b32_e32 v85, 7, v0
	v_mov_b32_e32 v19, 0
	v_mov_b32_e32 v16, 0
	;; [unrolled: 1-line block ×13, first 2 shown]
	s_waitcnt lgkmcnt(0)
	s_barrier
	s_and_saveexec_b64 s[2:3], s[6:7]
	s_cbranch_execz .LBB204_78
; %bb.45:
	s_sub_i32 s18, s43, s21
	s_ashr_i32 s1, s44, 31
	s_add_u32 s0, s34, s44
	s_addc_u32 s1, s35, s1
	s_abs_i32 s19, s22
	v_cvt_f32_u32_e32 v2, s19
	s_sub_i32 s6, 0, s19
	v_and_b32_e32 v6, 0xfc, v56
	v_mov_b32_e32 v7, 0
	v_rcp_iflag_f32_e32 v2, v2
	s_add_i32 s22, s20, -1
	v_lshl_add_u64 v[20:21], s[0:1], 0, v[6:7]
	s_lshl_b64 s[0:1], s[30:31], 2
	v_mul_f32_e32 v2, 0x4f7ffffe, v2
	v_cvt_u32_f32_e32 v2, v2
	s_add_u32 s0, s28, s0
	v_and_b32_e32 v6, 60, v57
	s_addc_u32 s1, s29, s1
	v_mul_lo_u32 v3, s6, v2
	v_mul_hi_u32 v3, v2, v3
	v_add_u32_e32 v87, v2, v3
	v_lshlrev_b32_e32 v2, 4, v85
	v_lshl_or_b32 v2, v1, 7, v2
	v_and_b32_e32 v86, 28, v56
	s_mov_b32 s21, s17
	v_lshl_add_u64 v[22:23], s[0:1], 0, v[6:7]
	v_add_u32_e32 v88, 0x1d0, v2
	s_mov_b64 s[6:7], 0
	v_mov_b32_e32 v6, v7
	v_mov_b32_e32 v9, v7
	v_mov_b32_e32 v8, v7
	v_mov_b32_e32 v11, v7
	v_mov_b32_e32 v10, v7
	v_mov_b32_e32 v13, v7
	v_mov_b32_e32 v12, v7
	v_mov_b32_e32 v15, v7
	v_mov_b32_e32 v14, v7
	v_mov_b32_e32 v17, v7
	v_mov_b32_e32 v16, v7
	v_mov_b32_e32 v19, v7
	v_mov_b32_e32 v18, v7
	s_branch .LBB204_48
.LBB204_46:                             ;   in Loop: Header=BB204_48 Depth=1
	s_or_b64 exec, exec, s[0:1]
	v_mul_f32_e32 v79, v3, v79
	v_mul_f32_e32 v75, v3, v75
	;; [unrolled: 1-line block ×14, first 2 shown]
	v_fmac_f32_e32 v79, v2, v78
	v_fmac_f32_e32 v75, v2, v74
	;; [unrolled: 1-line block ×42, first 2 shown]
	v_add_f32_e32 v6, v6, v79
	v_add_f32_e32 v9, v9, v75
	;; [unrolled: 1-line block ×14, first 2 shown]
.LBB204_47:                             ;   in Loop: Header=BB204_48 Depth=1
	s_or_b64 exec, exec, s[8:9]
	v_add_u32_e32 v1, 2, v1
	v_cmp_le_i32_e32 vcc, s20, v1
	v_lshl_add_u64 v[22:23], v[22:23], 0, 8
	v_add_u32_e32 v80, 64, v80
	s_or_b64 s[6:7], vcc, s[6:7]
	v_add_u32_e32 v88, 0x100, v88
	s_andn2_b64 exec, exec, s[6:7]
	s_cbranch_execz .LBB204_77
.LBB204_48:                             ; =>This Inner Loop Header: Depth=1
	v_mul_hi_u32 v2, v80, s42
	v_mul_lo_u32 v3, v2, s25
	v_sub_u32_e32 v3, v80, v3
	v_add_u32_e32 v4, 1, v2
	v_cmp_le_u32_e32 vcc, s25, v3
	s_nop 1
	v_cndmask_b32_e32 v2, v2, v4, vcc
	v_subrev_u32_e32 v4, s25, v3
	v_cndmask_b32_e32 v3, v3, v4, vcc
	v_add_u32_e32 v4, 1, v2
	v_cmp_le_u32_e32 vcc, s25, v3
	s_nop 1
	v_cndmask_b32_e32 v2, v2, v4, vcc
	v_xor_b32_e32 v2, s23, v2
	v_subrev_u32_e32 v2, s23, v2
	v_add_u32_e32 v3, s36, v2
	v_sub_u32_e32 v5, 0, v3
	v_ashrrev_i32_e32 v4, 31, v3
	v_max_i32_e32 v3, v3, v5
	v_mul_hi_u32 v5, v3, v87
	v_mul_lo_u32 v5, v5, s19
	v_sub_u32_e32 v3, v3, v5
	v_subrev_u32_e32 v5, s19, v3
	v_cmp_le_u32_e32 vcc, s19, v3
	v_cmp_lt_i32_e64 s[0:1], s18, v2
	s_nop 0
	v_cndmask_b32_e32 v3, v3, v5, vcc
	v_subrev_u32_e32 v5, s19, v3
	v_cmp_le_u32_e32 vcc, s19, v3
	s_nop 1
	v_cndmask_b32_e32 v3, v3, v5, vcc
	v_xor_b32_e32 v3, v3, v4
	v_sub_u32_e32 v3, v3, v4
	v_cmp_eq_u32_e32 vcc, 0, v3
	s_or_b64 s[0:1], vcc, s[0:1]
	s_and_saveexec_b64 s[8:9], s[0:1]
	s_cbranch_execz .LBB204_47
; %bb.49:                               ;   in Loop: Header=BB204_48 Depth=1
	global_load_dword v2, v[22:23], off
	s_load_dword s12, s[14:15], 0x0
	v_add_u32_e32 v89, v86, v80
	v_cmp_eq_u32_e32 vcc, s22, v1
	v_add_u32_e32 v91, 1, v89
	v_add_u32_e32 v90, 2, v89
	;; [unrolled: 1-line block ×3, first 2 shown]
	s_waitcnt vmcnt(0)
	v_mad_i64_i32 v[36:37], s[0:1], v2, s21, v[20:21]
	global_load_dword v24, v[36:37], off
	ds_read_b128 v[2:5], v88
	s_waitcnt vmcnt(0)
	v_and_b32_e32 v25, 0xffff, v24
	v_lshrrev_b32_e32 v26, 16, v24
	v_cvt_pk_f32_fp8_e32 v[24:25], v25
	v_cvt_pk_f32_fp8_e32 v[28:29], v26
	s_waitcnt lgkmcnt(0)
	v_pk_mul_f32 v[26:27], s[12:13], v[24:25] op_sel_hi:[0,1]
	v_pk_mul_f32 v[24:25], s[12:13], v[28:29] op_sel_hi:[0,1]
	s_and_saveexec_b64 s[16:17], vcc
; %bb.50:                               ;   in Loop: Header=BB204_48 Depth=1
	v_cmp_gt_i32_e64 s[0:1], s33, v89
	s_nop 1
	v_cndmask_b32_e64 v26, 0, v26, s[0:1]
	v_cmp_gt_i32_e64 s[0:1], s33, v91
	s_nop 1
	v_cndmask_b32_e64 v27, 0, v27, s[0:1]
	v_cmp_gt_i32_e64 s[0:1], s33, v90
	s_nop 1
	v_cndmask_b32_e64 v24, 0, v24, s[0:1]
	v_cmp_gt_i32_e64 s[0:1], s33, v92
	s_nop 1
	v_cndmask_b32_e64 v25, 0, v25, s[0:1]
; %bb.51:                               ;   in Loop: Header=BB204_48 Depth=1
	s_or_b64 exec, exec, s[16:17]
	global_load_dword v28, v[36:37], off offset:256
	s_mov_b32 s13, s12
	s_waitcnt vmcnt(0)
	v_and_b32_e32 v29, 0xffff, v28
	v_lshrrev_b32_e32 v30, 16, v28
	v_cvt_pk_f32_fp8_e32 v[28:29], v29
	v_cvt_pk_f32_fp8_e32 v[32:33], v30
	v_pk_mul_f32 v[30:31], s[12:13], v[28:29]
	v_pk_mul_f32 v[28:29], s[12:13], v[32:33]
	s_and_saveexec_b64 s[16:17], vcc
; %bb.52:                               ;   in Loop: Header=BB204_48 Depth=1
	v_cmp_gt_i32_e64 s[0:1], s33, v89
	s_nop 1
	v_cndmask_b32_e64 v30, 0, v30, s[0:1]
	v_cmp_gt_i32_e64 s[0:1], s33, v91
	s_nop 1
	v_cndmask_b32_e64 v31, 0, v31, s[0:1]
	v_cmp_gt_i32_e64 s[0:1], s33, v90
	s_nop 1
	v_cndmask_b32_e64 v28, 0, v28, s[0:1]
	v_cmp_gt_i32_e64 s[0:1], s33, v92
	s_nop 1
	v_cndmask_b32_e64 v29, 0, v29, s[0:1]
; %bb.53:                               ;   in Loop: Header=BB204_48 Depth=1
	s_or_b64 exec, exec, s[16:17]
	global_load_dword v32, v[36:37], off offset:512
	s_waitcnt vmcnt(0)
	v_and_b32_e32 v33, 0xffff, v32
	v_lshrrev_b32_e32 v34, 16, v32
	v_cvt_pk_f32_fp8_e32 v[32:33], v33
	v_cvt_pk_f32_fp8_e32 v[38:39], v34
	v_pk_mul_f32 v[34:35], s[12:13], v[32:33]
	v_pk_mul_f32 v[32:33], s[12:13], v[38:39]
	s_and_saveexec_b64 s[16:17], vcc
; %bb.54:                               ;   in Loop: Header=BB204_48 Depth=1
	v_cmp_gt_i32_e64 s[0:1], s33, v89
	s_nop 1
	v_cndmask_b32_e64 v34, 0, v34, s[0:1]
	v_cmp_gt_i32_e64 s[0:1], s33, v91
	s_nop 1
	v_cndmask_b32_e64 v35, 0, v35, s[0:1]
	v_cmp_gt_i32_e64 s[0:1], s33, v90
	s_nop 1
	v_cndmask_b32_e64 v32, 0, v32, s[0:1]
	v_cmp_gt_i32_e64 s[0:1], s33, v92
	s_nop 1
	v_cndmask_b32_e64 v33, 0, v33, s[0:1]
; %bb.55:                               ;   in Loop: Header=BB204_48 Depth=1
	s_or_b64 exec, exec, s[16:17]
	global_load_dword v38, v[36:37], off offset:768
	;; [unrolled: 24-line block ×12, first 2 shown]
	s_waitcnt vmcnt(0)
	v_and_b32_e32 v37, 0xffff, v36
	v_lshrrev_b32_e32 v70, 16, v36
	v_cvt_pk_f32_fp8_e32 v[36:37], v37
	v_cvt_pk_f32_fp8_e32 v[94:95], v70
	v_pk_mul_f32 v[70:71], s[12:13], v[36:37]
	v_pk_mul_f32 v[36:37], s[12:13], v[94:95]
	s_and_saveexec_b64 s[0:1], vcc
	s_cbranch_execz .LBB204_46
; %bb.76:                               ;   in Loop: Header=BB204_48 Depth=1
	v_cmp_gt_i32_e32 vcc, s33, v89
	s_nop 1
	v_cndmask_b32_e32 v70, 0, v70, vcc
	v_cmp_gt_i32_e32 vcc, s33, v91
	s_nop 1
	v_cndmask_b32_e32 v71, 0, v71, vcc
	;; [unrolled: 3-line block ×4, first 2 shown]
	s_branch .LBB204_46
.LBB204_77:
	s_or_b64 exec, exec, s[6:7]
.LBB204_78:
	s_or_b64 exec, exec, s[2:3]
	ds_bpermute_b32 v2, v83, v18
	ds_bpermute_b32 v3, v83, v19
	;; [unrolled: 1-line block ×6, first 2 shown]
	s_waitcnt lgkmcnt(4)
	v_pk_add_f32 v[2:3], v[18:19], v[2:3]
	ds_bpermute_b32 v18, v82, v2
	s_waitcnt lgkmcnt(3)
	v_pk_add_f32 v[4:5], v[16:17], v[4:5]
	ds_bpermute_b32 v19, v82, v3
	ds_bpermute_b32 v16, v82, v4
	;; [unrolled: 1-line block ×3, first 2 shown]
	s_waitcnt lgkmcnt(4)
	v_pk_add_f32 v[14:15], v[14:15], v[20:21]
	ds_bpermute_b32 v20, v82, v14
	s_waitcnt lgkmcnt(3)
	v_pk_add_f32 v[2:3], v[2:3], v[18:19]
	ds_bpermute_b32 v18, v84, v2
	;; [unrolled: 3-line block ×3, first 2 shown]
	ds_bpermute_b32 v22, v84, v16
	ds_bpermute_b32 v23, v84, v17
	;; [unrolled: 1-line block ×3, first 2 shown]
	v_and_b32_e32 v1, 0x3c7, v0
	s_waitcnt lgkmcnt(3)
	v_pk_add_f32 v[4:5], v[2:3], v[18:19]
	v_cmp_ne_u32_e32 vcc, 64, v1
	s_waitcnt lgkmcnt(1)
	v_pk_add_f32 v[2:3], v[16:17], v[22:23]
	ds_bpermute_b32 v16, v83, v12
	ds_bpermute_b32 v17, v83, v13
	s_waitcnt lgkmcnt(2)
	v_pk_add_f32 v[14:15], v[14:15], v[20:21]
	ds_bpermute_b32 v20, v83, v10
	ds_bpermute_b32 v21, v83, v11
	;; [unrolled: 1-line block ×3, first 2 shown]
	s_waitcnt lgkmcnt(3)
	v_pk_add_f32 v[12:13], v[12:13], v[16:17]
	ds_bpermute_b32 v16, v82, v12
	ds_bpermute_b32 v17, v82, v13
	s_waitcnt lgkmcnt(3)
	v_pk_add_f32 v[10:11], v[10:11], v[20:21]
	ds_bpermute_b32 v23, v83, v9
	ds_bpermute_b32 v20, v82, v10
	;; [unrolled: 1-line block ×3, first 2 shown]
	s_waitcnt lgkmcnt(3)
	v_pk_add_f32 v[16:17], v[12:13], v[16:17]
	ds_bpermute_b32 v12, v83, v6
	ds_bpermute_b32 v13, v83, v7
	s_waitcnt lgkmcnt(4)
	v_pk_add_f32 v[8:9], v[8:9], v[22:23]
	s_waitcnt lgkmcnt(2)
	v_pk_add_f32 v[20:21], v[10:11], v[20:21]
	ds_bpermute_b32 v10, v82, v8
	ds_bpermute_b32 v11, v82, v9
	s_waitcnt lgkmcnt(2)
	v_pk_add_f32 v[30:31], v[6:7], v[12:13]
	ds_bpermute_b32 v18, v84, v14
	ds_bpermute_b32 v19, v84, v15
	;; [unrolled: 1-line block ×6, first 2 shown]
	s_waitcnt lgkmcnt(6)
	v_pk_add_f32 v[26:27], v[8:9], v[10:11]
	ds_bpermute_b32 v22, v84, v20
	ds_bpermute_b32 v23, v84, v21
	;; [unrolled: 1-line block ×4, first 2 shown]
	s_waitcnt lgkmcnt(8)
	v_pk_add_f32 v[12:13], v[14:15], v[18:19]
	s_waitcnt lgkmcnt(6)
	v_pk_add_f32 v[14:15], v[30:31], v[32:33]
	s_waitcnt lgkmcnt(4)
	v_pk_add_f32 v[10:11], v[16:17], v[24:25]
	ds_bpermute_b32 v16, v84, v14
	ds_bpermute_b32 v17, v84, v15
	s_waitcnt lgkmcnt(4)
	v_pk_add_f32 v[8:9], v[20:21], v[22:23]
	s_waitcnt lgkmcnt(2)
	v_pk_add_f32 v[6:7], v[26:27], v[28:29]
	s_waitcnt lgkmcnt(0)
	s_barrier
	s_and_saveexec_b64 s[0:1], vcc
	s_xor_b64 s[0:1], exec, s[0:1]
; %bb.79:
                                        ; implicit-def: $vgpr81
; %bb.80:
	s_or_saveexec_b64 s[0:1], s[0:1]
	v_pk_add_f32 v[14:15], v[14:15], v[16:17]
	s_xor_b64 exec, exec, s[0:1]
	s_cbranch_execz .LBB204_82
; %bb.81:
	v_lshrrev_b32_e32 v16, 1, v81
	v_add_u32_e32 v16, 0x1d0, v16
	ds_write2_b32 v16, v4, v5 offset1:8
	ds_write2_b32 v16, v2, v3 offset0:16 offset1:24
	ds_write2_b32 v16, v12, v13 offset0:32 offset1:40
	;; [unrolled: 1-line block ×6, first 2 shown]
.LBB204_82:
	s_or_b64 exec, exec, s[0:1]
	v_cmp_gt_u32_e32 vcc, 64, v0
	s_waitcnt lgkmcnt(0)
	s_barrier
	s_and_saveexec_b64 s[0:1], vcc
	s_cbranch_execz .LBB204_99
; %bb.83:
	v_cmp_eq_u32_e32 vcc, 0, v85
	v_lshrrev_b32_e32 v16, 3, v0
	s_and_saveexec_b64 s[2:3], vcc
	s_cbranch_execnz .LBB204_102
; %bb.84:
	s_or_b64 exec, exec, s[2:3]
	s_and_saveexec_b64 s[2:3], vcc
	s_cbranch_execnz .LBB204_103
.LBB204_85:
	s_or_b64 exec, exec, s[2:3]
	s_and_saveexec_b64 s[2:3], vcc
	s_cbranch_execnz .LBB204_104
.LBB204_86:
	s_or_b64 exec, exec, s[2:3]
	s_and_saveexec_b64 s[2:3], vcc
	s_cbranch_execnz .LBB204_105
.LBB204_87:
	s_or_b64 exec, exec, s[2:3]
	s_and_saveexec_b64 s[2:3], vcc
	s_cbranch_execnz .LBB204_106
.LBB204_88:
	s_or_b64 exec, exec, s[2:3]
	s_and_saveexec_b64 s[2:3], vcc
	s_cbranch_execnz .LBB204_107
.LBB204_89:
	s_or_b64 exec, exec, s[2:3]
	s_and_saveexec_b64 s[2:3], vcc
	s_cbranch_execnz .LBB204_108
.LBB204_90:
	s_or_b64 exec, exec, s[2:3]
	s_and_saveexec_b64 s[2:3], vcc
	s_cbranch_execnz .LBB204_109
.LBB204_91:
	s_or_b64 exec, exec, s[2:3]
	s_and_saveexec_b64 s[2:3], vcc
	s_cbranch_execnz .LBB204_110
.LBB204_92:
	s_or_b64 exec, exec, s[2:3]
	s_and_saveexec_b64 s[2:3], vcc
	s_cbranch_execnz .LBB204_111
.LBB204_93:
	s_or_b64 exec, exec, s[2:3]
	s_and_saveexec_b64 s[2:3], vcc
	s_cbranch_execnz .LBB204_112
.LBB204_94:
	s_or_b64 exec, exec, s[2:3]
	s_and_saveexec_b64 s[2:3], vcc
	s_cbranch_execnz .LBB204_113
.LBB204_95:
	s_or_b64 exec, exec, s[2:3]
	s_and_saveexec_b64 s[2:3], vcc
	s_cbranch_execnz .LBB204_114
.LBB204_96:
	s_or_b64 exec, exec, s[2:3]
	s_and_saveexec_b64 s[2:3], vcc
	s_cbranch_execz .LBB204_98
.LBB204_97:
	v_mov_b32_e32 v17, 0x1d0
	v_lshl_add_u32 v16, v16, 2, v17
	ds_read_b32 v16, v16 offset:416
	s_waitcnt lgkmcnt(0)
	v_add_f32_e32 v15, v15, v16
.LBB204_98:
	s_or_b64 exec, exec, s[2:3]
.LBB204_99:
	s_or_b64 exec, exec, s[0:1]
	v_cmp_eq_u32_e32 vcc, 0, v1
	s_barrier
	s_and_saveexec_b64 s[0:1], vcc
	s_cbranch_execz .LBB204_101
; %bb.100:
	s_mul_i32 s0, s10, s11
	s_mul_i32 s0, s0, s5
	s_mulk_i32 s0, 0x70
	s_ashr_i32 s1, s0, 31
	s_lshl_b64 s[0:1], s[0:1], 2
	s_add_u32 s2, s26, s0
	s_mul_i32 s0, s11, s24
	s_addc_u32 s3, s27, s1
	s_ashr_i32 s1, s0, 31
	s_lshl_b64 s[0:1], s[0:1], 2
	s_add_u32 s2, s2, s0
	s_mul_i32 s0, s4, 0x70
	s_addc_u32 s3, s3, s1
	s_ashr_i32 s1, s0, 31
	s_lshl_b64 s[0:1], s[0:1], 2
	s_add_u32 s0, s2, s0
	s_addc_u32 s1, s3, s1
	v_lshrrev_b32_e32 v0, 1, v0
	global_store_dword v0, v4, s[0:1]
	global_store_dword v0, v5, s[0:1] offset:32
	global_store_dword v0, v2, s[0:1] offset:64
	;; [unrolled: 1-line block ×13, first 2 shown]
.LBB204_101:
	s_endpgm
.LBB204_102:
	v_mov_b32_e32 v17, 0x1d0
	v_lshl_add_u32 v17, v16, 2, v17
	ds_read_b32 v17, v17
	s_waitcnt lgkmcnt(0)
	v_add_f32_e32 v4, v4, v17
	s_or_b64 exec, exec, s[2:3]
	s_and_saveexec_b64 s[2:3], vcc
	s_cbranch_execz .LBB204_85
.LBB204_103:
	v_mov_b32_e32 v17, 0x1d0
	v_lshl_add_u32 v17, v16, 2, v17
	ds_read_b32 v17, v17 offset:32
	s_waitcnt lgkmcnt(0)
	v_add_f32_e32 v5, v5, v17
	s_or_b64 exec, exec, s[2:3]
	s_and_saveexec_b64 s[2:3], vcc
	s_cbranch_execz .LBB204_86
.LBB204_104:
	v_mov_b32_e32 v17, 0x1d0
	v_lshl_add_u32 v17, v16, 2, v17
	ds_read_b32 v17, v17 offset:64
	s_waitcnt lgkmcnt(0)
	v_add_f32_e32 v2, v2, v17
	s_or_b64 exec, exec, s[2:3]
	s_and_saveexec_b64 s[2:3], vcc
	s_cbranch_execz .LBB204_87
.LBB204_105:
	v_mov_b32_e32 v17, 0x1d0
	v_lshl_add_u32 v17, v16, 2, v17
	ds_read_b32 v17, v17 offset:96
	s_waitcnt lgkmcnt(0)
	v_add_f32_e32 v3, v3, v17
	s_or_b64 exec, exec, s[2:3]
	s_and_saveexec_b64 s[2:3], vcc
	s_cbranch_execz .LBB204_88
.LBB204_106:
	v_mov_b32_e32 v17, 0x1d0
	v_lshl_add_u32 v17, v16, 2, v17
	ds_read_b32 v17, v17 offset:128
	s_waitcnt lgkmcnt(0)
	v_add_f32_e32 v12, v12, v17
	s_or_b64 exec, exec, s[2:3]
	s_and_saveexec_b64 s[2:3], vcc
	s_cbranch_execz .LBB204_89
.LBB204_107:
	v_mov_b32_e32 v17, 0x1d0
	v_lshl_add_u32 v17, v16, 2, v17
	ds_read_b32 v17, v17 offset:160
	s_waitcnt lgkmcnt(0)
	v_add_f32_e32 v13, v13, v17
	s_or_b64 exec, exec, s[2:3]
	s_and_saveexec_b64 s[2:3], vcc
	s_cbranch_execz .LBB204_90
.LBB204_108:
	v_mov_b32_e32 v17, 0x1d0
	v_lshl_add_u32 v17, v16, 2, v17
	ds_read_b32 v17, v17 offset:192
	s_waitcnt lgkmcnt(0)
	v_add_f32_e32 v10, v10, v17
	s_or_b64 exec, exec, s[2:3]
	s_and_saveexec_b64 s[2:3], vcc
	s_cbranch_execz .LBB204_91
.LBB204_109:
	v_mov_b32_e32 v17, 0x1d0
	v_lshl_add_u32 v17, v16, 2, v17
	ds_read_b32 v17, v17 offset:224
	s_waitcnt lgkmcnt(0)
	v_add_f32_e32 v11, v11, v17
	s_or_b64 exec, exec, s[2:3]
	s_and_saveexec_b64 s[2:3], vcc
	s_cbranch_execz .LBB204_92
.LBB204_110:
	v_mov_b32_e32 v17, 0x1d0
	v_lshl_add_u32 v17, v16, 2, v17
	ds_read_b32 v17, v17 offset:256
	s_waitcnt lgkmcnt(0)
	v_add_f32_e32 v8, v8, v17
	s_or_b64 exec, exec, s[2:3]
	s_and_saveexec_b64 s[2:3], vcc
	s_cbranch_execz .LBB204_93
.LBB204_111:
	v_mov_b32_e32 v17, 0x1d0
	v_lshl_add_u32 v17, v16, 2, v17
	ds_read_b32 v17, v17 offset:288
	s_waitcnt lgkmcnt(0)
	v_add_f32_e32 v9, v9, v17
	s_or_b64 exec, exec, s[2:3]
	s_and_saveexec_b64 s[2:3], vcc
	s_cbranch_execz .LBB204_94
.LBB204_112:
	v_mov_b32_e32 v17, 0x1d0
	v_lshl_add_u32 v17, v16, 2, v17
	ds_read_b32 v17, v17 offset:320
	s_waitcnt lgkmcnt(0)
	v_add_f32_e32 v6, v6, v17
	s_or_b64 exec, exec, s[2:3]
	s_and_saveexec_b64 s[2:3], vcc
	s_cbranch_execz .LBB204_95
.LBB204_113:
	v_mov_b32_e32 v17, 0x1d0
	v_lshl_add_u32 v17, v16, 2, v17
	ds_read_b32 v17, v17 offset:352
	s_waitcnt lgkmcnt(0)
	v_add_f32_e32 v7, v7, v17
	s_or_b64 exec, exec, s[2:3]
	s_and_saveexec_b64 s[2:3], vcc
	s_cbranch_execz .LBB204_96
.LBB204_114:
	v_mov_b32_e32 v17, 0x1d0
	v_lshl_add_u32 v17, v16, 2, v17
	ds_read_b32 v17, v17 offset:384
	s_waitcnt lgkmcnt(0)
	v_add_f32_e32 v14, v14, v17
	s_or_b64 exec, exec, s[2:3]
	s_and_saveexec_b64 s[2:3], vcc
	s_cbranch_execnz .LBB204_97
	s_branch .LBB204_98
	.section	.rodata,"a",@progbits
	.p2align	6, 0x0
	.amdhsa_kernel _ZN4vllm25paged_attention_v1_kernelIfhLi112ELi32ELi128ELNS_18Fp8KVCacheDataTypeE1ELb1EEEvPT_PKS2_PKT0_S8_ifPKiSA_iPKfiiiSC_SC_iiiii
		.amdhsa_group_segment_fixed_size 464
		.amdhsa_private_segment_fixed_size 0
		.amdhsa_kernarg_size 384
		.amdhsa_user_sgpr_count 2
		.amdhsa_user_sgpr_dispatch_ptr 0
		.amdhsa_user_sgpr_queue_ptr 0
		.amdhsa_user_sgpr_kernarg_segment_ptr 1
		.amdhsa_user_sgpr_dispatch_id 0
		.amdhsa_user_sgpr_kernarg_preload_length 0
		.amdhsa_user_sgpr_kernarg_preload_offset 0
		.amdhsa_user_sgpr_private_segment_size 0
		.amdhsa_uses_dynamic_stack 0
		.amdhsa_enable_private_segment 0
		.amdhsa_system_sgpr_workgroup_id_x 1
		.amdhsa_system_sgpr_workgroup_id_y 1
		.amdhsa_system_sgpr_workgroup_id_z 1
		.amdhsa_system_sgpr_workgroup_info 0
		.amdhsa_system_vgpr_workitem_id 0
		.amdhsa_next_free_vgpr 107
		.amdhsa_next_free_sgpr 49
		.amdhsa_accum_offset 108
		.amdhsa_reserve_vcc 1
		.amdhsa_float_round_mode_32 0
		.amdhsa_float_round_mode_16_64 0
		.amdhsa_float_denorm_mode_32 3
		.amdhsa_float_denorm_mode_16_64 3
		.amdhsa_dx10_clamp 1
		.amdhsa_ieee_mode 1
		.amdhsa_fp16_overflow 0
		.amdhsa_tg_split 0
		.amdhsa_exception_fp_ieee_invalid_op 0
		.amdhsa_exception_fp_denorm_src 0
		.amdhsa_exception_fp_ieee_div_zero 0
		.amdhsa_exception_fp_ieee_overflow 0
		.amdhsa_exception_fp_ieee_underflow 0
		.amdhsa_exception_fp_ieee_inexact 0
		.amdhsa_exception_int_div_zero 0
	.end_amdhsa_kernel
	.section	.text._ZN4vllm25paged_attention_v1_kernelIfhLi112ELi32ELi128ELNS_18Fp8KVCacheDataTypeE1ELb1EEEvPT_PKS2_PKT0_S8_ifPKiSA_iPKfiiiSC_SC_iiiii,"axG",@progbits,_ZN4vllm25paged_attention_v1_kernelIfhLi112ELi32ELi128ELNS_18Fp8KVCacheDataTypeE1ELb1EEEvPT_PKS2_PKT0_S8_ifPKiSA_iPKfiiiSC_SC_iiiii,comdat
.Lfunc_end204:
	.size	_ZN4vllm25paged_attention_v1_kernelIfhLi112ELi32ELi128ELNS_18Fp8KVCacheDataTypeE1ELb1EEEvPT_PKS2_PKT0_S8_ifPKiSA_iPKfiiiSC_SC_iiiii, .Lfunc_end204-_ZN4vllm25paged_attention_v1_kernelIfhLi112ELi32ELi128ELNS_18Fp8KVCacheDataTypeE1ELb1EEEvPT_PKS2_PKT0_S8_ifPKiSA_iPKfiiiSC_SC_iiiii
                                        ; -- End function
	.section	.AMDGPU.csdata,"",@progbits
; Kernel info:
; codeLenInByte = 8288
; NumSgprs: 55
; NumVgprs: 107
; NumAgprs: 0
; TotalNumVgprs: 107
; ScratchSize: 0
; MemoryBound: 0
; FloatMode: 240
; IeeeMode: 1
; LDSByteSize: 464 bytes/workgroup (compile time only)
; SGPRBlocks: 6
; VGPRBlocks: 13
; NumSGPRsForWavesPerEU: 55
; NumVGPRsForWavesPerEU: 107
; AccumOffset: 108
; Occupancy: 4
; WaveLimiterHint : 1
; COMPUTE_PGM_RSRC2:SCRATCH_EN: 0
; COMPUTE_PGM_RSRC2:USER_SGPR: 2
; COMPUTE_PGM_RSRC2:TRAP_HANDLER: 0
; COMPUTE_PGM_RSRC2:TGID_X_EN: 1
; COMPUTE_PGM_RSRC2:TGID_Y_EN: 1
; COMPUTE_PGM_RSRC2:TGID_Z_EN: 1
; COMPUTE_PGM_RSRC2:TIDIG_COMP_CNT: 0
; COMPUTE_PGM_RSRC3_GFX90A:ACCUM_OFFSET: 26
; COMPUTE_PGM_RSRC3_GFX90A:TG_SPLIT: 0
	.section	.text._ZN4vllm25paged_attention_v1_kernelIfhLi120ELi32ELi128ELNS_18Fp8KVCacheDataTypeE1ELb1EEEvPT_PKS2_PKT0_S8_ifPKiSA_iPKfiiiSC_SC_iiiii,"axG",@progbits,_ZN4vllm25paged_attention_v1_kernelIfhLi120ELi32ELi128ELNS_18Fp8KVCacheDataTypeE1ELb1EEEvPT_PKS2_PKT0_S8_ifPKiSA_iPKfiiiSC_SC_iiiii,comdat
	.protected	_ZN4vllm25paged_attention_v1_kernelIfhLi120ELi32ELi128ELNS_18Fp8KVCacheDataTypeE1ELb1EEEvPT_PKS2_PKT0_S8_ifPKiSA_iPKfiiiSC_SC_iiiii ; -- Begin function _ZN4vllm25paged_attention_v1_kernelIfhLi120ELi32ELi128ELNS_18Fp8KVCacheDataTypeE1ELb1EEEvPT_PKS2_PKT0_S8_ifPKiSA_iPKfiiiSC_SC_iiiii
	.globl	_ZN4vllm25paged_attention_v1_kernelIfhLi120ELi32ELi128ELNS_18Fp8KVCacheDataTypeE1ELb1EEEvPT_PKS2_PKT0_S8_ifPKiSA_iPKfiiiSC_SC_iiiii
	.p2align	8
	.type	_ZN4vllm25paged_attention_v1_kernelIfhLi120ELi32ELi128ELNS_18Fp8KVCacheDataTypeE1ELb1EEEvPT_PKS2_PKT0_S8_ifPKiSA_iPKfiiiSC_SC_iiiii,@function
_ZN4vllm25paged_attention_v1_kernelIfhLi120ELi32ELi128ELNS_18Fp8KVCacheDataTypeE1ELb1EEEvPT_PKS2_PKT0_S8_ifPKiSA_iPKfiiiSC_SC_iiiii: ; @_ZN4vllm25paged_attention_v1_kernelIfhLi120ELi32ELi128ELNS_18Fp8KVCacheDataTypeE1ELb1EEEvPT_PKS2_PKT0_S8_ifPKiSA_iPKfiiiSC_SC_iiiii
; %bb.0:
	s_load_dword s5, s[0:1], 0x80
	s_load_dwordx2 s[6:7], s[0:1], 0x30
	s_load_dwordx2 s[36:37], s[0:1], 0x20
	s_mov_b32 s10, s3
	s_ashr_i32 s11, s3, 31
	s_lshl_b64 s[8:9], s[10:11], 2
	s_waitcnt lgkmcnt(0)
	s_add_u32 s6, s6, s8
	s_addc_u32 s7, s7, s9
	s_abs_i32 s3, s36
	v_cvt_f32_u32_e32 v1, s3
	s_sub_i32 s11, 0, s3
	s_abs_i32 s9, s5
	s_xor_b32 s8, s5, s36
	v_rcp_iflag_f32_e32 v1, v1
	s_ashr_i32 s8, s8, 31
	s_mov_b32 s45, 0
	v_mul_f32_e32 v1, 0x4f7ffffe, v1
	v_cvt_u32_f32_e32 v1, v1
	s_nop 0
	v_readfirstlane_b32 s12, v1
	s_mul_i32 s11, s11, s12
	s_mul_hi_u32 s11, s12, s11
	s_add_i32 s12, s12, s11
	s_mul_hi_u32 s11, s9, s12
	s_mul_i32 s12, s11, s3
	s_sub_i32 s9, s9, s12
	s_add_i32 s12, s11, 1
	s_sub_i32 s13, s9, s3
	s_cmp_ge_u32 s9, s3
	s_cselect_b32 s11, s12, s11
	s_cselect_b32 s9, s13, s9
	s_add_i32 s12, s11, 1
	s_cmp_ge_u32 s9, s3
	s_cselect_b32 s3, s12, s11
	s_xor_b32 s3, s3, s8
	s_sub_i32 s14, s3, s8
	s_abs_i32 s11, s14
	v_cvt_f32_u32_e32 v1, s11
	s_load_dwordx2 s[8:9], s[0:1], 0x40
	s_sub_i32 s3, 0, s11
	s_abs_i32 s12, s2
	v_rcp_iflag_f32_e32 v1, v1
	s_nop 0
	v_mul_f32_e32 v1, 0x4f7ffffe, v1
	v_cvt_u32_f32_e32 v1, v1
	s_nop 0
	v_readfirstlane_b32 s13, v1
	s_mul_i32 s3, s3, s13
	s_mul_hi_u32 s3, s13, s3
	s_add_i32 s13, s13, s3
	s_waitcnt lgkmcnt(0)
	s_cmp_eq_u64 s[8:9], 0
	s_mul_hi_u32 s13, s12, s13
	s_cbranch_scc1 .LBB205_2
; %bb.1:
	s_ashr_i32 s3, s2, 31
	s_lshl_b64 s[16:17], s[2:3], 2
	s_add_u32 s8, s8, s16
	s_addc_u32 s9, s9, s17
	s_load_dword s45, s[8:9], 0x0
.LBB205_2:
	s_load_dword s33, s[6:7], 0x0
	s_load_dwordx4 s[16:19], s[0:1], 0x48
	s_ashr_i32 s8, s2, 31
	s_ashr_i32 s9, s14, 31
	v_and_b32_e32 v2, 1, v0
	s_mul_i32 s24, s2, 0x78
	v_cmp_gt_u32_e32 vcc, 60, v0
	v_lshlrev_b32_e32 v36, 2, v0
	s_and_saveexec_b64 s[6:7], vcc
	s_cbranch_execz .LBB205_4
; %bb.3:
	s_load_dwordx2 s[14:15], s[0:1], 0x8
	s_waitcnt lgkmcnt(0)
	s_mul_i32 s20, s10, s16
	s_ashr_i32 s21, s20, 31
	s_lshl_b64 s[20:21], s[20:21], 2
	v_lshlrev_b32_e32 v1, 3, v0
	s_add_u32 s3, s14, s20
	s_addc_u32 s16, s15, s21
	s_ashr_i32 s25, s24, 31
	s_lshl_b64 s[14:15], s[24:25], 2
	s_add_u32 s14, s3, s14
	s_addc_u32 s15, s16, s15
	global_load_dwordx2 v[4:5], v1, s[14:15]
	v_and_b32_e32 v1, 0xff8, v36
	s_movk_i32 s3, 0xf0
	v_mad_u32_u24 v1, v2, s3, v1
	s_waitcnt vmcnt(0)
	ds_write_b64 v1, v[4:5]
.LBB205_4:
	s_or_b64 exec, exec, s[6:7]
	s_mul_i32 s7, s13, s11
	s_sub_i32 s7, s12, s7
	s_xor_b32 s6, s8, s9
	s_add_i32 s8, s13, 1
	s_sub_i32 s9, s7, s11
	s_load_dwordx4 s[20:23], s[0:1], 0x68
	s_load_dword s3, s[0:1], 0x78
	s_cmp_ge_u32 s7, s11
	s_cselect_b32 s8, s8, s13
	s_cselect_b32 s7, s9, s7
	s_add_i32 s9, s8, 1
	s_cmp_ge_u32 s7, s11
	s_cselect_b32 s7, s9, s8
	s_waitcnt lgkmcnt(0)
	s_abs_i32 s25, s23
	v_cvt_f32_u32_e32 v1, s25
	s_xor_b32 s7, s7, s6
	s_sub_i32 s44, s7, s6
	s_sub_i32 s6, 0, s25
	v_rcp_iflag_f32_e32 v1, v1
	s_add_i32 s11, s33, -1
	s_abs_i32 s8, s11
	v_mul_f32_e32 v1, 0x4f7ffffe, v1
	v_cvt_u32_f32_e32 v1, v1
	s_barrier
	v_readfirstlane_b32 s42, v1
	s_mul_i32 s6, s6, s42
	s_mul_hi_u32 s6, s42, s6
	s_add_i32 s42, s42, s6
	s_cmp_lt_i32 s3, 0
	s_mul_hi_u32 s9, s8, s42
	s_cbranch_scc0 .LBB205_6
; %bb.5:
	s_mul_i32 s6, s20, s36
	s_add_i32 s6, s44, s6
	s_mul_i32 s6, s6, s3
	s_sub_i32 s36, 1, s6
	s_mov_b64 s[6:7], 0
	s_branch .LBB205_7
.LBB205_6:
	s_mov_b64 s[6:7], -1
                                        ; implicit-def: $sgpr36
.LBB205_7:
	s_load_dwordx2 s[28:29], s[0:1], 0x28
	s_ashr_i32 s16, s11, 31
	s_andn2_b64 vcc, exec, s[6:7]
	s_ashr_i32 s23, s23, 31
	s_cbranch_vccnz .LBB205_9
; %bb.8:
	s_mul_i32 s6, s5, s20
	s_add_i32 s2, s6, s2
	s_mul_i32 s2, s2, s3
	s_add_i32 s36, s2, 1
.LBB205_9:
	s_load_dword s2, s[0:1], 0x38
	s_load_dwordx2 s[26:27], s[0:1], 0x0
	s_load_dwordx2 s[34:35], s[0:1], 0x18
	s_load_dword s11, s[0:1], 0x88
	s_load_dwordx4 s[12:15], s[0:1], 0x58
	s_mul_i32 s3, s9, s25
	s_waitcnt lgkmcnt(0)
	s_mul_i32 s30, s10, s2
	s_sub_i32 s3, s8, s3
	s_ashr_i32 s31, s30, 31
	s_xor_b32 s2, s16, s23
	s_add_i32 s6, s9, 1
	s_sub_i32 s7, s3, s25
	s_cmp_ge_u32 s3, s25
	s_cselect_b32 s6, s6, s9
	s_cselect_b32 s3, s7, s3
	s_add_i32 s7, s6, 1
	s_cmp_ge_u32 s3, s25
	s_cselect_b32 s3, s7, s6
	s_xor_b32 s3, s3, s2
	s_sub_i32 s43, s3, s2
	s_add_i32 s2, s33, 31
	s_ashr_i32 s3, s2, 31
	s_lshr_b32 s3, s3, 27
	s_add_i32 s2, s2, s3
	s_ashr_i32 s20, s2, 5
	v_lshrrev_b32_e32 v1, 6, v0
	v_cmp_gt_i32_e64 s[6:7], s20, v1
	v_mov_b32_e32 v41, 0xff7fffff
	s_mul_i32 s44, s44, s18
	v_lshrrev_b32_e32 v37, 4, v0
	v_lshlrev_b32_e32 v86, 5, v1
	v_mbcnt_lo_u32_b32 v38, -1, 0
	s_and_saveexec_b64 s[18:19], s[6:7]
	s_cbranch_execz .LBB205_19
; %bb.10:
	s_load_dwordx2 s[0:1], s[0:1], 0x10
	s_sub_i32 s46, s43, s21
	s_ashr_i32 s2, s44, 31
	v_bfe_u32 v39, v0, 1, 5
	v_mov_b32_e32 v31, 0
	s_waitcnt lgkmcnt(0)
	s_add_u32 s0, s0, s44
	s_addc_u32 s1, s1, s2
	s_abs_i32 s47, s22
	v_cvt_f32_u32_e32 v3, s47
	v_lshlrev_b32_e32 v30, 4, v39
	v_lshl_add_u64 v[32:33], s[0:1], 0, v[30:31]
	s_sub_i32 s0, 0, s47
	v_rcp_iflag_f32_e32 v3, v3
	v_cmp_eq_u32_e32 vcc, 0, v2
	v_mul_u32_u24_e32 v40, 0xf0, v2
	v_lshlrev_b32_e32 v30, 1, v2
	v_mul_f32_e32 v3, 0x4f7ffffe, v3
	v_cvt_u32_f32_e32 v3, v3
	v_mbcnt_hi_u32_b32 v47, -1, v38
	s_mov_b32 s48, s17
	v_cmp_neq_f32_e64 s[2:3], s45, 0
	v_mul_lo_u32 v2, s0, v3
	s_lshl_b64 s[0:1], s[30:31], 2
	v_mul_hi_u32 v2, v3, v2
	s_add_u32 s0, s28, s0
	v_add_u32_e32 v42, v3, v2
	v_and_b32_e32 v2, 60, v37
	v_mov_b32_e32 v3, v31
	s_addc_u32 s1, s29, s1
	v_lshl_add_u64 v[34:35], s[0:1], 0, v[2:3]
	v_lshlrev_b32_e32 v2, 2, v39
	v_lshl_or_b32 v2, v1, 7, v2
	v_add_u32_e32 v44, 0x1f0, v2
	v_subrev_u32_e32 v2, s33, v39
	v_add_u32_e32 v45, 1, v2
	v_and_b32_e32 v2, 64, v47
	v_lshlrev_b32_e32 v43, 5, v1
	s_mov_b64 s[38:39], 0
	v_mov_b32_e32 v46, 0xff7fffff
	v_xor_b32_e32 v48, 1, v47
	v_add_u32_e32 v49, 64, v2
	v_mov_b32_e32 v41, 0xff7fffff
	v_mov_b32_e32 v50, v1
	s_branch .LBB205_13
.LBB205_11:                             ;   in Loop: Header=BB205_13 Depth=1
	s_or_b64 exec, exec, s[40:41]
.LBB205_12:                             ;   in Loop: Header=BB205_13 Depth=1
	s_or_b64 exec, exec, s[8:9]
	v_add_u32_e32 v50, 2, v50
	v_cmp_le_i32_e64 s[0:1], s20, v50
	v_lshl_add_u64 v[34:35], v[34:35], 0, 8
	v_add_u32_e32 v43, 64, v43
	s_or_b64 s[38:39], s[0:1], s[38:39]
	v_add_u32_e32 v44, 0x100, v44
	s_andn2_b64 exec, exec, s[38:39]
	s_cbranch_execz .LBB205_18
.LBB205_13:                             ; =>This Inner Loop Header: Depth=1
	v_mul_hi_u32 v2, v43, s42
	s_waitcnt lgkmcnt(0)
	v_mul_lo_u32 v3, v2, s25
	v_sub_u32_e32 v3, v43, v3
	v_add_u32_e32 v4, 1, v2
	v_cmp_le_u32_e64 s[0:1], s25, v3
	s_nop 1
	v_cndmask_b32_e64 v2, v2, v4, s[0:1]
	v_subrev_u32_e32 v4, s25, v3
	v_cndmask_b32_e64 v3, v3, v4, s[0:1]
	v_add_u32_e32 v4, 1, v2
	v_cmp_le_u32_e64 s[0:1], s25, v3
	s_nop 1
	v_cndmask_b32_e64 v2, v2, v4, s[0:1]
	v_xor_b32_e32 v2, s23, v2
	v_subrev_u32_e32 v2, s23, v2
	v_add_u32_e32 v3, s36, v2
	v_sub_u32_e32 v5, 0, v3
	v_ashrrev_i32_e32 v4, 31, v3
	v_max_i32_e32 v3, v3, v5
	v_mul_hi_u32 v5, v3, v42
	v_mul_lo_u32 v5, v5, s47
	v_sub_u32_e32 v3, v3, v5
	v_subrev_u32_e32 v5, s47, v3
	v_cmp_le_u32_e64 s[0:1], s47, v3
	v_cmp_ge_i32_e64 s[8:9], s46, v2
	s_nop 0
	v_cndmask_b32_e64 v3, v3, v5, s[0:1]
	v_subrev_u32_e32 v5, s47, v3
	v_cmp_le_u32_e64 s[0:1], s47, v3
	s_nop 1
	v_cndmask_b32_e64 v3, v3, v5, s[0:1]
	v_xor_b32_e32 v3, v3, v4
	v_sub_u32_e32 v3, v3, v4
	v_cmp_ne_u32_e64 s[0:1], 0, v3
	s_and_b64 s[0:1], s[0:1], s[8:9]
	s_and_b64 s[40:41], vcc, s[0:1]
	s_and_saveexec_b64 s[8:9], s[40:41]
	s_cbranch_execz .LBB205_15
; %bb.14:                               ;   in Loop: Header=BB205_13 Depth=1
	ds_write_b32 v44, v46
.LBB205_15:                             ;   in Loop: Header=BB205_13 Depth=1
	s_or_b64 exec, exec, s[8:9]
	s_xor_b64 s[0:1], s[0:1], -1
	s_and_saveexec_b64 s[8:9], s[0:1]
	s_cbranch_execz .LBB205_12
; %bb.16:                               ;   in Loop: Header=BB205_13 Depth=1
	global_load_dword v2, v[34:35], off
	s_waitcnt vmcnt(0)
	v_mad_i64_i32 v[2:3], s[0:1], v2, s48, v[32:33]
	v_lshl_add_u64 v[6:7], v[2:3], 0, v[30:31]
	global_load_ushort v20, v[6:7], off offset:4
	global_load_ushort v22, v[6:7], off
	global_load_ushort v24, v[6:7], off offset:8
	global_load_ushort v25, v[6:7], off offset:12
	;; [unrolled: 1-line block ×14, first 2 shown]
	ds_read_b128 v[8:11], v40
	ds_read_b128 v[12:15], v40 offset:16
	ds_read_b128 v[16:19], v40 offset:32
	ds_read_b128 v[2:5], v40 offset:48
	s_load_dword s16, s[12:13], 0x0
	global_load_ushort v54, v[6:7], off offset:2048
	global_load_ushort v56, v[6:7], off offset:2052
	;; [unrolled: 1-line block ×13, first 2 shown]
	v_cmp_lt_i32_e64 s[0:1], v48, v49
	s_waitcnt vmcnt(28)
	v_cvt_pk_f32_fp8_e32 v[20:21], v20
	s_waitcnt vmcnt(27)
	v_cvt_pk_f32_fp8_e32 v[22:23], v22
	s_waitcnt lgkmcnt(0)
	v_pk_mul_f32 v[20:21], s[16:17], v[20:21] op_sel_hi:[0,1]
	v_mul_f32_e32 v51, v10, v20
	v_mul_f32_e32 v52, v11, v21
	s_waitcnt vmcnt(26)
	v_cvt_pk_f32_fp8_e32 v[10:11], v24
	v_pk_mul_f32 v[20:21], s[16:17], v[22:23] op_sel_hi:[0,1]
	v_fmac_f32_e32 v51, v8, v20
	v_fmac_f32_e32 v52, v9, v21
	s_waitcnt vmcnt(25)
	v_cvt_pk_f32_fp8_e32 v[8:9], v25
	v_pk_mul_f32 v[10:11], s[16:17], v[10:11] op_sel_hi:[0,1]
	v_fmac_f32_e32 v51, v12, v10
	v_fmac_f32_e32 v52, v13, v11
	v_pk_mul_f32 v[8:9], s[16:17], v[8:9] op_sel_hi:[0,1]
	v_fmac_f32_e32 v51, v14, v8
	v_fmac_f32_e32 v52, v15, v9
	ds_read_b128 v[8:11], v40 offset:64
	ds_read_b128 v[12:15], v40 offset:80
	global_load_ushort v76, v[6:7], off offset:3588
	s_waitcnt vmcnt(25)
	v_cvt_pk_f32_fp8_e32 v[20:21], v26
	s_waitcnt vmcnt(24)
	v_cvt_pk_f32_fp8_e32 v[22:23], v27
	v_pk_mul_f32 v[6:7], s[16:17], v[20:21] op_sel_hi:[0,1]
	v_fmac_f32_e32 v51, v16, v6
	v_fmac_f32_e32 v52, v17, v7
	s_waitcnt vmcnt(23)
	v_cvt_pk_f32_fp8_e32 v[6:7], v66
	v_pk_mul_f32 v[20:21], s[16:17], v[22:23] op_sel_hi:[0,1]
	s_waitcnt vmcnt(22)
	v_cvt_pk_f32_fp8_e32 v[16:17], v67
	v_fmac_f32_e32 v51, v18, v20
	v_fmac_f32_e32 v52, v19, v21
	s_waitcnt vmcnt(21)
	v_cvt_pk_f32_fp8_e32 v[18:19], v68
	v_pk_mul_f32 v[6:7], s[16:17], v[6:7] op_sel_hi:[0,1]
	s_waitcnt vmcnt(20)
	v_cvt_pk_f32_fp8_e32 v[66:67], v69
	v_fmac_f32_e32 v51, v2, v6
	v_fmac_f32_e32 v52, v3, v7
	v_pk_mul_f32 v[2:3], s[16:17], v[16:17] op_sel_hi:[0,1]
	s_waitcnt vmcnt(19)
	v_cvt_pk_f32_fp8_e32 v[6:7], v70
	v_pk_mul_f32 v[16:17], s[16:17], v[18:19] op_sel_hi:[0,1]
	v_fmac_f32_e32 v51, v4, v2
	v_fmac_f32_e32 v52, v5, v3
	s_waitcnt lgkmcnt(1)
	v_fmac_f32_e32 v51, v8, v16
	v_fmac_f32_e32 v52, v9, v17
	s_waitcnt vmcnt(18)
	v_cvt_pk_f32_fp8_e32 v[16:17], v71
	v_pk_mul_f32 v[8:9], s[16:17], v[66:67] op_sel_hi:[0,1]
	v_pk_mul_f32 v[6:7], s[16:17], v[6:7] op_sel_hi:[0,1]
	v_fmac_f32_e32 v51, v10, v8
	v_fmac_f32_e32 v52, v11, v9
	s_waitcnt lgkmcnt(0)
	v_fmac_f32_e32 v51, v12, v6
	v_fmac_f32_e32 v52, v13, v7
	v_pk_mul_f32 v[16:17], s[16:17], v[16:17] op_sel_hi:[0,1]
	v_fmac_f32_e32 v51, v14, v16
	v_fmac_f32_e32 v52, v15, v17
	s_waitcnt vmcnt(17)
	v_cvt_pk_f32_fp8_e32 v[14:15], v72
	ds_read_b128 v[22:25], v40 offset:96
	ds_read_b128 v[26:29], v40 offset:112
	s_waitcnt vmcnt(16)
	v_cvt_pk_f32_fp8_e32 v[16:17], v73
	s_waitcnt vmcnt(15)
	v_cvt_pk_f32_fp8_e32 v[66:67], v74
	;; [unrolled: 2-line block ×3, first 2 shown]
	v_pk_mul_f32 v[14:15], s[16:17], v[14:15] op_sel_hi:[0,1]
	v_pk_mul_f32 v[16:17], s[16:17], v[16:17] op_sel_hi:[0,1]
	s_waitcnt lgkmcnt(1)
	v_fmac_f32_e32 v51, v22, v14
	v_fmac_f32_e32 v52, v23, v15
	;; [unrolled: 1-line block ×4, first 2 shown]
	v_pk_mul_f32 v[66:67], s[16:17], v[66:67] op_sel_hi:[0,1]
	v_pk_mul_f32 v[68:69], s[16:17], v[68:69] op_sel_hi:[0,1]
	s_waitcnt lgkmcnt(0)
	v_fmac_f32_e32 v51, v26, v66
	v_fmac_f32_e32 v52, v27, v67
	s_waitcnt vmcnt(13)
	v_cvt_pk_f32_fp8_e32 v[66:67], v54
	ds_read_b128 v[18:21], v40 offset:128
	ds_read_b128 v[2:5], v40 offset:144
	v_cndmask_b32_e64 v70, v47, v48, s[0:1]
	v_fmac_f32_e32 v51, v28, v68
	v_fmac_f32_e32 v52, v29, v69
	s_waitcnt vmcnt(12)
	v_cvt_pk_f32_fp8_e32 v[68:69], v56
	v_lshlrev_b32_e32 v77, 2, v70
	s_waitcnt vmcnt(11)
	v_cvt_pk_f32_fp8_e32 v[70:71], v59
	s_waitcnt vmcnt(10)
	v_cvt_pk_f32_fp8_e32 v[72:73], v62
	;; [unrolled: 2-line block ×3, first 2 shown]
	v_pk_mul_f32 v[66:67], s[16:17], v[66:67] op_sel_hi:[0,1]
	ds_read_b128 v[10:13], v40 offset:160
	ds_read_b128 v[6:9], v40 offset:176
	s_waitcnt lgkmcnt(3)
	v_fmac_f32_e32 v51, v18, v66
	v_fmac_f32_e32 v52, v19, v67
	s_waitcnt vmcnt(8)
	v_cvt_pk_f32_fp8_e32 v[18:19], v60
	v_pk_mul_f32 v[66:67], s[16:17], v[68:69] op_sel_hi:[0,1]
	s_waitcnt vmcnt(7)
	v_cvt_pk_f32_fp8_e32 v[58:59], v58
	v_fmac_f32_e32 v51, v20, v66
	v_fmac_f32_e32 v52, v21, v67
	v_pk_mul_f32 v[66:67], s[16:17], v[70:71] op_sel_hi:[0,1]
	s_waitcnt vmcnt(6)
	v_cvt_pk_f32_fp8_e32 v[20:21], v53
	s_waitcnt lgkmcnt(2)
	v_fmac_f32_e32 v51, v2, v66
	v_fmac_f32_e32 v52, v3, v67
	v_pk_mul_f32 v[66:67], s[16:17], v[72:73] op_sel_hi:[0,1]
	s_waitcnt vmcnt(5)
	v_cvt_pk_f32_fp8_e32 v[54:55], v55
	v_pk_mul_f32 v[68:69], s[16:17], v[74:75] op_sel_hi:[0,1]
	v_fmac_f32_e32 v51, v4, v66
	v_fmac_f32_e32 v52, v5, v67
	ds_read_b128 v[14:17], v40 offset:192
	ds_read_b128 v[22:25], v40 offset:208
	s_waitcnt vmcnt(4)
	v_cvt_pk_f32_fp8_e32 v[56:57], v57
	v_pk_mul_f32 v[18:19], s[16:17], v[18:19] op_sel_hi:[0,1]
	s_waitcnt lgkmcnt(3)
	v_fmac_f32_e32 v51, v10, v68
	v_fmac_f32_e32 v52, v11, v69
	s_waitcnt vmcnt(3)
	v_cvt_pk_f32_fp8_e32 v[60:61], v61
	v_pk_mul_f32 v[58:59], s[16:17], v[58:59] op_sel_hi:[0,1]
	v_fmac_f32_e32 v51, v12, v18
	v_fmac_f32_e32 v52, v13, v19
	s_waitcnt vmcnt(2)
	v_cvt_pk_f32_fp8_e32 v[62:63], v63
	v_pk_mul_f32 v[20:21], s[16:17], v[20:21] op_sel_hi:[0,1]
	s_waitcnt lgkmcnt(2)
	v_fmac_f32_e32 v51, v6, v58
	v_fmac_f32_e32 v52, v7, v59
	ds_read_b128 v[26:29], v40 offset:224
	s_waitcnt vmcnt(1)
	v_cvt_pk_f32_fp8_e32 v[64:65], v65
	v_pk_mul_f32 v[54:55], s[16:17], v[54:55] op_sel_hi:[0,1]
	v_fmac_f32_e32 v51, v8, v20
	v_fmac_f32_e32 v52, v9, v21
	s_waitcnt vmcnt(0)
	v_cvt_pk_f32_fp8_e32 v[2:3], v76
	v_pk_mul_f32 v[56:57], s[16:17], v[56:57] op_sel_hi:[0,1]
	s_waitcnt lgkmcnt(2)
	v_fmac_f32_e32 v51, v14, v54
	v_fmac_f32_e32 v52, v15, v55
	v_pk_mul_f32 v[60:61], s[16:17], v[60:61] op_sel_hi:[0,1]
	v_fmac_f32_e32 v51, v56, v16
	v_fmac_f32_e32 v52, v57, v17
	v_pk_mul_f32 v[62:63], s[16:17], v[62:63] op_sel_hi:[0,1]
	s_waitcnt lgkmcnt(1)
	v_fmac_f32_e32 v51, v60, v22
	v_fmac_f32_e32 v52, v61, v23
	v_pk_mul_f32 v[64:65], s[16:17], v[64:65] op_sel_hi:[0,1]
	v_fmac_f32_e32 v51, v62, v24
	v_fmac_f32_e32 v52, v63, v25
	v_pk_mul_f32 v[2:3], s[16:17], v[2:3] op_sel_hi:[0,1]
	s_waitcnt lgkmcnt(0)
	v_fmac_f32_e32 v51, v64, v26
	v_fmac_f32_e32 v52, v65, v27
	;; [unrolled: 1-line block ×4, first 2 shown]
	v_add_f32_e32 v2, v51, v52
	ds_bpermute_b32 v3, v77, v2
	s_and_saveexec_b64 s[40:41], vcc
	s_cbranch_execz .LBB205_11
; %bb.17:                               ;   in Loop: Header=BB205_13 Depth=1
	v_add_u32_e32 v4, v45, v43
	v_cvt_f32_i32_e32 v4, v4
	s_waitcnt lgkmcnt(0)
	v_add_f32_e32 v2, v2, v3
	v_add_u32_e32 v5, v39, v43
	v_cmp_gt_i32_e64 s[0:1], s33, v5
	v_mul_f32_e32 v3, s45, v4
	v_cndmask_b32_e64 v3, 0, v3, s[2:3]
	v_fmac_f32_e32 v3, s37, v2
	v_cndmask_b32_e64 v2, 0, v3, s[0:1]
	ds_write_b32 v44, v2
	v_max_f32_e32 v2, v41, v41
	v_max_f32_e32 v2, v2, v3
	v_cndmask_b32_e64 v41, v41, v2, s[0:1]
	s_branch .LBB205_11
.LBB205_18:
	s_or_b64 exec, exec, s[38:39]
.LBB205_19:
	s_or_b64 exec, exec, s[18:19]
	v_mbcnt_hi_u32_b32 v7, -1, v38
	v_and_b32_e32 v2, 64, v7
	v_add_u32_e32 v8, 64, v2
	v_xor_b32_e32 v2, 32, v7
	v_cmp_lt_i32_e32 vcc, v2, v8
	v_xor_b32_e32 v5, 16, v7
	v_max_f32_e32 v4, v41, v41
	v_cndmask_b32_e32 v2, v7, v2, vcc
	v_lshlrev_b32_e32 v2, 2, v2
	s_waitcnt lgkmcnt(0)
	ds_bpermute_b32 v3, v2, v41
	v_cmp_lt_i32_e32 vcc, v5, v8
	v_xor_b32_e32 v6, 8, v7
	v_xor_b32_e32 v9, 4, v7
	v_and_b32_e32 v87, 63, v0
	s_waitcnt lgkmcnt(0)
	v_max_f32_e32 v3, v3, v3
	v_max_f32_e32 v4, v4, v3
	v_cndmask_b32_e32 v3, v7, v5, vcc
	v_lshlrev_b32_e32 v3, 2, v3
	ds_bpermute_b32 v5, v3, v4
	v_cmp_lt_i32_e32 vcc, v6, v8
	s_waitcnt lgkmcnt(0)
	v_max_f32_e32 v5, v5, v5
	v_max_f32_e32 v5, v4, v5
	v_cndmask_b32_e32 v4, v7, v6, vcc
	v_lshlrev_b32_e32 v4, 2, v4
	ds_bpermute_b32 v6, v4, v5
	v_cmp_lt_i32_e32 vcc, v9, v8
	s_waitcnt lgkmcnt(0)
	v_max_f32_e32 v6, v6, v6
	v_max_f32_e32 v5, v5, v6
	v_cndmask_b32_e32 v6, v7, v9, vcc
	v_lshlrev_b32_e32 v88, 2, v6
	ds_bpermute_b32 v6, v88, v5
	v_xor_b32_e32 v9, 2, v7
	v_cmp_lt_i32_e32 vcc, v9, v8
	s_waitcnt lgkmcnt(0)
	v_max_f32_e32 v6, v6, v6
	v_max_f32_e32 v6, v5, v6
	v_cndmask_b32_e32 v5, v7, v9, vcc
	v_lshlrev_b32_e32 v89, 2, v5
	ds_bpermute_b32 v9, v89, v6
	v_cmp_eq_u32_e32 vcc, 0, v87
	v_lshlrev_b32_e32 v5, 2, v1
	s_and_saveexec_b64 s[0:1], vcc
	s_cbranch_execz .LBB205_21
; %bb.20:
	s_waitcnt lgkmcnt(0)
	v_max_f32_e32 v9, v9, v9
	v_max_f32_e32 v6, v6, v6
	;; [unrolled: 1-line block ×3, first 2 shown]
	ds_write_b32 v5, v6 offset:480
.LBB205_21:
	s_or_b64 exec, exec, s[0:1]
	v_cmp_gt_u32_e64 s[0:1], 2, v87
	s_waitcnt lgkmcnt(0)
	v_mov_b32_e32 v9, 0xff7fffff
	v_lshlrev_b32_e32 v6, 2, v87
	s_barrier
	s_and_saveexec_b64 s[2:3], s[0:1]
	s_cbranch_execz .LBB205_23
; %bb.22:
	ds_read_b32 v9, v6 offset:480
.LBB205_23:
	s_or_b64 exec, exec, s[2:3]
	v_xor_b32_e32 v10, 1, v7
	v_cmp_lt_i32_e64 s[2:3], v10, v8
	s_nop 1
	v_cndmask_b32_e64 v8, v7, v10, s[2:3]
	v_lshlrev_b32_e32 v90, 2, v8
	s_waitcnt lgkmcnt(0)
	ds_bpermute_b32 v8, v90, v9
	v_max_f32_e32 v9, v9, v9
	v_lshlrev_b32_e32 v7, 2, v7
	v_and_b32_e32 v7, 0x100, v7
	s_lshl_b32 s2, s20, 5
	s_waitcnt lgkmcnt(0)
	v_max_f32_e32 v8, v8, v8
	v_max_f32_e32 v8, v9, v8
	ds_bpermute_b32 v9, v7, v8
	s_min_i32 s16, s2, s33
	v_cmp_gt_i32_e64 s[2:3], s16, v0
	v_mov_b32_e32 v8, 0
	s_and_saveexec_b64 s[12:13], s[2:3]
	s_cbranch_execz .LBB205_27
; %bb.24:
	v_mov_b32_e32 v8, 0x1f0
	v_lshl_add_u32 v10, v0, 2, v8
	s_mov_b64 s[18:19], 0
	v_mov_b32_e32 v8, 0
	v_mov_b32_e32 v11, v0
.LBB205_25:                             ; =>This Inner Loop Header: Depth=1
	ds_read_b32 v12, v10
	v_add_u32_e32 v11, 0x80, v11
	v_cmp_le_i32_e64 s[8:9], s16, v11
	s_or_b64 s[18:19], s[8:9], s[18:19]
	s_waitcnt lgkmcnt(0)
	v_sub_f32_e32 v12, v12, v9
	v_mul_f32_e32 v12, 0x3fb8aa3b, v12
	v_exp_f32_e32 v12, v12
	ds_write_b32 v10, v12
	v_add_f32_e32 v8, v8, v12
	v_add_u32_e32 v10, 0x200, v10
	s_andn2_b64 exec, exec, s[18:19]
	s_cbranch_execnz .LBB205_25
; %bb.26:
	s_or_b64 exec, exec, s[18:19]
.LBB205_27:
	s_or_b64 exec, exec, s[12:13]
	ds_bpermute_b32 v2, v2, v8
	s_waitcnt lgkmcnt(0)
	v_add_f32_e32 v2, v8, v2
	ds_bpermute_b32 v3, v3, v2
	s_waitcnt lgkmcnt(0)
	v_add_f32_e32 v2, v2, v3
	;; [unrolled: 3-line block ×6, first 2 shown]
	s_and_saveexec_b64 s[8:9], vcc
	s_cbranch_execz .LBB205_29
; %bb.28:
	ds_write_b32 v5, v2 offset:488
.LBB205_29:
	s_or_b64 exec, exec, s[8:9]
	s_waitcnt lgkmcnt(0)
	s_barrier
	s_and_saveexec_b64 s[8:9], s[0:1]
	s_cbranch_execz .LBB205_31
; %bb.30:
	ds_read_b32 v2, v6 offset:488
.LBB205_31:
	s_or_b64 exec, exec, s[8:9]
	s_waitcnt lgkmcnt(0)
	ds_bpermute_b32 v3, v90, v2
	s_waitcnt lgkmcnt(0)
	v_add_f32_e32 v2, v2, v3
	ds_bpermute_b32 v2, v7, v2
	s_and_saveexec_b64 s[0:1], s[2:3]
	s_cbranch_execz .LBB205_44
; %bb.32:
	s_waitcnt lgkmcnt(0)
	v_add_f32_e32 v2, 0x358637bd, v2
	v_div_scale_f32 v3, s[2:3], v2, v2, 1.0
	v_rcp_f32_e32 v4, v3
	v_div_scale_f32 v5, vcc, 1.0, v2, 1.0
	s_movk_i32 s2, 0x7f
	v_fma_f32 v6, -v3, v4, 1.0
	v_fmac_f32_e32 v4, v6, v4
	v_mul_f32_e32 v6, v5, v4
	v_fma_f32 v7, -v3, v6, v5
	v_fmac_f32_e32 v6, v7, v4
	v_fma_f32 v3, -v3, v6, v5
	v_div_fmas_f32 v3, v3, v4, v6
	v_xad_u32 v4, v0, -1, s16
	v_div_fixup_f32 v2, v3, v2, 1.0
	v_cmp_lt_u32_e32 vcc, s2, v4
	s_mov_b64 s[8:9], -1
	v_mov_b32_e32 v3, v0
	s_and_saveexec_b64 s[2:3], vcc
	s_cbranch_execz .LBB205_41
; %bb.33:
	v_lshrrev_b32_e32 v4, 7, v4
	v_add_u32_e32 v6, -1, v4
	v_lshrrev_b32_e32 v5, 1, v6
	v_mov_b32_e32 v3, v2
	v_add_u32_e32 v5, 1, v5
	v_cmp_lt_u32_e32 vcc, 13, v6
	v_mov_b32_e32 v8, 0
	s_and_saveexec_b64 s[8:9], vcc
	s_cbranch_execz .LBB205_37
; %bb.34:
	v_mov_b32_e32 v7, 0x1f0
	v_and_b32_e32 v6, -8, v5
	v_lshl_add_u32 v7, v0, 2, v7
	s_mov_b32 s18, 0
	s_mov_b64 s[12:13], 0
.LBB205_35:                             ; =>This Inner Loop Header: Depth=1
	ds_read2st64_b32 v[8:9], v7 offset1:2
	ds_read2st64_b32 v[10:11], v7 offset0:4 offset1:6
	ds_read2st64_b32 v[12:13], v7 offset0:8 offset1:10
	;; [unrolled: 1-line block ×3, first 2 shown]
	v_add_u32_e32 v6, -8, v6
	s_waitcnt lgkmcnt(3)
	v_pk_mul_f32 v[8:9], v[2:3], v[8:9]
	s_waitcnt lgkmcnt(2)
	v_pk_mul_f32 v[10:11], v[2:3], v[10:11]
	ds_write2st64_b32 v7, v8, v9 offset1:2
	ds_write2st64_b32 v7, v10, v11 offset0:4 offset1:6
	ds_read2st64_b32 v[10:11], v7 offset0:16 offset1:18
	s_waitcnt lgkmcnt(4)
	v_pk_mul_f32 v[8:9], v[2:3], v[12:13]
	ds_write2st64_b32 v7, v8, v9 offset0:8 offset1:10
	s_waitcnt lgkmcnt(4)
	v_pk_mul_f32 v[8:9], v[2:3], v[14:15]
	ds_write2st64_b32 v7, v8, v9 offset0:12 offset1:14
	ds_read2st64_b32 v[8:9], v7 offset0:20 offset1:22
	s_waitcnt lgkmcnt(3)
	v_pk_mul_f32 v[10:11], v[2:3], v[10:11]
	ds_read2st64_b32 v[12:13], v7 offset0:24 offset1:26
	ds_write2st64_b32 v7, v10, v11 offset0:16 offset1:18
	ds_read2st64_b32 v[10:11], v7 offset0:28 offset1:30
	s_waitcnt lgkmcnt(3)
	v_pk_mul_f32 v[8:9], v[2:3], v[8:9]
	ds_write2st64_b32 v7, v8, v9 offset0:20 offset1:22
	s_waitcnt lgkmcnt(3)
	v_pk_mul_f32 v[8:9], v[2:3], v[12:13]
	ds_write2st64_b32 v7, v8, v9 offset0:24 offset1:26
	s_waitcnt lgkmcnt(2)
	v_pk_mul_f32 v[8:9], v[2:3], v[10:11]
	s_add_i32 s18, s18, 16
	v_cmp_eq_u32_e32 vcc, 0, v6
	ds_write2st64_b32 v7, v8, v9 offset0:28 offset1:30
	v_add_u32_e32 v7, 0x2000, v7
	s_or_b64 s[12:13], vcc, s[12:13]
	v_mov_b32_e32 v8, s18
	s_andn2_b64 exec, exec, s[12:13]
	s_cbranch_execnz .LBB205_35
; %bb.36:
	s_or_b64 exec, exec, s[12:13]
.LBB205_37:
	s_or_b64 exec, exec, s[8:9]
	v_and_b32_e32 v5, 7, v5
	v_cmp_ne_u32_e32 vcc, 0, v5
	s_and_saveexec_b64 s[8:9], vcc
	s_cbranch_execz .LBB205_40
; %bb.38:
	v_lshlrev_b32_e32 v6, 9, v8
	s_movk_i32 s12, 0x1f0
	v_add3_u32 v6, v6, v36, s12
	s_mov_b64 s[12:13], 0
.LBB205_39:                             ; =>This Inner Loop Header: Depth=1
	ds_read2st64_b32 v[8:9], v6 offset1:2
	v_add_u32_e32 v5, -1, v5
	v_cmp_eq_u32_e32 vcc, 0, v5
	s_or_b64 s[12:13], vcc, s[12:13]
	s_waitcnt lgkmcnt(0)
	v_pk_mul_f32 v[8:9], v[2:3], v[8:9]
	ds_write2st64_b32 v6, v8, v9 offset1:2
	v_add_u32_e32 v6, 0x400, v6
	s_andn2_b64 exec, exec, s[12:13]
	s_cbranch_execnz .LBB205_39
.LBB205_40:
	s_or_b64 exec, exec, s[8:9]
	v_add_u32_e32 v4, 1, v4
	v_and_b32_e32 v5, 0x3fffffe, v4
	v_cmp_ne_u32_e32 vcc, v4, v5
	v_lshl_add_u32 v3, v5, 7, v0
	s_orn2_b64 s[8:9], vcc, exec
.LBB205_41:
	s_or_b64 exec, exec, s[2:3]
	s_and_b64 exec, exec, s[8:9]
	s_cbranch_execz .LBB205_44
; %bb.42:
	v_mov_b32_e32 v4, 0x1f0
	v_lshl_add_u32 v4, v3, 2, v4
	s_mov_b64 s[2:3], 0
.LBB205_43:                             ; =>This Inner Loop Header: Depth=1
	ds_read_b32 v5, v4
	v_add_u32_e32 v3, 0x80, v3
	v_cmp_le_i32_e32 vcc, s16, v3
	s_or_b64 s[2:3], vcc, s[2:3]
	s_waitcnt lgkmcnt(0)
	v_mul_f32_e32 v5, v2, v5
	ds_write_b32 v4, v5
	v_add_u32_e32 v4, 0x200, v4
	s_andn2_b64 exec, exec, s[2:3]
	s_cbranch_execnz .LBB205_43
.LBB205_44:
	s_or_b64 exec, exec, s[0:1]
	v_mov_b32_e32 v20, 0
	v_and_b32_e32 v91, 7, v0
	v_mov_b32_e32 v21, 0
	v_mov_b32_e32 v18, 0
	;; [unrolled: 1-line block ×14, first 2 shown]
	s_waitcnt lgkmcnt(0)
	s_barrier
	s_and_saveexec_b64 s[2:3], s[6:7]
	s_cbranch_execz .LBB205_80
; %bb.45:
	s_sub_i32 s18, s43, s21
	s_ashr_i32 s1, s44, 31
	s_add_u32 s0, s34, s44
	s_addc_u32 s1, s35, s1
	s_abs_i32 s19, s22
	v_cvt_f32_u32_e32 v2, s19
	s_sub_i32 s6, 0, s19
	v_and_b32_e32 v6, 0xfc, v36
	v_mov_b32_e32 v7, 0
	v_rcp_iflag_f32_e32 v2, v2
	s_add_i32 s22, s20, -1
	v_lshl_add_u64 v[22:23], s[0:1], 0, v[6:7]
	s_lshl_b64 s[0:1], s[30:31], 2
	v_mul_f32_e32 v2, 0x4f7ffffe, v2
	v_cvt_u32_f32_e32 v2, v2
	s_add_u32 s0, s28, s0
	v_and_b32_e32 v6, 60, v37
	s_addc_u32 s1, s29, s1
	v_mul_lo_u32 v3, s6, v2
	v_mul_hi_u32 v3, v2, v3
	v_add_u32_e32 v93, v2, v3
	v_lshlrev_b32_e32 v2, 4, v91
	v_lshl_or_b32 v2, v1, 7, v2
	v_and_b32_e32 v92, 28, v36
	s_mov_b32 s21, s17
	v_lshl_add_u64 v[24:25], s[0:1], 0, v[6:7]
	v_add_u32_e32 v6, 0x1f0, v2
	s_mov_b64 s[6:7], 0
	v_mov_b32_e32 v9, v7
	v_mov_b32_e32 v8, v7
	;; [unrolled: 1-line block ×14, first 2 shown]
	s_branch .LBB205_48
.LBB205_46:                             ;   in Loop: Header=BB205_48 Depth=1
	s_or_b64 exec, exec, s[0:1]
	v_mul_f32_e32 v85, v3, v85
	v_mul_f32_e32 v81, v3, v81
	;; [unrolled: 1-line block ×15, first 2 shown]
	v_fmac_f32_e32 v85, v2, v84
	v_fmac_f32_e32 v81, v2, v80
	;; [unrolled: 1-line block ×45, first 2 shown]
	v_add_f32_e32 v9, v9, v85
	v_add_f32_e32 v8, v8, v81
	;; [unrolled: 1-line block ×15, first 2 shown]
.LBB205_47:                             ;   in Loop: Header=BB205_48 Depth=1
	s_or_b64 exec, exec, s[8:9]
	v_add_u32_e32 v1, 2, v1
	v_cmp_le_i32_e32 vcc, s20, v1
	v_lshl_add_u64 v[24:25], v[24:25], 0, 8
	v_add_u32_e32 v86, 64, v86
	s_or_b64 s[6:7], vcc, s[6:7]
	v_add_u32_e32 v6, 0x100, v6
	s_andn2_b64 exec, exec, s[6:7]
	s_cbranch_execz .LBB205_79
.LBB205_48:                             ; =>This Inner Loop Header: Depth=1
	v_mul_hi_u32 v2, v86, s42
	v_mul_lo_u32 v3, v2, s25
	v_sub_u32_e32 v3, v86, v3
	v_add_u32_e32 v4, 1, v2
	v_cmp_le_u32_e32 vcc, s25, v3
	s_nop 1
	v_cndmask_b32_e32 v2, v2, v4, vcc
	v_subrev_u32_e32 v4, s25, v3
	v_cndmask_b32_e32 v3, v3, v4, vcc
	v_add_u32_e32 v4, 1, v2
	v_cmp_le_u32_e32 vcc, s25, v3
	s_nop 1
	v_cndmask_b32_e32 v2, v2, v4, vcc
	v_xor_b32_e32 v2, s23, v2
	v_subrev_u32_e32 v2, s23, v2
	v_add_u32_e32 v3, s36, v2
	v_sub_u32_e32 v5, 0, v3
	v_ashrrev_i32_e32 v4, 31, v3
	v_max_i32_e32 v3, v3, v5
	v_mul_hi_u32 v5, v3, v93
	v_mul_lo_u32 v5, v5, s19
	v_sub_u32_e32 v3, v3, v5
	v_subrev_u32_e32 v5, s19, v3
	v_cmp_le_u32_e32 vcc, s19, v3
	v_cmp_lt_i32_e64 s[0:1], s18, v2
	s_nop 0
	v_cndmask_b32_e32 v3, v3, v5, vcc
	v_subrev_u32_e32 v5, s19, v3
	v_cmp_le_u32_e32 vcc, s19, v3
	s_nop 1
	v_cndmask_b32_e32 v3, v3, v5, vcc
	v_xor_b32_e32 v3, v3, v4
	v_sub_u32_e32 v3, v3, v4
	v_cmp_eq_u32_e32 vcc, 0, v3
	s_or_b64 s[0:1], vcc, s[0:1]
	s_and_saveexec_b64 s[8:9], s[0:1]
	s_cbranch_execz .LBB205_47
; %bb.49:                               ;   in Loop: Header=BB205_48 Depth=1
	global_load_dword v2, v[24:25], off
	s_load_dword s12, s[14:15], 0x0
	v_add_u32_e32 v94, v92, v86
	v_cmp_eq_u32_e32 vcc, s22, v1
	v_add_u32_e32 v96, 1, v94
	v_add_u32_e32 v95, 2, v94
	;; [unrolled: 1-line block ×3, first 2 shown]
	s_waitcnt vmcnt(0)
	v_mad_i64_i32 v[38:39], s[0:1], v2, s21, v[22:23]
	global_load_dword v26, v[38:39], off
	ds_read_b128 v[2:5], v6
	s_waitcnt vmcnt(0)
	v_and_b32_e32 v27, 0xffff, v26
	v_lshrrev_b32_e32 v28, 16, v26
	v_cvt_pk_f32_fp8_e32 v[26:27], v27
	v_cvt_pk_f32_fp8_e32 v[30:31], v28
	s_waitcnt lgkmcnt(0)
	v_pk_mul_f32 v[28:29], s[12:13], v[26:27] op_sel_hi:[0,1]
	v_pk_mul_f32 v[26:27], s[12:13], v[30:31] op_sel_hi:[0,1]
	s_and_saveexec_b64 s[16:17], vcc
; %bb.50:                               ;   in Loop: Header=BB205_48 Depth=1
	v_cmp_gt_i32_e64 s[0:1], s33, v94
	s_nop 1
	v_cndmask_b32_e64 v28, 0, v28, s[0:1]
	v_cmp_gt_i32_e64 s[0:1], s33, v96
	s_nop 1
	v_cndmask_b32_e64 v29, 0, v29, s[0:1]
	;; [unrolled: 3-line block ×4, first 2 shown]
; %bb.51:                               ;   in Loop: Header=BB205_48 Depth=1
	s_or_b64 exec, exec, s[16:17]
	global_load_dword v30, v[38:39], off offset:256
	s_mov_b32 s13, s12
	s_waitcnt vmcnt(0)
	v_and_b32_e32 v31, 0xffff, v30
	v_lshrrev_b32_e32 v32, 16, v30
	v_cvt_pk_f32_fp8_e32 v[30:31], v31
	v_cvt_pk_f32_fp8_e32 v[34:35], v32
	v_pk_mul_f32 v[32:33], s[12:13], v[30:31]
	v_pk_mul_f32 v[30:31], s[12:13], v[34:35]
	s_and_saveexec_b64 s[16:17], vcc
; %bb.52:                               ;   in Loop: Header=BB205_48 Depth=1
	v_cmp_gt_i32_e64 s[0:1], s33, v94
	s_nop 1
	v_cndmask_b32_e64 v32, 0, v32, s[0:1]
	v_cmp_gt_i32_e64 s[0:1], s33, v96
	s_nop 1
	v_cndmask_b32_e64 v33, 0, v33, s[0:1]
	v_cmp_gt_i32_e64 s[0:1], s33, v95
	s_nop 1
	v_cndmask_b32_e64 v30, 0, v30, s[0:1]
	v_cmp_gt_i32_e64 s[0:1], s33, v97
	s_nop 1
	v_cndmask_b32_e64 v31, 0, v31, s[0:1]
; %bb.53:                               ;   in Loop: Header=BB205_48 Depth=1
	s_or_b64 exec, exec, s[16:17]
	global_load_dword v34, v[38:39], off offset:512
	s_waitcnt vmcnt(0)
	v_and_b32_e32 v35, 0xffff, v34
	v_lshrrev_b32_e32 v36, 16, v34
	v_cvt_pk_f32_fp8_e32 v[34:35], v35
	v_cvt_pk_f32_fp8_e32 v[40:41], v36
	v_pk_mul_f32 v[36:37], s[12:13], v[34:35]
	v_pk_mul_f32 v[34:35], s[12:13], v[40:41]
	s_and_saveexec_b64 s[16:17], vcc
; %bb.54:                               ;   in Loop: Header=BB205_48 Depth=1
	v_cmp_gt_i32_e64 s[0:1], s33, v94
	s_nop 1
	v_cndmask_b32_e64 v36, 0, v36, s[0:1]
	v_cmp_gt_i32_e64 s[0:1], s33, v96
	s_nop 1
	v_cndmask_b32_e64 v37, 0, v37, s[0:1]
	v_cmp_gt_i32_e64 s[0:1], s33, v95
	s_nop 1
	v_cndmask_b32_e64 v34, 0, v34, s[0:1]
	v_cmp_gt_i32_e64 s[0:1], s33, v97
	s_nop 1
	v_cndmask_b32_e64 v35, 0, v35, s[0:1]
; %bb.55:                               ;   in Loop: Header=BB205_48 Depth=1
	s_or_b64 exec, exec, s[16:17]
	global_load_dword v40, v[38:39], off offset:768
	;; [unrolled: 24-line block ×13, first 2 shown]
	s_waitcnt vmcnt(0)
	v_and_b32_e32 v39, 0xffff, v38
	v_lshrrev_b32_e32 v76, 16, v38
	v_cvt_pk_f32_fp8_e32 v[38:39], v39
	v_cvt_pk_f32_fp8_e32 v[98:99], v76
	v_pk_mul_f32 v[76:77], s[12:13], v[38:39]
	v_pk_mul_f32 v[38:39], s[12:13], v[98:99]
	s_and_saveexec_b64 s[0:1], vcc
	s_cbranch_execz .LBB205_46
; %bb.78:                               ;   in Loop: Header=BB205_48 Depth=1
	v_cmp_gt_i32_e32 vcc, s33, v94
	s_nop 1
	v_cndmask_b32_e32 v76, 0, v76, vcc
	v_cmp_gt_i32_e32 vcc, s33, v96
	s_nop 1
	v_cndmask_b32_e32 v77, 0, v77, vcc
	;; [unrolled: 3-line block ×4, first 2 shown]
	s_branch .LBB205_46
.LBB205_79:
	s_or_b64 exec, exec, s[6:7]
.LBB205_80:
	s_or_b64 exec, exec, s[2:3]
	ds_bpermute_b32 v4, v88, v18
	ds_bpermute_b32 v5, v88, v19
	;; [unrolled: 1-line block ×6, first 2 shown]
	s_waitcnt lgkmcnt(4)
	v_pk_add_f32 v[4:5], v[18:19], v[4:5]
	ds_bpermute_b32 v18, v89, v4
	ds_bpermute_b32 v19, v89, v5
	s_waitcnt lgkmcnt(4)
	v_pk_add_f32 v[2:3], v[20:21], v[2:3]
	s_waitcnt lgkmcnt(2)
	v_pk_add_f32 v[16:17], v[16:17], v[22:23]
	ds_bpermute_b32 v20, v89, v2
	ds_bpermute_b32 v21, v89, v3
	s_waitcnt lgkmcnt(2)
	v_pk_add_f32 v[4:5], v[4:5], v[18:19]
	ds_bpermute_b32 v18, v89, v16
	ds_bpermute_b32 v19, v89, v17
	;; [unrolled: 1-line block ×3, first 2 shown]
	s_waitcnt lgkmcnt(3)
	v_pk_add_f32 v[2:3], v[2:3], v[20:21]
	ds_bpermute_b32 v29, v88, v13
	ds_bpermute_b32 v20, v90, v2
	s_waitcnt lgkmcnt(3)
	v_pk_add_f32 v[16:17], v[16:17], v[18:19]
	ds_bpermute_b32 v21, v90, v3
	ds_bpermute_b32 v24, v88, v14
	;; [unrolled: 1-line block ×5, first 2 shown]
	s_waitcnt lgkmcnt(6)
	v_pk_add_f32 v[12:13], v[12:13], v[28:29]
	ds_bpermute_b32 v22, v90, v4
	ds_bpermute_b32 v23, v90, v5
	s_waitcnt lgkmcnt(4)
	v_pk_add_f32 v[24:25], v[14:15], v[24:25]
	v_pk_add_f32 v[14:15], v[2:3], v[20:21]
	s_waitcnt lgkmcnt(2)
	v_pk_add_f32 v[2:3], v[16:17], v[18:19]
	ds_bpermute_b32 v18, v89, v12
	ds_bpermute_b32 v19, v89, v13
	s_waitcnt lgkmcnt(2)
	v_pk_add_f32 v[4:5], v[4:5], v[22:23]
	ds_bpermute_b32 v22, v88, v10
	ds_bpermute_b32 v23, v88, v11
	;; [unrolled: 1-line block ×3, first 2 shown]
	s_waitcnt lgkmcnt(3)
	v_pk_add_f32 v[18:19], v[12:13], v[18:19]
	ds_bpermute_b32 v12, v88, v8
	ds_bpermute_b32 v13, v88, v9
	;; [unrolled: 1-line block ×4, first 2 shown]
	s_waitcnt lgkmcnt(5)
	v_pk_add_f32 v[10:11], v[10:11], v[22:23]
	ds_bpermute_b32 v22, v89, v10
	s_waitcnt lgkmcnt(3)
	v_pk_add_f32 v[8:9], v[8:9], v[12:13]
	s_waitcnt lgkmcnt(2)
	v_pk_add_f32 v[16:17], v[24:25], v[26:27]
	ds_bpermute_b32 v23, v89, v11
	ds_bpermute_b32 v12, v89, v8
	;; [unrolled: 1-line block ×3, first 2 shown]
	s_waitcnt lgkmcnt(4)
	v_add_f32_e32 v1, v7, v1
	ds_bpermute_b32 v20, v90, v16
	ds_bpermute_b32 v21, v90, v17
	;; [unrolled: 1-line block ×3, first 2 shown]
	s_waitcnt lgkmcnt(5)
	v_pk_add_f32 v[22:23], v[10:11], v[22:23]
	s_waitcnt lgkmcnt(3)
	v_pk_add_f32 v[28:29], v[8:9], v[12:13]
	ds_bpermute_b32 v24, v90, v18
	ds_bpermute_b32 v25, v90, v19
	;; [unrolled: 1-line block ×6, first 2 shown]
	s_waitcnt lgkmcnt(7)
	v_pk_add_f32 v[12:13], v[16:17], v[20:21]
	s_waitcnt lgkmcnt(6)
	v_add_f32_e32 v16, v1, v32
	ds_bpermute_b32 v17, v90, v16
	v_and_b32_e32 v1, 0x3c7, v0
	s_waitcnt lgkmcnt(5)
	v_pk_add_f32 v[10:11], v[18:19], v[24:25]
	s_waitcnt lgkmcnt(3)
	v_pk_add_f32 v[8:9], v[22:23], v[26:27]
	;; [unrolled: 2-line block ×3, first 2 shown]
	v_cmp_ne_u32_e32 vcc, 64, v1
	s_waitcnt lgkmcnt(0)
	s_barrier
	s_and_saveexec_b64 s[0:1], vcc
	s_xor_b64 s[0:1], exec, s[0:1]
; %bb.81:
                                        ; implicit-def: $vgpr87
; %bb.82:
	s_or_saveexec_b64 s[0:1], s[0:1]
	v_add_f32_e32 v16, v16, v17
	s_xor_b64 exec, exec, s[0:1]
	s_cbranch_execz .LBB205_84
; %bb.83:
	v_lshrrev_b32_e32 v17, 1, v87
	v_add_u32_e32 v17, 0x1f0, v17
	ds_write2_b32 v17, v14, v15 offset1:8
	ds_write2_b32 v17, v4, v5 offset0:16 offset1:24
	ds_write2_b32 v17, v2, v3 offset0:32 offset1:40
	;; [unrolled: 1-line block ×6, first 2 shown]
	ds_write_b32 v17, v16 offset:448
.LBB205_84:
	s_or_b64 exec, exec, s[0:1]
	v_cmp_gt_u32_e32 vcc, 64, v0
	s_waitcnt lgkmcnt(0)
	s_barrier
	s_and_saveexec_b64 s[0:1], vcc
	s_cbranch_execz .LBB205_102
; %bb.85:
	v_cmp_eq_u32_e32 vcc, 0, v91
	v_lshrrev_b32_e32 v17, 3, v0
	s_and_saveexec_b64 s[2:3], vcc
	s_cbranch_execnz .LBB205_105
; %bb.86:
	s_or_b64 exec, exec, s[2:3]
	s_and_saveexec_b64 s[2:3], vcc
	s_cbranch_execnz .LBB205_106
.LBB205_87:
	s_or_b64 exec, exec, s[2:3]
	s_and_saveexec_b64 s[2:3], vcc
	s_cbranch_execnz .LBB205_107
.LBB205_88:
	s_or_b64 exec, exec, s[2:3]
	s_and_saveexec_b64 s[2:3], vcc
	s_cbranch_execnz .LBB205_108
.LBB205_89:
	s_or_b64 exec, exec, s[2:3]
	s_and_saveexec_b64 s[2:3], vcc
	s_cbranch_execnz .LBB205_109
.LBB205_90:
	s_or_b64 exec, exec, s[2:3]
	s_and_saveexec_b64 s[2:3], vcc
	s_cbranch_execnz .LBB205_110
.LBB205_91:
	s_or_b64 exec, exec, s[2:3]
	s_and_saveexec_b64 s[2:3], vcc
	s_cbranch_execnz .LBB205_111
.LBB205_92:
	s_or_b64 exec, exec, s[2:3]
	s_and_saveexec_b64 s[2:3], vcc
	s_cbranch_execnz .LBB205_112
.LBB205_93:
	s_or_b64 exec, exec, s[2:3]
	s_and_saveexec_b64 s[2:3], vcc
	s_cbranch_execnz .LBB205_113
.LBB205_94:
	s_or_b64 exec, exec, s[2:3]
	s_and_saveexec_b64 s[2:3], vcc
	s_cbranch_execnz .LBB205_114
.LBB205_95:
	s_or_b64 exec, exec, s[2:3]
	s_and_saveexec_b64 s[2:3], vcc
	s_cbranch_execnz .LBB205_115
.LBB205_96:
	s_or_b64 exec, exec, s[2:3]
	s_and_saveexec_b64 s[2:3], vcc
	s_cbranch_execnz .LBB205_116
.LBB205_97:
	s_or_b64 exec, exec, s[2:3]
	s_and_saveexec_b64 s[2:3], vcc
	s_cbranch_execnz .LBB205_117
.LBB205_98:
	s_or_b64 exec, exec, s[2:3]
	s_and_saveexec_b64 s[2:3], vcc
	s_cbranch_execnz .LBB205_118
.LBB205_99:
	s_or_b64 exec, exec, s[2:3]
	s_and_saveexec_b64 s[2:3], vcc
	s_cbranch_execz .LBB205_101
.LBB205_100:
	v_mov_b32_e32 v18, 0x1f0
	v_lshl_add_u32 v17, v17, 2, v18
	ds_read_b32 v17, v17 offset:448
	s_waitcnt lgkmcnt(0)
	v_add_f32_e32 v16, v16, v17
.LBB205_101:
	s_or_b64 exec, exec, s[2:3]
.LBB205_102:
	s_or_b64 exec, exec, s[0:1]
	v_cmp_eq_u32_e32 vcc, 0, v1
	s_barrier
	s_and_saveexec_b64 s[0:1], vcc
	s_cbranch_execz .LBB205_104
; %bb.103:
	s_mul_i32 s0, s10, s11
	s_mul_i32 s0, s0, s5
	s_mulk_i32 s0, 0x78
	s_ashr_i32 s1, s0, 31
	s_lshl_b64 s[0:1], s[0:1], 2
	s_add_u32 s2, s26, s0
	s_mul_i32 s0, s11, s24
	s_addc_u32 s3, s27, s1
	s_ashr_i32 s1, s0, 31
	s_lshl_b64 s[0:1], s[0:1], 2
	s_add_u32 s2, s2, s0
	s_mul_i32 s0, s4, 0x78
	s_addc_u32 s3, s3, s1
	s_ashr_i32 s1, s0, 31
	s_lshl_b64 s[0:1], s[0:1], 2
	s_add_u32 s0, s2, s0
	s_addc_u32 s1, s3, s1
	v_lshrrev_b32_e32 v0, 1, v0
	global_store_dword v0, v14, s[0:1]
	global_store_dword v0, v15, s[0:1] offset:32
	global_store_dword v0, v4, s[0:1] offset:64
	;; [unrolled: 1-line block ×14, first 2 shown]
.LBB205_104:
	s_endpgm
.LBB205_105:
	v_mov_b32_e32 v18, 0x1f0
	v_lshl_add_u32 v18, v17, 2, v18
	ds_read_b32 v18, v18
	s_waitcnt lgkmcnt(0)
	v_add_f32_e32 v14, v14, v18
	s_or_b64 exec, exec, s[2:3]
	s_and_saveexec_b64 s[2:3], vcc
	s_cbranch_execz .LBB205_87
.LBB205_106:
	v_mov_b32_e32 v18, 0x1f0
	v_lshl_add_u32 v18, v17, 2, v18
	ds_read_b32 v18, v18 offset:32
	s_waitcnt lgkmcnt(0)
	v_add_f32_e32 v15, v15, v18
	s_or_b64 exec, exec, s[2:3]
	s_and_saveexec_b64 s[2:3], vcc
	s_cbranch_execz .LBB205_88
.LBB205_107:
	v_mov_b32_e32 v18, 0x1f0
	v_lshl_add_u32 v18, v17, 2, v18
	ds_read_b32 v18, v18 offset:64
	s_waitcnt lgkmcnt(0)
	v_add_f32_e32 v4, v4, v18
	s_or_b64 exec, exec, s[2:3]
	s_and_saveexec_b64 s[2:3], vcc
	s_cbranch_execz .LBB205_89
.LBB205_108:
	v_mov_b32_e32 v18, 0x1f0
	v_lshl_add_u32 v18, v17, 2, v18
	ds_read_b32 v18, v18 offset:96
	s_waitcnt lgkmcnt(0)
	v_add_f32_e32 v5, v5, v18
	s_or_b64 exec, exec, s[2:3]
	s_and_saveexec_b64 s[2:3], vcc
	s_cbranch_execz .LBB205_90
.LBB205_109:
	v_mov_b32_e32 v18, 0x1f0
	v_lshl_add_u32 v18, v17, 2, v18
	ds_read_b32 v18, v18 offset:128
	s_waitcnt lgkmcnt(0)
	v_add_f32_e32 v2, v2, v18
	s_or_b64 exec, exec, s[2:3]
	s_and_saveexec_b64 s[2:3], vcc
	s_cbranch_execz .LBB205_91
.LBB205_110:
	v_mov_b32_e32 v18, 0x1f0
	v_lshl_add_u32 v18, v17, 2, v18
	ds_read_b32 v18, v18 offset:160
	s_waitcnt lgkmcnt(0)
	v_add_f32_e32 v3, v3, v18
	s_or_b64 exec, exec, s[2:3]
	s_and_saveexec_b64 s[2:3], vcc
	s_cbranch_execz .LBB205_92
.LBB205_111:
	v_mov_b32_e32 v18, 0x1f0
	v_lshl_add_u32 v18, v17, 2, v18
	ds_read_b32 v18, v18 offset:192
	s_waitcnt lgkmcnt(0)
	v_add_f32_e32 v12, v12, v18
	s_or_b64 exec, exec, s[2:3]
	s_and_saveexec_b64 s[2:3], vcc
	s_cbranch_execz .LBB205_93
.LBB205_112:
	v_mov_b32_e32 v18, 0x1f0
	v_lshl_add_u32 v18, v17, 2, v18
	ds_read_b32 v18, v18 offset:224
	s_waitcnt lgkmcnt(0)
	v_add_f32_e32 v13, v13, v18
	s_or_b64 exec, exec, s[2:3]
	s_and_saveexec_b64 s[2:3], vcc
	s_cbranch_execz .LBB205_94
.LBB205_113:
	v_mov_b32_e32 v18, 0x1f0
	v_lshl_add_u32 v18, v17, 2, v18
	ds_read_b32 v18, v18 offset:256
	s_waitcnt lgkmcnt(0)
	v_add_f32_e32 v10, v10, v18
	s_or_b64 exec, exec, s[2:3]
	s_and_saveexec_b64 s[2:3], vcc
	s_cbranch_execz .LBB205_95
.LBB205_114:
	v_mov_b32_e32 v18, 0x1f0
	v_lshl_add_u32 v18, v17, 2, v18
	ds_read_b32 v18, v18 offset:288
	s_waitcnt lgkmcnt(0)
	v_add_f32_e32 v11, v11, v18
	s_or_b64 exec, exec, s[2:3]
	s_and_saveexec_b64 s[2:3], vcc
	s_cbranch_execz .LBB205_96
.LBB205_115:
	v_mov_b32_e32 v18, 0x1f0
	v_lshl_add_u32 v18, v17, 2, v18
	ds_read_b32 v18, v18 offset:320
	s_waitcnt lgkmcnt(0)
	v_add_f32_e32 v8, v8, v18
	s_or_b64 exec, exec, s[2:3]
	s_and_saveexec_b64 s[2:3], vcc
	s_cbranch_execz .LBB205_97
.LBB205_116:
	v_mov_b32_e32 v18, 0x1f0
	v_lshl_add_u32 v18, v17, 2, v18
	ds_read_b32 v18, v18 offset:352
	s_waitcnt lgkmcnt(0)
	v_add_f32_e32 v9, v9, v18
	s_or_b64 exec, exec, s[2:3]
	s_and_saveexec_b64 s[2:3], vcc
	s_cbranch_execz .LBB205_98
.LBB205_117:
	v_mov_b32_e32 v18, 0x1f0
	v_lshl_add_u32 v18, v17, 2, v18
	ds_read_b32 v18, v18 offset:384
	s_waitcnt lgkmcnt(0)
	v_add_f32_e32 v6, v6, v18
	s_or_b64 exec, exec, s[2:3]
	s_and_saveexec_b64 s[2:3], vcc
	s_cbranch_execz .LBB205_99
.LBB205_118:
	v_mov_b32_e32 v18, 0x1f0
	v_lshl_add_u32 v18, v17, 2, v18
	ds_read_b32 v18, v18 offset:416
	s_waitcnt lgkmcnt(0)
	v_add_f32_e32 v7, v7, v18
	s_or_b64 exec, exec, s[2:3]
	s_and_saveexec_b64 s[2:3], vcc
	s_cbranch_execnz .LBB205_100
	s_branch .LBB205_101
	.section	.rodata,"a",@progbits
	.p2align	6, 0x0
	.amdhsa_kernel _ZN4vllm25paged_attention_v1_kernelIfhLi120ELi32ELi128ELNS_18Fp8KVCacheDataTypeE1ELb1EEEvPT_PKS2_PKT0_S8_ifPKiSA_iPKfiiiSC_SC_iiiii
		.amdhsa_group_segment_fixed_size 496
		.amdhsa_private_segment_fixed_size 0
		.amdhsa_kernarg_size 384
		.amdhsa_user_sgpr_count 2
		.amdhsa_user_sgpr_dispatch_ptr 0
		.amdhsa_user_sgpr_queue_ptr 0
		.amdhsa_user_sgpr_kernarg_segment_ptr 1
		.amdhsa_user_sgpr_dispatch_id 0
		.amdhsa_user_sgpr_kernarg_preload_length 0
		.amdhsa_user_sgpr_kernarg_preload_offset 0
		.amdhsa_user_sgpr_private_segment_size 0
		.amdhsa_uses_dynamic_stack 0
		.amdhsa_enable_private_segment 0
		.amdhsa_system_sgpr_workgroup_id_x 1
		.amdhsa_system_sgpr_workgroup_id_y 1
		.amdhsa_system_sgpr_workgroup_id_z 1
		.amdhsa_system_sgpr_workgroup_info 0
		.amdhsa_system_vgpr_workitem_id 0
		.amdhsa_next_free_vgpr 100
		.amdhsa_next_free_sgpr 49
		.amdhsa_accum_offset 100
		.amdhsa_reserve_vcc 1
		.amdhsa_float_round_mode_32 0
		.amdhsa_float_round_mode_16_64 0
		.amdhsa_float_denorm_mode_32 3
		.amdhsa_float_denorm_mode_16_64 3
		.amdhsa_dx10_clamp 1
		.amdhsa_ieee_mode 1
		.amdhsa_fp16_overflow 0
		.amdhsa_tg_split 0
		.amdhsa_exception_fp_ieee_invalid_op 0
		.amdhsa_exception_fp_denorm_src 0
		.amdhsa_exception_fp_ieee_div_zero 0
		.amdhsa_exception_fp_ieee_overflow 0
		.amdhsa_exception_fp_ieee_underflow 0
		.amdhsa_exception_fp_ieee_inexact 0
		.amdhsa_exception_int_div_zero 0
	.end_amdhsa_kernel
	.section	.text._ZN4vllm25paged_attention_v1_kernelIfhLi120ELi32ELi128ELNS_18Fp8KVCacheDataTypeE1ELb1EEEvPT_PKS2_PKT0_S8_ifPKiSA_iPKfiiiSC_SC_iiiii,"axG",@progbits,_ZN4vllm25paged_attention_v1_kernelIfhLi120ELi32ELi128ELNS_18Fp8KVCacheDataTypeE1ELb1EEEvPT_PKS2_PKT0_S8_ifPKiSA_iPKfiiiSC_SC_iiiii,comdat
.Lfunc_end205:
	.size	_ZN4vllm25paged_attention_v1_kernelIfhLi120ELi32ELi128ELNS_18Fp8KVCacheDataTypeE1ELb1EEEvPT_PKS2_PKT0_S8_ifPKiSA_iPKfiiiSC_SC_iiiii, .Lfunc_end205-_ZN4vllm25paged_attention_v1_kernelIfhLi120ELi32ELi128ELNS_18Fp8KVCacheDataTypeE1ELb1EEEvPT_PKS2_PKT0_S8_ifPKiSA_iPKfiiiSC_SC_iiiii
                                        ; -- End function
	.section	.AMDGPU.csdata,"",@progbits
; Kernel info:
; codeLenInByte = 8676
; NumSgprs: 55
; NumVgprs: 100
; NumAgprs: 0
; TotalNumVgprs: 100
; ScratchSize: 0
; MemoryBound: 0
; FloatMode: 240
; IeeeMode: 1
; LDSByteSize: 496 bytes/workgroup (compile time only)
; SGPRBlocks: 6
; VGPRBlocks: 12
; NumSGPRsForWavesPerEU: 55
; NumVGPRsForWavesPerEU: 100
; AccumOffset: 100
; Occupancy: 4
; WaveLimiterHint : 1
; COMPUTE_PGM_RSRC2:SCRATCH_EN: 0
; COMPUTE_PGM_RSRC2:USER_SGPR: 2
; COMPUTE_PGM_RSRC2:TRAP_HANDLER: 0
; COMPUTE_PGM_RSRC2:TGID_X_EN: 1
; COMPUTE_PGM_RSRC2:TGID_Y_EN: 1
; COMPUTE_PGM_RSRC2:TGID_Z_EN: 1
; COMPUTE_PGM_RSRC2:TIDIG_COMP_CNT: 0
; COMPUTE_PGM_RSRC3_GFX90A:ACCUM_OFFSET: 24
; COMPUTE_PGM_RSRC3_GFX90A:TG_SPLIT: 0
	.section	.text._ZN4vllm25paged_attention_v1_kernelIfhLi128ELi32ELi128ELNS_18Fp8KVCacheDataTypeE1ELb1EEEvPT_PKS2_PKT0_S8_ifPKiSA_iPKfiiiSC_SC_iiiii,"axG",@progbits,_ZN4vllm25paged_attention_v1_kernelIfhLi128ELi32ELi128ELNS_18Fp8KVCacheDataTypeE1ELb1EEEvPT_PKS2_PKT0_S8_ifPKiSA_iPKfiiiSC_SC_iiiii,comdat
	.protected	_ZN4vllm25paged_attention_v1_kernelIfhLi128ELi32ELi128ELNS_18Fp8KVCacheDataTypeE1ELb1EEEvPT_PKS2_PKT0_S8_ifPKiSA_iPKfiiiSC_SC_iiiii ; -- Begin function _ZN4vllm25paged_attention_v1_kernelIfhLi128ELi32ELi128ELNS_18Fp8KVCacheDataTypeE1ELb1EEEvPT_PKS2_PKT0_S8_ifPKiSA_iPKfiiiSC_SC_iiiii
	.globl	_ZN4vllm25paged_attention_v1_kernelIfhLi128ELi32ELi128ELNS_18Fp8KVCacheDataTypeE1ELb1EEEvPT_PKS2_PKT0_S8_ifPKiSA_iPKfiiiSC_SC_iiiii
	.p2align	8
	.type	_ZN4vllm25paged_attention_v1_kernelIfhLi128ELi32ELi128ELNS_18Fp8KVCacheDataTypeE1ELb1EEEvPT_PKS2_PKT0_S8_ifPKiSA_iPKfiiiSC_SC_iiiii,@function
_ZN4vllm25paged_attention_v1_kernelIfhLi128ELi32ELi128ELNS_18Fp8KVCacheDataTypeE1ELb1EEEvPT_PKS2_PKT0_S8_ifPKiSA_iPKfiiiSC_SC_iiiii: ; @_ZN4vllm25paged_attention_v1_kernelIfhLi128ELi32ELi128ELNS_18Fp8KVCacheDataTypeE1ELb1EEEvPT_PKS2_PKT0_S8_ifPKiSA_iPKfiiiSC_SC_iiiii
; %bb.0:
	s_load_dword s5, s[0:1], 0x80
	s_load_dwordx2 s[6:7], s[0:1], 0x30
	s_load_dwordx2 s[38:39], s[0:1], 0x20
	s_mov_b32 s24, s3
	s_ashr_i32 s25, s3, 31
	s_lshl_b64 s[8:9], s[24:25], 2
	s_waitcnt lgkmcnt(0)
	s_add_u32 s6, s6, s8
	s_addc_u32 s7, s7, s9
	s_abs_i32 s3, s38
	v_cvt_f32_u32_e32 v1, s3
	s_sub_i32 s10, 0, s3
	s_abs_i32 s9, s5
	s_xor_b32 s8, s5, s38
	v_rcp_iflag_f32_e32 v1, v1
	s_ashr_i32 s8, s8, 31
	s_mov_b32 s47, 0
	v_mul_f32_e32 v1, 0x4f7ffffe, v1
	v_cvt_u32_f32_e32 v1, v1
	s_nop 0
	v_readfirstlane_b32 s11, v1
	s_mul_i32 s10, s10, s11
	s_mul_hi_u32 s10, s11, s10
	s_add_i32 s11, s11, s10
	s_mul_hi_u32 s10, s9, s11
	s_mul_i32 s11, s10, s3
	s_sub_i32 s9, s9, s11
	s_add_i32 s11, s10, 1
	s_sub_i32 s12, s9, s3
	s_cmp_ge_u32 s9, s3
	s_cselect_b32 s10, s11, s10
	s_cselect_b32 s9, s12, s9
	s_add_i32 s11, s10, 1
	s_cmp_ge_u32 s9, s3
	s_cselect_b32 s3, s11, s10
	s_xor_b32 s3, s3, s8
	s_sub_i32 s14, s3, s8
	s_abs_i32 s10, s14
	v_cvt_f32_u32_e32 v1, s10
	s_load_dwordx2 s[8:9], s[0:1], 0x40
	s_sub_i32 s3, 0, s10
	s_abs_i32 s11, s2
	v_rcp_iflag_f32_e32 v1, v1
	s_nop 0
	v_mul_f32_e32 v1, 0x4f7ffffe, v1
	v_cvt_u32_f32_e32 v1, v1
	s_nop 0
	v_readfirstlane_b32 s12, v1
	s_mul_i32 s3, s3, s12
	s_mul_hi_u32 s3, s12, s3
	s_add_i32 s12, s12, s3
	s_waitcnt lgkmcnt(0)
	s_cmp_eq_u64 s[8:9], 0
	s_mul_hi_u32 s12, s11, s12
	s_cbranch_scc1 .LBB206_2
; %bb.1:
	s_ashr_i32 s3, s2, 31
	s_lshl_b64 s[16:17], s[2:3], 2
	s_add_u32 s8, s8, s16
	s_addc_u32 s9, s9, s17
	s_load_dword s47, s[8:9], 0x0
.LBB206_2:
	s_load_dword s25, s[6:7], 0x0
	s_load_dwordx4 s[16:19], s[0:1], 0x48
	s_ashr_i32 s13, s2, 31
	s_ashr_i32 s14, s14, 31
	v_and_b32_e32 v2, 1, v0
	s_lshl_b32 s26, s2, 7
	v_cmp_gt_u32_e64 s[6:7], 64, v0
	v_lshlrev_b32_e32 v36, 2, v0
	s_and_saveexec_b64 s[8:9], s[6:7]
	s_cbranch_execz .LBB206_4
; %bb.3:
	s_load_dwordx2 s[20:21], s[0:1], 0x8
	s_waitcnt lgkmcnt(0)
	s_mul_i32 s22, s24, s16
	s_ashr_i32 s23, s22, 31
	s_lshl_b64 s[22:23], s[22:23], 2
	v_lshlrev_b32_e32 v1, 3, v0
	s_add_u32 s3, s20, s22
	s_addc_u32 s15, s21, s23
	s_ashr_i32 s27, s26, 31
	s_lshl_b64 s[20:21], s[26:27], 2
	s_add_u32 s20, s3, s20
	s_addc_u32 s21, s15, s21
	global_load_dwordx2 v[4:5], v1, s[20:21]
	v_and_b32_e32 v1, 0xff8, v36
	v_lshl_add_u32 v1, v2, 8, v1
	s_waitcnt vmcnt(0)
	ds_write_b64 v1, v[4:5]
.LBB206_4:
	s_or_b64 exec, exec, s[8:9]
	s_mul_i32 s9, s12, s10
	s_sub_i32 s9, s11, s9
	s_xor_b32 s8, s13, s14
	s_add_i32 s11, s12, 1
	s_sub_i32 s13, s9, s10
	s_load_dwordx4 s[20:23], s[0:1], 0x68
	s_load_dword s3, s[0:1], 0x78
	s_cmp_ge_u32 s9, s10
	s_cselect_b32 s11, s11, s12
	s_cselect_b32 s9, s13, s9
	s_add_i32 s12, s11, 1
	s_cmp_ge_u32 s9, s10
	s_cselect_b32 s9, s12, s11
	s_waitcnt lgkmcnt(0)
	s_abs_i32 s27, s23
	v_cvt_f32_u32_e32 v1, s27
	s_xor_b32 s9, s9, s8
	s_sub_i32 s46, s9, s8
	s_sub_i32 s8, 0, s27
	v_rcp_iflag_f32_e32 v1, v1
	s_add_i32 s12, s25, -1
	s_abs_i32 s10, s12
	v_mul_f32_e32 v1, 0x4f7ffffe, v1
	v_cvt_u32_f32_e32 v1, v1
	s_barrier
	v_readfirstlane_b32 s33, v1
	s_mul_i32 s8, s8, s33
	s_mul_hi_u32 s8, s33, s8
	s_add_i32 s33, s33, s8
	s_cmp_lt_i32 s3, 0
	s_mul_hi_u32 s11, s10, s33
	s_cbranch_scc0 .LBB206_6
; %bb.5:
	s_mul_i32 s8, s20, s38
	s_add_i32 s8, s46, s8
	s_mul_i32 s8, s8, s3
	s_sub_i32 s38, 1, s8
	s_mov_b64 s[8:9], 0
	s_branch .LBB206_7
.LBB206_6:
	s_mov_b64 s[8:9], -1
                                        ; implicit-def: $sgpr38
.LBB206_7:
	s_load_dwordx2 s[30:31], s[0:1], 0x28
	s_ashr_i32 s16, s12, 31
	s_andn2_b64 vcc, exec, s[8:9]
	s_ashr_i32 s23, s23, 31
	s_cbranch_vccnz .LBB206_9
; %bb.8:
	s_mul_i32 s8, s5, s20
	s_add_i32 s2, s8, s2
	s_mul_i32 s2, s2, s3
	s_add_i32 s38, s2, 1
.LBB206_9:
	s_load_dword s2, s[0:1], 0x38
	s_load_dwordx2 s[28:29], s[0:1], 0x0
	s_load_dwordx2 s[36:37], s[0:1], 0x18
	s_load_dword s20, s[0:1], 0x88
	s_load_dwordx4 s[12:15], s[0:1], 0x58
	s_mul_i32 s3, s11, s27
	s_waitcnt lgkmcnt(0)
	s_mul_i32 s34, s24, s2
	s_sub_i32 s3, s10, s3
	s_ashr_i32 s35, s34, 31
	s_xor_b32 s2, s16, s23
	s_add_i32 s8, s11, 1
	s_sub_i32 s9, s3, s27
	s_cmp_ge_u32 s3, s27
	s_cselect_b32 s8, s8, s11
	s_cselect_b32 s3, s9, s3
	s_add_i32 s9, s8, 1
	s_cmp_ge_u32 s3, s27
	s_cselect_b32 s3, s9, s8
	s_xor_b32 s3, s3, s2
	s_sub_i32 s45, s3, s2
	s_add_i32 s2, s25, 31
	s_ashr_i32 s3, s2, 31
	s_lshr_b32 s3, s3, 27
	s_add_i32 s2, s2, s3
	s_ashr_i32 s44, s2, 5
	v_lshrrev_b32_e32 v1, 6, v0
	v_cmp_gt_i32_e64 s[2:3], s44, v1
	v_mov_b32_e32 v41, 0xff7fffff
	s_mul_i32 s46, s46, s18
	v_lshrrev_b32_e32 v37, 4, v0
	v_lshlrev_b32_e32 v92, 5, v1
	v_mbcnt_lo_u32_b32 v38, -1, 0
	s_and_saveexec_b64 s[18:19], s[2:3]
	s_cbranch_execz .LBB206_19
; %bb.10:
	s_load_dwordx2 s[0:1], s[0:1], 0x10
	s_sub_i32 s48, s45, s21
	s_ashr_i32 s9, s46, 31
	v_bfe_u32 v39, v0, 1, 5
	v_mov_b32_e32 v31, 0
	s_waitcnt lgkmcnt(0)
	s_add_u32 s8, s0, s46
	s_addc_u32 s9, s1, s9
	s_abs_i32 s49, s22
	v_cvt_f32_u32_e32 v3, s49
	v_lshlrev_b32_e32 v30, 4, v39
	v_lshl_add_u64 v[32:33], s[8:9], 0, v[30:31]
	s_sub_i32 s8, 0, s49
	v_rcp_iflag_f32_e32 v3, v3
	v_cmp_eq_u32_e32 vcc, 0, v2
	v_lshlrev_b32_e32 v40, 8, v2
	v_lshlrev_b32_e32 v30, 1, v2
	v_mul_f32_e32 v3, 0x4f7ffffe, v3
	v_cvt_u32_f32_e32 v3, v3
	v_mbcnt_hi_u32_b32 v47, -1, v38
	s_mov_b32 s50, s17
	v_cmp_neq_f32_e64 s[0:1], s47, 0
	v_mul_lo_u32 v2, s8, v3
	s_lshl_b64 s[8:9], s[34:35], 2
	v_mul_hi_u32 v2, v3, v2
	s_add_u32 s8, s30, s8
	v_add_u32_e32 v42, v3, v2
	v_and_b32_e32 v2, 60, v37
	v_mov_b32_e32 v3, v31
	s_addc_u32 s9, s31, s9
	v_lshl_add_u64 v[34:35], s[8:9], 0, v[2:3]
	v_lshlrev_b32_e32 v2, 2, v39
	v_lshl_or_b32 v2, v1, 7, v2
	v_add_u32_e32 v44, 0x210, v2
	v_subrev_u32_e32 v2, s25, v39
	v_add_u32_e32 v45, 1, v2
	v_and_b32_e32 v2, 64, v47
	v_lshlrev_b32_e32 v43, 5, v1
	s_mov_b64 s[40:41], 0
	v_mov_b32_e32 v46, 0xff7fffff
	v_xor_b32_e32 v48, 1, v47
	v_add_u32_e32 v49, 64, v2
	v_mov_b32_e32 v41, 0xff7fffff
	v_mov_b32_e32 v50, v1
	s_branch .LBB206_13
.LBB206_11:                             ;   in Loop: Header=BB206_13 Depth=1
	s_or_b64 exec, exec, s[42:43]
.LBB206_12:                             ;   in Loop: Header=BB206_13 Depth=1
	s_or_b64 exec, exec, s[10:11]
	v_add_u32_e32 v50, 2, v50
	v_cmp_le_i32_e64 s[8:9], s44, v50
	v_lshl_add_u64 v[34:35], v[34:35], 0, 8
	v_add_u32_e32 v43, 64, v43
	s_or_b64 s[40:41], s[8:9], s[40:41]
	v_add_u32_e32 v44, 0x100, v44
	s_andn2_b64 exec, exec, s[40:41]
	s_cbranch_execz .LBB206_18
.LBB206_13:                             ; =>This Inner Loop Header: Depth=1
	v_mul_hi_u32 v2, v43, s33
	s_waitcnt lgkmcnt(0)
	v_mul_lo_u32 v3, v2, s27
	v_sub_u32_e32 v3, v43, v3
	v_add_u32_e32 v4, 1, v2
	v_cmp_le_u32_e64 s[8:9], s27, v3
	s_nop 1
	v_cndmask_b32_e64 v2, v2, v4, s[8:9]
	v_subrev_u32_e32 v4, s27, v3
	v_cndmask_b32_e64 v3, v3, v4, s[8:9]
	v_add_u32_e32 v4, 1, v2
	v_cmp_le_u32_e64 s[8:9], s27, v3
	s_nop 1
	v_cndmask_b32_e64 v2, v2, v4, s[8:9]
	v_xor_b32_e32 v2, s23, v2
	v_subrev_u32_e32 v2, s23, v2
	v_add_u32_e32 v3, s38, v2
	v_sub_u32_e32 v5, 0, v3
	v_ashrrev_i32_e32 v4, 31, v3
	v_max_i32_e32 v3, v3, v5
	v_mul_hi_u32 v5, v3, v42
	v_mul_lo_u32 v5, v5, s49
	v_sub_u32_e32 v3, v3, v5
	v_subrev_u32_e32 v5, s49, v3
	v_cmp_le_u32_e64 s[8:9], s49, v3
	v_cmp_ge_i32_e64 s[10:11], s48, v2
	s_nop 0
	v_cndmask_b32_e64 v3, v3, v5, s[8:9]
	v_subrev_u32_e32 v5, s49, v3
	v_cmp_le_u32_e64 s[8:9], s49, v3
	s_nop 1
	v_cndmask_b32_e64 v3, v3, v5, s[8:9]
	v_xor_b32_e32 v3, v3, v4
	v_sub_u32_e32 v3, v3, v4
	v_cmp_ne_u32_e64 s[8:9], 0, v3
	s_and_b64 s[8:9], s[8:9], s[10:11]
	s_and_b64 s[42:43], vcc, s[8:9]
	s_and_saveexec_b64 s[10:11], s[42:43]
	s_cbranch_execz .LBB206_15
; %bb.14:                               ;   in Loop: Header=BB206_13 Depth=1
	ds_write_b32 v44, v46
.LBB206_15:                             ;   in Loop: Header=BB206_13 Depth=1
	s_or_b64 exec, exec, s[10:11]
	s_xor_b64 s[8:9], s[8:9], -1
	s_and_saveexec_b64 s[10:11], s[8:9]
	s_cbranch_execz .LBB206_12
; %bb.16:                               ;   in Loop: Header=BB206_13 Depth=1
	global_load_dword v2, v[34:35], off
	s_waitcnt vmcnt(0)
	v_mad_i64_i32 v[2:3], s[8:9], v2, s50, v[32:33]
	v_lshl_add_u64 v[14:15], v[2:3], 0, v[30:31]
	global_load_ushort v2, v[14:15], off
	global_load_ushort v3, v[14:15], off offset:4
	global_load_ushort v59, v[14:15], off offset:8
	;; [unrolled: 1-line block ×12, first 2 shown]
	ds_read_b128 v[16:19], v40
	ds_read_b128 v[20:23], v40 offset:16
	global_load_ushort v75, v[14:15], off offset:1540
	global_load_ushort v76, v[14:15], off offset:1544
	ds_read_b128 v[24:27], v40 offset:32
	ds_read_b128 v[6:9], v40 offset:48
	s_load_dword s16, s[12:13], 0x0
	global_load_ushort v77, v[14:15], off offset:1548
	global_load_ushort v78, v[14:15], off offset:2048
	v_cmp_lt_i32_e64 s[8:9], v48, v49
	s_waitcnt vmcnt(16)
	v_cvt_pk_f32_fp8_e32 v[28:29], v2
	s_waitcnt vmcnt(15)
	v_cvt_pk_f32_fp8_e32 v[52:53], v3
	ds_read_b128 v[10:13], v40 offset:64
	ds_read_b128 v[2:5], v40 offset:80
	global_load_ushort v79, v[14:15], off offset:2052
	s_waitcnt lgkmcnt(0)
	v_pk_mul_f32 v[28:29], s[16:17], v[28:29] op_sel_hi:[0,1]
	v_pk_mul_f32 v[52:53], s[16:17], v[52:53] op_sel_hi:[0,1]
	v_mul_f32_e32 v51, v18, v52
	v_mul_f32_e32 v52, v19, v53
	v_fmac_f32_e32 v51, v16, v28
	v_fmac_f32_e32 v52, v17, v29
	global_load_ushort v54, v[14:15], off offset:2056
	global_load_ushort v55, v[14:15], off offset:2060
	;; [unrolled: 1-line block ×6, first 2 shown]
	s_waitcnt vmcnt(21)
	v_cvt_pk_f32_fp8_e32 v[16:17], v59
	s_waitcnt vmcnt(20)
	v_cvt_pk_f32_fp8_e32 v[18:19], v60
	s_waitcnt vmcnt(19)
	v_cvt_pk_f32_fp8_e32 v[28:29], v61
	s_waitcnt vmcnt(18)
	v_cvt_pk_f32_fp8_e32 v[66:67], v62
	v_pk_mul_f32 v[16:17], s[16:17], v[16:17] op_sel_hi:[0,1]
	v_pk_mul_f32 v[18:19], s[16:17], v[18:19] op_sel_hi:[0,1]
	v_fmac_f32_e32 v51, v20, v16
	v_fmac_f32_e32 v52, v21, v17
	;; [unrolled: 1-line block ×4, first 2 shown]
	v_pk_mul_f32 v[18:19], s[16:17], v[28:29] op_sel_hi:[0,1]
	global_load_ushort v65, v[14:15], off offset:3072
	global_load_ushort v59, v[14:15], off offset:3076
	;; [unrolled: 1-line block ×7, first 2 shown]
	v_pk_mul_f32 v[20:21], s[16:17], v[66:67] op_sel_hi:[0,1]
	v_fmac_f32_e32 v51, v24, v18
	v_fmac_f32_e32 v52, v25, v19
	;; [unrolled: 1-line block ×4, first 2 shown]
	ds_read_b128 v[18:21], v40 offset:96
	ds_read_b128 v[22:25], v40 offset:112
	global_load_ushort v80, v[14:15], off offset:3596
	s_waitcnt vmcnt(25)
	v_cvt_pk_f32_fp8_e32 v[16:17], v68
	s_waitcnt vmcnt(24)
	v_cvt_pk_f32_fp8_e32 v[14:15], v69
	;; [unrolled: 2-line block ×4, first 2 shown]
	v_pk_mul_f32 v[16:17], s[16:17], v[16:17] op_sel_hi:[0,1]
	v_fmac_f32_e32 v51, v6, v16
	v_fmac_f32_e32 v52, v7, v17
	v_cvt_pk_f32_fp8_e32 v[6:7], v70
	v_cvt_pk_f32_fp8_e32 v[16:17], v71
	v_pk_mul_f32 v[14:15], s[16:17], v[14:15] op_sel_hi:[0,1]
	v_fmac_f32_e32 v51, v8, v14
	v_fmac_f32_e32 v52, v9, v15
	v_cvt_pk_f32_fp8_e32 v[8:9], v72
	v_pk_mul_f32 v[6:7], s[16:17], v[6:7] op_sel_hi:[0,1]
	v_fmac_f32_e32 v51, v10, v6
	v_fmac_f32_e32 v52, v11, v7
	;; [unrolled: 4-line block ×3, first 2 shown]
	v_pk_mul_f32 v[6:7], s[16:17], v[8:9] op_sel_hi:[0,1]
	v_pk_mul_f32 v[8:9], s[16:17], v[66:67] op_sel_hi:[0,1]
	v_fmac_f32_e32 v51, v2, v6
	v_fmac_f32_e32 v52, v3, v7
	v_cvt_pk_f32_fp8_e32 v[12:13], v75
	v_fmac_f32_e32 v51, v4, v8
	v_fmac_f32_e32 v52, v5, v9
	v_cvt_pk_f32_fp8_e32 v[66:67], v76
	v_pk_mul_f32 v[10:11], s[16:17], v[10:11] op_sel_hi:[0,1]
	s_waitcnt lgkmcnt(1)
	v_fmac_f32_e32 v51, v18, v10
	v_fmac_f32_e32 v52, v19, v11
	v_cvt_pk_f32_fp8_e32 v[10:11], v77
	ds_read_b128 v[26:29], v40 offset:128
	ds_read_b128 v[14:17], v40 offset:144
	v_pk_mul_f32 v[12:13], s[16:17], v[12:13] op_sel_hi:[0,1]
	v_fmac_f32_e32 v51, v20, v12
	v_fmac_f32_e32 v52, v21, v13
	v_pk_mul_f32 v[12:13], s[16:17], v[66:67] op_sel_hi:[0,1]
	v_pk_mul_f32 v[10:11], s[16:17], v[10:11] op_sel_hi:[0,1]
	s_waitcnt lgkmcnt(2)
	v_fmac_f32_e32 v51, v22, v12
	v_fmac_f32_e32 v52, v23, v13
	v_fmac_f32_e32 v51, v24, v10
	v_fmac_f32_e32 v52, v25, v11
	v_pk_mul_f32 v[22:23], s[16:17], v[68:69] op_sel_hi:[0,1]
	ds_read_b128 v[6:9], v40 offset:160
	ds_read_b128 v[2:5], v40 offset:176
	s_waitcnt lgkmcnt(3)
	v_fmac_f32_e32 v51, v26, v22
	v_fmac_f32_e32 v52, v27, v23
	ds_read_b128 v[10:13], v40 offset:192
	ds_read_b128 v[18:21], v40 offset:208
	v_cndmask_b32_e64 v72, v47, v48, s[8:9]
	v_lshlrev_b32_e32 v72, 2, v72
	s_waitcnt vmcnt(14)
	v_cvt_pk_f32_fp8_e32 v[70:71], v79
	s_waitcnt vmcnt(13)
	v_cvt_pk_f32_fp8_e32 v[66:67], v54
	;; [unrolled: 2-line block ×4, first 2 shown]
	v_pk_mul_f32 v[24:25], s[16:17], v[70:71] op_sel_hi:[0,1]
	s_waitcnt vmcnt(10)
	v_cvt_pk_f32_fp8_e32 v[56:57], v57
	v_fmac_f32_e32 v51, v28, v24
	v_fmac_f32_e32 v52, v29, v25
	s_waitcnt vmcnt(9)
	v_cvt_pk_f32_fp8_e32 v[70:71], v58
	v_pk_mul_f32 v[66:67], s[16:17], v[66:67] op_sel_hi:[0,1]
	s_waitcnt lgkmcnt(4)
	v_fmac_f32_e32 v51, v14, v66
	v_fmac_f32_e32 v52, v15, v67
	s_waitcnt vmcnt(8)
	v_cvt_pk_f32_fp8_e32 v[14:15], v53
	v_pk_mul_f32 v[54:55], s[16:17], v[54:55] op_sel_hi:[0,1]
	s_waitcnt vmcnt(7)
	v_cvt_pk_f32_fp8_e32 v[66:67], v65
	v_fmac_f32_e32 v51, v16, v54
	v_fmac_f32_e32 v52, v17, v55
	v_pk_mul_f32 v[68:69], s[16:17], v[68:69] op_sel_hi:[0,1]
	s_waitcnt vmcnt(6)
	v_cvt_pk_f32_fp8_e32 v[16:17], v59
	s_waitcnt lgkmcnt(3)
	v_fmac_f32_e32 v51, v6, v68
	v_fmac_f32_e32 v52, v7, v69
	v_pk_mul_f32 v[56:57], s[16:17], v[56:57] op_sel_hi:[0,1]
	s_waitcnt vmcnt(5)
	v_cvt_pk_f32_fp8_e32 v[54:55], v60
	v_pk_mul_f32 v[68:69], s[16:17], v[70:71] op_sel_hi:[0,1]
	v_fmac_f32_e32 v51, v8, v56
	v_fmac_f32_e32 v52, v9, v57
	s_waitcnt vmcnt(4)
	v_cvt_pk_f32_fp8_e32 v[58:59], v61
	v_pk_mul_f32 v[14:15], s[16:17], v[14:15] op_sel_hi:[0,1]
	s_waitcnt lgkmcnt(2)
	v_fmac_f32_e32 v51, v2, v68
	v_fmac_f32_e32 v52, v3, v69
	s_waitcnt vmcnt(3)
	v_cvt_pk_f32_fp8_e32 v[60:61], v62
	v_pk_mul_f32 v[66:67], s[16:17], v[66:67] op_sel_hi:[0,1]
	v_fmac_f32_e32 v51, v4, v14
	v_fmac_f32_e32 v52, v5, v15
	ds_read_b128 v[22:25], v40 offset:224
	ds_read_b128 v[26:29], v40 offset:240
	s_waitcnt vmcnt(2)
	v_cvt_pk_f32_fp8_e32 v[62:63], v63
	v_pk_mul_f32 v[16:17], s[16:17], v[16:17] op_sel_hi:[0,1]
	s_waitcnt lgkmcnt(3)
	v_fmac_f32_e32 v51, v10, v66
	v_fmac_f32_e32 v52, v11, v67
	s_waitcnt vmcnt(1)
	v_cvt_pk_f32_fp8_e32 v[64:65], v64
	v_pk_mul_f32 v[54:55], s[16:17], v[54:55] op_sel_hi:[0,1]
	v_fmac_f32_e32 v51, v16, v12
	v_fmac_f32_e32 v52, v17, v13
	s_waitcnt vmcnt(0)
	v_cvt_pk_f32_fp8_e32 v[6:7], v80
	v_pk_mul_f32 v[58:59], s[16:17], v[58:59] op_sel_hi:[0,1]
	s_waitcnt lgkmcnt(2)
	v_fmac_f32_e32 v51, v54, v18
	v_fmac_f32_e32 v52, v55, v19
	v_pk_mul_f32 v[60:61], s[16:17], v[60:61] op_sel_hi:[0,1]
	v_fmac_f32_e32 v51, v58, v20
	v_fmac_f32_e32 v52, v59, v21
	v_pk_mul_f32 v[62:63], s[16:17], v[62:63] op_sel_hi:[0,1]
	s_waitcnt lgkmcnt(1)
	v_fmac_f32_e32 v51, v60, v22
	v_fmac_f32_e32 v52, v61, v23
	v_pk_mul_f32 v[64:65], s[16:17], v[64:65] op_sel_hi:[0,1]
	v_fmac_f32_e32 v51, v62, v24
	v_fmac_f32_e32 v52, v63, v25
	v_pk_mul_f32 v[6:7], s[16:17], v[6:7] op_sel_hi:[0,1]
	s_waitcnt lgkmcnt(0)
	v_fmac_f32_e32 v51, v64, v26
	v_fmac_f32_e32 v52, v65, v27
	;; [unrolled: 1-line block ×4, first 2 shown]
	v_add_f32_e32 v2, v51, v52
	ds_bpermute_b32 v3, v72, v2
	s_and_saveexec_b64 s[42:43], vcc
	s_cbranch_execz .LBB206_11
; %bb.17:                               ;   in Loop: Header=BB206_13 Depth=1
	v_add_u32_e32 v4, v45, v43
	v_cvt_f32_i32_e32 v4, v4
	s_waitcnt lgkmcnt(0)
	v_add_f32_e32 v2, v2, v3
	v_add_u32_e32 v5, v39, v43
	v_cmp_gt_i32_e64 s[8:9], s25, v5
	v_mul_f32_e32 v3, s47, v4
	v_cndmask_b32_e64 v3, 0, v3, s[0:1]
	v_fmac_f32_e32 v3, s39, v2
	v_cndmask_b32_e64 v2, 0, v3, s[8:9]
	ds_write_b32 v44, v2
	v_max_f32_e32 v2, v41, v41
	v_max_f32_e32 v2, v2, v3
	v_cndmask_b32_e64 v41, v41, v2, s[8:9]
	s_branch .LBB206_11
.LBB206_18:
	s_or_b64 exec, exec, s[40:41]
.LBB206_19:
	s_or_b64 exec, exec, s[18:19]
	v_mbcnt_hi_u32_b32 v7, -1, v38
	v_and_b32_e32 v2, 64, v7
	v_add_u32_e32 v8, 64, v2
	v_xor_b32_e32 v2, 32, v7
	v_cmp_lt_i32_e32 vcc, v2, v8
	v_xor_b32_e32 v5, 16, v7
	v_max_f32_e32 v4, v41, v41
	v_cndmask_b32_e32 v2, v7, v2, vcc
	v_lshlrev_b32_e32 v2, 2, v2
	s_waitcnt lgkmcnt(0)
	ds_bpermute_b32 v3, v2, v41
	v_cmp_lt_i32_e32 vcc, v5, v8
	v_xor_b32_e32 v6, 8, v7
	v_xor_b32_e32 v9, 4, v7
	v_and_b32_e32 v93, 63, v0
	s_waitcnt lgkmcnt(0)
	v_max_f32_e32 v3, v3, v3
	v_max_f32_e32 v4, v4, v3
	v_cndmask_b32_e32 v3, v7, v5, vcc
	v_lshlrev_b32_e32 v3, 2, v3
	ds_bpermute_b32 v5, v3, v4
	v_cmp_lt_i32_e32 vcc, v6, v8
	s_waitcnt lgkmcnt(0)
	v_max_f32_e32 v5, v5, v5
	v_max_f32_e32 v5, v4, v5
	v_cndmask_b32_e32 v4, v7, v6, vcc
	v_lshlrev_b32_e32 v4, 2, v4
	ds_bpermute_b32 v6, v4, v5
	v_cmp_lt_i32_e32 vcc, v9, v8
	s_waitcnt lgkmcnt(0)
	v_max_f32_e32 v6, v6, v6
	v_max_f32_e32 v5, v5, v6
	v_cndmask_b32_e32 v6, v7, v9, vcc
	v_lshlrev_b32_e32 v95, 2, v6
	ds_bpermute_b32 v6, v95, v5
	v_xor_b32_e32 v9, 2, v7
	v_cmp_lt_i32_e32 vcc, v9, v8
	s_waitcnt lgkmcnt(0)
	v_max_f32_e32 v6, v6, v6
	v_max_f32_e32 v6, v5, v6
	v_cndmask_b32_e32 v5, v7, v9, vcc
	v_lshlrev_b32_e32 v94, 2, v5
	ds_bpermute_b32 v9, v94, v6
	v_cmp_eq_u32_e32 vcc, 0, v93
	v_lshlrev_b32_e32 v5, 2, v1
	s_and_saveexec_b64 s[0:1], vcc
	s_cbranch_execz .LBB206_21
; %bb.20:
	s_waitcnt lgkmcnt(0)
	v_max_f32_e32 v9, v9, v9
	v_max_f32_e32 v6, v6, v6
	;; [unrolled: 1-line block ×3, first 2 shown]
	ds_write_b32 v5, v6 offset:512
.LBB206_21:
	s_or_b64 exec, exec, s[0:1]
	v_cmp_gt_u32_e64 s[0:1], 2, v93
	s_waitcnt lgkmcnt(0)
	v_mov_b32_e32 v9, 0xff7fffff
	v_lshlrev_b32_e32 v6, 2, v93
	s_barrier
	s_and_saveexec_b64 s[8:9], s[0:1]
	s_cbranch_execz .LBB206_23
; %bb.22:
	ds_read_b32 v9, v6 offset:512
.LBB206_23:
	s_or_b64 exec, exec, s[8:9]
	v_xor_b32_e32 v10, 1, v7
	v_cmp_lt_i32_e64 s[8:9], v10, v8
	s_nop 1
	v_cndmask_b32_e64 v8, v7, v10, s[8:9]
	v_lshlrev_b32_e32 v96, 2, v8
	s_waitcnt lgkmcnt(0)
	ds_bpermute_b32 v8, v96, v9
	v_max_f32_e32 v9, v9, v9
	v_lshlrev_b32_e32 v7, 2, v7
	v_and_b32_e32 v7, 0x100, v7
	s_lshl_b32 s8, s44, 5
	s_waitcnt lgkmcnt(0)
	v_max_f32_e32 v8, v8, v8
	v_max_f32_e32 v8, v9, v8
	ds_bpermute_b32 v9, v7, v8
	s_min_i32 s16, s8, s25
	v_cmp_gt_i32_e64 s[8:9], s16, v0
	v_mov_b32_e32 v8, 0
	s_and_saveexec_b64 s[12:13], s[8:9]
	s_cbranch_execz .LBB206_27
; %bb.24:
	v_mov_b32_e32 v8, 0x210
	v_lshl_add_u32 v10, v0, 2, v8
	s_mov_b64 s[18:19], 0
	v_mov_b32_e32 v8, 0
	v_mov_b32_e32 v11, v0
.LBB206_25:                             ; =>This Inner Loop Header: Depth=1
	ds_read_b32 v12, v10
	v_add_u32_e32 v11, 0x80, v11
	v_cmp_le_i32_e64 s[10:11], s16, v11
	s_or_b64 s[18:19], s[10:11], s[18:19]
	s_waitcnt lgkmcnt(0)
	v_sub_f32_e32 v12, v12, v9
	v_mul_f32_e32 v12, 0x3fb8aa3b, v12
	v_exp_f32_e32 v12, v12
	ds_write_b32 v10, v12
	v_add_f32_e32 v8, v8, v12
	v_add_u32_e32 v10, 0x200, v10
	s_andn2_b64 exec, exec, s[18:19]
	s_cbranch_execnz .LBB206_25
; %bb.26:
	s_or_b64 exec, exec, s[18:19]
.LBB206_27:
	s_or_b64 exec, exec, s[12:13]
	ds_bpermute_b32 v2, v2, v8
	s_waitcnt lgkmcnt(0)
	v_add_f32_e32 v2, v8, v2
	ds_bpermute_b32 v3, v3, v2
	s_waitcnt lgkmcnt(0)
	v_add_f32_e32 v2, v2, v3
	;; [unrolled: 3-line block ×6, first 2 shown]
	s_and_saveexec_b64 s[10:11], vcc
	s_cbranch_execz .LBB206_29
; %bb.28:
	ds_write_b32 v5, v2 offset:520
.LBB206_29:
	s_or_b64 exec, exec, s[10:11]
	s_waitcnt lgkmcnt(0)
	s_barrier
	s_and_saveexec_b64 s[10:11], s[0:1]
	s_cbranch_execz .LBB206_31
; %bb.30:
	ds_read_b32 v2, v6 offset:520
.LBB206_31:
	s_or_b64 exec, exec, s[10:11]
	s_waitcnt lgkmcnt(0)
	ds_bpermute_b32 v3, v96, v2
	s_waitcnt lgkmcnt(0)
	v_add_f32_e32 v2, v2, v3
	ds_bpermute_b32 v2, v7, v2
	s_and_saveexec_b64 s[0:1], s[8:9]
	s_cbranch_execz .LBB206_44
; %bb.32:
	s_waitcnt lgkmcnt(0)
	v_add_f32_e32 v2, 0x358637bd, v2
	v_div_scale_f32 v3, s[8:9], v2, v2, 1.0
	v_rcp_f32_e32 v4, v3
	v_div_scale_f32 v5, vcc, 1.0, v2, 1.0
	s_movk_i32 s8, 0x7f
	v_fma_f32 v6, -v3, v4, 1.0
	v_fmac_f32_e32 v4, v6, v4
	v_mul_f32_e32 v6, v5, v4
	v_fma_f32 v7, -v3, v6, v5
	v_fmac_f32_e32 v6, v7, v4
	v_fma_f32 v3, -v3, v6, v5
	v_div_fmas_f32 v3, v3, v4, v6
	v_xad_u32 v4, v0, -1, s16
	v_div_fixup_f32 v2, v3, v2, 1.0
	v_cmp_lt_u32_e32 vcc, s8, v4
	s_mov_b64 s[10:11], -1
	v_mov_b32_e32 v3, v0
	s_and_saveexec_b64 s[8:9], vcc
	s_cbranch_execz .LBB206_41
; %bb.33:
	v_lshrrev_b32_e32 v4, 7, v4
	v_add_u32_e32 v6, -1, v4
	v_lshrrev_b32_e32 v5, 1, v6
	v_mov_b32_e32 v3, v2
	v_add_u32_e32 v5, 1, v5
	v_cmp_lt_u32_e32 vcc, 13, v6
	v_mov_b32_e32 v8, 0
	s_and_saveexec_b64 s[10:11], vcc
	s_cbranch_execz .LBB206_37
; %bb.34:
	v_mov_b32_e32 v7, 0x210
	v_and_b32_e32 v6, -8, v5
	v_lshl_add_u32 v7, v0, 2, v7
	s_mov_b32 s18, 0
	s_mov_b64 s[12:13], 0
.LBB206_35:                             ; =>This Inner Loop Header: Depth=1
	ds_read2st64_b32 v[8:9], v7 offset1:2
	ds_read2st64_b32 v[10:11], v7 offset0:4 offset1:6
	ds_read2st64_b32 v[12:13], v7 offset0:8 offset1:10
	;; [unrolled: 1-line block ×3, first 2 shown]
	v_add_u32_e32 v6, -8, v6
	s_waitcnt lgkmcnt(3)
	v_pk_mul_f32 v[8:9], v[2:3], v[8:9]
	s_waitcnt lgkmcnt(2)
	v_pk_mul_f32 v[10:11], v[2:3], v[10:11]
	ds_write2st64_b32 v7, v8, v9 offset1:2
	ds_write2st64_b32 v7, v10, v11 offset0:4 offset1:6
	ds_read2st64_b32 v[10:11], v7 offset0:16 offset1:18
	s_waitcnt lgkmcnt(4)
	v_pk_mul_f32 v[8:9], v[2:3], v[12:13]
	ds_write2st64_b32 v7, v8, v9 offset0:8 offset1:10
	s_waitcnt lgkmcnt(4)
	v_pk_mul_f32 v[8:9], v[2:3], v[14:15]
	ds_write2st64_b32 v7, v8, v9 offset0:12 offset1:14
	ds_read2st64_b32 v[8:9], v7 offset0:20 offset1:22
	s_waitcnt lgkmcnt(3)
	v_pk_mul_f32 v[10:11], v[2:3], v[10:11]
	ds_read2st64_b32 v[12:13], v7 offset0:24 offset1:26
	ds_write2st64_b32 v7, v10, v11 offset0:16 offset1:18
	ds_read2st64_b32 v[10:11], v7 offset0:28 offset1:30
	s_waitcnt lgkmcnt(3)
	v_pk_mul_f32 v[8:9], v[2:3], v[8:9]
	ds_write2st64_b32 v7, v8, v9 offset0:20 offset1:22
	s_waitcnt lgkmcnt(3)
	v_pk_mul_f32 v[8:9], v[2:3], v[12:13]
	ds_write2st64_b32 v7, v8, v9 offset0:24 offset1:26
	s_waitcnt lgkmcnt(2)
	v_pk_mul_f32 v[8:9], v[2:3], v[10:11]
	s_add_i32 s18, s18, 16
	v_cmp_eq_u32_e32 vcc, 0, v6
	ds_write2st64_b32 v7, v8, v9 offset0:28 offset1:30
	v_add_u32_e32 v7, 0x2000, v7
	s_or_b64 s[12:13], vcc, s[12:13]
	v_mov_b32_e32 v8, s18
	s_andn2_b64 exec, exec, s[12:13]
	s_cbranch_execnz .LBB206_35
; %bb.36:
	s_or_b64 exec, exec, s[12:13]
.LBB206_37:
	s_or_b64 exec, exec, s[10:11]
	v_and_b32_e32 v5, 7, v5
	v_cmp_ne_u32_e32 vcc, 0, v5
	s_and_saveexec_b64 s[10:11], vcc
	s_cbranch_execz .LBB206_40
; %bb.38:
	v_lshlrev_b32_e32 v6, 9, v8
	s_movk_i32 s12, 0x210
	v_add3_u32 v6, v6, v36, s12
	s_mov_b64 s[12:13], 0
.LBB206_39:                             ; =>This Inner Loop Header: Depth=1
	ds_read2st64_b32 v[8:9], v6 offset1:2
	v_add_u32_e32 v5, -1, v5
	v_cmp_eq_u32_e32 vcc, 0, v5
	s_or_b64 s[12:13], vcc, s[12:13]
	s_waitcnt lgkmcnt(0)
	v_pk_mul_f32 v[8:9], v[2:3], v[8:9]
	ds_write2st64_b32 v6, v8, v9 offset1:2
	v_add_u32_e32 v6, 0x400, v6
	s_andn2_b64 exec, exec, s[12:13]
	s_cbranch_execnz .LBB206_39
.LBB206_40:
	s_or_b64 exec, exec, s[10:11]
	v_add_u32_e32 v4, 1, v4
	v_and_b32_e32 v5, 0x3fffffe, v4
	v_cmp_ne_u32_e32 vcc, v4, v5
	v_lshl_add_u32 v3, v5, 7, v0
	s_orn2_b64 s[10:11], vcc, exec
.LBB206_41:
	s_or_b64 exec, exec, s[8:9]
	s_and_b64 exec, exec, s[10:11]
	s_cbranch_execz .LBB206_44
; %bb.42:
	v_mov_b32_e32 v4, 0x210
	v_lshl_add_u32 v4, v3, 2, v4
	s_mov_b64 s[8:9], 0
.LBB206_43:                             ; =>This Inner Loop Header: Depth=1
	ds_read_b32 v5, v4
	v_add_u32_e32 v3, 0x80, v3
	v_cmp_le_i32_e32 vcc, s16, v3
	s_or_b64 s[8:9], vcc, s[8:9]
	s_waitcnt lgkmcnt(0)
	v_mul_f32_e32 v5, v2, v5
	ds_write_b32 v4, v5
	v_add_u32_e32 v4, 0x200, v4
	s_andn2_b64 exec, exec, s[8:9]
	s_cbranch_execnz .LBB206_43
.LBB206_44:
	s_or_b64 exec, exec, s[0:1]
	v_mov_b32_e32 v20, 0
	v_and_b32_e32 v97, 7, v0
	v_mov_b32_e32 v21, 0
	v_mov_b32_e32 v18, 0
	;; [unrolled: 1-line block ×15, first 2 shown]
	s_waitcnt lgkmcnt(0)
	s_barrier
	s_and_saveexec_b64 s[8:9], s[2:3]
	s_cbranch_execz .LBB206_82
; %bb.45:
	s_sub_i32 s21, s45, s21
	s_ashr_i32 s0, s46, 31
	s_add_u32 s2, s36, s46
	s_addc_u32 s3, s37, s0
	s_abs_i32 s22, s22
	v_cvt_f32_u32_e32 v2, s22
	s_sub_i32 s0, 0, s22
	s_add_i32 s37, s44, -1
	v_mov_b32_e32 v23, 0
	v_rcp_iflag_f32_e32 v2, v2
	v_and_b32_e32 v98, 28, v36
	s_mov_b32 s36, s17
	v_and_b32_e32 v22, 0xfc, v36
	v_mul_f32_e32 v2, 0x4f7ffffe, v2
	v_cvt_u32_f32_e32 v2, v2
	v_or_b32_e32 v24, 0xf00, v36
	v_mov_b32_e32 v25, v23
	s_mov_b64 s[10:11], 0
	v_mul_lo_u32 v3, s0, v2
	s_lshl_b64 s[0:1], s[34:35], 2
	v_mul_hi_u32 v3, v2, v3
	s_add_u32 s0, s30, s0
	v_add_u32_e32 v99, v2, v3
	v_and_b32_e32 v2, 60, v37
	v_mov_b32_e32 v3, v23
	s_addc_u32 s1, s31, s1
	v_lshl_add_u64 v[26:27], s[0:1], 0, v[2:3]
	v_lshlrev_b32_e32 v2, 4, v97
	v_lshl_or_b32 v2, v1, 7, v2
	v_add_u32_e32 v100, 0x210, v2
	v_mov_b32_e32 v7, v23
	v_mov_b32_e32 v6, v23
	;; [unrolled: 1-line block ×16, first 2 shown]
	s_branch .LBB206_48
.LBB206_46:                             ;   in Loop: Header=BB206_48 Depth=1
	s_or_b64 exec, exec, s[0:1]
	v_mul_f32_e32 v91, v3, v91
	v_mul_f32_e32 v87, v3, v87
	v_mul_f32_e32 v83, v3, v83
	v_mul_f32_e32 v79, v3, v79
	v_mul_f32_e32 v75, v3, v75
	v_mul_f32_e32 v71, v3, v71
	v_mul_f32_e32 v67, v3, v67
	v_mul_f32_e32 v63, v3, v63
	v_mul_f32_e32 v59, v3, v59
	v_mul_f32_e32 v55, v3, v55
	v_mul_f32_e32 v51, v3, v51
	v_mul_f32_e32 v45, v3, v45
	v_mul_f32_e32 v39, v3, v39
	v_mul_f32_e32 v35, v3, v35
	v_mul_f32_e32 v31, v3, v31
	v_mul_f32_e32 v3, v3, v47
	v_fmac_f32_e32 v91, v2, v90
	v_fmac_f32_e32 v87, v2, v86
	;; [unrolled: 1-line block ×48, first 2 shown]
	v_add_f32_e32 v6, v6, v91
	v_add_f32_e32 v9, v9, v87
	v_add_f32_e32 v8, v8, v83
	v_add_f32_e32 v11, v11, v79
	v_add_f32_e32 v10, v10, v75
	v_add_f32_e32 v13, v13, v71
	v_add_f32_e32 v12, v12, v67
	v_add_f32_e32 v15, v15, v63
	v_add_f32_e32 v14, v14, v59
	v_add_f32_e32 v17, v17, v55
	v_add_f32_e32 v16, v16, v51
	v_add_f32_e32 v19, v19, v45
	v_add_f32_e32 v18, v18, v39
	v_add_f32_e32 v21, v21, v35
	v_add_f32_e32 v20, v20, v31
	v_add_f32_e32 v7, v7, v3
.LBB206_47:                             ;   in Loop: Header=BB206_48 Depth=1
	s_or_b64 exec, exec, s[12:13]
	v_add_u32_e32 v1, 2, v1
	v_cmp_le_i32_e32 vcc, s44, v1
	v_lshl_add_u64 v[26:27], v[26:27], 0, 8
	v_add_u32_e32 v92, 64, v92
	s_or_b64 s[10:11], vcc, s[10:11]
	v_add_u32_e32 v100, 0x100, v100
	s_andn2_b64 exec, exec, s[10:11]
	s_cbranch_execz .LBB206_81
.LBB206_48:                             ; =>This Inner Loop Header: Depth=1
	v_mul_hi_u32 v2, v92, s33
	v_mul_lo_u32 v3, v2, s27
	v_sub_u32_e32 v3, v92, v3
	v_add_u32_e32 v4, 1, v2
	v_cmp_le_u32_e32 vcc, s27, v3
	s_nop 1
	v_cndmask_b32_e32 v2, v2, v4, vcc
	v_subrev_u32_e32 v4, s27, v3
	v_cndmask_b32_e32 v3, v3, v4, vcc
	v_add_u32_e32 v4, 1, v2
	v_cmp_le_u32_e32 vcc, s27, v3
	s_nop 1
	v_cndmask_b32_e32 v2, v2, v4, vcc
	v_xor_b32_e32 v2, s23, v2
	v_subrev_u32_e32 v2, s23, v2
	v_add_u32_e32 v3, s38, v2
	v_sub_u32_e32 v5, 0, v3
	v_ashrrev_i32_e32 v4, 31, v3
	v_max_i32_e32 v3, v3, v5
	v_mul_hi_u32 v5, v3, v99
	v_mul_lo_u32 v5, v5, s22
	v_sub_u32_e32 v3, v3, v5
	v_subrev_u32_e32 v5, s22, v3
	v_cmp_le_u32_e32 vcc, s22, v3
	v_cmp_lt_i32_e64 s[0:1], s21, v2
	s_nop 0
	v_cndmask_b32_e32 v3, v3, v5, vcc
	v_subrev_u32_e32 v5, s22, v3
	v_cmp_le_u32_e32 vcc, s22, v3
	s_nop 1
	v_cndmask_b32_e32 v3, v3, v5, vcc
	v_xor_b32_e32 v3, v3, v4
	v_sub_u32_e32 v3, v3, v4
	v_cmp_eq_u32_e32 vcc, 0, v3
	s_or_b64 s[0:1], vcc, s[0:1]
	s_and_saveexec_b64 s[12:13], s[0:1]
	s_cbranch_execz .LBB206_47
; %bb.49:                               ;   in Loop: Header=BB206_48 Depth=1
	global_load_dword v4, v[26:27], off
	v_mov_b64_e32 v[2:3], s[2:3]
	s_load_dword s16, s[14:15], 0x0
	v_add_u32_e32 v101, v98, v92
	v_cmp_eq_u32_e32 vcc, s37, v1
	v_add_u32_e32 v103, 1, v101
	v_add_u32_e32 v102, 2, v101
	v_add_u32_e32 v104, 3, v101
	s_waitcnt vmcnt(0)
	v_mad_i64_i32 v[40:41], s[0:1], v4, s36, v[2:3]
	v_lshl_add_u64 v[46:47], v[40:41], 0, v[22:23]
	global_load_dword v28, v[46:47], off
	ds_read_b128 v[2:5], v100
	s_waitcnt vmcnt(0)
	v_and_b32_e32 v29, 0xffff, v28
	v_lshrrev_b32_e32 v30, 16, v28
	v_cvt_pk_f32_fp8_e32 v[28:29], v29
	v_cvt_pk_f32_fp8_e32 v[32:33], v30
	s_waitcnt lgkmcnt(0)
	v_pk_mul_f32 v[30:31], s[16:17], v[28:29] op_sel_hi:[0,1]
	v_pk_mul_f32 v[28:29], s[16:17], v[32:33] op_sel_hi:[0,1]
	s_and_saveexec_b64 s[18:19], vcc
; %bb.50:                               ;   in Loop: Header=BB206_48 Depth=1
	v_cmp_gt_i32_e64 s[0:1], s25, v101
	s_nop 1
	v_cndmask_b32_e64 v30, 0, v30, s[0:1]
	v_cmp_gt_i32_e64 s[0:1], s25, v103
	s_nop 1
	v_cndmask_b32_e64 v31, 0, v31, s[0:1]
	;; [unrolled: 3-line block ×4, first 2 shown]
; %bb.51:                               ;   in Loop: Header=BB206_48 Depth=1
	s_or_b64 exec, exec, s[18:19]
	global_load_dword v32, v[46:47], off offset:256
	s_mov_b32 s17, s16
	s_waitcnt vmcnt(0)
	v_and_b32_e32 v33, 0xffff, v32
	v_lshrrev_b32_e32 v34, 16, v32
	v_cvt_pk_f32_fp8_e32 v[32:33], v33
	v_cvt_pk_f32_fp8_e32 v[36:37], v34
	v_pk_mul_f32 v[34:35], s[16:17], v[32:33]
	v_pk_mul_f32 v[32:33], s[16:17], v[36:37]
	s_and_saveexec_b64 s[18:19], vcc
; %bb.52:                               ;   in Loop: Header=BB206_48 Depth=1
	v_cmp_gt_i32_e64 s[0:1], s25, v101
	s_nop 1
	v_cndmask_b32_e64 v34, 0, v34, s[0:1]
	v_cmp_gt_i32_e64 s[0:1], s25, v103
	s_nop 1
	v_cndmask_b32_e64 v35, 0, v35, s[0:1]
	v_cmp_gt_i32_e64 s[0:1], s25, v102
	s_nop 1
	v_cndmask_b32_e64 v32, 0, v32, s[0:1]
	v_cmp_gt_i32_e64 s[0:1], s25, v104
	s_nop 1
	v_cndmask_b32_e64 v33, 0, v33, s[0:1]
; %bb.53:                               ;   in Loop: Header=BB206_48 Depth=1
	s_or_b64 exec, exec, s[18:19]
	global_load_dword v36, v[46:47], off offset:512
	s_waitcnt vmcnt(0)
	v_and_b32_e32 v37, 0xffff, v36
	v_lshrrev_b32_e32 v38, 16, v36
	v_cvt_pk_f32_fp8_e32 v[36:37], v37
	v_cvt_pk_f32_fp8_e32 v[42:43], v38
	v_pk_mul_f32 v[38:39], s[16:17], v[36:37]
	v_pk_mul_f32 v[36:37], s[16:17], v[42:43]
	s_and_saveexec_b64 s[18:19], vcc
; %bb.54:                               ;   in Loop: Header=BB206_48 Depth=1
	v_cmp_gt_i32_e64 s[0:1], s25, v101
	s_nop 1
	v_cndmask_b32_e64 v38, 0, v38, s[0:1]
	v_cmp_gt_i32_e64 s[0:1], s25, v103
	s_nop 1
	v_cndmask_b32_e64 v39, 0, v39, s[0:1]
	v_cmp_gt_i32_e64 s[0:1], s25, v102
	s_nop 1
	v_cndmask_b32_e64 v36, 0, v36, s[0:1]
	v_cmp_gt_i32_e64 s[0:1], s25, v104
	s_nop 1
	v_cndmask_b32_e64 v37, 0, v37, s[0:1]
; %bb.55:                               ;   in Loop: Header=BB206_48 Depth=1
	s_or_b64 exec, exec, s[18:19]
	global_load_dword v42, v[46:47], off offset:768
	;; [unrolled: 24-line block ×13, first 2 shown]
	s_waitcnt vmcnt(0)
	v_and_b32_e32 v47, 0xffff, v46
	v_lshrrev_b32_e32 v88, 16, v46
	v_cvt_pk_f32_fp8_e32 v[46:47], v47
	v_cvt_pk_f32_fp8_e32 v[88:89], v88
	v_pk_mul_f32 v[90:91], s[16:17], v[46:47]
	v_pk_mul_f32 v[88:89], s[16:17], v[88:89]
	s_and_saveexec_b64 s[18:19], vcc
; %bb.78:                               ;   in Loop: Header=BB206_48 Depth=1
	v_cmp_gt_i32_e64 s[0:1], s25, v101
	s_nop 1
	v_cndmask_b32_e64 v90, 0, v90, s[0:1]
	v_cmp_gt_i32_e64 s[0:1], s25, v103
	s_nop 1
	v_cndmask_b32_e64 v91, 0, v91, s[0:1]
	;; [unrolled: 3-line block ×4, first 2 shown]
; %bb.79:                               ;   in Loop: Header=BB206_48 Depth=1
	s_or_b64 exec, exec, s[18:19]
	v_lshl_add_u64 v[40:41], v[40:41], 0, v[24:25]
	global_load_dword v40, v[40:41], off
	s_waitcnt vmcnt(0)
	v_and_b32_e32 v41, 0xffff, v40
	v_lshrrev_b32_e32 v46, 16, v40
	v_cvt_pk_f32_fp8_e32 v[40:41], v41
	v_cvt_pk_f32_fp8_e32 v[106:107], v46
	v_pk_mul_f32 v[46:47], s[16:17], v[40:41]
	v_pk_mul_f32 v[40:41], s[16:17], v[106:107]
	s_and_saveexec_b64 s[0:1], vcc
	s_cbranch_execz .LBB206_46
; %bb.80:                               ;   in Loop: Header=BB206_48 Depth=1
	v_cmp_gt_i32_e32 vcc, s25, v101
	s_nop 1
	v_cndmask_b32_e32 v46, 0, v46, vcc
	v_cmp_gt_i32_e32 vcc, s25, v103
	s_nop 1
	v_cndmask_b32_e32 v47, 0, v47, vcc
	v_cmp_gt_i32_e32 vcc, s25, v102
	s_nop 1
	v_cndmask_b32_e32 v40, 0, v40, vcc
	v_cmp_gt_i32_e32 vcc, s25, v104
	s_nop 1
	v_cndmask_b32_e32 v41, 0, v41, vcc
	s_branch .LBB206_46
.LBB206_81:
	s_or_b64 exec, exec, s[10:11]
.LBB206_82:
	s_or_b64 exec, exec, s[8:9]
	ds_bpermute_b32 v4, v95, v18
	ds_bpermute_b32 v5, v95, v19
	;; [unrolled: 1-line block ×6, first 2 shown]
	s_waitcnt lgkmcnt(4)
	v_pk_add_f32 v[4:5], v[18:19], v[4:5]
	ds_bpermute_b32 v18, v94, v4
	ds_bpermute_b32 v19, v94, v5
	s_waitcnt lgkmcnt(4)
	v_pk_add_f32 v[2:3], v[20:21], v[2:3]
	s_waitcnt lgkmcnt(2)
	v_pk_add_f32 v[16:17], v[16:17], v[22:23]
	ds_bpermute_b32 v20, v94, v2
	ds_bpermute_b32 v21, v94, v3
	s_waitcnt lgkmcnt(2)
	v_pk_add_f32 v[4:5], v[4:5], v[18:19]
	ds_bpermute_b32 v18, v94, v16
	ds_bpermute_b32 v19, v94, v17
	;; [unrolled: 1-line block ×3, first 2 shown]
	s_waitcnt lgkmcnt(3)
	v_pk_add_f32 v[2:3], v[2:3], v[20:21]
	ds_bpermute_b32 v20, v96, v2
	ds_bpermute_b32 v21, v96, v3
	s_waitcnt lgkmcnt(3)
	v_pk_add_f32 v[16:17], v[16:17], v[18:19]
	ds_bpermute_b32 v25, v95, v15
	ds_bpermute_b32 v18, v96, v16
	;; [unrolled: 1-line block ×5, first 2 shown]
	s_waitcnt lgkmcnt(4)
	v_pk_add_f32 v[24:25], v[14:15], v[24:25]
	v_pk_add_f32 v[14:15], v[2:3], v[20:21]
	s_waitcnt lgkmcnt(2)
	v_pk_add_f32 v[2:3], v[16:17], v[18:19]
	ds_bpermute_b32 v18, v95, v12
	ds_bpermute_b32 v19, v95, v13
	;; [unrolled: 1-line block ×4, first 2 shown]
	s_waitcnt lgkmcnt(4)
	v_pk_add_f32 v[4:5], v[4:5], v[22:23]
	ds_bpermute_b32 v22, v95, v10
	ds_bpermute_b32 v23, v95, v11
	s_waitcnt lgkmcnt(4)
	v_pk_add_f32 v[12:13], v[12:13], v[18:19]
	ds_bpermute_b32 v18, v94, v12
	ds_bpermute_b32 v19, v94, v13
	s_waitcnt lgkmcnt(4)
	v_pk_add_f32 v[16:17], v[24:25], v[26:27]
	s_waitcnt lgkmcnt(2)
	v_pk_add_f32 v[10:11], v[10:11], v[22:23]
	ds_bpermute_b32 v24, v95, v8
	ds_bpermute_b32 v25, v95, v9
	;; [unrolled: 1-line block ×4, first 2 shown]
	s_waitcnt lgkmcnt(4)
	v_pk_add_f32 v[18:19], v[12:13], v[18:19]
	ds_bpermute_b32 v12, v95, v6
	ds_bpermute_b32 v13, v95, v7
	s_waitcnt lgkmcnt(4)
	v_pk_add_f32 v[8:9], v[8:9], v[24:25]
	s_waitcnt lgkmcnt(2)
	v_pk_add_f32 v[22:23], v[10:11], v[22:23]
	ds_bpermute_b32 v10, v94, v8
	ds_bpermute_b32 v11, v94, v9
	s_waitcnt lgkmcnt(2)
	v_pk_add_f32 v[32:33], v[6:7], v[12:13]
	ds_bpermute_b32 v20, v96, v16
	ds_bpermute_b32 v21, v96, v17
	;; [unrolled: 1-line block ×6, first 2 shown]
	s_waitcnt lgkmcnt(6)
	v_pk_add_f32 v[28:29], v[8:9], v[10:11]
	ds_bpermute_b32 v24, v96, v22
	ds_bpermute_b32 v25, v96, v23
	;; [unrolled: 1-line block ×4, first 2 shown]
	s_waitcnt lgkmcnt(8)
	v_pk_add_f32 v[12:13], v[16:17], v[20:21]
	s_waitcnt lgkmcnt(6)
	v_pk_add_f32 v[16:17], v[32:33], v[34:35]
	;; [unrolled: 2-line block ×3, first 2 shown]
	ds_bpermute_b32 v18, v96, v16
	ds_bpermute_b32 v19, v96, v17
	v_and_b32_e32 v1, 0x3c7, v0
	s_waitcnt lgkmcnt(4)
	v_pk_add_f32 v[8:9], v[22:23], v[24:25]
	s_waitcnt lgkmcnt(2)
	v_pk_add_f32 v[6:7], v[28:29], v[30:31]
	v_cmp_ne_u32_e32 vcc, 64, v1
	s_waitcnt lgkmcnt(0)
	s_barrier
	s_and_saveexec_b64 s[0:1], vcc
	s_xor_b64 s[0:1], exec, s[0:1]
; %bb.83:
                                        ; implicit-def: $vgpr93
; %bb.84:
	s_or_saveexec_b64 s[0:1], s[0:1]
	v_pk_add_f32 v[16:17], v[16:17], v[18:19]
	s_xor_b64 exec, exec, s[0:1]
	s_cbranch_execz .LBB206_86
; %bb.85:
	v_lshrrev_b32_e32 v18, 1, v93
	v_add_u32_e32 v18, 0x210, v18
	ds_write2_b32 v18, v14, v15 offset1:8
	ds_write2_b32 v18, v4, v5 offset0:16 offset1:24
	ds_write2_b32 v18, v2, v3 offset0:32 offset1:40
	;; [unrolled: 1-line block ×7, first 2 shown]
.LBB206_86:
	s_or_b64 exec, exec, s[0:1]
	s_waitcnt lgkmcnt(0)
	s_barrier
	s_and_saveexec_b64 s[0:1], s[6:7]
	s_cbranch_execz .LBB206_105
; %bb.87:
	v_cmp_eq_u32_e32 vcc, 0, v97
	v_lshrrev_b32_e32 v18, 3, v0
	s_and_saveexec_b64 s[2:3], vcc
	s_cbranch_execnz .LBB206_108
; %bb.88:
	s_or_b64 exec, exec, s[2:3]
	s_and_saveexec_b64 s[2:3], vcc
	s_cbranch_execnz .LBB206_109
.LBB206_89:
	s_or_b64 exec, exec, s[2:3]
	s_and_saveexec_b64 s[2:3], vcc
	s_cbranch_execnz .LBB206_110
.LBB206_90:
	s_or_b64 exec, exec, s[2:3]
	s_and_saveexec_b64 s[2:3], vcc
	s_cbranch_execnz .LBB206_111
.LBB206_91:
	s_or_b64 exec, exec, s[2:3]
	s_and_saveexec_b64 s[2:3], vcc
	s_cbranch_execnz .LBB206_112
.LBB206_92:
	s_or_b64 exec, exec, s[2:3]
	s_and_saveexec_b64 s[2:3], vcc
	s_cbranch_execnz .LBB206_113
.LBB206_93:
	s_or_b64 exec, exec, s[2:3]
	s_and_saveexec_b64 s[2:3], vcc
	s_cbranch_execnz .LBB206_114
.LBB206_94:
	s_or_b64 exec, exec, s[2:3]
	s_and_saveexec_b64 s[2:3], vcc
	s_cbranch_execnz .LBB206_115
.LBB206_95:
	s_or_b64 exec, exec, s[2:3]
	s_and_saveexec_b64 s[2:3], vcc
	s_cbranch_execnz .LBB206_116
.LBB206_96:
	s_or_b64 exec, exec, s[2:3]
	s_and_saveexec_b64 s[2:3], vcc
	s_cbranch_execnz .LBB206_117
.LBB206_97:
	s_or_b64 exec, exec, s[2:3]
	s_and_saveexec_b64 s[2:3], vcc
	s_cbranch_execnz .LBB206_118
.LBB206_98:
	s_or_b64 exec, exec, s[2:3]
	s_and_saveexec_b64 s[2:3], vcc
	s_cbranch_execnz .LBB206_119
.LBB206_99:
	s_or_b64 exec, exec, s[2:3]
	s_and_saveexec_b64 s[2:3], vcc
	s_cbranch_execnz .LBB206_120
.LBB206_100:
	s_or_b64 exec, exec, s[2:3]
	s_and_saveexec_b64 s[2:3], vcc
	s_cbranch_execnz .LBB206_121
.LBB206_101:
	s_or_b64 exec, exec, s[2:3]
	s_and_saveexec_b64 s[2:3], vcc
	s_cbranch_execnz .LBB206_122
.LBB206_102:
	s_or_b64 exec, exec, s[2:3]
	s_and_saveexec_b64 s[2:3], vcc
	s_cbranch_execz .LBB206_104
.LBB206_103:
	v_mov_b32_e32 v19, 0x210
	v_lshl_add_u32 v18, v18, 2, v19
	ds_read_b32 v18, v18 offset:480
	s_waitcnt lgkmcnt(0)
	v_add_f32_e32 v17, v17, v18
.LBB206_104:
	s_or_b64 exec, exec, s[2:3]
.LBB206_105:
	s_or_b64 exec, exec, s[0:1]
	v_cmp_eq_u32_e32 vcc, 0, v1
	s_barrier
	s_and_saveexec_b64 s[0:1], vcc
	s_cbranch_execz .LBB206_107
; %bb.106:
	s_mul_i32 s0, s24, s20
	s_mul_i32 s0, s0, s5
	s_lshl_b32 s0, s0, 7
	s_ashr_i32 s1, s0, 31
	s_lshl_b64 s[0:1], s[0:1], 2
	s_add_u32 s2, s28, s0
	s_mul_i32 s0, s20, s26
	s_addc_u32 s3, s29, s1
	s_ashr_i32 s1, s0, 31
	s_lshl_b64 s[0:1], s[0:1], 2
	s_add_u32 s2, s2, s0
	s_addc_u32 s3, s3, s1
	s_lshl_b32 s0, s4, 7
	s_ashr_i32 s1, s0, 31
	s_lshl_b64 s[0:1], s[0:1], 2
	s_add_u32 s0, s2, s0
	s_addc_u32 s1, s3, s1
	v_lshrrev_b32_e32 v0, 1, v0
	global_store_dword v0, v14, s[0:1]
	global_store_dword v0, v15, s[0:1] offset:32
	global_store_dword v0, v4, s[0:1] offset:64
	;; [unrolled: 1-line block ×15, first 2 shown]
.LBB206_107:
	s_endpgm
.LBB206_108:
	v_mov_b32_e32 v19, 0x210
	v_lshl_add_u32 v19, v18, 2, v19
	ds_read_b32 v19, v19
	s_waitcnt lgkmcnt(0)
	v_add_f32_e32 v14, v14, v19
	s_or_b64 exec, exec, s[2:3]
	s_and_saveexec_b64 s[2:3], vcc
	s_cbranch_execz .LBB206_89
.LBB206_109:
	v_mov_b32_e32 v19, 0x210
	v_lshl_add_u32 v19, v18, 2, v19
	ds_read_b32 v19, v19 offset:32
	s_waitcnt lgkmcnt(0)
	v_add_f32_e32 v15, v15, v19
	s_or_b64 exec, exec, s[2:3]
	s_and_saveexec_b64 s[2:3], vcc
	s_cbranch_execz .LBB206_90
.LBB206_110:
	v_mov_b32_e32 v19, 0x210
	v_lshl_add_u32 v19, v18, 2, v19
	ds_read_b32 v19, v19 offset:64
	s_waitcnt lgkmcnt(0)
	v_add_f32_e32 v4, v4, v19
	s_or_b64 exec, exec, s[2:3]
	s_and_saveexec_b64 s[2:3], vcc
	s_cbranch_execz .LBB206_91
.LBB206_111:
	v_mov_b32_e32 v19, 0x210
	v_lshl_add_u32 v19, v18, 2, v19
	ds_read_b32 v19, v19 offset:96
	s_waitcnt lgkmcnt(0)
	v_add_f32_e32 v5, v5, v19
	s_or_b64 exec, exec, s[2:3]
	s_and_saveexec_b64 s[2:3], vcc
	s_cbranch_execz .LBB206_92
.LBB206_112:
	v_mov_b32_e32 v19, 0x210
	v_lshl_add_u32 v19, v18, 2, v19
	ds_read_b32 v19, v19 offset:128
	s_waitcnt lgkmcnt(0)
	v_add_f32_e32 v2, v2, v19
	s_or_b64 exec, exec, s[2:3]
	s_and_saveexec_b64 s[2:3], vcc
	s_cbranch_execz .LBB206_93
.LBB206_113:
	v_mov_b32_e32 v19, 0x210
	v_lshl_add_u32 v19, v18, 2, v19
	ds_read_b32 v19, v19 offset:160
	s_waitcnt lgkmcnt(0)
	v_add_f32_e32 v3, v3, v19
	s_or_b64 exec, exec, s[2:3]
	s_and_saveexec_b64 s[2:3], vcc
	s_cbranch_execz .LBB206_94
.LBB206_114:
	v_mov_b32_e32 v19, 0x210
	v_lshl_add_u32 v19, v18, 2, v19
	ds_read_b32 v19, v19 offset:192
	s_waitcnt lgkmcnt(0)
	v_add_f32_e32 v12, v12, v19
	s_or_b64 exec, exec, s[2:3]
	s_and_saveexec_b64 s[2:3], vcc
	s_cbranch_execz .LBB206_95
.LBB206_115:
	v_mov_b32_e32 v19, 0x210
	v_lshl_add_u32 v19, v18, 2, v19
	ds_read_b32 v19, v19 offset:224
	s_waitcnt lgkmcnt(0)
	v_add_f32_e32 v13, v13, v19
	s_or_b64 exec, exec, s[2:3]
	s_and_saveexec_b64 s[2:3], vcc
	s_cbranch_execz .LBB206_96
.LBB206_116:
	v_mov_b32_e32 v19, 0x210
	v_lshl_add_u32 v19, v18, 2, v19
	ds_read_b32 v19, v19 offset:256
	s_waitcnt lgkmcnt(0)
	v_add_f32_e32 v10, v10, v19
	s_or_b64 exec, exec, s[2:3]
	s_and_saveexec_b64 s[2:3], vcc
	s_cbranch_execz .LBB206_97
.LBB206_117:
	v_mov_b32_e32 v19, 0x210
	v_lshl_add_u32 v19, v18, 2, v19
	ds_read_b32 v19, v19 offset:288
	s_waitcnt lgkmcnt(0)
	v_add_f32_e32 v11, v11, v19
	s_or_b64 exec, exec, s[2:3]
	s_and_saveexec_b64 s[2:3], vcc
	s_cbranch_execz .LBB206_98
.LBB206_118:
	v_mov_b32_e32 v19, 0x210
	v_lshl_add_u32 v19, v18, 2, v19
	ds_read_b32 v19, v19 offset:320
	s_waitcnt lgkmcnt(0)
	v_add_f32_e32 v8, v8, v19
	s_or_b64 exec, exec, s[2:3]
	s_and_saveexec_b64 s[2:3], vcc
	s_cbranch_execz .LBB206_99
.LBB206_119:
	v_mov_b32_e32 v19, 0x210
	v_lshl_add_u32 v19, v18, 2, v19
	ds_read_b32 v19, v19 offset:352
	s_waitcnt lgkmcnt(0)
	v_add_f32_e32 v9, v9, v19
	s_or_b64 exec, exec, s[2:3]
	s_and_saveexec_b64 s[2:3], vcc
	s_cbranch_execz .LBB206_100
.LBB206_120:
	v_mov_b32_e32 v19, 0x210
	v_lshl_add_u32 v19, v18, 2, v19
	ds_read_b32 v19, v19 offset:384
	s_waitcnt lgkmcnt(0)
	v_add_f32_e32 v6, v6, v19
	s_or_b64 exec, exec, s[2:3]
	s_and_saveexec_b64 s[2:3], vcc
	s_cbranch_execz .LBB206_101
.LBB206_121:
	v_mov_b32_e32 v19, 0x210
	v_lshl_add_u32 v19, v18, 2, v19
	ds_read_b32 v19, v19 offset:416
	s_waitcnt lgkmcnt(0)
	v_add_f32_e32 v7, v7, v19
	s_or_b64 exec, exec, s[2:3]
	s_and_saveexec_b64 s[2:3], vcc
	s_cbranch_execz .LBB206_102
.LBB206_122:
	v_mov_b32_e32 v19, 0x210
	v_lshl_add_u32 v19, v18, 2, v19
	ds_read_b32 v19, v19 offset:448
	s_waitcnt lgkmcnt(0)
	v_add_f32_e32 v16, v16, v19
	s_or_b64 exec, exec, s[2:3]
	s_and_saveexec_b64 s[2:3], vcc
	s_cbranch_execnz .LBB206_103
	s_branch .LBB206_104
	.section	.rodata,"a",@progbits
	.p2align	6, 0x0
	.amdhsa_kernel _ZN4vllm25paged_attention_v1_kernelIfhLi128ELi32ELi128ELNS_18Fp8KVCacheDataTypeE1ELb1EEEvPT_PKS2_PKT0_S8_ifPKiSA_iPKfiiiSC_SC_iiiii
		.amdhsa_group_segment_fixed_size 528
		.amdhsa_private_segment_fixed_size 0
		.amdhsa_kernarg_size 384
		.amdhsa_user_sgpr_count 2
		.amdhsa_user_sgpr_dispatch_ptr 0
		.amdhsa_user_sgpr_queue_ptr 0
		.amdhsa_user_sgpr_kernarg_segment_ptr 1
		.amdhsa_user_sgpr_dispatch_id 0
		.amdhsa_user_sgpr_kernarg_preload_length 0
		.amdhsa_user_sgpr_kernarg_preload_offset 0
		.amdhsa_user_sgpr_private_segment_size 0
		.amdhsa_uses_dynamic_stack 0
		.amdhsa_enable_private_segment 0
		.amdhsa_system_sgpr_workgroup_id_x 1
		.amdhsa_system_sgpr_workgroup_id_y 1
		.amdhsa_system_sgpr_workgroup_id_z 1
		.amdhsa_system_sgpr_workgroup_info 0
		.amdhsa_system_vgpr_workitem_id 0
		.amdhsa_next_free_vgpr 108
		.amdhsa_next_free_sgpr 51
		.amdhsa_accum_offset 108
		.amdhsa_reserve_vcc 1
		.amdhsa_float_round_mode_32 0
		.amdhsa_float_round_mode_16_64 0
		.amdhsa_float_denorm_mode_32 3
		.amdhsa_float_denorm_mode_16_64 3
		.amdhsa_dx10_clamp 1
		.amdhsa_ieee_mode 1
		.amdhsa_fp16_overflow 0
		.amdhsa_tg_split 0
		.amdhsa_exception_fp_ieee_invalid_op 0
		.amdhsa_exception_fp_denorm_src 0
		.amdhsa_exception_fp_ieee_div_zero 0
		.amdhsa_exception_fp_ieee_overflow 0
		.amdhsa_exception_fp_ieee_underflow 0
		.amdhsa_exception_fp_ieee_inexact 0
		.amdhsa_exception_int_div_zero 0
	.end_amdhsa_kernel
	.section	.text._ZN4vllm25paged_attention_v1_kernelIfhLi128ELi32ELi128ELNS_18Fp8KVCacheDataTypeE1ELb1EEEvPT_PKS2_PKT0_S8_ifPKiSA_iPKfiiiSC_SC_iiiii,"axG",@progbits,_ZN4vllm25paged_attention_v1_kernelIfhLi128ELi32ELi128ELNS_18Fp8KVCacheDataTypeE1ELb1EEEvPT_PKS2_PKT0_S8_ifPKiSA_iPKfiiiSC_SC_iiiii,comdat
.Lfunc_end206:
	.size	_ZN4vllm25paged_attention_v1_kernelIfhLi128ELi32ELi128ELNS_18Fp8KVCacheDataTypeE1ELb1EEEvPT_PKS2_PKT0_S8_ifPKiSA_iPKfiiiSC_SC_iiiii, .Lfunc_end206-_ZN4vllm25paged_attention_v1_kernelIfhLi128ELi32ELi128ELNS_18Fp8KVCacheDataTypeE1ELb1EEEvPT_PKS2_PKT0_S8_ifPKiSA_iPKfiiiSC_SC_iiiii
                                        ; -- End function
	.section	.AMDGPU.csdata,"",@progbits
; Kernel info:
; codeLenInByte = 8996
; NumSgprs: 57
; NumVgprs: 108
; NumAgprs: 0
; TotalNumVgprs: 108
; ScratchSize: 0
; MemoryBound: 0
; FloatMode: 240
; IeeeMode: 1
; LDSByteSize: 528 bytes/workgroup (compile time only)
; SGPRBlocks: 7
; VGPRBlocks: 13
; NumSGPRsForWavesPerEU: 57
; NumVGPRsForWavesPerEU: 108
; AccumOffset: 108
; Occupancy: 4
; WaveLimiterHint : 1
; COMPUTE_PGM_RSRC2:SCRATCH_EN: 0
; COMPUTE_PGM_RSRC2:USER_SGPR: 2
; COMPUTE_PGM_RSRC2:TRAP_HANDLER: 0
; COMPUTE_PGM_RSRC2:TGID_X_EN: 1
; COMPUTE_PGM_RSRC2:TGID_Y_EN: 1
; COMPUTE_PGM_RSRC2:TGID_Z_EN: 1
; COMPUTE_PGM_RSRC2:TIDIG_COMP_CNT: 0
; COMPUTE_PGM_RSRC3_GFX90A:ACCUM_OFFSET: 26
; COMPUTE_PGM_RSRC3_GFX90A:TG_SPLIT: 0
	.section	.text._ZN4vllm25paged_attention_v1_kernelIfhLi192ELi32ELi128ELNS_18Fp8KVCacheDataTypeE1ELb1EEEvPT_PKS2_PKT0_S8_ifPKiSA_iPKfiiiSC_SC_iiiii,"axG",@progbits,_ZN4vllm25paged_attention_v1_kernelIfhLi192ELi32ELi128ELNS_18Fp8KVCacheDataTypeE1ELb1EEEvPT_PKS2_PKT0_S8_ifPKiSA_iPKfiiiSC_SC_iiiii,comdat
	.protected	_ZN4vllm25paged_attention_v1_kernelIfhLi192ELi32ELi128ELNS_18Fp8KVCacheDataTypeE1ELb1EEEvPT_PKS2_PKT0_S8_ifPKiSA_iPKfiiiSC_SC_iiiii ; -- Begin function _ZN4vllm25paged_attention_v1_kernelIfhLi192ELi32ELi128ELNS_18Fp8KVCacheDataTypeE1ELb1EEEvPT_PKS2_PKT0_S8_ifPKiSA_iPKfiiiSC_SC_iiiii
	.globl	_ZN4vllm25paged_attention_v1_kernelIfhLi192ELi32ELi128ELNS_18Fp8KVCacheDataTypeE1ELb1EEEvPT_PKS2_PKT0_S8_ifPKiSA_iPKfiiiSC_SC_iiiii
	.p2align	8
	.type	_ZN4vllm25paged_attention_v1_kernelIfhLi192ELi32ELi128ELNS_18Fp8KVCacheDataTypeE1ELb1EEEvPT_PKS2_PKT0_S8_ifPKiSA_iPKfiiiSC_SC_iiiii,@function
_ZN4vllm25paged_attention_v1_kernelIfhLi192ELi32ELi128ELNS_18Fp8KVCacheDataTypeE1ELb1EEEvPT_PKS2_PKT0_S8_ifPKiSA_iPKfiiiSC_SC_iiiii: ; @_ZN4vllm25paged_attention_v1_kernelIfhLi192ELi32ELi128ELNS_18Fp8KVCacheDataTypeE1ELb1EEEvPT_PKS2_PKT0_S8_ifPKiSA_iPKfiiiSC_SC_iiiii
; %bb.0:
	s_load_dword s5, s[0:1], 0x80
	s_load_dwordx2 s[6:7], s[0:1], 0x30
	s_load_dwordx2 s[36:37], s[0:1], 0x20
	s_mov_b32 s10, s3
	s_ashr_i32 s11, s3, 31
	s_lshl_b64 s[8:9], s[10:11], 2
	s_waitcnt lgkmcnt(0)
	s_add_u32 s6, s6, s8
	s_addc_u32 s7, s7, s9
	s_abs_i32 s3, s36
	v_mov_b32_e32 v14, v0
	v_cvt_f32_u32_e32 v0, s3
	s_sub_i32 s11, 0, s3
	s_abs_i32 s9, s5
	s_xor_b32 s8, s5, s36
	v_rcp_iflag_f32_e32 v0, v0
	s_ashr_i32 s8, s8, 31
	s_mov_b32 s53, 0
	v_mul_f32_e32 v0, 0x4f7ffffe, v0
	v_cvt_u32_f32_e32 v0, v0
	s_nop 0
	v_readfirstlane_b32 s12, v0
	s_mul_i32 s11, s11, s12
	s_mul_hi_u32 s11, s12, s11
	s_add_i32 s12, s12, s11
	s_mul_hi_u32 s11, s9, s12
	s_mul_i32 s12, s11, s3
	s_sub_i32 s9, s9, s12
	s_add_i32 s12, s11, 1
	s_sub_i32 s13, s9, s3
	s_cmp_ge_u32 s9, s3
	s_cselect_b32 s11, s12, s11
	s_cselect_b32 s9, s13, s9
	s_add_i32 s12, s11, 1
	s_cmp_ge_u32 s9, s3
	s_cselect_b32 s3, s12, s11
	s_xor_b32 s3, s3, s8
	s_sub_i32 s14, s3, s8
	s_abs_i32 s11, s14
	v_cvt_f32_u32_e32 v0, s11
	s_load_dwordx2 s[8:9], s[0:1], 0x40
	s_sub_i32 s3, 0, s11
	s_abs_i32 s12, s2
	v_rcp_iflag_f32_e32 v0, v0
	s_nop 0
	v_mul_f32_e32 v0, 0x4f7ffffe, v0
	v_cvt_u32_f32_e32 v0, v0
	s_nop 0
	v_readfirstlane_b32 s13, v0
	s_mul_i32 s3, s3, s13
	s_mul_hi_u32 s3, s13, s3
	s_add_i32 s13, s13, s3
	s_waitcnt lgkmcnt(0)
	s_cmp_eq_u64 s[8:9], 0
	s_mul_hi_u32 s13, s12, s13
	s_cbranch_scc1 .LBB207_2
; %bb.1:
	s_ashr_i32 s3, s2, 31
	s_lshl_b64 s[16:17], s[2:3], 2
	s_add_u32 s8, s8, s16
	s_addc_u32 s9, s9, s17
	s_load_dword s53, s[8:9], 0x0
.LBB207_2:
	s_load_dword s33, s[6:7], 0x0
	s_load_dwordx4 s[16:19], s[0:1], 0x48
	s_movk_i32 s3, 0x60
	s_ashr_i32 s8, s2, 31
	s_ashr_i32 s9, s14, 31
	v_and_b32_e32 v0, 1, v14
	s_mul_i32 s24, s2, 0xc0
	v_cmp_gt_u32_e32 vcc, s3, v14
	v_lshlrev_b32_e32 v34, 2, v14
	s_and_saveexec_b64 s[6:7], vcc
	s_cbranch_execz .LBB207_4
; %bb.3:
	s_load_dwordx2 s[14:15], s[0:1], 0x8
	s_waitcnt lgkmcnt(0)
	s_mul_i32 s20, s10, s16
	s_ashr_i32 s21, s20, 31
	s_lshl_b64 s[20:21], s[20:21], 2
	v_lshlrev_b32_e32 v1, 3, v14
	s_add_u32 s3, s14, s20
	s_addc_u32 s16, s15, s21
	s_ashr_i32 s25, s24, 31
	s_lshl_b64 s[14:15], s[24:25], 2
	s_add_u32 s14, s3, s14
	s_addc_u32 s15, s16, s15
	global_load_dwordx2 v[2:3], v1, s[14:15]
	v_and_b32_e32 v1, 0xff8, v34
	s_movk_i32 s3, 0x180
	v_mad_u32_u24 v1, v0, s3, v1
	s_waitcnt vmcnt(0)
	ds_write_b64 v1, v[2:3]
.LBB207_4:
	s_or_b64 exec, exec, s[6:7]
	s_mul_i32 s7, s13, s11
	s_sub_i32 s7, s12, s7
	s_xor_b32 s6, s8, s9
	s_add_i32 s8, s13, 1
	s_sub_i32 s9, s7, s11
	s_load_dwordx4 s[20:23], s[0:1], 0x68
	s_load_dword s3, s[0:1], 0x78
	s_cmp_ge_u32 s7, s11
	s_cselect_b32 s8, s8, s13
	s_cselect_b32 s7, s9, s7
	s_add_i32 s9, s8, 1
	s_cmp_ge_u32 s7, s11
	s_cselect_b32 s7, s9, s8
	s_waitcnt lgkmcnt(0)
	s_abs_i32 s25, s23
	v_cvt_f32_u32_e32 v1, s25
	s_xor_b32 s7, s7, s6
	s_sub_i32 s52, s7, s6
	s_sub_i32 s6, 0, s25
	v_rcp_iflag_f32_e32 v1, v1
	s_add_i32 s11, s33, -1
	s_abs_i32 s8, s11
	v_mul_f32_e32 v1, 0x4f7ffffe, v1
	v_cvt_u32_f32_e32 v1, v1
	s_barrier
	v_readfirstlane_b32 s50, v1
	s_mul_i32 s6, s6, s50
	s_mul_hi_u32 s6, s50, s6
	s_add_i32 s50, s50, s6
	s_cmp_lt_i32 s3, 0
	s_mul_hi_u32 s9, s8, s50
	s_cbranch_scc0 .LBB207_6
; %bb.5:
	s_mul_i32 s6, s20, s36
	s_add_i32 s6, s52, s6
	s_mul_i32 s6, s6, s3
	s_sub_i32 s36, 1, s6
	s_mov_b64 s[6:7], 0
	s_branch .LBB207_7
.LBB207_6:
	s_mov_b64 s[6:7], -1
                                        ; implicit-def: $sgpr36
.LBB207_7:
	s_load_dwordx2 s[28:29], s[0:1], 0x28
	s_ashr_i32 s16, s11, 31
	s_andn2_b64 vcc, exec, s[6:7]
	s_ashr_i32 s23, s23, 31
	s_cbranch_vccnz .LBB207_9
; %bb.8:
	s_mul_i32 s6, s5, s20
	s_add_i32 s2, s6, s2
	s_mul_i32 s2, s2, s3
	s_add_i32 s36, s2, 1
.LBB207_9:
	s_load_dword s2, s[0:1], 0x38
	s_load_dwordx2 s[26:27], s[0:1], 0x0
	s_load_dwordx2 s[34:35], s[0:1], 0x18
	s_load_dword s11, s[0:1], 0x88
	s_load_dwordx4 s[12:15], s[0:1], 0x58
	s_mul_i32 s3, s9, s25
	s_waitcnt lgkmcnt(0)
	s_mul_i32 s30, s10, s2
	s_sub_i32 s3, s8, s3
	s_ashr_i32 s31, s30, 31
	s_xor_b32 s2, s16, s23
	s_add_i32 s6, s9, 1
	s_sub_i32 s7, s3, s25
	s_cmp_ge_u32 s3, s25
	s_cselect_b32 s6, s6, s9
	s_cselect_b32 s3, s7, s3
	s_add_i32 s7, s6, 1
	s_cmp_ge_u32 s3, s25
	s_cselect_b32 s3, s7, s6
	s_xor_b32 s3, s3, s2
	s_sub_i32 s51, s3, s2
	s_add_i32 s2, s33, 31
	s_ashr_i32 s3, s2, 31
	s_lshr_b32 s3, s3, 27
	s_add_i32 s2, s2, s3
	s_ashr_i32 s20, s2, 5
	v_lshrrev_b32_e32 v22, 6, v14
	v_cmp_gt_i32_e64 s[6:7], s20, v22
	v_mov_b32_e32 v40, 0xff7fffff
	s_mul_i32 s52, s52, s18
	v_lshrrev_b32_e32 v35, 4, v14
	v_lshlrev_b32_e32 v23, 5, v22
	v_mbcnt_lo_u32_b32 v36, -1, 0
	s_mov_b64 s[18:19], exec
	s_and_b64 s[2:3], s[18:19], s[6:7]
	scratch_store_dword off, v14, off offset:112 ; 4-byte Folded Spill
	s_mov_b64 exec, s[2:3]
	s_cbranch_execz .LBB207_19
; %bb.10:
	s_load_dwordx2 s[0:1], s[0:1], 0x10
	s_sub_i32 s54, s51, s21
	s_ashr_i32 s2, s52, 31
	v_bfe_u32 v37, v14, 1, 5
	v_mov_b32_e32 v33, 0
	s_waitcnt lgkmcnt(0)
	s_add_u32 s0, s0, s52
	s_addc_u32 s1, s1, s2
	s_abs_i32 s55, s22
	v_cvt_f32_u32_e32 v1, s55
	v_lshlrev_b32_e32 v32, 4, v37
	v_lshl_add_u64 v[24:25], s[0:1], 0, v[32:33]
	s_sub_i32 s0, 0, s55
	v_rcp_iflag_f32_e32 v1, v1
	v_cmp_eq_u32_e32 vcc, 0, v0
	v_mul_u32_u24_e32 v38, 0x180, v0
	v_lshlrev_b32_e32 v32, 1, v0
	v_mul_f32_e32 v1, 0x4f7ffffe, v1
	v_cvt_u32_f32_e32 v1, v1
	v_mbcnt_hi_u32_b32 v45, -1, v36
	s_mov_b32 s56, s17
	v_cmp_neq_f32_e64 s[2:3], s53, 0
	v_mul_lo_u32 v0, s0, v1
	s_lshl_b64 s[0:1], s[30:31], 2
	v_mul_hi_u32 v0, v1, v0
	s_add_u32 s0, s28, s0
	v_add_u32_e32 v39, v1, v0
	v_and_b32_e32 v0, 60, v35
	v_mov_b32_e32 v1, v33
	s_addc_u32 s1, s29, s1
	v_lshl_add_u64 v[26:27], s[0:1], 0, v[0:1]
	v_lshlrev_b32_e32 v0, 2, v37
	v_lshl_or_b32 v0, v22, 7, v0
	v_add_u32_e32 v42, 0x310, v0
	v_subrev_u32_e32 v0, s33, v37
	v_add_u32_e32 v43, 1, v0
	v_and_b32_e32 v0, 64, v45
	v_lshlrev_b32_e32 v41, 5, v22
	s_mov_b64 s[38:39], 0
	v_mov_b32_e32 v44, 0xff7fffff
	s_mov_b64 s[40:41], 0x1000
	s_movk_i32 s57, 0x1000
	s_mov_b64 s[42:43], 0x1200
	s_mov_b64 s[44:45], 0x1400
	;; [unrolled: 1-line block ×3, first 2 shown]
	v_xor_b32_e32 v46, 1, v45
	v_add_u32_e32 v47, 64, v0
	v_mov_b32_e32 v40, 0xff7fffff
	v_mov_b32_e32 v48, v22
	s_branch .LBB207_13
.LBB207_11:                             ;   in Loop: Header=BB207_13 Depth=1
	s_or_b64 exec, exec, s[48:49]
.LBB207_12:                             ;   in Loop: Header=BB207_13 Depth=1
	s_or_b64 exec, exec, s[8:9]
	v_add_u32_e32 v48, 2, v48
	v_cmp_le_i32_e64 s[0:1], s20, v48
	v_lshl_add_u64 v[26:27], v[26:27], 0, 8
	v_add_u32_e32 v41, 64, v41
	s_or_b64 s[38:39], s[0:1], s[38:39]
	v_add_u32_e32 v42, 0x100, v42
	s_andn2_b64 exec, exec, s[38:39]
	s_cbranch_execz .LBB207_18
.LBB207_13:                             ; =>This Inner Loop Header: Depth=1
	v_mul_hi_u32 v0, v41, s50
	s_waitcnt lgkmcnt(0)
	v_mul_lo_u32 v1, v0, s25
	v_sub_u32_e32 v1, v41, v1
	v_add_u32_e32 v2, 1, v0
	v_cmp_le_u32_e64 s[0:1], s25, v1
	s_nop 1
	v_cndmask_b32_e64 v0, v0, v2, s[0:1]
	v_subrev_u32_e32 v2, s25, v1
	v_cndmask_b32_e64 v1, v1, v2, s[0:1]
	v_add_u32_e32 v2, 1, v0
	v_cmp_le_u32_e64 s[0:1], s25, v1
	s_nop 1
	v_cndmask_b32_e64 v0, v0, v2, s[0:1]
	v_xor_b32_e32 v0, s23, v0
	v_subrev_u32_e32 v0, s23, v0
	v_add_u32_e32 v1, s36, v0
	v_sub_u32_e32 v3, 0, v1
	v_ashrrev_i32_e32 v2, 31, v1
	v_max_i32_e32 v1, v1, v3
	v_mul_hi_u32 v3, v1, v39
	v_mul_lo_u32 v3, v3, s55
	v_sub_u32_e32 v1, v1, v3
	v_subrev_u32_e32 v3, s55, v1
	v_cmp_le_u32_e64 s[0:1], s55, v1
	v_cmp_ge_i32_e64 s[8:9], s54, v0
	s_nop 0
	v_cndmask_b32_e64 v1, v1, v3, s[0:1]
	v_subrev_u32_e32 v3, s55, v1
	v_cmp_le_u32_e64 s[0:1], s55, v1
	s_nop 1
	v_cndmask_b32_e64 v1, v1, v3, s[0:1]
	v_xor_b32_e32 v1, v1, v2
	v_sub_u32_e32 v1, v1, v2
	v_cmp_ne_u32_e64 s[0:1], 0, v1
	s_and_b64 s[0:1], s[0:1], s[8:9]
	s_and_b64 s[48:49], vcc, s[0:1]
	s_and_saveexec_b64 s[8:9], s[48:49]
	s_cbranch_execz .LBB207_15
; %bb.14:                               ;   in Loop: Header=BB207_13 Depth=1
	ds_write_b32 v42, v44
.LBB207_15:                             ;   in Loop: Header=BB207_13 Depth=1
	s_or_b64 exec, exec, s[8:9]
	s_xor_b64 s[0:1], s[0:1], -1
	s_and_saveexec_b64 s[8:9], s[0:1]
	s_cbranch_execz .LBB207_12
; %bb.16:                               ;   in Loop: Header=BB207_13 Depth=1
	global_load_dword v0, v[26:27], off
	s_waitcnt vmcnt(0)
	v_mad_i64_i32 v[0:1], s[0:1], v0, s56, v[24:25]
	v_lshl_add_u64 v[28:29], v[0:1], 0, v[32:33]
	global_load_ushort v0, v[28:29], off
	global_load_ushort v1, v[28:29], off offset:4
	global_load_ushort v30, v[28:29], off offset:8
	;; [unrolled: 1-line block ×12, first 2 shown]
	ds_read_b128 v[56:59], v38
	ds_read_b128 v[18:21], v38 offset:16
	ds_read_b128 v[14:17], v38 offset:32
	;; [unrolled: 1-line block ×5, first 2 shown]
	s_load_dword s16, s[12:13], 0x0
	global_load_ushort v53, v[28:29], off offset:1540
	global_load_ushort v52, v[28:29], off offset:1544
	;; [unrolled: 1-line block ×3, first 2 shown]
	v_lshl_add_u64 v[70:71], v[28:29], 0, s[42:43]
	s_waitcnt vmcnt(15)
	v_cvt_pk_f32_fp8_e32 v[64:65], v0
	s_waitcnt vmcnt(14)
	v_cvt_pk_f32_fp8_e32 v[66:67], v1
	;; [unrolled: 2-line block ×4, first 2 shown]
	s_waitcnt lgkmcnt(0)
	v_pk_mul_f32 v[64:65], s[16:17], v[64:65] op_sel_hi:[0,1]
	v_pk_mul_f32 v[66:67], s[16:17], v[66:67] op_sel_hi:[0,1]
	v_mul_f32_e32 v49, v58, v66
	v_mul_f32_e32 v50, v59, v67
	v_fmac_f32_e32 v49, v56, v64
	v_fmac_f32_e32 v50, v57, v65
	global_load_ushort v75, v[28:29], off offset:2048
	global_load_ushort v76, v[28:29], off offset:2052
	;; [unrolled: 1-line block ×8, first 2 shown]
	s_waitcnt vmcnt(19)
	v_cvt_pk_f32_fp8_e32 v[64:65], v63
	s_waitcnt vmcnt(18)
	v_cvt_pk_f32_fp8_e32 v[66:67], v68
	v_pk_mul_f32 v[0:1], s[16:17], v[0:1] op_sel_hi:[0,1]
	v_pk_mul_f32 v[30:31], s[16:17], v[30:31] op_sel_hi:[0,1]
	v_fmac_f32_e32 v49, v18, v0
	v_fmac_f32_e32 v50, v19, v1
	;; [unrolled: 1-line block ×4, first 2 shown]
	v_pk_mul_f32 v[64:65], s[16:17], v[64:65] op_sel_hi:[0,1]
	v_fmac_f32_e32 v49, v14, v64
	v_fmac_f32_e32 v50, v15, v65
	v_pk_mul_f32 v[14:15], s[16:17], v[66:67] op_sel_hi:[0,1]
	v_fmac_f32_e32 v49, v16, v14
	v_fmac_f32_e32 v50, v17, v15
	s_waitcnt vmcnt(17)
	v_cvt_pk_f32_fp8_e32 v[14:15], v69
	s_waitcnt vmcnt(16)
	v_cvt_pk_f32_fp8_e32 v[66:67], v72
	v_add_co_u32_e64 v16, s[0:1], s57, v28
	v_pk_mul_f32 v[14:15], s[16:17], v[14:15] op_sel_hi:[0,1]
	v_lshl_add_u64 v[64:65], v[28:29], 0, s[40:41]
	v_addc_co_u32_e64 v17, s[0:1], 0, v29, s[0:1]
	v_fmac_f32_e32 v49, v10, v14
	v_fmac_f32_e32 v50, v11, v15
	v_pk_mul_f32 v[10:11], s[16:17], v[66:67] op_sel_hi:[0,1]
	global_load_ushort v31, v[28:29], off offset:3072
	global_load_ushort v1, v[28:29], off offset:3076
	;; [unrolled: 1-line block ×10, first 2 shown]
	v_fmac_f32_e32 v49, v12, v10
	v_fmac_f32_e32 v50, v13, v11
	global_load_ushort v12, v[16:17], off offset:512
	global_load_ushort v11, v[16:17], off offset:1024
	;; [unrolled: 1-line block ×4, first 2 shown]
	global_load_ushort v72, v[16:17], off
	global_load_ushort v77, v[64:65], off offset:12
	s_waitcnt vmcnt(31)
	v_cvt_pk_f32_fp8_e32 v[16:17], v55
	s_waitcnt vmcnt(30)
	v_cvt_pk_f32_fp8_e32 v[64:65], v61
	;; [unrolled: 2-line block ×4, first 2 shown]
	v_pk_mul_f32 v[16:17], s[16:17], v[16:17] op_sel_hi:[0,1]
	v_fmac_f32_e32 v49, v6, v16
	v_fmac_f32_e32 v50, v7, v17
	v_pk_mul_f32 v[6:7], s[16:17], v[64:65] op_sel_hi:[0,1]
	s_waitcnt vmcnt(27)
	v_cvt_pk_f32_fp8_e32 v[16:17], v74
	v_pk_mul_f32 v[62:63], s[16:17], v[62:63] op_sel_hi:[0,1]
	v_fmac_f32_e32 v49, v8, v6
	v_fmac_f32_e32 v50, v9, v7
	;; [unrolled: 1-line block ×4, first 2 shown]
	ds_read_b128 v[6:9], v38 offset:96
	ds_read_b128 v[62:65], v38 offset:112
	s_waitcnt vmcnt(26)
	v_cvt_pk_f32_fp8_e32 v[2:3], v53
	v_pk_mul_f32 v[66:67], s[16:17], v[66:67] op_sel_hi:[0,1]
	v_pk_mul_f32 v[16:17], s[16:17], v[16:17] op_sel_hi:[0,1]
	v_fmac_f32_e32 v49, v4, v66
	v_fmac_f32_e32 v50, v5, v67
	s_waitcnt lgkmcnt(1)
	v_fmac_f32_e32 v49, v6, v16
	v_fmac_f32_e32 v50, v7, v17
	v_pk_mul_f32 v[2:3], s[16:17], v[2:3] op_sel_hi:[0,1]
	ds_read_b128 v[4:7], v38 offset:128
	ds_read_b128 v[66:69], v38 offset:144
	v_fmac_f32_e32 v49, v8, v2
	v_fmac_f32_e32 v50, v9, v3
	v_lshl_add_u64 v[2:3], v[28:29], 0, s[44:45]
	global_load_ushort v73, v[70:71], off offset:8
	s_nop 0
	global_load_ushort v70, v[70:71], off offset:12
	s_nop 0
	global_load_ushort v71, v[2:3], off offset:4
	global_load_ushort v74, v[2:3], off offset:8
	global_load_ushort v78, v[2:3], off offset:12
	s_waitcnt vmcnt(30)
	v_cvt_pk_f32_fp8_e32 v[8:9], v52
	s_waitcnt vmcnt(29)
	v_cvt_pk_f32_fp8_e32 v[2:3], v51
	v_cmp_lt_i32_e64 s[0:1], v46, v47
	v_pk_mul_f32 v[8:9], s[16:17], v[8:9] op_sel_hi:[0,1]
	s_waitcnt lgkmcnt(2)
	v_fmac_f32_e32 v49, v62, v8
	v_fmac_f32_e32 v50, v63, v9
	v_pk_mul_f32 v[2:3], s[16:17], v[2:3] op_sel_hi:[0,1]
	v_fmac_f32_e32 v49, v64, v2
	v_fmac_f32_e32 v50, v65, v3
	s_waitcnt vmcnt(28)
	v_cvt_pk_f32_fp8_e32 v[16:17], v75
	s_waitcnt vmcnt(27)
	v_cvt_pk_f32_fp8_e32 v[8:9], v76
	v_cndmask_b32_e64 v76, v45, v46, s[0:1]
	v_pk_mul_f32 v[16:17], s[16:17], v[16:17] op_sel_hi:[0,1]
	s_waitcnt lgkmcnt(1)
	v_fmac_f32_e32 v49, v4, v16
	v_fmac_f32_e32 v50, v5, v17
	v_lshl_add_u64 v[16:17], v[28:29], 0, s[46:47]
	ds_read_b128 v[62:65], v38 offset:160
	ds_read_b128 v[2:5], v38 offset:176
	global_load_ushort v51, v[16:17], off offset:4
	global_load_ushort v75, v[16:17], off offset:8
	;; [unrolled: 1-line block ×3, first 2 shown]
	v_pk_mul_f32 v[8:9], s[16:17], v[8:9] op_sel_hi:[0,1]
	v_fmac_f32_e32 v49, v6, v8
	v_fmac_f32_e32 v50, v7, v9
	s_waitcnt vmcnt(29)
	v_cvt_pk_f32_fp8_e32 v[6:7], v56
	s_waitcnt vmcnt(28)
	v_cvt_pk_f32_fp8_e32 v[8:9], v57
	;; [unrolled: 2-line block ×4, first 2 shown]
	v_pk_mul_f32 v[6:7], s[16:17], v[6:7] op_sel_hi:[0,1]
	s_waitcnt lgkmcnt(2)
	v_fmac_f32_e32 v49, v66, v6
	v_fmac_f32_e32 v50, v67, v7
	v_pk_mul_f32 v[8:9], s[16:17], v[8:9] op_sel_hi:[0,1]
	s_waitcnt vmcnt(24)
	v_cvt_pk_f32_fp8_e32 v[6:7], v54
	v_fmac_f32_e32 v49, v68, v8
	v_fmac_f32_e32 v50, v69, v9
	v_cvt_pk_f32_fp8_e32 v[52:53], v60
	v_pk_mul_f32 v[16:17], s[16:17], v[16:17] op_sel_hi:[0,1]
	s_waitcnt vmcnt(22)
	v_cvt_pk_f32_fp8_e32 v[8:9], v1
	s_waitcnt lgkmcnt(1)
	v_fmac_f32_e32 v49, v62, v16
	v_fmac_f32_e32 v50, v63, v17
	v_pk_mul_f32 v[28:29], s[16:17], v[28:29] op_sel_hi:[0,1]
	v_cvt_pk_f32_fp8_e32 v[54:55], v31
	v_fmac_f32_e32 v49, v64, v28
	v_fmac_f32_e32 v50, v65, v29
	v_pk_mul_f32 v[62:63], s[16:17], v[6:7] op_sel_hi:[0,1]
	v_pk_mul_f32 v[64:65], s[16:17], v[8:9] op_sel_hi:[0,1]
	ds_read_b128 v[6:9], v38 offset:192
	s_waitcnt vmcnt(16)
	v_cvt_pk_f32_fp8_e32 v[0:1], v0
	s_waitcnt vmcnt(15)
	v_cvt_pk_f32_fp8_e32 v[28:29], v14
	;; [unrolled: 2-line block ×3, first 2 shown]
	v_pk_mul_f32 v[52:53], s[16:17], v[52:53] op_sel_hi:[0,1]
	s_waitcnt lgkmcnt(1)
	v_fmac_f32_e32 v49, v2, v52
	v_fmac_f32_e32 v50, v3, v53
	v_pk_mul_f32 v[54:55], s[16:17], v[54:55] op_sel_hi:[0,1]
	v_fmac_f32_e32 v49, v4, v62
	v_fmac_f32_e32 v50, v5, v63
	ds_read_b128 v[2:5], v38 offset:208
	v_pk_mul_f32 v[66:67], s[16:17], v[0:1] op_sel_hi:[0,1]
	v_pk_mul_f32 v[0:1], s[16:17], v[28:29] op_sel_hi:[0,1]
	;; [unrolled: 1-line block ×3, first 2 shown]
	v_cvt_pk_f32_fp8_e32 v[60:61], v12
	s_waitcnt lgkmcnt(1)
	v_fmac_f32_e32 v49, v6, v54
	v_fmac_f32_e32 v50, v7, v55
	;; [unrolled: 1-line block ×3, first 2 shown]
	v_pk_mul_f32 v[54:55], s[16:17], v[60:61] op_sel_hi:[0,1]
	v_fmac_f32_e32 v50, v65, v9
	v_cvt_pk_f32_fp8_e32 v[56:57], v18
	v_cvt_pk_f32_fp8_e32 v[18:19], v19
	;; [unrolled: 1-line block ×4, first 2 shown]
	v_pk_mul_f32 v[56:57], s[16:17], v[56:57] op_sel_hi:[0,1]
	v_pk_mul_f32 v[18:19], s[16:17], v[18:19] op_sel_hi:[0,1]
	s_waitcnt lgkmcnt(0)
	v_fmac_f32_e32 v49, v56, v2
	s_waitcnt vmcnt(6)
	v_cvt_pk_f32_fp8_e32 v[6:7], v70
	s_waitcnt vmcnt(5)
	v_cvt_pk_f32_fp8_e32 v[8:9], v71
	v_fmac_f32_e32 v50, v57, v3
	v_pk_mul_f32 v[58:59], s[16:17], v[58:59] op_sel_hi:[0,1]
	v_pk_mul_f32 v[60:61], s[16:17], v[6:7] op_sel_hi:[0,1]
	v_cvt_pk_f32_fp8_e32 v[6:7], v11
	v_pk_mul_f32 v[70:71], s[16:17], v[8:9] op_sel_hi:[0,1]
	v_fmac_f32_e32 v49, v18, v4
	v_fmac_f32_e32 v50, v19, v5
	v_pk_mul_f32 v[68:69], s[16:17], v[6:7] op_sel_hi:[0,1]
	ds_read_b128 v[6:9], v38 offset:224
	ds_read_b128 v[2:5], v38 offset:240
	v_cvt_pk_f32_fp8_e32 v[30:31], v30
	v_pk_mul_f32 v[20:21], s[16:17], v[20:21] op_sel_hi:[0,1]
	v_cvt_pk_f32_fp8_e32 v[16:17], v72
	s_waitcnt lgkmcnt(1)
	v_fmac_f32_e32 v49, v58, v6
	v_fmac_f32_e32 v50, v59, v7
	;; [unrolled: 1-line block ×4, first 2 shown]
	v_pk_mul_f32 v[30:31], s[16:17], v[30:31] op_sel_hi:[0,1]
	s_waitcnt lgkmcnt(0)
	v_fmac_f32_e32 v49, v30, v2
	v_fmac_f32_e32 v50, v31, v3
	v_cvt_pk_f32_fp8_e32 v[14:15], v15
	v_fmac_f32_e32 v49, v66, v4
	v_fmac_f32_e32 v50, v67, v5
	ds_read_b128 v[2:5], v38 offset:272
	v_pk_mul_f32 v[16:17], s[16:17], v[16:17] op_sel_hi:[0,1]
	s_waitcnt vmcnt(0)
	v_cvt_pk_f32_fp8_e32 v[6:7], v79
	v_pk_mul_f32 v[14:15], s[16:17], v[14:15] op_sel_hi:[0,1]
	v_cvt_pk_f32_fp8_e32 v[12:13], v13
	v_cvt_pk_f32_fp8_e32 v[52:53], v73
	v_pk_mul_f32 v[58:59], s[16:17], v[6:7] op_sel_hi:[0,1]
	ds_read_b128 v[6:9], v38 offset:256
	v_pk_mul_f32 v[12:13], s[16:17], v[12:13] op_sel_hi:[0,1]
	v_pk_mul_f32 v[52:53], s[16:17], v[52:53] op_sel_hi:[0,1]
	v_cvt_pk_f32_fp8_e32 v[62:63], v74
	v_cvt_pk_f32_fp8_e32 v[64:65], v78
	s_waitcnt lgkmcnt(0)
	v_fmac_f32_e32 v49, v16, v6
	v_fmac_f32_e32 v50, v17, v7
	v_fmac_f32_e32 v49, v0, v8
	v_fmac_f32_e32 v50, v1, v9
	ds_read_b128 v[6:9], v38 offset:288
	v_fmac_f32_e32 v49, v14, v2
	v_fmac_f32_e32 v50, v15, v3
	ds_read_b128 v[0:3], v38 offset:304
	v_fmac_f32_e32 v49, v28, v4
	v_fmac_f32_e32 v50, v29, v5
	s_waitcnt lgkmcnt(1)
	v_fmac_f32_e32 v49, v54, v6
	v_fmac_f32_e32 v50, v55, v7
	;; [unrolled: 1-line block ×4, first 2 shown]
	ds_read_b128 v[4:7], v38 offset:320
	s_waitcnt lgkmcnt(1)
	v_fmac_f32_e32 v49, v52, v0
	v_fmac_f32_e32 v50, v53, v1
	v_fmac_f32_e32 v49, v60, v2
	v_fmac_f32_e32 v50, v61, v3
	ds_read_b128 v[0:3], v38 offset:336
	s_waitcnt lgkmcnt(1)
	v_fmac_f32_e32 v49, v68, v4
	v_fmac_f32_e32 v50, v69, v5
	v_pk_mul_f32 v[62:63], s[16:17], v[62:63] op_sel_hi:[0,1]
	v_cvt_pk_f32_fp8_e32 v[10:11], v10
	v_fmac_f32_e32 v49, v70, v6
	v_fmac_f32_e32 v50, v71, v7
	ds_read_b128 v[4:7], v38 offset:352
	v_pk_mul_f32 v[64:65], s[16:17], v[64:65] op_sel_hi:[0,1]
	v_cvt_pk_f32_fp8_e32 v[18:19], v51
	s_waitcnt lgkmcnt(1)
	v_fmac_f32_e32 v49, v62, v0
	v_fmac_f32_e32 v50, v63, v1
	v_cvt_pk_f32_fp8_e32 v[56:57], v75
	v_fmac_f32_e32 v49, v64, v2
	v_fmac_f32_e32 v50, v65, v3
	ds_read_b128 v[0:3], v38 offset:368
	v_pk_mul_f32 v[10:11], s[16:17], v[10:11] op_sel_hi:[0,1]
	v_pk_mul_f32 v[18:19], s[16:17], v[18:19] op_sel_hi:[0,1]
	s_waitcnt lgkmcnt(1)
	v_fmac_f32_e32 v49, v10, v4
	v_fmac_f32_e32 v50, v11, v5
	v_pk_mul_f32 v[56:57], s[16:17], v[56:57] op_sel_hi:[0,1]
	v_fmac_f32_e32 v49, v18, v6
	v_fmac_f32_e32 v50, v19, v7
	s_waitcnt lgkmcnt(0)
	v_fmac_f32_e32 v49, v56, v0
	v_fmac_f32_e32 v50, v57, v1
	;; [unrolled: 1-line block ×4, first 2 shown]
	v_lshlrev_b32_e32 v51, 2, v76
	v_add_f32_e32 v0, v49, v50
	ds_bpermute_b32 v1, v51, v0
	s_and_saveexec_b64 s[48:49], vcc
	s_cbranch_execz .LBB207_11
; %bb.17:                               ;   in Loop: Header=BB207_13 Depth=1
	v_add_u32_e32 v2, v43, v41
	v_cvt_f32_i32_e32 v2, v2
	s_waitcnt lgkmcnt(0)
	v_add_f32_e32 v0, v0, v1
	v_add_u32_e32 v3, v37, v41
	v_cmp_gt_i32_e64 s[0:1], s33, v3
	v_mul_f32_e32 v1, s53, v2
	v_cndmask_b32_e64 v1, 0, v1, s[2:3]
	v_fmac_f32_e32 v1, s37, v0
	v_cndmask_b32_e64 v0, 0, v1, s[0:1]
	ds_write_b32 v42, v0
	v_max_f32_e32 v0, v40, v40
	v_max_f32_e32 v0, v0, v1
	v_cndmask_b32_e64 v40, v40, v0, s[0:1]
	s_branch .LBB207_11
.LBB207_18:
	s_or_b64 exec, exec, s[38:39]
	scratch_load_dword v14, off, off offset:112 ; 4-byte Folded Reload
.LBB207_19:
	s_or_b64 exec, exec, s[18:19]
	v_mbcnt_hi_u32_b32 v5, -1, v36
	v_and_b32_e32 v0, 64, v5
	v_add_u32_e32 v6, 64, v0
	v_xor_b32_e32 v0, 32, v5
	v_cmp_lt_i32_e32 vcc, v0, v6
	v_xor_b32_e32 v3, 16, v5
	v_max_f32_e32 v2, v40, v40
	v_cndmask_b32_e32 v0, v5, v0, vcc
	v_lshlrev_b32_e32 v0, 2, v0
	s_waitcnt lgkmcnt(0)
	ds_bpermute_b32 v1, v0, v40
	v_cmp_lt_i32_e32 vcc, v3, v6
	v_xor_b32_e32 v4, 8, v5
	v_xor_b32_e32 v7, 4, v5
	s_waitcnt vmcnt(0)
	v_and_b32_e32 v38, 63, v14
	s_waitcnt lgkmcnt(0)
	v_max_f32_e32 v1, v1, v1
	v_max_f32_e32 v2, v2, v1
	v_cndmask_b32_e32 v1, v5, v3, vcc
	v_lshlrev_b32_e32 v1, 2, v1
	ds_bpermute_b32 v3, v1, v2
	v_cmp_lt_i32_e32 vcc, v4, v6
	s_waitcnt lgkmcnt(0)
	v_max_f32_e32 v3, v3, v3
	v_max_f32_e32 v3, v2, v3
	v_cndmask_b32_e32 v2, v5, v4, vcc
	v_lshlrev_b32_e32 v2, 2, v2
	ds_bpermute_b32 v4, v2, v3
	v_cmp_lt_i32_e32 vcc, v7, v6
	s_waitcnt lgkmcnt(0)
	v_max_f32_e32 v4, v4, v4
	v_max_f32_e32 v3, v3, v4
	v_cndmask_b32_e32 v4, v5, v7, vcc
	v_lshlrev_b32_e32 v36, 2, v4
	ds_bpermute_b32 v4, v36, v3
	v_xor_b32_e32 v7, 2, v5
	v_cmp_lt_i32_e32 vcc, v7, v6
	s_waitcnt lgkmcnt(0)
	v_max_f32_e32 v4, v4, v4
	v_max_f32_e32 v4, v3, v4
	v_cndmask_b32_e32 v3, v5, v7, vcc
	v_lshlrev_b32_e32 v37, 2, v3
	ds_bpermute_b32 v7, v37, v4
	v_cmp_eq_u32_e32 vcc, 0, v38
	v_lshlrev_b32_e32 v3, 2, v22
	s_and_saveexec_b64 s[0:1], vcc
	s_cbranch_execz .LBB207_21
; %bb.20:
	s_waitcnt lgkmcnt(0)
	v_max_f32_e32 v7, v7, v7
	v_max_f32_e32 v4, v4, v4
	;; [unrolled: 1-line block ×3, first 2 shown]
	ds_write_b32 v3, v4 offset:768
.LBB207_21:
	s_or_b64 exec, exec, s[0:1]
	v_cmp_gt_u32_e64 s[0:1], 2, v38
	s_waitcnt lgkmcnt(0)
	v_mov_b32_e32 v7, 0xff7fffff
	v_lshlrev_b32_e32 v4, 2, v38
	s_barrier
	s_and_saveexec_b64 s[2:3], s[0:1]
	s_cbranch_execz .LBB207_23
; %bb.22:
	ds_read_b32 v7, v4 offset:768
.LBB207_23:
	s_or_b64 exec, exec, s[2:3]
	v_xor_b32_e32 v8, 1, v5
	v_cmp_lt_i32_e64 s[2:3], v8, v6
	s_nop 1
	v_cndmask_b32_e64 v6, v5, v8, s[2:3]
	v_lshlrev_b32_e32 v39, 2, v6
	s_waitcnt lgkmcnt(0)
	ds_bpermute_b32 v6, v39, v7
	v_max_f32_e32 v7, v7, v7
	v_lshlrev_b32_e32 v5, 2, v5
	v_and_b32_e32 v5, 0x100, v5
	s_lshl_b32 s2, s20, 5
	s_waitcnt lgkmcnt(0)
	v_max_f32_e32 v6, v6, v6
	v_max_f32_e32 v6, v7, v6
	ds_bpermute_b32 v7, v5, v6
	s_min_i32 s16, s2, s33
	v_cmp_gt_i32_e64 s[2:3], s16, v14
	v_mov_b32_e32 v6, 0
	s_and_saveexec_b64 s[12:13], s[2:3]
	s_cbranch_execz .LBB207_27
; %bb.24:
	v_mov_b32_e32 v6, 0x310
	v_lshl_add_u32 v8, v14, 2, v6
	s_mov_b64 s[18:19], 0
	v_mov_b32_e32 v6, 0
	v_mov_b32_e32 v9, v14
.LBB207_25:                             ; =>This Inner Loop Header: Depth=1
	ds_read_b32 v10, v8
	v_add_u32_e32 v9, 0x80, v9
	v_cmp_le_i32_e64 s[8:9], s16, v9
	s_or_b64 s[18:19], s[8:9], s[18:19]
	s_waitcnt lgkmcnt(0)
	v_sub_f32_e32 v10, v10, v7
	v_mul_f32_e32 v10, 0x3fb8aa3b, v10
	v_exp_f32_e32 v10, v10
	ds_write_b32 v8, v10
	v_add_f32_e32 v6, v6, v10
	v_add_u32_e32 v8, 0x200, v8
	s_andn2_b64 exec, exec, s[18:19]
	s_cbranch_execnz .LBB207_25
; %bb.26:
	s_or_b64 exec, exec, s[18:19]
.LBB207_27:
	s_or_b64 exec, exec, s[12:13]
	ds_bpermute_b32 v0, v0, v6
	s_waitcnt lgkmcnt(0)
	v_add_f32_e32 v0, v6, v0
	ds_bpermute_b32 v1, v1, v0
	s_waitcnt lgkmcnt(0)
	v_add_f32_e32 v0, v0, v1
	;; [unrolled: 3-line block ×6, first 2 shown]
	s_and_saveexec_b64 s[8:9], vcc
	s_cbranch_execz .LBB207_29
; %bb.28:
	ds_write_b32 v3, v0 offset:776
.LBB207_29:
	s_or_b64 exec, exec, s[8:9]
	s_waitcnt lgkmcnt(0)
	s_barrier
	s_and_saveexec_b64 s[8:9], s[0:1]
	s_cbranch_execz .LBB207_31
; %bb.30:
	ds_read_b32 v0, v4 offset:776
.LBB207_31:
	s_or_b64 exec, exec, s[8:9]
	s_waitcnt lgkmcnt(0)
	ds_bpermute_b32 v1, v39, v0
	s_waitcnt lgkmcnt(0)
	v_add_f32_e32 v0, v0, v1
	ds_bpermute_b32 v0, v5, v0
	s_and_saveexec_b64 s[0:1], s[2:3]
	s_cbranch_execz .LBB207_44
; %bb.32:
	s_waitcnt lgkmcnt(0)
	v_add_f32_e32 v0, 0x358637bd, v0
	v_div_scale_f32 v1, s[2:3], v0, v0, 1.0
	v_rcp_f32_e32 v2, v1
	v_div_scale_f32 v3, vcc, 1.0, v0, 1.0
	s_movk_i32 s2, 0x7f
	v_fma_f32 v4, -v1, v2, 1.0
	v_fmac_f32_e32 v2, v4, v2
	v_mul_f32_e32 v4, v3, v2
	v_fma_f32 v5, -v1, v4, v3
	v_fmac_f32_e32 v4, v5, v2
	v_fma_f32 v1, -v1, v4, v3
	v_div_fmas_f32 v1, v1, v2, v4
	v_xad_u32 v2, v14, -1, s16
	v_div_fixup_f32 v0, v1, v0, 1.0
	v_cmp_lt_u32_e32 vcc, s2, v2
	s_mov_b64 s[8:9], -1
	v_mov_b32_e32 v1, v14
	s_and_saveexec_b64 s[2:3], vcc
	s_cbranch_execz .LBB207_41
; %bb.33:
	v_lshrrev_b32_e32 v2, 7, v2
	v_add_u32_e32 v4, -1, v2
	v_lshrrev_b32_e32 v3, 1, v4
	v_mov_b32_e32 v1, v0
	v_add_u32_e32 v3, 1, v3
	v_cmp_lt_u32_e32 vcc, 13, v4
	v_mov_b32_e32 v6, 0
	s_and_saveexec_b64 s[8:9], vcc
	s_cbranch_execz .LBB207_37
; %bb.34:
	v_mov_b32_e32 v5, 0x310
	v_and_b32_e32 v4, -8, v3
	v_lshl_add_u32 v5, v14, 2, v5
	s_mov_b32 s18, 0
	s_mov_b64 s[12:13], 0
.LBB207_35:                             ; =>This Inner Loop Header: Depth=1
	ds_read2st64_b32 v[6:7], v5 offset1:2
	ds_read2st64_b32 v[8:9], v5 offset0:4 offset1:6
	ds_read2st64_b32 v[10:11], v5 offset0:8 offset1:10
	;; [unrolled: 1-line block ×3, first 2 shown]
	v_add_u32_e32 v4, -8, v4
	s_waitcnt lgkmcnt(3)
	v_pk_mul_f32 v[6:7], v[0:1], v[6:7]
	s_waitcnt lgkmcnt(2)
	v_pk_mul_f32 v[8:9], v[0:1], v[8:9]
	ds_write2st64_b32 v5, v6, v7 offset1:2
	ds_write2st64_b32 v5, v8, v9 offset0:4 offset1:6
	ds_read2st64_b32 v[8:9], v5 offset0:16 offset1:18
	s_waitcnt lgkmcnt(4)
	v_pk_mul_f32 v[6:7], v[0:1], v[10:11]
	ds_write2st64_b32 v5, v6, v7 offset0:8 offset1:10
	s_waitcnt lgkmcnt(4)
	v_pk_mul_f32 v[6:7], v[0:1], v[12:13]
	ds_write2st64_b32 v5, v6, v7 offset0:12 offset1:14
	ds_read2st64_b32 v[6:7], v5 offset0:20 offset1:22
	s_waitcnt lgkmcnt(3)
	v_pk_mul_f32 v[8:9], v[0:1], v[8:9]
	ds_read2st64_b32 v[10:11], v5 offset0:24 offset1:26
	ds_write2st64_b32 v5, v8, v9 offset0:16 offset1:18
	ds_read2st64_b32 v[8:9], v5 offset0:28 offset1:30
	s_waitcnt lgkmcnt(3)
	v_pk_mul_f32 v[6:7], v[0:1], v[6:7]
	ds_write2st64_b32 v5, v6, v7 offset0:20 offset1:22
	s_waitcnt lgkmcnt(3)
	v_pk_mul_f32 v[6:7], v[0:1], v[10:11]
	ds_write2st64_b32 v5, v6, v7 offset0:24 offset1:26
	s_waitcnt lgkmcnt(2)
	v_pk_mul_f32 v[6:7], v[0:1], v[8:9]
	s_add_i32 s18, s18, 16
	v_cmp_eq_u32_e32 vcc, 0, v4
	ds_write2st64_b32 v5, v6, v7 offset0:28 offset1:30
	v_add_u32_e32 v5, 0x2000, v5
	s_or_b64 s[12:13], vcc, s[12:13]
	v_mov_b32_e32 v6, s18
	s_andn2_b64 exec, exec, s[12:13]
	s_cbranch_execnz .LBB207_35
; %bb.36:
	s_or_b64 exec, exec, s[12:13]
.LBB207_37:
	s_or_b64 exec, exec, s[8:9]
	v_and_b32_e32 v3, 7, v3
	v_cmp_ne_u32_e32 vcc, 0, v3
	s_and_saveexec_b64 s[8:9], vcc
	s_cbranch_execz .LBB207_40
; %bb.38:
	v_lshlrev_b32_e32 v4, 9, v6
	s_movk_i32 s12, 0x310
	v_add3_u32 v4, v4, v34, s12
	s_mov_b64 s[12:13], 0
.LBB207_39:                             ; =>This Inner Loop Header: Depth=1
	ds_read2st64_b32 v[6:7], v4 offset1:2
	v_add_u32_e32 v3, -1, v3
	v_cmp_eq_u32_e32 vcc, 0, v3
	s_or_b64 s[12:13], vcc, s[12:13]
	s_waitcnt lgkmcnt(0)
	v_pk_mul_f32 v[6:7], v[0:1], v[6:7]
	ds_write2st64_b32 v4, v6, v7 offset1:2
	v_add_u32_e32 v4, 0x400, v4
	s_andn2_b64 exec, exec, s[12:13]
	s_cbranch_execnz .LBB207_39
.LBB207_40:
	s_or_b64 exec, exec, s[8:9]
	v_add_u32_e32 v2, 1, v2
	v_and_b32_e32 v3, 0x3fffffe, v2
	v_cmp_ne_u32_e32 vcc, v2, v3
	v_lshl_add_u32 v1, v3, 7, v14
	s_orn2_b64 s[8:9], vcc, exec
.LBB207_41:
	s_or_b64 exec, exec, s[2:3]
	s_and_b64 exec, exec, s[8:9]
	s_cbranch_execz .LBB207_44
; %bb.42:
	v_mov_b32_e32 v2, 0x310
	v_lshl_add_u32 v2, v1, 2, v2
	s_mov_b64 s[2:3], 0
.LBB207_43:                             ; =>This Inner Loop Header: Depth=1
	ds_read_b32 v3, v2
	v_add_u32_e32 v1, 0x80, v1
	v_cmp_le_i32_e32 vcc, s16, v1
	s_or_b64 s[2:3], vcc, s[2:3]
	s_waitcnt lgkmcnt(0)
	v_mul_f32_e32 v3, v0, v3
	ds_write_b32 v2, v3
	v_add_u32_e32 v2, 0x200, v2
	s_andn2_b64 exec, exec, s[2:3]
	s_cbranch_execnz .LBB207_43
.LBB207_44:
	s_or_b64 exec, exec, s[0:1]
	v_mov_b32_e32 v28, 0
	s_waitcnt lgkmcnt(0)
	v_and_b32_e32 v0, 7, v14
	v_mov_b32_e32 v29, 0
	v_mov_b32_e32 v26, 0
	;; [unrolled: 1-line block ×23, first 2 shown]
	s_barrier
	scratch_store_dword off, v0, off offset:116 ; 4-byte Folded Spill
	s_and_saveexec_b64 s[2:3], s[6:7]
	s_cbranch_execz .LBB207_98
; %bb.45:
	v_and_b32_e32 v0, 28, v34
	v_mov_b32_e32 v3, 0
	scratch_store_dword off, v39, off offset:132 ; 4-byte Folded Spill
	scratch_store_dword off, v36, off offset:128 ; 4-byte Folded Spill
	;; [unrolled: 1-line block ×5, first 2 shown]
	v_and_b32_e32 v2, 0xfc, v34
	v_or_b32_e32 v0, 0xf00, v34
	v_mov_b32_e32 v1, v3
	scratch_store_dwordx2 off, v[0:1], off offset:40 ; 8-byte Folded Spill
	v_or_b32_e32 v0, 0x1000, v2
	s_sub_i32 s21, s51, s21
	s_ashr_i32 s0, s52, 31
	scratch_store_dwordx2 off, v[0:1], off offset:48 ; 8-byte Folded Spill
	v_or_b32_e32 v0, 0x1100, v2
	s_add_u32 s6, s34, s52
	scratch_store_dwordx2 off, v[0:1], off offset:56 ; 8-byte Folded Spill
	v_or_b32_e32 v0, 0x1200, v2
	s_addc_u32 s7, s35, s0
	scratch_store_dwordx2 off, v[0:1], off offset:64 ; 8-byte Folded Spill
	v_or_b32_e32 v0, 0x1300, v2
	s_abs_i32 s22, s22
	scratch_store_dwordx2 off, v[0:1], off offset:72 ; 8-byte Folded Spill
	v_cvt_f32_u32_e32 v0, s22
	s_sub_i32 s0, 0, s22
	s_add_i32 s34, s20, -1
	v_or_b32_e32 v4, 0x1400, v2
	v_rcp_iflag_f32_e32 v0, v0
	v_mov_b32_e32 v5, v3
	scratch_store_dwordx2 off, v[4:5], off offset:80 ; 8-byte Folded Spill
	v_or_b32_e32 v4, 0x1500, v2
	v_mul_f32_e32 v0, 0x4f7ffffe, v0
	v_cvt_u32_f32_e32 v0, v0
	scratch_store_dwordx2 off, v[4:5], off offset:88 ; 8-byte Folded Spill
	v_or_b32_e32 v4, 0x1600, v2
	s_mov_b32 s37, s17
	v_mul_lo_u32 v1, s0, v0
	v_mul_hi_u32 v1, v0, v1
	s_lshl_b64 s[0:1], s[30:31], 2
	v_add_u32_e32 v0, v0, v1
	s_add_u32 s0, s28, s0
	scratch_store_dword off, v0, off offset:24 ; 4-byte Folded Spill
	v_and_b32_e32 v0, 60, v35
	v_mov_b32_e32 v1, v3
	s_addc_u32 s1, s29, s1
	v_lshl_add_u64 v[50:51], s[0:1], 0, v[0:1]
	scratch_load_dword v0, off, off offset:116 ; 4-byte Folded Reload
	s_mov_b64 s[8:9], 0
	scratch_store_dwordx2 off, v[4:5], off offset:96 ; 8-byte Folded Spill
	v_or_b32_e32 v4, 0x1700, v2
	v_mov_b32_e32 v13, v3
	v_mov_b32_e32 v12, v3
	v_mov_b32_e32 v15, v3
	v_mov_b32_e32 v14, v3
	v_mov_b32_e32 v17, v3
	v_mov_b32_e32 v16, v3
	v_mov_b32_e32 v19, v3
	v_mov_b32_e32 v18, v3
	v_mov_b32_e32 v21, v3
	v_mov_b32_e32 v20, v3
	v_mov_b32_e32 v31, v3
	v_mov_b32_e32 v30, v3
	v_mov_b32_e32 v25, v3
	v_mov_b32_e32 v24, v3
	v_mov_b32_e32 v27, v3
	v_mov_b32_e32 v26, v3
	v_mov_b32_e32 v29, v3
	v_mov_b32_e32 v28, v3
	scratch_store_dwordx2 off, v[4:5], off offset:104 ; 8-byte Folded Spill
	s_waitcnt vmcnt(2)
	v_lshlrev_b32_e32 v0, 4, v0
	v_lshl_or_b32 v0, v22, 7, v0
	v_add_u32_e32 v6, 0x310, v0
	v_mov_b32_e32 v0, v3
	scratch_store_dwordx2 off, v[0:1], off  ; 8-byte Folded Spill
	scratch_store_dwordx2 off, v[0:1], off offset:8 ; 8-byte Folded Spill
	scratch_store_dwordx2 off, v[0:1], off offset:16 ; 8-byte Folded Spill
	scratch_store_dwordx2 off, v[2:3], off offset:32 ; 8-byte Folded Spill
	s_branch .LBB207_48
.LBB207_46:                             ;   in Loop: Header=BB207_48 Depth=1
	s_or_b64 exec, exec, s[0:1]
	scratch_load_dwordx2 v[8:9], off, off   ; 8-byte Folded Reload
	scratch_load_dwordx2 v[10:11], off, off offset:8 ; 8-byte Folded Reload
	v_mul_f32_e32 v7, v3, v49
	v_fmac_f32_e32 v7, v2, v48
	v_fmac_f32_e32 v7, v4, v46
	;; [unrolled: 1-line block ×3, first 2 shown]
	s_waitcnt vmcnt(1)
	v_add_f32_e32 v8, v8, v7
	v_mul_f32_e32 v7, v3, v45
	v_fmac_f32_e32 v7, v2, v44
	v_fmac_f32_e32 v7, v4, v42
	;; [unrolled: 1-line block ×3, first 2 shown]
	s_waitcnt vmcnt(0)
	v_add_f32_e32 v11, v11, v7
	v_mul_f32_e32 v7, v3, v41
	v_fmac_f32_e32 v7, v2, v40
	v_fmac_f32_e32 v7, v4, v38
	;; [unrolled: 1-line block ×3, first 2 shown]
	v_add_f32_e32 v10, v10, v7
	scratch_store_dwordx2 off, v[10:11], off offset:8 ; 8-byte Folded Spill
	scratch_load_dwordx2 v[10:11], off, off offset:16 ; 8-byte Folded Reload
	v_mul_f32_e32 v7, v3, v35
	v_fmac_f32_e32 v7, v2, v34
	v_fmac_f32_e32 v7, v4, v0
	v_mul_f32_e32 v0, v3, v33
	v_fmac_f32_e32 v0, v2, v32
	v_fmac_f32_e32 v0, v4, v126
	;; [unrolled: 1-line block ×4, first 2 shown]
	s_waitcnt vmcnt(0)
	v_add_f32_e32 v10, v10, v0
	v_mul_f32_e32 v0, v3, v125
	v_fmac_f32_e32 v0, v2, v124
	v_fmac_f32_e32 v0, v4, v122
	v_fmac_f32_e32 v0, v5, v123
	v_add_f32_e32 v13, v13, v0
	v_mul_f32_e32 v0, v3, v121
	v_fmac_f32_e32 v0, v2, v120
	v_fmac_f32_e32 v0, v4, v118
	v_fmac_f32_e32 v0, v5, v119
	;; [unrolled: 5-line block ×19, first 2 shown]
	v_add_f32_e32 v11, v11, v7
	v_add_f32_e32 v9, v9, v0
	scratch_store_dwordx2 off, v[10:11], off offset:16 ; 8-byte Folded Spill
	scratch_store_dwordx2 off, v[8:9], off  ; 8-byte Folded Spill
.LBB207_47:                             ;   in Loop: Header=BB207_48 Depth=1
	s_or_b64 exec, exec, s[12:13]
	v_add_u32_e32 v22, 2, v22
	v_cmp_le_i32_e32 vcc, s20, v22
	v_lshl_add_u64 v[50:51], v[50:51], 0, 8
	v_add_u32_e32 v23, 64, v23
	s_or_b64 s[8:9], vcc, s[8:9]
	v_add_u32_e32 v6, 0x100, v6
	s_andn2_b64 exec, exec, s[8:9]
	s_cbranch_execz .LBB207_97
.LBB207_48:                             ; =>This Inner Loop Header: Depth=1
	v_mul_hi_u32 v0, v23, s50
	v_mul_lo_u32 v1, v0, s25
	v_sub_u32_e32 v1, v23, v1
	v_add_u32_e32 v2, 1, v0
	v_cmp_le_u32_e32 vcc, s25, v1
	s_nop 1
	v_cndmask_b32_e32 v0, v0, v2, vcc
	v_subrev_u32_e32 v2, s25, v1
	v_cndmask_b32_e32 v1, v1, v2, vcc
	v_add_u32_e32 v2, 1, v0
	v_cmp_le_u32_e32 vcc, s25, v1
	s_nop 1
	v_cndmask_b32_e32 v0, v0, v2, vcc
	v_xor_b32_e32 v0, s23, v0
	v_subrev_u32_e32 v0, s23, v0
	v_add_u32_e32 v1, s36, v0
	v_sub_u32_e32 v3, 0, v1
	v_ashrrev_i32_e32 v2, 31, v1
	v_max_i32_e32 v1, v1, v3
	scratch_load_dword v3, off, off offset:24 ; 4-byte Folded Reload
	v_cmp_lt_i32_e64 s[0:1], s21, v0
	s_waitcnt vmcnt(0)
	v_mul_hi_u32 v3, v1, v3
	v_mul_lo_u32 v3, v3, s22
	v_sub_u32_e32 v1, v1, v3
	v_subrev_u32_e32 v3, s22, v1
	v_cmp_le_u32_e32 vcc, s22, v1
	s_nop 1
	v_cndmask_b32_e32 v1, v1, v3, vcc
	v_subrev_u32_e32 v3, s22, v1
	v_cmp_le_u32_e32 vcc, s22, v1
	s_nop 1
	v_cndmask_b32_e32 v1, v1, v3, vcc
	v_xor_b32_e32 v1, v1, v2
	v_sub_u32_e32 v1, v1, v2
	v_cmp_eq_u32_e32 vcc, 0, v1
	s_or_b64 s[0:1], vcc, s[0:1]
	s_and_saveexec_b64 s[12:13], s[0:1]
	s_cbranch_execz .LBB207_47
; %bb.49:                               ;   in Loop: Header=BB207_48 Depth=1
	global_load_dword v2, v[50:51], off
	v_mov_b64_e32 v[0:1], s[6:7]
	v_cmp_eq_u32_e32 vcc, s34, v22
	s_waitcnt vmcnt(0)
	v_mad_i64_i32 v[72:73], s[0:1], v2, s37, v[0:1]
	scratch_load_dwordx2 v[0:1], off, off offset:32 ; 8-byte Folded Reload
	s_waitcnt vmcnt(0)
	v_lshl_add_u64 v[102:103], v[72:73], 0, v[0:1]
	global_load_dword v0, v[102:103], off
	scratch_load_dword v1, off, off offset:28 ; 4-byte Folded Reload
	s_load_dword s16, s[14:15], 0x0
	ds_read_b128 v[2:5], v6
	s_waitcnt vmcnt(1)
	v_lshrrev_b32_e32 v8, 16, v0
	s_waitcnt vmcnt(0)
	v_add_u32_e32 v7, v1, v23
	v_and_b32_e32 v1, 0xffff, v0
	v_cvt_pk_f32_fp8_e32 v[0:1], v1
	v_cvt_pk_f32_fp8_e32 v[10:11], v8
	v_add_u32_e32 v9, 1, v7
	v_add_u32_e32 v8, 2, v7
	s_waitcnt lgkmcnt(0)
	v_pk_mul_f32 v[54:55], s[16:17], v[0:1] op_sel_hi:[0,1]
	v_pk_mul_f32 v[52:53], s[16:17], v[10:11] op_sel_hi:[0,1]
	v_add_u32_e32 v10, 3, v7
	s_and_saveexec_b64 s[18:19], vcc
; %bb.50:                               ;   in Loop: Header=BB207_48 Depth=1
	v_cmp_gt_i32_e64 s[0:1], s33, v7
	s_nop 1
	v_cndmask_b32_e64 v54, 0, v54, s[0:1]
	v_cmp_gt_i32_e64 s[0:1], s33, v9
	s_nop 1
	v_cndmask_b32_e64 v55, 0, v55, s[0:1]
	v_cmp_gt_i32_e64 s[0:1], s33, v8
	s_nop 1
	v_cndmask_b32_e64 v52, 0, v52, s[0:1]
	v_cmp_gt_i32_e64 s[0:1], s33, v10
	s_nop 1
	v_cndmask_b32_e64 v53, 0, v53, s[0:1]
; %bb.51:                               ;   in Loop: Header=BB207_48 Depth=1
	s_or_b64 exec, exec, s[18:19]
	global_load_dword v0, v[102:103], off offset:256
	s_mov_b32 s17, s16
	s_waitcnt vmcnt(0)
	v_and_b32_e32 v1, 0xffff, v0
	v_lshrrev_b32_e32 v11, 16, v0
	v_cvt_pk_f32_fp8_e32 v[0:1], v1
	v_cvt_pk_f32_fp8_e32 v[32:33], v11
	v_pk_mul_f32 v[58:59], s[16:17], v[0:1]
	v_pk_mul_f32 v[56:57], s[16:17], v[32:33]
	s_and_saveexec_b64 s[18:19], vcc
; %bb.52:                               ;   in Loop: Header=BB207_48 Depth=1
	v_cmp_gt_i32_e64 s[0:1], s33, v7
	s_nop 1
	v_cndmask_b32_e64 v58, 0, v58, s[0:1]
	v_cmp_gt_i32_e64 s[0:1], s33, v9
	s_nop 1
	v_cndmask_b32_e64 v59, 0, v59, s[0:1]
	v_cmp_gt_i32_e64 s[0:1], s33, v8
	s_nop 1
	v_cndmask_b32_e64 v56, 0, v56, s[0:1]
	v_cmp_gt_i32_e64 s[0:1], s33, v10
	s_nop 1
	v_cndmask_b32_e64 v57, 0, v57, s[0:1]
; %bb.53:                               ;   in Loop: Header=BB207_48 Depth=1
	s_or_b64 exec, exec, s[18:19]
	global_load_dword v0, v[102:103], off offset:512
	s_waitcnt vmcnt(0)
	v_and_b32_e32 v1, 0xffff, v0
	v_lshrrev_b32_e32 v11, 16, v0
	v_cvt_pk_f32_fp8_e32 v[0:1], v1
	v_cvt_pk_f32_fp8_e32 v[32:33], v11
	v_pk_mul_f32 v[62:63], s[16:17], v[0:1]
	v_pk_mul_f32 v[60:61], s[16:17], v[32:33]
	s_and_saveexec_b64 s[18:19], vcc
; %bb.54:                               ;   in Loop: Header=BB207_48 Depth=1
	v_cmp_gt_i32_e64 s[0:1], s33, v7
	s_nop 1
	v_cndmask_b32_e64 v62, 0, v62, s[0:1]
	v_cmp_gt_i32_e64 s[0:1], s33, v9
	s_nop 1
	v_cndmask_b32_e64 v63, 0, v63, s[0:1]
	v_cmp_gt_i32_e64 s[0:1], s33, v8
	s_nop 1
	v_cndmask_b32_e64 v60, 0, v60, s[0:1]
	v_cmp_gt_i32_e64 s[0:1], s33, v10
	s_nop 1
	v_cndmask_b32_e64 v61, 0, v61, s[0:1]
; %bb.55:                               ;   in Loop: Header=BB207_48 Depth=1
	s_or_b64 exec, exec, s[18:19]
	global_load_dword v0, v[102:103], off offset:768
	;; [unrolled: 24-line block ×13, first 2 shown]
	s_waitcnt vmcnt(0)
	v_and_b32_e32 v1, 0xffff, v0
	v_lshrrev_b32_e32 v11, 16, v0
	v_cvt_pk_f32_fp8_e32 v[0:1], v1
	v_cvt_pk_f32_fp8_e32 v[32:33], v11
	v_pk_mul_f32 v[112:113], s[16:17], v[0:1]
	v_pk_mul_f32 v[102:103], s[16:17], v[32:33]
	s_and_saveexec_b64 s[18:19], vcc
; %bb.78:                               ;   in Loop: Header=BB207_48 Depth=1
	v_cmp_gt_i32_e64 s[0:1], s33, v7
	s_nop 1
	v_cndmask_b32_e64 v112, 0, v112, s[0:1]
	v_cmp_gt_i32_e64 s[0:1], s33, v9
	s_nop 1
	v_cndmask_b32_e64 v113, 0, v113, s[0:1]
	v_cmp_gt_i32_e64 s[0:1], s33, v8
	s_nop 1
	v_cndmask_b32_e64 v102, 0, v102, s[0:1]
	v_cmp_gt_i32_e64 s[0:1], s33, v10
	s_nop 1
	v_cndmask_b32_e64 v103, 0, v103, s[0:1]
; %bb.79:                               ;   in Loop: Header=BB207_48 Depth=1
	s_or_b64 exec, exec, s[18:19]
	scratch_load_dwordx2 v[0:1], off, off offset:40 ; 8-byte Folded Reload
	s_waitcnt vmcnt(0)
	v_lshl_add_u64 v[0:1], v[72:73], 0, v[0:1]
	global_load_dword v0, v[0:1], off
	s_waitcnt vmcnt(0)
	v_and_b32_e32 v1, 0xffff, v0
	v_lshrrev_b32_e32 v11, 16, v0
	v_cvt_pk_f32_fp8_e32 v[0:1], v1
	v_cvt_pk_f32_fp8_e32 v[32:33], v11
	v_pk_mul_f32 v[116:117], s[16:17], v[0:1]
	v_pk_mul_f32 v[114:115], s[16:17], v[32:33]
	s_and_saveexec_b64 s[18:19], vcc
; %bb.80:                               ;   in Loop: Header=BB207_48 Depth=1
	v_cmp_gt_i32_e64 s[0:1], s33, v7
	s_nop 1
	v_cndmask_b32_e64 v116, 0, v116, s[0:1]
	v_cmp_gt_i32_e64 s[0:1], s33, v9
	s_nop 1
	v_cndmask_b32_e64 v117, 0, v117, s[0:1]
	v_cmp_gt_i32_e64 s[0:1], s33, v8
	s_nop 1
	v_cndmask_b32_e64 v114, 0, v114, s[0:1]
	v_cmp_gt_i32_e64 s[0:1], s33, v10
	s_nop 1
	v_cndmask_b32_e64 v115, 0, v115, s[0:1]
; %bb.81:                               ;   in Loop: Header=BB207_48 Depth=1
	s_or_b64 exec, exec, s[18:19]
	scratch_load_dwordx2 v[0:1], off, off offset:48 ; 8-byte Folded Reload
	s_waitcnt vmcnt(0)
	v_lshl_add_u64 v[0:1], v[72:73], 0, v[0:1]
	global_load_dword v0, v[0:1], off
	;; [unrolled: 27-line block ×9, first 2 shown]
	s_waitcnt vmcnt(0)
	v_and_b32_e32 v36, 0xffff, v11
	v_lshrrev_b32_e32 v11, 16, v11
	v_cvt_pk_f32_fp8_e32 v[36:37], v36
	v_cvt_pk_f32_fp8_e32 v[72:73], v11
	v_pk_mul_f32 v[36:37], s[16:17], v[36:37]
	v_pk_mul_f32 v[72:73], s[16:17], v[72:73]
	s_and_saveexec_b64 s[0:1], vcc
	s_cbranch_execz .LBB207_46
; %bb.96:                               ;   in Loop: Header=BB207_48 Depth=1
	v_cmp_gt_i32_e32 vcc, s33, v7
	s_nop 1
	v_cndmask_b32_e32 v36, 0, v36, vcc
	v_cmp_gt_i32_e32 vcc, s33, v9
	s_nop 1
	v_cndmask_b32_e32 v37, 0, v37, vcc
	;; [unrolled: 3-line block ×4, first 2 shown]
	s_branch .LBB207_46
.LBB207_97:
	s_or_b64 exec, exec, s[8:9]
	scratch_load_dword v38, off, off offset:120 ; 4-byte Folded Reload
	scratch_load_dword v37, off, off offset:124 ; 4-byte Folded Reload
	;; [unrolled: 1-line block ×4, first 2 shown]
	scratch_load_dwordx2 v[40:41], off, off ; 8-byte Folded Reload
	scratch_load_dwordx2 v[42:43], off, off offset:8 ; 8-byte Folded Reload
	scratch_load_dwordx2 v[44:45], off, off offset:16 ; 8-byte Folded Reload
.LBB207_98:
	s_or_b64 exec, exec, s[2:3]
	s_waitcnt vmcnt(4)
	ds_bpermute_b32 v2, v36, v26
	ds_bpermute_b32 v3, v36, v27
	ds_bpermute_b32 v0, v36, v28
	ds_bpermute_b32 v1, v36, v29
	ds_bpermute_b32 v8, v36, v24
	ds_bpermute_b32 v9, v36, v25
	s_waitcnt lgkmcnt(4)
	v_pk_add_f32 v[2:3], v[26:27], v[2:3]
	ds_bpermute_b32 v6, v37, v2
	ds_bpermute_b32 v7, v37, v3
	s_waitcnt lgkmcnt(4)
	v_pk_add_f32 v[0:1], v[28:29], v[0:1]
	ds_bpermute_b32 v4, v37, v0
	ds_bpermute_b32 v5, v37, v1
	;; [unrolled: 1-line block ×3, first 2 shown]
	s_waitcnt lgkmcnt(3)
	v_pk_add_f32 v[2:3], v[2:3], v[6:7]
	v_pk_add_f32 v[6:7], v[24:25], v[8:9]
	ds_bpermute_b32 v8, v37, v6
	ds_bpermute_b32 v9, v37, v7
	s_waitcnt lgkmcnt(3)
	v_pk_add_f32 v[0:1], v[0:1], v[4:5]
	s_waitcnt vmcnt(3)
	ds_bpermute_b32 v4, v39, v0
	ds_bpermute_b32 v5, v39, v1
	;; [unrolled: 1-line block ×5, first 2 shown]
	s_waitcnt lgkmcnt(5)
	v_pk_add_f32 v[6:7], v[6:7], v[8:9]
	ds_bpermute_b32 v8, v39, v6
	ds_bpermute_b32 v9, v39, v7
	s_waitcnt lgkmcnt(3)
	v_pk_add_f32 v[24:25], v[30:31], v[22:23]
	v_pk_add_f32 v[22:23], v[0:1], v[4:5]
	s_waitcnt lgkmcnt(2)
	v_pk_add_f32 v[4:5], v[2:3], v[10:11]
	ds_bpermute_b32 v10, v36, v18
	ds_bpermute_b32 v11, v36, v19
	;; [unrolled: 1-line block ×4, first 2 shown]
	s_waitcnt lgkmcnt(4)
	v_pk_add_f32 v[2:3], v[6:7], v[8:9]
	ds_bpermute_b32 v6, v36, v20
	ds_bpermute_b32 v7, v36, v21
	s_waitcnt lgkmcnt(4)
	v_pk_add_f32 v[10:11], v[18:19], v[10:11]
	s_waitcnt lgkmcnt(2)
	v_pk_add_f32 v[0:1], v[24:25], v[26:27]
	ds_bpermute_b32 v18, v37, v10
	ds_bpermute_b32 v19, v37, v11
	s_waitcnt lgkmcnt(2)
	v_pk_add_f32 v[6:7], v[20:21], v[6:7]
	ds_bpermute_b32 v24, v36, v16
	ds_bpermute_b32 v25, v36, v17
	;; [unrolled: 1-line block ×4, first 2 shown]
	s_waitcnt lgkmcnt(4)
	v_pk_add_f32 v[10:11], v[10:11], v[18:19]
	ds_bpermute_b32 v8, v39, v0
	s_waitcnt lgkmcnt(3)
	v_pk_add_f32 v[16:17], v[16:17], v[24:25]
	ds_bpermute_b32 v18, v37, v16
	;; [unrolled: 3-line block ×3, first 2 shown]
	ds_bpermute_b32 v24, v39, v10
	ds_bpermute_b32 v25, v39, v11
	;; [unrolled: 1-line block ×6, first 2 shown]
	s_waitcnt lgkmcnt(6)
	v_pk_add_f32 v[28:29], v[16:17], v[18:19]
	s_waitcnt lgkmcnt(4)
	v_pk_add_f32 v[16:17], v[10:11], v[24:25]
	s_waitcnt vmcnt(0)
	ds_bpermute_b32 v10, v36, v44
	ds_bpermute_b32 v11, v36, v45
	s_waitcnt lgkmcnt(4)
	v_pk_add_f32 v[18:19], v[6:7], v[26:27]
	ds_bpermute_b32 v6, v36, v12
	ds_bpermute_b32 v7, v36, v13
	s_waitcnt lgkmcnt(4)
	v_pk_add_f32 v[32:33], v[14:15], v[20:21]
	s_waitcnt lgkmcnt(2)
	v_pk_add_f32 v[10:11], v[44:45], v[10:11]
	ds_bpermute_b32 v9, v39, v1
	ds_bpermute_b32 v34, v37, v32
	ds_bpermute_b32 v35, v37, v33
	s_waitcnt lgkmcnt(3)
	v_pk_add_f32 v[6:7], v[12:13], v[6:7]
	ds_bpermute_b32 v24, v37, v10
	ds_bpermute_b32 v25, v37, v11
	;; [unrolled: 1-line block ×6, first 2 shown]
	s_waitcnt lgkmcnt(8)
	v_pk_add_f32 v[20:21], v[0:1], v[8:9]
	s_waitcnt lgkmcnt(6)
	v_pk_add_f32 v[0:1], v[32:33], v[34:35]
	;; [unrolled: 2-line block ×4, first 2 shown]
	ds_bpermute_b32 v8, v39, v0
	ds_bpermute_b32 v9, v39, v1
	s_waitcnt lgkmcnt(2)
	v_pk_add_f32 v[6:7], v[6:7], v[12:13]
	ds_bpermute_b32 v12, v37, v10
	ds_bpermute_b32 v13, v37, v11
	;; [unrolled: 1-line block ×4, first 2 shown]
	s_waitcnt lgkmcnt(0)
	s_barrier
	v_pk_add_f32 v[32:33], v[10:11], v[12:13]
	v_pk_add_f32 v[12:13], v[0:1], v[8:9]
	;; [unrolled: 1-line block ×3, first 2 shown]
	scratch_load_dword v27, off, off offset:112 ; 4-byte Folded Reload
	ds_bpermute_b32 v30, v39, v28
	ds_bpermute_b32 v31, v39, v29
	;; [unrolled: 1-line block ×4, first 2 shown]
	s_waitcnt lgkmcnt(2)
	v_pk_add_f32 v[14:15], v[28:29], v[30:31]
	ds_bpermute_b32 v30, v36, v40
	ds_bpermute_b32 v31, v36, v41
	;; [unrolled: 1-line block ×4, first 2 shown]
	s_waitcnt lgkmcnt(2)
	v_pk_add_f32 v[30:31], v[40:41], v[30:31]
	ds_bpermute_b32 v36, v37, v30
	ds_bpermute_b32 v37, v37, v31
	s_waitcnt lgkmcnt(2)
	v_pk_add_f32 v[10:11], v[6:7], v[28:29]
	v_pk_add_f32 v[6:7], v[32:33], v[34:35]
	s_waitcnt lgkmcnt(0)
	v_pk_add_f32 v[0:1], v[30:31], v[36:37]
	ds_bpermute_b32 v24, v39, v0
	ds_bpermute_b32 v25, v39, v1
	s_waitcnt vmcnt(0)
	v_and_b32_e32 v26, 0x3c7, v27
	v_cmp_ne_u32_e32 vcc, 64, v26
	s_and_saveexec_b64 s[0:1], vcc
	s_xor_b64 s[0:1], exec, s[0:1]
; %bb.99:
                                        ; implicit-def: $vgpr38
; %bb.100:
	s_or_saveexec_b64 s[0:1], s[0:1]
	s_waitcnt lgkmcnt(0)
	v_pk_add_f32 v[24:25], v[0:1], v[24:25]
	s_xor_b64 exec, exec, s[0:1]
	s_cbranch_execz .LBB207_102
; %bb.101:
	v_lshrrev_b32_e32 v0, 1, v38
	v_add_u32_e32 v0, 0x310, v0
	ds_write2_b32 v0, v22, v23 offset1:8
	ds_write2_b32 v0, v4, v5 offset0:16 offset1:24
	ds_write2_b32 v0, v2, v3 offset0:32 offset1:40
	;; [unrolled: 1-line block ×11, first 2 shown]
.LBB207_102:
	s_or_b64 exec, exec, s[0:1]
	v_cmp_gt_u32_e32 vcc, 64, v27
	s_waitcnt lgkmcnt(0)
	s_barrier
	s_and_saveexec_b64 s[0:1], vcc
	s_cbranch_execz .LBB207_129
; %bb.103:
	scratch_load_dword v0, off, off offset:116 ; 4-byte Folded Reload
	s_waitcnt vmcnt(0)
	v_cmp_eq_u32_e32 vcc, 0, v0
	v_lshrrev_b32_e32 v0, 3, v27
	s_and_saveexec_b64 s[2:3], vcc
	s_cbranch_execnz .LBB207_132
; %bb.104:
	s_or_b64 exec, exec, s[2:3]
	s_and_saveexec_b64 s[2:3], vcc
	s_cbranch_execnz .LBB207_133
.LBB207_105:
	s_or_b64 exec, exec, s[2:3]
	s_and_saveexec_b64 s[2:3], vcc
	s_cbranch_execnz .LBB207_134
.LBB207_106:
	s_or_b64 exec, exec, s[2:3]
	s_and_saveexec_b64 s[2:3], vcc
	s_cbranch_execnz .LBB207_135
.LBB207_107:
	s_or_b64 exec, exec, s[2:3]
	s_and_saveexec_b64 s[2:3], vcc
	s_cbranch_execnz .LBB207_136
.LBB207_108:
	s_or_b64 exec, exec, s[2:3]
	s_and_saveexec_b64 s[2:3], vcc
	s_cbranch_execnz .LBB207_137
.LBB207_109:
	s_or_b64 exec, exec, s[2:3]
	s_and_saveexec_b64 s[2:3], vcc
	s_cbranch_execnz .LBB207_138
.LBB207_110:
	s_or_b64 exec, exec, s[2:3]
	s_and_saveexec_b64 s[2:3], vcc
	s_cbranch_execnz .LBB207_139
.LBB207_111:
	s_or_b64 exec, exec, s[2:3]
	s_and_saveexec_b64 s[2:3], vcc
	s_cbranch_execnz .LBB207_140
.LBB207_112:
	s_or_b64 exec, exec, s[2:3]
	s_and_saveexec_b64 s[2:3], vcc
	s_cbranch_execnz .LBB207_141
.LBB207_113:
	s_or_b64 exec, exec, s[2:3]
	s_and_saveexec_b64 s[2:3], vcc
	s_cbranch_execnz .LBB207_142
.LBB207_114:
	s_or_b64 exec, exec, s[2:3]
	s_and_saveexec_b64 s[2:3], vcc
	s_cbranch_execnz .LBB207_143
.LBB207_115:
	s_or_b64 exec, exec, s[2:3]
	s_and_saveexec_b64 s[2:3], vcc
	s_cbranch_execnz .LBB207_144
.LBB207_116:
	s_or_b64 exec, exec, s[2:3]
	s_and_saveexec_b64 s[2:3], vcc
	s_cbranch_execnz .LBB207_145
.LBB207_117:
	s_or_b64 exec, exec, s[2:3]
	s_and_saveexec_b64 s[2:3], vcc
	s_cbranch_execnz .LBB207_146
.LBB207_118:
	s_or_b64 exec, exec, s[2:3]
	s_and_saveexec_b64 s[2:3], vcc
	s_cbranch_execnz .LBB207_147
.LBB207_119:
	s_or_b64 exec, exec, s[2:3]
	s_and_saveexec_b64 s[2:3], vcc
	s_cbranch_execnz .LBB207_148
.LBB207_120:
	s_or_b64 exec, exec, s[2:3]
	s_and_saveexec_b64 s[2:3], vcc
	s_cbranch_execnz .LBB207_149
.LBB207_121:
	s_or_b64 exec, exec, s[2:3]
	s_and_saveexec_b64 s[2:3], vcc
	s_cbranch_execnz .LBB207_150
.LBB207_122:
	s_or_b64 exec, exec, s[2:3]
	s_and_saveexec_b64 s[2:3], vcc
	s_cbranch_execnz .LBB207_151
.LBB207_123:
	s_or_b64 exec, exec, s[2:3]
	s_and_saveexec_b64 s[2:3], vcc
	s_cbranch_execnz .LBB207_152
.LBB207_124:
	s_or_b64 exec, exec, s[2:3]
	s_and_saveexec_b64 s[2:3], vcc
	s_cbranch_execnz .LBB207_153
.LBB207_125:
	s_or_b64 exec, exec, s[2:3]
	s_and_saveexec_b64 s[2:3], vcc
	s_cbranch_execnz .LBB207_154
.LBB207_126:
	s_or_b64 exec, exec, s[2:3]
	s_and_saveexec_b64 s[2:3], vcc
	s_cbranch_execz .LBB207_128
.LBB207_127:
	v_mov_b32_e32 v1, 0x310
	v_lshl_add_u32 v0, v0, 2, v1
	ds_read_b32 v0, v0 offset:736
	s_waitcnt lgkmcnt(0)
	v_add_f32_e32 v25, v25, v0
.LBB207_128:
	s_or_b64 exec, exec, s[2:3]
.LBB207_129:
	s_or_b64 exec, exec, s[0:1]
	v_cmp_eq_u32_e32 vcc, 0, v26
	s_barrier
	s_and_saveexec_b64 s[0:1], vcc
	s_cbranch_execz .LBB207_131
; %bb.130:
	s_mul_i32 s0, s10, s11
	s_mul_i32 s0, s0, s5
	s_mulk_i32 s0, 0xc0
	s_ashr_i32 s1, s0, 31
	s_lshl_b64 s[0:1], s[0:1], 2
	s_add_u32 s2, s26, s0
	s_mul_i32 s0, s11, s24
	s_addc_u32 s3, s27, s1
	s_ashr_i32 s1, s0, 31
	s_lshl_b64 s[0:1], s[0:1], 2
	s_add_u32 s2, s2, s0
	s_mul_i32 s0, s4, 0xc0
	s_addc_u32 s3, s3, s1
	s_ashr_i32 s1, s0, 31
	s_lshl_b64 s[0:1], s[0:1], 2
	s_add_u32 s0, s2, s0
	s_addc_u32 s1, s3, s1
	v_lshrrev_b32_e32 v0, 1, v27
	global_store_dword v0, v22, s[0:1]
	global_store_dword v0, v23, s[0:1] offset:32
	global_store_dword v0, v4, s[0:1] offset:64
	;; [unrolled: 1-line block ×23, first 2 shown]
.LBB207_131:
	s_endpgm
.LBB207_132:
	v_mov_b32_e32 v1, 0x310
	v_lshl_add_u32 v1, v0, 2, v1
	ds_read_b32 v1, v1
	s_waitcnt lgkmcnt(0)
	v_add_f32_e32 v22, v22, v1
	s_or_b64 exec, exec, s[2:3]
	s_and_saveexec_b64 s[2:3], vcc
	s_cbranch_execz .LBB207_105
.LBB207_133:
	v_mov_b32_e32 v1, 0x310
	v_lshl_add_u32 v1, v0, 2, v1
	ds_read_b32 v1, v1 offset:32
	s_waitcnt lgkmcnt(0)
	v_add_f32_e32 v23, v23, v1
	s_or_b64 exec, exec, s[2:3]
	s_and_saveexec_b64 s[2:3], vcc
	s_cbranch_execz .LBB207_106
.LBB207_134:
	v_mov_b32_e32 v1, 0x310
	v_lshl_add_u32 v1, v0, 2, v1
	ds_read_b32 v1, v1 offset:64
	s_waitcnt lgkmcnt(0)
	v_add_f32_e32 v4, v4, v1
	s_or_b64 exec, exec, s[2:3]
	s_and_saveexec_b64 s[2:3], vcc
	s_cbranch_execz .LBB207_107
.LBB207_135:
	v_mov_b32_e32 v1, 0x310
	v_lshl_add_u32 v1, v0, 2, v1
	ds_read_b32 v1, v1 offset:96
	s_waitcnt lgkmcnt(0)
	v_add_f32_e32 v5, v5, v1
	s_or_b64 exec, exec, s[2:3]
	s_and_saveexec_b64 s[2:3], vcc
	s_cbranch_execz .LBB207_108
.LBB207_136:
	v_mov_b32_e32 v1, 0x310
	v_lshl_add_u32 v1, v0, 2, v1
	ds_read_b32 v1, v1 offset:128
	s_waitcnt lgkmcnt(0)
	v_add_f32_e32 v2, v2, v1
	s_or_b64 exec, exec, s[2:3]
	s_and_saveexec_b64 s[2:3], vcc
	s_cbranch_execz .LBB207_109
.LBB207_137:
	v_mov_b32_e32 v1, 0x310
	v_lshl_add_u32 v1, v0, 2, v1
	ds_read_b32 v1, v1 offset:160
	s_waitcnt lgkmcnt(0)
	v_add_f32_e32 v3, v3, v1
	s_or_b64 exec, exec, s[2:3]
	s_and_saveexec_b64 s[2:3], vcc
	s_cbranch_execz .LBB207_110
.LBB207_138:
	v_mov_b32_e32 v1, 0x310
	v_lshl_add_u32 v1, v0, 2, v1
	ds_read_b32 v1, v1 offset:192
	s_waitcnt lgkmcnt(0)
	v_add_f32_e32 v20, v20, v1
	s_or_b64 exec, exec, s[2:3]
	s_and_saveexec_b64 s[2:3], vcc
	s_cbranch_execz .LBB207_111
.LBB207_139:
	v_mov_b32_e32 v1, 0x310
	v_lshl_add_u32 v1, v0, 2, v1
	ds_read_b32 v1, v1 offset:224
	s_waitcnt lgkmcnt(0)
	v_add_f32_e32 v21, v21, v1
	s_or_b64 exec, exec, s[2:3]
	s_and_saveexec_b64 s[2:3], vcc
	s_cbranch_execz .LBB207_112
.LBB207_140:
	v_mov_b32_e32 v1, 0x310
	v_lshl_add_u32 v1, v0, 2, v1
	ds_read_b32 v1, v1 offset:256
	s_waitcnt lgkmcnt(0)
	v_add_f32_e32 v18, v18, v1
	s_or_b64 exec, exec, s[2:3]
	s_and_saveexec_b64 s[2:3], vcc
	s_cbranch_execz .LBB207_113
.LBB207_141:
	v_mov_b32_e32 v1, 0x310
	v_lshl_add_u32 v1, v0, 2, v1
	ds_read_b32 v1, v1 offset:288
	s_waitcnt lgkmcnt(0)
	v_add_f32_e32 v19, v19, v1
	s_or_b64 exec, exec, s[2:3]
	s_and_saveexec_b64 s[2:3], vcc
	s_cbranch_execz .LBB207_114
.LBB207_142:
	v_mov_b32_e32 v1, 0x310
	v_lshl_add_u32 v1, v0, 2, v1
	ds_read_b32 v1, v1 offset:320
	s_waitcnt lgkmcnt(0)
	v_add_f32_e32 v16, v16, v1
	s_or_b64 exec, exec, s[2:3]
	s_and_saveexec_b64 s[2:3], vcc
	s_cbranch_execz .LBB207_115
.LBB207_143:
	v_mov_b32_e32 v1, 0x310
	v_lshl_add_u32 v1, v0, 2, v1
	ds_read_b32 v1, v1 offset:352
	s_waitcnt lgkmcnt(0)
	v_add_f32_e32 v17, v17, v1
	s_or_b64 exec, exec, s[2:3]
	s_and_saveexec_b64 s[2:3], vcc
	s_cbranch_execz .LBB207_116
.LBB207_144:
	v_mov_b32_e32 v1, 0x310
	v_lshl_add_u32 v1, v0, 2, v1
	ds_read_b32 v1, v1 offset:384
	s_waitcnt lgkmcnt(0)
	v_add_f32_e32 v14, v14, v1
	s_or_b64 exec, exec, s[2:3]
	s_and_saveexec_b64 s[2:3], vcc
	s_cbranch_execz .LBB207_117
.LBB207_145:
	v_mov_b32_e32 v1, 0x310
	v_lshl_add_u32 v1, v0, 2, v1
	ds_read_b32 v1, v1 offset:416
	s_waitcnt lgkmcnt(0)
	v_add_f32_e32 v15, v15, v1
	s_or_b64 exec, exec, s[2:3]
	s_and_saveexec_b64 s[2:3], vcc
	s_cbranch_execz .LBB207_118
.LBB207_146:
	v_mov_b32_e32 v1, 0x310
	v_lshl_add_u32 v1, v0, 2, v1
	ds_read_b32 v1, v1 offset:448
	s_waitcnt lgkmcnt(0)
	v_add_f32_e32 v12, v12, v1
	s_or_b64 exec, exec, s[2:3]
	s_and_saveexec_b64 s[2:3], vcc
	s_cbranch_execz .LBB207_119
.LBB207_147:
	v_mov_b32_e32 v1, 0x310
	v_lshl_add_u32 v1, v0, 2, v1
	ds_read_b32 v1, v1 offset:480
	s_waitcnt lgkmcnt(0)
	v_add_f32_e32 v13, v13, v1
	s_or_b64 exec, exec, s[2:3]
	s_and_saveexec_b64 s[2:3], vcc
	s_cbranch_execz .LBB207_120
.LBB207_148:
	v_mov_b32_e32 v1, 0x310
	v_lshl_add_u32 v1, v0, 2, v1
	ds_read_b32 v1, v1 offset:512
	s_waitcnt lgkmcnt(0)
	v_add_f32_e32 v10, v10, v1
	s_or_b64 exec, exec, s[2:3]
	s_and_saveexec_b64 s[2:3], vcc
	s_cbranch_execz .LBB207_121
.LBB207_149:
	v_mov_b32_e32 v1, 0x310
	v_lshl_add_u32 v1, v0, 2, v1
	ds_read_b32 v1, v1 offset:544
	s_waitcnt lgkmcnt(0)
	v_add_f32_e32 v11, v11, v1
	s_or_b64 exec, exec, s[2:3]
	s_and_saveexec_b64 s[2:3], vcc
	s_cbranch_execz .LBB207_122
.LBB207_150:
	v_mov_b32_e32 v1, 0x310
	v_lshl_add_u32 v1, v0, 2, v1
	ds_read_b32 v1, v1 offset:576
	s_waitcnt lgkmcnt(0)
	v_add_f32_e32 v8, v8, v1
	s_or_b64 exec, exec, s[2:3]
	s_and_saveexec_b64 s[2:3], vcc
	s_cbranch_execz .LBB207_123
.LBB207_151:
	v_mov_b32_e32 v1, 0x310
	v_lshl_add_u32 v1, v0, 2, v1
	ds_read_b32 v1, v1 offset:608
	s_waitcnt lgkmcnt(0)
	v_add_f32_e32 v9, v9, v1
	s_or_b64 exec, exec, s[2:3]
	s_and_saveexec_b64 s[2:3], vcc
	s_cbranch_execz .LBB207_124
.LBB207_152:
	v_mov_b32_e32 v1, 0x310
	v_lshl_add_u32 v1, v0, 2, v1
	ds_read_b32 v1, v1 offset:640
	s_waitcnt lgkmcnt(0)
	v_add_f32_e32 v6, v6, v1
	s_or_b64 exec, exec, s[2:3]
	s_and_saveexec_b64 s[2:3], vcc
	s_cbranch_execz .LBB207_125
.LBB207_153:
	v_mov_b32_e32 v1, 0x310
	v_lshl_add_u32 v1, v0, 2, v1
	ds_read_b32 v1, v1 offset:672
	s_waitcnt lgkmcnt(0)
	v_add_f32_e32 v7, v7, v1
	s_or_b64 exec, exec, s[2:3]
	s_and_saveexec_b64 s[2:3], vcc
	s_cbranch_execz .LBB207_126
.LBB207_154:
	v_mov_b32_e32 v1, 0x310
	v_lshl_add_u32 v1, v0, 2, v1
	ds_read_b32 v1, v1 offset:704
	s_waitcnt lgkmcnt(0)
	v_add_f32_e32 v24, v24, v1
	s_or_b64 exec, exec, s[2:3]
	s_and_saveexec_b64 s[2:3], vcc
	s_cbranch_execnz .LBB207_127
	s_branch .LBB207_128
	.section	.rodata,"a",@progbits
	.p2align	6, 0x0
	.amdhsa_kernel _ZN4vllm25paged_attention_v1_kernelIfhLi192ELi32ELi128ELNS_18Fp8KVCacheDataTypeE1ELb1EEEvPT_PKS2_PKT0_S8_ifPKiSA_iPKfiiiSC_SC_iiiii
		.amdhsa_group_segment_fixed_size 784
		.amdhsa_private_segment_fixed_size 140
		.amdhsa_kernarg_size 384
		.amdhsa_user_sgpr_count 2
		.amdhsa_user_sgpr_dispatch_ptr 0
		.amdhsa_user_sgpr_queue_ptr 0
		.amdhsa_user_sgpr_kernarg_segment_ptr 1
		.amdhsa_user_sgpr_dispatch_id 0
		.amdhsa_user_sgpr_kernarg_preload_length 0
		.amdhsa_user_sgpr_kernarg_preload_offset 0
		.amdhsa_user_sgpr_private_segment_size 0
		.amdhsa_uses_dynamic_stack 0
		.amdhsa_enable_private_segment 1
		.amdhsa_system_sgpr_workgroup_id_x 1
		.amdhsa_system_sgpr_workgroup_id_y 1
		.amdhsa_system_sgpr_workgroup_id_z 1
		.amdhsa_system_sgpr_workgroup_info 0
		.amdhsa_system_vgpr_workitem_id 0
		.amdhsa_next_free_vgpr 128
		.amdhsa_next_free_sgpr 58
		.amdhsa_accum_offset 128
		.amdhsa_reserve_vcc 1
		.amdhsa_float_round_mode_32 0
		.amdhsa_float_round_mode_16_64 0
		.amdhsa_float_denorm_mode_32 3
		.amdhsa_float_denorm_mode_16_64 3
		.amdhsa_dx10_clamp 1
		.amdhsa_ieee_mode 1
		.amdhsa_fp16_overflow 0
		.amdhsa_tg_split 0
		.amdhsa_exception_fp_ieee_invalid_op 0
		.amdhsa_exception_fp_denorm_src 0
		.amdhsa_exception_fp_ieee_div_zero 0
		.amdhsa_exception_fp_ieee_overflow 0
		.amdhsa_exception_fp_ieee_underflow 0
		.amdhsa_exception_fp_ieee_inexact 0
		.amdhsa_exception_int_div_zero 0
	.end_amdhsa_kernel
	.section	.text._ZN4vllm25paged_attention_v1_kernelIfhLi192ELi32ELi128ELNS_18Fp8KVCacheDataTypeE1ELb1EEEvPT_PKS2_PKT0_S8_ifPKiSA_iPKfiiiSC_SC_iiiii,"axG",@progbits,_ZN4vllm25paged_attention_v1_kernelIfhLi192ELi32ELi128ELNS_18Fp8KVCacheDataTypeE1ELb1EEEvPT_PKS2_PKT0_S8_ifPKiSA_iPKfiiiSC_SC_iiiii,comdat
.Lfunc_end207:
	.size	_ZN4vllm25paged_attention_v1_kernelIfhLi192ELi32ELi128ELNS_18Fp8KVCacheDataTypeE1ELb1EEEvPT_PKS2_PKT0_S8_ifPKiSA_iPKfiiiSC_SC_iiiii, .Lfunc_end207-_ZN4vllm25paged_attention_v1_kernelIfhLi192ELi32ELi128ELNS_18Fp8KVCacheDataTypeE1ELb1EEEvPT_PKS2_PKT0_S8_ifPKiSA_iPKfiiiSC_SC_iiiii
                                        ; -- End function
	.section	.AMDGPU.csdata,"",@progbits
; Kernel info:
; codeLenInByte = 12456
; NumSgprs: 64
; NumVgprs: 128
; NumAgprs: 0
; TotalNumVgprs: 128
; ScratchSize: 140
; MemoryBound: 0
; FloatMode: 240
; IeeeMode: 1
; LDSByteSize: 784 bytes/workgroup (compile time only)
; SGPRBlocks: 7
; VGPRBlocks: 15
; NumSGPRsForWavesPerEU: 64
; NumVGPRsForWavesPerEU: 128
; AccumOffset: 128
; Occupancy: 4
; WaveLimiterHint : 1
; COMPUTE_PGM_RSRC2:SCRATCH_EN: 1
; COMPUTE_PGM_RSRC2:USER_SGPR: 2
; COMPUTE_PGM_RSRC2:TRAP_HANDLER: 0
; COMPUTE_PGM_RSRC2:TGID_X_EN: 1
; COMPUTE_PGM_RSRC2:TGID_Y_EN: 1
; COMPUTE_PGM_RSRC2:TGID_Z_EN: 1
; COMPUTE_PGM_RSRC2:TIDIG_COMP_CNT: 0
; COMPUTE_PGM_RSRC3_GFX90A:ACCUM_OFFSET: 31
; COMPUTE_PGM_RSRC3_GFX90A:TG_SPLIT: 0
	.section	.text._ZN4vllm25paged_attention_v1_kernelIfhLi256ELi32ELi128ELNS_18Fp8KVCacheDataTypeE1ELb1EEEvPT_PKS2_PKT0_S8_ifPKiSA_iPKfiiiSC_SC_iiiii,"axG",@progbits,_ZN4vllm25paged_attention_v1_kernelIfhLi256ELi32ELi128ELNS_18Fp8KVCacheDataTypeE1ELb1EEEvPT_PKS2_PKT0_S8_ifPKiSA_iPKfiiiSC_SC_iiiii,comdat
	.protected	_ZN4vllm25paged_attention_v1_kernelIfhLi256ELi32ELi128ELNS_18Fp8KVCacheDataTypeE1ELb1EEEvPT_PKS2_PKT0_S8_ifPKiSA_iPKfiiiSC_SC_iiiii ; -- Begin function _ZN4vllm25paged_attention_v1_kernelIfhLi256ELi32ELi128ELNS_18Fp8KVCacheDataTypeE1ELb1EEEvPT_PKS2_PKT0_S8_ifPKiSA_iPKfiiiSC_SC_iiiii
	.globl	_ZN4vllm25paged_attention_v1_kernelIfhLi256ELi32ELi128ELNS_18Fp8KVCacheDataTypeE1ELb1EEEvPT_PKS2_PKT0_S8_ifPKiSA_iPKfiiiSC_SC_iiiii
	.p2align	8
	.type	_ZN4vllm25paged_attention_v1_kernelIfhLi256ELi32ELi128ELNS_18Fp8KVCacheDataTypeE1ELb1EEEvPT_PKS2_PKT0_S8_ifPKiSA_iPKfiiiSC_SC_iiiii,@function
_ZN4vllm25paged_attention_v1_kernelIfhLi256ELi32ELi128ELNS_18Fp8KVCacheDataTypeE1ELb1EEEvPT_PKS2_PKT0_S8_ifPKiSA_iPKfiiiSC_SC_iiiii: ; @_ZN4vllm25paged_attention_v1_kernelIfhLi256ELi32ELi128ELNS_18Fp8KVCacheDataTypeE1ELb1EEEvPT_PKS2_PKT0_S8_ifPKiSA_iPKfiiiSC_SC_iiiii
; %bb.0:
	scratch_store_dword off, v0, off offset:188 ; 4-byte Folded Spill
	s_load_dword s5, s[0:1], 0x80
	s_load_dwordx2 s[6:7], s[0:1], 0x30
	s_load_dwordx2 s[36:37], s[0:1], 0x20
	s_mov_b32 s10, s3
	s_ashr_i32 s11, s3, 31
	s_lshl_b64 s[8:9], s[10:11], 2
	s_waitcnt lgkmcnt(0)
	s_add_u32 s6, s6, s8
	s_addc_u32 s7, s7, s9
	s_abs_i32 s3, s36
	v_cvt_f32_u32_e32 v0, s3
	s_sub_i32 s11, 0, s3
	s_abs_i32 s9, s5
	s_xor_b32 s8, s5, s36
	v_rcp_iflag_f32_e32 v0, v0
	s_ashr_i32 s8, s8, 31
	s_mov_b32 s61, 0
	v_mul_f32_e32 v0, 0x4f7ffffe, v0
	v_cvt_u32_f32_e32 v0, v0
	s_nop 0
	v_readfirstlane_b32 s12, v0
	s_mul_i32 s11, s11, s12
	s_mul_hi_u32 s11, s12, s11
	s_add_i32 s12, s12, s11
	s_mul_hi_u32 s11, s9, s12
	s_mul_i32 s12, s11, s3
	s_sub_i32 s9, s9, s12
	s_add_i32 s12, s11, 1
	s_sub_i32 s13, s9, s3
	s_cmp_ge_u32 s9, s3
	s_cselect_b32 s11, s12, s11
	s_cselect_b32 s9, s13, s9
	s_add_i32 s12, s11, 1
	s_cmp_ge_u32 s9, s3
	s_cselect_b32 s3, s12, s11
	s_xor_b32 s3, s3, s8
	s_sub_i32 s14, s3, s8
	s_abs_i32 s11, s14
	v_cvt_f32_u32_e32 v0, s11
	s_load_dwordx2 s[8:9], s[0:1], 0x40
	s_sub_i32 s3, 0, s11
	s_abs_i32 s12, s2
	v_rcp_iflag_f32_e32 v0, v0
	s_nop 0
	v_mul_f32_e32 v0, 0x4f7ffffe, v0
	v_cvt_u32_f32_e32 v0, v0
	s_nop 0
	v_readfirstlane_b32 s13, v0
	s_mul_i32 s3, s3, s13
	s_mul_hi_u32 s3, s13, s3
	s_add_i32 s13, s13, s3
	s_waitcnt lgkmcnt(0)
	s_cmp_eq_u64 s[8:9], 0
	s_mul_hi_u32 s13, s12, s13
	s_cbranch_scc1 .LBB208_2
; %bb.1:
	s_ashr_i32 s3, s2, 31
	s_lshl_b64 s[16:17], s[2:3], 2
	s_add_u32 s8, s8, s16
	s_addc_u32 s9, s9, s17
	s_load_dword s61, s[8:9], 0x0
.LBB208_2:
	scratch_load_dword v1, off, off offset:188 ; 4-byte Folded Reload
	s_load_dword s33, s[6:7], 0x0
	s_load_dwordx4 s[20:23], s[0:1], 0x48
	s_movk_i32 s3, 0x80
	s_ashr_i32 s8, s2, 31
	s_ashr_i32 s9, s14, 31
	s_lshl_b32 s24, s2, 8
	s_waitcnt vmcnt(0)
	v_and_b32_e32 v0, 1, v1
	v_cmp_gt_u32_e32 vcc, s3, v1
	v_lshlrev_b32_e32 v38, 2, v1
	s_and_saveexec_b64 s[6:7], vcc
	s_cbranch_execz .LBB208_4
; %bb.3:
	scratch_load_dword v1, off, off offset:188 ; 4-byte Folded Reload
	s_load_dwordx2 s[14:15], s[0:1], 0x8
	s_waitcnt lgkmcnt(0)
	s_mul_i32 s16, s10, s20
	s_ashr_i32 s17, s16, 31
	s_lshl_b64 s[16:17], s[16:17], 2
	s_add_u32 s3, s14, s16
	s_addc_u32 s16, s15, s17
	s_ashr_i32 s25, s24, 31
	s_lshl_b64 s[14:15], s[24:25], 2
	s_add_u32 s14, s3, s14
	s_addc_u32 s15, s16, s15
	s_waitcnt vmcnt(0)
	v_lshlrev_b32_e32 v1, 3, v1
	global_load_dwordx2 v[2:3], v1, s[14:15]
	v_and_b32_e32 v1, 0xff8, v38
	v_lshl_add_u32 v1, v0, 9, v1
	s_waitcnt vmcnt(0)
	ds_write_b64 v1, v[2:3]
.LBB208_4:
	s_or_b64 exec, exec, s[6:7]
	s_mul_i32 s7, s13, s11
	s_sub_i32 s7, s12, s7
	s_xor_b32 s6, s8, s9
	s_add_i32 s8, s13, 1
	s_sub_i32 s9, s7, s11
	s_load_dwordx4 s[16:19], s[0:1], 0x68
	s_load_dword s3, s[0:1], 0x78
	s_cmp_ge_u32 s7, s11
	s_cselect_b32 s8, s8, s13
	s_cselect_b32 s7, s9, s7
	s_add_i32 s9, s8, 1
	s_cmp_ge_u32 s7, s11
	s_cselect_b32 s7, s9, s8
	s_waitcnt lgkmcnt(0)
	s_abs_i32 s20, s19
	v_cvt_f32_u32_e32 v1, s20
	s_xor_b32 s7, s7, s6
	s_sub_i32 s60, s7, s6
	s_sub_i32 s6, 0, s20
	v_rcp_iflag_f32_e32 v1, v1
	s_add_i32 s11, s33, -1
	s_abs_i32 s8, s11
	v_mul_f32_e32 v1, 0x4f7ffffe, v1
	v_cvt_u32_f32_e32 v1, v1
	s_barrier
	v_readfirstlane_b32 s25, v1
	s_mul_i32 s6, s6, s25
	s_mul_hi_u32 s6, s25, s6
	s_add_i32 s25, s25, s6
	s_cmp_lt_i32 s3, 0
	s_mul_hi_u32 s9, s8, s25
	s_cbranch_scc0 .LBB208_6
; %bb.5:
	s_mul_i32 s6, s16, s36
	s_add_i32 s6, s60, s6
	s_mul_i32 s6, s6, s3
	s_sub_i32 s36, 1, s6
	s_mov_b64 s[6:7], 0
	s_branch .LBB208_7
.LBB208_6:
	s_mov_b64 s[6:7], -1
                                        ; implicit-def: $sgpr36
.LBB208_7:
	s_load_dwordx2 s[28:29], s[0:1], 0x28
	s_ashr_i32 s23, s11, 31
	s_andn2_b64 vcc, exec, s[6:7]
	s_ashr_i32 s58, s19, 31
	s_cbranch_vccnz .LBB208_9
; %bb.8:
	s_mul_i32 s6, s5, s16
	s_add_i32 s2, s6, s2
	s_mul_i32 s2, s2, s3
	s_add_i32 s36, s2, 1
.LBB208_9:
	s_load_dword s2, s[0:1], 0x38
	s_load_dwordx2 s[26:27], s[0:1], 0x0
	s_load_dwordx2 s[34:35], s[0:1], 0x18
	s_load_dword s11, s[0:1], 0x88
	s_load_dwordx4 s[12:15], s[0:1], 0x58
	scratch_load_dword v1, off, off offset:188 ; 4-byte Folded Reload
	s_mul_i32 s3, s9, s20
	s_waitcnt lgkmcnt(0)
	s_mul_i32 s30, s10, s2
	s_sub_i32 s3, s8, s3
	s_ashr_i32 s31, s30, 31
	s_xor_b32 s2, s23, s58
	s_add_i32 s6, s9, 1
	s_sub_i32 s7, s3, s20
	s_cmp_ge_u32 s3, s20
	s_cselect_b32 s6, s6, s9
	s_cselect_b32 s3, s7, s3
	s_add_i32 s7, s6, 1
	s_cmp_ge_u32 s3, s20
	s_cselect_b32 s3, s7, s6
	s_xor_b32 s3, s3, s2
	s_sub_i32 s19, s3, s2
	s_add_i32 s2, s33, 31
	s_ashr_i32 s3, s2, 31
	s_lshr_b32 s3, s3, 27
	s_add_i32 s2, s2, s3
	s_ashr_i32 s59, s2, 5
	v_mov_b32_e32 v44, 0xff7fffff
	s_mul_i32 s60, s60, s22
	v_mbcnt_lo_u32_b32 v40, -1, 0
	s_waitcnt vmcnt(0)
	v_lshrrev_b32_e32 v82, 6, v1
	v_cmp_gt_i32_e64 s[6:7], s59, v82
	v_lshrrev_b32_e32 v39, 4, v1
	v_lshlrev_b32_e32 v83, 5, v82
	s_and_saveexec_b64 s[22:23], s[6:7]
	s_cbranch_execz .LBB208_19
; %bb.10:
	scratch_load_dword v2, off, off offset:188 ; 4-byte Folded Reload
	s_load_dwordx2 s[0:1], s[0:1], 0x10
	s_sub_i32 s62, s19, s17
	s_ashr_i32 s2, s60, 31
	v_mov_b32_e32 v33, 0
	v_cmp_eq_u32_e32 vcc, 0, v0
	s_waitcnt lgkmcnt(0)
	s_add_u32 s0, s0, s60
	s_addc_u32 s1, s1, s2
	s_abs_i32 s63, s18
	v_cvt_f32_u32_e32 v1, s63
	v_lshlrev_b32_e32 v42, 9, v0
	v_mbcnt_hi_u32_b32 v49, -1, v40
	s_mov_b32 s64, s21
	v_rcp_iflag_f32_e32 v1, v1
	v_cmp_neq_f32_e64 s[2:3], s61, 0
	v_lshlrev_b32_e32 v45, 5, v82
	s_mov_b64 s[38:39], 0
	v_mul_f32_e32 v1, 0x4f7ffffe, v1
	v_cvt_u32_f32_e32 v1, v1
	v_mov_b32_e32 v48, 0xff7fffff
	s_mov_b64 s[40:41], 0x1000
	s_movk_i32 s65, 0x1000
	s_mov_b64 s[42:43], 0x1200
	s_mov_b64 s[44:45], 0x1400
	;; [unrolled: 1-line block ×7, first 2 shown]
	v_xor_b32_e32 v50, 1, v49
	v_mov_b32_e32 v44, 0xff7fffff
	v_mov_b32_e32 v52, v82
	s_waitcnt vmcnt(0)
	v_bfe_u32 v41, v2, 1, 5
	v_lshlrev_b32_e32 v32, 4, v41
	v_lshl_add_u64 v[34:35], s[0:1], 0, v[32:33]
	s_sub_i32 s0, 0, s63
	v_lshlrev_b32_e32 v32, 1, v0
	v_mul_lo_u32 v0, s0, v1
	s_lshl_b64 s[0:1], s[30:31], 2
	v_mul_hi_u32 v0, v1, v0
	s_add_u32 s0, s28, s0
	v_add_u32_e32 v43, v1, v0
	v_and_b32_e32 v0, 60, v39
	v_mov_b32_e32 v1, v33
	s_addc_u32 s1, s29, s1
	v_lshl_add_u64 v[36:37], s[0:1], 0, v[0:1]
	v_lshlrev_b32_e32 v0, 2, v41
	v_lshl_or_b32 v0, v82, 7, v0
	v_add_u32_e32 v46, 0x410, v0
	v_subrev_u32_e32 v0, s33, v41
	v_add_u32_e32 v47, 1, v0
	v_and_b32_e32 v0, 64, v49
	v_add_u32_e32 v51, 64, v0
	s_branch .LBB208_13
.LBB208_11:                             ;   in Loop: Header=BB208_13 Depth=1
	s_or_b64 exec, exec, s[56:57]
.LBB208_12:                             ;   in Loop: Header=BB208_13 Depth=1
	s_or_b64 exec, exec, s[8:9]
	v_add_u32_e32 v52, 2, v52
	v_cmp_le_i32_e64 s[0:1], s59, v52
	v_lshl_add_u64 v[36:37], v[36:37], 0, 8
	v_add_u32_e32 v45, 64, v45
	s_or_b64 s[38:39], s[0:1], s[38:39]
	v_add_u32_e32 v46, 0x100, v46
	s_andn2_b64 exec, exec, s[38:39]
	s_cbranch_execz .LBB208_18
.LBB208_13:                             ; =>This Inner Loop Header: Depth=1
	v_mul_hi_u32 v0, v45, s25
	s_waitcnt lgkmcnt(0)
	v_mul_lo_u32 v1, v0, s20
	v_sub_u32_e32 v1, v45, v1
	v_add_u32_e32 v2, 1, v0
	v_cmp_le_u32_e64 s[0:1], s20, v1
	s_nop 1
	v_cndmask_b32_e64 v0, v0, v2, s[0:1]
	v_subrev_u32_e32 v2, s20, v1
	v_cndmask_b32_e64 v1, v1, v2, s[0:1]
	v_add_u32_e32 v2, 1, v0
	v_cmp_le_u32_e64 s[0:1], s20, v1
	s_nop 1
	v_cndmask_b32_e64 v0, v0, v2, s[0:1]
	v_xor_b32_e32 v0, s58, v0
	v_subrev_u32_e32 v0, s58, v0
	v_add_u32_e32 v1, s36, v0
	v_sub_u32_e32 v3, 0, v1
	v_ashrrev_i32_e32 v2, 31, v1
	v_max_i32_e32 v1, v1, v3
	v_mul_hi_u32 v3, v1, v43
	v_mul_lo_u32 v3, v3, s63
	v_sub_u32_e32 v1, v1, v3
	v_subrev_u32_e32 v3, s63, v1
	v_cmp_le_u32_e64 s[0:1], s63, v1
	v_cmp_ge_i32_e64 s[8:9], s62, v0
	s_nop 0
	v_cndmask_b32_e64 v1, v1, v3, s[0:1]
	v_subrev_u32_e32 v3, s63, v1
	v_cmp_le_u32_e64 s[0:1], s63, v1
	s_nop 1
	v_cndmask_b32_e64 v1, v1, v3, s[0:1]
	v_xor_b32_e32 v1, v1, v2
	v_sub_u32_e32 v1, v1, v2
	v_cmp_ne_u32_e64 s[0:1], 0, v1
	s_and_b64 s[0:1], s[0:1], s[8:9]
	s_and_b64 s[56:57], vcc, s[0:1]
	s_and_saveexec_b64 s[8:9], s[56:57]
	s_cbranch_execz .LBB208_15
; %bb.14:                               ;   in Loop: Header=BB208_13 Depth=1
	ds_write_b32 v46, v48
.LBB208_15:                             ;   in Loop: Header=BB208_13 Depth=1
	s_or_b64 exec, exec, s[8:9]
	s_xor_b64 s[0:1], s[0:1], -1
	s_and_saveexec_b64 s[8:9], s[0:1]
	s_cbranch_execz .LBB208_12
; %bb.16:                               ;   in Loop: Header=BB208_13 Depth=1
	global_load_dword v0, v[36:37], off
	s_waitcnt vmcnt(0)
	v_mad_i64_i32 v[0:1], s[0:1], v0, s64, v[34:35]
	v_lshl_add_u64 v[0:1], v[0:1], 0, v[32:33]
	global_load_ushort v10, v[0:1], off
	global_load_ushort v12, v[0:1], off offset:4
	global_load_ushort v14, v[0:1], off offset:8
	;; [unrolled: 1-line block ×13, first 2 shown]
	ds_read_b128 v[2:5], v42
	ds_read_b128 v[28:31], v42 offset:16
	ds_read_b128 v[24:27], v42 offset:32
	;; [unrolled: 1-line block ×5, first 2 shown]
	s_load_dword s16, s[12:13], 0x0
	global_load_ushort v58, v[0:1], off offset:1544
	global_load_ushort v56, v[0:1], off offset:1548
	;; [unrolled: 1-line block ×3, first 2 shown]
	s_waitcnt vmcnt(16)
	v_cvt_pk_f32_fp8_e32 v[10:11], v10
	s_waitcnt vmcnt(15)
	v_cvt_pk_f32_fp8_e32 v[12:13], v12
	;; [unrolled: 2-line block ×4, first 2 shown]
	s_waitcnt lgkmcnt(0)
	v_pk_mul_f32 v[10:11], s[16:17], v[10:11] op_sel_hi:[0,1]
	v_pk_mul_f32 v[12:13], s[16:17], v[12:13] op_sel_hi:[0,1]
	v_mul_f32_e32 v53, v4, v12
	v_mul_f32_e32 v54, v5, v13
	v_fmac_f32_e32 v53, v2, v10
	v_fmac_f32_e32 v54, v3, v11
	ds_read_b128 v[10:13], v42 offset:96
	ds_read_b128 v[2:5], v42 offset:112
	v_pk_mul_f32 v[70:71], s[16:17], v[14:15] op_sel_hi:[0,1]
	v_pk_mul_f32 v[14:15], s[16:17], v[68:69] op_sel_hi:[0,1]
	global_load_ushort v68, v[0:1], off offset:2052
	v_fmac_f32_e32 v53, v28, v70
	v_fmac_f32_e32 v54, v29, v71
	;; [unrolled: 1-line block ×4, first 2 shown]
	s_waitcnt vmcnt(13)
	v_cvt_pk_f32_fp8_e32 v[14:15], v63
	s_waitcnt vmcnt(12)
	v_cvt_pk_f32_fp8_e32 v[28:29], v64
	;; [unrolled: 2-line block ×4, first 2 shown]
	v_pk_mul_f32 v[14:15], s[16:17], v[14:15] op_sel_hi:[0,1]
	v_fmac_f32_e32 v53, v24, v14
	v_fmac_f32_e32 v54, v25, v15
	s_waitcnt vmcnt(9)
	v_cvt_pk_f32_fp8_e32 v[14:15], v66
	global_load_ushort v69, v[0:1], off offset:2056
	global_load_ushort v70, v[0:1], off offset:2060
	;; [unrolled: 1-line block ×4, first 2 shown]
	v_pk_mul_f32 v[24:25], s[16:17], v[28:29] op_sel_hi:[0,1]
	v_pk_mul_f32 v[28:29], s[16:17], v[30:31] op_sel_hi:[0,1]
	v_fmac_f32_e32 v53, v26, v24
	v_fmac_f32_e32 v54, v27, v25
	;; [unrolled: 1-line block ×4, first 2 shown]
	v_pk_mul_f32 v[20:21], s[16:17], v[64:65] op_sel_hi:[0,1]
	v_pk_mul_f32 v[14:15], s[16:17], v[14:15] op_sel_hi:[0,1]
	v_fmac_f32_e32 v53, v22, v20
	v_fmac_f32_e32 v54, v23, v21
	ds_read_b128 v[28:31], v42 offset:128
	ds_read_b128 v[24:27], v42 offset:144
	v_fmac_f32_e32 v53, v16, v14
	v_fmac_f32_e32 v54, v17, v15
	ds_read_b128 v[20:23], v42 offset:160
	ds_read_b128 v[14:17], v42 offset:176
	global_load_ushort v64, v[0:1], off offset:2568
	global_load_ushort v65, v[0:1], off offset:2572
	s_waitcnt vmcnt(14)
	v_cvt_pk_f32_fp8_e32 v[62:63], v62
	global_load_ushort v66, v[0:1], off offset:3072
	global_load_ushort v67, v[0:1], off offset:3076
	;; [unrolled: 1-line block ×8, first 2 shown]
	v_pk_mul_f32 v[62:63], s[16:17], v[62:63] op_sel_hi:[0,1]
	v_fmac_f32_e32 v53, v18, v62
	v_fmac_f32_e32 v54, v19, v63
	s_waitcnt vmcnt(21)
	v_cvt_pk_f32_fp8_e32 v[18:19], v61
	s_waitcnt vmcnt(20)
	v_cvt_pk_f32_fp8_e32 v[60:61], v60
	;; [unrolled: 2-line block ×3, first 2 shown]
	v_pk_mul_f32 v[18:19], s[16:17], v[18:19] op_sel_hi:[0,1]
	v_pk_mul_f32 v[60:61], s[16:17], v[60:61] op_sel_hi:[0,1]
	v_fmac_f32_e32 v53, v6, v18
	v_fmac_f32_e32 v54, v7, v19
	;; [unrolled: 1-line block ×4, first 2 shown]
	v_pk_mul_f32 v[8:9], s[16:17], v[62:63] op_sel_hi:[0,1]
	s_waitcnt lgkmcnt(5)
	v_fmac_f32_e32 v53, v10, v8
	v_add_co_u32_e64 v10, s[0:1], s65, v0
	v_fmac_f32_e32 v54, v11, v9
	s_nop 0
	v_addc_co_u32_e64 v11, s[0:1], 0, v1, s[0:1]
	s_waitcnt vmcnt(18)
	v_cvt_pk_f32_fp8_e32 v[6:7], v55
	global_load_ushort v62, v[10:11], off
	v_lshl_add_u64 v[8:9], v[0:1], 0, s[40:41]
	v_cmp_lt_i32_e64 s[0:1], v50, v51
	v_pk_mul_f32 v[6:7], s[16:17], v[6:7] op_sel_hi:[0,1]
	v_fmac_f32_e32 v53, v12, v6
	v_fmac_f32_e32 v54, v13, v7
	s_waitcnt vmcnt(18)
	v_cvt_pk_f32_fp8_e32 v[6:7], v58
	s_waitcnt vmcnt(17)
	v_cvt_pk_f32_fp8_e32 v[12:13], v56
	global_load_ushort v55, v[8:9], off offset:4
	global_load_ushort v56, v[8:9], off offset:8
	v_lshl_add_u64 v[58:59], v[0:1], 0, s[42:43]
	v_pk_mul_f32 v[6:7], s[16:17], v[6:7] op_sel_hi:[0,1]
	s_waitcnt lgkmcnt(4)
	v_fmac_f32_e32 v53, v2, v6
	v_fmac_f32_e32 v54, v3, v7
	s_waitcnt vmcnt(18)
	v_cvt_pk_f32_fp8_e32 v[2:3], v57
	v_pk_mul_f32 v[6:7], s[16:17], v[12:13] op_sel_hi:[0,1]
	v_fmac_f32_e32 v53, v4, v6
	v_fmac_f32_e32 v54, v5, v7
	v_pk_mul_f32 v[2:3], s[16:17], v[2:3] op_sel_hi:[0,1]
	s_waitcnt lgkmcnt(3)
	v_fmac_f32_e32 v53, v28, v2
	v_fmac_f32_e32 v54, v29, v3
	global_load_ushort v28, v[10:11], off offset:512
	global_load_ushort v19, v[10:11], off offset:1024
	;; [unrolled: 1-line block ×6, first 2 shown]
	v_cndmask_b32_e64 v12, v49, v50, s[0:1]
	v_lshlrev_b32_e32 v12, 2, v12
	s_waitcnt vmcnt(23)
	v_cvt_pk_f32_fp8_e32 v[4:5], v68
	v_pk_mul_f32 v[2:3], s[16:17], v[4:5] op_sel_hi:[0,1]
	v_fmac_f32_e32 v53, v30, v2
	v_fmac_f32_e32 v54, v31, v3
	s_waitcnt vmcnt(22)
	v_cvt_pk_f32_fp8_e32 v[2:3], v69
	s_waitcnt vmcnt(21)
	v_cvt_pk_f32_fp8_e32 v[4:5], v70
	;; [unrolled: 2-line block ×4, first 2 shown]
	v_pk_mul_f32 v[2:3], s[16:17], v[2:3] op_sel_hi:[0,1]
	v_pk_mul_f32 v[4:5], s[16:17], v[4:5] op_sel_hi:[0,1]
	s_waitcnt lgkmcnt(2)
	v_fmac_f32_e32 v53, v24, v2
	v_fmac_f32_e32 v54, v25, v3
	;; [unrolled: 1-line block ×4, first 2 shown]
	v_pk_mul_f32 v[26:27], s[16:17], v[30:31] op_sel_hi:[0,1]
	ds_read_b128 v[2:5], v42 offset:192
	ds_read_b128 v[6:9], v42 offset:208
	v_lshl_add_u64 v[24:25], v[0:1], 0, s[44:45]
	s_waitcnt lgkmcnt(3)
	v_fmac_f32_e32 v53, v20, v26
	v_fmac_f32_e32 v54, v21, v27
	global_load_ushort v68, v[58:59], off offset:8
	v_pk_mul_f32 v[30:31], s[16:17], v[60:61] op_sel_hi:[0,1]
	v_fmac_f32_e32 v53, v22, v30
	s_waitcnt vmcnt(19)
	v_cvt_pk_f32_fp8_e32 v[26:27], v64
	global_load_ushort v64, v[58:59], off offset:12
	global_load_ushort v69, v[24:25], off offset:4
	;; [unrolled: 1-line block ×3, first 2 shown]
	v_fmac_f32_e32 v54, v23, v31
	v_lshl_add_u64 v[20:21], v[0:1], 0, s[46:47]
	v_pk_mul_f32 v[26:27], s[16:17], v[26:27] op_sel_hi:[0,1]
	s_waitcnt vmcnt(21)
	v_cvt_pk_f32_fp8_e32 v[30:31], v65
	s_waitcnt lgkmcnt(2)
	v_fmac_f32_e32 v53, v14, v26
	v_fmac_f32_e32 v54, v15, v27
	s_waitcnt vmcnt(20)
	v_cvt_pk_f32_fp8_e32 v[14:15], v66
	s_waitcnt vmcnt(19)
	v_cvt_pk_f32_fp8_e32 v[26:27], v67
	global_load_ushort v65, v[24:25], off offset:12
	global_load_ushort v66, v[20:21], off offset:4
	;; [unrolled: 1-line block ×4, first 2 shown]
	v_lshl_add_u64 v[22:23], v[0:1], 0, s[48:49]
	v_pk_mul_f32 v[30:31], s[16:17], v[30:31] op_sel_hi:[0,1]
	s_waitcnt vmcnt(22)
	v_cvt_pk_f32_fp8_e32 v[24:25], v73
	v_fmac_f32_e32 v53, v16, v30
	v_fmac_f32_e32 v54, v17, v31
	s_waitcnt vmcnt(21)
	v_cvt_pk_f32_fp8_e32 v[16:17], v74
	global_load_ushort v72, v[22:23], off offset:4
	global_load_ushort v73, v[22:23], off offset:8
	;; [unrolled: 1-line block ×3, first 2 shown]
	v_pk_mul_f32 v[14:15], s[16:17], v[14:15] op_sel_hi:[0,1]
	s_waitcnt vmcnt(22)
	v_cvt_pk_f32_fp8_e32 v[58:59], v76
	s_waitcnt lgkmcnt(1)
	v_fmac_f32_e32 v53, v2, v14
	v_fmac_f32_e32 v54, v3, v15
	v_pk_mul_f32 v[26:27], s[16:17], v[26:27] op_sel_hi:[0,1]
	v_cvt_pk_f32_fp8_e32 v[30:31], v75
	v_pk_mul_f32 v[14:15], s[16:17], v[58:59] op_sel_hi:[0,1]
	v_fmac_f32_e32 v53, v26, v4
	s_waitcnt vmcnt(19)
	v_cvt_pk_f32_fp8_e32 v[2:3], v62
	v_fmac_f32_e32 v54, v27, v5
	v_lshl_add_u64 v[62:63], v[0:1], 0, s[50:51]
	v_cvt_pk_f32_fp8_e32 v[60:61], v77
	v_pk_mul_f32 v[58:59], s[16:17], v[2:3] op_sel_hi:[0,1]
	v_pk_mul_f32 v[24:25], s[16:17], v[24:25] op_sel_hi:[0,1]
	;; [unrolled: 1-line block ×3, first 2 shown]
	s_waitcnt vmcnt(18)
	v_cvt_pk_f32_fp8_e32 v[26:27], v55
	global_load_ushort v55, v[10:11], off offset:2560
	global_load_ushort v75, v[62:63], off offset:4
	ds_read_b128 v[2:5], v42 offset:224
	global_load_ushort v76, v[62:63], off offset:8
	global_load_ushort v77, v[62:63], off offset:12
	s_waitcnt lgkmcnt(1)
	v_fmac_f32_e32 v53, v24, v6
	v_fmac_f32_e32 v54, v25, v7
	v_pk_mul_f32 v[30:31], s[16:17], v[30:31] op_sel_hi:[0,1]
	v_fmac_f32_e32 v53, v16, v8
	v_fmac_f32_e32 v54, v17, v9
	v_cvt_pk_f32_fp8_e32 v[20:21], v78
	ds_read_b128 v[6:9], v42 offset:240
	s_waitcnt lgkmcnt(1)
	v_fmac_f32_e32 v53, v30, v2
	v_fmac_f32_e32 v54, v31, v3
	global_load_ushort v78, v[10:11], off offset:3072
	v_fmac_f32_e32 v53, v14, v4
	v_fmac_f32_e32 v54, v15, v5
	v_lshl_add_u64 v[4:5], v[0:1], 0, s[52:53]
	global_load_ushort v79, v[4:5], off offset:4
	global_load_ushort v80, v[4:5], off offset:8
	;; [unrolled: 1-line block ×3, first 2 shown]
	s_waitcnt vmcnt(20)
	v_cvt_pk_f32_fp8_e32 v[2:3], v57
	v_lshl_add_u64 v[4:5], v[0:1], 0, s[54:55]
	global_load_ushort v84, v[10:11], off offset:3584
	v_pk_mul_f32 v[22:23], s[16:17], v[60:61] op_sel_hi:[0,1]
	v_pk_mul_f32 v[14:15], s[16:17], v[2:3] op_sel_hi:[0,1]
	ds_read_b128 v[0:3], v42 offset:256
	global_load_ushort v85, v[4:5], off offset:4
	global_load_ushort v86, v[4:5], off offset:8
	global_load_ushort v87, v[4:5], off offset:12
	v_pk_mul_f32 v[20:21], s[16:17], v[20:21] op_sel_hi:[0,1]
	s_waitcnt lgkmcnt(1)
	v_fmac_f32_e32 v53, v22, v6
	v_fmac_f32_e32 v54, v23, v7
	;; [unrolled: 1-line block ×4, first 2 shown]
	s_waitcnt lgkmcnt(0)
	v_fmac_f32_e32 v53, v58, v0
	v_fmac_f32_e32 v54, v59, v1
	v_pk_mul_f32 v[16:17], s[16:17], v[26:27] op_sel_hi:[0,1]
	v_fmac_f32_e32 v53, v16, v2
	v_fmac_f32_e32 v54, v17, v3
	v_cvt_pk_f32_fp8_e32 v[60:61], v56
	ds_read_b128 v[4:7], v42 offset:272
	v_cvt_pk_f32_fp8_e32 v[26:27], v28
	s_waitcnt vmcnt(23)
	v_cvt_pk_f32_fp8_e32 v[10:11], v29
	v_pk_mul_f32 v[24:25], s[16:17], v[60:61] op_sel_hi:[0,1]
	v_pk_mul_f32 v[20:21], s[16:17], v[26:27] op_sel_hi:[0,1]
	;; [unrolled: 1-line block ×3, first 2 shown]
	s_waitcnt vmcnt(21)
	v_cvt_pk_f32_fp8_e32 v[0:1], v64
	s_waitcnt vmcnt(20)
	v_cvt_pk_f32_fp8_e32 v[2:3], v69
	v_cvt_pk_f32_fp8_e32 v[8:9], v68
	s_waitcnt vmcnt(19)
	v_cvt_pk_f32_fp8_e32 v[16:17], v70
	v_pk_mul_f32 v[22:23], s[16:17], v[0:1] op_sel_hi:[0,1]
	v_cvt_pk_f32_fp8_e32 v[0:1], v19
	v_pk_mul_f32 v[30:31], s[16:17], v[2:3] op_sel_hi:[0,1]
	v_pk_mul_f32 v[8:9], s[16:17], v[8:9] op_sel_hi:[0,1]
	v_cvt_pk_f32_fp8_e32 v[18:19], v18
	v_pk_mul_f32 v[28:29], s[16:17], v[0:1] op_sel_hi:[0,1]
	ds_read_b128 v[0:3], v42 offset:288
	s_waitcnt lgkmcnt(1)
	v_fmac_f32_e32 v53, v24, v4
	v_fmac_f32_e32 v54, v25, v5
	;; [unrolled: 1-line block ×4, first 2 shown]
	s_waitcnt vmcnt(16)
	v_cvt_pk_f32_fp8_e32 v[24:25], v67
	s_waitcnt lgkmcnt(0)
	v_fmac_f32_e32 v53, v20, v0
	v_fmac_f32_e32 v54, v21, v1
	s_waitcnt vmcnt(15)
	v_cvt_pk_f32_fp8_e32 v[0:1], v71
	v_pk_mul_f32 v[20:21], s[16:17], v[24:25] op_sel_hi:[0,1]
	v_fmac_f32_e32 v53, v10, v2
	v_fmac_f32_e32 v54, v11, v3
	v_pk_mul_f32 v[24:25], s[16:17], v[0:1] op_sel_hi:[0,1]
	v_cvt_pk_f32_fp8_e32 v[0:1], v13
	s_waitcnt vmcnt(14)
	v_cvt_pk_f32_fp8_e32 v[2:3], v72
	ds_read_b128 v[4:7], v42 offset:304
	v_cvt_pk_f32_fp8_e32 v[26:27], v65
	v_pk_mul_f32 v[58:59], s[16:17], v[0:1] op_sel_hi:[0,1]
	v_pk_mul_f32 v[60:61], s[16:17], v[2:3] op_sel_hi:[0,1]
	ds_read_b128 v[0:3], v42 offset:320
	s_waitcnt lgkmcnt(1)
	v_fmac_f32_e32 v53, v8, v4
	v_fmac_f32_e32 v54, v9, v5
	;; [unrolled: 1-line block ×4, first 2 shown]
	s_waitcnt lgkmcnt(0)
	v_fmac_f32_e32 v53, v28, v0
	s_waitcnt vmcnt(11)
	v_cvt_pk_f32_fp8_e32 v[62:63], v55
	v_fmac_f32_e32 v54, v29, v1
	v_fmac_f32_e32 v53, v30, v2
	;; [unrolled: 1-line block ×3, first 2 shown]
	s_waitcnt vmcnt(8)
	v_cvt_pk_f32_fp8_e32 v[0:1], v77
	v_pk_mul_f32 v[28:29], s[16:17], v[62:63] op_sel_hi:[0,1]
	ds_read_b128 v[4:7], v42 offset:336
	v_cvt_pk_f32_fp8_e32 v[14:15], v66
	v_pk_mul_f32 v[62:63], s[16:17], v[0:1] op_sel_hi:[0,1]
	v_pk_mul_f32 v[16:17], s[16:17], v[16:17] op_sel_hi:[0,1]
	;; [unrolled: 1-line block ×5, first 2 shown]
	v_cvt_pk_f32_fp8_e32 v[10:11], v73
	s_waitcnt vmcnt(7)
	v_cvt_pk_f32_fp8_e32 v[0:1], v78
	v_cvt_pk_f32_fp8_e32 v[56:57], v74
	s_waitcnt vmcnt(6)
	v_cvt_pk_f32_fp8_e32 v[2:3], v79
	v_pk_mul_f32 v[10:11], s[16:17], v[10:11] op_sel_hi:[0,1]
	v_pk_mul_f32 v[66:67], s[16:17], v[0:1] op_sel_hi:[0,1]
	;; [unrolled: 1-line block ×4, first 2 shown]
	ds_read_b128 v[0:3], v42 offset:352
	s_waitcnt lgkmcnt(1)
	v_fmac_f32_e32 v53, v16, v4
	v_fmac_f32_e32 v54, v17, v5
	;; [unrolled: 1-line block ×4, first 2 shown]
	s_waitcnt vmcnt(3)
	v_cvt_pk_f32_fp8_e32 v[70:71], v84
	ds_read_b128 v[4:7], v42 offset:368
	s_waitcnt lgkmcnt(1)
	v_fmac_f32_e32 v53, v18, v0
	v_fmac_f32_e32 v54, v19, v1
	s_waitcnt vmcnt(0)
	v_cvt_pk_f32_fp8_e32 v[0:1], v87
	v_pk_mul_f32 v[18:19], s[16:17], v[70:71] op_sel_hi:[0,1]
	v_fmac_f32_e32 v53, v14, v2
	v_fmac_f32_e32 v54, v15, v3
	v_pk_mul_f32 v[70:71], s[16:17], v[0:1] op_sel_hi:[0,1]
	ds_read_b128 v[0:3], v42 offset:384
	s_waitcnt lgkmcnt(1)
	v_fmac_f32_e32 v53, v20, v4
	v_fmac_f32_e32 v54, v21, v5
	;; [unrolled: 1-line block ×4, first 2 shown]
	ds_read_b128 v[4:7], v42 offset:400
	s_waitcnt lgkmcnt(1)
	v_fmac_f32_e32 v53, v58, v0
	v_fmac_f32_e32 v54, v59, v1
	;; [unrolled: 1-line block ×4, first 2 shown]
	ds_read_b128 v[0:3], v42 offset:416
	v_cvt_pk_f32_fp8_e32 v[8:9], v75
	s_waitcnt lgkmcnt(1)
	v_fmac_f32_e32 v53, v10, v4
	v_fmac_f32_e32 v54, v11, v5
	v_cvt_pk_f32_fp8_e32 v[22:23], v76
	v_fmac_f32_e32 v53, v56, v6
	v_fmac_f32_e32 v54, v57, v7
	ds_read_b128 v[4:7], v42 offset:432
	v_pk_mul_f32 v[8:9], s[16:17], v[8:9] op_sel_hi:[0,1]
	s_waitcnt lgkmcnt(1)
	v_fmac_f32_e32 v53, v28, v0
	v_fmac_f32_e32 v54, v29, v1
	v_pk_mul_f32 v[22:23], s[16:17], v[22:23] op_sel_hi:[0,1]
	v_fmac_f32_e32 v53, v8, v2
	v_fmac_f32_e32 v54, v9, v3
	ds_read_b128 v[0:3], v42 offset:448
	s_waitcnt lgkmcnt(1)
	v_fmac_f32_e32 v53, v22, v4
	v_fmac_f32_e32 v54, v23, v5
	v_cvt_pk_f32_fp8_e32 v[30:31], v80
	v_fmac_f32_e32 v53, v62, v6
	v_fmac_f32_e32 v54, v63, v7
	ds_read_b128 v[4:7], v42 offset:464
	v_cvt_pk_f32_fp8_e32 v[64:65], v81
	s_waitcnt lgkmcnt(1)
	v_fmac_f32_e32 v53, v66, v0
	v_fmac_f32_e32 v54, v67, v1
	v_pk_mul_f32 v[30:31], s[16:17], v[30:31] op_sel_hi:[0,1]
	v_fmac_f32_e32 v53, v68, v2
	v_fmac_f32_e32 v54, v69, v3
	ds_read_b128 v[0:3], v42 offset:480
	v_pk_mul_f32 v[64:65], s[16:17], v[64:65] op_sel_hi:[0,1]
	v_cvt_pk_f32_fp8_e32 v[16:17], v85
	s_waitcnt lgkmcnt(1)
	v_fmac_f32_e32 v53, v30, v4
	v_fmac_f32_e32 v54, v31, v5
	v_cvt_pk_f32_fp8_e32 v[26:27], v86
	v_fmac_f32_e32 v53, v64, v6
	v_fmac_f32_e32 v54, v65, v7
	ds_read_b128 v[4:7], v42 offset:496
	v_pk_mul_f32 v[16:17], s[16:17], v[16:17] op_sel_hi:[0,1]
	s_waitcnt lgkmcnt(1)
	v_fmac_f32_e32 v53, v18, v0
	v_fmac_f32_e32 v54, v19, v1
	v_pk_mul_f32 v[26:27], s[16:17], v[26:27] op_sel_hi:[0,1]
	v_fmac_f32_e32 v53, v16, v2
	v_fmac_f32_e32 v54, v17, v3
	s_waitcnt lgkmcnt(0)
	v_fmac_f32_e32 v53, v26, v4
	v_fmac_f32_e32 v54, v27, v5
	;; [unrolled: 1-line block ×4, first 2 shown]
	v_add_f32_e32 v0, v53, v54
	ds_bpermute_b32 v1, v12, v0
	s_and_saveexec_b64 s[56:57], vcc
	s_cbranch_execz .LBB208_11
; %bb.17:                               ;   in Loop: Header=BB208_13 Depth=1
	v_add_u32_e32 v2, v47, v45
	v_cvt_f32_i32_e32 v2, v2
	s_waitcnt lgkmcnt(0)
	v_add_f32_e32 v0, v0, v1
	v_add_u32_e32 v3, v41, v45
	v_cmp_gt_i32_e64 s[0:1], s33, v3
	v_mul_f32_e32 v1, s61, v2
	v_cndmask_b32_e64 v1, 0, v1, s[2:3]
	v_fmac_f32_e32 v1, s37, v0
	v_cndmask_b32_e64 v0, 0, v1, s[0:1]
	ds_write_b32 v46, v0
	v_max_f32_e32 v0, v44, v44
	v_max_f32_e32 v0, v0, v1
	v_cndmask_b32_e64 v44, v44, v0, s[0:1]
	s_branch .LBB208_11
.LBB208_18:
	s_or_b64 exec, exec, s[38:39]
.LBB208_19:
	s_or_b64 exec, exec, s[22:23]
	v_mbcnt_hi_u32_b32 v5, -1, v40
	v_and_b32_e32 v0, 64, v5
	v_add_u32_e32 v6, 64, v0
	v_xor_b32_e32 v0, 32, v5
	v_cmp_lt_i32_e32 vcc, v0, v6
	v_xor_b32_e32 v3, 16, v5
	v_max_f32_e32 v2, v44, v44
	v_cndmask_b32_e32 v0, v5, v0, vcc
	v_lshlrev_b32_e32 v0, 2, v0
	s_waitcnt lgkmcnt(0)
	ds_bpermute_b32 v1, v0, v44
	v_cmp_lt_i32_e32 vcc, v3, v6
	v_xor_b32_e32 v4, 8, v5
	v_xor_b32_e32 v7, 4, v5
	s_waitcnt lgkmcnt(0)
	v_max_f32_e32 v1, v1, v1
	v_max_f32_e32 v2, v2, v1
	v_cndmask_b32_e32 v1, v5, v3, vcc
	v_lshlrev_b32_e32 v1, 2, v1
	ds_bpermute_b32 v3, v1, v2
	v_cmp_lt_i32_e32 vcc, v4, v6
	s_waitcnt lgkmcnt(0)
	v_max_f32_e32 v3, v3, v3
	v_max_f32_e32 v3, v2, v3
	v_cndmask_b32_e32 v2, v5, v4, vcc
	v_lshlrev_b32_e32 v2, 2, v2
	ds_bpermute_b32 v4, v2, v3
	v_cmp_lt_i32_e32 vcc, v7, v6
	s_waitcnt lgkmcnt(0)
	v_max_f32_e32 v4, v4, v4
	v_max_f32_e32 v3, v3, v4
	v_cndmask_b32_e32 v4, v5, v7, vcc
	v_lshlrev_b32_e32 v40, 2, v4
	ds_bpermute_b32 v4, v40, v3
	v_xor_b32_e32 v7, 2, v5
	v_cmp_lt_i32_e32 vcc, v7, v6
	s_waitcnt lgkmcnt(0)
	v_max_f32_e32 v4, v4, v4
	v_max_f32_e32 v4, v3, v4
	v_cndmask_b32_e32 v3, v5, v7, vcc
	v_lshlrev_b32_e32 v43, 2, v3
	scratch_load_dword v3, off, off offset:188 ; 4-byte Folded Reload
	ds_bpermute_b32 v7, v43, v4
	s_waitcnt vmcnt(0)
	v_and_b32_e32 v44, 63, v3
	v_cmp_eq_u32_e32 vcc, 0, v44
	v_lshlrev_b32_e32 v3, 2, v82
	s_and_saveexec_b64 s[0:1], vcc
	s_cbranch_execz .LBB208_21
; %bb.20:
	s_waitcnt lgkmcnt(0)
	v_max_f32_e32 v7, v7, v7
	v_max_f32_e32 v4, v4, v4
	;; [unrolled: 1-line block ×3, first 2 shown]
	ds_write_b32 v3, v4 offset:1024
.LBB208_21:
	s_or_b64 exec, exec, s[0:1]
	v_cmp_gt_u32_e64 s[0:1], 2, v44
	s_waitcnt lgkmcnt(0)
	v_mov_b32_e32 v7, 0xff7fffff
	v_lshlrev_b32_e32 v4, 2, v44
	s_barrier
	s_and_saveexec_b64 s[2:3], s[0:1]
	s_cbranch_execz .LBB208_23
; %bb.22:
	ds_read_b32 v7, v4 offset:1024
.LBB208_23:
	s_or_b64 exec, exec, s[2:3]
	v_xor_b32_e32 v8, 1, v5
	v_cmp_lt_i32_e64 s[2:3], v8, v6
	s_nop 1
	v_cndmask_b32_e64 v6, v5, v8, s[2:3]
	v_lshlrev_b32_e32 v46, 2, v6
	s_waitcnt lgkmcnt(0)
	ds_bpermute_b32 v6, v46, v7
	v_max_f32_e32 v7, v7, v7
	v_lshlrev_b32_e32 v5, 2, v5
	v_and_b32_e32 v5, 0x100, v5
	s_lshl_b32 s2, s59, 5
	s_waitcnt lgkmcnt(0)
	v_max_f32_e32 v6, v6, v6
	v_max_f32_e32 v6, v7, v6
	ds_bpermute_b32 v7, v5, v6
	scratch_load_dword v6, off, off offset:188 ; 4-byte Folded Reload
	s_min_i32 s16, s2, s33
	s_waitcnt vmcnt(0)
	v_cmp_gt_i32_e64 s[2:3], s16, v6
	v_mov_b32_e32 v6, 0
	s_and_saveexec_b64 s[12:13], s[2:3]
	s_cbranch_execz .LBB208_27
; %bb.24:
	scratch_load_dword v9, off, off offset:188 ; 4-byte Folded Reload
	v_mov_b32_e32 v6, 0x410
	s_mov_b64 s[22:23], 0
	s_waitcnt vmcnt(0)
	v_lshl_add_u32 v8, v9, 2, v6
	v_mov_b32_e32 v6, 0
.LBB208_25:                             ; =>This Inner Loop Header: Depth=1
	ds_read_b32 v10, v8
	v_add_u32_e32 v9, 0x80, v9
	v_cmp_le_i32_e64 s[8:9], s16, v9
	s_or_b64 s[22:23], s[8:9], s[22:23]
	s_waitcnt lgkmcnt(0)
	v_sub_f32_e32 v10, v10, v7
	v_mul_f32_e32 v10, 0x3fb8aa3b, v10
	v_exp_f32_e32 v10, v10
	ds_write_b32 v8, v10
	v_add_f32_e32 v6, v6, v10
	v_add_u32_e32 v8, 0x200, v8
	s_andn2_b64 exec, exec, s[22:23]
	s_cbranch_execnz .LBB208_25
; %bb.26:
	s_or_b64 exec, exec, s[22:23]
.LBB208_27:
	s_or_b64 exec, exec, s[12:13]
	ds_bpermute_b32 v0, v0, v6
	s_waitcnt lgkmcnt(0)
	v_add_f32_e32 v0, v6, v0
	ds_bpermute_b32 v1, v1, v0
	s_waitcnt lgkmcnt(0)
	v_add_f32_e32 v0, v0, v1
	;; [unrolled: 3-line block ×6, first 2 shown]
	s_and_saveexec_b64 s[8:9], vcc
	s_cbranch_execz .LBB208_29
; %bb.28:
	ds_write_b32 v3, v0 offset:1032
.LBB208_29:
	s_or_b64 exec, exec, s[8:9]
	s_waitcnt lgkmcnt(0)
	s_barrier
	s_and_saveexec_b64 s[8:9], s[0:1]
	s_cbranch_execz .LBB208_31
; %bb.30:
	ds_read_b32 v0, v4 offset:1032
.LBB208_31:
	s_or_b64 exec, exec, s[8:9]
	s_waitcnt lgkmcnt(0)
	ds_bpermute_b32 v1, v46, v0
	s_waitcnt lgkmcnt(0)
	v_add_f32_e32 v0, v0, v1
	ds_bpermute_b32 v0, v5, v0
	s_and_saveexec_b64 s[0:1], s[2:3]
	s_cbranch_execz .LBB208_44
; %bb.32:
	s_waitcnt lgkmcnt(0)
	v_add_f32_e32 v0, 0x358637bd, v0
	v_div_scale_f32 v1, s[2:3], v0, v0, 1.0
	v_rcp_f32_e32 v2, v1
	v_div_scale_f32 v3, vcc, 1.0, v0, 1.0
	s_movk_i32 s2, 0x7f
	v_fma_f32 v4, -v1, v2, 1.0
	v_fmac_f32_e32 v2, v4, v2
	v_mul_f32_e32 v4, v3, v2
	v_fma_f32 v5, -v1, v4, v3
	v_fmac_f32_e32 v4, v5, v2
	v_fma_f32 v1, -v1, v4, v3
	v_div_fmas_f32 v1, v1, v2, v4
	v_div_fixup_f32 v0, v1, v0, 1.0
	scratch_load_dword v1, off, off offset:188 ; 4-byte Folded Reload
	s_mov_b64 s[8:9], -1
	s_waitcnt vmcnt(0)
	v_xad_u32 v2, v1, -1, s16
	v_cmp_lt_u32_e32 vcc, s2, v2
	s_and_saveexec_b64 s[2:3], vcc
	s_cbranch_execz .LBB208_41
; %bb.33:
	v_lshrrev_b32_e32 v2, 7, v2
	v_add_u32_e32 v4, -1, v2
	v_lshrrev_b32_e32 v3, 1, v4
	v_mov_b32_e32 v1, v0
	v_add_u32_e32 v3, 1, v3
	v_cmp_lt_u32_e32 vcc, 13, v4
	v_mov_b32_e32 v6, 0
	s_and_saveexec_b64 s[8:9], vcc
	s_cbranch_execz .LBB208_37
; %bb.34:
	scratch_load_dword v6, off, off offset:188 ; 4-byte Folded Reload
	v_mov_b32_e32 v5, 0x410
	v_and_b32_e32 v4, -8, v3
	s_mov_b32 s22, 0
	s_mov_b64 s[12:13], 0
	s_waitcnt vmcnt(0)
	v_lshl_add_u32 v5, v6, 2, v5
.LBB208_35:                             ; =>This Inner Loop Header: Depth=1
	ds_read2st64_b32 v[6:7], v5 offset1:2
	ds_read2st64_b32 v[8:9], v5 offset0:4 offset1:6
	ds_read2st64_b32 v[10:11], v5 offset0:8 offset1:10
	;; [unrolled: 1-line block ×3, first 2 shown]
	v_add_u32_e32 v4, -8, v4
	s_waitcnt lgkmcnt(3)
	v_pk_mul_f32 v[6:7], v[0:1], v[6:7]
	s_waitcnt lgkmcnt(2)
	v_pk_mul_f32 v[8:9], v[0:1], v[8:9]
	ds_write2st64_b32 v5, v6, v7 offset1:2
	ds_write2st64_b32 v5, v8, v9 offset0:4 offset1:6
	ds_read2st64_b32 v[8:9], v5 offset0:16 offset1:18
	s_waitcnt lgkmcnt(4)
	v_pk_mul_f32 v[6:7], v[0:1], v[10:11]
	ds_write2st64_b32 v5, v6, v7 offset0:8 offset1:10
	s_waitcnt lgkmcnt(4)
	v_pk_mul_f32 v[6:7], v[0:1], v[12:13]
	ds_write2st64_b32 v5, v6, v7 offset0:12 offset1:14
	ds_read2st64_b32 v[6:7], v5 offset0:20 offset1:22
	s_waitcnt lgkmcnt(3)
	v_pk_mul_f32 v[8:9], v[0:1], v[8:9]
	ds_read2st64_b32 v[10:11], v5 offset0:24 offset1:26
	ds_write2st64_b32 v5, v8, v9 offset0:16 offset1:18
	ds_read2st64_b32 v[8:9], v5 offset0:28 offset1:30
	s_waitcnt lgkmcnt(3)
	v_pk_mul_f32 v[6:7], v[0:1], v[6:7]
	ds_write2st64_b32 v5, v6, v7 offset0:20 offset1:22
	s_waitcnt lgkmcnt(3)
	v_pk_mul_f32 v[6:7], v[0:1], v[10:11]
	ds_write2st64_b32 v5, v6, v7 offset0:24 offset1:26
	s_waitcnt lgkmcnt(2)
	v_pk_mul_f32 v[6:7], v[0:1], v[8:9]
	s_add_i32 s22, s22, 16
	v_cmp_eq_u32_e32 vcc, 0, v4
	ds_write2st64_b32 v5, v6, v7 offset0:28 offset1:30
	v_add_u32_e32 v5, 0x2000, v5
	s_or_b64 s[12:13], vcc, s[12:13]
	v_mov_b32_e32 v6, s22
	s_andn2_b64 exec, exec, s[12:13]
	s_cbranch_execnz .LBB208_35
; %bb.36:
	s_or_b64 exec, exec, s[12:13]
.LBB208_37:
	s_or_b64 exec, exec, s[8:9]
	v_and_b32_e32 v3, 7, v3
	v_cmp_ne_u32_e32 vcc, 0, v3
	s_and_saveexec_b64 s[8:9], vcc
	s_cbranch_execz .LBB208_40
; %bb.38:
	v_lshlrev_b32_e32 v4, 9, v6
	s_movk_i32 s12, 0x410
	v_add3_u32 v4, v4, v38, s12
	s_mov_b64 s[12:13], 0
.LBB208_39:                             ; =>This Inner Loop Header: Depth=1
	ds_read2st64_b32 v[6:7], v4 offset1:2
	v_add_u32_e32 v3, -1, v3
	v_cmp_eq_u32_e32 vcc, 0, v3
	s_or_b64 s[12:13], vcc, s[12:13]
	s_waitcnt lgkmcnt(0)
	v_pk_mul_f32 v[6:7], v[0:1], v[6:7]
	ds_write2st64_b32 v4, v6, v7 offset1:2
	v_add_u32_e32 v4, 0x400, v4
	s_andn2_b64 exec, exec, s[12:13]
	s_cbranch_execnz .LBB208_39
.LBB208_40:
	s_or_b64 exec, exec, s[8:9]
	scratch_load_dword v1, off, off offset:188 ; 4-byte Folded Reload
	v_add_u32_e32 v2, 1, v2
	v_and_b32_e32 v3, 0x3fffffe, v2
	v_cmp_ne_u32_e32 vcc, v2, v3
	s_orn2_b64 s[8:9], vcc, exec
	s_waitcnt vmcnt(0)
	v_lshl_add_u32 v1, v3, 7, v1
.LBB208_41:
	s_or_b64 exec, exec, s[2:3]
	s_and_b64 exec, exec, s[8:9]
	s_cbranch_execz .LBB208_44
; %bb.42:
	v_mov_b32_e32 v2, 0x410
	v_lshl_add_u32 v2, v1, 2, v2
	s_mov_b64 s[2:3], 0
.LBB208_43:                             ; =>This Inner Loop Header: Depth=1
	ds_read_b32 v3, v2
	v_add_u32_e32 v1, 0x80, v1
	v_cmp_le_i32_e32 vcc, s16, v1
	s_or_b64 s[2:3], vcc, s[2:3]
	s_waitcnt lgkmcnt(0)
	v_mul_f32_e32 v3, v0, v3
	ds_write_b32 v2, v3
	v_add_u32_e32 v2, 0x200, v2
	s_andn2_b64 exec, exec, s[2:3]
	s_cbranch_execnz .LBB208_43
.LBB208_44:
	s_or_b64 exec, exec, s[0:1]
	s_waitcnt lgkmcnt(0)
	s_barrier
	scratch_load_dword v0, off, off offset:188 ; 4-byte Folded Reload
	v_mov_b32_e32 v4, 0
	v_mov_b32_e32 v5, 0
	;; [unrolled: 1-line block ×32, first 2 shown]
	s_waitcnt vmcnt(0)
	v_and_b32_e32 v45, 7, v0
	s_and_saveexec_b64 s[2:3], s[6:7]
	s_cbranch_execz .LBB208_114
; %bb.45:
	v_and_b32_e32 v0, 28, v38
	v_mov_b32_e32 v3, 0
	scratch_store_dword off, v46, off offset:356 ; 4-byte Folded Spill
	scratch_store_dword off, v40, off offset:348 ; 4-byte Folded Spill
	;; [unrolled: 1-line block ×5, first 2 shown]
	v_and_b32_e32 v2, 0xfc, v38
	v_or_b32_e32 v0, 0xf00, v38
	v_mov_b32_e32 v1, v3
	scratch_store_dwordx2 off, v[0:1], off offset:204 ; 8-byte Folded Spill
	v_or_b32_e32 v0, 0x1000, v2
	scratch_store_dwordx2 off, v[0:1], off offset:212 ; 8-byte Folded Spill
	v_or_b32_e32 v0, 0x1100, v2
	;; [unrolled: 2-line block ×9, first 2 shown]
	s_sub_i32 s22, s19, s17
	s_ashr_i32 s0, s60, 31
	scratch_store_dwordx2 off, v[0:1], off offset:276 ; 8-byte Folded Spill
	v_or_b32_e32 v0, 0x1900, v2
	s_add_u32 s6, s34, s60
	scratch_store_dwordx2 off, v[0:1], off offset:284 ; 8-byte Folded Spill
	v_or_b32_e32 v0, 0x1a00, v2
	s_addc_u32 s7, s35, s0
	scratch_store_dwordx2 off, v[0:1], off offset:292 ; 8-byte Folded Spill
	v_or_b32_e32 v0, 0x1b00, v2
	s_abs_i32 s34, s18
	scratch_store_dwordx2 off, v[0:1], off offset:300 ; 8-byte Folded Spill
	v_cvt_f32_u32_e32 v0, s34
	s_sub_i32 s0, 0, s34
	s_add_i32 s23, s59, -1
	v_or_b32_e32 v4, 0x1c00, v2
	v_rcp_iflag_f32_e32 v0, v0
	v_mov_b32_e32 v5, v3
	scratch_store_dwordx2 off, v[4:5], off offset:308 ; 8-byte Folded Spill
	v_or_b32_e32 v4, 0x1d00, v2
	v_mul_f32_e32 v0, 0x4f7ffffe, v0
	v_cvt_u32_f32_e32 v0, v0
	scratch_store_dwordx2 off, v[4:5], off offset:316 ; 8-byte Folded Spill
	v_or_b32_e32 v4, 0x1e00, v2
	scratch_store_dwordx2 off, v[4:5], off offset:324 ; 8-byte Folded Spill
	v_mul_lo_u32 v1, s0, v0
	v_mul_hi_u32 v1, v0, v1
	s_lshl_b64 s[0:1], s[30:31], 2
	v_add_u32_e32 v0, v0, v1
	s_add_u32 s0, s28, s0
	scratch_store_dword off, v0, off offset:176 ; 4-byte Folded Spill
	v_and_b32_e32 v0, 60, v39
	v_mov_b32_e32 v1, v3
	s_addc_u32 s1, s29, s1
	v_lshl_add_u64 v[74:75], s[0:1], 0, v[0:1]
	v_lshlrev_b32_e32 v0, 4, v45
	v_lshl_or_b32 v0, v82, 7, v0
	v_or_b32_e32 v4, 0x1f00, v38
	v_add_u32_e32 v84, 0x410, v0
	s_mov_b64 s[8:9], 0
	v_mov_b32_e32 v0, v3
	v_mov_b32_e32 v7, v3
	;; [unrolled: 1-line block ×3, first 2 shown]
	scratch_store_dwordx2 off, v[4:5], off offset:332 ; 8-byte Folded Spill
	scratch_store_dword off, v45, off offset:352 ; 4-byte Folded Spill
	scratch_store_dwordx2 off, v[0:1], off offset:56 ; 8-byte Folded Spill
	scratch_store_dwordx2 off, v[0:1], off offset:64 ; 8-byte Folded Spill
	;; [unrolled: 1-line block ×16, first 2 shown]
	s_branch .LBB208_48
.LBB208_46:                             ;   in Loop: Header=BB208_48 Depth=1
	s_or_b64 exec, exec, s[0:1]
	v_mul_f32_e32 v17, v3, v17
	v_mul_f32_e32 v13, v3, v13
	v_fmac_f32_e32 v17, v2, v16
	v_fmac_f32_e32 v13, v2, v12
	;; [unrolled: 1-line block ×6, first 2 shown]
	scratch_load_dwordx2 v[10:11], off, off offset:56 ; 8-byte Folded Reload
	scratch_load_dwordx2 v[14:15], off, off offset:64 ; 8-byte Folded Reload
	v_mul_f32_e32 v77, v3, v77
	v_mul_f32_e32 v35, v3, v35
	v_fmac_f32_e32 v77, v2, v76
	v_fmac_f32_e32 v35, v2, v34
	;; [unrolled: 1-line block ×6, first 2 shown]
	v_mul_f32_e32 v31, v3, v31
	v_mul_f32_e32 v27, v3, v27
	v_fmac_f32_e32 v31, v2, v30
	v_fmac_f32_e32 v27, v2, v26
	;; [unrolled: 1-line block ×6, first 2 shown]
	v_mul_f32_e32 v21, v3, v21
	v_fmac_f32_e32 v21, v2, v20
	v_fmac_f32_e32 v21, v4, v18
	v_fmac_f32_e32 v21, v5, v19
	v_mul_f32_e32 v9, v3, v9
	v_fmac_f32_e32 v9, v2, v8
	v_fmac_f32_e32 v9, v4, v6
	v_fmac_f32_e32 v9, v5, v7
	v_mul_f32_e32 v6, v3, v39
	v_mul_f32_e32 v7, v3, v71
	v_fmac_f32_e32 v6, v2, v38
	v_fmac_f32_e32 v7, v2, v70
	;; [unrolled: 1-line block ×6, first 2 shown]
	v_mul_f32_e32 v81, v3, v81
	v_fmac_f32_e32 v81, v2, v80
	v_fmac_f32_e32 v81, v4, v78
	;; [unrolled: 1-line block ×3, first 2 shown]
	s_waitcnt vmcnt(0)
	v_add_f32_e32 v15, v15, v77
	v_add_f32_e32 v14, v14, v35
	scratch_store_dwordx2 off, v[14:15], off offset:64 ; 8-byte Folded Spill
	scratch_load_dwordx2 v[14:15], off, off offset:72 ; 8-byte Folded Reload
	s_waitcnt vmcnt(0)
	v_add_f32_e32 v15, v15, v31
	v_add_f32_e32 v14, v14, v27
	scratch_store_dwordx2 off, v[14:15], off offset:72 ; 8-byte Folded Spill
	scratch_load_dwordx2 v[14:15], off, off offset:80 ; 8-byte Folded Reload
	;; [unrolled: 5-line block ×3, first 2 shown]
	s_waitcnt vmcnt(0)
	v_add_f32_e32 v14, v14, v9
	scratch_load_dwordx2 v[8:9], off, off offset:96 ; 8-byte Folded Reload
	v_add_f32_e32 v15, v15, v13
	scratch_store_dwordx2 off, v[14:15], off offset:88 ; 8-byte Folded Spill
	scratch_load_dwordx2 v[12:13], off, off offset:8 ; 8-byte Folded Reload
	s_waitcnt vmcnt(2)
	v_add_f32_e32 v9, v9, v6
	v_add_f32_e32 v8, v8, v7
	scratch_store_dwordx2 off, v[8:9], off offset:96 ; 8-byte Folded Spill
	scratch_load_dwordx2 v[8:9], off, off offset:104 ; 8-byte Folded Reload
	v_mul_f32_e32 v6, v3, v67
	v_fmac_f32_e32 v6, v2, v66
	v_fmac_f32_e32 v6, v4, v64
	v_fmac_f32_e32 v6, v5, v65
	s_waitcnt vmcnt(0)
	v_add_f32_e32 v9, v9, v6
	v_mul_f32_e32 v6, v3, v63
	v_fmac_f32_e32 v6, v2, v62
	v_fmac_f32_e32 v6, v4, v60
	v_fmac_f32_e32 v6, v5, v61
	v_add_f32_e32 v8, v8, v6
	scratch_store_dwordx2 off, v[8:9], off offset:104 ; 8-byte Folded Spill
	scratch_load_dwordx2 v[8:9], off, off offset:112 ; 8-byte Folded Reload
	v_mul_f32_e32 v6, v3, v59
	v_fmac_f32_e32 v6, v2, v58
	v_fmac_f32_e32 v6, v4, v56
	v_fmac_f32_e32 v6, v5, v57
	s_waitcnt vmcnt(0)
	v_add_f32_e32 v9, v9, v6
	v_mul_f32_e32 v6, v3, v55
	v_fmac_f32_e32 v6, v2, v54
	v_fmac_f32_e32 v6, v4, v52
	v_fmac_f32_e32 v6, v5, v53
	;; [unrolled: 13-line block ×3, first 2 shown]
	v_add_f32_e32 v8, v8, v6
	scratch_store_dwordx2 off, v[8:9], off offset:120 ; 8-byte Folded Spill
	scratch_load_dwordx2 v[8:9], off, off offset:128 ; 8-byte Folded Reload
	v_mul_f32_e32 v6, v3, v43
	v_fmac_f32_e32 v6, v2, v42
	v_fmac_f32_e32 v6, v4, v0
	;; [unrolled: 1-line block ×3, first 2 shown]
	v_mul_f32_e32 v0, v3, v41
	v_fmac_f32_e32 v0, v2, v40
	v_fmac_f32_e32 v0, v4, v126
	;; [unrolled: 1-line block ×3, first 2 shown]
	s_waitcnt vmcnt(0)
	v_add_f32_e32 v9, v9, v6
	scratch_load_dwordx2 v[6:7], off, off offset:136 ; 8-byte Folded Reload
	v_add_f32_e32 v8, v8, v0
	v_mul_f32_e32 v0, v3, v125
	v_fmac_f32_e32 v0, v2, v124
	v_fmac_f32_e32 v0, v4, v122
	;; [unrolled: 1-line block ×3, first 2 shown]
	scratch_store_dwordx2 off, v[8:9], off offset:128 ; 8-byte Folded Spill
	scratch_load_dwordx2 v[8:9], off, off offset:40 ; 8-byte Folded Reload
	s_waitcnt vmcnt(2)
	v_add_f32_e32 v7, v7, v0
	v_mul_f32_e32 v0, v3, v121
	v_fmac_f32_e32 v0, v2, v120
	v_fmac_f32_e32 v0, v4, v118
	v_fmac_f32_e32 v0, v5, v119
	v_add_f32_e32 v6, v6, v0
	scratch_store_dwordx2 off, v[6:7], off offset:136 ; 8-byte Folded Spill
	scratch_load_dwordx2 v[6:7], off, off offset:144 ; 8-byte Folded Reload
	v_mul_f32_e32 v0, v3, v117
	v_fmac_f32_e32 v0, v2, v116
	v_fmac_f32_e32 v0, v4, v114
	v_fmac_f32_e32 v0, v5, v115
	s_waitcnt vmcnt(0)
	v_add_f32_e32 v7, v7, v0
	v_mul_f32_e32 v0, v3, v113
	v_fmac_f32_e32 v0, v2, v112
	v_fmac_f32_e32 v0, v4, v110
	v_fmac_f32_e32 v0, v5, v111
	v_add_f32_e32 v6, v6, v0
	scratch_store_dwordx2 off, v[6:7], off offset:144 ; 8-byte Folded Spill
	scratch_load_dwordx2 v[6:7], off, off offset:152 ; 8-byte Folded Reload
	v_mul_f32_e32 v0, v3, v109
	v_fmac_f32_e32 v0, v2, v108
	v_fmac_f32_e32 v0, v4, v106
	v_fmac_f32_e32 v0, v5, v107
	;; [unrolled: 13-line block ×3, first 2 shown]
	s_waitcnt vmcnt(0)
	v_add_f32_e32 v7, v7, v0
	v_mul_f32_e32 v0, v3, v95
	v_fmac_f32_e32 v0, v2, v94
	v_fmac_f32_e32 v0, v4, v92
	;; [unrolled: 1-line block ×3, first 2 shown]
	v_add_f32_e32 v6, v6, v0
	scratch_store_dwordx2 off, v[6:7], off offset:160 ; 8-byte Folded Spill
	scratch_load_dwordx2 v[6:7], off, off offset:48 ; 8-byte Folded Reload
	v_mul_f32_e32 v0, v3, v91
	v_fmac_f32_e32 v0, v2, v90
	s_waitcnt vmcnt(0)
	v_fmac_f32_e32 v0, v4, v6
	v_fmac_f32_e32 v0, v5, v7
	scratch_load_dwordx2 v[6:7], off, off offset:180 ; 8-byte Folded Reload
	s_waitcnt vmcnt(0)
	v_add_f32_e32 v7, v7, v0
	v_mul_f32_e32 v0, v3, v9
	v_fmac_f32_e32 v0, v2, v8
	scratch_load_dwordx2 v[8:9], off, off offset:32 ; 8-byte Folded Reload
	s_waitcnt vmcnt(0)
	v_fmac_f32_e32 v0, v4, v8
	v_fmac_f32_e32 v0, v5, v9
	scratch_load_dwordx2 v[8:9], off, off offset:24 ; 8-byte Folded Reload
	v_add_f32_e32 v6, v6, v0
	s_waitcnt vmcnt(0)
	v_mul_f32_e32 v0, v3, v9
	v_fmac_f32_e32 v0, v2, v8
	scratch_load_dwordx2 v[8:9], off, off offset:16 ; 8-byte Folded Reload
	s_waitcnt vmcnt(0)
	v_fmac_f32_e32 v0, v4, v8
	v_fmac_f32_e32 v0, v5, v9
	scratch_load_dwordx2 v[8:9], off, off offset:168 ; 8-byte Folded Reload
	s_waitcnt vmcnt(0)
	v_add_f32_e32 v9, v9, v0
	v_mul_f32_e32 v0, v3, v13
	v_fmac_f32_e32 v0, v2, v12
	scratch_load_dwordx2 v[12:13], off, off ; 8-byte Folded Reload
	v_add_f32_e32 v10, v10, v81
	s_waitcnt vmcnt(0)
	v_fmac_f32_e32 v0, v4, v12
	v_fmac_f32_e32 v0, v5, v13
	v_add_f32_e32 v8, v8, v0
	v_mul_f32_e32 v0, v3, v23
	v_fmac_f32_e32 v0, v2, v22
	v_fmac_f32_e32 v0, v4, v102
	;; [unrolled: 1-line block ×3, first 2 shown]
	v_add_f32_e32 v11, v11, v0
	scratch_store_dwordx2 off, v[8:9], off offset:168 ; 8-byte Folded Spill
	scratch_store_dwordx2 off, v[10:11], off offset:56 ; 8-byte Folded Spill
.LBB208_47:                             ;   in Loop: Header=BB208_48 Depth=1
	s_or_b64 exec, exec, s[12:13]
	v_add_u32_e32 v82, 2, v82
	v_cmp_le_i32_e32 vcc, s59, v82
	v_lshl_add_u64 v[74:75], v[74:75], 0, 8
	v_add_u32_e32 v83, 64, v83
	s_or_b64 s[8:9], vcc, s[8:9]
	v_add_u32_e32 v84, 0x100, v84
	s_andn2_b64 exec, exec, s[8:9]
	s_cbranch_execz .LBB208_113
.LBB208_48:                             ; =>This Inner Loop Header: Depth=1
	v_mul_hi_u32 v0, v83, s25
	v_mul_lo_u32 v1, v0, s20
	v_sub_u32_e32 v1, v83, v1
	v_add_u32_e32 v2, 1, v0
	v_cmp_le_u32_e32 vcc, s20, v1
	s_nop 1
	v_cndmask_b32_e32 v0, v0, v2, vcc
	v_subrev_u32_e32 v2, s20, v1
	v_cndmask_b32_e32 v1, v1, v2, vcc
	v_add_u32_e32 v2, 1, v0
	v_cmp_le_u32_e32 vcc, s20, v1
	s_nop 1
	v_cndmask_b32_e32 v0, v0, v2, vcc
	v_xor_b32_e32 v0, s58, v0
	v_subrev_u32_e32 v0, s58, v0
	v_add_u32_e32 v1, s36, v0
	v_sub_u32_e32 v3, 0, v1
	v_ashrrev_i32_e32 v2, 31, v1
	v_max_i32_e32 v1, v1, v3
	scratch_load_dword v3, off, off offset:176 ; 4-byte Folded Reload
	v_cmp_lt_i32_e64 s[0:1], s22, v0
	s_waitcnt vmcnt(0)
	v_mul_hi_u32 v3, v1, v3
	v_mul_lo_u32 v3, v3, s34
	v_sub_u32_e32 v1, v1, v3
	v_subrev_u32_e32 v3, s34, v1
	v_cmp_le_u32_e32 vcc, s34, v1
	s_nop 1
	v_cndmask_b32_e32 v1, v1, v3, vcc
	v_subrev_u32_e32 v3, s34, v1
	v_cmp_le_u32_e32 vcc, s34, v1
	s_nop 1
	v_cndmask_b32_e32 v1, v1, v3, vcc
	v_xor_b32_e32 v1, v1, v2
	v_sub_u32_e32 v1, v1, v2
	v_cmp_eq_u32_e32 vcc, 0, v1
	s_or_b64 s[0:1], vcc, s[0:1]
	s_and_saveexec_b64 s[12:13], s[0:1]
	s_cbranch_execz .LBB208_47
; %bb.49:                               ;   in Loop: Header=BB208_48 Depth=1
	global_load_dword v2, v[74:75], off
	v_mov_b64_e32 v[0:1], s[6:7]
	scratch_store_dwordx2 off, v[6:7], off offset:180 ; 8-byte Folded Spill
	v_cmp_eq_u32_e32 vcc, s23, v82
	s_waitcnt vmcnt(1)
	v_mad_i64_i32 v[102:103], s[0:1], v2, s21, v[0:1]
	scratch_load_dwordx2 v[0:1], off, off offset:196 ; 8-byte Folded Reload
	s_waitcnt vmcnt(0)
	v_lshl_add_u64 v[44:45], v[102:103], 0, v[0:1]
	global_load_dword v0, v[44:45], off
	scratch_load_dword v1, off, off offset:192 ; 4-byte Folded Reload
	s_load_dword s16, s[14:15], 0x0
	ds_read_b128 v[2:5], v84
	s_waitcnt vmcnt(1)
	v_lshrrev_b32_e32 v6, 16, v0
	s_waitcnt vmcnt(0)
	v_add_u32_e32 v85, v1, v83
	v_and_b32_e32 v1, 0xffff, v0
	v_cvt_pk_f32_fp8_e32 v[0:1], v1
	v_cvt_pk_f32_fp8_e32 v[6:7], v6
	v_add_u32_e32 v87, 1, v85
	v_add_u32_e32 v86, 2, v85
	s_waitcnt lgkmcnt(0)
	v_pk_mul_f32 v[0:1], s[16:17], v[0:1] op_sel_hi:[0,1]
	scratch_store_dwordx2 off, v[0:1], off offset:8 ; 8-byte Folded Spill
	v_pk_mul_f32 v[0:1], s[16:17], v[6:7] op_sel_hi:[0,1]
	v_add_u32_e32 v88, 3, v85
	scratch_store_dwordx2 off, v[0:1], off  ; 8-byte Folded Spill
	s_and_saveexec_b64 s[18:19], vcc
	s_cbranch_execz .LBB208_51
; %bb.50:                               ;   in Loop: Header=BB208_48 Depth=1
	scratch_load_dwordx2 v[0:1], off, off offset:8 ; 8-byte Folded Reload
	v_cmp_gt_i32_e64 s[0:1], s33, v85
	s_waitcnt vmcnt(0)
	s_nop 0
	v_cndmask_b32_e64 v0, 0, v0, s[0:1]
	v_cmp_gt_i32_e64 s[0:1], s33, v87
	s_nop 1
	v_cndmask_b32_e64 v1, 0, v1, s[0:1]
	scratch_store_dwordx2 off, v[0:1], off offset:8 ; 8-byte Folded Spill
	scratch_load_dwordx2 v[0:1], off, off   ; 8-byte Folded Reload
	v_cmp_gt_i32_e64 s[0:1], s33, v86
	s_waitcnt vmcnt(0)
	s_nop 0
	v_cndmask_b32_e64 v0, 0, v0, s[0:1]
	v_cmp_gt_i32_e64 s[0:1], s33, v88
	s_nop 1
	v_cndmask_b32_e64 v1, 0, v1, s[0:1]
	scratch_store_dwordx2 off, v[0:1], off  ; 8-byte Folded Spill
.LBB208_51:                             ;   in Loop: Header=BB208_48 Depth=1
	s_or_b64 exec, exec, s[18:19]
	global_load_dword v0, v[44:45], off offset:256
	s_mov_b32 s17, s16
	s_waitcnt vmcnt(0)
	v_and_b32_e32 v1, 0xffff, v0
	v_lshrrev_b32_e32 v6, 16, v0
	v_cvt_pk_f32_fp8_e32 v[0:1], v1
	v_cvt_pk_f32_fp8_e32 v[6:7], v6
	v_pk_mul_f32 v[0:1], s[16:17], v[0:1]
	scratch_store_dwordx2 off, v[0:1], off offset:24 ; 8-byte Folded Spill
	v_pk_mul_f32 v[0:1], s[16:17], v[6:7]
	scratch_store_dwordx2 off, v[0:1], off offset:16 ; 8-byte Folded Spill
	s_and_saveexec_b64 s[18:19], vcc
	s_cbranch_execz .LBB208_53
; %bb.52:                               ;   in Loop: Header=BB208_48 Depth=1
	scratch_load_dwordx2 v[0:1], off, off offset:24 ; 8-byte Folded Reload
	v_cmp_gt_i32_e64 s[0:1], s33, v85
	s_waitcnt vmcnt(0)
	s_nop 0
	v_cndmask_b32_e64 v0, 0, v0, s[0:1]
	v_cmp_gt_i32_e64 s[0:1], s33, v87
	s_nop 1
	v_cndmask_b32_e64 v1, 0, v1, s[0:1]
	scratch_store_dwordx2 off, v[0:1], off offset:24 ; 8-byte Folded Spill
	scratch_load_dwordx2 v[0:1], off, off offset:16 ; 8-byte Folded Reload
	v_cmp_gt_i32_e64 s[0:1], s33, v86
	s_waitcnt vmcnt(0)
	s_nop 0
	v_cndmask_b32_e64 v0, 0, v0, s[0:1]
	v_cmp_gt_i32_e64 s[0:1], s33, v88
	s_nop 1
	v_cndmask_b32_e64 v1, 0, v1, s[0:1]
	scratch_store_dwordx2 off, v[0:1], off offset:16 ; 8-byte Folded Spill
.LBB208_53:                             ;   in Loop: Header=BB208_48 Depth=1
	s_or_b64 exec, exec, s[18:19]
	global_load_dword v0, v[44:45], off offset:512
	s_waitcnt vmcnt(0)
	v_and_b32_e32 v1, 0xffff, v0
	v_lshrrev_b32_e32 v6, 16, v0
	v_cvt_pk_f32_fp8_e32 v[0:1], v1
	v_cvt_pk_f32_fp8_e32 v[6:7], v6
	v_pk_mul_f32 v[0:1], s[16:17], v[0:1]
	scratch_store_dwordx2 off, v[0:1], off offset:40 ; 8-byte Folded Spill
	v_pk_mul_f32 v[0:1], s[16:17], v[6:7]
	scratch_store_dwordx2 off, v[0:1], off offset:32 ; 8-byte Folded Spill
	s_and_saveexec_b64 s[18:19], vcc
	s_cbranch_execz .LBB208_55
; %bb.54:                               ;   in Loop: Header=BB208_48 Depth=1
	scratch_load_dwordx2 v[0:1], off, off offset:40 ; 8-byte Folded Reload
	v_cmp_gt_i32_e64 s[0:1], s33, v85
	s_waitcnt vmcnt(0)
	s_nop 0
	v_cndmask_b32_e64 v0, 0, v0, s[0:1]
	v_cmp_gt_i32_e64 s[0:1], s33, v87
	s_nop 1
	v_cndmask_b32_e64 v1, 0, v1, s[0:1]
	scratch_store_dwordx2 off, v[0:1], off offset:40 ; 8-byte Folded Spill
	scratch_load_dwordx2 v[0:1], off, off offset:32 ; 8-byte Folded Reload
	v_cmp_gt_i32_e64 s[0:1], s33, v86
	s_waitcnt vmcnt(0)
	s_nop 0
	v_cndmask_b32_e64 v0, 0, v0, s[0:1]
	v_cmp_gt_i32_e64 s[0:1], s33, v88
	s_nop 1
	v_cndmask_b32_e64 v1, 0, v1, s[0:1]
	scratch_store_dwordx2 off, v[0:1], off offset:32 ; 8-byte Folded Spill
.LBB208_55:                             ;   in Loop: Header=BB208_48 Depth=1
	s_or_b64 exec, exec, s[18:19]
	global_load_dword v0, v[44:45], off offset:768
	s_waitcnt vmcnt(0)
	v_and_b32_e32 v1, 0xffff, v0
	v_lshrrev_b32_e32 v6, 16, v0
	v_cvt_pk_f32_fp8_e32 v[0:1], v1
	v_cvt_pk_f32_fp8_e32 v[6:7], v6
	v_pk_mul_f32 v[90:91], s[16:17], v[0:1]
	v_pk_mul_f32 v[0:1], s[16:17], v[6:7]
	scratch_store_dwordx2 off, v[0:1], off offset:48 ; 8-byte Folded Spill
	s_and_saveexec_b64 s[18:19], vcc
	s_cbranch_execz .LBB208_57
; %bb.56:                               ;   in Loop: Header=BB208_48 Depth=1
	scratch_load_dwordx2 v[0:1], off, off offset:48 ; 8-byte Folded Reload
	v_cmp_gt_i32_e64 s[0:1], s33, v85
	s_nop 1
	v_cndmask_b32_e64 v90, 0, v90, s[0:1]
	v_cmp_gt_i32_e64 s[0:1], s33, v87
	s_nop 1
	v_cndmask_b32_e64 v91, 0, v91, s[0:1]
	v_cmp_gt_i32_e64 s[0:1], s33, v86
	s_waitcnt vmcnt(0)
	s_nop 0
	v_cndmask_b32_e64 v0, 0, v0, s[0:1]
	v_cmp_gt_i32_e64 s[0:1], s33, v88
	s_nop 1
	v_cndmask_b32_e64 v1, 0, v1, s[0:1]
	scratch_store_dwordx2 off, v[0:1], off offset:48 ; 8-byte Folded Spill
.LBB208_57:                             ;   in Loop: Header=BB208_48 Depth=1
	s_or_b64 exec, exec, s[18:19]
	global_load_dword v0, v[44:45], off offset:1024
	s_waitcnt vmcnt(0)
	v_and_b32_e32 v1, 0xffff, v0
	v_lshrrev_b32_e32 v6, 16, v0
	v_cvt_pk_f32_fp8_e32 v[0:1], v1
	v_cvt_pk_f32_fp8_e32 v[6:7], v6
	v_pk_mul_f32 v[94:95], s[16:17], v[0:1]
	v_pk_mul_f32 v[92:93], s[16:17], v[6:7]
	s_and_saveexec_b64 s[18:19], vcc
; %bb.58:                               ;   in Loop: Header=BB208_48 Depth=1
	v_cmp_gt_i32_e64 s[0:1], s33, v85
	s_nop 1
	v_cndmask_b32_e64 v94, 0, v94, s[0:1]
	v_cmp_gt_i32_e64 s[0:1], s33, v87
	s_nop 1
	v_cndmask_b32_e64 v95, 0, v95, s[0:1]
	v_cmp_gt_i32_e64 s[0:1], s33, v86
	s_nop 1
	v_cndmask_b32_e64 v92, 0, v92, s[0:1]
	v_cmp_gt_i32_e64 s[0:1], s33, v88
	s_nop 1
	v_cndmask_b32_e64 v93, 0, v93, s[0:1]
; %bb.59:                               ;   in Loop: Header=BB208_48 Depth=1
	s_or_b64 exec, exec, s[18:19]
	global_load_dword v0, v[44:45], off offset:1280
	s_waitcnt vmcnt(0)
	v_and_b32_e32 v1, 0xffff, v0
	v_lshrrev_b32_e32 v6, 16, v0
	v_cvt_pk_f32_fp8_e32 v[0:1], v1
	v_cvt_pk_f32_fp8_e32 v[6:7], v6
	v_pk_mul_f32 v[98:99], s[16:17], v[0:1]
	v_pk_mul_f32 v[96:97], s[16:17], v[6:7]
	s_and_saveexec_b64 s[18:19], vcc
; %bb.60:                               ;   in Loop: Header=BB208_48 Depth=1
	v_cmp_gt_i32_e64 s[0:1], s33, v85
	s_nop 1
	v_cndmask_b32_e64 v98, 0, v98, s[0:1]
	v_cmp_gt_i32_e64 s[0:1], s33, v87
	s_nop 1
	v_cndmask_b32_e64 v99, 0, v99, s[0:1]
	v_cmp_gt_i32_e64 s[0:1], s33, v86
	s_nop 1
	v_cndmask_b32_e64 v96, 0, v96, s[0:1]
	v_cmp_gt_i32_e64 s[0:1], s33, v88
	s_nop 1
	v_cndmask_b32_e64 v97, 0, v97, s[0:1]
; %bb.61:                               ;   in Loop: Header=BB208_48 Depth=1
	;; [unrolled: 24-line block ×11, first 2 shown]
	s_or_b64 exec, exec, s[18:19]
	scratch_load_dwordx2 v[6:7], off, off offset:204 ; 8-byte Folded Reload
	s_waitcnt vmcnt(0)
	v_lshl_add_u64 v[6:7], v[102:103], 0, v[6:7]
	global_load_dword v6, v[6:7], off
	s_waitcnt vmcnt(0)
	v_and_b32_e32 v7, 0xffff, v6
	v_lshrrev_b32_e32 v8, 16, v6
	v_cvt_pk_f32_fp8_e32 v[6:7], v7
	v_cvt_pk_f32_fp8_e32 v[8:9], v8
	v_pk_mul_f32 v[50:51], s[16:17], v[6:7]
	v_pk_mul_f32 v[48:49], s[16:17], v[8:9]
	s_and_saveexec_b64 s[18:19], vcc
; %bb.80:                               ;   in Loop: Header=BB208_48 Depth=1
	v_cmp_gt_i32_e64 s[0:1], s33, v85
	s_nop 1
	v_cndmask_b32_e64 v50, 0, v50, s[0:1]
	v_cmp_gt_i32_e64 s[0:1], s33, v87
	s_nop 1
	v_cndmask_b32_e64 v51, 0, v51, s[0:1]
	v_cmp_gt_i32_e64 s[0:1], s33, v86
	s_nop 1
	v_cndmask_b32_e64 v48, 0, v48, s[0:1]
	v_cmp_gt_i32_e64 s[0:1], s33, v88
	s_nop 1
	v_cndmask_b32_e64 v49, 0, v49, s[0:1]
; %bb.81:                               ;   in Loop: Header=BB208_48 Depth=1
	s_or_b64 exec, exec, s[18:19]
	scratch_load_dwordx2 v[6:7], off, off offset:212 ; 8-byte Folded Reload
	s_waitcnt vmcnt(0)
	v_lshl_add_u64 v[6:7], v[102:103], 0, v[6:7]
	global_load_dword v6, v[6:7], off
	s_waitcnt vmcnt(0)
	v_and_b32_e32 v7, 0xffff, v6
	v_lshrrev_b32_e32 v8, 16, v6
	v_cvt_pk_f32_fp8_e32 v[6:7], v7
	v_cvt_pk_f32_fp8_e32 v[8:9], v8
	v_pk_mul_f32 v[54:55], s[16:17], v[6:7]
	v_pk_mul_f32 v[52:53], s[16:17], v[8:9]
	s_and_saveexec_b64 s[18:19], vcc
; %bb.82:                               ;   in Loop: Header=BB208_48 Depth=1
	v_cmp_gt_i32_e64 s[0:1], s33, v85
	s_nop 1
	v_cndmask_b32_e64 v54, 0, v54, s[0:1]
	v_cmp_gt_i32_e64 s[0:1], s33, v87
	s_nop 1
	v_cndmask_b32_e64 v55, 0, v55, s[0:1]
	v_cmp_gt_i32_e64 s[0:1], s33, v86
	s_nop 1
	v_cndmask_b32_e64 v52, 0, v52, s[0:1]
	v_cmp_gt_i32_e64 s[0:1], s33, v88
	s_nop 1
	v_cndmask_b32_e64 v53, 0, v53, s[0:1]
; %bb.83:                               ;   in Loop: Header=BB208_48 Depth=1
	;; [unrolled: 27-line block ×10, first 2 shown]
	s_or_b64 exec, exec, s[18:19]
	scratch_load_dwordx2 v[18:19], off, off offset:284 ; 8-byte Folded Reload
	s_waitcnt vmcnt(0)
	v_lshl_add_u64 v[18:19], v[102:103], 0, v[18:19]
	global_load_dword v18, v[18:19], off
	s_waitcnt vmcnt(0)
	v_and_b32_e32 v19, 0xffff, v18
	v_lshrrev_b32_e32 v20, 16, v18
	v_cvt_pk_f32_fp8_e32 v[18:19], v19
	v_cvt_pk_f32_fp8_e32 v[22:23], v20
	v_pk_mul_f32 v[20:21], s[16:17], v[18:19]
	v_pk_mul_f32 v[18:19], s[16:17], v[22:23]
	s_and_saveexec_b64 s[18:19], vcc
; %bb.100:                              ;   in Loop: Header=BB208_48 Depth=1
	v_cmp_gt_i32_e64 s[0:1], s33, v85
	s_nop 1
	v_cndmask_b32_e64 v20, 0, v20, s[0:1]
	v_cmp_gt_i32_e64 s[0:1], s33, v87
	s_nop 1
	v_cndmask_b32_e64 v21, 0, v21, s[0:1]
	v_cmp_gt_i32_e64 s[0:1], s33, v86
	s_nop 1
	v_cndmask_b32_e64 v18, 0, v18, s[0:1]
	v_cmp_gt_i32_e64 s[0:1], s33, v88
	s_nop 1
	v_cndmask_b32_e64 v19, 0, v19, s[0:1]
; %bb.101:                              ;   in Loop: Header=BB208_48 Depth=1
	s_or_b64 exec, exec, s[18:19]
	scratch_load_dwordx2 v[22:23], off, off offset:292 ; 8-byte Folded Reload
	s_waitcnt vmcnt(0)
	v_lshl_add_u64 v[22:23], v[102:103], 0, v[22:23]
	global_load_dword v22, v[22:23], off
	s_waitcnt vmcnt(0)
	v_and_b32_e32 v23, 0xffff, v22
	v_lshrrev_b32_e32 v24, 16, v22
	v_cvt_pk_f32_fp8_e32 v[22:23], v23
	v_cvt_pk_f32_fp8_e32 v[24:25], v24
	v_pk_mul_f32 v[26:27], s[16:17], v[22:23]
	v_pk_mul_f32 v[24:25], s[16:17], v[24:25]
	s_and_saveexec_b64 s[18:19], vcc
; %bb.102:                              ;   in Loop: Header=BB208_48 Depth=1
	v_cmp_gt_i32_e64 s[0:1], s33, v85
	s_nop 1
	v_cndmask_b32_e64 v26, 0, v26, s[0:1]
	v_cmp_gt_i32_e64 s[0:1], s33, v87
	s_nop 1
	v_cndmask_b32_e64 v27, 0, v27, s[0:1]
	v_cmp_gt_i32_e64 s[0:1], s33, v86
	s_nop 1
	v_cndmask_b32_e64 v24, 0, v24, s[0:1]
	v_cmp_gt_i32_e64 s[0:1], s33, v88
	s_nop 1
	v_cndmask_b32_e64 v25, 0, v25, s[0:1]
; %bb.103:                              ;   in Loop: Header=BB208_48 Depth=1
	;; [unrolled: 27-line block ×6, first 2 shown]
	s_or_b64 exec, exec, s[18:19]
	scratch_load_dwordx2 v[22:23], off, off offset:332 ; 8-byte Folded Reload
	s_waitcnt vmcnt(0)
	v_lshl_add_u64 v[22:23], v[102:103], 0, v[22:23]
	global_load_dword v22, v[22:23], off
	s_waitcnt vmcnt(0)
	v_and_b32_e32 v23, 0xffff, v22
	v_lshrrev_b32_e32 v89, 16, v22
	v_cvt_pk_f32_fp8_e32 v[22:23], v23
	v_cvt_pk_f32_fp8_e32 v[102:103], v89
	v_pk_mul_f32 v[22:23], s[16:17], v[22:23]
	v_pk_mul_f32 v[102:103], s[16:17], v[102:103]
	s_and_saveexec_b64 s[0:1], vcc
	s_cbranch_execz .LBB208_46
; %bb.112:                              ;   in Loop: Header=BB208_48 Depth=1
	v_cmp_gt_i32_e32 vcc, s33, v85
	s_nop 1
	v_cndmask_b32_e32 v22, 0, v22, vcc
	v_cmp_gt_i32_e32 vcc, s33, v87
	s_nop 1
	v_cndmask_b32_e32 v23, 0, v23, vcc
	;; [unrolled: 3-line block ×4, first 2 shown]
	s_branch .LBB208_46
.LBB208_113:
	s_or_b64 exec, exec, s[8:9]
	scratch_load_dword v44, off, off offset:340 ; 4-byte Folded Reload
	scratch_load_dword v43, off, off offset:344 ; 4-byte Folded Reload
	;; [unrolled: 1-line block ×5, first 2 shown]
	scratch_load_dwordx2 v[48:49], off, off offset:56 ; 8-byte Folded Reload
	scratch_load_dwordx2 v[50:51], off, off offset:64 ; 8-byte Folded Reload
	;; [unrolled: 1-line block ×15, first 2 shown]
.LBB208_114:
	s_or_b64 exec, exec, s[2:3]
	s_waitcnt vmcnt(0)
	ds_bpermute_b32 v0, v40, v4
	ds_bpermute_b32 v1, v40, v5
	;; [unrolled: 1-line block ×6, first 2 shown]
	s_waitcnt lgkmcnt(4)
	v_pk_add_f32 v[0:1], v[4:5], v[0:1]
	ds_bpermute_b32 v4, v43, v0
	s_waitcnt lgkmcnt(3)
	v_pk_add_f32 v[2:3], v[6:7], v[2:3]
	ds_bpermute_b32 v5, v43, v1
	ds_bpermute_b32 v6, v43, v2
	;; [unrolled: 1-line block ×5, first 2 shown]
	s_waitcnt lgkmcnt(4)
	v_pk_add_f32 v[0:1], v[0:1], v[4:5]
	ds_bpermute_b32 v4, v46, v0
	s_waitcnt lgkmcnt(3)
	v_pk_add_f32 v[2:3], v[2:3], v[6:7]
	ds_bpermute_b32 v5, v46, v1
	v_pk_add_f32 v[6:7], v[10:11], v[8:9]
	ds_bpermute_b32 v10, v46, v2
	ds_bpermute_b32 v11, v46, v3
	s_waitcnt lgkmcnt(4)
	v_pk_add_f32 v[12:13], v[14:15], v[12:13]
	s_waitcnt lgkmcnt(2)
	v_pk_add_f32 v[30:31], v[0:1], v[4:5]
	ds_bpermute_b32 v14, v43, v12
	ds_bpermute_b32 v15, v43, v13
	s_waitcnt lgkmcnt(2)
	v_pk_add_f32 v[4:5], v[2:3], v[10:11]
	ds_bpermute_b32 v10, v40, v16
	ds_bpermute_b32 v11, v40, v17
	;; [unrolled: 1-line block ×4, first 2 shown]
	s_waitcnt lgkmcnt(4)
	v_pk_add_f32 v[0:1], v[12:13], v[14:15]
	s_waitcnt lgkmcnt(0)
	v_pk_add_f32 v[10:11], v[16:17], v[10:11]
	ds_bpermute_b32 v14, v43, v10
	ds_bpermute_b32 v15, v43, v11
	;; [unrolled: 1-line block ×4, first 2 shown]
	v_pk_add_f32 v[6:7], v[6:7], v[8:9]
	ds_bpermute_b32 v8, v46, v6
	ds_bpermute_b32 v9, v46, v7
	s_waitcnt lgkmcnt(4)
	v_pk_add_f32 v[10:11], v[10:11], v[14:15]
	s_waitcnt lgkmcnt(2)
	v_pk_add_f32 v[14:15], v[18:19], v[16:17]
	ds_bpermute_b32 v16, v43, v14
	ds_bpermute_b32 v17, v43, v15
	;; [unrolled: 1-line block ×4, first 2 shown]
	s_waitcnt lgkmcnt(4)
	v_pk_add_f32 v[2:3], v[6:7], v[8:9]
	ds_bpermute_b32 v6, v40, v20
	ds_bpermute_b32 v7, v40, v21
	s_waitcnt lgkmcnt(4)
	v_pk_add_f32 v[14:15], v[14:15], v[16:17]
	s_waitcnt lgkmcnt(2)
	v_pk_add_f32 v[24:25], v[10:11], v[18:19]
	ds_bpermute_b32 v10, v40, v56
	ds_bpermute_b32 v11, v40, v57
	s_waitcnt lgkmcnt(2)
	v_pk_add_f32 v[6:7], v[20:21], v[6:7]
	ds_bpermute_b32 v20, v40, v22
	ds_bpermute_b32 v21, v40, v23
	;; [unrolled: 1-line block ×4, first 2 shown]
	s_waitcnt lgkmcnt(4)
	v_pk_add_f32 v[10:11], v[56:57], v[10:11]
	ds_bpermute_b32 v8, v46, v0
	s_waitcnt lgkmcnt(3)
	v_pk_add_f32 v[20:21], v[22:23], v[20:21]
	ds_bpermute_b32 v9, v46, v1
	;; [unrolled: 3-line block ×3, first 2 shown]
	ds_bpermute_b32 v15, v43, v11
	ds_bpermute_b32 v16, v40, v34
	;; [unrolled: 1-line block ×7, first 2 shown]
	s_waitcnt lgkmcnt(6)
	v_pk_add_f32 v[10:11], v[10:11], v[14:15]
	s_waitcnt lgkmcnt(4)
	v_pk_add_f32 v[14:15], v[34:35], v[16:17]
	;; [unrolled: 2-line block ×3, first 2 shown]
	v_pk_add_f32 v[28:29], v[0:1], v[8:9]
	s_waitcnt lgkmcnt(0)
	v_pk_add_f32 v[0:1], v[20:21], v[32:33]
	ds_bpermute_b32 v16, v43, v14
	ds_bpermute_b32 v17, v43, v15
	;; [unrolled: 1-line block ×6, first 2 shown]
	s_waitcnt lgkmcnt(4)
	v_pk_add_f32 v[14:15], v[14:15], v[16:17]
	ds_bpermute_b32 v34, v46, v14
	s_waitcnt lgkmcnt(3)
	v_pk_add_f32 v[16:17], v[10:11], v[32:33]
	ds_bpermute_b32 v10, v40, v52
	ds_bpermute_b32 v11, v40, v53
	s_waitcnt lgkmcnt(3)
	v_pk_add_f32 v[26:27], v[6:7], v[12:13]
	ds_bpermute_b32 v6, v40, v58
	ds_bpermute_b32 v7, v40, v59
	ds_bpermute_b32 v35, v46, v15
	s_waitcnt lgkmcnt(3)
	v_pk_add_f32 v[10:11], v[52:53], v[10:11]
	ds_bpermute_b32 v18, v40, v36
	ds_bpermute_b32 v19, v40, v37
	s_waitcnt lgkmcnt(3)
	v_pk_add_f32 v[6:7], v[58:59], v[6:7]
	s_waitcnt lgkmcnt(2)
	v_pk_add_f32 v[14:15], v[14:15], v[34:35]
	ds_bpermute_b32 v32, v43, v10
	ds_bpermute_b32 v33, v43, v11
	;; [unrolled: 1-line block ×6, first 2 shown]
	s_waitcnt lgkmcnt(6)
	v_pk_add_f32 v[36:37], v[36:37], v[18:19]
	s_waitcnt lgkmcnt(4)
	v_pk_add_f32 v[32:33], v[10:11], v[32:33]
	;; [unrolled: 2-line block ×3, first 2 shown]
	ds_bpermute_b32 v8, v46, v0
	ds_bpermute_b32 v9, v46, v1
	s_waitcnt lgkmcnt(2)
	v_pk_add_f32 v[6:7], v[6:7], v[12:13]
	ds_bpermute_b32 v38, v43, v36
	ds_bpermute_b32 v39, v43, v37
	;; [unrolled: 1-line block ×6, first 2 shown]
	s_waitcnt lgkmcnt(6)
	v_pk_add_f32 v[20:21], v[0:1], v[8:9]
	s_waitcnt lgkmcnt(4)
	v_pk_add_f32 v[0:1], v[36:37], v[38:39]
	;; [unrolled: 2-line block ×3, first 2 shown]
	ds_bpermute_b32 v8, v46, v0
	s_waitcnt lgkmcnt(1)
	v_pk_add_f32 v[18:19], v[6:7], v[12:13]
	ds_bpermute_b32 v6, v40, v54
	ds_bpermute_b32 v7, v40, v55
	;; [unrolled: 1-line block ×7, first 2 shown]
	s_waitcnt lgkmcnt(4)
	v_pk_add_f32 v[10:11], v[0:1], v[8:9]
	s_barrier
	s_waitcnt lgkmcnt(0)
	v_pk_add_f32 v[6:7], v[54:55], v[6:7]
	v_pk_add_f32 v[0:1], v[34:35], v[40:41]
	scratch_load_dword v34, off, off offset:188 ; 4-byte Folded Reload
	ds_bpermute_b32 v12, v43, v6
	ds_bpermute_b32 v13, v43, v7
	v_pk_add_f32 v[38:39], v[48:49], v[38:39]
	ds_bpermute_b32 v42, v43, v38
	ds_bpermute_b32 v43, v43, v39
	;; [unrolled: 1-line block ×3, first 2 shown]
	s_waitcnt lgkmcnt(3)
	v_pk_add_f32 v[6:7], v[6:7], v[12:13]
	ds_bpermute_b32 v12, v46, v6
	ds_bpermute_b32 v13, v46, v7
	ds_bpermute_b32 v37, v46, v33
	s_waitcnt lgkmcnt(1)
	v_pk_add_f32 v[8:9], v[6:7], v[12:13]
	v_pk_add_f32 v[12:13], v[38:39], v[42:43]
	s_waitcnt lgkmcnt(0)
	v_pk_add_f32 v[6:7], v[32:33], v[36:37]
	ds_bpermute_b32 v32, v46, v12
	ds_bpermute_b32 v33, v46, v13
	s_waitcnt vmcnt(0)
	v_and_b32_e32 v34, 0x3c7, v34
	v_cmp_ne_u32_e32 vcc, 64, v34
	s_and_saveexec_b64 s[0:1], vcc
	s_xor_b64 s[0:1], exec, s[0:1]
; %bb.115:
                                        ; implicit-def: $vgpr44
; %bb.116:
	s_or_saveexec_b64 s[0:1], s[0:1]
	s_waitcnt lgkmcnt(0)
	v_pk_add_f32 v[12:13], v[12:13], v[32:33]
	s_xor_b64 exec, exec, s[0:1]
	s_cbranch_execz .LBB208_118
; %bb.117:
	v_lshrrev_b32_e32 v32, 1, v44
	v_add_u32_e32 v32, 0x410, v32
	ds_write2_b32 v32, v30, v31 offset1:8
	ds_write2_b32 v32, v4, v5 offset0:16 offset1:24
	ds_write2_b32 v32, v2, v3 offset0:32 offset1:40
	;; [unrolled: 1-line block ×15, first 2 shown]
.LBB208_118:
	s_or_b64 exec, exec, s[0:1]
	s_waitcnt lgkmcnt(0)
	s_barrier
	scratch_load_dword v32, off, off offset:188 ; 4-byte Folded Reload
	s_waitcnt vmcnt(0)
	v_cmp_gt_u32_e32 vcc, 64, v32
	s_and_saveexec_b64 s[0:1], vcc
	s_cbranch_execz .LBB208_153
; %bb.119:
	scratch_load_dword v32, off, off offset:188 ; 4-byte Folded Reload
	v_cmp_eq_u32_e32 vcc, 0, v45
	s_waitcnt vmcnt(0)
	v_lshrrev_b32_e32 v32, 3, v32
	s_and_saveexec_b64 s[2:3], vcc
	s_cbranch_execnz .LBB208_156
; %bb.120:
	s_or_b64 exec, exec, s[2:3]
	s_and_saveexec_b64 s[2:3], vcc
	s_cbranch_execnz .LBB208_157
.LBB208_121:
	s_or_b64 exec, exec, s[2:3]
	s_and_saveexec_b64 s[2:3], vcc
	s_cbranch_execnz .LBB208_158
.LBB208_122:
	s_or_b64 exec, exec, s[2:3]
	s_and_saveexec_b64 s[2:3], vcc
	s_cbranch_execnz .LBB208_159
.LBB208_123:
	s_or_b64 exec, exec, s[2:3]
	s_and_saveexec_b64 s[2:3], vcc
	s_cbranch_execnz .LBB208_160
.LBB208_124:
	s_or_b64 exec, exec, s[2:3]
	s_and_saveexec_b64 s[2:3], vcc
	s_cbranch_execnz .LBB208_161
.LBB208_125:
	s_or_b64 exec, exec, s[2:3]
	s_and_saveexec_b64 s[2:3], vcc
	s_cbranch_execnz .LBB208_162
.LBB208_126:
	s_or_b64 exec, exec, s[2:3]
	s_and_saveexec_b64 s[2:3], vcc
	s_cbranch_execnz .LBB208_163
.LBB208_127:
	s_or_b64 exec, exec, s[2:3]
	s_and_saveexec_b64 s[2:3], vcc
	s_cbranch_execnz .LBB208_164
.LBB208_128:
	s_or_b64 exec, exec, s[2:3]
	s_and_saveexec_b64 s[2:3], vcc
	s_cbranch_execnz .LBB208_165
.LBB208_129:
	s_or_b64 exec, exec, s[2:3]
	s_and_saveexec_b64 s[2:3], vcc
	s_cbranch_execnz .LBB208_166
.LBB208_130:
	s_or_b64 exec, exec, s[2:3]
	s_and_saveexec_b64 s[2:3], vcc
	s_cbranch_execnz .LBB208_167
.LBB208_131:
	s_or_b64 exec, exec, s[2:3]
	s_and_saveexec_b64 s[2:3], vcc
	s_cbranch_execnz .LBB208_168
.LBB208_132:
	s_or_b64 exec, exec, s[2:3]
	s_and_saveexec_b64 s[2:3], vcc
	s_cbranch_execnz .LBB208_169
.LBB208_133:
	s_or_b64 exec, exec, s[2:3]
	s_and_saveexec_b64 s[2:3], vcc
	s_cbranch_execnz .LBB208_170
.LBB208_134:
	s_or_b64 exec, exec, s[2:3]
	s_and_saveexec_b64 s[2:3], vcc
	s_cbranch_execnz .LBB208_171
.LBB208_135:
	s_or_b64 exec, exec, s[2:3]
	s_and_saveexec_b64 s[2:3], vcc
	s_cbranch_execnz .LBB208_172
.LBB208_136:
	s_or_b64 exec, exec, s[2:3]
	s_and_saveexec_b64 s[2:3], vcc
	s_cbranch_execnz .LBB208_173
.LBB208_137:
	s_or_b64 exec, exec, s[2:3]
	s_and_saveexec_b64 s[2:3], vcc
	s_cbranch_execnz .LBB208_174
.LBB208_138:
	s_or_b64 exec, exec, s[2:3]
	s_and_saveexec_b64 s[2:3], vcc
	s_cbranch_execnz .LBB208_175
.LBB208_139:
	s_or_b64 exec, exec, s[2:3]
	s_and_saveexec_b64 s[2:3], vcc
	s_cbranch_execnz .LBB208_176
.LBB208_140:
	s_or_b64 exec, exec, s[2:3]
	s_and_saveexec_b64 s[2:3], vcc
	s_cbranch_execnz .LBB208_177
.LBB208_141:
	s_or_b64 exec, exec, s[2:3]
	s_and_saveexec_b64 s[2:3], vcc
	s_cbranch_execnz .LBB208_178
.LBB208_142:
	s_or_b64 exec, exec, s[2:3]
	s_and_saveexec_b64 s[2:3], vcc
	s_cbranch_execnz .LBB208_179
.LBB208_143:
	s_or_b64 exec, exec, s[2:3]
	s_and_saveexec_b64 s[2:3], vcc
	s_cbranch_execnz .LBB208_180
.LBB208_144:
	s_or_b64 exec, exec, s[2:3]
	s_and_saveexec_b64 s[2:3], vcc
	s_cbranch_execnz .LBB208_181
.LBB208_145:
	s_or_b64 exec, exec, s[2:3]
	s_and_saveexec_b64 s[2:3], vcc
	s_cbranch_execnz .LBB208_182
.LBB208_146:
	s_or_b64 exec, exec, s[2:3]
	s_and_saveexec_b64 s[2:3], vcc
	s_cbranch_execnz .LBB208_183
.LBB208_147:
	s_or_b64 exec, exec, s[2:3]
	s_and_saveexec_b64 s[2:3], vcc
	s_cbranch_execnz .LBB208_184
.LBB208_148:
	s_or_b64 exec, exec, s[2:3]
	s_and_saveexec_b64 s[2:3], vcc
	s_cbranch_execnz .LBB208_185
.LBB208_149:
	s_or_b64 exec, exec, s[2:3]
	s_and_saveexec_b64 s[2:3], vcc
	s_cbranch_execnz .LBB208_186
.LBB208_150:
	s_or_b64 exec, exec, s[2:3]
	s_and_saveexec_b64 s[2:3], vcc
	s_cbranch_execz .LBB208_152
.LBB208_151:
	v_mov_b32_e32 v33, 0x410
	v_lshl_add_u32 v32, v32, 2, v33
	ds_read_b32 v32, v32 offset:992
	s_waitcnt lgkmcnt(0)
	v_add_f32_e32 v13, v13, v32
.LBB208_152:
	s_or_b64 exec, exec, s[2:3]
.LBB208_153:
	s_or_b64 exec, exec, s[0:1]
	v_cmp_eq_u32_e32 vcc, 0, v34
	s_barrier
	s_and_saveexec_b64 s[0:1], vcc
	s_cbranch_execz .LBB208_155
; %bb.154:
	scratch_load_dword v32, off, off offset:188 ; 4-byte Folded Reload
	s_mul_i32 s0, s10, s11
	s_mul_i32 s0, s0, s5
	s_lshl_b32 s0, s0, 8
	s_ashr_i32 s1, s0, 31
	s_lshl_b64 s[0:1], s[0:1], 2
	s_add_u32 s2, s26, s0
	s_mul_i32 s0, s11, s24
	s_addc_u32 s3, s27, s1
	s_ashr_i32 s1, s0, 31
	s_lshl_b64 s[0:1], s[0:1], 2
	s_add_u32 s2, s2, s0
	s_addc_u32 s3, s3, s1
	s_lshl_b32 s0, s4, 8
	s_ashr_i32 s1, s0, 31
	s_lshl_b64 s[0:1], s[0:1], 2
	s_add_u32 s0, s2, s0
	s_addc_u32 s1, s3, s1
	s_waitcnt vmcnt(0)
	v_lshrrev_b32_e32 v32, 1, v32
	global_store_dword v32, v30, s[0:1]
	global_store_dword v32, v31, s[0:1] offset:32
	global_store_dword v32, v4, s[0:1] offset:64
	;; [unrolled: 1-line block ×31, first 2 shown]
.LBB208_155:
	s_endpgm
.LBB208_156:
	v_mov_b32_e32 v33, 0x410
	v_lshl_add_u32 v33, v32, 2, v33
	ds_read_b32 v33, v33
	s_waitcnt lgkmcnt(0)
	v_add_f32_e32 v30, v30, v33
	s_or_b64 exec, exec, s[2:3]
	s_and_saveexec_b64 s[2:3], vcc
	s_cbranch_execz .LBB208_121
.LBB208_157:
	v_mov_b32_e32 v33, 0x410
	v_lshl_add_u32 v33, v32, 2, v33
	ds_read_b32 v33, v33 offset:32
	s_waitcnt lgkmcnt(0)
	v_add_f32_e32 v31, v31, v33
	s_or_b64 exec, exec, s[2:3]
	s_and_saveexec_b64 s[2:3], vcc
	s_cbranch_execz .LBB208_122
.LBB208_158:
	v_mov_b32_e32 v33, 0x410
	v_lshl_add_u32 v33, v32, 2, v33
	ds_read_b32 v33, v33 offset:64
	s_waitcnt lgkmcnt(0)
	v_add_f32_e32 v4, v4, v33
	s_or_b64 exec, exec, s[2:3]
	s_and_saveexec_b64 s[2:3], vcc
	s_cbranch_execz .LBB208_123
.LBB208_159:
	v_mov_b32_e32 v33, 0x410
	v_lshl_add_u32 v33, v32, 2, v33
	ds_read_b32 v33, v33 offset:96
	s_waitcnt lgkmcnt(0)
	v_add_f32_e32 v5, v5, v33
	s_or_b64 exec, exec, s[2:3]
	s_and_saveexec_b64 s[2:3], vcc
	s_cbranch_execz .LBB208_124
.LBB208_160:
	v_mov_b32_e32 v33, 0x410
	v_lshl_add_u32 v33, v32, 2, v33
	ds_read_b32 v33, v33 offset:128
	s_waitcnt lgkmcnt(0)
	v_add_f32_e32 v2, v2, v33
	s_or_b64 exec, exec, s[2:3]
	s_and_saveexec_b64 s[2:3], vcc
	s_cbranch_execz .LBB208_125
.LBB208_161:
	v_mov_b32_e32 v33, 0x410
	v_lshl_add_u32 v33, v32, 2, v33
	ds_read_b32 v33, v33 offset:160
	s_waitcnt lgkmcnt(0)
	v_add_f32_e32 v3, v3, v33
	s_or_b64 exec, exec, s[2:3]
	s_and_saveexec_b64 s[2:3], vcc
	s_cbranch_execz .LBB208_126
.LBB208_162:
	v_mov_b32_e32 v33, 0x410
	v_lshl_add_u32 v33, v32, 2, v33
	ds_read_b32 v33, v33 offset:192
	s_waitcnt lgkmcnt(0)
	v_add_f32_e32 v28, v28, v33
	s_or_b64 exec, exec, s[2:3]
	s_and_saveexec_b64 s[2:3], vcc
	s_cbranch_execz .LBB208_127
.LBB208_163:
	v_mov_b32_e32 v33, 0x410
	v_lshl_add_u32 v33, v32, 2, v33
	ds_read_b32 v33, v33 offset:224
	s_waitcnt lgkmcnt(0)
	v_add_f32_e32 v29, v29, v33
	s_or_b64 exec, exec, s[2:3]
	s_and_saveexec_b64 s[2:3], vcc
	s_cbranch_execz .LBB208_128
.LBB208_164:
	v_mov_b32_e32 v33, 0x410
	v_lshl_add_u32 v33, v32, 2, v33
	ds_read_b32 v33, v33 offset:256
	s_waitcnt lgkmcnt(0)
	v_add_f32_e32 v26, v26, v33
	s_or_b64 exec, exec, s[2:3]
	s_and_saveexec_b64 s[2:3], vcc
	s_cbranch_execz .LBB208_129
.LBB208_165:
	v_mov_b32_e32 v33, 0x410
	v_lshl_add_u32 v33, v32, 2, v33
	ds_read_b32 v33, v33 offset:288
	s_waitcnt lgkmcnt(0)
	v_add_f32_e32 v27, v27, v33
	s_or_b64 exec, exec, s[2:3]
	s_and_saveexec_b64 s[2:3], vcc
	s_cbranch_execz .LBB208_130
.LBB208_166:
	v_mov_b32_e32 v33, 0x410
	v_lshl_add_u32 v33, v32, 2, v33
	ds_read_b32 v33, v33 offset:320
	s_waitcnt lgkmcnt(0)
	v_add_f32_e32 v24, v24, v33
	s_or_b64 exec, exec, s[2:3]
	s_and_saveexec_b64 s[2:3], vcc
	s_cbranch_execz .LBB208_131
.LBB208_167:
	v_mov_b32_e32 v33, 0x410
	v_lshl_add_u32 v33, v32, 2, v33
	ds_read_b32 v33, v33 offset:352
	s_waitcnt lgkmcnt(0)
	v_add_f32_e32 v25, v25, v33
	s_or_b64 exec, exec, s[2:3]
	s_and_saveexec_b64 s[2:3], vcc
	s_cbranch_execz .LBB208_132
.LBB208_168:
	v_mov_b32_e32 v33, 0x410
	v_lshl_add_u32 v33, v32, 2, v33
	ds_read_b32 v33, v33 offset:384
	s_waitcnt lgkmcnt(0)
	v_add_f32_e32 v22, v22, v33
	s_or_b64 exec, exec, s[2:3]
	s_and_saveexec_b64 s[2:3], vcc
	s_cbranch_execz .LBB208_133
.LBB208_169:
	v_mov_b32_e32 v33, 0x410
	v_lshl_add_u32 v33, v32, 2, v33
	ds_read_b32 v33, v33 offset:416
	s_waitcnt lgkmcnt(0)
	v_add_f32_e32 v23, v23, v33
	s_or_b64 exec, exec, s[2:3]
	s_and_saveexec_b64 s[2:3], vcc
	s_cbranch_execz .LBB208_134
.LBB208_170:
	v_mov_b32_e32 v33, 0x410
	v_lshl_add_u32 v33, v32, 2, v33
	ds_read_b32 v33, v33 offset:448
	s_waitcnt lgkmcnt(0)
	v_add_f32_e32 v20, v20, v33
	s_or_b64 exec, exec, s[2:3]
	s_and_saveexec_b64 s[2:3], vcc
	s_cbranch_execz .LBB208_135
.LBB208_171:
	v_mov_b32_e32 v33, 0x410
	v_lshl_add_u32 v33, v32, 2, v33
	ds_read_b32 v33, v33 offset:480
	s_waitcnt lgkmcnt(0)
	v_add_f32_e32 v21, v21, v33
	s_or_b64 exec, exec, s[2:3]
	s_and_saveexec_b64 s[2:3], vcc
	s_cbranch_execz .LBB208_136
.LBB208_172:
	v_mov_b32_e32 v33, 0x410
	v_lshl_add_u32 v33, v32, 2, v33
	ds_read_b32 v33, v33 offset:512
	s_waitcnt lgkmcnt(0)
	v_add_f32_e32 v18, v18, v33
	s_or_b64 exec, exec, s[2:3]
	s_and_saveexec_b64 s[2:3], vcc
	s_cbranch_execz .LBB208_137
.LBB208_173:
	v_mov_b32_e32 v33, 0x410
	v_lshl_add_u32 v33, v32, 2, v33
	ds_read_b32 v33, v33 offset:544
	s_waitcnt lgkmcnt(0)
	v_add_f32_e32 v19, v19, v33
	s_or_b64 exec, exec, s[2:3]
	s_and_saveexec_b64 s[2:3], vcc
	s_cbranch_execz .LBB208_138
.LBB208_174:
	v_mov_b32_e32 v33, 0x410
	v_lshl_add_u32 v33, v32, 2, v33
	ds_read_b32 v33, v33 offset:576
	s_waitcnt lgkmcnt(0)
	v_add_f32_e32 v16, v16, v33
	s_or_b64 exec, exec, s[2:3]
	s_and_saveexec_b64 s[2:3], vcc
	s_cbranch_execz .LBB208_139
.LBB208_175:
	v_mov_b32_e32 v33, 0x410
	v_lshl_add_u32 v33, v32, 2, v33
	ds_read_b32 v33, v33 offset:608
	s_waitcnt lgkmcnt(0)
	v_add_f32_e32 v17, v17, v33
	s_or_b64 exec, exec, s[2:3]
	s_and_saveexec_b64 s[2:3], vcc
	s_cbranch_execz .LBB208_140
.LBB208_176:
	v_mov_b32_e32 v33, 0x410
	v_lshl_add_u32 v33, v32, 2, v33
	ds_read_b32 v33, v33 offset:640
	s_waitcnt lgkmcnt(0)
	v_add_f32_e32 v14, v14, v33
	s_or_b64 exec, exec, s[2:3]
	s_and_saveexec_b64 s[2:3], vcc
	s_cbranch_execz .LBB208_141
.LBB208_177:
	v_mov_b32_e32 v33, 0x410
	v_lshl_add_u32 v33, v32, 2, v33
	ds_read_b32 v33, v33 offset:672
	s_waitcnt lgkmcnt(0)
	v_add_f32_e32 v15, v15, v33
	s_or_b64 exec, exec, s[2:3]
	s_and_saveexec_b64 s[2:3], vcc
	s_cbranch_execz .LBB208_142
.LBB208_178:
	v_mov_b32_e32 v33, 0x410
	v_lshl_add_u32 v33, v32, 2, v33
	ds_read_b32 v33, v33 offset:704
	s_waitcnt lgkmcnt(0)
	v_add_f32_e32 v10, v10, v33
	s_or_b64 exec, exec, s[2:3]
	s_and_saveexec_b64 s[2:3], vcc
	s_cbranch_execz .LBB208_143
.LBB208_179:
	v_mov_b32_e32 v33, 0x410
	v_lshl_add_u32 v33, v32, 2, v33
	ds_read_b32 v33, v33 offset:736
	s_waitcnt lgkmcnt(0)
	v_add_f32_e32 v11, v11, v33
	s_or_b64 exec, exec, s[2:3]
	s_and_saveexec_b64 s[2:3], vcc
	s_cbranch_execz .LBB208_144
.LBB208_180:
	v_mov_b32_e32 v33, 0x410
	v_lshl_add_u32 v33, v32, 2, v33
	ds_read_b32 v33, v33 offset:768
	s_waitcnt lgkmcnt(0)
	v_add_f32_e32 v8, v8, v33
	s_or_b64 exec, exec, s[2:3]
	s_and_saveexec_b64 s[2:3], vcc
	s_cbranch_execz .LBB208_145
.LBB208_181:
	v_mov_b32_e32 v33, 0x410
	v_lshl_add_u32 v33, v32, 2, v33
	ds_read_b32 v33, v33 offset:800
	s_waitcnt lgkmcnt(0)
	v_add_f32_e32 v9, v9, v33
	s_or_b64 exec, exec, s[2:3]
	s_and_saveexec_b64 s[2:3], vcc
	s_cbranch_execz .LBB208_146
.LBB208_182:
	v_mov_b32_e32 v33, 0x410
	v_lshl_add_u32 v33, v32, 2, v33
	ds_read_b32 v33, v33 offset:832
	s_waitcnt lgkmcnt(0)
	v_add_f32_e32 v6, v6, v33
	s_or_b64 exec, exec, s[2:3]
	s_and_saveexec_b64 s[2:3], vcc
	s_cbranch_execz .LBB208_147
.LBB208_183:
	v_mov_b32_e32 v33, 0x410
	v_lshl_add_u32 v33, v32, 2, v33
	ds_read_b32 v33, v33 offset:864
	s_waitcnt lgkmcnt(0)
	v_add_f32_e32 v7, v7, v33
	s_or_b64 exec, exec, s[2:3]
	s_and_saveexec_b64 s[2:3], vcc
	s_cbranch_execz .LBB208_148
.LBB208_184:
	v_mov_b32_e32 v33, 0x410
	v_lshl_add_u32 v33, v32, 2, v33
	ds_read_b32 v33, v33 offset:896
	s_waitcnt lgkmcnt(0)
	v_add_f32_e32 v0, v0, v33
	s_or_b64 exec, exec, s[2:3]
	s_and_saveexec_b64 s[2:3], vcc
	s_cbranch_execz .LBB208_149
.LBB208_185:
	v_mov_b32_e32 v33, 0x410
	v_lshl_add_u32 v33, v32, 2, v33
	ds_read_b32 v33, v33 offset:928
	s_waitcnt lgkmcnt(0)
	v_add_f32_e32 v1, v1, v33
	s_or_b64 exec, exec, s[2:3]
	s_and_saveexec_b64 s[2:3], vcc
	s_cbranch_execz .LBB208_150
.LBB208_186:
	v_mov_b32_e32 v33, 0x410
	v_lshl_add_u32 v33, v32, 2, v33
	ds_read_b32 v33, v33 offset:960
	s_waitcnt lgkmcnt(0)
	v_add_f32_e32 v12, v12, v33
	s_or_b64 exec, exec, s[2:3]
	s_and_saveexec_b64 s[2:3], vcc
	s_cbranch_execnz .LBB208_151
	s_branch .LBB208_152
	.section	.rodata,"a",@progbits
	.p2align	6, 0x0
	.amdhsa_kernel _ZN4vllm25paged_attention_v1_kernelIfhLi256ELi32ELi128ELNS_18Fp8KVCacheDataTypeE1ELb1EEEvPT_PKS2_PKT0_S8_ifPKiSA_iPKfiiiSC_SC_iiiii
		.amdhsa_group_segment_fixed_size 1040
		.amdhsa_private_segment_fixed_size 364
		.amdhsa_kernarg_size 384
		.amdhsa_user_sgpr_count 2
		.amdhsa_user_sgpr_dispatch_ptr 0
		.amdhsa_user_sgpr_queue_ptr 0
		.amdhsa_user_sgpr_kernarg_segment_ptr 1
		.amdhsa_user_sgpr_dispatch_id 0
		.amdhsa_user_sgpr_kernarg_preload_length 0
		.amdhsa_user_sgpr_kernarg_preload_offset 0
		.amdhsa_user_sgpr_private_segment_size 0
		.amdhsa_uses_dynamic_stack 0
		.amdhsa_enable_private_segment 1
		.amdhsa_system_sgpr_workgroup_id_x 1
		.amdhsa_system_sgpr_workgroup_id_y 1
		.amdhsa_system_sgpr_workgroup_id_z 1
		.amdhsa_system_sgpr_workgroup_info 0
		.amdhsa_system_vgpr_workitem_id 0
		.amdhsa_next_free_vgpr 128
		.amdhsa_next_free_sgpr 66
		.amdhsa_accum_offset 128
		.amdhsa_reserve_vcc 1
		.amdhsa_float_round_mode_32 0
		.amdhsa_float_round_mode_16_64 0
		.amdhsa_float_denorm_mode_32 3
		.amdhsa_float_denorm_mode_16_64 3
		.amdhsa_dx10_clamp 1
		.amdhsa_ieee_mode 1
		.amdhsa_fp16_overflow 0
		.amdhsa_tg_split 0
		.amdhsa_exception_fp_ieee_invalid_op 0
		.amdhsa_exception_fp_denorm_src 0
		.amdhsa_exception_fp_ieee_div_zero 0
		.amdhsa_exception_fp_ieee_overflow 0
		.amdhsa_exception_fp_ieee_underflow 0
		.amdhsa_exception_fp_ieee_inexact 0
		.amdhsa_exception_int_div_zero 0
	.end_amdhsa_kernel
	.section	.text._ZN4vllm25paged_attention_v1_kernelIfhLi256ELi32ELi128ELNS_18Fp8KVCacheDataTypeE1ELb1EEEvPT_PKS2_PKT0_S8_ifPKiSA_iPKfiiiSC_SC_iiiii,"axG",@progbits,_ZN4vllm25paged_attention_v1_kernelIfhLi256ELi32ELi128ELNS_18Fp8KVCacheDataTypeE1ELb1EEEvPT_PKS2_PKT0_S8_ifPKiSA_iPKfiiiSC_SC_iiiii,comdat
.Lfunc_end208:
	.size	_ZN4vllm25paged_attention_v1_kernelIfhLi256ELi32ELi128ELNS_18Fp8KVCacheDataTypeE1ELb1EEEvPT_PKS2_PKT0_S8_ifPKiSA_iPKfiiiSC_SC_iiiii, .Lfunc_end208-_ZN4vllm25paged_attention_v1_kernelIfhLi256ELi32ELi128ELNS_18Fp8KVCacheDataTypeE1ELb1EEEvPT_PKS2_PKT0_S8_ifPKiSA_iPKfiiiSC_SC_iiiii
                                        ; -- End function
	.section	.AMDGPU.csdata,"",@progbits
; Kernel info:
; codeLenInByte = 16332
; NumSgprs: 72
; NumVgprs: 128
; NumAgprs: 0
; TotalNumVgprs: 128
; ScratchSize: 364
; MemoryBound: 0
; FloatMode: 240
; IeeeMode: 1
; LDSByteSize: 1040 bytes/workgroup (compile time only)
; SGPRBlocks: 8
; VGPRBlocks: 15
; NumSGPRsForWavesPerEU: 72
; NumVGPRsForWavesPerEU: 128
; AccumOffset: 128
; Occupancy: 4
; WaveLimiterHint : 1
; COMPUTE_PGM_RSRC2:SCRATCH_EN: 1
; COMPUTE_PGM_RSRC2:USER_SGPR: 2
; COMPUTE_PGM_RSRC2:TRAP_HANDLER: 0
; COMPUTE_PGM_RSRC2:TGID_X_EN: 1
; COMPUTE_PGM_RSRC2:TGID_Y_EN: 1
; COMPUTE_PGM_RSRC2:TGID_Z_EN: 1
; COMPUTE_PGM_RSRC2:TIDIG_COMP_CNT: 0
; COMPUTE_PGM_RSRC3_GFX90A:ACCUM_OFFSET: 31
; COMPUTE_PGM_RSRC3_GFX90A:TG_SPLIT: 0
	.section	.text._ZN4vllm25paged_attention_v1_kernelIfhLi32ELi32ELi128ELNS_18Fp8KVCacheDataTypeE1ELb0EEEvPT_PKS2_PKT0_S8_ifPKiSA_iPKfiiiSC_SC_iiiii,"axG",@progbits,_ZN4vllm25paged_attention_v1_kernelIfhLi32ELi32ELi128ELNS_18Fp8KVCacheDataTypeE1ELb0EEEvPT_PKS2_PKT0_S8_ifPKiSA_iPKfiiiSC_SC_iiiii,comdat
	.protected	_ZN4vllm25paged_attention_v1_kernelIfhLi32ELi32ELi128ELNS_18Fp8KVCacheDataTypeE1ELb0EEEvPT_PKS2_PKT0_S8_ifPKiSA_iPKfiiiSC_SC_iiiii ; -- Begin function _ZN4vllm25paged_attention_v1_kernelIfhLi32ELi32ELi128ELNS_18Fp8KVCacheDataTypeE1ELb0EEEvPT_PKS2_PKT0_S8_ifPKiSA_iPKfiiiSC_SC_iiiii
	.globl	_ZN4vllm25paged_attention_v1_kernelIfhLi32ELi32ELi128ELNS_18Fp8KVCacheDataTypeE1ELb0EEEvPT_PKS2_PKT0_S8_ifPKiSA_iPKfiiiSC_SC_iiiii
	.p2align	8
	.type	_ZN4vllm25paged_attention_v1_kernelIfhLi32ELi32ELi128ELNS_18Fp8KVCacheDataTypeE1ELb0EEEvPT_PKS2_PKT0_S8_ifPKiSA_iPKfiiiSC_SC_iiiii,@function
_ZN4vllm25paged_attention_v1_kernelIfhLi32ELi32ELi128ELNS_18Fp8KVCacheDataTypeE1ELb0EEEvPT_PKS2_PKT0_S8_ifPKiSA_iPKfiiiSC_SC_iiiii: ; @_ZN4vllm25paged_attention_v1_kernelIfhLi32ELi32ELi128ELNS_18Fp8KVCacheDataTypeE1ELb0EEEvPT_PKS2_PKT0_S8_ifPKiSA_iPKfiiiSC_SC_iiiii
; %bb.0:
	s_load_dword s5, s[0:1], 0x80
	s_load_dwordx2 s[6:7], s[0:1], 0x30
	s_load_dwordx2 s[28:29], s[0:1], 0x20
	s_mov_b32 s16, s3
	s_ashr_i32 s17, s3, 31
	s_lshl_b64 s[8:9], s[16:17], 2
	s_waitcnt lgkmcnt(0)
	s_add_u32 s6, s6, s8
	s_addc_u32 s7, s7, s9
	s_abs_i32 s3, s28
	v_cvt_f32_u32_e32 v1, s3
	s_sub_i32 s10, 0, s3
	s_abs_i32 s9, s5
	s_xor_b32 s8, s5, s28
	v_rcp_iflag_f32_e32 v1, v1
	s_ashr_i32 s8, s8, 31
	s_mov_b32 s28, 0
	v_mul_f32_e32 v1, 0x4f7ffffe, v1
	v_cvt_u32_f32_e32 v1, v1
	s_nop 0
	v_readfirstlane_b32 s11, v1
	s_mul_i32 s10, s10, s11
	s_mul_hi_u32 s10, s11, s10
	s_add_i32 s11, s11, s10
	s_mul_hi_u32 s10, s9, s11
	s_mul_i32 s11, s10, s3
	s_sub_i32 s9, s9, s11
	s_add_i32 s11, s10, 1
	s_sub_i32 s12, s9, s3
	s_cmp_ge_u32 s9, s3
	s_cselect_b32 s10, s11, s10
	s_cselect_b32 s9, s12, s9
	s_add_i32 s11, s10, 1
	s_cmp_ge_u32 s9, s3
	s_cselect_b32 s3, s11, s10
	s_xor_b32 s3, s3, s8
	s_sub_i32 s12, s3, s8
	s_abs_i32 s10, s12
	v_cvt_f32_u32_e32 v1, s10
	s_load_dwordx2 s[8:9], s[0:1], 0x40
	s_sub_i32 s3, 0, s10
	s_abs_i32 s11, s2
	v_rcp_iflag_f32_e32 v1, v1
	s_nop 0
	v_mul_f32_e32 v1, 0x4f7ffffe, v1
	v_cvt_u32_f32_e32 v1, v1
	s_nop 0
	v_readfirstlane_b32 s13, v1
	s_mul_i32 s3, s3, s13
	s_mul_hi_u32 s3, s13, s3
	s_add_i32 s13, s13, s3
	s_waitcnt lgkmcnt(0)
	s_cmp_eq_u64 s[8:9], 0
	s_mul_hi_u32 s20, s11, s13
	s_cbranch_scc1 .LBB209_2
; %bb.1:
	s_ashr_i32 s3, s2, 31
	s_lshl_b64 s[14:15], s[2:3], 2
	s_add_u32 s8, s8, s14
	s_addc_u32 s9, s9, s15
	s_load_dword s28, s[8:9], 0x0
.LBB209_2:
	s_load_dword s17, s[6:7], 0x0
	s_ashr_i32 s7, s12, 31
	s_load_dwordx4 s[12:15], s[0:1], 0x48
	s_ashr_i32 s6, s2, 31
	v_and_b32_e32 v22, 1, v0
	s_lshl_b32 s18, s2, 5
	v_cmp_gt_u32_e32 vcc, 16, v0
	v_lshlrev_b32_e32 v24, 2, v0
	s_and_saveexec_b64 s[2:3], vcc
	s_cbranch_execz .LBB209_4
; %bb.3:
	s_load_dwordx2 s[8:9], s[0:1], 0x8
	s_waitcnt lgkmcnt(0)
	s_mul_i32 s22, s16, s12
	s_ashr_i32 s23, s22, 31
	s_lshl_b64 s[22:23], s[22:23], 2
	v_lshlrev_b32_e32 v1, 3, v0
	s_add_u32 s12, s8, s22
	s_addc_u32 s15, s9, s23
	s_ashr_i32 s19, s18, 31
	s_lshl_b64 s[8:9], s[18:19], 2
	s_add_u32 s8, s12, s8
	s_addc_u32 s9, s15, s9
	global_load_dwordx2 v[2:3], v1, s[8:9]
	v_and_b32_e32 v1, 0xff8, v24
	v_lshl_add_u32 v1, v22, 6, v1
	s_waitcnt vmcnt(0)
	ds_write_b64 v1, v[2:3]
.LBB209_4:
	s_or_b64 exec, exec, s[2:3]
	s_waitcnt lgkmcnt(0)
	s_add_i32 s3, s17, 31
	s_ashr_i32 s8, s3, 31
	s_lshr_b32 s8, s8, 27
	s_add_i32 s3, s3, s8
	s_ashr_i32 s19, s3, 5
	s_xor_b32 s3, s6, s7
	s_mul_i32 s6, s20, s10
	s_sub_i32 s6, s11, s6
	s_add_i32 s7, s20, 1
	s_sub_i32 s8, s6, s10
	s_load_dwordx2 s[22:23], s[0:1], 0x28
	s_load_dword s2, s[0:1], 0x38
	s_cmp_ge_u32 s6, s10
	s_cselect_b32 s7, s7, s20
	s_cselect_b32 s6, s8, s6
	s_add_i32 s8, s7, 1
	s_cmp_ge_u32 s6, s10
	s_cselect_b32 s6, s8, s7
	v_lshrrev_b32_e32 v1, 6, v0
	s_xor_b32 s6, s6, s3
	s_waitcnt lgkmcnt(0)
	s_mul_i32 s24, s16, s2
	s_sub_i32 s33, s6, s3
	s_ashr_i32 s25, s24, 31
	v_cmp_gt_i32_e64 s[2:3], s19, v1
	v_cmp_le_i32_e32 vcc, s19, v1
	v_mbcnt_lo_u32_b32 v23, -1, 0
	s_barrier
	s_waitcnt lgkmcnt(0)
                                        ; implicit-def: $sgpr15
                                        ; implicit-def: $vgpr26
                                        ; implicit-def: $vgpr27
	s_and_saveexec_b64 s[6:7], vcc
	s_xor_b64 s[6:7], exec, s[6:7]
; %bb.5:
	v_mbcnt_hi_u32_b32 v26, -1, v23
	v_and_b32_e32 v2, 64, v26
	v_add_u32_e32 v27, 64, v2
	s_mov_b32 s15, 0xff7fffff
                                        ; implicit-def: $vgpr22
                                        ; implicit-def: $vgpr23
; %bb.6:
	s_or_saveexec_b64 s[30:31], s[6:7]
	s_load_dwordx2 s[20:21], s[0:1], 0x0
	s_load_dwordx2 s[26:27], s[0:1], 0x18
	s_load_dword s12, s[0:1], 0x88
	s_load_dwordx4 s[8:11], s[0:1], 0x58
	v_mov_b32_e32 v28, s15
	s_mul_i32 s33, s33, s14
	v_lshrrev_b32_e32 v25, 4, v0
	s_xor_b64 exec, exec, s[30:31]
	s_cbranch_execz .LBB209_12
; %bb.7:
	s_load_dwordx2 s[0:1], s[0:1], 0x10
	v_lshlrev_b32_e32 v14, 6, v22
	v_mbcnt_hi_u32_b32 v26, -1, v23
	s_ashr_i32 s6, s33, 31
	ds_read_b128 v[2:5], v14
	ds_read_b128 v[6:9], v14 offset:16
	ds_read_b128 v[10:13], v14 offset:32
	;; [unrolled: 1-line block ×3, first 2 shown]
	v_and_b32_e32 v27, 64, v26
	v_bfe_u32 v28, v0, 1, 5
	s_waitcnt lgkmcnt(0)
	s_add_u32 s0, s0, s33
	v_xor_b32_e32 v23, 1, v26
	v_add_u32_e32 v27, 64, v27
	s_load_dword s8, s[8:9], 0x0
	v_lshlrev_b32_e32 v18, 4, v28
	s_addc_u32 s1, s1, s6
	v_mov_b32_e32 v19, 0
	v_cmp_lt_i32_e32 vcc, v23, v27
	v_lshl_add_u64 v[20:21], s[0:1], 0, v[18:19]
	v_lshlrev_b32_e32 v18, 1, v22
	v_cndmask_b32_e32 v23, v26, v23, vcc
	v_cmp_eq_u32_e32 vcc, 0, v22
	s_sub_i32 s37, 1, s17
	v_lshlrev_b32_e32 v22, 2, v28
	s_lshl_b64 s[6:7], s[24:25], 2
	v_lshl_or_b32 v22, v1, 7, v22
	s_add_u32 s6, s22, s6
	v_lshlrev_b32_e32 v29, 2, v23
	v_add_u32_e32 v31, 0x90, v22
	v_and_b32_e32 v22, 60, v25
	v_mov_b32_e32 v23, v19
	s_addc_u32 s7, s23, s7
	s_mov_b32 s36, s13
	v_cmp_neq_f32_e64 s[0:1], s28, 0
	s_waitcnt lgkmcnt(0)
	s_mov_b32 s9, s8
	v_lshl_or_b32 v30, v1, 5, v28
	v_lshl_add_u64 v[22:23], s[6:7], 0, v[22:23]
	s_mov_b64 s[14:15], 0
	v_mov_b32_e32 v28, 0xff7fffff
	v_mov_b32_e32 v32, v1
	s_branch .LBB209_9
.LBB209_8:                              ;   in Loop: Header=BB209_9 Depth=1
	s_or_b64 exec, exec, s[34:35]
	v_add_u32_e32 v32, 2, v32
	v_cmp_le_i32_e64 s[6:7], s19, v32
	v_add_u32_e32 v30, 64, v30
	v_add_u32_e32 v31, 0x100, v31
	s_or_b64 s[14:15], s[6:7], s[14:15]
	v_lshl_add_u64 v[22:23], v[22:23], 0, 8
	s_andn2_b64 exec, exec, s[14:15]
	s_cbranch_execz .LBB209_11
.LBB209_9:                              ; =>This Inner Loop Header: Depth=1
	global_load_dword v33, v[22:23], off
	s_waitcnt vmcnt(0) lgkmcnt(0)
	v_mad_i64_i32 v[34:35], s[6:7], v33, s36, v[20:21]
	v_lshl_add_u64 v[34:35], v[34:35], 0, v[18:19]
	global_load_ushort v33, v[34:35], off
	global_load_ushort v36, v[34:35], off offset:4
	global_load_ushort v38, v[34:35], off offset:8
	;; [unrolled: 1-line block ×7, first 2 shown]
	s_waitcnt vmcnt(7)
	v_cvt_pk_f32_fp8_e32 v[34:35], v33
	s_waitcnt vmcnt(6)
	v_cvt_pk_f32_fp8_e32 v[36:37], v36
	;; [unrolled: 2-line block ×5, first 2 shown]
	v_pk_mul_f32 v[36:37], s[8:9], v[36:37]
	s_waitcnt vmcnt(2)
	v_cvt_pk_f32_fp8_e32 v[44:45], v44
	v_pk_mul_f32 v[34:35], s[8:9], v[34:35]
	v_mul_f32_e32 v33, v4, v36
	v_mul_f32_e32 v36, v5, v37
	s_waitcnt vmcnt(1)
	v_cvt_pk_f32_fp8_e32 v[46:47], v46
	v_pk_mul_f32 v[38:39], s[8:9], v[38:39]
	v_fmac_f32_e32 v33, v2, v34
	v_fmac_f32_e32 v36, v3, v35
	s_waitcnt vmcnt(0)
	v_cvt_pk_f32_fp8_e32 v[48:49], v48
	v_pk_mul_f32 v[40:41], s[8:9], v[40:41]
	v_fmac_f32_e32 v33, v6, v38
	v_fmac_f32_e32 v36, v7, v39
	v_pk_mul_f32 v[42:43], s[8:9], v[42:43]
	v_fmac_f32_e32 v33, v8, v40
	v_fmac_f32_e32 v36, v9, v41
	;; [unrolled: 3-line block ×5, first 2 shown]
	v_fmac_f32_e32 v33, v16, v48
	v_fmac_f32_e32 v36, v17, v49
	v_add_f32_e32 v33, v33, v36
	ds_bpermute_b32 v34, v29, v33
	s_and_saveexec_b64 s[34:35], vcc
	s_cbranch_execz .LBB209_8
; %bb.10:                               ;   in Loop: Header=BB209_9 Depth=1
	v_add_u32_e32 v35, s37, v30
	v_cvt_f32_i32_e32 v35, v35
	s_waitcnt lgkmcnt(0)
	v_add_f32_e32 v33, v33, v34
	v_cmp_gt_i32_e64 s[6:7], s17, v30
	v_max_f32_e32 v34, v28, v28
	v_mul_f32_e32 v35, s28, v35
	v_cndmask_b32_e64 v35, 0, v35, s[0:1]
	v_fmac_f32_e32 v35, s29, v33
	v_cndmask_b32_e64 v33, 0, v35, s[6:7]
	ds_write_b32 v31, v33
	v_max_f32_e32 v33, v34, v35
	v_cndmask_b32_e64 v28, v28, v33, s[6:7]
	s_branch .LBB209_8
.LBB209_11:
	s_or_b64 exec, exec, s[14:15]
.LBB209_12:
	s_or_b64 exec, exec, s[30:31]
	v_xor_b32_e32 v2, 32, v26
	v_cmp_lt_i32_e32 vcc, v2, v27
	v_xor_b32_e32 v5, 16, v26
	v_max_f32_e32 v4, v28, v28
	v_cndmask_b32_e32 v2, v26, v2, vcc
	v_lshlrev_b32_e32 v2, 2, v2
	ds_bpermute_b32 v3, v2, v28
	v_cmp_lt_i32_e32 vcc, v5, v27
	v_xor_b32_e32 v6, 8, v26
	v_xor_b32_e32 v7, 4, v26
	v_and_b32_e32 v30, 63, v0
	s_waitcnt lgkmcnt(0)
	v_max_f32_e32 v3, v3, v3
	v_max_f32_e32 v4, v4, v3
	v_cndmask_b32_e32 v3, v26, v5, vcc
	v_lshlrev_b32_e32 v3, 2, v3
	ds_bpermute_b32 v5, v3, v4
	v_cmp_lt_i32_e32 vcc, v6, v27
	s_waitcnt lgkmcnt(0)
	v_max_f32_e32 v5, v5, v5
	v_max_f32_e32 v5, v4, v5
	v_cndmask_b32_e32 v4, v26, v6, vcc
	v_lshlrev_b32_e32 v4, 2, v4
	ds_bpermute_b32 v6, v4, v5
	v_cmp_lt_i32_e32 vcc, v7, v27
	s_waitcnt lgkmcnt(0)
	v_max_f32_e32 v6, v6, v6
	v_max_f32_e32 v5, v5, v6
	v_cndmask_b32_e32 v6, v26, v7, vcc
	v_lshlrev_b32_e32 v32, 2, v6
	ds_bpermute_b32 v6, v32, v5
	v_xor_b32_e32 v7, 2, v26
	v_cmp_lt_i32_e32 vcc, v7, v27
	s_waitcnt lgkmcnt(0)
	v_max_f32_e32 v6, v6, v6
	v_max_f32_e32 v6, v5, v6
	v_cndmask_b32_e32 v5, v26, v7, vcc
	v_lshlrev_b32_e32 v31, 2, v5
	ds_bpermute_b32 v7, v31, v6
	v_cmp_eq_u32_e32 vcc, 0, v30
	v_lshlrev_b32_e32 v5, 2, v1
	s_and_saveexec_b64 s[0:1], vcc
	s_cbranch_execz .LBB209_14
; %bb.13:
	s_waitcnt lgkmcnt(0)
	v_max_f32_e32 v7, v7, v7
	v_max_f32_e32 v6, v6, v6
	;; [unrolled: 1-line block ×3, first 2 shown]
	ds_write_b32 v5, v6 offset:128
.LBB209_14:
	s_or_b64 exec, exec, s[0:1]
	v_cmp_gt_u32_e64 s[0:1], 2, v30
	s_waitcnt lgkmcnt(0)
	v_mov_b32_e32 v7, 0xff7fffff
	v_lshlrev_b32_e32 v6, 2, v30
	s_barrier
	s_and_saveexec_b64 s[6:7], s[0:1]
	s_cbranch_execz .LBB209_16
; %bb.15:
	ds_read_b32 v7, v6 offset:128
.LBB209_16:
	s_or_b64 exec, exec, s[6:7]
	v_xor_b32_e32 v8, 1, v26
	v_cmp_lt_i32_e64 s[6:7], v8, v27
	v_lshlrev_b32_e32 v9, 2, v26
	s_nop 0
	v_cndmask_b32_e64 v8, v26, v8, s[6:7]
	v_lshlrev_b32_e32 v33, 2, v8
	s_waitcnt lgkmcnt(0)
	ds_bpermute_b32 v8, v33, v7
	v_max_f32_e32 v7, v7, v7
	s_lshl_b32 s6, s19, 5
	s_min_i32 s30, s6, s17
	v_cmp_gt_i32_e64 s[6:7], s30, v0
	s_waitcnt lgkmcnt(0)
	v_max_f32_e32 v8, v8, v8
	v_max_f32_e32 v8, v7, v8
	v_and_b32_e32 v7, 0xffffff00, v9
	ds_bpermute_b32 v9, v7, v8
	v_mov_b32_e32 v8, 0
	s_and_saveexec_b64 s[14:15], s[6:7]
	s_cbranch_execz .LBB209_20
; %bb.17:
	v_mov_b32_e32 v8, 0x90
	v_lshl_add_u32 v10, v0, 2, v8
	s_mov_b64 s[28:29], 0
	v_mov_b32_e32 v8, 0
	v_mov_b32_e32 v11, v0
.LBB209_18:                             ; =>This Inner Loop Header: Depth=1
	ds_read_b32 v12, v10
	v_add_u32_e32 v11, 0x80, v11
	v_cmp_le_i32_e64 s[8:9], s30, v11
	s_or_b64 s[28:29], s[8:9], s[28:29]
	s_waitcnt lgkmcnt(0)
	v_sub_f32_e32 v12, v12, v9
	v_mul_f32_e32 v12, 0x3fb8aa3b, v12
	v_exp_f32_e32 v12, v12
	ds_write_b32 v10, v12
	v_add_f32_e32 v8, v8, v12
	v_add_u32_e32 v10, 0x200, v10
	s_andn2_b64 exec, exec, s[28:29]
	s_cbranch_execnz .LBB209_18
; %bb.19:
	s_or_b64 exec, exec, s[28:29]
.LBB209_20:
	s_or_b64 exec, exec, s[14:15]
	ds_bpermute_b32 v2, v2, v8
	s_waitcnt lgkmcnt(0)
	v_add_f32_e32 v2, v8, v2
	ds_bpermute_b32 v3, v3, v2
	s_waitcnt lgkmcnt(0)
	v_add_f32_e32 v2, v2, v3
	ds_bpermute_b32 v3, v4, v2
	s_waitcnt lgkmcnt(0)
	v_add_f32_e32 v2, v2, v3
	ds_bpermute_b32 v3, v32, v2
	s_waitcnt lgkmcnt(0)
	v_add_f32_e32 v2, v2, v3
	ds_bpermute_b32 v3, v31, v2
	s_waitcnt lgkmcnt(0)
	v_add_f32_e32 v2, v2, v3
	ds_bpermute_b32 v3, v33, v2
	s_waitcnt lgkmcnt(0)
	v_add_f32_e32 v2, v2, v3
	s_and_saveexec_b64 s[8:9], vcc
	s_cbranch_execz .LBB209_22
; %bb.21:
	ds_write_b32 v5, v2 offset:136
.LBB209_22:
	s_or_b64 exec, exec, s[8:9]
	s_waitcnt lgkmcnt(0)
	s_barrier
	s_and_saveexec_b64 s[8:9], s[0:1]
	s_cbranch_execz .LBB209_24
; %bb.23:
	ds_read_b32 v2, v6 offset:136
.LBB209_24:
	s_or_b64 exec, exec, s[8:9]
	s_waitcnt lgkmcnt(0)
	ds_bpermute_b32 v3, v33, v2
	s_waitcnt lgkmcnt(0)
	v_add_f32_e32 v2, v2, v3
	ds_bpermute_b32 v2, v7, v2
	s_and_saveexec_b64 s[0:1], s[6:7]
	s_cbranch_execz .LBB209_37
; %bb.25:
	s_waitcnt lgkmcnt(0)
	v_add_f32_e32 v2, 0x358637bd, v2
	v_div_scale_f32 v3, s[6:7], v2, v2, 1.0
	v_rcp_f32_e32 v4, v3
	v_div_scale_f32 v5, vcc, 1.0, v2, 1.0
	s_movk_i32 s6, 0x7f
	v_fma_f32 v6, -v3, v4, 1.0
	v_fmac_f32_e32 v4, v6, v4
	v_mul_f32_e32 v6, v5, v4
	v_fma_f32 v7, -v3, v6, v5
	v_fmac_f32_e32 v6, v7, v4
	v_fma_f32 v3, -v3, v6, v5
	v_div_fmas_f32 v3, v3, v4, v6
	v_xad_u32 v4, v0, -1, s30
	v_div_fixup_f32 v2, v3, v2, 1.0
	v_cmp_lt_u32_e32 vcc, s6, v4
	s_mov_b64 s[8:9], -1
	v_mov_b32_e32 v3, v0
	s_and_saveexec_b64 s[6:7], vcc
	s_cbranch_execz .LBB209_34
; %bb.26:
	v_lshrrev_b32_e32 v4, 7, v4
	v_add_u32_e32 v6, -1, v4
	v_lshrrev_b32_e32 v5, 1, v6
	v_mov_b32_e32 v3, v2
	v_add_u32_e32 v5, 1, v5
	v_cmp_lt_u32_e32 vcc, 13, v6
	v_mov_b32_e32 v8, 0
	s_and_saveexec_b64 s[8:9], vcc
	s_cbranch_execz .LBB209_30
; %bb.27:
	v_mov_b32_e32 v7, 0x90
	v_and_b32_e32 v6, -8, v5
	v_lshl_add_u32 v7, v0, 2, v7
	s_mov_b32 s28, 0
	s_mov_b64 s[14:15], 0
.LBB209_28:                             ; =>This Inner Loop Header: Depth=1
	ds_read2st64_b32 v[8:9], v7 offset1:2
	ds_read2st64_b32 v[10:11], v7 offset0:4 offset1:6
	ds_read2st64_b32 v[12:13], v7 offset0:8 offset1:10
	;; [unrolled: 1-line block ×3, first 2 shown]
	v_add_u32_e32 v6, -8, v6
	s_waitcnt lgkmcnt(3)
	v_pk_mul_f32 v[8:9], v[2:3], v[8:9]
	s_waitcnt lgkmcnt(2)
	v_pk_mul_f32 v[10:11], v[2:3], v[10:11]
	ds_write2st64_b32 v7, v8, v9 offset1:2
	ds_write2st64_b32 v7, v10, v11 offset0:4 offset1:6
	ds_read2st64_b32 v[10:11], v7 offset0:16 offset1:18
	s_waitcnt lgkmcnt(4)
	v_pk_mul_f32 v[8:9], v[2:3], v[12:13]
	ds_write2st64_b32 v7, v8, v9 offset0:8 offset1:10
	s_waitcnt lgkmcnt(4)
	v_pk_mul_f32 v[8:9], v[2:3], v[14:15]
	ds_write2st64_b32 v7, v8, v9 offset0:12 offset1:14
	ds_read2st64_b32 v[8:9], v7 offset0:20 offset1:22
	s_waitcnt lgkmcnt(3)
	v_pk_mul_f32 v[10:11], v[2:3], v[10:11]
	ds_read2st64_b32 v[12:13], v7 offset0:24 offset1:26
	ds_write2st64_b32 v7, v10, v11 offset0:16 offset1:18
	ds_read2st64_b32 v[10:11], v7 offset0:28 offset1:30
	s_waitcnt lgkmcnt(3)
	v_pk_mul_f32 v[8:9], v[2:3], v[8:9]
	ds_write2st64_b32 v7, v8, v9 offset0:20 offset1:22
	s_waitcnt lgkmcnt(3)
	v_pk_mul_f32 v[8:9], v[2:3], v[12:13]
	ds_write2st64_b32 v7, v8, v9 offset0:24 offset1:26
	s_waitcnt lgkmcnt(2)
	v_pk_mul_f32 v[8:9], v[2:3], v[10:11]
	s_add_i32 s28, s28, 16
	v_cmp_eq_u32_e32 vcc, 0, v6
	ds_write2st64_b32 v7, v8, v9 offset0:28 offset1:30
	v_add_u32_e32 v7, 0x2000, v7
	s_or_b64 s[14:15], vcc, s[14:15]
	v_mov_b32_e32 v8, s28
	s_andn2_b64 exec, exec, s[14:15]
	s_cbranch_execnz .LBB209_28
; %bb.29:
	s_or_b64 exec, exec, s[14:15]
.LBB209_30:
	s_or_b64 exec, exec, s[8:9]
	v_and_b32_e32 v5, 7, v5
	v_cmp_ne_u32_e32 vcc, 0, v5
	s_and_saveexec_b64 s[8:9], vcc
	s_cbranch_execz .LBB209_33
; %bb.31:
	v_lshlrev_b32_e32 v6, 9, v8
	s_movk_i32 s14, 0x90
	v_add3_u32 v6, v6, v24, s14
	s_mov_b64 s[14:15], 0
.LBB209_32:                             ; =>This Inner Loop Header: Depth=1
	ds_read2st64_b32 v[8:9], v6 offset1:2
	v_add_u32_e32 v5, -1, v5
	v_cmp_eq_u32_e32 vcc, 0, v5
	s_or_b64 s[14:15], vcc, s[14:15]
	s_waitcnt lgkmcnt(0)
	v_pk_mul_f32 v[8:9], v[2:3], v[8:9]
	ds_write2st64_b32 v6, v8, v9 offset1:2
	v_add_u32_e32 v6, 0x400, v6
	s_andn2_b64 exec, exec, s[14:15]
	s_cbranch_execnz .LBB209_32
.LBB209_33:
	s_or_b64 exec, exec, s[8:9]
	v_add_u32_e32 v4, 1, v4
	v_and_b32_e32 v5, 0x3fffffe, v4
	v_cmp_ne_u32_e32 vcc, v4, v5
	v_lshl_add_u32 v3, v5, 7, v0
	s_orn2_b64 s[8:9], vcc, exec
.LBB209_34:
	s_or_b64 exec, exec, s[6:7]
	s_and_b64 exec, exec, s[8:9]
	s_cbranch_execz .LBB209_37
; %bb.35:
	v_mov_b32_e32 v4, 0x90
	v_lshl_add_u32 v4, v3, 2, v4
	s_mov_b64 s[6:7], 0
.LBB209_36:                             ; =>This Inner Loop Header: Depth=1
	ds_read_b32 v5, v4
	v_add_u32_e32 v3, 0x80, v3
	v_cmp_le_i32_e32 vcc, s30, v3
	s_or_b64 s[6:7], vcc, s[6:7]
	s_waitcnt lgkmcnt(0)
	v_mul_f32_e32 v5, v2, v5
	ds_write_b32 v4, v5
	v_add_u32_e32 v4, 0x200, v4
	s_andn2_b64 exec, exec, s[6:7]
	s_cbranch_execnz .LBB209_36
.LBB209_37:
	s_or_b64 exec, exec, s[0:1]
	v_mov_b32_e32 v9, 0
	v_and_b32_e32 v34, 7, v0
	v_mov_b32_e32 v8, 0
	v_mov_b32_e32 v7, 0
	;; [unrolled: 1-line block ×3, first 2 shown]
	s_waitcnt lgkmcnt(0)
	s_barrier
	s_and_saveexec_b64 s[6:7], s[2:3]
	s_cbranch_execz .LBB209_49
; %bb.38:
	s_ashr_i32 s1, s33, 31
	s_load_dword s2, s[10:11], 0x0
	s_add_u32 s0, s26, s33
	s_addc_u32 s1, s27, s1
	v_and_b32_e32 v6, 0xfc, v24
	v_mov_b32_e32 v7, 0
	v_and_b32_e32 v2, 28, v24
	s_add_i32 s14, s19, -1
	v_lshl_add_u64 v[10:11], s[0:1], 0, v[6:7]
	v_lshlrev_b32_e32 v3, 5, v1
	s_lshl_b64 s[0:1], s[24:25], 2
	v_or3_b32 v35, v3, v2, 3
	v_lshlrev_b32_e32 v2, 4, v34
	s_add_u32 s0, s22, s0
	v_lshl_or_b32 v2, v1, 7, v2
	v_and_b32_e32 v6, 60, v25
	s_addc_u32 s1, s23, s1
	s_waitcnt lgkmcnt(0)
	s_mov_b32 s3, s2
	v_add_u32_e32 v36, 0x90, v2
	v_lshl_add_u64 v[12:13], s[0:1], 0, v[6:7]
	s_mov_b64 s[8:9], 0
	v_mov_b32_e32 v6, v7
	v_mov_b32_e32 v8, v7
	;; [unrolled: 1-line block ×3, first 2 shown]
	s_branch .LBB209_40
.LBB209_39:                             ;   in Loop: Header=BB209_40 Depth=1
	s_or_b64 exec, exec, s[0:1]
	s_waitcnt lgkmcnt(0)
	v_mul_f32_e32 v17, v3, v17
	v_fmac_f32_e32 v17, v2, v16
	v_fmac_f32_e32 v17, v4, v14
	v_mul_f32_e32 v14, v3, v23
	v_fmac_f32_e32 v14, v2, v22
	v_fmac_f32_e32 v14, v4, v20
	v_fmac_f32_e32 v14, v5, v21
	v_add_f32_e32 v7, v7, v14
	v_mul_f32_e32 v14, v3, v27
	v_mul_f32_e32 v3, v3, v29
	v_fmac_f32_e32 v14, v2, v26
	v_fmac_f32_e32 v3, v2, v28
	;; [unrolled: 1-line block ×4, first 2 shown]
	v_add_u32_e32 v1, 2, v1
	v_fmac_f32_e32 v17, v5, v15
	v_fmac_f32_e32 v14, v5, v25
	;; [unrolled: 1-line block ×3, first 2 shown]
	v_cmp_le_i32_e32 vcc, s19, v1
	v_add_f32_e32 v6, v6, v17
	v_add_f32_e32 v8, v8, v14
	;; [unrolled: 1-line block ×3, first 2 shown]
	v_add_u32_e32 v35, 64, v35
	v_add_u32_e32 v36, 0x100, v36
	s_or_b64 s[8:9], vcc, s[8:9]
	v_lshl_add_u64 v[12:13], v[12:13], 0, 8
	s_andn2_b64 exec, exec, s[8:9]
	s_cbranch_execz .LBB209_48
.LBB209_40:                             ; =>This Inner Loop Header: Depth=1
	global_load_dword v2, v[12:13], off
	v_add_u32_e32 v37, -3, v35
	v_cmp_eq_u32_e32 vcc, s14, v1
	v_add_u32_e32 v38, -2, v35
	v_add_u32_e32 v39, -1, v35
	s_waitcnt vmcnt(0)
	v_mad_i64_i32 v[18:19], s[0:1], v2, s13, v[10:11]
	global_load_dword v14, v[18:19], off
	ds_read_b128 v[2:5], v36
	s_waitcnt vmcnt(0)
	v_and_b32_e32 v15, 0xffff, v14
	v_lshrrev_b32_e32 v16, 16, v14
	v_cvt_pk_f32_fp8_e32 v[14:15], v15
	v_cvt_pk_f32_fp8_e32 v[20:21], v16
	v_pk_mul_f32 v[16:17], s[2:3], v[14:15]
	v_pk_mul_f32 v[14:15], s[2:3], v[20:21]
	s_and_saveexec_b64 s[10:11], vcc
; %bb.41:                               ;   in Loop: Header=BB209_40 Depth=1
	v_cmp_gt_i32_e64 s[0:1], s17, v37
	s_nop 1
	v_cndmask_b32_e64 v16, 0, v16, s[0:1]
	v_cmp_gt_i32_e64 s[0:1], s17, v38
	s_nop 1
	v_cndmask_b32_e64 v17, 0, v17, s[0:1]
	v_cmp_gt_i32_e64 s[0:1], s17, v39
	s_nop 1
	v_cndmask_b32_e64 v14, 0, v14, s[0:1]
	v_cmp_gt_i32_e64 s[0:1], s17, v35
	s_nop 1
	v_cndmask_b32_e64 v15, 0, v15, s[0:1]
; %bb.42:                               ;   in Loop: Header=BB209_40 Depth=1
	s_or_b64 exec, exec, s[10:11]
	global_load_dword v20, v[18:19], off offset:256
	s_waitcnt vmcnt(0)
	v_and_b32_e32 v21, 0xffff, v20
	v_lshrrev_b32_e32 v22, 16, v20
	v_cvt_pk_f32_fp8_e32 v[20:21], v21
	v_cvt_pk_f32_fp8_e32 v[24:25], v22
	v_pk_mul_f32 v[22:23], s[2:3], v[20:21]
	v_pk_mul_f32 v[20:21], s[2:3], v[24:25]
	s_and_saveexec_b64 s[10:11], vcc
; %bb.43:                               ;   in Loop: Header=BB209_40 Depth=1
	v_cmp_gt_i32_e64 s[0:1], s17, v37
	s_nop 1
	v_cndmask_b32_e64 v22, 0, v22, s[0:1]
	v_cmp_gt_i32_e64 s[0:1], s17, v38
	s_nop 1
	v_cndmask_b32_e64 v23, 0, v23, s[0:1]
	v_cmp_gt_i32_e64 s[0:1], s17, v39
	s_nop 1
	v_cndmask_b32_e64 v20, 0, v20, s[0:1]
	v_cmp_gt_i32_e64 s[0:1], s17, v35
	s_nop 1
	v_cndmask_b32_e64 v21, 0, v21, s[0:1]
; %bb.44:                               ;   in Loop: Header=BB209_40 Depth=1
	s_or_b64 exec, exec, s[10:11]
	global_load_dword v24, v[18:19], off offset:512
	s_waitcnt vmcnt(0)
	v_and_b32_e32 v25, 0xffff, v24
	v_lshrrev_b32_e32 v26, 16, v24
	v_cvt_pk_f32_fp8_e32 v[24:25], v25
	v_cvt_pk_f32_fp8_e32 v[28:29], v26
	v_pk_mul_f32 v[26:27], s[2:3], v[24:25]
	v_pk_mul_f32 v[24:25], s[2:3], v[28:29]
	s_and_saveexec_b64 s[10:11], vcc
; %bb.45:                               ;   in Loop: Header=BB209_40 Depth=1
	v_cmp_gt_i32_e64 s[0:1], s17, v37
	s_nop 1
	v_cndmask_b32_e64 v26, 0, v26, s[0:1]
	v_cmp_gt_i32_e64 s[0:1], s17, v38
	s_nop 1
	v_cndmask_b32_e64 v27, 0, v27, s[0:1]
	v_cmp_gt_i32_e64 s[0:1], s17, v39
	s_nop 1
	v_cndmask_b32_e64 v24, 0, v24, s[0:1]
	v_cmp_gt_i32_e64 s[0:1], s17, v35
	s_nop 1
	v_cndmask_b32_e64 v25, 0, v25, s[0:1]
; %bb.46:                               ;   in Loop: Header=BB209_40 Depth=1
	s_or_b64 exec, exec, s[10:11]
	global_load_dword v18, v[18:19], off offset:768
	s_waitcnt vmcnt(0)
	v_and_b32_e32 v19, 0xffff, v18
	v_lshrrev_b32_e32 v28, 16, v18
	v_cvt_pk_f32_fp8_e32 v[18:19], v19
	v_cvt_pk_f32_fp8_e32 v[40:41], v28
	v_pk_mul_f32 v[28:29], s[2:3], v[18:19]
	v_pk_mul_f32 v[18:19], s[2:3], v[40:41]
	s_and_saveexec_b64 s[0:1], vcc
	s_cbranch_execz .LBB209_39
; %bb.47:                               ;   in Loop: Header=BB209_40 Depth=1
	v_cmp_gt_i32_e32 vcc, s17, v37
	s_nop 1
	v_cndmask_b32_e32 v28, 0, v28, vcc
	v_cmp_gt_i32_e32 vcc, s17, v38
	s_nop 1
	v_cndmask_b32_e32 v29, 0, v29, vcc
	;; [unrolled: 3-line block ×4, first 2 shown]
	s_branch .LBB209_39
.LBB209_48:
	s_or_b64 exec, exec, s[8:9]
.LBB209_49:
	s_or_b64 exec, exec, s[6:7]
	ds_bpermute_b32 v2, v32, v6
	ds_bpermute_b32 v3, v32, v7
	;; [unrolled: 1-line block ×4, first 2 shown]
	v_and_b32_e32 v1, 0x3c7, v0
	v_cmp_eq_u32_e32 vcc, 64, v1
	s_waitcnt lgkmcnt(2)
	v_pk_add_f32 v[2:3], v[6:7], v[2:3]
	ds_bpermute_b32 v6, v31, v2
	s_waitcnt lgkmcnt(1)
	v_pk_add_f32 v[4:5], v[8:9], v[4:5]
	ds_bpermute_b32 v7, v31, v3
	ds_bpermute_b32 v8, v31, v4
	ds_bpermute_b32 v9, v31, v5
	s_waitcnt lgkmcnt(0)
	s_barrier
	v_pk_add_f32 v[2:3], v[2:3], v[6:7]
	ds_bpermute_b32 v6, v33, v2
	v_pk_add_f32 v[4:5], v[4:5], v[8:9]
	ds_bpermute_b32 v7, v33, v3
	ds_bpermute_b32 v8, v33, v4
	;; [unrolled: 1-line block ×3, first 2 shown]
	s_waitcnt lgkmcnt(0)
	v_pk_add_f32 v[2:3], v[2:3], v[6:7]
	v_pk_add_f32 v[4:5], v[4:5], v[8:9]
	s_and_saveexec_b64 s[0:1], vcc
	s_cbranch_execz .LBB209_51
; %bb.50:
	v_lshrrev_b32_e32 v6, 1, v30
	v_add_u32_e32 v6, 0x90, v6
	ds_write2_b32 v6, v2, v3 offset1:8
	ds_write2_b32 v6, v4, v5 offset0:16 offset1:24
.LBB209_51:
	s_or_b64 exec, exec, s[0:1]
	v_cmp_gt_u32_e32 vcc, 64, v0
	s_waitcnt lgkmcnt(0)
	s_barrier
	s_and_saveexec_b64 s[0:1], vcc
	s_cbranch_execz .LBB209_58
; %bb.52:
	v_cmp_eq_u32_e32 vcc, 0, v34
	v_lshrrev_b32_e32 v6, 3, v0
	s_and_saveexec_b64 s[2:3], vcc
	s_cbranch_execnz .LBB209_61
; %bb.53:
	s_or_b64 exec, exec, s[2:3]
	s_and_saveexec_b64 s[2:3], vcc
	s_cbranch_execnz .LBB209_62
.LBB209_54:
	s_or_b64 exec, exec, s[2:3]
	s_and_saveexec_b64 s[2:3], vcc
	s_cbranch_execnz .LBB209_63
.LBB209_55:
	s_or_b64 exec, exec, s[2:3]
	s_and_saveexec_b64 s[2:3], vcc
	s_cbranch_execz .LBB209_57
.LBB209_56:
	v_mov_b32_e32 v7, 0x90
	v_lshl_add_u32 v6, v6, 2, v7
	ds_read_b32 v6, v6 offset:96
	s_waitcnt lgkmcnt(0)
	v_add_f32_e32 v5, v5, v6
.LBB209_57:
	s_or_b64 exec, exec, s[2:3]
.LBB209_58:
	s_or_b64 exec, exec, s[0:1]
	v_cmp_eq_u32_e32 vcc, 0, v1
	s_barrier
	s_and_saveexec_b64 s[0:1], vcc
	s_cbranch_execz .LBB209_60
; %bb.59:
	s_mul_i32 s0, s16, s12
	s_mul_i32 s0, s0, s5
	s_lshl_b32 s0, s0, 5
	s_ashr_i32 s1, s0, 31
	s_lshl_b64 s[0:1], s[0:1], 2
	s_add_u32 s2, s20, s0
	s_mul_i32 s0, s12, s18
	s_addc_u32 s3, s21, s1
	s_ashr_i32 s1, s0, 31
	s_lshl_b64 s[0:1], s[0:1], 2
	s_add_u32 s2, s2, s0
	s_addc_u32 s3, s3, s1
	s_lshl_b32 s0, s4, 5
	s_ashr_i32 s1, s0, 31
	s_lshl_b64 s[0:1], s[0:1], 2
	s_add_u32 s0, s2, s0
	s_addc_u32 s1, s3, s1
	v_lshrrev_b32_e32 v0, 1, v0
	global_store_dword v0, v2, s[0:1]
	global_store_dword v0, v3, s[0:1] offset:32
	global_store_dword v0, v4, s[0:1] offset:64
	;; [unrolled: 1-line block ×3, first 2 shown]
.LBB209_60:
	s_endpgm
.LBB209_61:
	v_mov_b32_e32 v7, 0x90
	v_lshl_add_u32 v7, v6, 2, v7
	ds_read_b32 v7, v7
	s_waitcnt lgkmcnt(0)
	v_add_f32_e32 v2, v2, v7
	s_or_b64 exec, exec, s[2:3]
	s_and_saveexec_b64 s[2:3], vcc
	s_cbranch_execz .LBB209_54
.LBB209_62:
	v_mov_b32_e32 v7, 0x90
	v_lshl_add_u32 v7, v6, 2, v7
	ds_read_b32 v7, v7 offset:32
	s_waitcnt lgkmcnt(0)
	v_add_f32_e32 v3, v3, v7
	s_or_b64 exec, exec, s[2:3]
	s_and_saveexec_b64 s[2:3], vcc
	s_cbranch_execz .LBB209_55
.LBB209_63:
	v_mov_b32_e32 v7, 0x90
	v_lshl_add_u32 v7, v6, 2, v7
	ds_read_b32 v7, v7 offset:64
	s_waitcnt lgkmcnt(0)
	v_add_f32_e32 v4, v4, v7
	s_or_b64 exec, exec, s[2:3]
	s_and_saveexec_b64 s[2:3], vcc
	s_cbranch_execnz .LBB209_56
	s_branch .LBB209_57
	.section	.rodata,"a",@progbits
	.p2align	6, 0x0
	.amdhsa_kernel _ZN4vllm25paged_attention_v1_kernelIfhLi32ELi32ELi128ELNS_18Fp8KVCacheDataTypeE1ELb0EEEvPT_PKS2_PKT0_S8_ifPKiSA_iPKfiiiSC_SC_iiiii
		.amdhsa_group_segment_fixed_size 144
		.amdhsa_private_segment_fixed_size 0
		.amdhsa_kernarg_size 384
		.amdhsa_user_sgpr_count 2
		.amdhsa_user_sgpr_dispatch_ptr 0
		.amdhsa_user_sgpr_queue_ptr 0
		.amdhsa_user_sgpr_kernarg_segment_ptr 1
		.amdhsa_user_sgpr_dispatch_id 0
		.amdhsa_user_sgpr_kernarg_preload_length 0
		.amdhsa_user_sgpr_kernarg_preload_offset 0
		.amdhsa_user_sgpr_private_segment_size 0
		.amdhsa_uses_dynamic_stack 0
		.amdhsa_enable_private_segment 0
		.amdhsa_system_sgpr_workgroup_id_x 1
		.amdhsa_system_sgpr_workgroup_id_y 1
		.amdhsa_system_sgpr_workgroup_id_z 1
		.amdhsa_system_sgpr_workgroup_info 0
		.amdhsa_system_vgpr_workitem_id 0
		.amdhsa_next_free_vgpr 50
		.amdhsa_next_free_sgpr 38
		.amdhsa_accum_offset 52
		.amdhsa_reserve_vcc 1
		.amdhsa_float_round_mode_32 0
		.amdhsa_float_round_mode_16_64 0
		.amdhsa_float_denorm_mode_32 3
		.amdhsa_float_denorm_mode_16_64 3
		.amdhsa_dx10_clamp 1
		.amdhsa_ieee_mode 1
		.amdhsa_fp16_overflow 0
		.amdhsa_tg_split 0
		.amdhsa_exception_fp_ieee_invalid_op 0
		.amdhsa_exception_fp_denorm_src 0
		.amdhsa_exception_fp_ieee_div_zero 0
		.amdhsa_exception_fp_ieee_overflow 0
		.amdhsa_exception_fp_ieee_underflow 0
		.amdhsa_exception_fp_ieee_inexact 0
		.amdhsa_exception_int_div_zero 0
	.end_amdhsa_kernel
	.section	.text._ZN4vllm25paged_attention_v1_kernelIfhLi32ELi32ELi128ELNS_18Fp8KVCacheDataTypeE1ELb0EEEvPT_PKS2_PKT0_S8_ifPKiSA_iPKfiiiSC_SC_iiiii,"axG",@progbits,_ZN4vllm25paged_attention_v1_kernelIfhLi32ELi32ELi128ELNS_18Fp8KVCacheDataTypeE1ELb0EEEvPT_PKS2_PKT0_S8_ifPKiSA_iPKfiiiSC_SC_iiiii,comdat
.Lfunc_end209:
	.size	_ZN4vllm25paged_attention_v1_kernelIfhLi32ELi32ELi128ELNS_18Fp8KVCacheDataTypeE1ELb0EEEvPT_PKS2_PKT0_S8_ifPKiSA_iPKfiiiSC_SC_iiiii, .Lfunc_end209-_ZN4vllm25paged_attention_v1_kernelIfhLi32ELi32ELi128ELNS_18Fp8KVCacheDataTypeE1ELb0EEEvPT_PKS2_PKT0_S8_ifPKiSA_iPKfiiiSC_SC_iiiii
                                        ; -- End function
	.section	.AMDGPU.csdata,"",@progbits
; Kernel info:
; codeLenInByte = 4080
; NumSgprs: 44
; NumVgprs: 50
; NumAgprs: 0
; TotalNumVgprs: 50
; ScratchSize: 0
; MemoryBound: 0
; FloatMode: 240
; IeeeMode: 1
; LDSByteSize: 144 bytes/workgroup (compile time only)
; SGPRBlocks: 5
; VGPRBlocks: 6
; NumSGPRsForWavesPerEU: 44
; NumVGPRsForWavesPerEU: 50
; AccumOffset: 52
; Occupancy: 8
; WaveLimiterHint : 1
; COMPUTE_PGM_RSRC2:SCRATCH_EN: 0
; COMPUTE_PGM_RSRC2:USER_SGPR: 2
; COMPUTE_PGM_RSRC2:TRAP_HANDLER: 0
; COMPUTE_PGM_RSRC2:TGID_X_EN: 1
; COMPUTE_PGM_RSRC2:TGID_Y_EN: 1
; COMPUTE_PGM_RSRC2:TGID_Z_EN: 1
; COMPUTE_PGM_RSRC2:TIDIG_COMP_CNT: 0
; COMPUTE_PGM_RSRC3_GFX90A:ACCUM_OFFSET: 12
; COMPUTE_PGM_RSRC3_GFX90A:TG_SPLIT: 0
	.section	.text._ZN4vllm25paged_attention_v1_kernelIfhLi64ELi32ELi128ELNS_18Fp8KVCacheDataTypeE1ELb0EEEvPT_PKS2_PKT0_S8_ifPKiSA_iPKfiiiSC_SC_iiiii,"axG",@progbits,_ZN4vllm25paged_attention_v1_kernelIfhLi64ELi32ELi128ELNS_18Fp8KVCacheDataTypeE1ELb0EEEvPT_PKS2_PKT0_S8_ifPKiSA_iPKfiiiSC_SC_iiiii,comdat
	.protected	_ZN4vllm25paged_attention_v1_kernelIfhLi64ELi32ELi128ELNS_18Fp8KVCacheDataTypeE1ELb0EEEvPT_PKS2_PKT0_S8_ifPKiSA_iPKfiiiSC_SC_iiiii ; -- Begin function _ZN4vllm25paged_attention_v1_kernelIfhLi64ELi32ELi128ELNS_18Fp8KVCacheDataTypeE1ELb0EEEvPT_PKS2_PKT0_S8_ifPKiSA_iPKfiiiSC_SC_iiiii
	.globl	_ZN4vllm25paged_attention_v1_kernelIfhLi64ELi32ELi128ELNS_18Fp8KVCacheDataTypeE1ELb0EEEvPT_PKS2_PKT0_S8_ifPKiSA_iPKfiiiSC_SC_iiiii
	.p2align	8
	.type	_ZN4vllm25paged_attention_v1_kernelIfhLi64ELi32ELi128ELNS_18Fp8KVCacheDataTypeE1ELb0EEEvPT_PKS2_PKT0_S8_ifPKiSA_iPKfiiiSC_SC_iiiii,@function
_ZN4vllm25paged_attention_v1_kernelIfhLi64ELi32ELi128ELNS_18Fp8KVCacheDataTypeE1ELb0EEEvPT_PKS2_PKT0_S8_ifPKiSA_iPKfiiiSC_SC_iiiii: ; @_ZN4vllm25paged_attention_v1_kernelIfhLi64ELi32ELi128ELNS_18Fp8KVCacheDataTypeE1ELb0EEEvPT_PKS2_PKT0_S8_ifPKiSA_iPKfiiiSC_SC_iiiii
; %bb.0:
	s_load_dword s5, s[0:1], 0x80
	s_load_dwordx2 s[6:7], s[0:1], 0x30
	s_load_dwordx2 s[28:29], s[0:1], 0x20
	s_mov_b32 s16, s3
	s_ashr_i32 s17, s3, 31
	s_lshl_b64 s[8:9], s[16:17], 2
	s_waitcnt lgkmcnt(0)
	s_add_u32 s6, s6, s8
	s_addc_u32 s7, s7, s9
	s_abs_i32 s3, s28
	v_cvt_f32_u32_e32 v1, s3
	s_sub_i32 s10, 0, s3
	s_abs_i32 s9, s5
	s_xor_b32 s8, s5, s28
	v_rcp_iflag_f32_e32 v1, v1
	s_ashr_i32 s8, s8, 31
	s_mov_b32 s28, 0
	v_mul_f32_e32 v1, 0x4f7ffffe, v1
	v_cvt_u32_f32_e32 v1, v1
	s_nop 0
	v_readfirstlane_b32 s11, v1
	s_mul_i32 s10, s10, s11
	s_mul_hi_u32 s10, s11, s10
	s_add_i32 s11, s11, s10
	s_mul_hi_u32 s10, s9, s11
	s_mul_i32 s11, s10, s3
	s_sub_i32 s9, s9, s11
	s_add_i32 s11, s10, 1
	s_sub_i32 s12, s9, s3
	s_cmp_ge_u32 s9, s3
	s_cselect_b32 s10, s11, s10
	s_cselect_b32 s9, s12, s9
	s_add_i32 s11, s10, 1
	s_cmp_ge_u32 s9, s3
	s_cselect_b32 s3, s11, s10
	s_xor_b32 s3, s3, s8
	s_sub_i32 s12, s3, s8
	s_abs_i32 s10, s12
	v_cvt_f32_u32_e32 v1, s10
	s_load_dwordx2 s[8:9], s[0:1], 0x40
	s_sub_i32 s3, 0, s10
	s_abs_i32 s11, s2
	v_rcp_iflag_f32_e32 v1, v1
	s_nop 0
	v_mul_f32_e32 v1, 0x4f7ffffe, v1
	v_cvt_u32_f32_e32 v1, v1
	s_nop 0
	v_readfirstlane_b32 s13, v1
	s_mul_i32 s3, s3, s13
	s_mul_hi_u32 s3, s13, s3
	s_add_i32 s13, s13, s3
	s_waitcnt lgkmcnt(0)
	s_cmp_eq_u64 s[8:9], 0
	s_mul_hi_u32 s20, s11, s13
	s_cbranch_scc1 .LBB210_2
; %bb.1:
	s_ashr_i32 s3, s2, 31
	s_lshl_b64 s[14:15], s[2:3], 2
	s_add_u32 s8, s8, s14
	s_addc_u32 s9, s9, s15
	s_load_dword s28, s[8:9], 0x0
.LBB210_2:
	s_load_dword s17, s[6:7], 0x0
	s_ashr_i32 s7, s12, 31
	s_load_dwordx4 s[12:15], s[0:1], 0x48
	s_ashr_i32 s6, s2, 31
	v_and_b32_e32 v38, 1, v0
	s_lshl_b32 s18, s2, 6
	v_cmp_gt_u32_e32 vcc, 32, v0
	v_lshlrev_b32_e32 v40, 2, v0
	s_and_saveexec_b64 s[2:3], vcc
	s_cbranch_execz .LBB210_4
; %bb.3:
	s_load_dwordx2 s[8:9], s[0:1], 0x8
	s_waitcnt lgkmcnt(0)
	s_mul_i32 s22, s16, s12
	s_ashr_i32 s23, s22, 31
	s_lshl_b64 s[22:23], s[22:23], 2
	v_lshlrev_b32_e32 v1, 3, v0
	s_add_u32 s12, s8, s22
	s_addc_u32 s15, s9, s23
	s_ashr_i32 s19, s18, 31
	s_lshl_b64 s[8:9], s[18:19], 2
	s_add_u32 s8, s12, s8
	s_addc_u32 s9, s15, s9
	global_load_dwordx2 v[2:3], v1, s[8:9]
	v_and_b32_e32 v1, 0xff8, v40
	v_lshl_add_u32 v1, v38, 7, v1
	s_waitcnt vmcnt(0)
	ds_write_b64 v1, v[2:3]
.LBB210_4:
	s_or_b64 exec, exec, s[2:3]
	s_waitcnt lgkmcnt(0)
	s_add_i32 s3, s17, 31
	s_ashr_i32 s8, s3, 31
	s_lshr_b32 s8, s8, 27
	s_add_i32 s3, s3, s8
	s_ashr_i32 s19, s3, 5
	s_xor_b32 s3, s6, s7
	s_mul_i32 s6, s20, s10
	s_sub_i32 s6, s11, s6
	s_add_i32 s7, s20, 1
	s_sub_i32 s8, s6, s10
	s_load_dwordx2 s[22:23], s[0:1], 0x28
	s_load_dword s2, s[0:1], 0x38
	s_cmp_ge_u32 s6, s10
	s_cselect_b32 s7, s7, s20
	s_cselect_b32 s6, s8, s6
	s_add_i32 s8, s7, 1
	s_cmp_ge_u32 s6, s10
	s_cselect_b32 s6, s8, s7
	v_lshrrev_b32_e32 v1, 6, v0
	s_xor_b32 s6, s6, s3
	s_waitcnt lgkmcnt(0)
	s_mul_i32 s24, s16, s2
	s_sub_i32 s33, s6, s3
	s_ashr_i32 s25, s24, 31
	v_cmp_gt_i32_e64 s[6:7], s19, v1
	v_cmp_le_i32_e32 vcc, s19, v1
	v_mbcnt_lo_u32_b32 v39, -1, 0
	s_barrier
	s_waitcnt lgkmcnt(0)
                                        ; implicit-def: $sgpr15
                                        ; implicit-def: $vgpr42
                                        ; implicit-def: $vgpr43
	s_and_saveexec_b64 s[2:3], vcc
	s_xor_b64 s[2:3], exec, s[2:3]
; %bb.5:
	v_mbcnt_hi_u32_b32 v42, -1, v39
	v_and_b32_e32 v2, 64, v42
	v_add_u32_e32 v43, 64, v2
	s_mov_b32 s15, 0xff7fffff
                                        ; implicit-def: $vgpr38
                                        ; implicit-def: $vgpr39
; %bb.6:
	s_or_saveexec_b64 s[30:31], s[2:3]
	s_load_dwordx2 s[20:21], s[0:1], 0x0
	s_load_dwordx2 s[26:27], s[0:1], 0x18
	s_load_dword s12, s[0:1], 0x88
	s_load_dwordx4 s[8:11], s[0:1], 0x58
	v_mov_b32_e32 v44, s15
	s_mul_i32 s33, s33, s14
	v_lshrrev_b32_e32 v41, 4, v0
	s_xor_b64 exec, exec, s[30:31]
	s_cbranch_execz .LBB210_12
; %bb.7:
	v_lshlrev_b32_e32 v30, 7, v38
	s_load_dwordx2 s[0:1], s[0:1], 0x10
	ds_read_b128 v[2:5], v30
	ds_read_b128 v[6:9], v30 offset:16
	ds_read_b128 v[10:13], v30 offset:32
	;; [unrolled: 1-line block ×7, first 2 shown]
	v_mbcnt_hi_u32_b32 v42, -1, v39
	s_ashr_i32 s2, s33, 31
	v_and_b32_e32 v43, 64, v42
	v_bfe_u32 v44, v0, 1, 5
	s_waitcnt lgkmcnt(0)
	s_add_u32 s0, s0, s33
	v_xor_b32_e32 v39, 1, v42
	v_add_u32_e32 v43, 64, v43
	s_load_dword s8, s[8:9], 0x0
	v_lshlrev_b32_e32 v34, 4, v44
	s_addc_u32 s1, s1, s2
	v_mov_b32_e32 v35, 0
	v_cmp_lt_i32_e32 vcc, v39, v43
	v_lshl_add_u64 v[36:37], s[0:1], 0, v[34:35]
	v_lshlrev_b32_e32 v34, 1, v38
	v_cndmask_b32_e32 v39, v42, v39, vcc
	v_cmp_eq_u32_e32 vcc, 0, v38
	s_sub_i32 s37, 1, s17
	v_lshlrev_b32_e32 v38, 2, v44
	s_lshl_b64 s[0:1], s[24:25], 2
	v_lshl_or_b32 v38, v1, 7, v38
	s_add_u32 s0, s22, s0
	v_lshlrev_b32_e32 v45, 2, v39
	v_add_u32_e32 v47, 0x110, v38
	v_and_b32_e32 v38, 60, v41
	v_mov_b32_e32 v39, v35
	s_addc_u32 s1, s23, s1
	s_mov_b32 s36, s13
	v_cmp_neq_f32_e64 s[2:3], s28, 0
	s_waitcnt lgkmcnt(0)
	s_mov_b32 s9, s8
	v_lshl_or_b32 v46, v1, 5, v44
	v_lshl_add_u64 v[38:39], s[0:1], 0, v[38:39]
	s_mov_b64 s[14:15], 0
	v_mov_b32_e32 v44, 0xff7fffff
	v_mov_b32_e32 v48, v1
	s_branch .LBB210_9
.LBB210_8:                              ;   in Loop: Header=BB210_9 Depth=1
	s_or_b64 exec, exec, s[34:35]
	v_add_u32_e32 v48, 2, v48
	v_cmp_le_i32_e64 s[0:1], s19, v48
	v_add_u32_e32 v46, 64, v46
	v_add_u32_e32 v47, 0x100, v47
	s_or_b64 s[14:15], s[0:1], s[14:15]
	v_lshl_add_u64 v[38:39], v[38:39], 0, 8
	s_andn2_b64 exec, exec, s[14:15]
	s_cbranch_execz .LBB210_11
.LBB210_9:                              ; =>This Inner Loop Header: Depth=1
	global_load_dword v49, v[38:39], off
	s_waitcnt vmcnt(0) lgkmcnt(0)
	v_mad_i64_i32 v[50:51], s[0:1], v49, s36, v[36:37]
	v_lshl_add_u64 v[50:51], v[50:51], 0, v[34:35]
	global_load_ushort v49, v[50:51], off offset:8
	global_load_ushort v56, v[50:51], off offset:12
	;; [unrolled: 1-line block ×7, first 2 shown]
	global_load_ushort v53, v[50:51], off
	global_load_ushort v66, v[50:51], off offset:1024
	global_load_ushort v68, v[50:51], off offset:1028
	;; [unrolled: 1-line block ×8, first 2 shown]
	s_waitcnt vmcnt(15)
	v_cvt_pk_f32_fp8_e32 v[54:55], v49
	s_waitcnt vmcnt(14)
	v_cvt_pk_f32_fp8_e32 v[56:57], v56
	;; [unrolled: 2-line block ×5, first 2 shown]
	v_pk_mul_f32 v[54:55], s[8:9], v[54:55]
	s_waitcnt vmcnt(9)
	v_cvt_pk_f32_fp8_e32 v[50:51], v52
	s_waitcnt vmcnt(8)
	v_cvt_pk_f32_fp8_e32 v[52:53], v53
	v_cvt_pk_f32_fp8_e32 v[64:65], v64
	v_pk_mul_f32 v[56:57], s[8:9], v[56:57]
	v_pk_mul_f32 v[50:51], s[8:9], v[50:51]
	;; [unrolled: 1-line block ×3, first 2 shown]
	v_mul_f32_e32 v49, v4, v50
	v_mul_f32_e32 v78, v5, v51
	v_fmac_f32_e32 v49, v2, v52
	v_fmac_f32_e32 v78, v3, v53
	;; [unrolled: 1-line block ×4, first 2 shown]
	s_waitcnt vmcnt(7)
	v_cvt_pk_f32_fp8_e32 v[66:67], v66
	v_pk_mul_f32 v[58:59], s[8:9], v[58:59]
	v_fmac_f32_e32 v49, v8, v56
	v_fmac_f32_e32 v78, v9, v57
	s_waitcnt vmcnt(6)
	v_cvt_pk_f32_fp8_e32 v[68:69], v68
	v_pk_mul_f32 v[60:61], s[8:9], v[60:61]
	v_fmac_f32_e32 v49, v10, v58
	v_fmac_f32_e32 v78, v11, v59
	;; [unrolled: 5-line block ×8, first 2 shown]
	v_pk_mul_f32 v[50:51], s[8:9], v[50:51]
	v_fmac_f32_e32 v49, v24, v72
	v_fmac_f32_e32 v78, v25, v73
	v_pk_mul_f32 v[52:53], s[8:9], v[52:53]
	v_fmac_f32_e32 v49, v26, v50
	v_fmac_f32_e32 v78, v27, v51
	;; [unrolled: 3-line block ×4, first 2 shown]
	v_fmac_f32_e32 v49, v32, v54
	v_fmac_f32_e32 v78, v33, v55
	v_add_f32_e32 v49, v49, v78
	ds_bpermute_b32 v50, v45, v49
	s_and_saveexec_b64 s[34:35], vcc
	s_cbranch_execz .LBB210_8
; %bb.10:                               ;   in Loop: Header=BB210_9 Depth=1
	v_add_u32_e32 v51, s37, v46
	v_cvt_f32_i32_e32 v51, v51
	s_waitcnt lgkmcnt(0)
	v_add_f32_e32 v49, v49, v50
	v_cmp_gt_i32_e64 s[0:1], s17, v46
	v_max_f32_e32 v50, v44, v44
	v_mul_f32_e32 v51, s28, v51
	v_cndmask_b32_e64 v51, 0, v51, s[2:3]
	v_fmac_f32_e32 v51, s29, v49
	v_cndmask_b32_e64 v49, 0, v51, s[0:1]
	ds_write_b32 v47, v49
	v_max_f32_e32 v49, v50, v51
	v_cndmask_b32_e64 v44, v44, v49, s[0:1]
	s_branch .LBB210_8
.LBB210_11:
	s_or_b64 exec, exec, s[14:15]
.LBB210_12:
	s_or_b64 exec, exec, s[30:31]
	v_xor_b32_e32 v2, 32, v42
	v_cmp_lt_i32_e32 vcc, v2, v43
	v_xor_b32_e32 v5, 16, v42
	v_max_f32_e32 v4, v44, v44
	v_cndmask_b32_e32 v2, v42, v2, vcc
	v_lshlrev_b32_e32 v2, 2, v2
	ds_bpermute_b32 v3, v2, v44
	v_cmp_lt_i32_e32 vcc, v5, v43
	v_xor_b32_e32 v6, 8, v42
	v_xor_b32_e32 v7, 4, v42
	s_waitcnt lgkmcnt(0)
	v_and_b32_e32 v50, 63, v0
	v_max_f32_e32 v3, v3, v3
	v_max_f32_e32 v4, v4, v3
	v_cndmask_b32_e32 v3, v42, v5, vcc
	v_lshlrev_b32_e32 v3, 2, v3
	ds_bpermute_b32 v5, v3, v4
	v_cmp_lt_i32_e32 vcc, v6, v43
	s_waitcnt lgkmcnt(0)
	v_max_f32_e32 v5, v5, v5
	v_max_f32_e32 v5, v4, v5
	v_cndmask_b32_e32 v4, v42, v6, vcc
	v_lshlrev_b32_e32 v4, 2, v4
	ds_bpermute_b32 v6, v4, v5
	v_cmp_lt_i32_e32 vcc, v7, v43
	s_waitcnt lgkmcnt(0)
	v_max_f32_e32 v6, v6, v6
	v_max_f32_e32 v5, v5, v6
	v_cndmask_b32_e32 v6, v42, v7, vcc
	v_lshlrev_b32_e32 v52, 2, v6
	ds_bpermute_b32 v6, v52, v5
	v_xor_b32_e32 v7, 2, v42
	v_cmp_lt_i32_e32 vcc, v7, v43
	s_waitcnt lgkmcnt(0)
	v_max_f32_e32 v6, v6, v6
	v_max_f32_e32 v6, v5, v6
	v_cndmask_b32_e32 v5, v42, v7, vcc
	v_lshlrev_b32_e32 v51, 2, v5
	ds_bpermute_b32 v7, v51, v6
	v_cmp_eq_u32_e32 vcc, 0, v50
	v_lshlrev_b32_e32 v5, 2, v1
	s_and_saveexec_b64 s[0:1], vcc
	s_cbranch_execz .LBB210_14
; %bb.13:
	s_waitcnt lgkmcnt(0)
	v_max_f32_e32 v7, v7, v7
	v_max_f32_e32 v6, v6, v6
	;; [unrolled: 1-line block ×3, first 2 shown]
	ds_write_b32 v5, v6 offset:256
.LBB210_14:
	s_or_b64 exec, exec, s[0:1]
	v_cmp_gt_u32_e64 s[0:1], 2, v50
	s_waitcnt lgkmcnt(0)
	v_mov_b32_e32 v7, 0xff7fffff
	v_lshlrev_b32_e32 v6, 2, v50
	s_barrier
	s_and_saveexec_b64 s[2:3], s[0:1]
	s_cbranch_execz .LBB210_16
; %bb.15:
	ds_read_b32 v7, v6 offset:256
.LBB210_16:
	s_or_b64 exec, exec, s[2:3]
	v_xor_b32_e32 v8, 1, v42
	v_cmp_lt_i32_e64 s[2:3], v8, v43
	v_lshlrev_b32_e32 v9, 2, v42
	s_nop 0
	v_cndmask_b32_e64 v8, v42, v8, s[2:3]
	v_lshlrev_b32_e32 v53, 2, v8
	s_waitcnt lgkmcnt(0)
	ds_bpermute_b32 v8, v53, v7
	v_max_f32_e32 v7, v7, v7
	s_lshl_b32 s2, s19, 5
	s_min_i32 s30, s2, s17
	v_cmp_gt_i32_e64 s[2:3], s30, v0
	s_waitcnt lgkmcnt(0)
	v_max_f32_e32 v8, v8, v8
	v_max_f32_e32 v8, v7, v8
	v_and_b32_e32 v7, 0xffffff00, v9
	ds_bpermute_b32 v9, v7, v8
	v_mov_b32_e32 v8, 0
	s_and_saveexec_b64 s[14:15], s[2:3]
	s_cbranch_execz .LBB210_20
; %bb.17:
	v_mov_b32_e32 v8, 0x110
	v_lshl_add_u32 v10, v0, 2, v8
	s_mov_b64 s[28:29], 0
	v_mov_b32_e32 v8, 0
	v_mov_b32_e32 v11, v0
.LBB210_18:                             ; =>This Inner Loop Header: Depth=1
	ds_read_b32 v12, v10
	v_add_u32_e32 v11, 0x80, v11
	v_cmp_le_i32_e64 s[8:9], s30, v11
	s_or_b64 s[28:29], s[8:9], s[28:29]
	s_waitcnt lgkmcnt(0)
	v_sub_f32_e32 v12, v12, v9
	v_mul_f32_e32 v12, 0x3fb8aa3b, v12
	v_exp_f32_e32 v12, v12
	ds_write_b32 v10, v12
	v_add_f32_e32 v8, v8, v12
	v_add_u32_e32 v10, 0x200, v10
	s_andn2_b64 exec, exec, s[28:29]
	s_cbranch_execnz .LBB210_18
; %bb.19:
	s_or_b64 exec, exec, s[28:29]
.LBB210_20:
	s_or_b64 exec, exec, s[14:15]
	ds_bpermute_b32 v2, v2, v8
	s_waitcnt lgkmcnt(0)
	v_add_f32_e32 v2, v8, v2
	ds_bpermute_b32 v3, v3, v2
	s_waitcnt lgkmcnt(0)
	v_add_f32_e32 v2, v2, v3
	;; [unrolled: 3-line block ×6, first 2 shown]
	s_and_saveexec_b64 s[8:9], vcc
	s_cbranch_execz .LBB210_22
; %bb.21:
	ds_write_b32 v5, v2 offset:264
.LBB210_22:
	s_or_b64 exec, exec, s[8:9]
	s_waitcnt lgkmcnt(0)
	s_barrier
	s_and_saveexec_b64 s[8:9], s[0:1]
	s_cbranch_execz .LBB210_24
; %bb.23:
	ds_read_b32 v2, v6 offset:264
.LBB210_24:
	s_or_b64 exec, exec, s[8:9]
	s_waitcnt lgkmcnt(0)
	ds_bpermute_b32 v3, v53, v2
	s_waitcnt lgkmcnt(0)
	v_add_f32_e32 v2, v2, v3
	ds_bpermute_b32 v2, v7, v2
	s_and_saveexec_b64 s[0:1], s[2:3]
	s_cbranch_execz .LBB210_37
; %bb.25:
	s_waitcnt lgkmcnt(0)
	v_add_f32_e32 v2, 0x358637bd, v2
	v_div_scale_f32 v3, s[2:3], v2, v2, 1.0
	v_rcp_f32_e32 v4, v3
	v_div_scale_f32 v5, vcc, 1.0, v2, 1.0
	s_movk_i32 s2, 0x7f
	v_fma_f32 v6, -v3, v4, 1.0
	v_fmac_f32_e32 v4, v6, v4
	v_mul_f32_e32 v6, v5, v4
	v_fma_f32 v7, -v3, v6, v5
	v_fmac_f32_e32 v6, v7, v4
	v_fma_f32 v3, -v3, v6, v5
	v_div_fmas_f32 v3, v3, v4, v6
	v_xad_u32 v4, v0, -1, s30
	v_div_fixup_f32 v2, v3, v2, 1.0
	v_cmp_lt_u32_e32 vcc, s2, v4
	s_mov_b64 s[8:9], -1
	v_mov_b32_e32 v3, v0
	s_and_saveexec_b64 s[2:3], vcc
	s_cbranch_execz .LBB210_34
; %bb.26:
	v_lshrrev_b32_e32 v4, 7, v4
	v_add_u32_e32 v6, -1, v4
	v_lshrrev_b32_e32 v5, 1, v6
	v_mov_b32_e32 v3, v2
	v_add_u32_e32 v5, 1, v5
	v_cmp_lt_u32_e32 vcc, 13, v6
	v_mov_b32_e32 v8, 0
	s_and_saveexec_b64 s[8:9], vcc
	s_cbranch_execz .LBB210_30
; %bb.27:
	v_mov_b32_e32 v7, 0x110
	v_and_b32_e32 v6, -8, v5
	v_lshl_add_u32 v7, v0, 2, v7
	s_mov_b32 s28, 0
	s_mov_b64 s[14:15], 0
.LBB210_28:                             ; =>This Inner Loop Header: Depth=1
	ds_read2st64_b32 v[8:9], v7 offset1:2
	ds_read2st64_b32 v[10:11], v7 offset0:4 offset1:6
	ds_read2st64_b32 v[12:13], v7 offset0:8 offset1:10
	;; [unrolled: 1-line block ×3, first 2 shown]
	v_add_u32_e32 v6, -8, v6
	s_waitcnt lgkmcnt(3)
	v_pk_mul_f32 v[8:9], v[2:3], v[8:9]
	s_waitcnt lgkmcnt(2)
	v_pk_mul_f32 v[10:11], v[2:3], v[10:11]
	ds_write2st64_b32 v7, v8, v9 offset1:2
	ds_write2st64_b32 v7, v10, v11 offset0:4 offset1:6
	ds_read2st64_b32 v[10:11], v7 offset0:16 offset1:18
	s_waitcnt lgkmcnt(4)
	v_pk_mul_f32 v[8:9], v[2:3], v[12:13]
	ds_write2st64_b32 v7, v8, v9 offset0:8 offset1:10
	s_waitcnt lgkmcnt(4)
	v_pk_mul_f32 v[8:9], v[2:3], v[14:15]
	ds_write2st64_b32 v7, v8, v9 offset0:12 offset1:14
	ds_read2st64_b32 v[8:9], v7 offset0:20 offset1:22
	s_waitcnt lgkmcnt(3)
	v_pk_mul_f32 v[10:11], v[2:3], v[10:11]
	ds_read2st64_b32 v[12:13], v7 offset0:24 offset1:26
	ds_write2st64_b32 v7, v10, v11 offset0:16 offset1:18
	ds_read2st64_b32 v[10:11], v7 offset0:28 offset1:30
	s_waitcnt lgkmcnt(3)
	v_pk_mul_f32 v[8:9], v[2:3], v[8:9]
	ds_write2st64_b32 v7, v8, v9 offset0:20 offset1:22
	s_waitcnt lgkmcnt(3)
	v_pk_mul_f32 v[8:9], v[2:3], v[12:13]
	ds_write2st64_b32 v7, v8, v9 offset0:24 offset1:26
	s_waitcnt lgkmcnt(2)
	v_pk_mul_f32 v[8:9], v[2:3], v[10:11]
	s_add_i32 s28, s28, 16
	v_cmp_eq_u32_e32 vcc, 0, v6
	ds_write2st64_b32 v7, v8, v9 offset0:28 offset1:30
	v_add_u32_e32 v7, 0x2000, v7
	s_or_b64 s[14:15], vcc, s[14:15]
	v_mov_b32_e32 v8, s28
	s_andn2_b64 exec, exec, s[14:15]
	s_cbranch_execnz .LBB210_28
; %bb.29:
	s_or_b64 exec, exec, s[14:15]
.LBB210_30:
	s_or_b64 exec, exec, s[8:9]
	v_and_b32_e32 v5, 7, v5
	v_cmp_ne_u32_e32 vcc, 0, v5
	s_and_saveexec_b64 s[8:9], vcc
	s_cbranch_execz .LBB210_33
; %bb.31:
	v_lshlrev_b32_e32 v6, 9, v8
	s_movk_i32 s14, 0x110
	v_add3_u32 v6, v6, v40, s14
	s_mov_b64 s[14:15], 0
.LBB210_32:                             ; =>This Inner Loop Header: Depth=1
	ds_read2st64_b32 v[8:9], v6 offset1:2
	v_add_u32_e32 v5, -1, v5
	v_cmp_eq_u32_e32 vcc, 0, v5
	s_or_b64 s[14:15], vcc, s[14:15]
	s_waitcnt lgkmcnt(0)
	v_pk_mul_f32 v[8:9], v[2:3], v[8:9]
	ds_write2st64_b32 v6, v8, v9 offset1:2
	v_add_u32_e32 v6, 0x400, v6
	s_andn2_b64 exec, exec, s[14:15]
	s_cbranch_execnz .LBB210_32
.LBB210_33:
	s_or_b64 exec, exec, s[8:9]
	v_add_u32_e32 v4, 1, v4
	v_and_b32_e32 v5, 0x3fffffe, v4
	v_cmp_ne_u32_e32 vcc, v4, v5
	v_lshl_add_u32 v3, v5, 7, v0
	s_orn2_b64 s[8:9], vcc, exec
.LBB210_34:
	s_or_b64 exec, exec, s[2:3]
	s_and_b64 exec, exec, s[8:9]
	s_cbranch_execz .LBB210_37
; %bb.35:
	v_mov_b32_e32 v4, 0x110
	v_lshl_add_u32 v4, v3, 2, v4
	s_mov_b64 s[2:3], 0
.LBB210_36:                             ; =>This Inner Loop Header: Depth=1
	ds_read_b32 v5, v4
	v_add_u32_e32 v3, 0x80, v3
	v_cmp_le_i32_e32 vcc, s30, v3
	s_or_b64 s[2:3], vcc, s[2:3]
	s_waitcnt lgkmcnt(0)
	v_mul_f32_e32 v5, v2, v5
	ds_write_b32 v4, v5
	v_add_u32_e32 v4, 0x200, v4
	s_andn2_b64 exec, exec, s[2:3]
	s_cbranch_execnz .LBB210_36
.LBB210_37:
	s_or_b64 exec, exec, s[0:1]
	v_mov_b32_e32 v7, 0
	v_and_b32_e32 v54, 7, v0
	v_mov_b32_e32 v6, 0
	v_mov_b32_e32 v9, 0
	v_mov_b32_e32 v8, 0
	v_mov_b32_e32 v13, 0
	v_mov_b32_e32 v12, 0
	v_mov_b32_e32 v11, 0
	v_mov_b32_e32 v10, 0
	s_waitcnt lgkmcnt(0)
	s_barrier
	s_and_saveexec_b64 s[2:3], s[6:7]
	s_cbranch_execz .LBB210_57
; %bb.38:
	s_ashr_i32 s1, s33, 31
	s_load_dword s6, s[10:11], 0x0
	s_add_u32 s0, s26, s33
	s_addc_u32 s1, s27, s1
	v_and_b32_e32 v10, 0xfc, v40
	v_mov_b32_e32 v11, 0
	v_and_b32_e32 v2, 28, v40
	s_add_i32 s14, s19, -1
	v_lshl_add_u64 v[14:15], s[0:1], 0, v[10:11]
	v_lshlrev_b32_e32 v3, 5, v1
	s_lshl_b64 s[0:1], s[24:25], 2
	v_or3_b32 v55, v3, v2, 3
	v_lshlrev_b32_e32 v2, 4, v54
	s_add_u32 s0, s22, s0
	v_lshl_or_b32 v2, v1, 7, v2
	v_and_b32_e32 v10, 60, v41
	s_addc_u32 s1, s23, s1
	s_waitcnt lgkmcnt(0)
	s_mov_b32 s7, s6
	v_add_u32_e32 v56, 0x110, v2
	v_lshl_add_u64 v[16:17], s[0:1], 0, v[10:11]
	s_mov_b64 s[8:9], 0
	v_mov_b32_e32 v10, v11
	v_mov_b32_e32 v12, v11
	;; [unrolled: 1-line block ×7, first 2 shown]
	s_branch .LBB210_40
.LBB210_39:                             ;   in Loop: Header=BB210_40 Depth=1
	s_or_b64 exec, exec, s[0:1]
	s_waitcnt lgkmcnt(0)
	v_mul_f32_e32 v21, v3, v21
	v_fmac_f32_e32 v21, v2, v20
	v_fmac_f32_e32 v21, v4, v18
	v_mul_f32_e32 v18, v3, v27
	v_fmac_f32_e32 v18, v2, v26
	v_fmac_f32_e32 v18, v4, v24
	v_fmac_f32_e32 v18, v5, v25
	v_add_f32_e32 v11, v11, v18
	v_mul_f32_e32 v18, v3, v31
	v_fmac_f32_e32 v18, v2, v30
	v_fmac_f32_e32 v18, v4, v28
	v_fmac_f32_e32 v18, v5, v29
	v_add_f32_e32 v12, v12, v18
	;; [unrolled: 5-line block ×5, first 2 shown]
	v_mul_f32_e32 v18, v3, v47
	v_mul_f32_e32 v3, v3, v49
	v_fmac_f32_e32 v18, v2, v46
	v_fmac_f32_e32 v3, v2, v48
	;; [unrolled: 1-line block ×4, first 2 shown]
	v_add_u32_e32 v1, 2, v1
	v_fmac_f32_e32 v21, v5, v19
	v_fmac_f32_e32 v18, v5, v45
	v_fmac_f32_e32 v3, v5, v23
	v_cmp_le_i32_e32 vcc, s19, v1
	v_add_f32_e32 v10, v10, v21
	v_add_f32_e32 v6, v6, v18
	;; [unrolled: 1-line block ×3, first 2 shown]
	v_add_u32_e32 v55, 64, v55
	v_add_u32_e32 v56, 0x100, v56
	s_or_b64 s[8:9], vcc, s[8:9]
	v_lshl_add_u64 v[16:17], v[16:17], 0, 8
	s_andn2_b64 exec, exec, s[8:9]
	s_cbranch_execz .LBB210_56
.LBB210_40:                             ; =>This Inner Loop Header: Depth=1
	global_load_dword v2, v[16:17], off
	v_add_u32_e32 v57, -3, v55
	v_cmp_eq_u32_e32 vcc, s14, v1
	v_add_u32_e32 v58, -2, v55
	v_add_u32_e32 v59, -1, v55
	s_waitcnt vmcnt(0)
	v_mad_i64_i32 v[22:23], s[0:1], v2, s13, v[14:15]
	global_load_dword v18, v[22:23], off
	ds_read_b128 v[2:5], v56
	s_waitcnt vmcnt(0)
	v_and_b32_e32 v19, 0xffff, v18
	v_lshrrev_b32_e32 v20, 16, v18
	v_cvt_pk_f32_fp8_e32 v[18:19], v19
	v_cvt_pk_f32_fp8_e32 v[24:25], v20
	v_pk_mul_f32 v[20:21], s[6:7], v[18:19]
	v_pk_mul_f32 v[18:19], s[6:7], v[24:25]
	s_and_saveexec_b64 s[10:11], vcc
; %bb.41:                               ;   in Loop: Header=BB210_40 Depth=1
	v_cmp_gt_i32_e64 s[0:1], s17, v57
	s_nop 1
	v_cndmask_b32_e64 v20, 0, v20, s[0:1]
	v_cmp_gt_i32_e64 s[0:1], s17, v58
	s_nop 1
	v_cndmask_b32_e64 v21, 0, v21, s[0:1]
	v_cmp_gt_i32_e64 s[0:1], s17, v59
	s_nop 1
	v_cndmask_b32_e64 v18, 0, v18, s[0:1]
	v_cmp_gt_i32_e64 s[0:1], s17, v55
	s_nop 1
	v_cndmask_b32_e64 v19, 0, v19, s[0:1]
; %bb.42:                               ;   in Loop: Header=BB210_40 Depth=1
	s_or_b64 exec, exec, s[10:11]
	global_load_dword v24, v[22:23], off offset:256
	s_waitcnt vmcnt(0)
	v_and_b32_e32 v25, 0xffff, v24
	v_lshrrev_b32_e32 v26, 16, v24
	v_cvt_pk_f32_fp8_e32 v[24:25], v25
	v_cvt_pk_f32_fp8_e32 v[28:29], v26
	v_pk_mul_f32 v[26:27], s[6:7], v[24:25]
	v_pk_mul_f32 v[24:25], s[6:7], v[28:29]
	s_and_saveexec_b64 s[10:11], vcc
; %bb.43:                               ;   in Loop: Header=BB210_40 Depth=1
	v_cmp_gt_i32_e64 s[0:1], s17, v57
	s_nop 1
	v_cndmask_b32_e64 v26, 0, v26, s[0:1]
	v_cmp_gt_i32_e64 s[0:1], s17, v58
	s_nop 1
	v_cndmask_b32_e64 v27, 0, v27, s[0:1]
	v_cmp_gt_i32_e64 s[0:1], s17, v59
	s_nop 1
	v_cndmask_b32_e64 v24, 0, v24, s[0:1]
	v_cmp_gt_i32_e64 s[0:1], s17, v55
	s_nop 1
	v_cndmask_b32_e64 v25, 0, v25, s[0:1]
; %bb.44:                               ;   in Loop: Header=BB210_40 Depth=1
	s_or_b64 exec, exec, s[10:11]
	global_load_dword v28, v[22:23], off offset:512
	;; [unrolled: 24-line block ×7, first 2 shown]
	s_waitcnt vmcnt(0)
	v_and_b32_e32 v23, 0xffff, v22
	v_lshrrev_b32_e32 v48, 16, v22
	v_cvt_pk_f32_fp8_e32 v[22:23], v23
	v_cvt_pk_f32_fp8_e32 v[60:61], v48
	v_pk_mul_f32 v[48:49], s[6:7], v[22:23]
	v_pk_mul_f32 v[22:23], s[6:7], v[60:61]
	s_and_saveexec_b64 s[0:1], vcc
	s_cbranch_execz .LBB210_39
; %bb.55:                               ;   in Loop: Header=BB210_40 Depth=1
	v_cmp_gt_i32_e32 vcc, s17, v57
	s_nop 1
	v_cndmask_b32_e32 v48, 0, v48, vcc
	v_cmp_gt_i32_e32 vcc, s17, v58
	s_nop 1
	v_cndmask_b32_e32 v49, 0, v49, vcc
	;; [unrolled: 3-line block ×4, first 2 shown]
	s_branch .LBB210_39
.LBB210_56:
	s_or_b64 exec, exec, s[8:9]
.LBB210_57:
	s_or_b64 exec, exec, s[2:3]
	ds_bpermute_b32 v4, v52, v12
	ds_bpermute_b32 v5, v52, v13
	;; [unrolled: 1-line block ×6, first 2 shown]
	s_waitcnt lgkmcnt(4)
	v_pk_add_f32 v[4:5], v[12:13], v[4:5]
	ds_bpermute_b32 v12, v51, v4
	ds_bpermute_b32 v13, v51, v5
	s_waitcnt lgkmcnt(4)
	v_pk_add_f32 v[2:3], v[10:11], v[2:3]
	s_waitcnt lgkmcnt(2)
	v_pk_add_f32 v[8:9], v[8:9], v[14:15]
	ds_bpermute_b32 v10, v51, v2
	ds_bpermute_b32 v11, v51, v3
	s_waitcnt lgkmcnt(2)
	v_pk_add_f32 v[4:5], v[4:5], v[12:13]
	ds_bpermute_b32 v12, v52, v6
	ds_bpermute_b32 v13, v52, v7
	;; [unrolled: 1-line block ×4, first 2 shown]
	s_waitcnt lgkmcnt(4)
	v_pk_add_f32 v[2:3], v[2:3], v[10:11]
	ds_bpermute_b32 v10, v53, v2
	s_waitcnt lgkmcnt(3)
	v_pk_add_f32 v[6:7], v[6:7], v[12:13]
	ds_bpermute_b32 v12, v51, v6
	ds_bpermute_b32 v13, v51, v7
	s_waitcnt lgkmcnt(3)
	v_pk_add_f32 v[14:15], v[8:9], v[14:15]
	ds_bpermute_b32 v11, v53, v3
	ds_bpermute_b32 v16, v53, v4
	ds_bpermute_b32 v17, v53, v5
	s_waitcnt lgkmcnt(3)
	v_pk_add_f32 v[12:13], v[6:7], v[12:13]
	ds_bpermute_b32 v18, v53, v14
	ds_bpermute_b32 v19, v53, v15
	;; [unrolled: 1-line block ×4, first 2 shown]
	v_and_b32_e32 v1, 0x3c7, v0
	s_waitcnt lgkmcnt(6)
	v_pk_add_f32 v[8:9], v[2:3], v[10:11]
	s_waitcnt lgkmcnt(4)
	v_pk_add_f32 v[6:7], v[4:5], v[16:17]
	;; [unrolled: 2-line block ×4, first 2 shown]
	v_cmp_eq_u32_e32 vcc, 64, v1
	s_barrier
	s_and_saveexec_b64 s[0:1], vcc
	s_cbranch_execz .LBB210_59
; %bb.58:
	v_lshrrev_b32_e32 v10, 1, v50
	v_add_u32_e32 v10, 0x110, v10
	ds_write2_b32 v10, v8, v9 offset1:8
	ds_write2_b32 v10, v6, v7 offset0:16 offset1:24
	ds_write2_b32 v10, v2, v3 offset0:32 offset1:40
	;; [unrolled: 1-line block ×3, first 2 shown]
.LBB210_59:
	s_or_b64 exec, exec, s[0:1]
	v_cmp_gt_u32_e32 vcc, 64, v0
	s_waitcnt lgkmcnt(0)
	s_barrier
	s_and_saveexec_b64 s[0:1], vcc
	s_cbranch_execz .LBB210_70
; %bb.60:
	v_cmp_eq_u32_e32 vcc, 0, v54
	v_lshrrev_b32_e32 v10, 3, v0
	s_and_saveexec_b64 s[2:3], vcc
	s_cbranch_execnz .LBB210_73
; %bb.61:
	s_or_b64 exec, exec, s[2:3]
	s_and_saveexec_b64 s[2:3], vcc
	s_cbranch_execnz .LBB210_74
.LBB210_62:
	s_or_b64 exec, exec, s[2:3]
	s_and_saveexec_b64 s[2:3], vcc
	s_cbranch_execnz .LBB210_75
.LBB210_63:
	s_or_b64 exec, exec, s[2:3]
	s_and_saveexec_b64 s[2:3], vcc
	s_cbranch_execnz .LBB210_76
.LBB210_64:
	s_or_b64 exec, exec, s[2:3]
	s_and_saveexec_b64 s[2:3], vcc
	s_cbranch_execnz .LBB210_77
.LBB210_65:
	s_or_b64 exec, exec, s[2:3]
	s_and_saveexec_b64 s[2:3], vcc
	s_cbranch_execnz .LBB210_78
.LBB210_66:
	s_or_b64 exec, exec, s[2:3]
	s_and_saveexec_b64 s[2:3], vcc
	s_cbranch_execnz .LBB210_79
.LBB210_67:
	s_or_b64 exec, exec, s[2:3]
	s_and_saveexec_b64 s[2:3], vcc
	s_cbranch_execz .LBB210_69
.LBB210_68:
	v_mov_b32_e32 v11, 0x110
	v_lshl_add_u32 v10, v10, 2, v11
	ds_read_b32 v10, v10 offset:224
	s_waitcnt lgkmcnt(0)
	v_add_f32_e32 v5, v5, v10
.LBB210_69:
	s_or_b64 exec, exec, s[2:3]
.LBB210_70:
	s_or_b64 exec, exec, s[0:1]
	v_cmp_eq_u32_e32 vcc, 0, v1
	s_barrier
	s_and_saveexec_b64 s[0:1], vcc
	s_cbranch_execz .LBB210_72
; %bb.71:
	s_mul_i32 s0, s16, s12
	s_mul_i32 s0, s0, s5
	s_lshl_b32 s0, s0, 6
	s_ashr_i32 s1, s0, 31
	s_lshl_b64 s[0:1], s[0:1], 2
	s_add_u32 s2, s20, s0
	s_mul_i32 s0, s12, s18
	s_addc_u32 s3, s21, s1
	s_ashr_i32 s1, s0, 31
	s_lshl_b64 s[0:1], s[0:1], 2
	s_add_u32 s2, s2, s0
	s_addc_u32 s3, s3, s1
	s_lshl_b32 s0, s4, 6
	s_ashr_i32 s1, s0, 31
	s_lshl_b64 s[0:1], s[0:1], 2
	s_add_u32 s0, s2, s0
	s_addc_u32 s1, s3, s1
	v_lshrrev_b32_e32 v0, 1, v0
	global_store_dword v0, v8, s[0:1]
	global_store_dword v0, v9, s[0:1] offset:32
	global_store_dword v0, v6, s[0:1] offset:64
	;; [unrolled: 1-line block ×7, first 2 shown]
.LBB210_72:
	s_endpgm
.LBB210_73:
	v_mov_b32_e32 v11, 0x110
	v_lshl_add_u32 v11, v10, 2, v11
	ds_read_b32 v11, v11
	s_waitcnt lgkmcnt(0)
	v_add_f32_e32 v8, v8, v11
	s_or_b64 exec, exec, s[2:3]
	s_and_saveexec_b64 s[2:3], vcc
	s_cbranch_execz .LBB210_62
.LBB210_74:
	v_mov_b32_e32 v11, 0x110
	v_lshl_add_u32 v11, v10, 2, v11
	ds_read_b32 v11, v11 offset:32
	s_waitcnt lgkmcnt(0)
	v_add_f32_e32 v9, v9, v11
	s_or_b64 exec, exec, s[2:3]
	s_and_saveexec_b64 s[2:3], vcc
	s_cbranch_execz .LBB210_63
.LBB210_75:
	v_mov_b32_e32 v11, 0x110
	v_lshl_add_u32 v11, v10, 2, v11
	ds_read_b32 v11, v11 offset:64
	s_waitcnt lgkmcnt(0)
	v_add_f32_e32 v6, v6, v11
	s_or_b64 exec, exec, s[2:3]
	s_and_saveexec_b64 s[2:3], vcc
	s_cbranch_execz .LBB210_64
.LBB210_76:
	v_mov_b32_e32 v11, 0x110
	v_lshl_add_u32 v11, v10, 2, v11
	ds_read_b32 v11, v11 offset:96
	s_waitcnt lgkmcnt(0)
	v_add_f32_e32 v7, v7, v11
	s_or_b64 exec, exec, s[2:3]
	s_and_saveexec_b64 s[2:3], vcc
	s_cbranch_execz .LBB210_65
.LBB210_77:
	v_mov_b32_e32 v11, 0x110
	v_lshl_add_u32 v11, v10, 2, v11
	ds_read_b32 v11, v11 offset:128
	s_waitcnt lgkmcnt(0)
	v_add_f32_e32 v2, v2, v11
	s_or_b64 exec, exec, s[2:3]
	s_and_saveexec_b64 s[2:3], vcc
	s_cbranch_execz .LBB210_66
.LBB210_78:
	v_mov_b32_e32 v11, 0x110
	v_lshl_add_u32 v11, v10, 2, v11
	ds_read_b32 v11, v11 offset:160
	s_waitcnt lgkmcnt(0)
	v_add_f32_e32 v3, v3, v11
	s_or_b64 exec, exec, s[2:3]
	s_and_saveexec_b64 s[2:3], vcc
	s_cbranch_execz .LBB210_67
.LBB210_79:
	v_mov_b32_e32 v11, 0x110
	v_lshl_add_u32 v11, v10, 2, v11
	ds_read_b32 v11, v11 offset:192
	s_waitcnt lgkmcnt(0)
	v_add_f32_e32 v4, v4, v11
	s_or_b64 exec, exec, s[2:3]
	s_and_saveexec_b64 s[2:3], vcc
	s_cbranch_execnz .LBB210_68
	s_branch .LBB210_69
	.section	.rodata,"a",@progbits
	.p2align	6, 0x0
	.amdhsa_kernel _ZN4vllm25paged_attention_v1_kernelIfhLi64ELi32ELi128ELNS_18Fp8KVCacheDataTypeE1ELb0EEEvPT_PKS2_PKT0_S8_ifPKiSA_iPKfiiiSC_SC_iiiii
		.amdhsa_group_segment_fixed_size 272
		.amdhsa_private_segment_fixed_size 0
		.amdhsa_kernarg_size 384
		.amdhsa_user_sgpr_count 2
		.amdhsa_user_sgpr_dispatch_ptr 0
		.amdhsa_user_sgpr_queue_ptr 0
		.amdhsa_user_sgpr_kernarg_segment_ptr 1
		.amdhsa_user_sgpr_dispatch_id 0
		.amdhsa_user_sgpr_kernarg_preload_length 0
		.amdhsa_user_sgpr_kernarg_preload_offset 0
		.amdhsa_user_sgpr_private_segment_size 0
		.amdhsa_uses_dynamic_stack 0
		.amdhsa_enable_private_segment 0
		.amdhsa_system_sgpr_workgroup_id_x 1
		.amdhsa_system_sgpr_workgroup_id_y 1
		.amdhsa_system_sgpr_workgroup_id_z 1
		.amdhsa_system_sgpr_workgroup_info 0
		.amdhsa_system_vgpr_workitem_id 0
		.amdhsa_next_free_vgpr 79
		.amdhsa_next_free_sgpr 38
		.amdhsa_accum_offset 80
		.amdhsa_reserve_vcc 1
		.amdhsa_float_round_mode_32 0
		.amdhsa_float_round_mode_16_64 0
		.amdhsa_float_denorm_mode_32 3
		.amdhsa_float_denorm_mode_16_64 3
		.amdhsa_dx10_clamp 1
		.amdhsa_ieee_mode 1
		.amdhsa_fp16_overflow 0
		.amdhsa_tg_split 0
		.amdhsa_exception_fp_ieee_invalid_op 0
		.amdhsa_exception_fp_denorm_src 0
		.amdhsa_exception_fp_ieee_div_zero 0
		.amdhsa_exception_fp_ieee_overflow 0
		.amdhsa_exception_fp_ieee_underflow 0
		.amdhsa_exception_fp_ieee_inexact 0
		.amdhsa_exception_int_div_zero 0
	.end_amdhsa_kernel
	.section	.text._ZN4vllm25paged_attention_v1_kernelIfhLi64ELi32ELi128ELNS_18Fp8KVCacheDataTypeE1ELb0EEEvPT_PKS2_PKT0_S8_ifPKiSA_iPKfiiiSC_SC_iiiii,"axG",@progbits,_ZN4vllm25paged_attention_v1_kernelIfhLi64ELi32ELi128ELNS_18Fp8KVCacheDataTypeE1ELb0EEEvPT_PKS2_PKT0_S8_ifPKiSA_iPKfiiiSC_SC_iiiii,comdat
.Lfunc_end210:
	.size	_ZN4vllm25paged_attention_v1_kernelIfhLi64ELi32ELi128ELNS_18Fp8KVCacheDataTypeE1ELb0EEEvPT_PKS2_PKT0_S8_ifPKiSA_iPKfiiiSC_SC_iiiii, .Lfunc_end210-_ZN4vllm25paged_attention_v1_kernelIfhLi64ELi32ELi128ELNS_18Fp8KVCacheDataTypeE1ELb0EEEvPT_PKS2_PKT0_S8_ifPKiSA_iPKfiiiSC_SC_iiiii
                                        ; -- End function
	.section	.AMDGPU.csdata,"",@progbits
; Kernel info:
; codeLenInByte = 5468
; NumSgprs: 44
; NumVgprs: 79
; NumAgprs: 0
; TotalNumVgprs: 79
; ScratchSize: 0
; MemoryBound: 0
; FloatMode: 240
; IeeeMode: 1
; LDSByteSize: 272 bytes/workgroup (compile time only)
; SGPRBlocks: 5
; VGPRBlocks: 9
; NumSGPRsForWavesPerEU: 44
; NumVGPRsForWavesPerEU: 79
; AccumOffset: 80
; Occupancy: 6
; WaveLimiterHint : 1
; COMPUTE_PGM_RSRC2:SCRATCH_EN: 0
; COMPUTE_PGM_RSRC2:USER_SGPR: 2
; COMPUTE_PGM_RSRC2:TRAP_HANDLER: 0
; COMPUTE_PGM_RSRC2:TGID_X_EN: 1
; COMPUTE_PGM_RSRC2:TGID_Y_EN: 1
; COMPUTE_PGM_RSRC2:TGID_Z_EN: 1
; COMPUTE_PGM_RSRC2:TIDIG_COMP_CNT: 0
; COMPUTE_PGM_RSRC3_GFX90A:ACCUM_OFFSET: 19
; COMPUTE_PGM_RSRC3_GFX90A:TG_SPLIT: 0
	.section	.text._ZN4vllm25paged_attention_v1_kernelIfhLi80ELi32ELi128ELNS_18Fp8KVCacheDataTypeE1ELb0EEEvPT_PKS2_PKT0_S8_ifPKiSA_iPKfiiiSC_SC_iiiii,"axG",@progbits,_ZN4vllm25paged_attention_v1_kernelIfhLi80ELi32ELi128ELNS_18Fp8KVCacheDataTypeE1ELb0EEEvPT_PKS2_PKT0_S8_ifPKiSA_iPKfiiiSC_SC_iiiii,comdat
	.protected	_ZN4vllm25paged_attention_v1_kernelIfhLi80ELi32ELi128ELNS_18Fp8KVCacheDataTypeE1ELb0EEEvPT_PKS2_PKT0_S8_ifPKiSA_iPKfiiiSC_SC_iiiii ; -- Begin function _ZN4vllm25paged_attention_v1_kernelIfhLi80ELi32ELi128ELNS_18Fp8KVCacheDataTypeE1ELb0EEEvPT_PKS2_PKT0_S8_ifPKiSA_iPKfiiiSC_SC_iiiii
	.globl	_ZN4vllm25paged_attention_v1_kernelIfhLi80ELi32ELi128ELNS_18Fp8KVCacheDataTypeE1ELb0EEEvPT_PKS2_PKT0_S8_ifPKiSA_iPKfiiiSC_SC_iiiii
	.p2align	8
	.type	_ZN4vllm25paged_attention_v1_kernelIfhLi80ELi32ELi128ELNS_18Fp8KVCacheDataTypeE1ELb0EEEvPT_PKS2_PKT0_S8_ifPKiSA_iPKfiiiSC_SC_iiiii,@function
_ZN4vllm25paged_attention_v1_kernelIfhLi80ELi32ELi128ELNS_18Fp8KVCacheDataTypeE1ELb0EEEvPT_PKS2_PKT0_S8_ifPKiSA_iPKfiiiSC_SC_iiiii: ; @_ZN4vllm25paged_attention_v1_kernelIfhLi80ELi32ELi128ELNS_18Fp8KVCacheDataTypeE1ELb0EEEvPT_PKS2_PKT0_S8_ifPKiSA_iPKfiiiSC_SC_iiiii
; %bb.0:
	s_load_dword s5, s[0:1], 0x80
	s_load_dwordx2 s[6:7], s[0:1], 0x30
	s_load_dwordx2 s[28:29], s[0:1], 0x20
	s_mov_b32 s16, s3
	s_ashr_i32 s17, s3, 31
	s_lshl_b64 s[8:9], s[16:17], 2
	s_waitcnt lgkmcnt(0)
	s_add_u32 s6, s6, s8
	s_addc_u32 s7, s7, s9
	s_abs_i32 s3, s28
	v_cvt_f32_u32_e32 v1, s3
	s_sub_i32 s10, 0, s3
	s_abs_i32 s9, s5
	s_xor_b32 s8, s5, s28
	v_rcp_iflag_f32_e32 v1, v1
	s_ashr_i32 s8, s8, 31
	s_mov_b32 s28, 0
	v_mul_f32_e32 v1, 0x4f7ffffe, v1
	v_cvt_u32_f32_e32 v1, v1
	s_nop 0
	v_readfirstlane_b32 s11, v1
	s_mul_i32 s10, s10, s11
	s_mul_hi_u32 s10, s11, s10
	s_add_i32 s11, s11, s10
	s_mul_hi_u32 s10, s9, s11
	s_mul_i32 s11, s10, s3
	s_sub_i32 s9, s9, s11
	s_add_i32 s11, s10, 1
	s_sub_i32 s12, s9, s3
	s_cmp_ge_u32 s9, s3
	s_cselect_b32 s10, s11, s10
	s_cselect_b32 s9, s12, s9
	s_add_i32 s11, s10, 1
	s_cmp_ge_u32 s9, s3
	s_cselect_b32 s3, s11, s10
	s_xor_b32 s3, s3, s8
	s_sub_i32 s12, s3, s8
	s_abs_i32 s10, s12
	v_cvt_f32_u32_e32 v1, s10
	s_load_dwordx2 s[8:9], s[0:1], 0x40
	s_sub_i32 s3, 0, s10
	s_abs_i32 s11, s2
	v_rcp_iflag_f32_e32 v1, v1
	s_nop 0
	v_mul_f32_e32 v1, 0x4f7ffffe, v1
	v_cvt_u32_f32_e32 v1, v1
	s_nop 0
	v_readfirstlane_b32 s13, v1
	s_mul_i32 s3, s3, s13
	s_mul_hi_u32 s3, s13, s3
	s_add_i32 s13, s13, s3
	s_waitcnt lgkmcnt(0)
	s_cmp_eq_u64 s[8:9], 0
	s_mul_hi_u32 s20, s11, s13
	s_cbranch_scc1 .LBB211_2
; %bb.1:
	s_ashr_i32 s3, s2, 31
	s_lshl_b64 s[14:15], s[2:3], 2
	s_add_u32 s8, s8, s14
	s_addc_u32 s9, s9, s15
	s_load_dword s28, s[8:9], 0x0
.LBB211_2:
	s_load_dword s17, s[6:7], 0x0
	s_ashr_i32 s7, s12, 31
	s_load_dwordx4 s[12:15], s[0:1], 0x48
	s_ashr_i32 s6, s2, 31
	v_and_b32_e32 v46, 1, v0
	s_mul_i32 s18, s2, 0x50
	v_cmp_gt_u32_e32 vcc, 40, v0
	v_lshlrev_b32_e32 v50, 2, v0
	s_and_saveexec_b64 s[2:3], vcc
	s_cbranch_execz .LBB211_4
; %bb.3:
	s_load_dwordx2 s[8:9], s[0:1], 0x8
	s_waitcnt lgkmcnt(0)
	s_mul_i32 s22, s16, s12
	s_ashr_i32 s23, s22, 31
	s_lshl_b64 s[22:23], s[22:23], 2
	v_lshlrev_b32_e32 v1, 3, v0
	s_add_u32 s12, s8, s22
	s_addc_u32 s15, s9, s23
	s_ashr_i32 s19, s18, 31
	s_lshl_b64 s[8:9], s[18:19], 2
	s_add_u32 s8, s12, s8
	s_addc_u32 s9, s15, s9
	global_load_dwordx2 v[2:3], v1, s[8:9]
	v_and_b32_e32 v1, 0xff8, v50
	s_movk_i32 s8, 0xa0
	v_mad_u32_u24 v1, v46, s8, v1
	s_waitcnt vmcnt(0)
	ds_write_b64 v1, v[2:3]
.LBB211_4:
	s_or_b64 exec, exec, s[2:3]
	s_waitcnt lgkmcnt(0)
	s_add_i32 s3, s17, 31
	s_ashr_i32 s8, s3, 31
	s_lshr_b32 s8, s8, 27
	s_add_i32 s3, s3, s8
	s_ashr_i32 s19, s3, 5
	s_xor_b32 s3, s6, s7
	s_mul_i32 s6, s20, s10
	s_sub_i32 s6, s11, s6
	s_add_i32 s7, s20, 1
	s_sub_i32 s8, s6, s10
	s_load_dwordx2 s[22:23], s[0:1], 0x28
	s_load_dword s2, s[0:1], 0x38
	s_cmp_ge_u32 s6, s10
	s_cselect_b32 s7, s7, s20
	s_cselect_b32 s6, s8, s6
	s_add_i32 s8, s7, 1
	s_cmp_ge_u32 s6, s10
	s_cselect_b32 s6, s8, s7
	v_lshrrev_b32_e32 v1, 6, v0
	s_xor_b32 s6, s6, s3
	s_waitcnt lgkmcnt(0)
	s_mul_i32 s24, s16, s2
	s_sub_i32 s33, s6, s3
	s_ashr_i32 s25, s24, 31
	v_cmp_gt_i32_e64 s[6:7], s19, v1
	v_cmp_le_i32_e32 vcc, s19, v1
	v_mbcnt_lo_u32_b32 v47, -1, 0
	s_barrier
	s_waitcnt lgkmcnt(0)
                                        ; implicit-def: $sgpr15
                                        ; implicit-def: $vgpr52
                                        ; implicit-def: $vgpr53
	s_and_saveexec_b64 s[2:3], vcc
	s_xor_b64 s[2:3], exec, s[2:3]
; %bb.5:
	v_mbcnt_hi_u32_b32 v52, -1, v47
	v_and_b32_e32 v2, 64, v52
	v_add_u32_e32 v53, 64, v2
	s_mov_b32 s15, 0xff7fffff
                                        ; implicit-def: $vgpr46
                                        ; implicit-def: $vgpr47
; %bb.6:
	s_or_saveexec_b64 s[30:31], s[2:3]
	s_load_dwordx2 s[20:21], s[0:1], 0x0
	s_load_dwordx2 s[26:27], s[0:1], 0x18
	s_load_dword s12, s[0:1], 0x88
	s_load_dwordx4 s[8:11], s[0:1], 0x58
	v_mov_b32_e32 v54, s15
	s_mul_i32 s33, s33, s14
	v_lshrrev_b32_e32 v51, 4, v0
	s_xor_b64 exec, exec, s[30:31]
	s_cbranch_execz .LBB211_12
; %bb.7:
	v_mul_u32_u24_e32 v38, 0xa0, v46
	ds_read_b128 v[2:5], v38
	ds_read_b128 v[6:9], v38 offset:16
	ds_read_b128 v[10:13], v38 offset:32
	ds_read_b128 v[14:17], v38 offset:48
	ds_read_b128 v[18:21], v38 offset:64
	ds_read_b128 v[22:25], v38 offset:80
	ds_read_b128 v[26:29], v38 offset:96
	ds_read_b128 v[30:33], v38 offset:112
	ds_read_b128 v[34:37], v38 offset:128
	ds_read_b128 v[38:41], v38 offset:144
	s_load_dwordx2 s[0:1], s[0:1], 0x10
	v_mbcnt_hi_u32_b32 v52, -1, v47
	s_ashr_i32 s2, s33, 31
	v_and_b32_e32 v49, 64, v52
	v_bfe_u32 v48, v0, 1, 5
	s_waitcnt lgkmcnt(0)
	s_add_u32 s0, s0, s33
	v_xor_b32_e32 v47, 1, v52
	v_add_u32_e32 v53, 64, v49
	s_load_dword s8, s[8:9], 0x0
	v_lshlrev_b32_e32 v42, 4, v48
	s_addc_u32 s1, s1, s2
	v_mov_b32_e32 v43, 0
	v_cmp_lt_i32_e32 vcc, v47, v53
	v_lshl_add_u64 v[44:45], s[0:1], 0, v[42:43]
	v_lshlrev_b32_e32 v42, 1, v46
	v_cndmask_b32_e32 v47, v52, v47, vcc
	v_cmp_eq_u32_e32 vcc, 0, v46
	s_sub_i32 s37, 1, s17
	v_lshlrev_b32_e32 v46, 2, v48
	s_lshl_b64 s[0:1], s[24:25], 2
	v_lshl_or_b32 v46, v1, 7, v46
	s_add_u32 s0, s22, s0
	v_lshlrev_b32_e32 v55, 2, v47
	v_add_u32_e32 v57, 0x150, v46
	v_and_b32_e32 v46, 60, v51
	v_mov_b32_e32 v47, v43
	s_addc_u32 s1, s23, s1
	s_mov_b32 s36, s13
	v_cmp_neq_f32_e64 s[2:3], s28, 0
	s_waitcnt lgkmcnt(0)
	s_mov_b32 s9, s8
	v_lshl_or_b32 v56, v1, 5, v48
	v_lshl_add_u64 v[46:47], s[0:1], 0, v[46:47]
	s_mov_b64 s[14:15], 0
	v_mov_b32_e32 v54, 0xff7fffff
	v_mov_b32_e32 v58, v1
	s_branch .LBB211_9
.LBB211_8:                              ;   in Loop: Header=BB211_9 Depth=1
	s_or_b64 exec, exec, s[34:35]
	v_add_u32_e32 v58, 2, v58
	v_cmp_le_i32_e64 s[0:1], s19, v58
	v_add_u32_e32 v56, 64, v56
	v_add_u32_e32 v57, 0x100, v57
	s_or_b64 s[14:15], s[0:1], s[14:15]
	v_lshl_add_u64 v[46:47], v[46:47], 0, 8
	s_andn2_b64 exec, exec, s[14:15]
	s_cbranch_execz .LBB211_11
.LBB211_9:                              ; =>This Inner Loop Header: Depth=1
	global_load_dword v48, v[46:47], off
	s_waitcnt vmcnt(0) lgkmcnt(0)
	v_mad_i64_i32 v[48:49], s[0:1], v48, s36, v[44:45]
	v_lshl_add_u64 v[48:49], v[48:49], 0, v[42:43]
	global_load_ushort v59, v[48:49], off offset:4
	global_load_ushort v64, v[48:49], off offset:8
	;; [unrolled: 1-line block ×7, first 2 shown]
	global_load_ushort v62, v[48:49], off
	global_load_ushort v70, v[48:49], off offset:1024
	global_load_ushort v71, v[48:49], off offset:1028
	;; [unrolled: 1-line block ×5, first 2 shown]
	s_waitcnt vmcnt(12)
	v_cvt_pk_f32_fp8_e32 v[60:61], v59
	global_load_ushort v59, v[48:49], off offset:1540
	global_load_ushort v75, v[48:49], off offset:1544
	;; [unrolled: 1-line block ×7, first 2 shown]
	s_waitcnt vmcnt(18)
	v_cvt_pk_f32_fp8_e32 v[48:49], v64
	v_pk_mul_f32 v[60:61], s[8:9], v[60:61]
	s_waitcnt vmcnt(12)
	v_cvt_pk_f32_fp8_e32 v[62:63], v62
	v_mul_f32_e32 v77, v4, v60
	v_mul_f32_e32 v78, v5, v61
	v_pk_mul_f32 v[48:49], s[8:9], v[48:49]
	v_pk_mul_f32 v[60:61], s[8:9], v[62:63]
	v_cvt_pk_f32_fp8_e32 v[62:63], v68
	v_fmac_f32_e32 v77, v2, v60
	v_fmac_f32_e32 v78, v3, v61
	v_fmac_f32_e32 v77, v6, v48
	v_fmac_f32_e32 v78, v7, v49
	v_cvt_pk_f32_fp8_e32 v[48:49], v65
	v_cvt_pk_f32_fp8_e32 v[60:61], v66
	s_waitcnt vmcnt(11)
	v_cvt_pk_f32_fp8_e32 v[64:65], v70
	v_pk_mul_f32 v[62:63], s[8:9], v[62:63]
	v_pk_mul_f32 v[48:49], s[8:9], v[48:49]
	;; [unrolled: 1-line block ×3, first 2 shown]
	v_fmac_f32_e32 v77, v8, v48
	v_fmac_f32_e32 v78, v9, v49
	v_cvt_pk_f32_fp8_e32 v[48:49], v67
	v_fmac_f32_e32 v77, v10, v60
	v_fmac_f32_e32 v78, v11, v61
	v_cvt_pk_f32_fp8_e32 v[60:61], v69
	v_pk_mul_f32 v[48:49], s[8:9], v[48:49]
	s_waitcnt vmcnt(9)
	v_cvt_pk_f32_fp8_e32 v[66:67], v72
	v_fmac_f32_e32 v77, v12, v48
	v_fmac_f32_e32 v78, v13, v49
	v_cvt_pk_f32_fp8_e32 v[48:49], v71
	v_fmac_f32_e32 v77, v14, v62
	v_fmac_f32_e32 v78, v15, v63
	s_waitcnt vmcnt(8)
	v_cvt_pk_f32_fp8_e32 v[62:63], v73
	v_pk_mul_f32 v[60:61], s[8:9], v[60:61]
	s_waitcnt vmcnt(7)
	v_cvt_pk_f32_fp8_e32 v[68:69], v74
	v_fmac_f32_e32 v77, v16, v60
	v_fmac_f32_e32 v78, v17, v61
	v_pk_mul_f32 v[64:65], s[8:9], v[64:65]
	v_pk_mul_f32 v[48:49], s[8:9], v[48:49]
	v_fmac_f32_e32 v77, v18, v64
	v_fmac_f32_e32 v78, v19, v65
	;; [unrolled: 1-line block ×4, first 2 shown]
	v_pk_mul_f32 v[66:67], s[8:9], v[66:67]
	v_pk_mul_f32 v[62:63], s[8:9], v[62:63]
	v_fmac_f32_e32 v77, v22, v66
	v_fmac_f32_e32 v78, v23, v67
	v_pk_mul_f32 v[68:69], s[8:9], v[68:69]
	v_fmac_f32_e32 v77, v24, v62
	v_fmac_f32_e32 v78, v25, v63
	;; [unrolled: 1-line block ×4, first 2 shown]
	s_waitcnt vmcnt(6)
	v_cvt_pk_f32_fp8_e32 v[60:61], v59
	s_waitcnt vmcnt(5)
	v_cvt_pk_f32_fp8_e32 v[70:71], v75
	;; [unrolled: 2-line block ×5, first 2 shown]
	v_pk_mul_f32 v[60:61], s[8:9], v[60:61]
	s_waitcnt vmcnt(1)
	v_cvt_pk_f32_fp8_e32 v[74:75], v81
	v_pk_mul_f32 v[70:71], s[8:9], v[70:71]
	v_fmac_f32_e32 v77, v28, v60
	v_fmac_f32_e32 v78, v29, v61
	s_waitcnt vmcnt(0)
	v_cvt_pk_f32_fp8_e32 v[66:67], v82
	v_pk_mul_f32 v[64:65], s[8:9], v[64:65]
	v_fmac_f32_e32 v77, v30, v70
	v_fmac_f32_e32 v78, v31, v71
	v_pk_mul_f32 v[72:73], s[8:9], v[72:73]
	v_fmac_f32_e32 v77, v32, v64
	v_fmac_f32_e32 v78, v33, v65
	v_pk_mul_f32 v[48:49], s[8:9], v[48:49]
	v_fmac_f32_e32 v77, v34, v72
	v_fmac_f32_e32 v78, v35, v73
	v_pk_mul_f32 v[74:75], s[8:9], v[74:75]
	v_fmac_f32_e32 v77, v36, v48
	v_fmac_f32_e32 v78, v37, v49
	v_pk_mul_f32 v[66:67], s[8:9], v[66:67]
	v_fmac_f32_e32 v77, v38, v74
	v_fmac_f32_e32 v78, v39, v75
	v_fmac_f32_e32 v77, v40, v66
	v_fmac_f32_e32 v78, v41, v67
	v_add_f32_e32 v48, v77, v78
	ds_bpermute_b32 v49, v55, v48
	s_and_saveexec_b64 s[34:35], vcc
	s_cbranch_execz .LBB211_8
; %bb.10:                               ;   in Loop: Header=BB211_9 Depth=1
	v_add_u32_e32 v59, s37, v56
	v_cvt_f32_i32_e32 v59, v59
	s_waitcnt lgkmcnt(0)
	v_add_f32_e32 v48, v48, v49
	v_cmp_gt_i32_e64 s[0:1], s17, v56
	v_max_f32_e32 v49, v54, v54
	v_mul_f32_e32 v59, s28, v59
	v_cndmask_b32_e64 v59, 0, v59, s[2:3]
	v_fmac_f32_e32 v59, s29, v48
	v_cndmask_b32_e64 v48, 0, v59, s[0:1]
	ds_write_b32 v57, v48
	v_max_f32_e32 v48, v49, v59
	v_cndmask_b32_e64 v54, v54, v48, s[0:1]
	s_branch .LBB211_8
.LBB211_11:
	s_or_b64 exec, exec, s[14:15]
.LBB211_12:
	s_or_b64 exec, exec, s[30:31]
	v_xor_b32_e32 v2, 32, v52
	v_cmp_lt_i32_e32 vcc, v2, v53
	v_xor_b32_e32 v5, 16, v52
	v_max_f32_e32 v4, v54, v54
	v_cndmask_b32_e32 v2, v52, v2, vcc
	v_lshlrev_b32_e32 v2, 2, v2
	ds_bpermute_b32 v3, v2, v54
	v_cmp_lt_i32_e32 vcc, v5, v53
	v_xor_b32_e32 v6, 8, v52
	v_xor_b32_e32 v7, 4, v52
	v_and_b32_e32 v60, 63, v0
	s_waitcnt lgkmcnt(0)
	v_max_f32_e32 v3, v3, v3
	v_max_f32_e32 v4, v4, v3
	v_cndmask_b32_e32 v3, v52, v5, vcc
	v_lshlrev_b32_e32 v3, 2, v3
	ds_bpermute_b32 v5, v3, v4
	v_cmp_lt_i32_e32 vcc, v6, v53
	s_waitcnt lgkmcnt(0)
	v_max_f32_e32 v5, v5, v5
	v_max_f32_e32 v5, v4, v5
	v_cndmask_b32_e32 v4, v52, v6, vcc
	v_lshlrev_b32_e32 v4, 2, v4
	ds_bpermute_b32 v6, v4, v5
	v_cmp_lt_i32_e32 vcc, v7, v53
	s_waitcnt lgkmcnt(0)
	v_max_f32_e32 v6, v6, v6
	v_max_f32_e32 v5, v5, v6
	v_cndmask_b32_e32 v6, v52, v7, vcc
	v_lshlrev_b32_e32 v61, 2, v6
	ds_bpermute_b32 v6, v61, v5
	v_xor_b32_e32 v7, 2, v52
	v_cmp_lt_i32_e32 vcc, v7, v53
	s_waitcnt lgkmcnt(0)
	v_max_f32_e32 v6, v6, v6
	v_max_f32_e32 v6, v5, v6
	v_cndmask_b32_e32 v5, v52, v7, vcc
	v_lshlrev_b32_e32 v62, 2, v5
	ds_bpermute_b32 v7, v62, v6
	v_cmp_eq_u32_e32 vcc, 0, v60
	v_lshlrev_b32_e32 v5, 2, v1
	s_and_saveexec_b64 s[0:1], vcc
	s_cbranch_execz .LBB211_14
; %bb.13:
	s_waitcnt lgkmcnt(0)
	v_max_f32_e32 v7, v7, v7
	v_max_f32_e32 v6, v6, v6
	;; [unrolled: 1-line block ×3, first 2 shown]
	ds_write_b32 v5, v6 offset:320
.LBB211_14:
	s_or_b64 exec, exec, s[0:1]
	v_cmp_gt_u32_e64 s[0:1], 2, v60
	s_waitcnt lgkmcnt(0)
	v_mov_b32_e32 v7, 0xff7fffff
	v_lshlrev_b32_e32 v6, 2, v60
	s_barrier
	s_and_saveexec_b64 s[2:3], s[0:1]
	s_cbranch_execz .LBB211_16
; %bb.15:
	ds_read_b32 v7, v6 offset:320
.LBB211_16:
	s_or_b64 exec, exec, s[2:3]
	v_xor_b32_e32 v8, 1, v52
	v_cmp_lt_i32_e64 s[2:3], v8, v53
	v_lshlrev_b32_e32 v9, 2, v52
	s_nop 0
	v_cndmask_b32_e64 v8, v52, v8, s[2:3]
	v_lshlrev_b32_e32 v63, 2, v8
	s_waitcnt lgkmcnt(0)
	ds_bpermute_b32 v8, v63, v7
	v_max_f32_e32 v7, v7, v7
	s_lshl_b32 s2, s19, 5
	s_min_i32 s30, s2, s17
	v_cmp_gt_i32_e64 s[2:3], s30, v0
	s_waitcnt lgkmcnt(0)
	v_max_f32_e32 v8, v8, v8
	v_max_f32_e32 v8, v7, v8
	v_and_b32_e32 v7, 0xffffff00, v9
	ds_bpermute_b32 v9, v7, v8
	v_mov_b32_e32 v8, 0
	s_and_saveexec_b64 s[14:15], s[2:3]
	s_cbranch_execz .LBB211_20
; %bb.17:
	v_mov_b32_e32 v8, 0x150
	v_lshl_add_u32 v10, v0, 2, v8
	s_mov_b64 s[28:29], 0
	v_mov_b32_e32 v8, 0
	v_mov_b32_e32 v11, v0
.LBB211_18:                             ; =>This Inner Loop Header: Depth=1
	ds_read_b32 v12, v10
	v_add_u32_e32 v11, 0x80, v11
	v_cmp_le_i32_e64 s[8:9], s30, v11
	s_or_b64 s[28:29], s[8:9], s[28:29]
	s_waitcnt lgkmcnt(0)
	v_sub_f32_e32 v12, v12, v9
	v_mul_f32_e32 v12, 0x3fb8aa3b, v12
	v_exp_f32_e32 v12, v12
	ds_write_b32 v10, v12
	v_add_f32_e32 v8, v8, v12
	v_add_u32_e32 v10, 0x200, v10
	s_andn2_b64 exec, exec, s[28:29]
	s_cbranch_execnz .LBB211_18
; %bb.19:
	s_or_b64 exec, exec, s[28:29]
.LBB211_20:
	s_or_b64 exec, exec, s[14:15]
	ds_bpermute_b32 v2, v2, v8
	s_waitcnt lgkmcnt(0)
	v_add_f32_e32 v2, v8, v2
	ds_bpermute_b32 v3, v3, v2
	s_waitcnt lgkmcnt(0)
	v_add_f32_e32 v2, v2, v3
	;; [unrolled: 3-line block ×6, first 2 shown]
	s_and_saveexec_b64 s[8:9], vcc
	s_cbranch_execz .LBB211_22
; %bb.21:
	ds_write_b32 v5, v2 offset:328
.LBB211_22:
	s_or_b64 exec, exec, s[8:9]
	s_waitcnt lgkmcnt(0)
	s_barrier
	s_and_saveexec_b64 s[8:9], s[0:1]
	s_cbranch_execz .LBB211_24
; %bb.23:
	ds_read_b32 v2, v6 offset:328
.LBB211_24:
	s_or_b64 exec, exec, s[8:9]
	s_waitcnt lgkmcnt(0)
	ds_bpermute_b32 v3, v63, v2
	s_waitcnt lgkmcnt(0)
	v_add_f32_e32 v2, v2, v3
	ds_bpermute_b32 v2, v7, v2
	s_and_saveexec_b64 s[0:1], s[2:3]
	s_cbranch_execz .LBB211_37
; %bb.25:
	s_waitcnt lgkmcnt(0)
	v_add_f32_e32 v2, 0x358637bd, v2
	v_div_scale_f32 v3, s[2:3], v2, v2, 1.0
	v_rcp_f32_e32 v4, v3
	v_div_scale_f32 v5, vcc, 1.0, v2, 1.0
	s_movk_i32 s2, 0x7f
	v_fma_f32 v6, -v3, v4, 1.0
	v_fmac_f32_e32 v4, v6, v4
	v_mul_f32_e32 v6, v5, v4
	v_fma_f32 v7, -v3, v6, v5
	v_fmac_f32_e32 v6, v7, v4
	v_fma_f32 v3, -v3, v6, v5
	v_div_fmas_f32 v3, v3, v4, v6
	v_xad_u32 v4, v0, -1, s30
	v_div_fixup_f32 v2, v3, v2, 1.0
	v_cmp_lt_u32_e32 vcc, s2, v4
	s_mov_b64 s[8:9], -1
	v_mov_b32_e32 v3, v0
	s_and_saveexec_b64 s[2:3], vcc
	s_cbranch_execz .LBB211_34
; %bb.26:
	v_lshrrev_b32_e32 v4, 7, v4
	v_add_u32_e32 v6, -1, v4
	v_lshrrev_b32_e32 v5, 1, v6
	v_mov_b32_e32 v3, v2
	v_add_u32_e32 v5, 1, v5
	v_cmp_lt_u32_e32 vcc, 13, v6
	v_mov_b32_e32 v8, 0
	s_and_saveexec_b64 s[8:9], vcc
	s_cbranch_execz .LBB211_30
; %bb.27:
	v_mov_b32_e32 v7, 0x150
	v_and_b32_e32 v6, -8, v5
	v_lshl_add_u32 v7, v0, 2, v7
	s_mov_b32 s28, 0
	s_mov_b64 s[14:15], 0
.LBB211_28:                             ; =>This Inner Loop Header: Depth=1
	ds_read2st64_b32 v[8:9], v7 offset1:2
	ds_read2st64_b32 v[10:11], v7 offset0:4 offset1:6
	ds_read2st64_b32 v[12:13], v7 offset0:8 offset1:10
	;; [unrolled: 1-line block ×3, first 2 shown]
	v_add_u32_e32 v6, -8, v6
	s_waitcnt lgkmcnt(3)
	v_pk_mul_f32 v[8:9], v[2:3], v[8:9]
	s_waitcnt lgkmcnt(2)
	v_pk_mul_f32 v[10:11], v[2:3], v[10:11]
	ds_write2st64_b32 v7, v8, v9 offset1:2
	ds_write2st64_b32 v7, v10, v11 offset0:4 offset1:6
	ds_read2st64_b32 v[10:11], v7 offset0:16 offset1:18
	s_waitcnt lgkmcnt(4)
	v_pk_mul_f32 v[8:9], v[2:3], v[12:13]
	ds_write2st64_b32 v7, v8, v9 offset0:8 offset1:10
	s_waitcnt lgkmcnt(4)
	v_pk_mul_f32 v[8:9], v[2:3], v[14:15]
	ds_write2st64_b32 v7, v8, v9 offset0:12 offset1:14
	ds_read2st64_b32 v[8:9], v7 offset0:20 offset1:22
	s_waitcnt lgkmcnt(3)
	v_pk_mul_f32 v[10:11], v[2:3], v[10:11]
	ds_read2st64_b32 v[12:13], v7 offset0:24 offset1:26
	ds_write2st64_b32 v7, v10, v11 offset0:16 offset1:18
	ds_read2st64_b32 v[10:11], v7 offset0:28 offset1:30
	s_waitcnt lgkmcnt(3)
	v_pk_mul_f32 v[8:9], v[2:3], v[8:9]
	ds_write2st64_b32 v7, v8, v9 offset0:20 offset1:22
	s_waitcnt lgkmcnt(3)
	v_pk_mul_f32 v[8:9], v[2:3], v[12:13]
	ds_write2st64_b32 v7, v8, v9 offset0:24 offset1:26
	s_waitcnt lgkmcnt(2)
	v_pk_mul_f32 v[8:9], v[2:3], v[10:11]
	s_add_i32 s28, s28, 16
	v_cmp_eq_u32_e32 vcc, 0, v6
	ds_write2st64_b32 v7, v8, v9 offset0:28 offset1:30
	v_add_u32_e32 v7, 0x2000, v7
	s_or_b64 s[14:15], vcc, s[14:15]
	v_mov_b32_e32 v8, s28
	s_andn2_b64 exec, exec, s[14:15]
	s_cbranch_execnz .LBB211_28
; %bb.29:
	s_or_b64 exec, exec, s[14:15]
.LBB211_30:
	s_or_b64 exec, exec, s[8:9]
	v_and_b32_e32 v5, 7, v5
	v_cmp_ne_u32_e32 vcc, 0, v5
	s_and_saveexec_b64 s[8:9], vcc
	s_cbranch_execz .LBB211_33
; %bb.31:
	v_lshlrev_b32_e32 v6, 9, v8
	s_movk_i32 s14, 0x150
	v_add3_u32 v6, v6, v50, s14
	s_mov_b64 s[14:15], 0
.LBB211_32:                             ; =>This Inner Loop Header: Depth=1
	ds_read2st64_b32 v[8:9], v6 offset1:2
	v_add_u32_e32 v5, -1, v5
	v_cmp_eq_u32_e32 vcc, 0, v5
	s_or_b64 s[14:15], vcc, s[14:15]
	s_waitcnt lgkmcnt(0)
	v_pk_mul_f32 v[8:9], v[2:3], v[8:9]
	ds_write2st64_b32 v6, v8, v9 offset1:2
	v_add_u32_e32 v6, 0x400, v6
	s_andn2_b64 exec, exec, s[14:15]
	s_cbranch_execnz .LBB211_32
.LBB211_33:
	s_or_b64 exec, exec, s[8:9]
	v_add_u32_e32 v4, 1, v4
	v_and_b32_e32 v5, 0x3fffffe, v4
	v_cmp_ne_u32_e32 vcc, v4, v5
	v_lshl_add_u32 v3, v5, 7, v0
	s_orn2_b64 s[8:9], vcc, exec
.LBB211_34:
	s_or_b64 exec, exec, s[2:3]
	s_and_b64 exec, exec, s[8:9]
	s_cbranch_execz .LBB211_37
; %bb.35:
	v_mov_b32_e32 v4, 0x150
	v_lshl_add_u32 v4, v3, 2, v4
	s_mov_b64 s[2:3], 0
.LBB211_36:                             ; =>This Inner Loop Header: Depth=1
	ds_read_b32 v5, v4
	v_add_u32_e32 v3, 0x80, v3
	v_cmp_le_i32_e32 vcc, s30, v3
	s_or_b64 s[2:3], vcc, s[2:3]
	s_waitcnt lgkmcnt(0)
	v_mul_f32_e32 v5, v2, v5
	ds_write_b32 v4, v5
	v_add_u32_e32 v4, 0x200, v4
	s_andn2_b64 exec, exec, s[2:3]
	s_cbranch_execnz .LBB211_36
.LBB211_37:
	s_or_b64 exec, exec, s[0:1]
	v_mov_b32_e32 v7, 0
	v_and_b32_e32 v64, 7, v0
	v_mov_b32_e32 v6, 0
	v_mov_b32_e32 v9, 0
	;; [unrolled: 1-line block ×9, first 2 shown]
	s_waitcnt lgkmcnt(0)
	s_barrier
	s_and_saveexec_b64 s[2:3], s[6:7]
	s_cbranch_execz .LBB211_61
; %bb.38:
	s_ashr_i32 s1, s33, 31
	s_load_dword s6, s[10:11], 0x0
	s_add_u32 s0, s26, s33
	s_addc_u32 s1, s27, s1
	v_and_b32_e32 v6, 0xfc, v50
	v_mov_b32_e32 v7, 0
	v_and_b32_e32 v2, 28, v50
	s_add_i32 s14, s19, -1
	v_lshl_add_u64 v[16:17], s[0:1], 0, v[6:7]
	v_lshlrev_b32_e32 v3, 5, v1
	s_lshl_b64 s[0:1], s[24:25], 2
	v_or3_b32 v65, v3, v2, 3
	v_lshlrev_b32_e32 v2, 4, v64
	s_add_u32 s0, s22, s0
	v_lshl_or_b32 v2, v1, 7, v2
	v_and_b32_e32 v6, 60, v51
	s_addc_u32 s1, s23, s1
	s_waitcnt lgkmcnt(0)
	s_mov_b32 s7, s6
	v_add_u32_e32 v66, 0x150, v2
	v_lshl_add_u64 v[18:19], s[0:1], 0, v[6:7]
	s_mov_b64 s[8:9], 0
	v_mov_b32_e32 v6, v7
	v_mov_b32_e32 v9, v7
	;; [unrolled: 1-line block ×9, first 2 shown]
	s_branch .LBB211_40
.LBB211_39:                             ;   in Loop: Header=BB211_40 Depth=1
	s_or_b64 exec, exec, s[0:1]
	s_waitcnt lgkmcnt(0)
	v_mul_f32_e32 v59, v3, v59
	v_mul_f32_e32 v53, v3, v53
	;; [unrolled: 1-line block ×10, first 2 shown]
	v_fmac_f32_e32 v59, v2, v58
	v_fmac_f32_e32 v53, v2, v52
	;; [unrolled: 1-line block ×20, first 2 shown]
	v_add_u32_e32 v1, 2, v1
	v_fmac_f32_e32 v59, v5, v57
	v_fmac_f32_e32 v53, v5, v51
	;; [unrolled: 1-line block ×10, first 2 shown]
	v_cmp_le_i32_e32 vcc, s19, v1
	v_add_f32_e32 v6, v6, v59
	v_add_f32_e32 v9, v9, v53
	;; [unrolled: 1-line block ×10, first 2 shown]
	v_add_u32_e32 v65, 64, v65
	v_add_u32_e32 v66, 0x100, v66
	s_or_b64 s[8:9], vcc, s[8:9]
	v_lshl_add_u64 v[18:19], v[18:19], 0, 8
	s_andn2_b64 exec, exec, s[8:9]
	s_cbranch_execz .LBB211_60
.LBB211_40:                             ; =>This Inner Loop Header: Depth=1
	global_load_dword v2, v[18:19], off
	v_add_u32_e32 v67, -3, v65
	v_cmp_eq_u32_e32 vcc, s14, v1
	v_add_u32_e32 v68, -2, v65
	v_add_u32_e32 v69, -1, v65
	s_waitcnt vmcnt(0)
	v_mad_i64_i32 v[28:29], s[0:1], v2, s13, v[16:17]
	global_load_dword v20, v[28:29], off
	ds_read_b128 v[2:5], v66
	s_waitcnt vmcnt(0)
	v_and_b32_e32 v21, 0xffff, v20
	v_lshrrev_b32_e32 v22, 16, v20
	v_cvt_pk_f32_fp8_e32 v[20:21], v21
	v_cvt_pk_f32_fp8_e32 v[24:25], v22
	v_pk_mul_f32 v[22:23], s[6:7], v[20:21]
	v_pk_mul_f32 v[20:21], s[6:7], v[24:25]
	s_and_saveexec_b64 s[10:11], vcc
; %bb.41:                               ;   in Loop: Header=BB211_40 Depth=1
	v_cmp_gt_i32_e64 s[0:1], s17, v67
	s_nop 1
	v_cndmask_b32_e64 v22, 0, v22, s[0:1]
	v_cmp_gt_i32_e64 s[0:1], s17, v68
	s_nop 1
	v_cndmask_b32_e64 v23, 0, v23, s[0:1]
	v_cmp_gt_i32_e64 s[0:1], s17, v69
	s_nop 1
	v_cndmask_b32_e64 v20, 0, v20, s[0:1]
	v_cmp_gt_i32_e64 s[0:1], s17, v65
	s_nop 1
	v_cndmask_b32_e64 v21, 0, v21, s[0:1]
; %bb.42:                               ;   in Loop: Header=BB211_40 Depth=1
	s_or_b64 exec, exec, s[10:11]
	global_load_dword v24, v[28:29], off offset:256
	s_waitcnt vmcnt(0)
	v_and_b32_e32 v25, 0xffff, v24
	v_lshrrev_b32_e32 v26, 16, v24
	v_cvt_pk_f32_fp8_e32 v[24:25], v25
	v_cvt_pk_f32_fp8_e32 v[30:31], v26
	v_pk_mul_f32 v[26:27], s[6:7], v[24:25]
	v_pk_mul_f32 v[24:25], s[6:7], v[30:31]
	s_and_saveexec_b64 s[10:11], vcc
; %bb.43:                               ;   in Loop: Header=BB211_40 Depth=1
	v_cmp_gt_i32_e64 s[0:1], s17, v67
	s_nop 1
	v_cndmask_b32_e64 v26, 0, v26, s[0:1]
	v_cmp_gt_i32_e64 s[0:1], s17, v68
	s_nop 1
	v_cndmask_b32_e64 v27, 0, v27, s[0:1]
	v_cmp_gt_i32_e64 s[0:1], s17, v69
	s_nop 1
	v_cndmask_b32_e64 v24, 0, v24, s[0:1]
	v_cmp_gt_i32_e64 s[0:1], s17, v65
	s_nop 1
	v_cndmask_b32_e64 v25, 0, v25, s[0:1]
; %bb.44:                               ;   in Loop: Header=BB211_40 Depth=1
	s_or_b64 exec, exec, s[10:11]
	global_load_dword v30, v[28:29], off offset:512
	;; [unrolled: 24-line block ×9, first 2 shown]
	s_waitcnt vmcnt(0)
	v_and_b32_e32 v29, 0xffff, v28
	v_lshrrev_b32_e32 v54, 16, v28
	v_cvt_pk_f32_fp8_e32 v[28:29], v29
	v_cvt_pk_f32_fp8_e32 v[70:71], v54
	v_pk_mul_f32 v[54:55], s[6:7], v[28:29]
	v_pk_mul_f32 v[28:29], s[6:7], v[70:71]
	s_and_saveexec_b64 s[0:1], vcc
	s_cbranch_execz .LBB211_39
; %bb.59:                               ;   in Loop: Header=BB211_40 Depth=1
	v_cmp_gt_i32_e32 vcc, s17, v67
	s_nop 1
	v_cndmask_b32_e32 v54, 0, v54, vcc
	v_cmp_gt_i32_e32 vcc, s17, v68
	s_nop 1
	v_cndmask_b32_e32 v55, 0, v55, vcc
	;; [unrolled: 3-line block ×4, first 2 shown]
	s_branch .LBB211_39
.LBB211_60:
	s_or_b64 exec, exec, s[8:9]
.LBB211_61:
	s_or_b64 exec, exec, s[2:3]
	ds_bpermute_b32 v2, v61, v14
	ds_bpermute_b32 v3, v61, v15
	;; [unrolled: 1-line block ×6, first 2 shown]
	s_waitcnt lgkmcnt(4)
	v_pk_add_f32 v[2:3], v[14:15], v[2:3]
	ds_bpermute_b32 v14, v62, v2
	ds_bpermute_b32 v15, v62, v3
	s_waitcnt lgkmcnt(4)
	v_pk_add_f32 v[4:5], v[12:13], v[4:5]
	s_waitcnt lgkmcnt(2)
	v_pk_add_f32 v[10:11], v[10:11], v[16:17]
	ds_bpermute_b32 v18, v61, v8
	ds_bpermute_b32 v19, v61, v9
	s_waitcnt lgkmcnt(2)
	v_pk_add_f32 v[2:3], v[2:3], v[14:15]
	ds_bpermute_b32 v14, v62, v4
	ds_bpermute_b32 v15, v62, v5
	;; [unrolled: 1-line block ×6, first 2 shown]
	s_waitcnt lgkmcnt(6)
	v_pk_add_f32 v[8:9], v[8:9], v[18:19]
	s_waitcnt lgkmcnt(4)
	v_pk_add_f32 v[4:5], v[4:5], v[14:15]
	;; [unrolled: 2-line block ×3, first 2 shown]
	ds_bpermute_b32 v16, v62, v8
	ds_bpermute_b32 v17, v62, v9
	s_waitcnt lgkmcnt(2)
	v_pk_add_f32 v[20:21], v[6:7], v[20:21]
	ds_bpermute_b32 v14, v63, v4
	ds_bpermute_b32 v15, v63, v5
	;; [unrolled: 1-line block ×8, first 2 shown]
	s_waitcnt lgkmcnt(8)
	v_pk_add_f32 v[16:17], v[8:9], v[16:17]
	ds_bpermute_b32 v22, v63, v16
	ds_bpermute_b32 v23, v63, v17
	s_waitcnt lgkmcnt(8)
	v_pk_add_f32 v[6:7], v[4:5], v[14:15]
	s_waitcnt lgkmcnt(6)
	v_pk_add_f32 v[4:5], v[10:11], v[18:19]
	;; [unrolled: 2-line block ×4, first 2 shown]
	ds_bpermute_b32 v12, v63, v10
	ds_bpermute_b32 v13, v63, v11
	v_and_b32_e32 v1, 0x3c7, v0
	s_waitcnt lgkmcnt(2)
	v_pk_add_f32 v[2:3], v[16:17], v[22:23]
	v_cmp_ne_u32_e32 vcc, 64, v1
	s_waitcnt lgkmcnt(0)
	s_barrier
	s_and_saveexec_b64 s[0:1], vcc
	s_xor_b64 s[0:1], exec, s[0:1]
; %bb.62:
                                        ; implicit-def: $vgpr60
; %bb.63:
	s_or_saveexec_b64 s[0:1], s[0:1]
	v_pk_add_f32 v[10:11], v[10:11], v[12:13]
	s_xor_b64 exec, exec, s[0:1]
	s_cbranch_execz .LBB211_65
; %bb.64:
	v_lshrrev_b32_e32 v12, 1, v60
	v_add_u32_e32 v12, 0x150, v12
	ds_write2_b32 v12, v8, v9 offset1:8
	ds_write2_b32 v12, v6, v7 offset0:16 offset1:24
	ds_write2_b32 v12, v4, v5 offset0:32 offset1:40
	;; [unrolled: 1-line block ×4, first 2 shown]
.LBB211_65:
	s_or_b64 exec, exec, s[0:1]
	v_cmp_gt_u32_e32 vcc, 64, v0
	s_waitcnt lgkmcnt(0)
	s_barrier
	s_and_saveexec_b64 s[0:1], vcc
	s_cbranch_execz .LBB211_78
; %bb.66:
	v_cmp_eq_u32_e32 vcc, 0, v64
	v_lshrrev_b32_e32 v12, 3, v0
	s_and_saveexec_b64 s[2:3], vcc
	s_cbranch_execnz .LBB211_81
; %bb.67:
	s_or_b64 exec, exec, s[2:3]
	s_and_saveexec_b64 s[2:3], vcc
	s_cbranch_execnz .LBB211_82
.LBB211_68:
	s_or_b64 exec, exec, s[2:3]
	s_and_saveexec_b64 s[2:3], vcc
	s_cbranch_execnz .LBB211_83
.LBB211_69:
	s_or_b64 exec, exec, s[2:3]
	s_and_saveexec_b64 s[2:3], vcc
	s_cbranch_execnz .LBB211_84
.LBB211_70:
	s_or_b64 exec, exec, s[2:3]
	s_and_saveexec_b64 s[2:3], vcc
	s_cbranch_execnz .LBB211_85
.LBB211_71:
	s_or_b64 exec, exec, s[2:3]
	s_and_saveexec_b64 s[2:3], vcc
	s_cbranch_execnz .LBB211_86
.LBB211_72:
	s_or_b64 exec, exec, s[2:3]
	s_and_saveexec_b64 s[2:3], vcc
	s_cbranch_execnz .LBB211_87
.LBB211_73:
	s_or_b64 exec, exec, s[2:3]
	s_and_saveexec_b64 s[2:3], vcc
	s_cbranch_execnz .LBB211_88
.LBB211_74:
	s_or_b64 exec, exec, s[2:3]
	s_and_saveexec_b64 s[2:3], vcc
	s_cbranch_execnz .LBB211_89
.LBB211_75:
	s_or_b64 exec, exec, s[2:3]
	s_and_saveexec_b64 s[2:3], vcc
	s_cbranch_execz .LBB211_77
.LBB211_76:
	v_mov_b32_e32 v13, 0x150
	v_lshl_add_u32 v12, v12, 2, v13
	ds_read_b32 v12, v12 offset:288
	s_waitcnt lgkmcnt(0)
	v_add_f32_e32 v11, v11, v12
.LBB211_77:
	s_or_b64 exec, exec, s[2:3]
.LBB211_78:
	s_or_b64 exec, exec, s[0:1]
	v_cmp_eq_u32_e32 vcc, 0, v1
	s_barrier
	s_and_saveexec_b64 s[0:1], vcc
	s_cbranch_execz .LBB211_80
; %bb.79:
	s_mul_i32 s0, s16, s12
	s_mul_i32 s0, s0, s5
	s_mulk_i32 s0, 0x50
	s_ashr_i32 s1, s0, 31
	s_lshl_b64 s[0:1], s[0:1], 2
	s_add_u32 s2, s20, s0
	s_mul_i32 s0, s12, s18
	s_addc_u32 s3, s21, s1
	s_ashr_i32 s1, s0, 31
	s_lshl_b64 s[0:1], s[0:1], 2
	s_add_u32 s2, s2, s0
	s_mul_i32 s0, s4, 0x50
	s_addc_u32 s3, s3, s1
	s_ashr_i32 s1, s0, 31
	s_lshl_b64 s[0:1], s[0:1], 2
	s_add_u32 s0, s2, s0
	s_addc_u32 s1, s3, s1
	v_lshrrev_b32_e32 v0, 1, v0
	global_store_dword v0, v8, s[0:1]
	global_store_dword v0, v9, s[0:1] offset:32
	global_store_dword v0, v6, s[0:1] offset:64
	;; [unrolled: 1-line block ×9, first 2 shown]
.LBB211_80:
	s_endpgm
.LBB211_81:
	v_mov_b32_e32 v13, 0x150
	v_lshl_add_u32 v13, v12, 2, v13
	ds_read_b32 v13, v13
	s_waitcnt lgkmcnt(0)
	v_add_f32_e32 v8, v8, v13
	s_or_b64 exec, exec, s[2:3]
	s_and_saveexec_b64 s[2:3], vcc
	s_cbranch_execz .LBB211_68
.LBB211_82:
	v_mov_b32_e32 v13, 0x150
	v_lshl_add_u32 v13, v12, 2, v13
	ds_read_b32 v13, v13 offset:32
	s_waitcnt lgkmcnt(0)
	v_add_f32_e32 v9, v9, v13
	s_or_b64 exec, exec, s[2:3]
	s_and_saveexec_b64 s[2:3], vcc
	s_cbranch_execz .LBB211_69
.LBB211_83:
	v_mov_b32_e32 v13, 0x150
	v_lshl_add_u32 v13, v12, 2, v13
	ds_read_b32 v13, v13 offset:64
	s_waitcnt lgkmcnt(0)
	v_add_f32_e32 v6, v6, v13
	s_or_b64 exec, exec, s[2:3]
	s_and_saveexec_b64 s[2:3], vcc
	s_cbranch_execz .LBB211_70
.LBB211_84:
	v_mov_b32_e32 v13, 0x150
	v_lshl_add_u32 v13, v12, 2, v13
	ds_read_b32 v13, v13 offset:96
	s_waitcnt lgkmcnt(0)
	v_add_f32_e32 v7, v7, v13
	s_or_b64 exec, exec, s[2:3]
	s_and_saveexec_b64 s[2:3], vcc
	s_cbranch_execz .LBB211_71
.LBB211_85:
	v_mov_b32_e32 v13, 0x150
	v_lshl_add_u32 v13, v12, 2, v13
	ds_read_b32 v13, v13 offset:128
	s_waitcnt lgkmcnt(0)
	v_add_f32_e32 v4, v4, v13
	s_or_b64 exec, exec, s[2:3]
	s_and_saveexec_b64 s[2:3], vcc
	s_cbranch_execz .LBB211_72
.LBB211_86:
	v_mov_b32_e32 v13, 0x150
	v_lshl_add_u32 v13, v12, 2, v13
	ds_read_b32 v13, v13 offset:160
	s_waitcnt lgkmcnt(0)
	v_add_f32_e32 v5, v5, v13
	s_or_b64 exec, exec, s[2:3]
	s_and_saveexec_b64 s[2:3], vcc
	s_cbranch_execz .LBB211_73
.LBB211_87:
	v_mov_b32_e32 v13, 0x150
	v_lshl_add_u32 v13, v12, 2, v13
	ds_read_b32 v13, v13 offset:192
	s_waitcnt lgkmcnt(0)
	v_add_f32_e32 v2, v2, v13
	s_or_b64 exec, exec, s[2:3]
	s_and_saveexec_b64 s[2:3], vcc
	s_cbranch_execz .LBB211_74
.LBB211_88:
	v_mov_b32_e32 v13, 0x150
	v_lshl_add_u32 v13, v12, 2, v13
	ds_read_b32 v13, v13 offset:224
	s_waitcnt lgkmcnt(0)
	v_add_f32_e32 v3, v3, v13
	s_or_b64 exec, exec, s[2:3]
	s_and_saveexec_b64 s[2:3], vcc
	s_cbranch_execz .LBB211_75
.LBB211_89:
	v_mov_b32_e32 v13, 0x150
	v_lshl_add_u32 v13, v12, 2, v13
	ds_read_b32 v13, v13 offset:256
	s_waitcnt lgkmcnt(0)
	v_add_f32_e32 v10, v10, v13
	s_or_b64 exec, exec, s[2:3]
	s_and_saveexec_b64 s[2:3], vcc
	s_cbranch_execnz .LBB211_76
	s_branch .LBB211_77
	.section	.rodata,"a",@progbits
	.p2align	6, 0x0
	.amdhsa_kernel _ZN4vllm25paged_attention_v1_kernelIfhLi80ELi32ELi128ELNS_18Fp8KVCacheDataTypeE1ELb0EEEvPT_PKS2_PKT0_S8_ifPKiSA_iPKfiiiSC_SC_iiiii
		.amdhsa_group_segment_fixed_size 336
		.amdhsa_private_segment_fixed_size 0
		.amdhsa_kernarg_size 384
		.amdhsa_user_sgpr_count 2
		.amdhsa_user_sgpr_dispatch_ptr 0
		.amdhsa_user_sgpr_queue_ptr 0
		.amdhsa_user_sgpr_kernarg_segment_ptr 1
		.amdhsa_user_sgpr_dispatch_id 0
		.amdhsa_user_sgpr_kernarg_preload_length 0
		.amdhsa_user_sgpr_kernarg_preload_offset 0
		.amdhsa_user_sgpr_private_segment_size 0
		.amdhsa_uses_dynamic_stack 0
		.amdhsa_enable_private_segment 0
		.amdhsa_system_sgpr_workgroup_id_x 1
		.amdhsa_system_sgpr_workgroup_id_y 1
		.amdhsa_system_sgpr_workgroup_id_z 1
		.amdhsa_system_sgpr_workgroup_info 0
		.amdhsa_system_vgpr_workitem_id 0
		.amdhsa_next_free_vgpr 83
		.amdhsa_next_free_sgpr 38
		.amdhsa_accum_offset 84
		.amdhsa_reserve_vcc 1
		.amdhsa_float_round_mode_32 0
		.amdhsa_float_round_mode_16_64 0
		.amdhsa_float_denorm_mode_32 3
		.amdhsa_float_denorm_mode_16_64 3
		.amdhsa_dx10_clamp 1
		.amdhsa_ieee_mode 1
		.amdhsa_fp16_overflow 0
		.amdhsa_tg_split 0
		.amdhsa_exception_fp_ieee_invalid_op 0
		.amdhsa_exception_fp_denorm_src 0
		.amdhsa_exception_fp_ieee_div_zero 0
		.amdhsa_exception_fp_ieee_overflow 0
		.amdhsa_exception_fp_ieee_underflow 0
		.amdhsa_exception_fp_ieee_inexact 0
		.amdhsa_exception_int_div_zero 0
	.end_amdhsa_kernel
	.section	.text._ZN4vllm25paged_attention_v1_kernelIfhLi80ELi32ELi128ELNS_18Fp8KVCacheDataTypeE1ELb0EEEvPT_PKS2_PKT0_S8_ifPKiSA_iPKfiiiSC_SC_iiiii,"axG",@progbits,_ZN4vllm25paged_attention_v1_kernelIfhLi80ELi32ELi128ELNS_18Fp8KVCacheDataTypeE1ELb0EEEvPT_PKS2_PKT0_S8_ifPKiSA_iPKfiiiSC_SC_iiiii,comdat
.Lfunc_end211:
	.size	_ZN4vllm25paged_attention_v1_kernelIfhLi80ELi32ELi128ELNS_18Fp8KVCacheDataTypeE1ELb0EEEvPT_PKS2_PKT0_S8_ifPKiSA_iPKfiiiSC_SC_iiiii, .Lfunc_end211-_ZN4vllm25paged_attention_v1_kernelIfhLi80ELi32ELi128ELNS_18Fp8KVCacheDataTypeE1ELb0EEEvPT_PKS2_PKT0_S8_ifPKiSA_iPKfiiiSC_SC_iiiii
                                        ; -- End function
	.section	.AMDGPU.csdata,"",@progbits
; Kernel info:
; codeLenInByte = 6168
; NumSgprs: 44
; NumVgprs: 83
; NumAgprs: 0
; TotalNumVgprs: 83
; ScratchSize: 0
; MemoryBound: 0
; FloatMode: 240
; IeeeMode: 1
; LDSByteSize: 336 bytes/workgroup (compile time only)
; SGPRBlocks: 5
; VGPRBlocks: 10
; NumSGPRsForWavesPerEU: 44
; NumVGPRsForWavesPerEU: 83
; AccumOffset: 84
; Occupancy: 5
; WaveLimiterHint : 1
; COMPUTE_PGM_RSRC2:SCRATCH_EN: 0
; COMPUTE_PGM_RSRC2:USER_SGPR: 2
; COMPUTE_PGM_RSRC2:TRAP_HANDLER: 0
; COMPUTE_PGM_RSRC2:TGID_X_EN: 1
; COMPUTE_PGM_RSRC2:TGID_Y_EN: 1
; COMPUTE_PGM_RSRC2:TGID_Z_EN: 1
; COMPUTE_PGM_RSRC2:TIDIG_COMP_CNT: 0
; COMPUTE_PGM_RSRC3_GFX90A:ACCUM_OFFSET: 20
; COMPUTE_PGM_RSRC3_GFX90A:TG_SPLIT: 0
	.section	.text._ZN4vllm25paged_attention_v1_kernelIfhLi96ELi32ELi128ELNS_18Fp8KVCacheDataTypeE1ELb0EEEvPT_PKS2_PKT0_S8_ifPKiSA_iPKfiiiSC_SC_iiiii,"axG",@progbits,_ZN4vllm25paged_attention_v1_kernelIfhLi96ELi32ELi128ELNS_18Fp8KVCacheDataTypeE1ELb0EEEvPT_PKS2_PKT0_S8_ifPKiSA_iPKfiiiSC_SC_iiiii,comdat
	.protected	_ZN4vllm25paged_attention_v1_kernelIfhLi96ELi32ELi128ELNS_18Fp8KVCacheDataTypeE1ELb0EEEvPT_PKS2_PKT0_S8_ifPKiSA_iPKfiiiSC_SC_iiiii ; -- Begin function _ZN4vllm25paged_attention_v1_kernelIfhLi96ELi32ELi128ELNS_18Fp8KVCacheDataTypeE1ELb0EEEvPT_PKS2_PKT0_S8_ifPKiSA_iPKfiiiSC_SC_iiiii
	.globl	_ZN4vllm25paged_attention_v1_kernelIfhLi96ELi32ELi128ELNS_18Fp8KVCacheDataTypeE1ELb0EEEvPT_PKS2_PKT0_S8_ifPKiSA_iPKfiiiSC_SC_iiiii
	.p2align	8
	.type	_ZN4vllm25paged_attention_v1_kernelIfhLi96ELi32ELi128ELNS_18Fp8KVCacheDataTypeE1ELb0EEEvPT_PKS2_PKT0_S8_ifPKiSA_iPKfiiiSC_SC_iiiii,@function
_ZN4vllm25paged_attention_v1_kernelIfhLi96ELi32ELi128ELNS_18Fp8KVCacheDataTypeE1ELb0EEEvPT_PKS2_PKT0_S8_ifPKiSA_iPKfiiiSC_SC_iiiii: ; @_ZN4vllm25paged_attention_v1_kernelIfhLi96ELi32ELi128ELNS_18Fp8KVCacheDataTypeE1ELb0EEEvPT_PKS2_PKT0_S8_ifPKiSA_iPKfiiiSC_SC_iiiii
; %bb.0:
	s_load_dword s5, s[0:1], 0x80
	s_load_dwordx2 s[6:7], s[0:1], 0x30
	s_load_dwordx2 s[28:29], s[0:1], 0x20
	s_mov_b32 s16, s3
	s_ashr_i32 s17, s3, 31
	s_lshl_b64 s[8:9], s[16:17], 2
	s_waitcnt lgkmcnt(0)
	s_add_u32 s6, s6, s8
	s_addc_u32 s7, s7, s9
	s_abs_i32 s3, s28
	v_cvt_f32_u32_e32 v1, s3
	s_sub_i32 s10, 0, s3
	s_abs_i32 s9, s5
	s_xor_b32 s8, s5, s28
	v_rcp_iflag_f32_e32 v1, v1
	s_ashr_i32 s8, s8, 31
	s_mov_b32 s28, 0
	v_mul_f32_e32 v1, 0x4f7ffffe, v1
	v_cvt_u32_f32_e32 v1, v1
	s_nop 0
	v_readfirstlane_b32 s11, v1
	s_mul_i32 s10, s10, s11
	s_mul_hi_u32 s10, s11, s10
	s_add_i32 s11, s11, s10
	s_mul_hi_u32 s10, s9, s11
	s_mul_i32 s11, s10, s3
	s_sub_i32 s9, s9, s11
	s_add_i32 s11, s10, 1
	s_sub_i32 s12, s9, s3
	s_cmp_ge_u32 s9, s3
	s_cselect_b32 s10, s11, s10
	s_cselect_b32 s9, s12, s9
	s_add_i32 s11, s10, 1
	s_cmp_ge_u32 s9, s3
	s_cselect_b32 s3, s11, s10
	s_xor_b32 s3, s3, s8
	s_sub_i32 s12, s3, s8
	s_abs_i32 s10, s12
	v_cvt_f32_u32_e32 v1, s10
	s_load_dwordx2 s[8:9], s[0:1], 0x40
	s_sub_i32 s3, 0, s10
	s_abs_i32 s11, s2
	v_rcp_iflag_f32_e32 v1, v1
	s_nop 0
	v_mul_f32_e32 v1, 0x4f7ffffe, v1
	v_cvt_u32_f32_e32 v1, v1
	s_nop 0
	v_readfirstlane_b32 s13, v1
	s_mul_i32 s3, s3, s13
	s_mul_hi_u32 s3, s13, s3
	s_add_i32 s13, s13, s3
	s_waitcnt lgkmcnt(0)
	s_cmp_eq_u64 s[8:9], 0
	s_mul_hi_u32 s20, s11, s13
	s_cbranch_scc1 .LBB212_2
; %bb.1:
	s_ashr_i32 s3, s2, 31
	s_lshl_b64 s[14:15], s[2:3], 2
	s_add_u32 s8, s8, s14
	s_addc_u32 s9, s9, s15
	s_load_dword s28, s[8:9], 0x0
.LBB212_2:
	s_load_dword s17, s[6:7], 0x0
	s_ashr_i32 s7, s12, 31
	s_load_dwordx4 s[12:15], s[0:1], 0x48
	s_ashr_i32 s6, s2, 31
	v_and_b32_e32 v42, 1, v0
	s_mul_i32 s18, s2, 0x60
	v_cmp_gt_u32_e32 vcc, 48, v0
	v_lshlrev_b32_e32 v58, 2, v0
	s_and_saveexec_b64 s[2:3], vcc
	s_cbranch_execz .LBB212_4
; %bb.3:
	s_load_dwordx2 s[8:9], s[0:1], 0x8
	s_waitcnt lgkmcnt(0)
	s_mul_i32 s22, s16, s12
	s_ashr_i32 s23, s22, 31
	s_lshl_b64 s[22:23], s[22:23], 2
	v_lshlrev_b32_e32 v1, 3, v0
	s_add_u32 s12, s8, s22
	s_addc_u32 s15, s9, s23
	s_ashr_i32 s19, s18, 31
	s_lshl_b64 s[8:9], s[18:19], 2
	s_add_u32 s8, s12, s8
	s_addc_u32 s9, s15, s9
	global_load_dwordx2 v[2:3], v1, s[8:9]
	v_and_b32_e32 v1, 0xff8, v58
	s_movk_i32 s8, 0xc0
	v_mad_u32_u24 v1, v42, s8, v1
	s_waitcnt vmcnt(0)
	ds_write_b64 v1, v[2:3]
.LBB212_4:
	s_or_b64 exec, exec, s[2:3]
	s_waitcnt lgkmcnt(0)
	s_add_i32 s3, s17, 31
	s_ashr_i32 s8, s3, 31
	s_lshr_b32 s8, s8, 27
	s_add_i32 s3, s3, s8
	s_ashr_i32 s19, s3, 5
	s_xor_b32 s3, s6, s7
	s_mul_i32 s6, s20, s10
	s_sub_i32 s6, s11, s6
	s_add_i32 s7, s20, 1
	s_sub_i32 s8, s6, s10
	s_load_dwordx2 s[22:23], s[0:1], 0x28
	s_load_dword s2, s[0:1], 0x38
	s_cmp_ge_u32 s6, s10
	s_cselect_b32 s7, s7, s20
	s_cselect_b32 s6, s8, s6
	s_add_i32 s8, s7, 1
	s_cmp_ge_u32 s6, s10
	s_cselect_b32 s6, s8, s7
	v_lshrrev_b32_e32 v1, 6, v0
	s_xor_b32 s6, s6, s3
	s_waitcnt lgkmcnt(0)
	s_mul_i32 s24, s16, s2
	s_sub_i32 s33, s6, s3
	s_ashr_i32 s25, s24, 31
	v_cmp_gt_i32_e64 s[6:7], s19, v1
	v_cmp_le_i32_e32 vcc, s19, v1
	v_mbcnt_lo_u32_b32 v43, -1, 0
	s_barrier
	s_waitcnt lgkmcnt(0)
                                        ; implicit-def: $sgpr15
                                        ; implicit-def: $vgpr60
                                        ; implicit-def: $vgpr61
	s_and_saveexec_b64 s[2:3], vcc
	s_xor_b64 s[2:3], exec, s[2:3]
; %bb.5:
	v_mbcnt_hi_u32_b32 v60, -1, v43
	v_and_b32_e32 v2, 64, v60
	v_add_u32_e32 v61, 64, v2
	s_mov_b32 s15, 0xff7fffff
                                        ; implicit-def: $vgpr42
                                        ; implicit-def: $vgpr43
; %bb.6:
	s_or_saveexec_b64 s[30:31], s[2:3]
	s_load_dwordx2 s[20:21], s[0:1], 0x0
	s_load_dwordx2 s[26:27], s[0:1], 0x18
	s_load_dword s12, s[0:1], 0x88
	s_load_dwordx4 s[8:11], s[0:1], 0x58
	v_mov_b32_e32 v62, s15
	s_mul_i32 s33, s33, s14
	v_lshrrev_b32_e32 v59, 4, v0
	s_xor_b64 exec, exec, s[30:31]
	s_cbranch_execz .LBB212_12
; %bb.7:
	s_load_dwordx2 s[0:1], s[0:1], 0x10
	v_mul_u32_u24_e32 v46, 0xc0, v42
	ds_read_b128 v[2:5], v46
	ds_read_b128 v[6:9], v46 offset:16
	ds_read_b128 v[10:13], v46 offset:32
	;; [unrolled: 1-line block ×9, first 2 shown]
	v_mbcnt_hi_u32_b32 v60, -1, v43
	s_ashr_i32 s2, s33, 31
	v_and_b32_e32 v45, 64, v60
	v_bfe_u32 v44, v0, 1, 5
	s_waitcnt lgkmcnt(0)
	s_add_u32 s0, s0, s33
	v_xor_b32_e32 v43, 1, v60
	v_add_u32_e32 v61, 64, v45
	v_lshlrev_b32_e32 v50, 4, v44
	s_addc_u32 s1, s1, s2
	v_mov_b32_e32 v51, 0
	v_cmp_lt_i32_e32 vcc, v43, v61
	v_lshl_add_u64 v[52:53], s[0:1], 0, v[50:51]
	v_lshlrev_b32_e32 v50, 1, v42
	v_cndmask_b32_e32 v43, v60, v43, vcc
	v_cmp_eq_u32_e32 vcc, 0, v42
	v_lshlrev_b32_e32 v42, 2, v44
	s_load_dword s8, s[8:9], 0x0
	v_lshl_or_b32 v42, v1, 7, v42
	v_lshlrev_b32_e32 v63, 2, v43
	v_lshl_or_b32 v64, v1, 5, v44
	v_add_u32_e32 v65, 0x190, v42
	ds_read_b128 v[42:45], v46 offset:160
	ds_read_b128 v[46:49], v46 offset:176
	s_sub_i32 s37, 1, s17
	s_lshl_b64 s[0:1], s[24:25], 2
	s_add_u32 s0, s22, s0
	v_and_b32_e32 v54, 60, v59
	v_mov_b32_e32 v55, v51
	s_addc_u32 s1, s23, s1
	s_mov_b32 s36, s13
	v_cmp_neq_f32_e64 s[2:3], s28, 0
	s_waitcnt lgkmcnt(0)
	s_mov_b32 s9, s8
	v_lshl_add_u64 v[54:55], s[0:1], 0, v[54:55]
	s_mov_b64 s[14:15], 0
	v_mov_b32_e32 v62, 0xff7fffff
	v_mov_b32_e32 v66, v1
	s_branch .LBB212_9
.LBB212_8:                              ;   in Loop: Header=BB212_9 Depth=1
	s_or_b64 exec, exec, s[34:35]
	v_add_u32_e32 v66, 2, v66
	v_cmp_le_i32_e64 s[0:1], s19, v66
	v_add_u32_e32 v64, 64, v64
	v_add_u32_e32 v65, 0x100, v65
	s_or_b64 s[14:15], s[0:1], s[14:15]
	v_lshl_add_u64 v[54:55], v[54:55], 0, 8
	s_andn2_b64 exec, exec, s[14:15]
	s_cbranch_execz .LBB212_11
.LBB212_9:                              ; =>This Inner Loop Header: Depth=1
	global_load_dword v56, v[54:55], off
	s_waitcnt vmcnt(0) lgkmcnt(0)
	v_mad_i64_i32 v[56:57], s[0:1], v56, s36, v[52:53]
	v_lshl_add_u64 v[56:57], v[56:57], 0, v[50:51]
	global_load_ushort v67, v[56:57], off offset:8
	global_load_ushort v72, v[56:57], off offset:12
	global_load_ushort v74, v[56:57], off offset:512
	global_load_ushort v76, v[56:57], off offset:516
	global_load_ushort v78, v[56:57], off offset:520
	global_load_ushort v80, v[56:57], off offset:524
	global_load_ushort v68, v[56:57], off offset:4
	global_load_ushort v69, v[56:57], off
	global_load_ushort v82, v[56:57], off offset:1024
	global_load_ushort v84, v[56:57], off offset:1028
	;; [unrolled: 1-line block ×16, first 2 shown]
	s_waitcnt vmcnt(23)
	v_cvt_pk_f32_fp8_e32 v[70:71], v67
	s_waitcnt vmcnt(22)
	v_cvt_pk_f32_fp8_e32 v[72:73], v72
	;; [unrolled: 2-line block ×5, first 2 shown]
	v_pk_mul_f32 v[70:71], s[8:9], v[70:71]
	s_waitcnt vmcnt(17)
	v_cvt_pk_f32_fp8_e32 v[56:57], v68
	s_waitcnt vmcnt(16)
	v_cvt_pk_f32_fp8_e32 v[68:69], v69
	v_cvt_pk_f32_fp8_e32 v[80:81], v80
	v_pk_mul_f32 v[72:73], s[8:9], v[72:73]
	v_pk_mul_f32 v[56:57], s[8:9], v[56:57]
	;; [unrolled: 1-line block ×3, first 2 shown]
	v_mul_f32_e32 v67, v4, v56
	v_mul_f32_e32 v102, v5, v57
	v_fmac_f32_e32 v67, v2, v68
	v_fmac_f32_e32 v102, v3, v69
	;; [unrolled: 1-line block ×4, first 2 shown]
	s_waitcnt vmcnt(15)
	v_cvt_pk_f32_fp8_e32 v[82:83], v82
	v_fmac_f32_e32 v67, v8, v72
	v_fmac_f32_e32 v102, v9, v73
	v_pk_mul_f32 v[74:75], s[8:9], v[74:75]
	s_waitcnt vmcnt(14)
	v_cvt_pk_f32_fp8_e32 v[84:85], v84
	v_fmac_f32_e32 v67, v10, v74
	v_fmac_f32_e32 v102, v11, v75
	v_pk_mul_f32 v[76:77], s[8:9], v[76:77]
	s_waitcnt vmcnt(13)
	v_cvt_pk_f32_fp8_e32 v[86:87], v86
	v_fmac_f32_e32 v67, v12, v76
	v_fmac_f32_e32 v102, v13, v77
	v_pk_mul_f32 v[78:79], s[8:9], v[78:79]
	s_waitcnt vmcnt(12)
	v_cvt_pk_f32_fp8_e32 v[88:89], v88
	v_fmac_f32_e32 v67, v14, v78
	v_fmac_f32_e32 v102, v15, v79
	v_pk_mul_f32 v[80:81], s[8:9], v[80:81]
	s_waitcnt vmcnt(11)
	v_cvt_pk_f32_fp8_e32 v[56:57], v90
	v_pk_mul_f32 v[82:83], s[8:9], v[82:83]
	v_fmac_f32_e32 v67, v16, v80
	v_fmac_f32_e32 v102, v17, v81
	s_waitcnt vmcnt(10)
	v_cvt_pk_f32_fp8_e32 v[68:69], v91
	v_pk_mul_f32 v[84:85], s[8:9], v[84:85]
	v_fmac_f32_e32 v67, v18, v82
	v_fmac_f32_e32 v102, v19, v83
	;; [unrolled: 5-line block ×12, first 2 shown]
	v_pk_mul_f32 v[96:97], s[8:9], v[96:97]
	v_fmac_f32_e32 v67, v40, v74
	v_fmac_f32_e32 v102, v41, v75
	v_pk_mul_f32 v[76:77], s[8:9], v[76:77]
	v_fmac_f32_e32 v67, v42, v96
	v_fmac_f32_e32 v102, v43, v97
	;; [unrolled: 3-line block ×4, first 2 shown]
	v_fmac_f32_e32 v67, v48, v78
	v_fmac_f32_e32 v102, v49, v79
	v_add_f32_e32 v56, v67, v102
	ds_bpermute_b32 v57, v63, v56
	s_and_saveexec_b64 s[34:35], vcc
	s_cbranch_execz .LBB212_8
; %bb.10:                               ;   in Loop: Header=BB212_9 Depth=1
	v_add_u32_e32 v67, s37, v64
	v_cvt_f32_i32_e32 v67, v67
	s_waitcnt lgkmcnt(0)
	v_add_f32_e32 v56, v56, v57
	v_cmp_gt_i32_e64 s[0:1], s17, v64
	v_max_f32_e32 v57, v62, v62
	v_mul_f32_e32 v67, s28, v67
	v_cndmask_b32_e64 v67, 0, v67, s[2:3]
	v_fmac_f32_e32 v67, s29, v56
	v_cndmask_b32_e64 v56, 0, v67, s[0:1]
	ds_write_b32 v65, v56
	v_max_f32_e32 v56, v57, v67
	v_cndmask_b32_e64 v62, v62, v56, s[0:1]
	s_branch .LBB212_8
.LBB212_11:
	s_or_b64 exec, exec, s[14:15]
.LBB212_12:
	s_or_b64 exec, exec, s[30:31]
	v_xor_b32_e32 v2, 32, v60
	v_cmp_lt_i32_e32 vcc, v2, v61
	v_xor_b32_e32 v5, 16, v60
	v_max_f32_e32 v4, v62, v62
	v_cndmask_b32_e32 v2, v60, v2, vcc
	v_lshlrev_b32_e32 v2, 2, v2
	ds_bpermute_b32 v3, v2, v62
	v_cmp_lt_i32_e32 vcc, v5, v61
	v_xor_b32_e32 v6, 8, v60
	v_xor_b32_e32 v7, 4, v60
	v_and_b32_e32 v70, 63, v0
	s_waitcnt lgkmcnt(0)
	v_max_f32_e32 v3, v3, v3
	v_max_f32_e32 v4, v4, v3
	v_cndmask_b32_e32 v3, v60, v5, vcc
	v_lshlrev_b32_e32 v3, 2, v3
	ds_bpermute_b32 v5, v3, v4
	v_cmp_lt_i32_e32 vcc, v6, v61
	s_waitcnt lgkmcnt(0)
	v_max_f32_e32 v5, v5, v5
	v_max_f32_e32 v5, v4, v5
	v_cndmask_b32_e32 v4, v60, v6, vcc
	v_lshlrev_b32_e32 v4, 2, v4
	ds_bpermute_b32 v6, v4, v5
	v_cmp_lt_i32_e32 vcc, v7, v61
	s_waitcnt lgkmcnt(0)
	v_max_f32_e32 v6, v6, v6
	v_max_f32_e32 v5, v5, v6
	v_cndmask_b32_e32 v6, v60, v7, vcc
	v_lshlrev_b32_e32 v71, 2, v6
	ds_bpermute_b32 v6, v71, v5
	v_xor_b32_e32 v7, 2, v60
	v_cmp_lt_i32_e32 vcc, v7, v61
	s_waitcnt lgkmcnt(0)
	v_max_f32_e32 v6, v6, v6
	v_max_f32_e32 v6, v5, v6
	v_cndmask_b32_e32 v5, v60, v7, vcc
	v_lshlrev_b32_e32 v72, 2, v5
	ds_bpermute_b32 v7, v72, v6
	v_cmp_eq_u32_e32 vcc, 0, v70
	v_lshlrev_b32_e32 v5, 2, v1
	s_and_saveexec_b64 s[0:1], vcc
	s_cbranch_execz .LBB212_14
; %bb.13:
	s_waitcnt lgkmcnt(0)
	v_max_f32_e32 v7, v7, v7
	v_max_f32_e32 v6, v6, v6
	;; [unrolled: 1-line block ×3, first 2 shown]
	ds_write_b32 v5, v6 offset:384
.LBB212_14:
	s_or_b64 exec, exec, s[0:1]
	v_cmp_gt_u32_e64 s[0:1], 2, v70
	s_waitcnt lgkmcnt(0)
	v_mov_b32_e32 v7, 0xff7fffff
	v_lshlrev_b32_e32 v6, 2, v70
	s_barrier
	s_and_saveexec_b64 s[2:3], s[0:1]
	s_cbranch_execz .LBB212_16
; %bb.15:
	ds_read_b32 v7, v6 offset:384
.LBB212_16:
	s_or_b64 exec, exec, s[2:3]
	v_xor_b32_e32 v8, 1, v60
	v_cmp_lt_i32_e64 s[2:3], v8, v61
	v_lshlrev_b32_e32 v9, 2, v60
	s_nop 0
	v_cndmask_b32_e64 v8, v60, v8, s[2:3]
	v_lshlrev_b32_e32 v73, 2, v8
	s_waitcnt lgkmcnt(0)
	ds_bpermute_b32 v8, v73, v7
	v_max_f32_e32 v7, v7, v7
	s_lshl_b32 s2, s19, 5
	s_min_i32 s30, s2, s17
	v_cmp_gt_i32_e64 s[2:3], s30, v0
	s_waitcnt lgkmcnt(0)
	v_max_f32_e32 v8, v8, v8
	v_max_f32_e32 v8, v7, v8
	v_and_b32_e32 v7, 0xffffff00, v9
	ds_bpermute_b32 v9, v7, v8
	v_mov_b32_e32 v8, 0
	s_and_saveexec_b64 s[14:15], s[2:3]
	s_cbranch_execz .LBB212_20
; %bb.17:
	v_mov_b32_e32 v8, 0x190
	v_lshl_add_u32 v10, v0, 2, v8
	s_mov_b64 s[28:29], 0
	v_mov_b32_e32 v8, 0
	v_mov_b32_e32 v11, v0
.LBB212_18:                             ; =>This Inner Loop Header: Depth=1
	ds_read_b32 v12, v10
	v_add_u32_e32 v11, 0x80, v11
	v_cmp_le_i32_e64 s[8:9], s30, v11
	s_or_b64 s[28:29], s[8:9], s[28:29]
	s_waitcnt lgkmcnt(0)
	v_sub_f32_e32 v12, v12, v9
	v_mul_f32_e32 v12, 0x3fb8aa3b, v12
	v_exp_f32_e32 v12, v12
	ds_write_b32 v10, v12
	v_add_f32_e32 v8, v8, v12
	v_add_u32_e32 v10, 0x200, v10
	s_andn2_b64 exec, exec, s[28:29]
	s_cbranch_execnz .LBB212_18
; %bb.19:
	s_or_b64 exec, exec, s[28:29]
.LBB212_20:
	s_or_b64 exec, exec, s[14:15]
	ds_bpermute_b32 v2, v2, v8
	s_waitcnt lgkmcnt(0)
	v_add_f32_e32 v2, v8, v2
	ds_bpermute_b32 v3, v3, v2
	s_waitcnt lgkmcnt(0)
	v_add_f32_e32 v2, v2, v3
	;; [unrolled: 3-line block ×6, first 2 shown]
	s_and_saveexec_b64 s[8:9], vcc
	s_cbranch_execz .LBB212_22
; %bb.21:
	ds_write_b32 v5, v2 offset:392
.LBB212_22:
	s_or_b64 exec, exec, s[8:9]
	s_waitcnt lgkmcnt(0)
	s_barrier
	s_and_saveexec_b64 s[8:9], s[0:1]
	s_cbranch_execz .LBB212_24
; %bb.23:
	ds_read_b32 v2, v6 offset:392
.LBB212_24:
	s_or_b64 exec, exec, s[8:9]
	s_waitcnt lgkmcnt(0)
	ds_bpermute_b32 v3, v73, v2
	s_waitcnt lgkmcnt(0)
	v_add_f32_e32 v2, v2, v3
	ds_bpermute_b32 v2, v7, v2
	s_and_saveexec_b64 s[0:1], s[2:3]
	s_cbranch_execz .LBB212_37
; %bb.25:
	s_waitcnt lgkmcnt(0)
	v_add_f32_e32 v2, 0x358637bd, v2
	v_div_scale_f32 v3, s[2:3], v2, v2, 1.0
	v_rcp_f32_e32 v4, v3
	v_div_scale_f32 v5, vcc, 1.0, v2, 1.0
	s_movk_i32 s2, 0x7f
	v_fma_f32 v6, -v3, v4, 1.0
	v_fmac_f32_e32 v4, v6, v4
	v_mul_f32_e32 v6, v5, v4
	v_fma_f32 v7, -v3, v6, v5
	v_fmac_f32_e32 v6, v7, v4
	v_fma_f32 v3, -v3, v6, v5
	v_div_fmas_f32 v3, v3, v4, v6
	v_xad_u32 v4, v0, -1, s30
	v_div_fixup_f32 v2, v3, v2, 1.0
	v_cmp_lt_u32_e32 vcc, s2, v4
	s_mov_b64 s[8:9], -1
	v_mov_b32_e32 v3, v0
	s_and_saveexec_b64 s[2:3], vcc
	s_cbranch_execz .LBB212_34
; %bb.26:
	v_lshrrev_b32_e32 v4, 7, v4
	v_add_u32_e32 v6, -1, v4
	v_lshrrev_b32_e32 v5, 1, v6
	v_mov_b32_e32 v3, v2
	v_add_u32_e32 v5, 1, v5
	v_cmp_lt_u32_e32 vcc, 13, v6
	v_mov_b32_e32 v8, 0
	s_and_saveexec_b64 s[8:9], vcc
	s_cbranch_execz .LBB212_30
; %bb.27:
	v_mov_b32_e32 v7, 0x190
	v_and_b32_e32 v6, -8, v5
	v_lshl_add_u32 v7, v0, 2, v7
	s_mov_b32 s28, 0
	s_mov_b64 s[14:15], 0
.LBB212_28:                             ; =>This Inner Loop Header: Depth=1
	ds_read2st64_b32 v[8:9], v7 offset1:2
	ds_read2st64_b32 v[10:11], v7 offset0:4 offset1:6
	ds_read2st64_b32 v[12:13], v7 offset0:8 offset1:10
	;; [unrolled: 1-line block ×3, first 2 shown]
	v_add_u32_e32 v6, -8, v6
	s_waitcnt lgkmcnt(3)
	v_pk_mul_f32 v[8:9], v[2:3], v[8:9]
	s_waitcnt lgkmcnt(2)
	v_pk_mul_f32 v[10:11], v[2:3], v[10:11]
	ds_write2st64_b32 v7, v8, v9 offset1:2
	ds_write2st64_b32 v7, v10, v11 offset0:4 offset1:6
	ds_read2st64_b32 v[10:11], v7 offset0:16 offset1:18
	s_waitcnt lgkmcnt(4)
	v_pk_mul_f32 v[8:9], v[2:3], v[12:13]
	ds_write2st64_b32 v7, v8, v9 offset0:8 offset1:10
	s_waitcnt lgkmcnt(4)
	v_pk_mul_f32 v[8:9], v[2:3], v[14:15]
	ds_write2st64_b32 v7, v8, v9 offset0:12 offset1:14
	ds_read2st64_b32 v[8:9], v7 offset0:20 offset1:22
	s_waitcnt lgkmcnt(3)
	v_pk_mul_f32 v[10:11], v[2:3], v[10:11]
	ds_read2st64_b32 v[12:13], v7 offset0:24 offset1:26
	ds_write2st64_b32 v7, v10, v11 offset0:16 offset1:18
	ds_read2st64_b32 v[10:11], v7 offset0:28 offset1:30
	s_waitcnt lgkmcnt(3)
	v_pk_mul_f32 v[8:9], v[2:3], v[8:9]
	ds_write2st64_b32 v7, v8, v9 offset0:20 offset1:22
	s_waitcnt lgkmcnt(3)
	v_pk_mul_f32 v[8:9], v[2:3], v[12:13]
	ds_write2st64_b32 v7, v8, v9 offset0:24 offset1:26
	s_waitcnt lgkmcnt(2)
	v_pk_mul_f32 v[8:9], v[2:3], v[10:11]
	s_add_i32 s28, s28, 16
	v_cmp_eq_u32_e32 vcc, 0, v6
	ds_write2st64_b32 v7, v8, v9 offset0:28 offset1:30
	v_add_u32_e32 v7, 0x2000, v7
	s_or_b64 s[14:15], vcc, s[14:15]
	v_mov_b32_e32 v8, s28
	s_andn2_b64 exec, exec, s[14:15]
	s_cbranch_execnz .LBB212_28
; %bb.29:
	s_or_b64 exec, exec, s[14:15]
.LBB212_30:
	s_or_b64 exec, exec, s[8:9]
	v_and_b32_e32 v5, 7, v5
	v_cmp_ne_u32_e32 vcc, 0, v5
	s_and_saveexec_b64 s[8:9], vcc
	s_cbranch_execz .LBB212_33
; %bb.31:
	v_lshlrev_b32_e32 v6, 9, v8
	s_movk_i32 s14, 0x190
	v_add3_u32 v6, v6, v58, s14
	s_mov_b64 s[14:15], 0
.LBB212_32:                             ; =>This Inner Loop Header: Depth=1
	ds_read2st64_b32 v[8:9], v6 offset1:2
	v_add_u32_e32 v5, -1, v5
	v_cmp_eq_u32_e32 vcc, 0, v5
	s_or_b64 s[14:15], vcc, s[14:15]
	s_waitcnt lgkmcnt(0)
	v_pk_mul_f32 v[8:9], v[2:3], v[8:9]
	ds_write2st64_b32 v6, v8, v9 offset1:2
	v_add_u32_e32 v6, 0x400, v6
	s_andn2_b64 exec, exec, s[14:15]
	s_cbranch_execnz .LBB212_32
.LBB212_33:
	s_or_b64 exec, exec, s[8:9]
	v_add_u32_e32 v4, 1, v4
	v_and_b32_e32 v5, 0x3fffffe, v4
	v_cmp_ne_u32_e32 vcc, v4, v5
	v_lshl_add_u32 v3, v5, 7, v0
	s_orn2_b64 s[8:9], vcc, exec
.LBB212_34:
	s_or_b64 exec, exec, s[2:3]
	s_and_b64 exec, exec, s[8:9]
	s_cbranch_execz .LBB212_37
; %bb.35:
	v_mov_b32_e32 v4, 0x190
	v_lshl_add_u32 v4, v3, 2, v4
	s_mov_b64 s[2:3], 0
.LBB212_36:                             ; =>This Inner Loop Header: Depth=1
	ds_read_b32 v5, v4
	v_add_u32_e32 v3, 0x80, v3
	v_cmp_le_i32_e32 vcc, s30, v3
	s_or_b64 s[2:3], vcc, s[2:3]
	s_waitcnt lgkmcnt(0)
	v_mul_f32_e32 v5, v2, v5
	ds_write_b32 v4, v5
	v_add_u32_e32 v4, 0x200, v4
	s_andn2_b64 exec, exec, s[2:3]
	s_cbranch_execnz .LBB212_36
.LBB212_37:
	s_or_b64 exec, exec, s[0:1]
	v_mov_b32_e32 v7, 0
	v_and_b32_e32 v74, 7, v0
	v_mov_b32_e32 v6, 0
	v_mov_b32_e32 v9, 0
	;; [unrolled: 1-line block ×11, first 2 shown]
	s_waitcnt lgkmcnt(0)
	s_barrier
	s_and_saveexec_b64 s[2:3], s[6:7]
	s_cbranch_execz .LBB212_65
; %bb.38:
	s_ashr_i32 s1, s33, 31
	s_load_dword s6, s[10:11], 0x0
	s_add_u32 s0, s26, s33
	s_addc_u32 s1, s27, s1
	v_and_b32_e32 v6, 0xfc, v58
	v_mov_b32_e32 v7, 0
	v_and_b32_e32 v2, 28, v58
	s_add_i32 s14, s19, -1
	v_lshl_add_u64 v[18:19], s[0:1], 0, v[6:7]
	v_lshlrev_b32_e32 v3, 5, v1
	s_lshl_b64 s[0:1], s[24:25], 2
	v_or3_b32 v75, v3, v2, 3
	v_lshlrev_b32_e32 v2, 4, v74
	s_add_u32 s0, s22, s0
	v_lshl_or_b32 v2, v1, 7, v2
	v_and_b32_e32 v6, 60, v59
	s_addc_u32 s1, s23, s1
	s_waitcnt lgkmcnt(0)
	s_mov_b32 s7, s6
	v_add_u32_e32 v76, 0x190, v2
	v_lshl_add_u64 v[20:21], s[0:1], 0, v[6:7]
	s_mov_b64 s[8:9], 0
	v_mov_b32_e32 v6, v7
	v_mov_b32_e32 v9, v7
	;; [unrolled: 1-line block ×11, first 2 shown]
	s_branch .LBB212_40
.LBB212_39:                             ;   in Loop: Header=BB212_40 Depth=1
	s_or_b64 exec, exec, s[0:1]
	s_waitcnt lgkmcnt(0)
	v_mul_f32_e32 v69, v3, v69
	v_mul_f32_e32 v63, v3, v63
	;; [unrolled: 1-line block ×12, first 2 shown]
	v_fmac_f32_e32 v69, v2, v68
	v_fmac_f32_e32 v63, v2, v62
	;; [unrolled: 1-line block ×24, first 2 shown]
	v_add_u32_e32 v1, 2, v1
	v_fmac_f32_e32 v69, v5, v67
	v_fmac_f32_e32 v63, v5, v61
	;; [unrolled: 1-line block ×12, first 2 shown]
	v_cmp_le_i32_e32 vcc, s19, v1
	v_add_f32_e32 v6, v6, v69
	v_add_f32_e32 v9, v9, v63
	;; [unrolled: 1-line block ×12, first 2 shown]
	v_add_u32_e32 v75, 64, v75
	v_add_u32_e32 v76, 0x100, v76
	s_or_b64 s[8:9], vcc, s[8:9]
	v_lshl_add_u64 v[20:21], v[20:21], 0, 8
	s_andn2_b64 exec, exec, s[8:9]
	s_cbranch_execz .LBB212_64
.LBB212_40:                             ; =>This Inner Loop Header: Depth=1
	global_load_dword v2, v[20:21], off
	v_add_u32_e32 v77, -3, v75
	v_cmp_eq_u32_e32 vcc, s14, v1
	v_add_u32_e32 v78, -2, v75
	v_add_u32_e32 v79, -1, v75
	s_waitcnt vmcnt(0)
	v_mad_i64_i32 v[34:35], s[0:1], v2, s13, v[18:19]
	global_load_dword v22, v[34:35], off
	ds_read_b128 v[2:5], v76
	s_waitcnt vmcnt(0)
	v_and_b32_e32 v23, 0xffff, v22
	v_lshrrev_b32_e32 v24, 16, v22
	v_cvt_pk_f32_fp8_e32 v[22:23], v23
	v_cvt_pk_f32_fp8_e32 v[26:27], v24
	v_pk_mul_f32 v[24:25], s[6:7], v[22:23]
	v_pk_mul_f32 v[22:23], s[6:7], v[26:27]
	s_and_saveexec_b64 s[10:11], vcc
; %bb.41:                               ;   in Loop: Header=BB212_40 Depth=1
	v_cmp_gt_i32_e64 s[0:1], s17, v77
	s_nop 1
	v_cndmask_b32_e64 v24, 0, v24, s[0:1]
	v_cmp_gt_i32_e64 s[0:1], s17, v78
	s_nop 1
	v_cndmask_b32_e64 v25, 0, v25, s[0:1]
	v_cmp_gt_i32_e64 s[0:1], s17, v79
	s_nop 1
	v_cndmask_b32_e64 v22, 0, v22, s[0:1]
	v_cmp_gt_i32_e64 s[0:1], s17, v75
	s_nop 1
	v_cndmask_b32_e64 v23, 0, v23, s[0:1]
; %bb.42:                               ;   in Loop: Header=BB212_40 Depth=1
	s_or_b64 exec, exec, s[10:11]
	global_load_dword v26, v[34:35], off offset:256
	s_waitcnt vmcnt(0)
	v_and_b32_e32 v27, 0xffff, v26
	v_lshrrev_b32_e32 v28, 16, v26
	v_cvt_pk_f32_fp8_e32 v[26:27], v27
	v_cvt_pk_f32_fp8_e32 v[30:31], v28
	v_pk_mul_f32 v[28:29], s[6:7], v[26:27]
	v_pk_mul_f32 v[26:27], s[6:7], v[30:31]
	s_and_saveexec_b64 s[10:11], vcc
; %bb.43:                               ;   in Loop: Header=BB212_40 Depth=1
	v_cmp_gt_i32_e64 s[0:1], s17, v77
	s_nop 1
	v_cndmask_b32_e64 v28, 0, v28, s[0:1]
	v_cmp_gt_i32_e64 s[0:1], s17, v78
	s_nop 1
	v_cndmask_b32_e64 v29, 0, v29, s[0:1]
	v_cmp_gt_i32_e64 s[0:1], s17, v79
	s_nop 1
	v_cndmask_b32_e64 v26, 0, v26, s[0:1]
	v_cmp_gt_i32_e64 s[0:1], s17, v75
	s_nop 1
	v_cndmask_b32_e64 v27, 0, v27, s[0:1]
; %bb.44:                               ;   in Loop: Header=BB212_40 Depth=1
	s_or_b64 exec, exec, s[10:11]
	global_load_dword v30, v[34:35], off offset:512
	;; [unrolled: 24-line block ×11, first 2 shown]
	s_waitcnt vmcnt(0)
	v_and_b32_e32 v35, 0xffff, v34
	v_lshrrev_b32_e32 v64, 16, v34
	v_cvt_pk_f32_fp8_e32 v[34:35], v35
	v_cvt_pk_f32_fp8_e32 v[80:81], v64
	v_pk_mul_f32 v[64:65], s[6:7], v[34:35]
	v_pk_mul_f32 v[34:35], s[6:7], v[80:81]
	s_and_saveexec_b64 s[0:1], vcc
	s_cbranch_execz .LBB212_39
; %bb.63:                               ;   in Loop: Header=BB212_40 Depth=1
	v_cmp_gt_i32_e32 vcc, s17, v77
	s_nop 1
	v_cndmask_b32_e32 v64, 0, v64, vcc
	v_cmp_gt_i32_e32 vcc, s17, v78
	s_nop 1
	v_cndmask_b32_e32 v65, 0, v65, vcc
	;; [unrolled: 3-line block ×4, first 2 shown]
	s_branch .LBB212_39
.LBB212_64:
	s_or_b64 exec, exec, s[8:9]
.LBB212_65:
	s_or_b64 exec, exec, s[2:3]
	ds_bpermute_b32 v2, v71, v16
	ds_bpermute_b32 v3, v71, v17
	;; [unrolled: 1-line block ×6, first 2 shown]
	s_waitcnt lgkmcnt(4)
	v_pk_add_f32 v[2:3], v[16:17], v[2:3]
	ds_bpermute_b32 v16, v72, v2
	ds_bpermute_b32 v17, v72, v3
	s_waitcnt lgkmcnt(4)
	v_pk_add_f32 v[12:13], v[12:13], v[18:19]
	ds_bpermute_b32 v20, v71, v8
	ds_bpermute_b32 v21, v71, v9
	s_waitcnt lgkmcnt(4)
	v_pk_add_f32 v[4:5], v[14:15], v[4:5]
	s_waitcnt lgkmcnt(2)
	v_pk_add_f32 v[2:3], v[2:3], v[16:17]
	ds_bpermute_b32 v16, v73, v2
	ds_bpermute_b32 v17, v73, v3
	;; [unrolled: 1-line block ×6, first 2 shown]
	s_waitcnt lgkmcnt(4)
	v_pk_add_f32 v[2:3], v[2:3], v[16:17]
	ds_bpermute_b32 v16, v71, v10
	ds_bpermute_b32 v17, v71, v11
	;; [unrolled: 1-line block ×4, first 2 shown]
	v_pk_add_f32 v[8:9], v[8:9], v[20:21]
	s_waitcnt lgkmcnt(6)
	v_pk_add_f32 v[12:13], v[12:13], v[18:19]
	s_waitcnt lgkmcnt(2)
	v_pk_add_f32 v[10:11], v[10:11], v[16:17]
	ds_bpermute_b32 v16, v72, v10
	ds_bpermute_b32 v17, v72, v11
	v_pk_add_f32 v[22:23], v[6:7], v[22:23]
	s_waitcnt lgkmcnt(2)
	v_pk_add_f32 v[4:5], v[4:5], v[14:15]
	ds_bpermute_b32 v18, v73, v12
	ds_bpermute_b32 v19, v73, v13
	s_waitcnt lgkmcnt(2)
	v_pk_add_f32 v[16:17], v[10:11], v[16:17]
	ds_bpermute_b32 v10, v72, v8
	ds_bpermute_b32 v11, v72, v9
	;; [unrolled: 1-line block ×6, first 2 shown]
	s_waitcnt lgkmcnt(4)
	v_pk_add_f32 v[24:25], v[8:9], v[10:11]
	ds_bpermute_b32 v20, v73, v16
	ds_bpermute_b32 v21, v73, v17
	;; [unrolled: 1-line block ×4, first 2 shown]
	v_pk_add_f32 v[8:9], v[12:13], v[18:19]
	s_waitcnt lgkmcnt(6)
	v_pk_add_f32 v[12:13], v[22:23], v[28:29]
	s_waitcnt lgkmcnt(4)
	v_pk_add_f32 v[10:11], v[4:5], v[14:15]
	ds_bpermute_b32 v14, v73, v12
	ds_bpermute_b32 v15, v73, v13
	v_and_b32_e32 v1, 0x3c7, v0
	s_waitcnt lgkmcnt(4)
	v_pk_add_f32 v[6:7], v[16:17], v[20:21]
	s_waitcnt lgkmcnt(2)
	v_pk_add_f32 v[4:5], v[24:25], v[26:27]
	v_cmp_ne_u32_e32 vcc, 64, v1
	s_waitcnt lgkmcnt(0)
	s_barrier
	s_and_saveexec_b64 s[0:1], vcc
	s_xor_b64 s[0:1], exec, s[0:1]
; %bb.66:
                                        ; implicit-def: $vgpr70
; %bb.67:
	s_or_saveexec_b64 s[0:1], s[0:1]
	v_pk_add_f32 v[12:13], v[12:13], v[14:15]
	s_xor_b64 exec, exec, s[0:1]
	s_cbranch_execz .LBB212_69
; %bb.68:
	v_lshrrev_b32_e32 v14, 1, v70
	v_add_u32_e32 v14, 0x190, v14
	ds_write2_b32 v14, v2, v3 offset1:8
	ds_write2_b32 v14, v10, v11 offset0:16 offset1:24
	ds_write2_b32 v14, v8, v9 offset0:32 offset1:40
	;; [unrolled: 1-line block ×5, first 2 shown]
.LBB212_69:
	s_or_b64 exec, exec, s[0:1]
	v_cmp_gt_u32_e32 vcc, 64, v0
	s_waitcnt lgkmcnt(0)
	s_barrier
	s_and_saveexec_b64 s[0:1], vcc
	s_cbranch_execz .LBB212_84
; %bb.70:
	v_cmp_eq_u32_e32 vcc, 0, v74
	v_lshrrev_b32_e32 v14, 3, v0
	s_and_saveexec_b64 s[2:3], vcc
	s_cbranch_execnz .LBB212_87
; %bb.71:
	s_or_b64 exec, exec, s[2:3]
	s_and_saveexec_b64 s[2:3], vcc
	s_cbranch_execnz .LBB212_88
.LBB212_72:
	s_or_b64 exec, exec, s[2:3]
	s_and_saveexec_b64 s[2:3], vcc
	s_cbranch_execnz .LBB212_89
.LBB212_73:
	s_or_b64 exec, exec, s[2:3]
	s_and_saveexec_b64 s[2:3], vcc
	s_cbranch_execnz .LBB212_90
.LBB212_74:
	s_or_b64 exec, exec, s[2:3]
	s_and_saveexec_b64 s[2:3], vcc
	s_cbranch_execnz .LBB212_91
.LBB212_75:
	s_or_b64 exec, exec, s[2:3]
	s_and_saveexec_b64 s[2:3], vcc
	s_cbranch_execnz .LBB212_92
.LBB212_76:
	s_or_b64 exec, exec, s[2:3]
	s_and_saveexec_b64 s[2:3], vcc
	s_cbranch_execnz .LBB212_93
.LBB212_77:
	s_or_b64 exec, exec, s[2:3]
	s_and_saveexec_b64 s[2:3], vcc
	s_cbranch_execnz .LBB212_94
.LBB212_78:
	s_or_b64 exec, exec, s[2:3]
	s_and_saveexec_b64 s[2:3], vcc
	s_cbranch_execnz .LBB212_95
.LBB212_79:
	s_or_b64 exec, exec, s[2:3]
	s_and_saveexec_b64 s[2:3], vcc
	s_cbranch_execnz .LBB212_96
.LBB212_80:
	s_or_b64 exec, exec, s[2:3]
	s_and_saveexec_b64 s[2:3], vcc
	s_cbranch_execnz .LBB212_97
.LBB212_81:
	s_or_b64 exec, exec, s[2:3]
	s_and_saveexec_b64 s[2:3], vcc
	s_cbranch_execz .LBB212_83
.LBB212_82:
	v_mov_b32_e32 v15, 0x190
	v_lshl_add_u32 v14, v14, 2, v15
	ds_read_b32 v14, v14 offset:352
	s_waitcnt lgkmcnt(0)
	v_add_f32_e32 v13, v13, v14
.LBB212_83:
	s_or_b64 exec, exec, s[2:3]
.LBB212_84:
	s_or_b64 exec, exec, s[0:1]
	v_cmp_eq_u32_e32 vcc, 0, v1
	s_barrier
	s_and_saveexec_b64 s[0:1], vcc
	s_cbranch_execz .LBB212_86
; %bb.85:
	s_mul_i32 s0, s16, s12
	s_mul_i32 s0, s0, s5
	s_mulk_i32 s0, 0x60
	s_ashr_i32 s1, s0, 31
	s_lshl_b64 s[0:1], s[0:1], 2
	s_add_u32 s2, s20, s0
	s_mul_i32 s0, s12, s18
	s_addc_u32 s3, s21, s1
	s_ashr_i32 s1, s0, 31
	s_lshl_b64 s[0:1], s[0:1], 2
	s_add_u32 s2, s2, s0
	s_mul_i32 s0, s4, 0x60
	s_addc_u32 s3, s3, s1
	s_ashr_i32 s1, s0, 31
	s_lshl_b64 s[0:1], s[0:1], 2
	s_add_u32 s0, s2, s0
	s_addc_u32 s1, s3, s1
	v_lshrrev_b32_e32 v0, 1, v0
	global_store_dword v0, v2, s[0:1]
	global_store_dword v0, v3, s[0:1] offset:32
	global_store_dword v0, v10, s[0:1] offset:64
	global_store_dword v0, v11, s[0:1] offset:96
	global_store_dword v0, v8, s[0:1] offset:128
	global_store_dword v0, v9, s[0:1] offset:160
	global_store_dword v0, v6, s[0:1] offset:192
	global_store_dword v0, v7, s[0:1] offset:224
	global_store_dword v0, v4, s[0:1] offset:256
	global_store_dword v0, v5, s[0:1] offset:288
	global_store_dword v0, v12, s[0:1] offset:320
	global_store_dword v0, v13, s[0:1] offset:352
.LBB212_86:
	s_endpgm
.LBB212_87:
	v_mov_b32_e32 v15, 0x190
	v_lshl_add_u32 v15, v14, 2, v15
	ds_read_b32 v15, v15
	s_waitcnt lgkmcnt(0)
	v_add_f32_e32 v2, v2, v15
	s_or_b64 exec, exec, s[2:3]
	s_and_saveexec_b64 s[2:3], vcc
	s_cbranch_execz .LBB212_72
.LBB212_88:
	v_mov_b32_e32 v15, 0x190
	v_lshl_add_u32 v15, v14, 2, v15
	ds_read_b32 v15, v15 offset:32
	s_waitcnt lgkmcnt(0)
	v_add_f32_e32 v3, v3, v15
	s_or_b64 exec, exec, s[2:3]
	s_and_saveexec_b64 s[2:3], vcc
	s_cbranch_execz .LBB212_73
.LBB212_89:
	v_mov_b32_e32 v15, 0x190
	v_lshl_add_u32 v15, v14, 2, v15
	ds_read_b32 v15, v15 offset:64
	s_waitcnt lgkmcnt(0)
	v_add_f32_e32 v10, v10, v15
	s_or_b64 exec, exec, s[2:3]
	s_and_saveexec_b64 s[2:3], vcc
	s_cbranch_execz .LBB212_74
.LBB212_90:
	v_mov_b32_e32 v15, 0x190
	v_lshl_add_u32 v15, v14, 2, v15
	ds_read_b32 v15, v15 offset:96
	s_waitcnt lgkmcnt(0)
	v_add_f32_e32 v11, v11, v15
	s_or_b64 exec, exec, s[2:3]
	s_and_saveexec_b64 s[2:3], vcc
	s_cbranch_execz .LBB212_75
.LBB212_91:
	v_mov_b32_e32 v15, 0x190
	v_lshl_add_u32 v15, v14, 2, v15
	ds_read_b32 v15, v15 offset:128
	s_waitcnt lgkmcnt(0)
	v_add_f32_e32 v8, v8, v15
	s_or_b64 exec, exec, s[2:3]
	s_and_saveexec_b64 s[2:3], vcc
	s_cbranch_execz .LBB212_76
.LBB212_92:
	v_mov_b32_e32 v15, 0x190
	v_lshl_add_u32 v15, v14, 2, v15
	ds_read_b32 v15, v15 offset:160
	s_waitcnt lgkmcnt(0)
	v_add_f32_e32 v9, v9, v15
	s_or_b64 exec, exec, s[2:3]
	s_and_saveexec_b64 s[2:3], vcc
	s_cbranch_execz .LBB212_77
.LBB212_93:
	v_mov_b32_e32 v15, 0x190
	v_lshl_add_u32 v15, v14, 2, v15
	ds_read_b32 v15, v15 offset:192
	s_waitcnt lgkmcnt(0)
	v_add_f32_e32 v6, v6, v15
	s_or_b64 exec, exec, s[2:3]
	s_and_saveexec_b64 s[2:3], vcc
	s_cbranch_execz .LBB212_78
.LBB212_94:
	v_mov_b32_e32 v15, 0x190
	v_lshl_add_u32 v15, v14, 2, v15
	ds_read_b32 v15, v15 offset:224
	s_waitcnt lgkmcnt(0)
	v_add_f32_e32 v7, v7, v15
	s_or_b64 exec, exec, s[2:3]
	s_and_saveexec_b64 s[2:3], vcc
	s_cbranch_execz .LBB212_79
.LBB212_95:
	v_mov_b32_e32 v15, 0x190
	v_lshl_add_u32 v15, v14, 2, v15
	ds_read_b32 v15, v15 offset:256
	s_waitcnt lgkmcnt(0)
	v_add_f32_e32 v4, v4, v15
	s_or_b64 exec, exec, s[2:3]
	s_and_saveexec_b64 s[2:3], vcc
	s_cbranch_execz .LBB212_80
.LBB212_96:
	v_mov_b32_e32 v15, 0x190
	v_lshl_add_u32 v15, v14, 2, v15
	ds_read_b32 v15, v15 offset:288
	s_waitcnt lgkmcnt(0)
	v_add_f32_e32 v5, v5, v15
	s_or_b64 exec, exec, s[2:3]
	s_and_saveexec_b64 s[2:3], vcc
	s_cbranch_execz .LBB212_81
.LBB212_97:
	v_mov_b32_e32 v15, 0x190
	v_lshl_add_u32 v15, v14, 2, v15
	ds_read_b32 v15, v15 offset:320
	s_waitcnt lgkmcnt(0)
	v_add_f32_e32 v12, v12, v15
	s_or_b64 exec, exec, s[2:3]
	s_and_saveexec_b64 s[2:3], vcc
	s_cbranch_execnz .LBB212_82
	s_branch .LBB212_83
	.section	.rodata,"a",@progbits
	.p2align	6, 0x0
	.amdhsa_kernel _ZN4vllm25paged_attention_v1_kernelIfhLi96ELi32ELi128ELNS_18Fp8KVCacheDataTypeE1ELb0EEEvPT_PKS2_PKT0_S8_ifPKiSA_iPKfiiiSC_SC_iiiii
		.amdhsa_group_segment_fixed_size 400
		.amdhsa_private_segment_fixed_size 0
		.amdhsa_kernarg_size 384
		.amdhsa_user_sgpr_count 2
		.amdhsa_user_sgpr_dispatch_ptr 0
		.amdhsa_user_sgpr_queue_ptr 0
		.amdhsa_user_sgpr_kernarg_segment_ptr 1
		.amdhsa_user_sgpr_dispatch_id 0
		.amdhsa_user_sgpr_kernarg_preload_length 0
		.amdhsa_user_sgpr_kernarg_preload_offset 0
		.amdhsa_user_sgpr_private_segment_size 0
		.amdhsa_uses_dynamic_stack 0
		.amdhsa_enable_private_segment 0
		.amdhsa_system_sgpr_workgroup_id_x 1
		.amdhsa_system_sgpr_workgroup_id_y 1
		.amdhsa_system_sgpr_workgroup_id_z 1
		.amdhsa_system_sgpr_workgroup_info 0
		.amdhsa_system_vgpr_workitem_id 0
		.amdhsa_next_free_vgpr 103
		.amdhsa_next_free_sgpr 38
		.amdhsa_accum_offset 104
		.amdhsa_reserve_vcc 1
		.amdhsa_float_round_mode_32 0
		.amdhsa_float_round_mode_16_64 0
		.amdhsa_float_denorm_mode_32 3
		.amdhsa_float_denorm_mode_16_64 3
		.amdhsa_dx10_clamp 1
		.amdhsa_ieee_mode 1
		.amdhsa_fp16_overflow 0
		.amdhsa_tg_split 0
		.amdhsa_exception_fp_ieee_invalid_op 0
		.amdhsa_exception_fp_denorm_src 0
		.amdhsa_exception_fp_ieee_div_zero 0
		.amdhsa_exception_fp_ieee_overflow 0
		.amdhsa_exception_fp_ieee_underflow 0
		.amdhsa_exception_fp_ieee_inexact 0
		.amdhsa_exception_int_div_zero 0
	.end_amdhsa_kernel
	.section	.text._ZN4vllm25paged_attention_v1_kernelIfhLi96ELi32ELi128ELNS_18Fp8KVCacheDataTypeE1ELb0EEEvPT_PKS2_PKT0_S8_ifPKiSA_iPKfiiiSC_SC_iiiii,"axG",@progbits,_ZN4vllm25paged_attention_v1_kernelIfhLi96ELi32ELi128ELNS_18Fp8KVCacheDataTypeE1ELb0EEEvPT_PKS2_PKT0_S8_ifPKiSA_iPKfiiiSC_SC_iiiii,comdat
.Lfunc_end212:
	.size	_ZN4vllm25paged_attention_v1_kernelIfhLi96ELi32ELi128ELNS_18Fp8KVCacheDataTypeE1ELb0EEEvPT_PKS2_PKT0_S8_ifPKiSA_iPKfiiiSC_SC_iiiii, .Lfunc_end212-_ZN4vllm25paged_attention_v1_kernelIfhLi96ELi32ELi128ELNS_18Fp8KVCacheDataTypeE1ELb0EEEvPT_PKS2_PKT0_S8_ifPKiSA_iPKfiiiSC_SC_iiiii
                                        ; -- End function
	.section	.AMDGPU.csdata,"",@progbits
; Kernel info:
; codeLenInByte = 6868
; NumSgprs: 44
; NumVgprs: 103
; NumAgprs: 0
; TotalNumVgprs: 103
; ScratchSize: 0
; MemoryBound: 0
; FloatMode: 240
; IeeeMode: 1
; LDSByteSize: 400 bytes/workgroup (compile time only)
; SGPRBlocks: 5
; VGPRBlocks: 12
; NumSGPRsForWavesPerEU: 44
; NumVGPRsForWavesPerEU: 103
; AccumOffset: 104
; Occupancy: 4
; WaveLimiterHint : 1
; COMPUTE_PGM_RSRC2:SCRATCH_EN: 0
; COMPUTE_PGM_RSRC2:USER_SGPR: 2
; COMPUTE_PGM_RSRC2:TRAP_HANDLER: 0
; COMPUTE_PGM_RSRC2:TGID_X_EN: 1
; COMPUTE_PGM_RSRC2:TGID_Y_EN: 1
; COMPUTE_PGM_RSRC2:TGID_Z_EN: 1
; COMPUTE_PGM_RSRC2:TIDIG_COMP_CNT: 0
; COMPUTE_PGM_RSRC3_GFX90A:ACCUM_OFFSET: 25
; COMPUTE_PGM_RSRC3_GFX90A:TG_SPLIT: 0
	.section	.text._ZN4vllm25paged_attention_v1_kernelIfhLi112ELi32ELi128ELNS_18Fp8KVCacheDataTypeE1ELb0EEEvPT_PKS2_PKT0_S8_ifPKiSA_iPKfiiiSC_SC_iiiii,"axG",@progbits,_ZN4vllm25paged_attention_v1_kernelIfhLi112ELi32ELi128ELNS_18Fp8KVCacheDataTypeE1ELb0EEEvPT_PKS2_PKT0_S8_ifPKiSA_iPKfiiiSC_SC_iiiii,comdat
	.protected	_ZN4vllm25paged_attention_v1_kernelIfhLi112ELi32ELi128ELNS_18Fp8KVCacheDataTypeE1ELb0EEEvPT_PKS2_PKT0_S8_ifPKiSA_iPKfiiiSC_SC_iiiii ; -- Begin function _ZN4vllm25paged_attention_v1_kernelIfhLi112ELi32ELi128ELNS_18Fp8KVCacheDataTypeE1ELb0EEEvPT_PKS2_PKT0_S8_ifPKiSA_iPKfiiiSC_SC_iiiii
	.globl	_ZN4vllm25paged_attention_v1_kernelIfhLi112ELi32ELi128ELNS_18Fp8KVCacheDataTypeE1ELb0EEEvPT_PKS2_PKT0_S8_ifPKiSA_iPKfiiiSC_SC_iiiii
	.p2align	8
	.type	_ZN4vllm25paged_attention_v1_kernelIfhLi112ELi32ELi128ELNS_18Fp8KVCacheDataTypeE1ELb0EEEvPT_PKS2_PKT0_S8_ifPKiSA_iPKfiiiSC_SC_iiiii,@function
_ZN4vllm25paged_attention_v1_kernelIfhLi112ELi32ELi128ELNS_18Fp8KVCacheDataTypeE1ELb0EEEvPT_PKS2_PKT0_S8_ifPKiSA_iPKfiiiSC_SC_iiiii: ; @_ZN4vllm25paged_attention_v1_kernelIfhLi112ELi32ELi128ELNS_18Fp8KVCacheDataTypeE1ELb0EEEvPT_PKS2_PKT0_S8_ifPKiSA_iPKfiiiSC_SC_iiiii
; %bb.0:
	s_load_dword s5, s[0:1], 0x80
	s_load_dwordx2 s[6:7], s[0:1], 0x30
	s_load_dwordx2 s[28:29], s[0:1], 0x20
	s_mov_b32 s16, s3
	s_ashr_i32 s17, s3, 31
	s_lshl_b64 s[8:9], s[16:17], 2
	s_waitcnt lgkmcnt(0)
	s_add_u32 s6, s6, s8
	s_addc_u32 s7, s7, s9
	s_abs_i32 s3, s28
	v_cvt_f32_u32_e32 v1, s3
	s_sub_i32 s10, 0, s3
	s_abs_i32 s9, s5
	s_xor_b32 s8, s5, s28
	v_rcp_iflag_f32_e32 v1, v1
	s_ashr_i32 s8, s8, 31
	s_mov_b32 s28, 0
	v_mul_f32_e32 v1, 0x4f7ffffe, v1
	v_cvt_u32_f32_e32 v1, v1
	s_nop 0
	v_readfirstlane_b32 s11, v1
	s_mul_i32 s10, s10, s11
	s_mul_hi_u32 s10, s11, s10
	s_add_i32 s11, s11, s10
	s_mul_hi_u32 s10, s9, s11
	s_mul_i32 s11, s10, s3
	s_sub_i32 s9, s9, s11
	s_add_i32 s11, s10, 1
	s_sub_i32 s12, s9, s3
	s_cmp_ge_u32 s9, s3
	s_cselect_b32 s10, s11, s10
	s_cselect_b32 s9, s12, s9
	s_add_i32 s11, s10, 1
	s_cmp_ge_u32 s9, s3
	s_cselect_b32 s3, s11, s10
	s_xor_b32 s3, s3, s8
	s_sub_i32 s12, s3, s8
	s_abs_i32 s10, s12
	v_cvt_f32_u32_e32 v1, s10
	s_load_dwordx2 s[8:9], s[0:1], 0x40
	s_sub_i32 s3, 0, s10
	s_abs_i32 s11, s2
	v_rcp_iflag_f32_e32 v1, v1
	s_nop 0
	v_mul_f32_e32 v1, 0x4f7ffffe, v1
	v_cvt_u32_f32_e32 v1, v1
	s_nop 0
	v_readfirstlane_b32 s13, v1
	s_mul_i32 s3, s3, s13
	s_mul_hi_u32 s3, s13, s3
	s_add_i32 s13, s13, s3
	s_waitcnt lgkmcnt(0)
	s_cmp_eq_u64 s[8:9], 0
	s_mul_hi_u32 s20, s11, s13
	s_cbranch_scc1 .LBB213_2
; %bb.1:
	s_ashr_i32 s3, s2, 31
	s_lshl_b64 s[14:15], s[2:3], 2
	s_add_u32 s8, s8, s14
	s_addc_u32 s9, s9, s15
	s_load_dword s28, s[8:9], 0x0
.LBB213_2:
	s_load_dword s17, s[6:7], 0x0
	s_ashr_i32 s7, s12, 31
	s_load_dwordx4 s[12:15], s[0:1], 0x48
	s_ashr_i32 s6, s2, 31
	v_and_b32_e32 v42, 1, v0
	s_mul_i32 s18, s2, 0x70
	v_cmp_gt_u32_e32 vcc, 56, v0
	v_lshlrev_b32_e32 v66, 2, v0
	s_and_saveexec_b64 s[2:3], vcc
	s_cbranch_execz .LBB213_4
; %bb.3:
	s_load_dwordx2 s[8:9], s[0:1], 0x8
	s_waitcnt lgkmcnt(0)
	s_mul_i32 s22, s16, s12
	s_ashr_i32 s23, s22, 31
	s_lshl_b64 s[22:23], s[22:23], 2
	v_lshlrev_b32_e32 v1, 3, v0
	s_add_u32 s12, s8, s22
	s_addc_u32 s15, s9, s23
	s_ashr_i32 s19, s18, 31
	s_lshl_b64 s[8:9], s[18:19], 2
	s_add_u32 s8, s12, s8
	s_addc_u32 s9, s15, s9
	global_load_dwordx2 v[2:3], v1, s[8:9]
	v_and_b32_e32 v1, 0xff8, v66
	s_movk_i32 s8, 0xe0
	v_mad_u32_u24 v1, v42, s8, v1
	s_waitcnt vmcnt(0)
	ds_write_b64 v1, v[2:3]
.LBB213_4:
	s_or_b64 exec, exec, s[2:3]
	s_waitcnt lgkmcnt(0)
	s_add_i32 s3, s17, 31
	s_ashr_i32 s8, s3, 31
	s_lshr_b32 s8, s8, 27
	s_add_i32 s3, s3, s8
	s_ashr_i32 s19, s3, 5
	s_xor_b32 s3, s6, s7
	s_mul_i32 s6, s20, s10
	s_sub_i32 s6, s11, s6
	s_add_i32 s7, s20, 1
	s_sub_i32 s8, s6, s10
	s_load_dwordx2 s[22:23], s[0:1], 0x28
	s_load_dword s2, s[0:1], 0x38
	s_cmp_ge_u32 s6, s10
	s_cselect_b32 s7, s7, s20
	s_cselect_b32 s6, s8, s6
	s_add_i32 s8, s7, 1
	s_cmp_ge_u32 s6, s10
	s_cselect_b32 s6, s8, s7
	v_lshrrev_b32_e32 v1, 6, v0
	s_xor_b32 s6, s6, s3
	s_waitcnt lgkmcnt(0)
	s_mul_i32 s24, s16, s2
	s_sub_i32 s33, s6, s3
	s_ashr_i32 s25, s24, 31
	v_cmp_gt_i32_e64 s[6:7], s19, v1
	v_cmp_le_i32_e32 vcc, s19, v1
	v_mbcnt_lo_u32_b32 v43, -1, 0
	s_barrier
	s_waitcnt lgkmcnt(0)
                                        ; implicit-def: $sgpr15
                                        ; implicit-def: $vgpr68
                                        ; implicit-def: $vgpr69
	s_and_saveexec_b64 s[2:3], vcc
	s_xor_b64 s[2:3], exec, s[2:3]
; %bb.5:
	v_mbcnt_hi_u32_b32 v68, -1, v43
	v_and_b32_e32 v2, 64, v68
	v_add_u32_e32 v69, 64, v2
	s_mov_b32 s15, 0xff7fffff
                                        ; implicit-def: $vgpr42
                                        ; implicit-def: $vgpr43
; %bb.6:
	s_or_saveexec_b64 s[30:31], s[2:3]
	s_load_dwordx2 s[20:21], s[0:1], 0x0
	s_load_dwordx2 s[26:27], s[0:1], 0x18
	s_load_dword s12, s[0:1], 0x88
	s_load_dwordx4 s[8:11], s[0:1], 0x58
	v_mov_b32_e32 v71, s15
	s_mul_i32 s33, s33, s14
	v_lshrrev_b32_e32 v67, 4, v0
	s_xor_b64 exec, exec, s[30:31]
	s_cbranch_execz .LBB213_12
; %bb.7:
	s_load_dwordx2 s[0:1], s[0:1], 0x10
	v_mul_u32_u24_e32 v54, 0xe0, v42
	ds_read_b128 v[2:5], v54
	ds_read_b128 v[6:9], v54 offset:16
	ds_read_b128 v[10:13], v54 offset:32
	;; [unrolled: 1-line block ×9, first 2 shown]
	v_mbcnt_hi_u32_b32 v68, -1, v43
	s_ashr_i32 s2, s33, 31
	v_and_b32_e32 v45, 64, v68
	v_bfe_u32 v44, v0, 1, 5
	s_waitcnt lgkmcnt(0)
	s_add_u32 s0, s0, s33
	v_xor_b32_e32 v43, 1, v68
	v_add_u32_e32 v69, 64, v45
	v_lshlrev_b32_e32 v58, 4, v44
	s_addc_u32 s1, s1, s2
	v_mov_b32_e32 v59, 0
	v_cmp_lt_i32_e32 vcc, v43, v69
	v_lshl_add_u64 v[60:61], s[0:1], 0, v[58:59]
	v_lshlrev_b32_e32 v58, 1, v42
	v_cndmask_b32_e32 v43, v68, v43, vcc
	v_cmp_eq_u32_e32 vcc, 0, v42
	v_lshlrev_b32_e32 v42, 2, v44
	v_lshl_or_b32 v42, v1, 7, v42
	s_load_dword s8, s[8:9], 0x0
	v_lshlrev_b32_e32 v70, 2, v43
	v_lshl_or_b32 v72, v1, 5, v44
	v_add_u32_e32 v73, 0x1d0, v42
	ds_read_b128 v[42:45], v54 offset:160
	ds_read_b128 v[46:49], v54 offset:176
	;; [unrolled: 1-line block ×4, first 2 shown]
	s_sub_i32 s37, 1, s17
	s_lshl_b64 s[0:1], s[24:25], 2
	s_add_u32 s0, s22, s0
	v_and_b32_e32 v62, 60, v67
	v_mov_b32_e32 v63, v59
	s_addc_u32 s1, s23, s1
	s_mov_b32 s36, s13
	v_cmp_neq_f32_e64 s[2:3], s28, 0
	s_waitcnt lgkmcnt(0)
	s_mov_b32 s9, s8
	v_lshl_add_u64 v[62:63], s[0:1], 0, v[62:63]
	s_mov_b64 s[14:15], 0
	v_mov_b32_e32 v71, 0xff7fffff
	v_mov_b32_e32 v74, v1
	s_branch .LBB213_9
.LBB213_8:                              ;   in Loop: Header=BB213_9 Depth=1
	s_or_b64 exec, exec, s[34:35]
	v_add_u32_e32 v74, 2, v74
	v_cmp_le_i32_e64 s[0:1], s19, v74
	v_add_u32_e32 v72, 64, v72
	v_add_u32_e32 v73, 0x100, v73
	s_or_b64 s[14:15], s[0:1], s[14:15]
	v_lshl_add_u64 v[62:63], v[62:63], 0, 8
	s_andn2_b64 exec, exec, s[14:15]
	s_cbranch_execz .LBB213_11
.LBB213_9:                              ; =>This Inner Loop Header: Depth=1
	global_load_dword v64, v[62:63], off
	s_waitcnt vmcnt(0) lgkmcnt(0)
	v_mad_i64_i32 v[64:65], s[0:1], v64, s36, v[60:61]
	v_lshl_add_u64 v[64:65], v[64:65], 0, v[58:59]
	global_load_ushort v81, v[64:65], off offset:4
	global_load_ushort v80, v[64:65], off offset:8
	;; [unrolled: 1-line block ×7, first 2 shown]
	global_load_ushort v84, v[64:65], off
	global_load_ushort v86, v[64:65], off offset:1024
	global_load_ushort v87, v[64:65], off offset:1028
	;; [unrolled: 1-line block ×20, first 2 shown]
	s_waitcnt vmcnt(27)
	v_cvt_pk_f32_fp8_e32 v[82:83], v81
	s_waitcnt vmcnt(26)
	v_cvt_pk_f32_fp8_e32 v[64:65], v80
	v_pk_mul_f32 v[82:83], s[8:9], v[82:83]
	s_nop 0
	v_mul_f32_e32 v102, v4, v82
	v_mul_f32_e32 v103, v5, v83
	s_waitcnt vmcnt(20)
	v_cvt_pk_f32_fp8_e32 v[84:85], v84
	v_pk_mul_f32 v[64:65], s[8:9], v[64:65]
	s_waitcnt vmcnt(19)
	v_cvt_pk_f32_fp8_e32 v[80:81], v86
	v_pk_mul_f32 v[82:83], s[8:9], v[84:85]
	s_nop 0
	v_fmac_f32_e32 v102, v2, v82
	v_fmac_f32_e32 v103, v3, v83
	;; [unrolled: 1-line block ×4, first 2 shown]
	v_cvt_pk_f32_fp8_e32 v[64:65], v78
	v_cvt_pk_f32_fp8_e32 v[78:79], v79
	s_waitcnt vmcnt(17)
	v_cvt_pk_f32_fp8_e32 v[82:83], v88
	s_waitcnt vmcnt(15)
	v_cvt_pk_f32_fp8_e32 v[84:85], v90
	v_pk_mul_f32 v[64:65], s[8:9], v[64:65]
	v_pk_mul_f32 v[78:79], s[8:9], v[78:79]
	v_fmac_f32_e32 v102, v8, v64
	v_fmac_f32_e32 v103, v9, v65
	v_cvt_pk_f32_fp8_e32 v[64:65], v76
	v_cvt_pk_f32_fp8_e32 v[76:77], v77
	v_fmac_f32_e32 v102, v10, v78
	v_fmac_f32_e32 v103, v11, v79
	v_cvt_pk_f32_fp8_e32 v[78:79], v75
	v_pk_mul_f32 v[64:65], s[8:9], v[64:65]
	v_pk_mul_f32 v[76:77], s[8:9], v[76:77]
	v_fmac_f32_e32 v102, v12, v64
	v_fmac_f32_e32 v103, v13, v65
	v_cvt_pk_f32_fp8_e32 v[64:65], v87
	v_fmac_f32_e32 v102, v14, v76
	v_fmac_f32_e32 v103, v15, v77
	v_cvt_pk_f32_fp8_e32 v[76:77], v89
	v_pk_mul_f32 v[78:79], s[8:9], v[78:79]
	v_pk_mul_f32 v[80:81], s[8:9], v[80:81]
	v_fmac_f32_e32 v102, v16, v78
	v_fmac_f32_e32 v103, v17, v79
	s_waitcnt vmcnt(14)
	v_cvt_pk_f32_fp8_e32 v[78:79], v91
	v_fmac_f32_e32 v102, v18, v80
	v_fmac_f32_e32 v103, v19, v81
	v_pk_mul_f32 v[64:65], s[8:9], v[64:65]
	s_waitcnt vmcnt(13)
	v_cvt_pk_f32_fp8_e32 v[86:87], v92
	v_fmac_f32_e32 v102, v20, v64
	v_fmac_f32_e32 v103, v21, v65
	v_pk_mul_f32 v[82:83], s[8:9], v[82:83]
	;; [unrolled: 5-line block ×7, first 2 shown]
	s_waitcnt vmcnt(7)
	v_cvt_pk_f32_fp8_e32 v[92:93], v98
	v_pk_mul_f32 v[88:89], s[8:9], v[88:89]
	v_fmac_f32_e32 v102, v32, v80
	v_fmac_f32_e32 v103, v33, v81
	s_waitcnt vmcnt(6)
	v_cvt_pk_f32_fp8_e32 v[76:77], v99
	v_pk_mul_f32 v[64:65], s[8:9], v[64:65]
	v_fmac_f32_e32 v102, v34, v88
	v_fmac_f32_e32 v103, v35, v89
	;; [unrolled: 5-line block ×8, first 2 shown]
	v_pk_mul_f32 v[96:97], s[8:9], v[96:97]
	v_fmac_f32_e32 v102, v48, v84
	v_fmac_f32_e32 v103, v49, v85
	v_pk_mul_f32 v[78:79], s[8:9], v[78:79]
	v_fmac_f32_e32 v102, v50, v96
	v_fmac_f32_e32 v103, v51, v97
	;; [unrolled: 3-line block ×4, first 2 shown]
	v_fmac_f32_e32 v102, v56, v86
	v_fmac_f32_e32 v103, v57, v87
	v_add_f32_e32 v64, v102, v103
	ds_bpermute_b32 v65, v70, v64
	s_and_saveexec_b64 s[34:35], vcc
	s_cbranch_execz .LBB213_8
; %bb.10:                               ;   in Loop: Header=BB213_9 Depth=1
	v_add_u32_e32 v75, s37, v72
	v_cvt_f32_i32_e32 v75, v75
	s_waitcnt lgkmcnt(0)
	v_add_f32_e32 v64, v64, v65
	v_cmp_gt_i32_e64 s[0:1], s17, v72
	v_max_f32_e32 v65, v71, v71
	v_mul_f32_e32 v75, s28, v75
	v_cndmask_b32_e64 v75, 0, v75, s[2:3]
	v_fmac_f32_e32 v75, s29, v64
	v_cndmask_b32_e64 v64, 0, v75, s[0:1]
	ds_write_b32 v73, v64
	v_max_f32_e32 v64, v65, v75
	v_cndmask_b32_e64 v71, v71, v64, s[0:1]
	s_branch .LBB213_8
.LBB213_11:
	s_or_b64 exec, exec, s[14:15]
.LBB213_12:
	s_or_b64 exec, exec, s[30:31]
	v_xor_b32_e32 v2, 32, v68
	v_cmp_lt_i32_e32 vcc, v2, v69
	v_xor_b32_e32 v5, 16, v68
	v_max_f32_e32 v4, v71, v71
	v_cndmask_b32_e32 v2, v68, v2, vcc
	v_lshlrev_b32_e32 v2, 2, v2
	ds_bpermute_b32 v3, v2, v71
	v_cmp_lt_i32_e32 vcc, v5, v69
	v_xor_b32_e32 v6, 8, v68
	v_xor_b32_e32 v7, 4, v68
	v_and_b32_e32 v80, 63, v0
	s_waitcnt lgkmcnt(0)
	v_max_f32_e32 v3, v3, v3
	v_max_f32_e32 v4, v4, v3
	v_cndmask_b32_e32 v3, v68, v5, vcc
	v_lshlrev_b32_e32 v3, 2, v3
	ds_bpermute_b32 v5, v3, v4
	v_cmp_lt_i32_e32 vcc, v6, v69
	s_waitcnt lgkmcnt(0)
	v_max_f32_e32 v5, v5, v5
	v_max_f32_e32 v5, v4, v5
	v_cndmask_b32_e32 v4, v68, v6, vcc
	v_lshlrev_b32_e32 v4, 2, v4
	ds_bpermute_b32 v6, v4, v5
	v_cmp_lt_i32_e32 vcc, v7, v69
	s_waitcnt lgkmcnt(0)
	v_max_f32_e32 v6, v6, v6
	v_max_f32_e32 v5, v5, v6
	v_cndmask_b32_e32 v6, v68, v7, vcc
	v_lshlrev_b32_e32 v82, 2, v6
	ds_bpermute_b32 v6, v82, v5
	v_xor_b32_e32 v7, 2, v68
	v_cmp_lt_i32_e32 vcc, v7, v69
	s_waitcnt lgkmcnt(0)
	v_max_f32_e32 v6, v6, v6
	v_max_f32_e32 v6, v5, v6
	v_cndmask_b32_e32 v5, v68, v7, vcc
	v_lshlrev_b32_e32 v81, 2, v5
	ds_bpermute_b32 v7, v81, v6
	v_cmp_eq_u32_e32 vcc, 0, v80
	v_lshlrev_b32_e32 v5, 2, v1
	s_and_saveexec_b64 s[0:1], vcc
	s_cbranch_execz .LBB213_14
; %bb.13:
	s_waitcnt lgkmcnt(0)
	v_max_f32_e32 v7, v7, v7
	v_max_f32_e32 v6, v6, v6
	v_max_f32_e32 v6, v6, v7
	ds_write_b32 v5, v6 offset:448
.LBB213_14:
	s_or_b64 exec, exec, s[0:1]
	v_cmp_gt_u32_e64 s[0:1], 2, v80
	s_waitcnt lgkmcnt(0)
	v_mov_b32_e32 v7, 0xff7fffff
	v_lshlrev_b32_e32 v6, 2, v80
	s_barrier
	s_and_saveexec_b64 s[2:3], s[0:1]
	s_cbranch_execz .LBB213_16
; %bb.15:
	ds_read_b32 v7, v6 offset:448
.LBB213_16:
	s_or_b64 exec, exec, s[2:3]
	v_xor_b32_e32 v8, 1, v68
	v_cmp_lt_i32_e64 s[2:3], v8, v69
	v_lshlrev_b32_e32 v9, 2, v68
	s_nop 0
	v_cndmask_b32_e64 v8, v68, v8, s[2:3]
	v_lshlrev_b32_e32 v83, 2, v8
	s_waitcnt lgkmcnt(0)
	ds_bpermute_b32 v8, v83, v7
	v_max_f32_e32 v7, v7, v7
	s_lshl_b32 s2, s19, 5
	s_min_i32 s30, s2, s17
	v_cmp_gt_i32_e64 s[2:3], s30, v0
	s_waitcnt lgkmcnt(0)
	v_max_f32_e32 v8, v8, v8
	v_max_f32_e32 v8, v7, v8
	v_and_b32_e32 v7, 0xffffff00, v9
	ds_bpermute_b32 v9, v7, v8
	v_mov_b32_e32 v8, 0
	s_and_saveexec_b64 s[14:15], s[2:3]
	s_cbranch_execz .LBB213_20
; %bb.17:
	v_mov_b32_e32 v8, 0x1d0
	v_lshl_add_u32 v10, v0, 2, v8
	s_mov_b64 s[28:29], 0
	v_mov_b32_e32 v8, 0
	v_mov_b32_e32 v11, v0
.LBB213_18:                             ; =>This Inner Loop Header: Depth=1
	ds_read_b32 v12, v10
	v_add_u32_e32 v11, 0x80, v11
	v_cmp_le_i32_e64 s[8:9], s30, v11
	s_or_b64 s[28:29], s[8:9], s[28:29]
	s_waitcnt lgkmcnt(0)
	v_sub_f32_e32 v12, v12, v9
	v_mul_f32_e32 v12, 0x3fb8aa3b, v12
	v_exp_f32_e32 v12, v12
	ds_write_b32 v10, v12
	v_add_f32_e32 v8, v8, v12
	v_add_u32_e32 v10, 0x200, v10
	s_andn2_b64 exec, exec, s[28:29]
	s_cbranch_execnz .LBB213_18
; %bb.19:
	s_or_b64 exec, exec, s[28:29]
.LBB213_20:
	s_or_b64 exec, exec, s[14:15]
	ds_bpermute_b32 v2, v2, v8
	s_waitcnt lgkmcnt(0)
	v_add_f32_e32 v2, v8, v2
	ds_bpermute_b32 v3, v3, v2
	s_waitcnt lgkmcnt(0)
	v_add_f32_e32 v2, v2, v3
	;; [unrolled: 3-line block ×6, first 2 shown]
	s_and_saveexec_b64 s[8:9], vcc
	s_cbranch_execz .LBB213_22
; %bb.21:
	ds_write_b32 v5, v2 offset:456
.LBB213_22:
	s_or_b64 exec, exec, s[8:9]
	s_waitcnt lgkmcnt(0)
	s_barrier
	s_and_saveexec_b64 s[8:9], s[0:1]
	s_cbranch_execz .LBB213_24
; %bb.23:
	ds_read_b32 v2, v6 offset:456
.LBB213_24:
	s_or_b64 exec, exec, s[8:9]
	s_waitcnt lgkmcnt(0)
	ds_bpermute_b32 v3, v83, v2
	s_waitcnt lgkmcnt(0)
	v_add_f32_e32 v2, v2, v3
	ds_bpermute_b32 v2, v7, v2
	s_and_saveexec_b64 s[0:1], s[2:3]
	s_cbranch_execz .LBB213_37
; %bb.25:
	s_waitcnt lgkmcnt(0)
	v_add_f32_e32 v2, 0x358637bd, v2
	v_div_scale_f32 v3, s[2:3], v2, v2, 1.0
	v_rcp_f32_e32 v4, v3
	v_div_scale_f32 v5, vcc, 1.0, v2, 1.0
	s_movk_i32 s2, 0x7f
	v_fma_f32 v6, -v3, v4, 1.0
	v_fmac_f32_e32 v4, v6, v4
	v_mul_f32_e32 v6, v5, v4
	v_fma_f32 v7, -v3, v6, v5
	v_fmac_f32_e32 v6, v7, v4
	v_fma_f32 v3, -v3, v6, v5
	v_div_fmas_f32 v3, v3, v4, v6
	v_xad_u32 v4, v0, -1, s30
	v_div_fixup_f32 v2, v3, v2, 1.0
	v_cmp_lt_u32_e32 vcc, s2, v4
	s_mov_b64 s[8:9], -1
	v_mov_b32_e32 v3, v0
	s_and_saveexec_b64 s[2:3], vcc
	s_cbranch_execz .LBB213_34
; %bb.26:
	v_lshrrev_b32_e32 v4, 7, v4
	v_add_u32_e32 v6, -1, v4
	v_lshrrev_b32_e32 v5, 1, v6
	v_mov_b32_e32 v3, v2
	v_add_u32_e32 v5, 1, v5
	v_cmp_lt_u32_e32 vcc, 13, v6
	v_mov_b32_e32 v8, 0
	s_and_saveexec_b64 s[8:9], vcc
	s_cbranch_execz .LBB213_30
; %bb.27:
	v_mov_b32_e32 v7, 0x1d0
	v_and_b32_e32 v6, -8, v5
	v_lshl_add_u32 v7, v0, 2, v7
	s_mov_b32 s28, 0
	s_mov_b64 s[14:15], 0
.LBB213_28:                             ; =>This Inner Loop Header: Depth=1
	ds_read2st64_b32 v[8:9], v7 offset1:2
	ds_read2st64_b32 v[10:11], v7 offset0:4 offset1:6
	ds_read2st64_b32 v[12:13], v7 offset0:8 offset1:10
	;; [unrolled: 1-line block ×3, first 2 shown]
	v_add_u32_e32 v6, -8, v6
	s_waitcnt lgkmcnt(3)
	v_pk_mul_f32 v[8:9], v[2:3], v[8:9]
	s_waitcnt lgkmcnt(2)
	v_pk_mul_f32 v[10:11], v[2:3], v[10:11]
	ds_write2st64_b32 v7, v8, v9 offset1:2
	ds_write2st64_b32 v7, v10, v11 offset0:4 offset1:6
	ds_read2st64_b32 v[10:11], v7 offset0:16 offset1:18
	s_waitcnt lgkmcnt(4)
	v_pk_mul_f32 v[8:9], v[2:3], v[12:13]
	ds_write2st64_b32 v7, v8, v9 offset0:8 offset1:10
	s_waitcnt lgkmcnt(4)
	v_pk_mul_f32 v[8:9], v[2:3], v[14:15]
	ds_write2st64_b32 v7, v8, v9 offset0:12 offset1:14
	ds_read2st64_b32 v[8:9], v7 offset0:20 offset1:22
	s_waitcnt lgkmcnt(3)
	v_pk_mul_f32 v[10:11], v[2:3], v[10:11]
	ds_read2st64_b32 v[12:13], v7 offset0:24 offset1:26
	ds_write2st64_b32 v7, v10, v11 offset0:16 offset1:18
	ds_read2st64_b32 v[10:11], v7 offset0:28 offset1:30
	s_waitcnt lgkmcnt(3)
	v_pk_mul_f32 v[8:9], v[2:3], v[8:9]
	ds_write2st64_b32 v7, v8, v9 offset0:20 offset1:22
	s_waitcnt lgkmcnt(3)
	v_pk_mul_f32 v[8:9], v[2:3], v[12:13]
	ds_write2st64_b32 v7, v8, v9 offset0:24 offset1:26
	s_waitcnt lgkmcnt(2)
	v_pk_mul_f32 v[8:9], v[2:3], v[10:11]
	s_add_i32 s28, s28, 16
	v_cmp_eq_u32_e32 vcc, 0, v6
	ds_write2st64_b32 v7, v8, v9 offset0:28 offset1:30
	v_add_u32_e32 v7, 0x2000, v7
	s_or_b64 s[14:15], vcc, s[14:15]
	v_mov_b32_e32 v8, s28
	s_andn2_b64 exec, exec, s[14:15]
	s_cbranch_execnz .LBB213_28
; %bb.29:
	s_or_b64 exec, exec, s[14:15]
.LBB213_30:
	s_or_b64 exec, exec, s[8:9]
	v_and_b32_e32 v5, 7, v5
	v_cmp_ne_u32_e32 vcc, 0, v5
	s_and_saveexec_b64 s[8:9], vcc
	s_cbranch_execz .LBB213_33
; %bb.31:
	v_lshlrev_b32_e32 v6, 9, v8
	s_movk_i32 s14, 0x1d0
	v_add3_u32 v6, v6, v66, s14
	s_mov_b64 s[14:15], 0
.LBB213_32:                             ; =>This Inner Loop Header: Depth=1
	ds_read2st64_b32 v[8:9], v6 offset1:2
	v_add_u32_e32 v5, -1, v5
	v_cmp_eq_u32_e32 vcc, 0, v5
	s_or_b64 s[14:15], vcc, s[14:15]
	s_waitcnt lgkmcnt(0)
	v_pk_mul_f32 v[8:9], v[2:3], v[8:9]
	ds_write2st64_b32 v6, v8, v9 offset1:2
	v_add_u32_e32 v6, 0x400, v6
	s_andn2_b64 exec, exec, s[14:15]
	s_cbranch_execnz .LBB213_32
.LBB213_33:
	s_or_b64 exec, exec, s[8:9]
	v_add_u32_e32 v4, 1, v4
	v_and_b32_e32 v5, 0x3fffffe, v4
	v_cmp_ne_u32_e32 vcc, v4, v5
	v_lshl_add_u32 v3, v5, 7, v0
	s_orn2_b64 s[8:9], vcc, exec
.LBB213_34:
	s_or_b64 exec, exec, s[2:3]
	s_and_b64 exec, exec, s[8:9]
	s_cbranch_execz .LBB213_37
; %bb.35:
	v_mov_b32_e32 v4, 0x1d0
	v_lshl_add_u32 v4, v3, 2, v4
	s_mov_b64 s[2:3], 0
.LBB213_36:                             ; =>This Inner Loop Header: Depth=1
	ds_read_b32 v5, v4
	v_add_u32_e32 v3, 0x80, v3
	v_cmp_le_i32_e32 vcc, s30, v3
	s_or_b64 s[2:3], vcc, s[2:3]
	s_waitcnt lgkmcnt(0)
	v_mul_f32_e32 v5, v2, v5
	ds_write_b32 v4, v5
	v_add_u32_e32 v4, 0x200, v4
	s_andn2_b64 exec, exec, s[2:3]
	s_cbranch_execnz .LBB213_36
.LBB213_37:
	s_or_b64 exec, exec, s[0:1]
	v_mov_b32_e32 v18, 0
	v_and_b32_e32 v84, 7, v0
	v_mov_b32_e32 v19, 0
	v_mov_b32_e32 v16, 0
	;; [unrolled: 1-line block ×13, first 2 shown]
	s_waitcnt lgkmcnt(0)
	s_barrier
	s_and_saveexec_b64 s[2:3], s[6:7]
	s_cbranch_execz .LBB213_69
; %bb.38:
	s_ashr_i32 s1, s33, 31
	s_load_dword s6, s[10:11], 0x0
	s_add_u32 s0, s26, s33
	s_addc_u32 s1, s27, s1
	v_and_b32_e32 v6, 0xfc, v66
	v_mov_b32_e32 v7, 0
	v_and_b32_e32 v2, 28, v66
	s_add_i32 s14, s19, -1
	v_lshl_add_u64 v[20:21], s[0:1], 0, v[6:7]
	v_lshlrev_b32_e32 v3, 5, v1
	s_lshl_b64 s[0:1], s[24:25], 2
	v_or3_b32 v85, v3, v2, 3
	v_lshlrev_b32_e32 v2, 4, v84
	s_add_u32 s0, s22, s0
	v_lshl_or_b32 v2, v1, 7, v2
	v_and_b32_e32 v6, 60, v67
	s_addc_u32 s1, s23, s1
	s_waitcnt lgkmcnt(0)
	s_mov_b32 s7, s6
	v_add_u32_e32 v86, 0x1d0, v2
	v_lshl_add_u64 v[22:23], s[0:1], 0, v[6:7]
	s_mov_b64 s[8:9], 0
	v_mov_b32_e32 v6, v7
	v_mov_b32_e32 v9, v7
	;; [unrolled: 1-line block ×13, first 2 shown]
	s_branch .LBB213_40
.LBB213_39:                             ;   in Loop: Header=BB213_40 Depth=1
	s_or_b64 exec, exec, s[0:1]
	s_waitcnt lgkmcnt(0)
	v_mul_f32_e32 v79, v3, v79
	v_mul_f32_e32 v75, v3, v75
	;; [unrolled: 1-line block ×14, first 2 shown]
	v_fmac_f32_e32 v79, v2, v78
	v_fmac_f32_e32 v75, v2, v74
	;; [unrolled: 1-line block ×28, first 2 shown]
	v_add_u32_e32 v1, 2, v1
	v_fmac_f32_e32 v79, v5, v77
	v_fmac_f32_e32 v75, v5, v73
	;; [unrolled: 1-line block ×14, first 2 shown]
	v_cmp_le_i32_e32 vcc, s19, v1
	v_add_f32_e32 v6, v6, v79
	v_add_f32_e32 v9, v9, v75
	;; [unrolled: 1-line block ×14, first 2 shown]
	v_add_u32_e32 v85, 64, v85
	v_add_u32_e32 v86, 0x100, v86
	s_or_b64 s[8:9], vcc, s[8:9]
	v_lshl_add_u64 v[22:23], v[22:23], 0, 8
	s_andn2_b64 exec, exec, s[8:9]
	s_cbranch_execz .LBB213_68
.LBB213_40:                             ; =>This Inner Loop Header: Depth=1
	global_load_dword v2, v[22:23], off
	v_add_u32_e32 v87, -3, v85
	v_cmp_eq_u32_e32 vcc, s14, v1
	v_add_u32_e32 v88, -2, v85
	v_add_u32_e32 v89, -1, v85
	s_waitcnt vmcnt(0)
	v_mad_i64_i32 v[36:37], s[0:1], v2, s13, v[20:21]
	global_load_dword v24, v[36:37], off
	ds_read_b128 v[2:5], v86
	s_waitcnt vmcnt(0)
	v_and_b32_e32 v25, 0xffff, v24
	v_lshrrev_b32_e32 v26, 16, v24
	v_cvt_pk_f32_fp8_e32 v[24:25], v25
	v_cvt_pk_f32_fp8_e32 v[28:29], v26
	v_pk_mul_f32 v[26:27], s[6:7], v[24:25]
	v_pk_mul_f32 v[24:25], s[6:7], v[28:29]
	s_and_saveexec_b64 s[10:11], vcc
; %bb.41:                               ;   in Loop: Header=BB213_40 Depth=1
	v_cmp_gt_i32_e64 s[0:1], s17, v87
	s_nop 1
	v_cndmask_b32_e64 v26, 0, v26, s[0:1]
	v_cmp_gt_i32_e64 s[0:1], s17, v88
	s_nop 1
	v_cndmask_b32_e64 v27, 0, v27, s[0:1]
	v_cmp_gt_i32_e64 s[0:1], s17, v89
	s_nop 1
	v_cndmask_b32_e64 v24, 0, v24, s[0:1]
	v_cmp_gt_i32_e64 s[0:1], s17, v85
	s_nop 1
	v_cndmask_b32_e64 v25, 0, v25, s[0:1]
; %bb.42:                               ;   in Loop: Header=BB213_40 Depth=1
	s_or_b64 exec, exec, s[10:11]
	global_load_dword v28, v[36:37], off offset:256
	s_waitcnt vmcnt(0)
	v_and_b32_e32 v29, 0xffff, v28
	v_lshrrev_b32_e32 v30, 16, v28
	v_cvt_pk_f32_fp8_e32 v[28:29], v29
	v_cvt_pk_f32_fp8_e32 v[32:33], v30
	v_pk_mul_f32 v[30:31], s[6:7], v[28:29]
	v_pk_mul_f32 v[28:29], s[6:7], v[32:33]
	s_and_saveexec_b64 s[10:11], vcc
; %bb.43:                               ;   in Loop: Header=BB213_40 Depth=1
	v_cmp_gt_i32_e64 s[0:1], s17, v87
	s_nop 1
	v_cndmask_b32_e64 v30, 0, v30, s[0:1]
	v_cmp_gt_i32_e64 s[0:1], s17, v88
	s_nop 1
	v_cndmask_b32_e64 v31, 0, v31, s[0:1]
	v_cmp_gt_i32_e64 s[0:1], s17, v89
	s_nop 1
	v_cndmask_b32_e64 v28, 0, v28, s[0:1]
	v_cmp_gt_i32_e64 s[0:1], s17, v85
	s_nop 1
	v_cndmask_b32_e64 v29, 0, v29, s[0:1]
; %bb.44:                               ;   in Loop: Header=BB213_40 Depth=1
	s_or_b64 exec, exec, s[10:11]
	global_load_dword v32, v[36:37], off offset:512
	;; [unrolled: 24-line block ×13, first 2 shown]
	s_waitcnt vmcnt(0)
	v_and_b32_e32 v37, 0xffff, v36
	v_lshrrev_b32_e32 v70, 16, v36
	v_cvt_pk_f32_fp8_e32 v[36:37], v37
	v_cvt_pk_f32_fp8_e32 v[90:91], v70
	v_pk_mul_f32 v[70:71], s[6:7], v[36:37]
	v_pk_mul_f32 v[36:37], s[6:7], v[90:91]
	s_and_saveexec_b64 s[0:1], vcc
	s_cbranch_execz .LBB213_39
; %bb.67:                               ;   in Loop: Header=BB213_40 Depth=1
	v_cmp_gt_i32_e32 vcc, s17, v87
	s_nop 1
	v_cndmask_b32_e32 v70, 0, v70, vcc
	v_cmp_gt_i32_e32 vcc, s17, v88
	s_nop 1
	v_cndmask_b32_e32 v71, 0, v71, vcc
	;; [unrolled: 3-line block ×4, first 2 shown]
	s_branch .LBB213_39
.LBB213_68:
	s_or_b64 exec, exec, s[8:9]
.LBB213_69:
	s_or_b64 exec, exec, s[2:3]
	ds_bpermute_b32 v2, v82, v18
	ds_bpermute_b32 v3, v82, v19
	;; [unrolled: 1-line block ×6, first 2 shown]
	s_waitcnt lgkmcnt(4)
	v_pk_add_f32 v[2:3], v[18:19], v[2:3]
	ds_bpermute_b32 v18, v81, v2
	s_waitcnt lgkmcnt(3)
	v_pk_add_f32 v[4:5], v[16:17], v[4:5]
	ds_bpermute_b32 v19, v81, v3
	ds_bpermute_b32 v16, v81, v4
	;; [unrolled: 1-line block ×3, first 2 shown]
	s_waitcnt lgkmcnt(4)
	v_pk_add_f32 v[14:15], v[14:15], v[20:21]
	ds_bpermute_b32 v20, v81, v14
	s_waitcnt lgkmcnt(3)
	v_pk_add_f32 v[2:3], v[2:3], v[18:19]
	ds_bpermute_b32 v18, v83, v2
	;; [unrolled: 3-line block ×3, first 2 shown]
	ds_bpermute_b32 v22, v83, v16
	ds_bpermute_b32 v23, v83, v17
	;; [unrolled: 1-line block ×3, first 2 shown]
	v_and_b32_e32 v1, 0x3c7, v0
	s_waitcnt lgkmcnt(3)
	v_pk_add_f32 v[4:5], v[2:3], v[18:19]
	v_cmp_ne_u32_e32 vcc, 64, v1
	s_waitcnt lgkmcnt(1)
	v_pk_add_f32 v[2:3], v[16:17], v[22:23]
	ds_bpermute_b32 v16, v82, v12
	ds_bpermute_b32 v17, v82, v13
	s_waitcnt lgkmcnt(2)
	v_pk_add_f32 v[14:15], v[14:15], v[20:21]
	ds_bpermute_b32 v20, v82, v10
	ds_bpermute_b32 v21, v82, v11
	;; [unrolled: 1-line block ×3, first 2 shown]
	s_waitcnt lgkmcnt(3)
	v_pk_add_f32 v[12:13], v[12:13], v[16:17]
	ds_bpermute_b32 v16, v81, v12
	ds_bpermute_b32 v17, v81, v13
	s_waitcnt lgkmcnt(3)
	v_pk_add_f32 v[10:11], v[10:11], v[20:21]
	ds_bpermute_b32 v23, v82, v9
	ds_bpermute_b32 v20, v81, v10
	;; [unrolled: 1-line block ×3, first 2 shown]
	s_waitcnt lgkmcnt(3)
	v_pk_add_f32 v[16:17], v[12:13], v[16:17]
	ds_bpermute_b32 v12, v82, v6
	ds_bpermute_b32 v13, v82, v7
	s_waitcnt lgkmcnt(4)
	v_pk_add_f32 v[8:9], v[8:9], v[22:23]
	s_waitcnt lgkmcnt(2)
	v_pk_add_f32 v[20:21], v[10:11], v[20:21]
	ds_bpermute_b32 v10, v81, v8
	ds_bpermute_b32 v11, v81, v9
	s_waitcnt lgkmcnt(2)
	v_pk_add_f32 v[30:31], v[6:7], v[12:13]
	ds_bpermute_b32 v18, v83, v14
	ds_bpermute_b32 v19, v83, v15
	ds_bpermute_b32 v32, v81, v30
	ds_bpermute_b32 v33, v81, v31
	ds_bpermute_b32 v24, v83, v16
	ds_bpermute_b32 v25, v83, v17
	s_waitcnt lgkmcnt(6)
	v_pk_add_f32 v[26:27], v[8:9], v[10:11]
	ds_bpermute_b32 v22, v83, v20
	ds_bpermute_b32 v23, v83, v21
	;; [unrolled: 1-line block ×4, first 2 shown]
	s_waitcnt lgkmcnt(8)
	v_pk_add_f32 v[12:13], v[14:15], v[18:19]
	s_waitcnt lgkmcnt(6)
	v_pk_add_f32 v[14:15], v[30:31], v[32:33]
	;; [unrolled: 2-line block ×3, first 2 shown]
	ds_bpermute_b32 v16, v83, v14
	ds_bpermute_b32 v17, v83, v15
	s_waitcnt lgkmcnt(4)
	v_pk_add_f32 v[8:9], v[20:21], v[22:23]
	s_waitcnt lgkmcnt(2)
	v_pk_add_f32 v[6:7], v[26:27], v[28:29]
	s_waitcnt lgkmcnt(0)
	s_barrier
	s_and_saveexec_b64 s[0:1], vcc
	s_xor_b64 s[0:1], exec, s[0:1]
; %bb.70:
                                        ; implicit-def: $vgpr80
; %bb.71:
	s_or_saveexec_b64 s[0:1], s[0:1]
	v_pk_add_f32 v[14:15], v[14:15], v[16:17]
	s_xor_b64 exec, exec, s[0:1]
	s_cbranch_execz .LBB213_73
; %bb.72:
	v_lshrrev_b32_e32 v16, 1, v80
	v_add_u32_e32 v16, 0x1d0, v16
	ds_write2_b32 v16, v4, v5 offset1:8
	ds_write2_b32 v16, v2, v3 offset0:16 offset1:24
	ds_write2_b32 v16, v12, v13 offset0:32 offset1:40
	;; [unrolled: 1-line block ×6, first 2 shown]
.LBB213_73:
	s_or_b64 exec, exec, s[0:1]
	v_cmp_gt_u32_e32 vcc, 64, v0
	s_waitcnt lgkmcnt(0)
	s_barrier
	s_and_saveexec_b64 s[0:1], vcc
	s_cbranch_execz .LBB213_90
; %bb.74:
	v_cmp_eq_u32_e32 vcc, 0, v84
	v_lshrrev_b32_e32 v16, 3, v0
	s_and_saveexec_b64 s[2:3], vcc
	s_cbranch_execnz .LBB213_93
; %bb.75:
	s_or_b64 exec, exec, s[2:3]
	s_and_saveexec_b64 s[2:3], vcc
	s_cbranch_execnz .LBB213_94
.LBB213_76:
	s_or_b64 exec, exec, s[2:3]
	s_and_saveexec_b64 s[2:3], vcc
	s_cbranch_execnz .LBB213_95
.LBB213_77:
	s_or_b64 exec, exec, s[2:3]
	s_and_saveexec_b64 s[2:3], vcc
	s_cbranch_execnz .LBB213_96
.LBB213_78:
	s_or_b64 exec, exec, s[2:3]
	s_and_saveexec_b64 s[2:3], vcc
	s_cbranch_execnz .LBB213_97
.LBB213_79:
	s_or_b64 exec, exec, s[2:3]
	s_and_saveexec_b64 s[2:3], vcc
	s_cbranch_execnz .LBB213_98
.LBB213_80:
	s_or_b64 exec, exec, s[2:3]
	s_and_saveexec_b64 s[2:3], vcc
	s_cbranch_execnz .LBB213_99
.LBB213_81:
	s_or_b64 exec, exec, s[2:3]
	s_and_saveexec_b64 s[2:3], vcc
	s_cbranch_execnz .LBB213_100
.LBB213_82:
	s_or_b64 exec, exec, s[2:3]
	s_and_saveexec_b64 s[2:3], vcc
	s_cbranch_execnz .LBB213_101
.LBB213_83:
	s_or_b64 exec, exec, s[2:3]
	s_and_saveexec_b64 s[2:3], vcc
	s_cbranch_execnz .LBB213_102
.LBB213_84:
	s_or_b64 exec, exec, s[2:3]
	s_and_saveexec_b64 s[2:3], vcc
	s_cbranch_execnz .LBB213_103
.LBB213_85:
	s_or_b64 exec, exec, s[2:3]
	s_and_saveexec_b64 s[2:3], vcc
	s_cbranch_execnz .LBB213_104
.LBB213_86:
	s_or_b64 exec, exec, s[2:3]
	s_and_saveexec_b64 s[2:3], vcc
	s_cbranch_execnz .LBB213_105
.LBB213_87:
	s_or_b64 exec, exec, s[2:3]
	s_and_saveexec_b64 s[2:3], vcc
	s_cbranch_execz .LBB213_89
.LBB213_88:
	v_mov_b32_e32 v17, 0x1d0
	v_lshl_add_u32 v16, v16, 2, v17
	ds_read_b32 v16, v16 offset:416
	s_waitcnt lgkmcnt(0)
	v_add_f32_e32 v15, v15, v16
.LBB213_89:
	s_or_b64 exec, exec, s[2:3]
.LBB213_90:
	s_or_b64 exec, exec, s[0:1]
	v_cmp_eq_u32_e32 vcc, 0, v1
	s_barrier
	s_and_saveexec_b64 s[0:1], vcc
	s_cbranch_execz .LBB213_92
; %bb.91:
	s_mul_i32 s0, s16, s12
	s_mul_i32 s0, s0, s5
	s_mulk_i32 s0, 0x70
	s_ashr_i32 s1, s0, 31
	s_lshl_b64 s[0:1], s[0:1], 2
	s_add_u32 s2, s20, s0
	s_mul_i32 s0, s12, s18
	s_addc_u32 s3, s21, s1
	s_ashr_i32 s1, s0, 31
	s_lshl_b64 s[0:1], s[0:1], 2
	s_add_u32 s2, s2, s0
	s_mul_i32 s0, s4, 0x70
	s_addc_u32 s3, s3, s1
	s_ashr_i32 s1, s0, 31
	s_lshl_b64 s[0:1], s[0:1], 2
	s_add_u32 s0, s2, s0
	s_addc_u32 s1, s3, s1
	v_lshrrev_b32_e32 v0, 1, v0
	global_store_dword v0, v4, s[0:1]
	global_store_dword v0, v5, s[0:1] offset:32
	global_store_dword v0, v2, s[0:1] offset:64
	;; [unrolled: 1-line block ×13, first 2 shown]
.LBB213_92:
	s_endpgm
.LBB213_93:
	v_mov_b32_e32 v17, 0x1d0
	v_lshl_add_u32 v17, v16, 2, v17
	ds_read_b32 v17, v17
	s_waitcnt lgkmcnt(0)
	v_add_f32_e32 v4, v4, v17
	s_or_b64 exec, exec, s[2:3]
	s_and_saveexec_b64 s[2:3], vcc
	s_cbranch_execz .LBB213_76
.LBB213_94:
	v_mov_b32_e32 v17, 0x1d0
	v_lshl_add_u32 v17, v16, 2, v17
	ds_read_b32 v17, v17 offset:32
	s_waitcnt lgkmcnt(0)
	v_add_f32_e32 v5, v5, v17
	s_or_b64 exec, exec, s[2:3]
	s_and_saveexec_b64 s[2:3], vcc
	s_cbranch_execz .LBB213_77
.LBB213_95:
	v_mov_b32_e32 v17, 0x1d0
	v_lshl_add_u32 v17, v16, 2, v17
	ds_read_b32 v17, v17 offset:64
	s_waitcnt lgkmcnt(0)
	v_add_f32_e32 v2, v2, v17
	s_or_b64 exec, exec, s[2:3]
	s_and_saveexec_b64 s[2:3], vcc
	s_cbranch_execz .LBB213_78
.LBB213_96:
	v_mov_b32_e32 v17, 0x1d0
	v_lshl_add_u32 v17, v16, 2, v17
	ds_read_b32 v17, v17 offset:96
	s_waitcnt lgkmcnt(0)
	v_add_f32_e32 v3, v3, v17
	s_or_b64 exec, exec, s[2:3]
	s_and_saveexec_b64 s[2:3], vcc
	s_cbranch_execz .LBB213_79
.LBB213_97:
	v_mov_b32_e32 v17, 0x1d0
	v_lshl_add_u32 v17, v16, 2, v17
	ds_read_b32 v17, v17 offset:128
	s_waitcnt lgkmcnt(0)
	v_add_f32_e32 v12, v12, v17
	s_or_b64 exec, exec, s[2:3]
	s_and_saveexec_b64 s[2:3], vcc
	s_cbranch_execz .LBB213_80
.LBB213_98:
	v_mov_b32_e32 v17, 0x1d0
	v_lshl_add_u32 v17, v16, 2, v17
	ds_read_b32 v17, v17 offset:160
	s_waitcnt lgkmcnt(0)
	v_add_f32_e32 v13, v13, v17
	s_or_b64 exec, exec, s[2:3]
	s_and_saveexec_b64 s[2:3], vcc
	s_cbranch_execz .LBB213_81
.LBB213_99:
	v_mov_b32_e32 v17, 0x1d0
	v_lshl_add_u32 v17, v16, 2, v17
	ds_read_b32 v17, v17 offset:192
	s_waitcnt lgkmcnt(0)
	v_add_f32_e32 v10, v10, v17
	s_or_b64 exec, exec, s[2:3]
	s_and_saveexec_b64 s[2:3], vcc
	s_cbranch_execz .LBB213_82
.LBB213_100:
	v_mov_b32_e32 v17, 0x1d0
	v_lshl_add_u32 v17, v16, 2, v17
	ds_read_b32 v17, v17 offset:224
	s_waitcnt lgkmcnt(0)
	v_add_f32_e32 v11, v11, v17
	s_or_b64 exec, exec, s[2:3]
	s_and_saveexec_b64 s[2:3], vcc
	s_cbranch_execz .LBB213_83
.LBB213_101:
	v_mov_b32_e32 v17, 0x1d0
	v_lshl_add_u32 v17, v16, 2, v17
	ds_read_b32 v17, v17 offset:256
	s_waitcnt lgkmcnt(0)
	v_add_f32_e32 v8, v8, v17
	s_or_b64 exec, exec, s[2:3]
	s_and_saveexec_b64 s[2:3], vcc
	s_cbranch_execz .LBB213_84
.LBB213_102:
	v_mov_b32_e32 v17, 0x1d0
	v_lshl_add_u32 v17, v16, 2, v17
	ds_read_b32 v17, v17 offset:288
	s_waitcnt lgkmcnt(0)
	v_add_f32_e32 v9, v9, v17
	s_or_b64 exec, exec, s[2:3]
	s_and_saveexec_b64 s[2:3], vcc
	s_cbranch_execz .LBB213_85
.LBB213_103:
	v_mov_b32_e32 v17, 0x1d0
	v_lshl_add_u32 v17, v16, 2, v17
	ds_read_b32 v17, v17 offset:320
	s_waitcnt lgkmcnt(0)
	v_add_f32_e32 v6, v6, v17
	s_or_b64 exec, exec, s[2:3]
	s_and_saveexec_b64 s[2:3], vcc
	s_cbranch_execz .LBB213_86
.LBB213_104:
	v_mov_b32_e32 v17, 0x1d0
	v_lshl_add_u32 v17, v16, 2, v17
	ds_read_b32 v17, v17 offset:352
	s_waitcnt lgkmcnt(0)
	v_add_f32_e32 v7, v7, v17
	s_or_b64 exec, exec, s[2:3]
	s_and_saveexec_b64 s[2:3], vcc
	s_cbranch_execz .LBB213_87
.LBB213_105:
	v_mov_b32_e32 v17, 0x1d0
	v_lshl_add_u32 v17, v16, 2, v17
	ds_read_b32 v17, v17 offset:384
	s_waitcnt lgkmcnt(0)
	v_add_f32_e32 v14, v14, v17
	s_or_b64 exec, exec, s[2:3]
	s_and_saveexec_b64 s[2:3], vcc
	s_cbranch_execnz .LBB213_88
	s_branch .LBB213_89
	.section	.rodata,"a",@progbits
	.p2align	6, 0x0
	.amdhsa_kernel _ZN4vllm25paged_attention_v1_kernelIfhLi112ELi32ELi128ELNS_18Fp8KVCacheDataTypeE1ELb0EEEvPT_PKS2_PKT0_S8_ifPKiSA_iPKfiiiSC_SC_iiiii
		.amdhsa_group_segment_fixed_size 464
		.amdhsa_private_segment_fixed_size 0
		.amdhsa_kernarg_size 384
		.amdhsa_user_sgpr_count 2
		.amdhsa_user_sgpr_dispatch_ptr 0
		.amdhsa_user_sgpr_queue_ptr 0
		.amdhsa_user_sgpr_kernarg_segment_ptr 1
		.amdhsa_user_sgpr_dispatch_id 0
		.amdhsa_user_sgpr_kernarg_preload_length 0
		.amdhsa_user_sgpr_kernarg_preload_offset 0
		.amdhsa_user_sgpr_private_segment_size 0
		.amdhsa_uses_dynamic_stack 0
		.amdhsa_enable_private_segment 0
		.amdhsa_system_sgpr_workgroup_id_x 1
		.amdhsa_system_sgpr_workgroup_id_y 1
		.amdhsa_system_sgpr_workgroup_id_z 1
		.amdhsa_system_sgpr_workgroup_info 0
		.amdhsa_system_vgpr_workitem_id 0
		.amdhsa_next_free_vgpr 108
		.amdhsa_next_free_sgpr 38
		.amdhsa_accum_offset 108
		.amdhsa_reserve_vcc 1
		.amdhsa_float_round_mode_32 0
		.amdhsa_float_round_mode_16_64 0
		.amdhsa_float_denorm_mode_32 3
		.amdhsa_float_denorm_mode_16_64 3
		.amdhsa_dx10_clamp 1
		.amdhsa_ieee_mode 1
		.amdhsa_fp16_overflow 0
		.amdhsa_tg_split 0
		.amdhsa_exception_fp_ieee_invalid_op 0
		.amdhsa_exception_fp_denorm_src 0
		.amdhsa_exception_fp_ieee_div_zero 0
		.amdhsa_exception_fp_ieee_overflow 0
		.amdhsa_exception_fp_ieee_underflow 0
		.amdhsa_exception_fp_ieee_inexact 0
		.amdhsa_exception_int_div_zero 0
	.end_amdhsa_kernel
	.section	.text._ZN4vllm25paged_attention_v1_kernelIfhLi112ELi32ELi128ELNS_18Fp8KVCacheDataTypeE1ELb0EEEvPT_PKS2_PKT0_S8_ifPKiSA_iPKfiiiSC_SC_iiiii,"axG",@progbits,_ZN4vllm25paged_attention_v1_kernelIfhLi112ELi32ELi128ELNS_18Fp8KVCacheDataTypeE1ELb0EEEvPT_PKS2_PKT0_S8_ifPKiSA_iPKfiiiSC_SC_iiiii,comdat
.Lfunc_end213:
	.size	_ZN4vllm25paged_attention_v1_kernelIfhLi112ELi32ELi128ELNS_18Fp8KVCacheDataTypeE1ELb0EEEvPT_PKS2_PKT0_S8_ifPKiSA_iPKfiiiSC_SC_iiiii, .Lfunc_end213-_ZN4vllm25paged_attention_v1_kernelIfhLi112ELi32ELi128ELNS_18Fp8KVCacheDataTypeE1ELb0EEEvPT_PKS2_PKT0_S8_ifPKiSA_iPKfiiiSC_SC_iiiii
                                        ; -- End function
	.section	.AMDGPU.csdata,"",@progbits
; Kernel info:
; codeLenInByte = 7556
; NumSgprs: 44
; NumVgprs: 108
; NumAgprs: 0
; TotalNumVgprs: 108
; ScratchSize: 0
; MemoryBound: 0
; FloatMode: 240
; IeeeMode: 1
; LDSByteSize: 464 bytes/workgroup (compile time only)
; SGPRBlocks: 5
; VGPRBlocks: 13
; NumSGPRsForWavesPerEU: 44
; NumVGPRsForWavesPerEU: 108
; AccumOffset: 108
; Occupancy: 4
; WaveLimiterHint : 1
; COMPUTE_PGM_RSRC2:SCRATCH_EN: 0
; COMPUTE_PGM_RSRC2:USER_SGPR: 2
; COMPUTE_PGM_RSRC2:TRAP_HANDLER: 0
; COMPUTE_PGM_RSRC2:TGID_X_EN: 1
; COMPUTE_PGM_RSRC2:TGID_Y_EN: 1
; COMPUTE_PGM_RSRC2:TGID_Z_EN: 1
; COMPUTE_PGM_RSRC2:TIDIG_COMP_CNT: 0
; COMPUTE_PGM_RSRC3_GFX90A:ACCUM_OFFSET: 26
; COMPUTE_PGM_RSRC3_GFX90A:TG_SPLIT: 0
	.section	.text._ZN4vllm25paged_attention_v1_kernelIfhLi120ELi32ELi128ELNS_18Fp8KVCacheDataTypeE1ELb0EEEvPT_PKS2_PKT0_S8_ifPKiSA_iPKfiiiSC_SC_iiiii,"axG",@progbits,_ZN4vllm25paged_attention_v1_kernelIfhLi120ELi32ELi128ELNS_18Fp8KVCacheDataTypeE1ELb0EEEvPT_PKS2_PKT0_S8_ifPKiSA_iPKfiiiSC_SC_iiiii,comdat
	.protected	_ZN4vllm25paged_attention_v1_kernelIfhLi120ELi32ELi128ELNS_18Fp8KVCacheDataTypeE1ELb0EEEvPT_PKS2_PKT0_S8_ifPKiSA_iPKfiiiSC_SC_iiiii ; -- Begin function _ZN4vllm25paged_attention_v1_kernelIfhLi120ELi32ELi128ELNS_18Fp8KVCacheDataTypeE1ELb0EEEvPT_PKS2_PKT0_S8_ifPKiSA_iPKfiiiSC_SC_iiiii
	.globl	_ZN4vllm25paged_attention_v1_kernelIfhLi120ELi32ELi128ELNS_18Fp8KVCacheDataTypeE1ELb0EEEvPT_PKS2_PKT0_S8_ifPKiSA_iPKfiiiSC_SC_iiiii
	.p2align	8
	.type	_ZN4vllm25paged_attention_v1_kernelIfhLi120ELi32ELi128ELNS_18Fp8KVCacheDataTypeE1ELb0EEEvPT_PKS2_PKT0_S8_ifPKiSA_iPKfiiiSC_SC_iiiii,@function
_ZN4vllm25paged_attention_v1_kernelIfhLi120ELi32ELi128ELNS_18Fp8KVCacheDataTypeE1ELb0EEEvPT_PKS2_PKT0_S8_ifPKiSA_iPKfiiiSC_SC_iiiii: ; @_ZN4vllm25paged_attention_v1_kernelIfhLi120ELi32ELi128ELNS_18Fp8KVCacheDataTypeE1ELb0EEEvPT_PKS2_PKT0_S8_ifPKiSA_iPKfiiiSC_SC_iiiii
; %bb.0:
	s_load_dword s5, s[0:1], 0x80
	s_load_dwordx2 s[6:7], s[0:1], 0x30
	s_load_dwordx2 s[28:29], s[0:1], 0x20
	s_mov_b32 s16, s3
	s_ashr_i32 s17, s3, 31
	s_lshl_b64 s[8:9], s[16:17], 2
	s_waitcnt lgkmcnt(0)
	s_add_u32 s6, s6, s8
	s_addc_u32 s7, s7, s9
	s_abs_i32 s3, s28
	v_cvt_f32_u32_e32 v1, s3
	s_sub_i32 s10, 0, s3
	s_abs_i32 s9, s5
	s_xor_b32 s8, s5, s28
	v_rcp_iflag_f32_e32 v1, v1
	s_ashr_i32 s8, s8, 31
	s_mov_b32 s28, 0
	v_mul_f32_e32 v1, 0x4f7ffffe, v1
	v_cvt_u32_f32_e32 v1, v1
	s_nop 0
	v_readfirstlane_b32 s11, v1
	s_mul_i32 s10, s10, s11
	s_mul_hi_u32 s10, s11, s10
	s_add_i32 s11, s11, s10
	s_mul_hi_u32 s10, s9, s11
	s_mul_i32 s11, s10, s3
	s_sub_i32 s9, s9, s11
	s_add_i32 s11, s10, 1
	s_sub_i32 s12, s9, s3
	s_cmp_ge_u32 s9, s3
	s_cselect_b32 s10, s11, s10
	s_cselect_b32 s9, s12, s9
	s_add_i32 s11, s10, 1
	s_cmp_ge_u32 s9, s3
	s_cselect_b32 s3, s11, s10
	s_xor_b32 s3, s3, s8
	s_sub_i32 s12, s3, s8
	s_abs_i32 s10, s12
	v_cvt_f32_u32_e32 v1, s10
	s_load_dwordx2 s[8:9], s[0:1], 0x40
	s_sub_i32 s3, 0, s10
	s_abs_i32 s11, s2
	v_rcp_iflag_f32_e32 v1, v1
	s_nop 0
	v_mul_f32_e32 v1, 0x4f7ffffe, v1
	v_cvt_u32_f32_e32 v1, v1
	s_nop 0
	v_readfirstlane_b32 s13, v1
	s_mul_i32 s3, s3, s13
	s_mul_hi_u32 s3, s13, s3
	s_add_i32 s13, s13, s3
	s_waitcnt lgkmcnt(0)
	s_cmp_eq_u64 s[8:9], 0
	s_mul_hi_u32 s20, s11, s13
	s_cbranch_scc1 .LBB214_2
; %bb.1:
	s_ashr_i32 s3, s2, 31
	s_lshl_b64 s[14:15], s[2:3], 2
	s_add_u32 s8, s8, s14
	s_addc_u32 s9, s9, s15
	s_load_dword s28, s[8:9], 0x0
.LBB214_2:
	s_load_dword s17, s[6:7], 0x0
	s_ashr_i32 s7, s12, 31
	s_load_dwordx4 s[12:15], s[0:1], 0x48
	s_ashr_i32 s6, s2, 31
	v_and_b32_e32 v42, 1, v0
	s_mul_i32 s18, s2, 0x78
	v_cmp_gt_u32_e32 vcc, 60, v0
	v_lshlrev_b32_e32 v70, 2, v0
	s_and_saveexec_b64 s[2:3], vcc
	s_cbranch_execz .LBB214_4
; %bb.3:
	s_load_dwordx2 s[8:9], s[0:1], 0x8
	s_waitcnt lgkmcnt(0)
	s_mul_i32 s22, s16, s12
	s_ashr_i32 s23, s22, 31
	s_lshl_b64 s[22:23], s[22:23], 2
	v_lshlrev_b32_e32 v1, 3, v0
	s_add_u32 s12, s8, s22
	s_addc_u32 s15, s9, s23
	s_ashr_i32 s19, s18, 31
	s_lshl_b64 s[8:9], s[18:19], 2
	s_add_u32 s8, s12, s8
	s_addc_u32 s9, s15, s9
	global_load_dwordx2 v[2:3], v1, s[8:9]
	v_and_b32_e32 v1, 0xff8, v70
	s_movk_i32 s8, 0xf0
	v_mad_u32_u24 v1, v42, s8, v1
	s_waitcnt vmcnt(0)
	ds_write_b64 v1, v[2:3]
.LBB214_4:
	s_or_b64 exec, exec, s[2:3]
	s_waitcnt lgkmcnt(0)
	s_add_i32 s3, s17, 31
	s_ashr_i32 s8, s3, 31
	s_lshr_b32 s8, s8, 27
	s_add_i32 s3, s3, s8
	s_ashr_i32 s19, s3, 5
	s_xor_b32 s3, s6, s7
	s_mul_i32 s6, s20, s10
	s_sub_i32 s6, s11, s6
	s_add_i32 s7, s20, 1
	s_sub_i32 s8, s6, s10
	s_load_dwordx2 s[22:23], s[0:1], 0x28
	s_load_dword s2, s[0:1], 0x38
	s_cmp_ge_u32 s6, s10
	s_cselect_b32 s7, s7, s20
	s_cselect_b32 s6, s8, s6
	s_add_i32 s8, s7, 1
	s_cmp_ge_u32 s6, s10
	s_cselect_b32 s6, s8, s7
	v_lshrrev_b32_e32 v1, 6, v0
	s_xor_b32 s6, s6, s3
	s_waitcnt lgkmcnt(0)
	s_mul_i32 s24, s16, s2
	s_sub_i32 s33, s6, s3
	s_ashr_i32 s25, s24, 31
	v_cmp_gt_i32_e64 s[6:7], s19, v1
	v_cmp_le_i32_e32 vcc, s19, v1
	v_mbcnt_lo_u32_b32 v43, -1, 0
	s_barrier
	s_waitcnt lgkmcnt(0)
                                        ; implicit-def: $sgpr15
                                        ; implicit-def: $vgpr72
                                        ; implicit-def: $vgpr73
	s_and_saveexec_b64 s[2:3], vcc
	s_xor_b64 s[2:3], exec, s[2:3]
; %bb.5:
	v_mbcnt_hi_u32_b32 v72, -1, v43
	v_and_b32_e32 v2, 64, v72
	v_add_u32_e32 v73, 64, v2
	s_mov_b32 s15, 0xff7fffff
                                        ; implicit-def: $vgpr42
                                        ; implicit-def: $vgpr43
; %bb.6:
	s_or_saveexec_b64 s[30:31], s[2:3]
	s_load_dwordx2 s[20:21], s[0:1], 0x0
	s_load_dwordx2 s[26:27], s[0:1], 0x18
	s_load_dword s12, s[0:1], 0x88
	s_load_dwordx4 s[8:11], s[0:1], 0x58
	v_mov_b32_e32 v75, s15
	s_mul_i32 s33, s33, s14
	v_lshrrev_b32_e32 v71, 4, v0
	s_xor_b64 exec, exec, s[30:31]
	s_cbranch_execz .LBB214_12
; %bb.7:
	s_load_dwordx2 s[0:1], s[0:1], 0x10
	v_mul_u32_u24_e32 v58, 0xf0, v42
	v_mbcnt_hi_u32_b32 v72, -1, v43
	s_ashr_i32 s2, s33, 31
	ds_read_b128 v[2:5], v58
	ds_read_b128 v[6:9], v58 offset:16
	ds_read_b128 v[10:13], v58 offset:32
	;; [unrolled: 1-line block ×9, first 2 shown]
	v_and_b32_e32 v45, 64, v72
	v_bfe_u32 v44, v0, 1, 5
	s_waitcnt lgkmcnt(0)
	s_add_u32 s0, s0, s33
	v_xor_b32_e32 v43, 1, v72
	v_add_u32_e32 v73, 64, v45
	v_lshlrev_b32_e32 v62, 4, v44
	s_addc_u32 s1, s1, s2
	v_mov_b32_e32 v63, 0
	v_cmp_lt_i32_e32 vcc, v43, v73
	v_lshl_add_u64 v[64:65], s[0:1], 0, v[62:63]
	v_lshlrev_b32_e32 v62, 1, v42
	v_cndmask_b32_e32 v43, v72, v43, vcc
	v_cmp_eq_u32_e32 vcc, 0, v42
	v_lshlrev_b32_e32 v42, 2, v44
	v_lshl_or_b32 v42, v1, 7, v42
	s_load_dword s8, s[8:9], 0x0
	v_lshlrev_b32_e32 v74, 2, v43
	v_lshl_or_b32 v76, v1, 5, v44
	v_add_u32_e32 v77, 0x1f0, v42
	ds_read_b128 v[42:45], v58 offset:160
	ds_read_b128 v[46:49], v58 offset:176
	;; [unrolled: 1-line block ×5, first 2 shown]
	s_sub_i32 s37, 1, s17
	s_lshl_b64 s[0:1], s[24:25], 2
	s_add_u32 s0, s22, s0
	v_and_b32_e32 v66, 60, v71
	v_mov_b32_e32 v67, v63
	s_addc_u32 s1, s23, s1
	s_mov_b32 s36, s13
	v_cmp_neq_f32_e64 s[2:3], s28, 0
	s_waitcnt lgkmcnt(0)
	s_mov_b32 s9, s8
	v_lshl_add_u64 v[66:67], s[0:1], 0, v[66:67]
	s_mov_b64 s[14:15], 0
	v_mov_b32_e32 v75, 0xff7fffff
	v_mov_b32_e32 v78, v1
	s_branch .LBB214_9
.LBB214_8:                              ;   in Loop: Header=BB214_9 Depth=1
	s_or_b64 exec, exec, s[34:35]
	v_add_u32_e32 v78, 2, v78
	v_cmp_le_i32_e64 s[0:1], s19, v78
	v_add_u32_e32 v76, 64, v76
	v_add_u32_e32 v77, 0x100, v77
	s_or_b64 s[14:15], s[0:1], s[14:15]
	v_lshl_add_u64 v[66:67], v[66:67], 0, 8
	s_andn2_b64 exec, exec, s[14:15]
	s_cbranch_execz .LBB214_11
.LBB214_9:                              ; =>This Inner Loop Header: Depth=1
	global_load_dword v68, v[66:67], off
	s_waitcnt vmcnt(0) lgkmcnt(0)
	v_mad_i64_i32 v[68:69], s[0:1], v68, s36, v[64:65]
	v_lshl_add_u64 v[68:69], v[68:69], 0, v[62:63]
	global_load_ushort v79, v[68:69], off offset:4
	global_load_ushort v84, v[68:69], off offset:8
	;; [unrolled: 1-line block ×7, first 2 shown]
	s_waitcnt vmcnt(6)
	v_cvt_pk_f32_fp8_e32 v[80:81], v79
	v_pk_mul_f32 v[80:81], s[8:9], v[80:81]
	s_nop 0
	v_mul_f32_e32 v79, v4, v80
	v_mul_f32_e32 v80, v5, v81
	global_load_ushort v81, v[68:69], off
	s_waitcnt vmcnt(0)
	v_cvt_pk_f32_fp8_e32 v[82:83], v81
	global_load_ushort v81, v[68:69], off offset:1024
	v_pk_mul_f32 v[82:83], s[8:9], v[82:83]
	s_nop 0
	v_fmac_f32_e32 v79, v2, v82
	v_fmac_f32_e32 v80, v3, v83
	v_cvt_pk_f32_fp8_e32 v[82:83], v84
	global_load_ushort v84, v[68:69], off offset:1028
	v_pk_mul_f32 v[82:83], s[8:9], v[82:83]
	s_nop 0
	v_fmac_f32_e32 v79, v6, v82
	v_fmac_f32_e32 v80, v7, v83
	;; [unrolled: 6-line block ×3, first 2 shown]
	v_cvt_pk_f32_fp8_e32 v[82:83], v86
	v_pk_mul_f32 v[82:83], s[8:9], v[82:83]
	s_nop 0
	v_fmac_f32_e32 v79, v10, v82
	v_fmac_f32_e32 v80, v11, v83
	v_cvt_pk_f32_fp8_e32 v[82:83], v87
	v_pk_mul_f32 v[82:83], s[8:9], v[82:83]
	s_nop 0
	v_fmac_f32_e32 v79, v12, v82
	v_fmac_f32_e32 v80, v13, v83
	;; [unrolled: 5-line block ×3, first 2 shown]
	v_cvt_pk_f32_fp8_e32 v[82:83], v89
	global_load_ushort v86, v[68:69], off offset:1036
	global_load_ushort v87, v[68:69], off offset:1536
	;; [unrolled: 1-line block ×5, first 2 shown]
	v_pk_mul_f32 v[82:83], s[8:9], v[82:83]
	s_nop 0
	v_fmac_f32_e32 v79, v16, v82
	v_fmac_f32_e32 v80, v17, v83
	s_waitcnt vmcnt(7)
	v_cvt_pk_f32_fp8_e32 v[82:83], v81
	global_load_ushort v81, v[68:69], off offset:2048
	v_pk_mul_f32 v[82:83], s[8:9], v[82:83]
	s_nop 0
	v_fmac_f32_e32 v79, v18, v82
	v_fmac_f32_e32 v80, v19, v83
	s_waitcnt vmcnt(7)
	v_cvt_pk_f32_fp8_e32 v[82:83], v84
	global_load_ushort v84, v[68:69], off offset:2052
	;; [unrolled: 7-line block ×3, first 2 shown]
	v_pk_mul_f32 v[82:83], s[8:9], v[82:83]
	s_nop 0
	v_fmac_f32_e32 v79, v22, v82
	v_fmac_f32_e32 v80, v23, v83
	s_waitcnt vmcnt(7)
	v_cvt_pk_f32_fp8_e32 v[82:83], v86
	v_pk_mul_f32 v[82:83], s[8:9], v[82:83]
	s_nop 0
	v_fmac_f32_e32 v79, v24, v82
	v_fmac_f32_e32 v80, v25, v83
	s_waitcnt vmcnt(6)
	v_cvt_pk_f32_fp8_e32 v[82:83], v87
	;; [unrolled: 6-line block ×5, first 2 shown]
	global_load_ushort v86, v[68:69], off offset:2060
	global_load_ushort v87, v[68:69], off offset:2560
	;; [unrolled: 1-line block ×5, first 2 shown]
	v_pk_mul_f32 v[82:83], s[8:9], v[82:83]
	s_nop 0
	v_fmac_f32_e32 v79, v32, v82
	v_fmac_f32_e32 v80, v33, v83
	s_waitcnt vmcnt(7)
	v_cvt_pk_f32_fp8_e32 v[82:83], v81
	global_load_ushort v81, v[68:69], off offset:3072
	v_pk_mul_f32 v[82:83], s[8:9], v[82:83]
	s_nop 0
	v_fmac_f32_e32 v79, v34, v82
	v_fmac_f32_e32 v80, v35, v83
	s_waitcnt vmcnt(7)
	v_cvt_pk_f32_fp8_e32 v[82:83], v84
	v_pk_mul_f32 v[82:83], s[8:9], v[82:83]
	s_nop 0
	v_fmac_f32_e32 v79, v36, v82
	v_fmac_f32_e32 v80, v37, v83
	s_waitcnt vmcnt(6)
	v_cvt_pk_f32_fp8_e32 v[82:83], v85
	;; [unrolled: 6-line block ×3, first 2 shown]
	s_waitcnt vmcnt(2)
	v_cvt_pk_f32_fp8_e32 v[84:85], v89
	v_pk_mul_f32 v[82:83], s[8:9], v[82:83]
	v_pk_mul_f32 v[84:85], s[8:9], v[84:85]
	v_fmac_f32_e32 v79, v40, v82
	v_fmac_f32_e32 v80, v41, v83
	v_cvt_pk_f32_fp8_e32 v[82:83], v87
	v_pk_mul_f32 v[82:83], s[8:9], v[82:83]
	s_nop 0
	v_fmac_f32_e32 v79, v42, v82
	v_fmac_f32_e32 v80, v43, v83
	v_cvt_pk_f32_fp8_e32 v[82:83], v88
	v_pk_mul_f32 v[82:83], s[8:9], v[82:83]
	s_nop 0
	v_fmac_f32_e32 v79, v44, v82
	v_fmac_f32_e32 v80, v45, v83
	;; [unrolled: 1-line block ×4, first 2 shown]
	global_load_ushort v84, v[68:69], off offset:3076
	global_load_ushort v85, v[68:69], off offset:3080
	;; [unrolled: 1-line block ×5, first 2 shown]
	s_waitcnt vmcnt(6)
	v_cvt_pk_f32_fp8_e32 v[82:83], v90
	s_waitcnt vmcnt(5)
	v_cvt_pk_f32_fp8_e32 v[68:69], v81
	v_pk_mul_f32 v[82:83], s[8:9], v[82:83]
	s_nop 0
	v_fmac_f32_e32 v79, v48, v82
	v_fmac_f32_e32 v80, v49, v83
	v_pk_mul_f32 v[68:69], s[8:9], v[68:69]
	s_waitcnt vmcnt(3)
	v_cvt_pk_f32_fp8_e32 v[82:83], v85
	v_fmac_f32_e32 v79, v50, v68
	v_fmac_f32_e32 v80, v51, v69
	v_cvt_pk_f32_fp8_e32 v[68:69], v84
	s_waitcnt vmcnt(1)
	v_cvt_pk_f32_fp8_e32 v[84:85], v87
	v_pk_mul_f32 v[82:83], s[8:9], v[82:83]
	v_pk_mul_f32 v[68:69], s[8:9], v[68:69]
	s_nop 0
	v_fmac_f32_e32 v79, v52, v68
	v_fmac_f32_e32 v80, v53, v69
	v_cvt_pk_f32_fp8_e32 v[68:69], v86
	v_fmac_f32_e32 v79, v54, v82
	v_fmac_f32_e32 v80, v55, v83
	s_waitcnt vmcnt(0)
	v_cvt_pk_f32_fp8_e32 v[82:83], v88
	v_pk_mul_f32 v[68:69], s[8:9], v[68:69]
	v_pk_mul_f32 v[84:85], s[8:9], v[84:85]
	v_fmac_f32_e32 v79, v56, v68
	v_fmac_f32_e32 v80, v57, v69
	v_pk_mul_f32 v[82:83], s[8:9], v[82:83]
	v_fmac_f32_e32 v79, v58, v84
	v_fmac_f32_e32 v80, v59, v85
	;; [unrolled: 1-line block ×4, first 2 shown]
	v_add_f32_e32 v68, v79, v80
	ds_bpermute_b32 v69, v74, v68
	s_and_saveexec_b64 s[34:35], vcc
	s_cbranch_execz .LBB214_8
; %bb.10:                               ;   in Loop: Header=BB214_9 Depth=1
	v_add_u32_e32 v79, s37, v76
	v_cvt_f32_i32_e32 v79, v79
	s_waitcnt lgkmcnt(0)
	v_add_f32_e32 v68, v68, v69
	v_cmp_gt_i32_e64 s[0:1], s17, v76
	v_max_f32_e32 v69, v75, v75
	v_mul_f32_e32 v79, s28, v79
	v_cndmask_b32_e64 v79, 0, v79, s[2:3]
	v_fmac_f32_e32 v79, s29, v68
	v_cndmask_b32_e64 v68, 0, v79, s[0:1]
	ds_write_b32 v77, v68
	v_max_f32_e32 v68, v69, v79
	v_cndmask_b32_e64 v75, v75, v68, s[0:1]
	s_branch .LBB214_8
.LBB214_11:
	s_or_b64 exec, exec, s[14:15]
.LBB214_12:
	s_or_b64 exec, exec, s[30:31]
	v_xor_b32_e32 v2, 32, v72
	v_cmp_lt_i32_e32 vcc, v2, v73
	v_xor_b32_e32 v5, 16, v72
	v_max_f32_e32 v4, v75, v75
	v_cndmask_b32_e32 v2, v72, v2, vcc
	v_lshlrev_b32_e32 v2, 2, v2
	ds_bpermute_b32 v3, v2, v75
	v_cmp_lt_i32_e32 vcc, v5, v73
	v_xor_b32_e32 v6, 8, v72
	v_xor_b32_e32 v7, 4, v72
	v_and_b32_e32 v86, 63, v0
	s_waitcnt lgkmcnt(0)
	v_max_f32_e32 v3, v3, v3
	v_max_f32_e32 v4, v4, v3
	v_cndmask_b32_e32 v3, v72, v5, vcc
	v_lshlrev_b32_e32 v3, 2, v3
	ds_bpermute_b32 v5, v3, v4
	v_cmp_lt_i32_e32 vcc, v6, v73
	s_waitcnt lgkmcnt(0)
	v_max_f32_e32 v5, v5, v5
	v_max_f32_e32 v5, v4, v5
	v_cndmask_b32_e32 v4, v72, v6, vcc
	v_lshlrev_b32_e32 v4, 2, v4
	ds_bpermute_b32 v6, v4, v5
	v_cmp_lt_i32_e32 vcc, v7, v73
	s_waitcnt lgkmcnt(0)
	v_max_f32_e32 v6, v6, v6
	v_max_f32_e32 v5, v5, v6
	v_cndmask_b32_e32 v6, v72, v7, vcc
	v_lshlrev_b32_e32 v87, 2, v6
	ds_bpermute_b32 v6, v87, v5
	v_xor_b32_e32 v7, 2, v72
	v_cmp_lt_i32_e32 vcc, v7, v73
	s_waitcnt lgkmcnt(0)
	v_max_f32_e32 v6, v6, v6
	v_max_f32_e32 v6, v5, v6
	v_cndmask_b32_e32 v5, v72, v7, vcc
	v_lshlrev_b32_e32 v88, 2, v5
	ds_bpermute_b32 v7, v88, v6
	v_cmp_eq_u32_e32 vcc, 0, v86
	v_lshlrev_b32_e32 v5, 2, v1
	s_and_saveexec_b64 s[0:1], vcc
	s_cbranch_execz .LBB214_14
; %bb.13:
	s_waitcnt lgkmcnt(0)
	v_max_f32_e32 v7, v7, v7
	v_max_f32_e32 v6, v6, v6
	;; [unrolled: 1-line block ×3, first 2 shown]
	ds_write_b32 v5, v6 offset:480
.LBB214_14:
	s_or_b64 exec, exec, s[0:1]
	v_cmp_gt_u32_e64 s[0:1], 2, v86
	s_waitcnt lgkmcnt(0)
	v_mov_b32_e32 v7, 0xff7fffff
	v_lshlrev_b32_e32 v6, 2, v86
	s_barrier
	s_and_saveexec_b64 s[2:3], s[0:1]
	s_cbranch_execz .LBB214_16
; %bb.15:
	ds_read_b32 v7, v6 offset:480
.LBB214_16:
	s_or_b64 exec, exec, s[2:3]
	v_xor_b32_e32 v8, 1, v72
	v_cmp_lt_i32_e64 s[2:3], v8, v73
	v_lshlrev_b32_e32 v9, 2, v72
	s_nop 0
	v_cndmask_b32_e64 v8, v72, v8, s[2:3]
	v_lshlrev_b32_e32 v89, 2, v8
	s_waitcnt lgkmcnt(0)
	ds_bpermute_b32 v8, v89, v7
	v_max_f32_e32 v7, v7, v7
	s_lshl_b32 s2, s19, 5
	s_min_i32 s30, s2, s17
	v_cmp_gt_i32_e64 s[2:3], s30, v0
	s_waitcnt lgkmcnt(0)
	v_max_f32_e32 v8, v8, v8
	v_max_f32_e32 v8, v7, v8
	v_and_b32_e32 v7, 0xffffff00, v9
	ds_bpermute_b32 v9, v7, v8
	v_mov_b32_e32 v8, 0
	s_and_saveexec_b64 s[14:15], s[2:3]
	s_cbranch_execz .LBB214_20
; %bb.17:
	v_mov_b32_e32 v8, 0x1f0
	v_lshl_add_u32 v10, v0, 2, v8
	s_mov_b64 s[28:29], 0
	v_mov_b32_e32 v8, 0
	v_mov_b32_e32 v11, v0
.LBB214_18:                             ; =>This Inner Loop Header: Depth=1
	ds_read_b32 v12, v10
	v_add_u32_e32 v11, 0x80, v11
	v_cmp_le_i32_e64 s[8:9], s30, v11
	s_or_b64 s[28:29], s[8:9], s[28:29]
	s_waitcnt lgkmcnt(0)
	v_sub_f32_e32 v12, v12, v9
	v_mul_f32_e32 v12, 0x3fb8aa3b, v12
	v_exp_f32_e32 v12, v12
	ds_write_b32 v10, v12
	v_add_f32_e32 v8, v8, v12
	v_add_u32_e32 v10, 0x200, v10
	s_andn2_b64 exec, exec, s[28:29]
	s_cbranch_execnz .LBB214_18
; %bb.19:
	s_or_b64 exec, exec, s[28:29]
.LBB214_20:
	s_or_b64 exec, exec, s[14:15]
	ds_bpermute_b32 v2, v2, v8
	s_waitcnt lgkmcnt(0)
	v_add_f32_e32 v2, v8, v2
	ds_bpermute_b32 v3, v3, v2
	s_waitcnt lgkmcnt(0)
	v_add_f32_e32 v2, v2, v3
	;; [unrolled: 3-line block ×6, first 2 shown]
	s_and_saveexec_b64 s[8:9], vcc
	s_cbranch_execz .LBB214_22
; %bb.21:
	ds_write_b32 v5, v2 offset:488
.LBB214_22:
	s_or_b64 exec, exec, s[8:9]
	s_waitcnt lgkmcnt(0)
	s_barrier
	s_and_saveexec_b64 s[8:9], s[0:1]
	s_cbranch_execz .LBB214_24
; %bb.23:
	ds_read_b32 v2, v6 offset:488
.LBB214_24:
	s_or_b64 exec, exec, s[8:9]
	s_waitcnt lgkmcnt(0)
	ds_bpermute_b32 v3, v89, v2
	s_waitcnt lgkmcnt(0)
	v_add_f32_e32 v2, v2, v3
	ds_bpermute_b32 v2, v7, v2
	s_and_saveexec_b64 s[0:1], s[2:3]
	s_cbranch_execz .LBB214_37
; %bb.25:
	s_waitcnt lgkmcnt(0)
	v_add_f32_e32 v2, 0x358637bd, v2
	v_div_scale_f32 v3, s[2:3], v2, v2, 1.0
	v_rcp_f32_e32 v4, v3
	v_div_scale_f32 v5, vcc, 1.0, v2, 1.0
	s_movk_i32 s2, 0x7f
	v_fma_f32 v6, -v3, v4, 1.0
	v_fmac_f32_e32 v4, v6, v4
	v_mul_f32_e32 v6, v5, v4
	v_fma_f32 v7, -v3, v6, v5
	v_fmac_f32_e32 v6, v7, v4
	v_fma_f32 v3, -v3, v6, v5
	v_div_fmas_f32 v3, v3, v4, v6
	v_xad_u32 v4, v0, -1, s30
	v_div_fixup_f32 v2, v3, v2, 1.0
	v_cmp_lt_u32_e32 vcc, s2, v4
	s_mov_b64 s[8:9], -1
	v_mov_b32_e32 v3, v0
	s_and_saveexec_b64 s[2:3], vcc
	s_cbranch_execz .LBB214_34
; %bb.26:
	v_lshrrev_b32_e32 v4, 7, v4
	v_add_u32_e32 v6, -1, v4
	v_lshrrev_b32_e32 v5, 1, v6
	v_mov_b32_e32 v3, v2
	v_add_u32_e32 v5, 1, v5
	v_cmp_lt_u32_e32 vcc, 13, v6
	v_mov_b32_e32 v8, 0
	s_and_saveexec_b64 s[8:9], vcc
	s_cbranch_execz .LBB214_30
; %bb.27:
	v_mov_b32_e32 v7, 0x1f0
	v_and_b32_e32 v6, -8, v5
	v_lshl_add_u32 v7, v0, 2, v7
	s_mov_b32 s28, 0
	s_mov_b64 s[14:15], 0
.LBB214_28:                             ; =>This Inner Loop Header: Depth=1
	ds_read2st64_b32 v[8:9], v7 offset1:2
	ds_read2st64_b32 v[10:11], v7 offset0:4 offset1:6
	ds_read2st64_b32 v[12:13], v7 offset0:8 offset1:10
	;; [unrolled: 1-line block ×3, first 2 shown]
	v_add_u32_e32 v6, -8, v6
	s_waitcnt lgkmcnt(3)
	v_pk_mul_f32 v[8:9], v[2:3], v[8:9]
	s_waitcnt lgkmcnt(2)
	v_pk_mul_f32 v[10:11], v[2:3], v[10:11]
	ds_write2st64_b32 v7, v8, v9 offset1:2
	ds_write2st64_b32 v7, v10, v11 offset0:4 offset1:6
	ds_read2st64_b32 v[10:11], v7 offset0:16 offset1:18
	s_waitcnt lgkmcnt(4)
	v_pk_mul_f32 v[8:9], v[2:3], v[12:13]
	ds_write2st64_b32 v7, v8, v9 offset0:8 offset1:10
	s_waitcnt lgkmcnt(4)
	v_pk_mul_f32 v[8:9], v[2:3], v[14:15]
	ds_write2st64_b32 v7, v8, v9 offset0:12 offset1:14
	ds_read2st64_b32 v[8:9], v7 offset0:20 offset1:22
	s_waitcnt lgkmcnt(3)
	v_pk_mul_f32 v[10:11], v[2:3], v[10:11]
	ds_read2st64_b32 v[12:13], v7 offset0:24 offset1:26
	ds_write2st64_b32 v7, v10, v11 offset0:16 offset1:18
	ds_read2st64_b32 v[10:11], v7 offset0:28 offset1:30
	s_waitcnt lgkmcnt(3)
	v_pk_mul_f32 v[8:9], v[2:3], v[8:9]
	ds_write2st64_b32 v7, v8, v9 offset0:20 offset1:22
	s_waitcnt lgkmcnt(3)
	v_pk_mul_f32 v[8:9], v[2:3], v[12:13]
	ds_write2st64_b32 v7, v8, v9 offset0:24 offset1:26
	s_waitcnt lgkmcnt(2)
	v_pk_mul_f32 v[8:9], v[2:3], v[10:11]
	s_add_i32 s28, s28, 16
	v_cmp_eq_u32_e32 vcc, 0, v6
	ds_write2st64_b32 v7, v8, v9 offset0:28 offset1:30
	v_add_u32_e32 v7, 0x2000, v7
	s_or_b64 s[14:15], vcc, s[14:15]
	v_mov_b32_e32 v8, s28
	s_andn2_b64 exec, exec, s[14:15]
	s_cbranch_execnz .LBB214_28
; %bb.29:
	s_or_b64 exec, exec, s[14:15]
.LBB214_30:
	s_or_b64 exec, exec, s[8:9]
	v_and_b32_e32 v5, 7, v5
	v_cmp_ne_u32_e32 vcc, 0, v5
	s_and_saveexec_b64 s[8:9], vcc
	s_cbranch_execz .LBB214_33
; %bb.31:
	v_lshlrev_b32_e32 v6, 9, v8
	s_movk_i32 s14, 0x1f0
	v_add3_u32 v6, v6, v70, s14
	s_mov_b64 s[14:15], 0
.LBB214_32:                             ; =>This Inner Loop Header: Depth=1
	ds_read2st64_b32 v[8:9], v6 offset1:2
	v_add_u32_e32 v5, -1, v5
	v_cmp_eq_u32_e32 vcc, 0, v5
	s_or_b64 s[14:15], vcc, s[14:15]
	s_waitcnt lgkmcnt(0)
	v_pk_mul_f32 v[8:9], v[2:3], v[8:9]
	ds_write2st64_b32 v6, v8, v9 offset1:2
	v_add_u32_e32 v6, 0x400, v6
	s_andn2_b64 exec, exec, s[14:15]
	s_cbranch_execnz .LBB214_32
.LBB214_33:
	s_or_b64 exec, exec, s[8:9]
	v_add_u32_e32 v4, 1, v4
	v_and_b32_e32 v5, 0x3fffffe, v4
	v_cmp_ne_u32_e32 vcc, v4, v5
	v_lshl_add_u32 v3, v5, 7, v0
	s_orn2_b64 s[8:9], vcc, exec
.LBB214_34:
	s_or_b64 exec, exec, s[2:3]
	s_and_b64 exec, exec, s[8:9]
	s_cbranch_execz .LBB214_37
; %bb.35:
	v_mov_b32_e32 v4, 0x1f0
	v_lshl_add_u32 v4, v3, 2, v4
	s_mov_b64 s[2:3], 0
.LBB214_36:                             ; =>This Inner Loop Header: Depth=1
	ds_read_b32 v5, v4
	v_add_u32_e32 v3, 0x80, v3
	v_cmp_le_i32_e32 vcc, s30, v3
	s_or_b64 s[2:3], vcc, s[2:3]
	s_waitcnt lgkmcnt(0)
	v_mul_f32_e32 v5, v2, v5
	ds_write_b32 v4, v5
	v_add_u32_e32 v4, 0x200, v4
	s_andn2_b64 exec, exec, s[2:3]
	s_cbranch_execnz .LBB214_36
.LBB214_37:
	s_or_b64 exec, exec, s[0:1]
	v_mov_b32_e32 v20, 0
	v_and_b32_e32 v90, 7, v0
	v_mov_b32_e32 v21, 0
	v_mov_b32_e32 v18, 0
	;; [unrolled: 1-line block ×14, first 2 shown]
	s_waitcnt lgkmcnt(0)
	s_barrier
	s_and_saveexec_b64 s[2:3], s[6:7]
	s_cbranch_execz .LBB214_71
; %bb.38:
	s_ashr_i32 s1, s33, 31
	s_load_dword s6, s[10:11], 0x0
	s_add_u32 s0, s26, s33
	s_addc_u32 s1, s27, s1
	v_and_b32_e32 v6, 0xfc, v70
	v_mov_b32_e32 v7, 0
	v_and_b32_e32 v2, 28, v70
	s_add_i32 s14, s19, -1
	v_lshl_add_u64 v[22:23], s[0:1], 0, v[6:7]
	v_lshlrev_b32_e32 v3, 5, v1
	s_lshl_b64 s[0:1], s[24:25], 2
	v_or3_b32 v91, v3, v2, 3
	v_lshlrev_b32_e32 v2, 4, v90
	s_add_u32 s0, s22, s0
	v_lshl_or_b32 v2, v1, 7, v2
	v_and_b32_e32 v6, 60, v71
	s_addc_u32 s1, s23, s1
	s_waitcnt lgkmcnt(0)
	s_mov_b32 s7, s6
	v_add_u32_e32 v92, 0x1f0, v2
	v_lshl_add_u64 v[24:25], s[0:1], 0, v[6:7]
	s_mov_b64 s[8:9], 0
	v_mov_b32_e32 v9, v7
	v_mov_b32_e32 v8, v7
	;; [unrolled: 1-line block ×14, first 2 shown]
	s_branch .LBB214_40
.LBB214_39:                             ;   in Loop: Header=BB214_40 Depth=1
	s_or_b64 exec, exec, s[0:1]
	s_waitcnt lgkmcnt(0)
	v_mul_f32_e32 v6, v3, v85
	v_fmac_f32_e32 v6, v2, v84
	v_fmac_f32_e32 v6, v4, v82
	v_fmac_f32_e32 v6, v5, v83
	v_add_f32_e32 v9, v9, v6
	v_mul_f32_e32 v6, v3, v81
	v_fmac_f32_e32 v6, v2, v80
	v_fmac_f32_e32 v6, v4, v78
	v_fmac_f32_e32 v6, v5, v79
	v_add_f32_e32 v8, v8, v6
	;; [unrolled: 5-line block ×13, first 2 shown]
	v_mul_f32_e32 v6, v3, v29
	v_mul_f32_e32 v3, v3, v77
	v_fmac_f32_e32 v6, v2, v28
	v_fmac_f32_e32 v3, v2, v76
	;; [unrolled: 1-line block ×4, first 2 shown]
	v_add_u32_e32 v1, 2, v1
	v_fmac_f32_e32 v6, v5, v27
	v_fmac_f32_e32 v3, v5, v39
	v_cmp_le_i32_e32 vcc, s19, v1
	v_add_f32_e32 v20, v20, v6
	v_add_f32_e32 v7, v7, v3
	v_add_u32_e32 v91, 64, v91
	v_add_u32_e32 v92, 0x100, v92
	s_or_b64 s[8:9], vcc, s[8:9]
	v_lshl_add_u64 v[24:25], v[24:25], 0, 8
	s_andn2_b64 exec, exec, s[8:9]
	s_cbranch_execz .LBB214_70
.LBB214_40:                             ; =>This Inner Loop Header: Depth=1
	global_load_dword v2, v[24:25], off
	v_add_u32_e32 v6, -3, v91
	v_cmp_eq_u32_e32 vcc, s14, v1
	v_add_u32_e32 v93, -2, v91
	v_add_u32_e32 v94, -1, v91
	s_waitcnt vmcnt(0)
	v_mad_i64_i32 v[38:39], s[0:1], v2, s13, v[22:23]
	global_load_dword v26, v[38:39], off
	ds_read_b128 v[2:5], v92
	s_waitcnt vmcnt(0)
	v_and_b32_e32 v27, 0xffff, v26
	v_lshrrev_b32_e32 v28, 16, v26
	v_cvt_pk_f32_fp8_e32 v[26:27], v27
	v_cvt_pk_f32_fp8_e32 v[30:31], v28
	v_pk_mul_f32 v[28:29], s[6:7], v[26:27]
	v_pk_mul_f32 v[26:27], s[6:7], v[30:31]
	s_and_saveexec_b64 s[10:11], vcc
; %bb.41:                               ;   in Loop: Header=BB214_40 Depth=1
	v_cmp_gt_i32_e64 s[0:1], s17, v6
	s_nop 1
	v_cndmask_b32_e64 v28, 0, v28, s[0:1]
	v_cmp_gt_i32_e64 s[0:1], s17, v93
	s_nop 1
	v_cndmask_b32_e64 v29, 0, v29, s[0:1]
	v_cmp_gt_i32_e64 s[0:1], s17, v94
	s_nop 1
	v_cndmask_b32_e64 v26, 0, v26, s[0:1]
	v_cmp_gt_i32_e64 s[0:1], s17, v91
	s_nop 1
	v_cndmask_b32_e64 v27, 0, v27, s[0:1]
; %bb.42:                               ;   in Loop: Header=BB214_40 Depth=1
	s_or_b64 exec, exec, s[10:11]
	global_load_dword v30, v[38:39], off offset:256
	s_waitcnt vmcnt(0)
	v_and_b32_e32 v31, 0xffff, v30
	v_lshrrev_b32_e32 v32, 16, v30
	v_cvt_pk_f32_fp8_e32 v[30:31], v31
	v_cvt_pk_f32_fp8_e32 v[34:35], v32
	v_pk_mul_f32 v[32:33], s[6:7], v[30:31]
	v_pk_mul_f32 v[30:31], s[6:7], v[34:35]
	s_and_saveexec_b64 s[10:11], vcc
; %bb.43:                               ;   in Loop: Header=BB214_40 Depth=1
	v_cmp_gt_i32_e64 s[0:1], s17, v6
	s_nop 1
	v_cndmask_b32_e64 v32, 0, v32, s[0:1]
	v_cmp_gt_i32_e64 s[0:1], s17, v93
	s_nop 1
	v_cndmask_b32_e64 v33, 0, v33, s[0:1]
	v_cmp_gt_i32_e64 s[0:1], s17, v94
	s_nop 1
	v_cndmask_b32_e64 v30, 0, v30, s[0:1]
	v_cmp_gt_i32_e64 s[0:1], s17, v91
	s_nop 1
	v_cndmask_b32_e64 v31, 0, v31, s[0:1]
; %bb.44:                               ;   in Loop: Header=BB214_40 Depth=1
	s_or_b64 exec, exec, s[10:11]
	global_load_dword v34, v[38:39], off offset:512
	;; [unrolled: 24-line block ×14, first 2 shown]
	s_waitcnt vmcnt(0)
	v_and_b32_e32 v39, 0xffff, v38
	v_lshrrev_b32_e32 v76, 16, v38
	v_cvt_pk_f32_fp8_e32 v[38:39], v39
	v_cvt_pk_f32_fp8_e32 v[96:97], v76
	v_pk_mul_f32 v[76:77], s[6:7], v[38:39]
	v_pk_mul_f32 v[38:39], s[6:7], v[96:97]
	s_and_saveexec_b64 s[0:1], vcc
	s_cbranch_execz .LBB214_39
; %bb.69:                               ;   in Loop: Header=BB214_40 Depth=1
	v_cmp_gt_i32_e32 vcc, s17, v6
	s_nop 1
	v_cndmask_b32_e32 v76, 0, v76, vcc
	v_cmp_gt_i32_e32 vcc, s17, v93
	s_nop 1
	v_cndmask_b32_e32 v77, 0, v77, vcc
	;; [unrolled: 3-line block ×4, first 2 shown]
	s_branch .LBB214_39
.LBB214_70:
	s_or_b64 exec, exec, s[8:9]
.LBB214_71:
	s_or_b64 exec, exec, s[2:3]
	ds_bpermute_b32 v4, v87, v18
	ds_bpermute_b32 v5, v87, v19
	;; [unrolled: 1-line block ×6, first 2 shown]
	s_waitcnt lgkmcnt(4)
	v_pk_add_f32 v[4:5], v[18:19], v[4:5]
	ds_bpermute_b32 v18, v88, v4
	ds_bpermute_b32 v19, v88, v5
	s_waitcnt lgkmcnt(4)
	v_pk_add_f32 v[2:3], v[20:21], v[2:3]
	s_waitcnt lgkmcnt(2)
	v_pk_add_f32 v[16:17], v[16:17], v[22:23]
	ds_bpermute_b32 v20, v88, v2
	ds_bpermute_b32 v21, v88, v3
	s_waitcnt lgkmcnt(2)
	v_pk_add_f32 v[4:5], v[4:5], v[18:19]
	ds_bpermute_b32 v18, v88, v16
	ds_bpermute_b32 v19, v88, v17
	;; [unrolled: 1-line block ×3, first 2 shown]
	s_waitcnt lgkmcnt(3)
	v_pk_add_f32 v[2:3], v[2:3], v[20:21]
	ds_bpermute_b32 v29, v87, v13
	ds_bpermute_b32 v20, v89, v2
	s_waitcnt lgkmcnt(3)
	v_pk_add_f32 v[16:17], v[16:17], v[18:19]
	ds_bpermute_b32 v21, v89, v3
	ds_bpermute_b32 v24, v87, v14
	;; [unrolled: 1-line block ×5, first 2 shown]
	s_waitcnt lgkmcnt(6)
	v_pk_add_f32 v[12:13], v[12:13], v[28:29]
	ds_bpermute_b32 v22, v89, v4
	ds_bpermute_b32 v23, v89, v5
	s_waitcnt lgkmcnt(4)
	v_pk_add_f32 v[24:25], v[14:15], v[24:25]
	v_pk_add_f32 v[14:15], v[2:3], v[20:21]
	s_waitcnt lgkmcnt(2)
	v_pk_add_f32 v[2:3], v[16:17], v[18:19]
	ds_bpermute_b32 v18, v88, v12
	ds_bpermute_b32 v19, v88, v13
	s_waitcnt lgkmcnt(2)
	v_pk_add_f32 v[4:5], v[4:5], v[22:23]
	ds_bpermute_b32 v22, v87, v10
	ds_bpermute_b32 v23, v87, v11
	;; [unrolled: 1-line block ×3, first 2 shown]
	s_waitcnt lgkmcnt(3)
	v_pk_add_f32 v[18:19], v[12:13], v[18:19]
	ds_bpermute_b32 v12, v87, v8
	ds_bpermute_b32 v13, v87, v9
	;; [unrolled: 1-line block ×4, first 2 shown]
	s_waitcnt lgkmcnt(5)
	v_pk_add_f32 v[10:11], v[10:11], v[22:23]
	ds_bpermute_b32 v22, v88, v10
	s_waitcnt lgkmcnt(3)
	v_pk_add_f32 v[8:9], v[8:9], v[12:13]
	s_waitcnt lgkmcnt(2)
	v_pk_add_f32 v[16:17], v[24:25], v[26:27]
	ds_bpermute_b32 v23, v88, v11
	ds_bpermute_b32 v12, v88, v8
	ds_bpermute_b32 v13, v88, v9
	s_waitcnt lgkmcnt(4)
	v_add_f32_e32 v1, v7, v1
	ds_bpermute_b32 v20, v89, v16
	ds_bpermute_b32 v21, v89, v17
	;; [unrolled: 1-line block ×3, first 2 shown]
	s_waitcnt lgkmcnt(5)
	v_pk_add_f32 v[22:23], v[10:11], v[22:23]
	s_waitcnt lgkmcnt(3)
	v_pk_add_f32 v[28:29], v[8:9], v[12:13]
	ds_bpermute_b32 v24, v89, v18
	ds_bpermute_b32 v25, v89, v19
	;; [unrolled: 1-line block ×6, first 2 shown]
	s_waitcnt lgkmcnt(7)
	v_pk_add_f32 v[12:13], v[16:17], v[20:21]
	s_waitcnt lgkmcnt(6)
	v_add_f32_e32 v16, v1, v32
	ds_bpermute_b32 v17, v89, v16
	v_and_b32_e32 v1, 0x3c7, v0
	s_waitcnt lgkmcnt(5)
	v_pk_add_f32 v[10:11], v[18:19], v[24:25]
	s_waitcnt lgkmcnt(3)
	v_pk_add_f32 v[8:9], v[22:23], v[26:27]
	;; [unrolled: 2-line block ×3, first 2 shown]
	v_cmp_ne_u32_e32 vcc, 64, v1
	s_waitcnt lgkmcnt(0)
	s_barrier
	s_and_saveexec_b64 s[0:1], vcc
	s_xor_b64 s[0:1], exec, s[0:1]
; %bb.72:
                                        ; implicit-def: $vgpr86
; %bb.73:
	s_or_saveexec_b64 s[0:1], s[0:1]
	v_add_f32_e32 v16, v16, v17
	s_xor_b64 exec, exec, s[0:1]
	s_cbranch_execz .LBB214_75
; %bb.74:
	v_lshrrev_b32_e32 v17, 1, v86
	v_add_u32_e32 v17, 0x1f0, v17
	ds_write2_b32 v17, v14, v15 offset1:8
	ds_write2_b32 v17, v4, v5 offset0:16 offset1:24
	ds_write2_b32 v17, v2, v3 offset0:32 offset1:40
	;; [unrolled: 1-line block ×6, first 2 shown]
	ds_write_b32 v17, v16 offset:448
.LBB214_75:
	s_or_b64 exec, exec, s[0:1]
	v_cmp_gt_u32_e32 vcc, 64, v0
	s_waitcnt lgkmcnt(0)
	s_barrier
	s_and_saveexec_b64 s[0:1], vcc
	s_cbranch_execz .LBB214_93
; %bb.76:
	v_cmp_eq_u32_e32 vcc, 0, v90
	v_lshrrev_b32_e32 v17, 3, v0
	s_and_saveexec_b64 s[2:3], vcc
	s_cbranch_execnz .LBB214_96
; %bb.77:
	s_or_b64 exec, exec, s[2:3]
	s_and_saveexec_b64 s[2:3], vcc
	s_cbranch_execnz .LBB214_97
.LBB214_78:
	s_or_b64 exec, exec, s[2:3]
	s_and_saveexec_b64 s[2:3], vcc
	s_cbranch_execnz .LBB214_98
.LBB214_79:
	s_or_b64 exec, exec, s[2:3]
	s_and_saveexec_b64 s[2:3], vcc
	s_cbranch_execnz .LBB214_99
.LBB214_80:
	s_or_b64 exec, exec, s[2:3]
	s_and_saveexec_b64 s[2:3], vcc
	s_cbranch_execnz .LBB214_100
.LBB214_81:
	s_or_b64 exec, exec, s[2:3]
	s_and_saveexec_b64 s[2:3], vcc
	s_cbranch_execnz .LBB214_101
.LBB214_82:
	s_or_b64 exec, exec, s[2:3]
	s_and_saveexec_b64 s[2:3], vcc
	s_cbranch_execnz .LBB214_102
.LBB214_83:
	s_or_b64 exec, exec, s[2:3]
	s_and_saveexec_b64 s[2:3], vcc
	s_cbranch_execnz .LBB214_103
.LBB214_84:
	s_or_b64 exec, exec, s[2:3]
	s_and_saveexec_b64 s[2:3], vcc
	s_cbranch_execnz .LBB214_104
.LBB214_85:
	s_or_b64 exec, exec, s[2:3]
	s_and_saveexec_b64 s[2:3], vcc
	s_cbranch_execnz .LBB214_105
.LBB214_86:
	s_or_b64 exec, exec, s[2:3]
	s_and_saveexec_b64 s[2:3], vcc
	s_cbranch_execnz .LBB214_106
.LBB214_87:
	s_or_b64 exec, exec, s[2:3]
	s_and_saveexec_b64 s[2:3], vcc
	s_cbranch_execnz .LBB214_107
.LBB214_88:
	s_or_b64 exec, exec, s[2:3]
	s_and_saveexec_b64 s[2:3], vcc
	s_cbranch_execnz .LBB214_108
.LBB214_89:
	s_or_b64 exec, exec, s[2:3]
	s_and_saveexec_b64 s[2:3], vcc
	s_cbranch_execnz .LBB214_109
.LBB214_90:
	s_or_b64 exec, exec, s[2:3]
	s_and_saveexec_b64 s[2:3], vcc
	s_cbranch_execz .LBB214_92
.LBB214_91:
	v_mov_b32_e32 v18, 0x1f0
	v_lshl_add_u32 v17, v17, 2, v18
	ds_read_b32 v17, v17 offset:448
	s_waitcnt lgkmcnt(0)
	v_add_f32_e32 v16, v16, v17
.LBB214_92:
	s_or_b64 exec, exec, s[2:3]
.LBB214_93:
	s_or_b64 exec, exec, s[0:1]
	v_cmp_eq_u32_e32 vcc, 0, v1
	s_barrier
	s_and_saveexec_b64 s[0:1], vcc
	s_cbranch_execz .LBB214_95
; %bb.94:
	s_mul_i32 s0, s16, s12
	s_mul_i32 s0, s0, s5
	s_mulk_i32 s0, 0x78
	s_ashr_i32 s1, s0, 31
	s_lshl_b64 s[0:1], s[0:1], 2
	s_add_u32 s2, s20, s0
	s_mul_i32 s0, s12, s18
	s_addc_u32 s3, s21, s1
	s_ashr_i32 s1, s0, 31
	s_lshl_b64 s[0:1], s[0:1], 2
	s_add_u32 s2, s2, s0
	s_mul_i32 s0, s4, 0x78
	s_addc_u32 s3, s3, s1
	s_ashr_i32 s1, s0, 31
	s_lshl_b64 s[0:1], s[0:1], 2
	s_add_u32 s0, s2, s0
	s_addc_u32 s1, s3, s1
	v_lshrrev_b32_e32 v0, 1, v0
	global_store_dword v0, v14, s[0:1]
	global_store_dword v0, v15, s[0:1] offset:32
	global_store_dword v0, v4, s[0:1] offset:64
	;; [unrolled: 1-line block ×14, first 2 shown]
.LBB214_95:
	s_endpgm
.LBB214_96:
	v_mov_b32_e32 v18, 0x1f0
	v_lshl_add_u32 v18, v17, 2, v18
	ds_read_b32 v18, v18
	s_waitcnt lgkmcnt(0)
	v_add_f32_e32 v14, v14, v18
	s_or_b64 exec, exec, s[2:3]
	s_and_saveexec_b64 s[2:3], vcc
	s_cbranch_execz .LBB214_78
.LBB214_97:
	v_mov_b32_e32 v18, 0x1f0
	v_lshl_add_u32 v18, v17, 2, v18
	ds_read_b32 v18, v18 offset:32
	s_waitcnt lgkmcnt(0)
	v_add_f32_e32 v15, v15, v18
	s_or_b64 exec, exec, s[2:3]
	s_and_saveexec_b64 s[2:3], vcc
	s_cbranch_execz .LBB214_79
.LBB214_98:
	v_mov_b32_e32 v18, 0x1f0
	v_lshl_add_u32 v18, v17, 2, v18
	ds_read_b32 v18, v18 offset:64
	s_waitcnt lgkmcnt(0)
	v_add_f32_e32 v4, v4, v18
	s_or_b64 exec, exec, s[2:3]
	s_and_saveexec_b64 s[2:3], vcc
	s_cbranch_execz .LBB214_80
.LBB214_99:
	v_mov_b32_e32 v18, 0x1f0
	v_lshl_add_u32 v18, v17, 2, v18
	ds_read_b32 v18, v18 offset:96
	s_waitcnt lgkmcnt(0)
	v_add_f32_e32 v5, v5, v18
	s_or_b64 exec, exec, s[2:3]
	s_and_saveexec_b64 s[2:3], vcc
	s_cbranch_execz .LBB214_81
.LBB214_100:
	v_mov_b32_e32 v18, 0x1f0
	v_lshl_add_u32 v18, v17, 2, v18
	ds_read_b32 v18, v18 offset:128
	s_waitcnt lgkmcnt(0)
	v_add_f32_e32 v2, v2, v18
	s_or_b64 exec, exec, s[2:3]
	s_and_saveexec_b64 s[2:3], vcc
	s_cbranch_execz .LBB214_82
.LBB214_101:
	v_mov_b32_e32 v18, 0x1f0
	v_lshl_add_u32 v18, v17, 2, v18
	ds_read_b32 v18, v18 offset:160
	s_waitcnt lgkmcnt(0)
	v_add_f32_e32 v3, v3, v18
	s_or_b64 exec, exec, s[2:3]
	s_and_saveexec_b64 s[2:3], vcc
	s_cbranch_execz .LBB214_83
.LBB214_102:
	v_mov_b32_e32 v18, 0x1f0
	v_lshl_add_u32 v18, v17, 2, v18
	ds_read_b32 v18, v18 offset:192
	s_waitcnt lgkmcnt(0)
	v_add_f32_e32 v12, v12, v18
	s_or_b64 exec, exec, s[2:3]
	s_and_saveexec_b64 s[2:3], vcc
	s_cbranch_execz .LBB214_84
.LBB214_103:
	v_mov_b32_e32 v18, 0x1f0
	v_lshl_add_u32 v18, v17, 2, v18
	ds_read_b32 v18, v18 offset:224
	s_waitcnt lgkmcnt(0)
	v_add_f32_e32 v13, v13, v18
	s_or_b64 exec, exec, s[2:3]
	s_and_saveexec_b64 s[2:3], vcc
	s_cbranch_execz .LBB214_85
.LBB214_104:
	v_mov_b32_e32 v18, 0x1f0
	v_lshl_add_u32 v18, v17, 2, v18
	ds_read_b32 v18, v18 offset:256
	s_waitcnt lgkmcnt(0)
	v_add_f32_e32 v10, v10, v18
	s_or_b64 exec, exec, s[2:3]
	s_and_saveexec_b64 s[2:3], vcc
	s_cbranch_execz .LBB214_86
.LBB214_105:
	v_mov_b32_e32 v18, 0x1f0
	v_lshl_add_u32 v18, v17, 2, v18
	ds_read_b32 v18, v18 offset:288
	s_waitcnt lgkmcnt(0)
	v_add_f32_e32 v11, v11, v18
	s_or_b64 exec, exec, s[2:3]
	s_and_saveexec_b64 s[2:3], vcc
	s_cbranch_execz .LBB214_87
.LBB214_106:
	v_mov_b32_e32 v18, 0x1f0
	v_lshl_add_u32 v18, v17, 2, v18
	ds_read_b32 v18, v18 offset:320
	s_waitcnt lgkmcnt(0)
	v_add_f32_e32 v8, v8, v18
	s_or_b64 exec, exec, s[2:3]
	s_and_saveexec_b64 s[2:3], vcc
	s_cbranch_execz .LBB214_88
.LBB214_107:
	v_mov_b32_e32 v18, 0x1f0
	v_lshl_add_u32 v18, v17, 2, v18
	ds_read_b32 v18, v18 offset:352
	s_waitcnt lgkmcnt(0)
	v_add_f32_e32 v9, v9, v18
	s_or_b64 exec, exec, s[2:3]
	s_and_saveexec_b64 s[2:3], vcc
	s_cbranch_execz .LBB214_89
.LBB214_108:
	v_mov_b32_e32 v18, 0x1f0
	v_lshl_add_u32 v18, v17, 2, v18
	ds_read_b32 v18, v18 offset:384
	s_waitcnt lgkmcnt(0)
	v_add_f32_e32 v6, v6, v18
	s_or_b64 exec, exec, s[2:3]
	s_and_saveexec_b64 s[2:3], vcc
	s_cbranch_execz .LBB214_90
.LBB214_109:
	v_mov_b32_e32 v18, 0x1f0
	v_lshl_add_u32 v18, v17, 2, v18
	ds_read_b32 v18, v18 offset:416
	s_waitcnt lgkmcnt(0)
	v_add_f32_e32 v7, v7, v18
	s_or_b64 exec, exec, s[2:3]
	s_and_saveexec_b64 s[2:3], vcc
	s_cbranch_execnz .LBB214_91
	s_branch .LBB214_92
	.section	.rodata,"a",@progbits
	.p2align	6, 0x0
	.amdhsa_kernel _ZN4vllm25paged_attention_v1_kernelIfhLi120ELi32ELi128ELNS_18Fp8KVCacheDataTypeE1ELb0EEEvPT_PKS2_PKT0_S8_ifPKiSA_iPKfiiiSC_SC_iiiii
		.amdhsa_group_segment_fixed_size 496
		.amdhsa_private_segment_fixed_size 0
		.amdhsa_kernarg_size 384
		.amdhsa_user_sgpr_count 2
		.amdhsa_user_sgpr_dispatch_ptr 0
		.amdhsa_user_sgpr_queue_ptr 0
		.amdhsa_user_sgpr_kernarg_segment_ptr 1
		.amdhsa_user_sgpr_dispatch_id 0
		.amdhsa_user_sgpr_kernarg_preload_length 0
		.amdhsa_user_sgpr_kernarg_preload_offset 0
		.amdhsa_user_sgpr_private_segment_size 0
		.amdhsa_uses_dynamic_stack 0
		.amdhsa_enable_private_segment 0
		.amdhsa_system_sgpr_workgroup_id_x 1
		.amdhsa_system_sgpr_workgroup_id_y 1
		.amdhsa_system_sgpr_workgroup_id_z 1
		.amdhsa_system_sgpr_workgroup_info 0
		.amdhsa_system_vgpr_workitem_id 0
		.amdhsa_next_free_vgpr 98
		.amdhsa_next_free_sgpr 38
		.amdhsa_accum_offset 100
		.amdhsa_reserve_vcc 1
		.amdhsa_float_round_mode_32 0
		.amdhsa_float_round_mode_16_64 0
		.amdhsa_float_denorm_mode_32 3
		.amdhsa_float_denorm_mode_16_64 3
		.amdhsa_dx10_clamp 1
		.amdhsa_ieee_mode 1
		.amdhsa_fp16_overflow 0
		.amdhsa_tg_split 0
		.amdhsa_exception_fp_ieee_invalid_op 0
		.amdhsa_exception_fp_denorm_src 0
		.amdhsa_exception_fp_ieee_div_zero 0
		.amdhsa_exception_fp_ieee_overflow 0
		.amdhsa_exception_fp_ieee_underflow 0
		.amdhsa_exception_fp_ieee_inexact 0
		.amdhsa_exception_int_div_zero 0
	.end_amdhsa_kernel
	.section	.text._ZN4vllm25paged_attention_v1_kernelIfhLi120ELi32ELi128ELNS_18Fp8KVCacheDataTypeE1ELb0EEEvPT_PKS2_PKT0_S8_ifPKiSA_iPKfiiiSC_SC_iiiii,"axG",@progbits,_ZN4vllm25paged_attention_v1_kernelIfhLi120ELi32ELi128ELNS_18Fp8KVCacheDataTypeE1ELb0EEEvPT_PKS2_PKT0_S8_ifPKiSA_iPKfiiiSC_SC_iiiii,comdat
.Lfunc_end214:
	.size	_ZN4vllm25paged_attention_v1_kernelIfhLi120ELi32ELi128ELNS_18Fp8KVCacheDataTypeE1ELb0EEEvPT_PKS2_PKT0_S8_ifPKiSA_iPKfiiiSC_SC_iiiii, .Lfunc_end214-_ZN4vllm25paged_attention_v1_kernelIfhLi120ELi32ELi128ELNS_18Fp8KVCacheDataTypeE1ELb0EEEvPT_PKS2_PKT0_S8_ifPKiSA_iPKfiiiSC_SC_iiiii
                                        ; -- End function
	.section	.AMDGPU.csdata,"",@progbits
; Kernel info:
; codeLenInByte = 7980
; NumSgprs: 44
; NumVgprs: 98
; NumAgprs: 0
; TotalNumVgprs: 98
; ScratchSize: 0
; MemoryBound: 0
; FloatMode: 240
; IeeeMode: 1
; LDSByteSize: 496 bytes/workgroup (compile time only)
; SGPRBlocks: 5
; VGPRBlocks: 12
; NumSGPRsForWavesPerEU: 44
; NumVGPRsForWavesPerEU: 98
; AccumOffset: 100
; Occupancy: 4
; WaveLimiterHint : 1
; COMPUTE_PGM_RSRC2:SCRATCH_EN: 0
; COMPUTE_PGM_RSRC2:USER_SGPR: 2
; COMPUTE_PGM_RSRC2:TRAP_HANDLER: 0
; COMPUTE_PGM_RSRC2:TGID_X_EN: 1
; COMPUTE_PGM_RSRC2:TGID_Y_EN: 1
; COMPUTE_PGM_RSRC2:TGID_Z_EN: 1
; COMPUTE_PGM_RSRC2:TIDIG_COMP_CNT: 0
; COMPUTE_PGM_RSRC3_GFX90A:ACCUM_OFFSET: 24
; COMPUTE_PGM_RSRC3_GFX90A:TG_SPLIT: 0
	.section	.text._ZN4vllm25paged_attention_v1_kernelIfhLi128ELi32ELi128ELNS_18Fp8KVCacheDataTypeE1ELb0EEEvPT_PKS2_PKT0_S8_ifPKiSA_iPKfiiiSC_SC_iiiii,"axG",@progbits,_ZN4vllm25paged_attention_v1_kernelIfhLi128ELi32ELi128ELNS_18Fp8KVCacheDataTypeE1ELb0EEEvPT_PKS2_PKT0_S8_ifPKiSA_iPKfiiiSC_SC_iiiii,comdat
	.protected	_ZN4vllm25paged_attention_v1_kernelIfhLi128ELi32ELi128ELNS_18Fp8KVCacheDataTypeE1ELb0EEEvPT_PKS2_PKT0_S8_ifPKiSA_iPKfiiiSC_SC_iiiii ; -- Begin function _ZN4vllm25paged_attention_v1_kernelIfhLi128ELi32ELi128ELNS_18Fp8KVCacheDataTypeE1ELb0EEEvPT_PKS2_PKT0_S8_ifPKiSA_iPKfiiiSC_SC_iiiii
	.globl	_ZN4vllm25paged_attention_v1_kernelIfhLi128ELi32ELi128ELNS_18Fp8KVCacheDataTypeE1ELb0EEEvPT_PKS2_PKT0_S8_ifPKiSA_iPKfiiiSC_SC_iiiii
	.p2align	8
	.type	_ZN4vllm25paged_attention_v1_kernelIfhLi128ELi32ELi128ELNS_18Fp8KVCacheDataTypeE1ELb0EEEvPT_PKS2_PKT0_S8_ifPKiSA_iPKfiiiSC_SC_iiiii,@function
_ZN4vllm25paged_attention_v1_kernelIfhLi128ELi32ELi128ELNS_18Fp8KVCacheDataTypeE1ELb0EEEvPT_PKS2_PKT0_S8_ifPKiSA_iPKfiiiSC_SC_iiiii: ; @_ZN4vllm25paged_attention_v1_kernelIfhLi128ELi32ELi128ELNS_18Fp8KVCacheDataTypeE1ELb0EEEvPT_PKS2_PKT0_S8_ifPKiSA_iPKfiiiSC_SC_iiiii
; %bb.0:
	s_load_dword s5, s[0:1], 0x80
	s_load_dwordx2 s[6:7], s[0:1], 0x30
	s_load_dwordx2 s[10:11], s[0:1], 0x20
	s_mov_b32 s20, s3
	s_ashr_i32 s21, s3, 31
	s_lshl_b64 s[8:9], s[20:21], 2
	s_waitcnt lgkmcnt(0)
	s_add_u32 s6, s6, s8
	s_addc_u32 s7, s7, s9
	s_abs_i32 s3, s10
	v_cvt_f32_u32_e32 v1, s3
	s_xor_b32 s8, s5, s10
	s_sub_i32 s10, 0, s3
	s_abs_i32 s9, s5
	v_rcp_iflag_f32_e32 v1, v1
	s_ashr_i32 s8, s8, 31
	v_mul_f32_e32 v1, 0x4f7ffffe, v1
	v_cvt_u32_f32_e32 v1, v1
	s_nop 0
	v_readfirstlane_b32 s12, v1
	s_mul_i32 s10, s10, s12
	s_mul_hi_u32 s10, s12, s10
	s_add_i32 s12, s12, s10
	s_mul_hi_u32 s10, s9, s12
	s_mul_i32 s12, s10, s3
	s_sub_i32 s9, s9, s12
	s_add_i32 s12, s10, 1
	s_sub_i32 s13, s9, s3
	s_cmp_ge_u32 s9, s3
	s_cselect_b32 s10, s12, s10
	s_cselect_b32 s9, s13, s9
	s_add_i32 s12, s10, 1
	s_cmp_ge_u32 s9, s3
	s_cselect_b32 s3, s12, s10
	s_xor_b32 s3, s3, s8
	s_sub_i32 s12, s3, s8
	s_abs_i32 s16, s12
	v_cvt_f32_u32_e32 v1, s16
	s_load_dwordx2 s[8:9], s[0:1], 0x40
	s_sub_i32 s3, 0, s16
	s_abs_i32 s17, s2
	v_rcp_iflag_f32_e32 v1, v1
	s_mov_b32 s10, 0
	v_mul_f32_e32 v1, 0x4f7ffffe, v1
	v_cvt_u32_f32_e32 v1, v1
	s_nop 0
	v_readfirstlane_b32 s13, v1
	s_mul_i32 s3, s3, s13
	s_mul_hi_u32 s3, s13, s3
	s_add_i32 s13, s13, s3
	s_waitcnt lgkmcnt(0)
	s_cmp_eq_u64 s[8:9], 0
	s_mul_hi_u32 s18, s17, s13
	s_cbranch_scc1 .LBB215_2
; %bb.1:
	s_ashr_i32 s3, s2, 31
	s_lshl_b64 s[14:15], s[2:3], 2
	s_add_u32 s8, s8, s14
	s_addc_u32 s9, s9, s15
	s_load_dword s10, s[8:9], 0x0
.LBB215_2:
	s_load_dword s33, s[6:7], 0x0
	s_ashr_i32 s9, s12, 31
	s_load_dwordx4 s[12:15], s[0:1], 0x48
	s_ashr_i32 s8, s2, 31
	v_and_b32_e32 v42, 1, v0
	s_lshl_b32 s22, s2, 7
	v_cmp_gt_u32_e64 s[6:7], 64, v0
	v_lshlrev_b32_e32 v78, 2, v0
	s_and_saveexec_b64 s[2:3], s[6:7]
	s_cbranch_execz .LBB215_4
; %bb.3:
	s_load_dwordx2 s[24:25], s[0:1], 0x8
	s_waitcnt lgkmcnt(0)
	s_mul_i32 s26, s20, s12
	s_ashr_i32 s27, s26, 31
	s_lshl_b64 s[26:27], s[26:27], 2
	v_lshlrev_b32_e32 v1, 3, v0
	s_add_u32 s12, s24, s26
	s_addc_u32 s15, s25, s27
	s_ashr_i32 s23, s22, 31
	s_lshl_b64 s[24:25], s[22:23], 2
	s_add_u32 s24, s12, s24
	s_addc_u32 s25, s15, s25
	global_load_dwordx2 v[2:3], v1, s[24:25]
	v_and_b32_e32 v1, 0xff8, v78
	v_lshl_add_u32 v1, v42, 8, v1
	s_waitcnt vmcnt(0)
	ds_write_b64 v1, v[2:3]
.LBB215_4:
	s_or_b64 exec, exec, s[2:3]
	s_waitcnt lgkmcnt(0)
	s_add_i32 s3, s33, 31
	s_ashr_i32 s12, s3, 31
	s_lshr_b32 s12, s12, 27
	s_add_i32 s3, s3, s12
	s_ashr_i32 s23, s3, 5
	s_xor_b32 s3, s8, s9
	s_mul_i32 s8, s18, s16
	s_sub_i32 s8, s17, s8
	s_add_i32 s9, s18, 1
	s_sub_i32 s12, s8, s16
	s_load_dwordx2 s[26:27], s[0:1], 0x28
	s_load_dword s2, s[0:1], 0x38
	s_cmp_ge_u32 s8, s16
	s_cselect_b32 s9, s9, s18
	s_cselect_b32 s8, s12, s8
	s_add_i32 s12, s9, 1
	s_cmp_ge_u32 s8, s16
	s_cselect_b32 s8, s12, s9
	v_lshrrev_b32_e32 v1, 6, v0
	s_xor_b32 s8, s8, s3
	s_waitcnt lgkmcnt(0)
	s_mul_i32 s28, s20, s2
	s_sub_i32 s12, s8, s3
	s_ashr_i32 s29, s28, 31
	v_cmp_gt_i32_e64 s[2:3], s23, v1
	v_cmp_le_i32_e32 vcc, s23, v1
	v_mbcnt_lo_u32_b32 v43, -1, 0
	s_barrier
	s_waitcnt lgkmcnt(0)
                                        ; implicit-def: $sgpr15
                                        ; implicit-def: $vgpr80
                                        ; implicit-def: $vgpr81
	s_and_saveexec_b64 s[8:9], vcc
	s_xor_b64 s[8:9], exec, s[8:9]
; %bb.5:
	v_mbcnt_hi_u32_b32 v80, -1, v43
	v_and_b32_e32 v2, 64, v80
	v_add_u32_e32 v81, 64, v2
	s_mov_b32 s15, 0xff7fffff
                                        ; implicit-def: $vgpr42
                                        ; implicit-def: $vgpr43
; %bb.6:
	s_or_saveexec_b64 s[34:35], s[8:9]
	s_load_dwordx2 s[24:25], s[0:1], 0x0
	s_load_dwordx2 s[30:31], s[0:1], 0x18
	s_load_dword s21, s[0:1], 0x88
	s_load_dwordx4 s[16:19], s[0:1], 0x58
	v_mov_b32_e32 v83, s15
	s_mul_i32 s12, s12, s14
	v_lshrrev_b32_e32 v79, 4, v0
	s_xor_b64 exec, exec, s[34:35]
	s_cbranch_execz .LBB215_12
; %bb.7:
	s_load_dwordx2 s[0:1], s[0:1], 0x10
	v_mbcnt_hi_u32_b32 v80, -1, v43
	s_ashr_i32 s8, s12, 31
	v_lshlrev_b32_e32 v62, 8, v42
	v_and_b32_e32 v45, 64, v80
	v_bfe_u32 v44, v0, 1, 5
	s_waitcnt lgkmcnt(0)
	s_add_u32 s0, s0, s12
	ds_read_b128 v[2:5], v62
	ds_read_b128 v[6:9], v62 offset:16
	ds_read_b128 v[10:13], v62 offset:32
	;; [unrolled: 1-line block ×9, first 2 shown]
	v_xor_b32_e32 v43, 1, v80
	v_add_u32_e32 v81, 64, v45
	v_lshlrev_b32_e32 v66, 4, v44
	s_addc_u32 s1, s1, s8
	v_mov_b32_e32 v67, 0
	v_cmp_lt_i32_e32 vcc, v43, v81
	v_lshl_add_u64 v[68:69], s[0:1], 0, v[66:67]
	v_lshlrev_b32_e32 v66, 1, v42
	v_cndmask_b32_e32 v43, v80, v43, vcc
	v_cmp_eq_u32_e32 vcc, 0, v42
	v_lshlrev_b32_e32 v42, 2, v44
	v_lshl_or_b32 v42, v1, 7, v42
	s_load_dword s14, s[16:17], 0x0
	v_lshlrev_b32_e32 v82, 2, v43
	v_lshl_or_b32 v84, v1, 5, v44
	v_add_u32_e32 v85, 0x210, v42
	ds_read_b128 v[42:45], v62 offset:160
	ds_read_b128 v[46:49], v62 offset:176
	;; [unrolled: 1-line block ×6, first 2 shown]
	s_sub_i32 s39, 1, s33
	s_lshl_b64 s[8:9], s[28:29], 2
	s_add_u32 s8, s26, s8
	v_and_b32_e32 v70, 60, v79
	v_mov_b32_e32 v71, v67
	s_addc_u32 s9, s27, s9
	s_mov_b32 s38, s13
	v_cmp_neq_f32_e64 s[0:1], s10, 0
	s_waitcnt lgkmcnt(0)
	s_mov_b32 s15, s14
	v_lshl_add_u64 v[70:71], s[8:9], 0, v[70:71]
	s_mov_b64 s[16:17], 0
	v_mov_b32_e32 v83, 0xff7fffff
	v_mov_b32_e32 v86, v1
	s_branch .LBB215_9
.LBB215_8:                              ;   in Loop: Header=BB215_9 Depth=1
	s_or_b64 exec, exec, s[36:37]
	v_add_u32_e32 v86, 2, v86
	v_cmp_le_i32_e64 s[8:9], s23, v86
	v_add_u32_e32 v84, 64, v84
	v_add_u32_e32 v85, 0x100, v85
	s_or_b64 s[16:17], s[8:9], s[16:17]
	v_lshl_add_u64 v[70:71], v[70:71], 0, 8
	s_andn2_b64 exec, exec, s[16:17]
	s_cbranch_execz .LBB215_11
.LBB215_9:                              ; =>This Inner Loop Header: Depth=1
	global_load_dword v72, v[70:71], off
	s_waitcnt vmcnt(0) lgkmcnt(0)
	v_mad_i64_i32 v[72:73], s[8:9], v72, s38, v[68:69]
	v_lshl_add_u64 v[72:73], v[72:73], 0, v[66:67]
	global_load_ushort v74, v[72:73], off offset:4
	global_load_ushort v76, v[72:73], off
	global_load_ushort v91, v[72:73], off offset:8
	global_load_ushort v92, v[72:73], off offset:12
	global_load_ushort v93, v[72:73], off offset:512
	global_load_ushort v94, v[72:73], off offset:516
	global_load_ushort v96, v[72:73], off offset:520
	global_load_ushort v98, v[72:73], off offset:524
	global_load_ushort v99, v[72:73], off offset:1024
	global_load_ushort v100, v[72:73], off offset:1028
	global_load_ushort v101, v[72:73], off offset:1032
	global_load_ushort v102, v[72:73], off offset:1036
	global_load_ushort v103, v[72:73], off offset:1536
	global_load_ushort v104, v[72:73], off offset:1540
	global_load_ushort v90, v[72:73], off offset:1544
	global_load_ushort v89, v[72:73], off offset:1548
	s_waitcnt vmcnt(15)
	v_cvt_pk_f32_fp8_e32 v[74:75], v74
	s_waitcnt vmcnt(14)
	v_cvt_pk_f32_fp8_e32 v[76:77], v76
	v_pk_mul_f32 v[74:75], s[14:15], v[74:75]
	s_nop 0
	v_mul_f32_e32 v87, v4, v74
	v_mul_f32_e32 v88, v5, v75
	s_waitcnt vmcnt(13)
	v_cvt_pk_f32_fp8_e32 v[74:75], v91
	v_pk_mul_f32 v[76:77], s[14:15], v[76:77]
	global_load_ushort v91, v[72:73], off offset:2048
	v_fmac_f32_e32 v87, v2, v76
	v_fmac_f32_e32 v88, v3, v77
	s_waitcnt vmcnt(13)
	v_cvt_pk_f32_fp8_e32 v[76:77], v92
	s_waitcnt vmcnt(12)
	v_cvt_pk_f32_fp8_e32 v[92:93], v93
	;; [unrolled: 2-line block ×3, first 2 shown]
	v_pk_mul_f32 v[74:75], s[14:15], v[74:75]
	s_waitcnt vmcnt(10)
	v_cvt_pk_f32_fp8_e32 v[96:97], v96
	v_fmac_f32_e32 v87, v6, v74
	v_fmac_f32_e32 v88, v7, v75
	v_pk_mul_f32 v[74:75], s[14:15], v[76:77]
	s_waitcnt vmcnt(9)
	v_cvt_pk_f32_fp8_e32 v[76:77], v98
	v_fmac_f32_e32 v87, v8, v74
	v_fmac_f32_e32 v88, v9, v75
	s_waitcnt vmcnt(8)
	v_cvt_pk_f32_fp8_e32 v[98:99], v99
	v_pk_mul_f32 v[74:75], s[14:15], v[92:93]
	v_pk_mul_f32 v[92:93], s[14:15], v[94:95]
	v_fmac_f32_e32 v87, v10, v74
	v_fmac_f32_e32 v88, v11, v75
	v_pk_mul_f32 v[94:95], s[14:15], v[96:97]
	v_fmac_f32_e32 v87, v12, v92
	v_fmac_f32_e32 v88, v13, v93
	s_waitcnt vmcnt(7)
	v_cvt_pk_f32_fp8_e32 v[74:75], v100
	v_pk_mul_f32 v[96:97], s[14:15], v[76:77]
	v_fmac_f32_e32 v87, v14, v94
	v_fmac_f32_e32 v88, v15, v95
	v_pk_mul_f32 v[76:77], s[14:15], v[98:99]
	v_fmac_f32_e32 v87, v16, v96
	v_fmac_f32_e32 v88, v17, v97
	global_load_ushort v94, v[72:73], off offset:2052
	global_load_ushort v95, v[72:73], off offset:2056
	global_load_ushort v96, v[72:73], off offset:2060
	global_load_ushort v97, v[72:73], off offset:2560
	global_load_ushort v98, v[72:73], off offset:2564
	global_load_ushort v99, v[72:73], off offset:2568
	global_load_ushort v100, v[72:73], off offset:2572
	v_fmac_f32_e32 v87, v18, v76
	v_fmac_f32_e32 v88, v19, v77
	s_waitcnt vmcnt(13)
	v_cvt_pk_f32_fp8_e32 v[76:77], v101
	global_load_ushort v101, v[72:73], off offset:3072
	v_pk_mul_f32 v[74:75], s[14:15], v[74:75]
	s_waitcnt vmcnt(12)
	v_cvt_pk_f32_fp8_e32 v[92:93], v103
	v_fmac_f32_e32 v87, v20, v74
	v_fmac_f32_e32 v88, v21, v75
	v_cvt_pk_f32_fp8_e32 v[74:75], v102
	global_load_ushort v102, v[72:73], off offset:3076
	global_load_ushort v103, v[72:73], off offset:3080
	v_pk_mul_f32 v[76:77], s[14:15], v[76:77]
	v_pk_mul_f32 v[74:75], s[14:15], v[74:75]
	v_fmac_f32_e32 v87, v22, v76
	v_fmac_f32_e32 v88, v23, v77
	s_waitcnt vmcnt(13)
	v_cvt_pk_f32_fp8_e32 v[76:77], v104
	global_load_ushort v104, v[72:73], off offset:3084
	global_load_ushort v105, v[72:73], off offset:3584
	global_load_ushort v106, v[72:73], off offset:3588
	global_load_ushort v107, v[72:73], off offset:3592
	global_load_ushort v108, v[72:73], off offset:3596
	s_waitcnt vmcnt(17)
	v_cvt_pk_f32_fp8_e32 v[72:73], v90
	v_fmac_f32_e32 v87, v24, v74
	v_fmac_f32_e32 v88, v25, v75
	v_pk_mul_f32 v[74:75], s[14:15], v[92:93]
	v_pk_mul_f32 v[72:73], s[14:15], v[72:73]
	v_fmac_f32_e32 v87, v26, v74
	v_fmac_f32_e32 v88, v27, v75
	v_pk_mul_f32 v[74:75], s[14:15], v[76:77]
	s_waitcnt vmcnt(13)
	v_cvt_pk_f32_fp8_e32 v[76:77], v95
	v_fmac_f32_e32 v87, v28, v74
	v_fmac_f32_e32 v88, v29, v75
	;; [unrolled: 1-line block ×4, first 2 shown]
	v_cvt_pk_f32_fp8_e32 v[72:73], v89
	v_cvt_pk_f32_fp8_e32 v[74:75], v91
	s_waitcnt vmcnt(11)
	v_cvt_pk_f32_fp8_e32 v[90:91], v97
	s_waitcnt vmcnt(9)
	v_cvt_pk_f32_fp8_e32 v[92:93], v99
	v_pk_mul_f32 v[72:73], s[14:15], v[72:73]
	v_pk_mul_f32 v[74:75], s[14:15], v[74:75]
	v_fmac_f32_e32 v87, v32, v72
	v_fmac_f32_e32 v88, v33, v73
	v_cvt_pk_f32_fp8_e32 v[72:73], v94
	v_fmac_f32_e32 v87, v34, v74
	v_fmac_f32_e32 v88, v35, v75
	v_cvt_pk_f32_fp8_e32 v[74:75], v96
	v_pk_mul_f32 v[72:73], s[14:15], v[72:73]
	v_pk_mul_f32 v[76:77], s[14:15], v[76:77]
	v_fmac_f32_e32 v87, v36, v72
	v_fmac_f32_e32 v88, v37, v73
	v_cvt_pk_f32_fp8_e32 v[72:73], v98
	v_fmac_f32_e32 v87, v38, v76
	v_fmac_f32_e32 v88, v39, v77
	s_waitcnt vmcnt(8)
	v_cvt_pk_f32_fp8_e32 v[76:77], v100
	v_pk_mul_f32 v[74:75], s[14:15], v[74:75]
	s_waitcnt vmcnt(7)
	v_cvt_pk_f32_fp8_e32 v[94:95], v101
	v_fmac_f32_e32 v87, v40, v74
	v_fmac_f32_e32 v88, v41, v75
	v_pk_mul_f32 v[90:91], s[14:15], v[90:91]
	s_waitcnt vmcnt(6)
	v_cvt_pk_f32_fp8_e32 v[74:75], v102
	v_fmac_f32_e32 v87, v42, v90
	v_fmac_f32_e32 v88, v43, v91
	;; [unrolled: 5-line block ×4, first 2 shown]
	v_pk_mul_f32 v[76:77], s[14:15], v[76:77]
	s_waitcnt vmcnt(3)
	v_cvt_pk_f32_fp8_e32 v[98:99], v105
	v_pk_mul_f32 v[94:95], s[14:15], v[94:95]
	v_fmac_f32_e32 v87, v48, v76
	v_fmac_f32_e32 v88, v49, v77
	s_waitcnt vmcnt(2)
	v_cvt_pk_f32_fp8_e32 v[72:73], v106
	v_pk_mul_f32 v[74:75], s[14:15], v[74:75]
	v_fmac_f32_e32 v87, v50, v94
	v_fmac_f32_e32 v88, v51, v95
	s_waitcnt vmcnt(1)
	v_cvt_pk_f32_fp8_e32 v[100:101], v107
	v_pk_mul_f32 v[96:97], s[14:15], v[96:97]
	v_fmac_f32_e32 v87, v52, v74
	v_fmac_f32_e32 v88, v53, v75
	s_waitcnt vmcnt(0)
	v_cvt_pk_f32_fp8_e32 v[92:93], v108
	v_pk_mul_f32 v[90:91], s[14:15], v[90:91]
	v_fmac_f32_e32 v87, v54, v96
	v_fmac_f32_e32 v88, v55, v97
	v_pk_mul_f32 v[98:99], s[14:15], v[98:99]
	v_fmac_f32_e32 v87, v56, v90
	v_fmac_f32_e32 v88, v57, v91
	v_pk_mul_f32 v[72:73], s[14:15], v[72:73]
	v_fmac_f32_e32 v87, v58, v98
	v_fmac_f32_e32 v88, v59, v99
	;; [unrolled: 3-line block ×4, first 2 shown]
	v_fmac_f32_e32 v87, v64, v92
	v_fmac_f32_e32 v88, v65, v93
	v_add_f32_e32 v72, v87, v88
	ds_bpermute_b32 v73, v82, v72
	s_and_saveexec_b64 s[36:37], vcc
	s_cbranch_execz .LBB215_8
; %bb.10:                               ;   in Loop: Header=BB215_9 Depth=1
	v_add_u32_e32 v74, s39, v84
	v_cvt_f32_i32_e32 v74, v74
	s_waitcnt lgkmcnt(0)
	v_add_f32_e32 v72, v72, v73
	v_cmp_gt_i32_e64 s[8:9], s33, v84
	v_max_f32_e32 v73, v83, v83
	v_mul_f32_e32 v74, s10, v74
	v_cndmask_b32_e64 v74, 0, v74, s[0:1]
	v_fmac_f32_e32 v74, s11, v72
	v_cndmask_b32_e64 v72, 0, v74, s[8:9]
	ds_write_b32 v85, v72
	v_max_f32_e32 v72, v73, v74
	v_cndmask_b32_e64 v83, v83, v72, s[8:9]
	s_branch .LBB215_8
.LBB215_11:
	s_or_b64 exec, exec, s[16:17]
.LBB215_12:
	s_or_b64 exec, exec, s[34:35]
	v_xor_b32_e32 v2, 32, v80
	v_cmp_lt_i32_e32 vcc, v2, v81
	v_xor_b32_e32 v5, 16, v80
	v_max_f32_e32 v4, v83, v83
	v_cndmask_b32_e32 v2, v80, v2, vcc
	v_lshlrev_b32_e32 v2, 2, v2
	ds_bpermute_b32 v3, v2, v83
	v_cmp_lt_i32_e32 vcc, v5, v81
	v_xor_b32_e32 v6, 8, v80
	v_xor_b32_e32 v7, 4, v80
	v_and_b32_e32 v94, 63, v0
	s_waitcnt lgkmcnt(0)
	v_max_f32_e32 v3, v3, v3
	v_max_f32_e32 v4, v4, v3
	v_cndmask_b32_e32 v3, v80, v5, vcc
	v_lshlrev_b32_e32 v3, 2, v3
	ds_bpermute_b32 v5, v3, v4
	v_cmp_lt_i32_e32 vcc, v6, v81
	s_waitcnt lgkmcnt(0)
	v_max_f32_e32 v5, v5, v5
	v_max_f32_e32 v5, v4, v5
	v_cndmask_b32_e32 v4, v80, v6, vcc
	v_lshlrev_b32_e32 v4, 2, v4
	ds_bpermute_b32 v6, v4, v5
	v_cmp_lt_i32_e32 vcc, v7, v81
	s_waitcnt lgkmcnt(0)
	v_max_f32_e32 v6, v6, v6
	v_max_f32_e32 v5, v5, v6
	v_cndmask_b32_e32 v6, v80, v7, vcc
	v_lshlrev_b32_e32 v96, 2, v6
	ds_bpermute_b32 v6, v96, v5
	v_xor_b32_e32 v7, 2, v80
	v_cmp_lt_i32_e32 vcc, v7, v81
	s_waitcnt lgkmcnt(0)
	v_max_f32_e32 v6, v6, v6
	v_max_f32_e32 v6, v5, v6
	v_cndmask_b32_e32 v5, v80, v7, vcc
	v_lshlrev_b32_e32 v95, 2, v5
	ds_bpermute_b32 v7, v95, v6
	v_cmp_eq_u32_e32 vcc, 0, v94
	v_lshlrev_b32_e32 v5, 2, v1
	s_and_saveexec_b64 s[0:1], vcc
	s_cbranch_execz .LBB215_14
; %bb.13:
	s_waitcnt lgkmcnt(0)
	v_max_f32_e32 v7, v7, v7
	v_max_f32_e32 v6, v6, v6
	;; [unrolled: 1-line block ×3, first 2 shown]
	ds_write_b32 v5, v6 offset:512
.LBB215_14:
	s_or_b64 exec, exec, s[0:1]
	v_cmp_gt_u32_e64 s[0:1], 2, v94
	s_waitcnt lgkmcnt(0)
	v_mov_b32_e32 v7, 0xff7fffff
	v_lshlrev_b32_e32 v6, 2, v94
	s_barrier
	s_and_saveexec_b64 s[8:9], s[0:1]
	s_cbranch_execz .LBB215_16
; %bb.15:
	ds_read_b32 v7, v6 offset:512
.LBB215_16:
	s_or_b64 exec, exec, s[8:9]
	v_xor_b32_e32 v8, 1, v80
	v_cmp_lt_i32_e64 s[8:9], v8, v81
	v_lshlrev_b32_e32 v9, 2, v80
	s_nop 0
	v_cndmask_b32_e64 v8, v80, v8, s[8:9]
	v_lshlrev_b32_e32 v97, 2, v8
	s_waitcnt lgkmcnt(0)
	ds_bpermute_b32 v8, v97, v7
	v_max_f32_e32 v7, v7, v7
	s_lshl_b32 s8, s23, 5
	s_min_i32 s34, s8, s33
	v_cmp_gt_i32_e64 s[8:9], s34, v0
	s_waitcnt lgkmcnt(0)
	v_max_f32_e32 v8, v8, v8
	v_max_f32_e32 v8, v7, v8
	v_and_b32_e32 v7, 0xffffff00, v9
	ds_bpermute_b32 v9, v7, v8
	v_mov_b32_e32 v8, 0
	s_and_saveexec_b64 s[14:15], s[8:9]
	s_cbranch_execz .LBB215_20
; %bb.17:
	v_mov_b32_e32 v8, 0x210
	v_lshl_add_u32 v10, v0, 2, v8
	s_mov_b64 s[16:17], 0
	v_mov_b32_e32 v8, 0
	v_mov_b32_e32 v11, v0
.LBB215_18:                             ; =>This Inner Loop Header: Depth=1
	ds_read_b32 v12, v10
	v_add_u32_e32 v11, 0x80, v11
	v_cmp_le_i32_e64 s[10:11], s34, v11
	s_or_b64 s[16:17], s[10:11], s[16:17]
	s_waitcnt lgkmcnt(0)
	v_sub_f32_e32 v12, v12, v9
	v_mul_f32_e32 v12, 0x3fb8aa3b, v12
	v_exp_f32_e32 v12, v12
	ds_write_b32 v10, v12
	v_add_f32_e32 v8, v8, v12
	v_add_u32_e32 v10, 0x200, v10
	s_andn2_b64 exec, exec, s[16:17]
	s_cbranch_execnz .LBB215_18
; %bb.19:
	s_or_b64 exec, exec, s[16:17]
.LBB215_20:
	s_or_b64 exec, exec, s[14:15]
	ds_bpermute_b32 v2, v2, v8
	s_waitcnt lgkmcnt(0)
	v_add_f32_e32 v2, v8, v2
	ds_bpermute_b32 v3, v3, v2
	s_waitcnt lgkmcnt(0)
	v_add_f32_e32 v2, v2, v3
	;; [unrolled: 3-line block ×6, first 2 shown]
	s_and_saveexec_b64 s[10:11], vcc
	s_cbranch_execz .LBB215_22
; %bb.21:
	ds_write_b32 v5, v2 offset:520
.LBB215_22:
	s_or_b64 exec, exec, s[10:11]
	s_waitcnt lgkmcnt(0)
	s_barrier
	s_and_saveexec_b64 s[10:11], s[0:1]
	s_cbranch_execz .LBB215_24
; %bb.23:
	ds_read_b32 v2, v6 offset:520
.LBB215_24:
	s_or_b64 exec, exec, s[10:11]
	s_waitcnt lgkmcnt(0)
	ds_bpermute_b32 v3, v97, v2
	s_waitcnt lgkmcnt(0)
	v_add_f32_e32 v2, v2, v3
	ds_bpermute_b32 v2, v7, v2
	s_and_saveexec_b64 s[0:1], s[8:9]
	s_cbranch_execz .LBB215_37
; %bb.25:
	s_waitcnt lgkmcnt(0)
	v_add_f32_e32 v2, 0x358637bd, v2
	v_div_scale_f32 v3, s[8:9], v2, v2, 1.0
	v_rcp_f32_e32 v4, v3
	v_div_scale_f32 v5, vcc, 1.0, v2, 1.0
	s_movk_i32 s8, 0x7f
	v_fma_f32 v6, -v3, v4, 1.0
	v_fmac_f32_e32 v4, v6, v4
	v_mul_f32_e32 v6, v5, v4
	v_fma_f32 v7, -v3, v6, v5
	v_fmac_f32_e32 v6, v7, v4
	v_fma_f32 v3, -v3, v6, v5
	v_div_fmas_f32 v3, v3, v4, v6
	v_xad_u32 v4, v0, -1, s34
	v_div_fixup_f32 v2, v3, v2, 1.0
	v_cmp_lt_u32_e32 vcc, s8, v4
	s_mov_b64 s[10:11], -1
	v_mov_b32_e32 v3, v0
	s_and_saveexec_b64 s[8:9], vcc
	s_cbranch_execz .LBB215_34
; %bb.26:
	v_lshrrev_b32_e32 v4, 7, v4
	v_add_u32_e32 v6, -1, v4
	v_lshrrev_b32_e32 v5, 1, v6
	v_mov_b32_e32 v3, v2
	v_add_u32_e32 v5, 1, v5
	v_cmp_lt_u32_e32 vcc, 13, v6
	v_mov_b32_e32 v8, 0
	s_and_saveexec_b64 s[10:11], vcc
	s_cbranch_execz .LBB215_30
; %bb.27:
	v_mov_b32_e32 v7, 0x210
	v_and_b32_e32 v6, -8, v5
	v_lshl_add_u32 v7, v0, 2, v7
	s_mov_b32 s16, 0
	s_mov_b64 s[14:15], 0
.LBB215_28:                             ; =>This Inner Loop Header: Depth=1
	ds_read2st64_b32 v[8:9], v7 offset1:2
	ds_read2st64_b32 v[10:11], v7 offset0:4 offset1:6
	ds_read2st64_b32 v[12:13], v7 offset0:8 offset1:10
	;; [unrolled: 1-line block ×3, first 2 shown]
	v_add_u32_e32 v6, -8, v6
	s_waitcnt lgkmcnt(3)
	v_pk_mul_f32 v[8:9], v[2:3], v[8:9]
	s_waitcnt lgkmcnt(2)
	v_pk_mul_f32 v[10:11], v[2:3], v[10:11]
	ds_write2st64_b32 v7, v8, v9 offset1:2
	ds_write2st64_b32 v7, v10, v11 offset0:4 offset1:6
	ds_read2st64_b32 v[10:11], v7 offset0:16 offset1:18
	s_waitcnt lgkmcnt(4)
	v_pk_mul_f32 v[8:9], v[2:3], v[12:13]
	ds_write2st64_b32 v7, v8, v9 offset0:8 offset1:10
	s_waitcnt lgkmcnt(4)
	v_pk_mul_f32 v[8:9], v[2:3], v[14:15]
	ds_write2st64_b32 v7, v8, v9 offset0:12 offset1:14
	ds_read2st64_b32 v[8:9], v7 offset0:20 offset1:22
	s_waitcnt lgkmcnt(3)
	v_pk_mul_f32 v[10:11], v[2:3], v[10:11]
	ds_read2st64_b32 v[12:13], v7 offset0:24 offset1:26
	ds_write2st64_b32 v7, v10, v11 offset0:16 offset1:18
	ds_read2st64_b32 v[10:11], v7 offset0:28 offset1:30
	s_waitcnt lgkmcnt(3)
	v_pk_mul_f32 v[8:9], v[2:3], v[8:9]
	ds_write2st64_b32 v7, v8, v9 offset0:20 offset1:22
	s_waitcnt lgkmcnt(3)
	v_pk_mul_f32 v[8:9], v[2:3], v[12:13]
	ds_write2st64_b32 v7, v8, v9 offset0:24 offset1:26
	s_waitcnt lgkmcnt(2)
	v_pk_mul_f32 v[8:9], v[2:3], v[10:11]
	s_add_i32 s16, s16, 16
	v_cmp_eq_u32_e32 vcc, 0, v6
	ds_write2st64_b32 v7, v8, v9 offset0:28 offset1:30
	v_add_u32_e32 v7, 0x2000, v7
	s_or_b64 s[14:15], vcc, s[14:15]
	v_mov_b32_e32 v8, s16
	s_andn2_b64 exec, exec, s[14:15]
	s_cbranch_execnz .LBB215_28
; %bb.29:
	s_or_b64 exec, exec, s[14:15]
.LBB215_30:
	s_or_b64 exec, exec, s[10:11]
	v_and_b32_e32 v5, 7, v5
	v_cmp_ne_u32_e32 vcc, 0, v5
	s_and_saveexec_b64 s[10:11], vcc
	s_cbranch_execz .LBB215_33
; %bb.31:
	v_lshlrev_b32_e32 v6, 9, v8
	s_movk_i32 s14, 0x210
	v_add3_u32 v6, v6, v78, s14
	s_mov_b64 s[14:15], 0
.LBB215_32:                             ; =>This Inner Loop Header: Depth=1
	ds_read2st64_b32 v[8:9], v6 offset1:2
	v_add_u32_e32 v5, -1, v5
	v_cmp_eq_u32_e32 vcc, 0, v5
	s_or_b64 s[14:15], vcc, s[14:15]
	s_waitcnt lgkmcnt(0)
	v_pk_mul_f32 v[8:9], v[2:3], v[8:9]
	ds_write2st64_b32 v6, v8, v9 offset1:2
	v_add_u32_e32 v6, 0x400, v6
	s_andn2_b64 exec, exec, s[14:15]
	s_cbranch_execnz .LBB215_32
.LBB215_33:
	s_or_b64 exec, exec, s[10:11]
	v_add_u32_e32 v4, 1, v4
	v_and_b32_e32 v5, 0x3fffffe, v4
	v_cmp_ne_u32_e32 vcc, v4, v5
	v_lshl_add_u32 v3, v5, 7, v0
	s_orn2_b64 s[10:11], vcc, exec
.LBB215_34:
	s_or_b64 exec, exec, s[8:9]
	s_and_b64 exec, exec, s[10:11]
	s_cbranch_execz .LBB215_37
; %bb.35:
	v_mov_b32_e32 v4, 0x210
	v_lshl_add_u32 v4, v3, 2, v4
	s_mov_b64 s[8:9], 0
.LBB215_36:                             ; =>This Inner Loop Header: Depth=1
	ds_read_b32 v5, v4
	v_add_u32_e32 v3, 0x80, v3
	v_cmp_le_i32_e32 vcc, s34, v3
	s_or_b64 s[8:9], vcc, s[8:9]
	s_waitcnt lgkmcnt(0)
	v_mul_f32_e32 v5, v2, v5
	ds_write_b32 v4, v5
	v_add_u32_e32 v4, 0x200, v4
	s_andn2_b64 exec, exec, s[8:9]
	s_cbranch_execnz .LBB215_36
.LBB215_37:
	s_or_b64 exec, exec, s[0:1]
	v_mov_b32_e32 v20, 0
	v_and_b32_e32 v98, 7, v0
	v_mov_b32_e32 v21, 0
	v_mov_b32_e32 v18, 0
	;; [unrolled: 1-line block ×15, first 2 shown]
	s_waitcnt lgkmcnt(0)
	s_barrier
	s_and_saveexec_b64 s[8:9], s[2:3]
	s_cbranch_execz .LBB215_73
; %bb.38:
	s_load_dword s2, s[18:19], 0x0
	s_ashr_i32 s1, s12, 31
	v_and_b32_e32 v2, 28, v78
	s_add_u32 s0, s30, s12
	v_lshlrev_b32_e32 v3, 5, v1
	s_addc_u32 s1, s31, s1
	s_add_i32 s15, s23, -1
	v_or3_b32 v99, v3, v2, 3
	v_lshlrev_b32_e32 v2, 4, v98
	s_lshl_b64 s[10:11], s[28:29], 2
	v_mov_b32_e32 v23, 0
	v_lshl_or_b32 v2, v1, 7, v2
	s_add_u32 s10, s26, s10
	v_add_u32_e32 v100, 0x210, v2
	v_and_b32_e32 v2, 60, v79
	v_mov_b32_e32 v3, v23
	s_addc_u32 s11, s27, s11
	s_mov_b32 s14, s13
	s_waitcnt lgkmcnt(0)
	s_mov_b32 s3, s2
	v_and_b32_e32 v22, 0xfc, v78
	v_or_b32_e32 v24, 0xf00, v78
	v_mov_b32_e32 v25, v23
	v_lshl_add_u64 v[26:27], s[10:11], 0, v[2:3]
	s_mov_b64 s[10:11], 0
	v_mov_b64_e32 v[28:29], s[0:1]
	v_mov_b32_e32 v7, v23
	v_mov_b32_e32 v6, v23
	;; [unrolled: 1-line block ×16, first 2 shown]
	s_branch .LBB215_40
.LBB215_39:                             ;   in Loop: Header=BB215_40 Depth=1
	s_or_b64 exec, exec, s[0:1]
	s_waitcnt lgkmcnt(0)
	v_mul_f32_e32 v93, v3, v93
	v_mul_f32_e32 v89, v3, v89
	;; [unrolled: 1-line block ×16, first 2 shown]
	v_fmac_f32_e32 v93, v2, v92
	v_fmac_f32_e32 v89, v2, v88
	;; [unrolled: 1-line block ×32, first 2 shown]
	v_add_u32_e32 v1, 2, v1
	v_fmac_f32_e32 v93, v5, v91
	v_fmac_f32_e32 v89, v5, v87
	;; [unrolled: 1-line block ×16, first 2 shown]
	v_cmp_le_i32_e32 vcc, s23, v1
	v_add_f32_e32 v6, v6, v93
	v_add_f32_e32 v9, v9, v89
	;; [unrolled: 1-line block ×16, first 2 shown]
	v_add_u32_e32 v99, 64, v99
	v_add_u32_e32 v100, 0x100, v100
	s_or_b64 s[10:11], vcc, s[10:11]
	v_lshl_add_u64 v[26:27], v[26:27], 0, 8
	s_andn2_b64 exec, exec, s[10:11]
	s_cbranch_execz .LBB215_72
.LBB215_40:                             ; =>This Inner Loop Header: Depth=1
	global_load_dword v2, v[26:27], off
	v_add_u32_e32 v101, -3, v99
	v_cmp_eq_u32_e32 vcc, s15, v1
	v_add_u32_e32 v102, -2, v99
	v_add_u32_e32 v103, -1, v99
	s_waitcnt vmcnt(0)
	v_mad_i64_i32 v[42:43], s[0:1], v2, s14, v[28:29]
	v_lshl_add_u64 v[48:49], v[42:43], 0, v[22:23]
	global_load_dword v30, v[48:49], off
	ds_read_b128 v[2:5], v100
	s_waitcnt vmcnt(0)
	v_and_b32_e32 v31, 0xffff, v30
	v_lshrrev_b32_e32 v32, 16, v30
	v_cvt_pk_f32_fp8_e32 v[30:31], v31
	v_cvt_pk_f32_fp8_e32 v[34:35], v32
	v_pk_mul_f32 v[32:33], s[2:3], v[30:31]
	v_pk_mul_f32 v[30:31], s[2:3], v[34:35]
	s_and_saveexec_b64 s[12:13], vcc
; %bb.41:                               ;   in Loop: Header=BB215_40 Depth=1
	v_cmp_gt_i32_e64 s[0:1], s33, v101
	s_nop 1
	v_cndmask_b32_e64 v32, 0, v32, s[0:1]
	v_cmp_gt_i32_e64 s[0:1], s33, v102
	s_nop 1
	v_cndmask_b32_e64 v33, 0, v33, s[0:1]
	v_cmp_gt_i32_e64 s[0:1], s33, v103
	s_nop 1
	v_cndmask_b32_e64 v30, 0, v30, s[0:1]
	v_cmp_gt_i32_e64 s[0:1], s33, v99
	s_nop 1
	v_cndmask_b32_e64 v31, 0, v31, s[0:1]
; %bb.42:                               ;   in Loop: Header=BB215_40 Depth=1
	s_or_b64 exec, exec, s[12:13]
	global_load_dword v34, v[48:49], off offset:256
	s_waitcnt vmcnt(0)
	v_and_b32_e32 v35, 0xffff, v34
	v_lshrrev_b32_e32 v36, 16, v34
	v_cvt_pk_f32_fp8_e32 v[34:35], v35
	v_cvt_pk_f32_fp8_e32 v[38:39], v36
	v_pk_mul_f32 v[36:37], s[2:3], v[34:35]
	v_pk_mul_f32 v[34:35], s[2:3], v[38:39]
	s_and_saveexec_b64 s[12:13], vcc
; %bb.43:                               ;   in Loop: Header=BB215_40 Depth=1
	v_cmp_gt_i32_e64 s[0:1], s33, v101
	s_nop 1
	v_cndmask_b32_e64 v36, 0, v36, s[0:1]
	v_cmp_gt_i32_e64 s[0:1], s33, v102
	s_nop 1
	v_cndmask_b32_e64 v37, 0, v37, s[0:1]
	v_cmp_gt_i32_e64 s[0:1], s33, v103
	s_nop 1
	v_cndmask_b32_e64 v34, 0, v34, s[0:1]
	v_cmp_gt_i32_e64 s[0:1], s33, v99
	s_nop 1
	v_cndmask_b32_e64 v35, 0, v35, s[0:1]
; %bb.44:                               ;   in Loop: Header=BB215_40 Depth=1
	s_or_b64 exec, exec, s[12:13]
	global_load_dword v38, v[48:49], off offset:512
	;; [unrolled: 24-line block ×14, first 2 shown]
	s_waitcnt vmcnt(0)
	v_and_b32_e32 v49, 0xffff, v48
	v_lshrrev_b32_e32 v90, 16, v48
	v_cvt_pk_f32_fp8_e32 v[48:49], v49
	v_cvt_pk_f32_fp8_e32 v[90:91], v90
	v_pk_mul_f32 v[92:93], s[2:3], v[48:49]
	v_pk_mul_f32 v[90:91], s[2:3], v[90:91]
	s_and_saveexec_b64 s[12:13], vcc
; %bb.69:                               ;   in Loop: Header=BB215_40 Depth=1
	v_cmp_gt_i32_e64 s[0:1], s33, v101
	s_nop 1
	v_cndmask_b32_e64 v92, 0, v92, s[0:1]
	v_cmp_gt_i32_e64 s[0:1], s33, v102
	s_nop 1
	v_cndmask_b32_e64 v93, 0, v93, s[0:1]
	;; [unrolled: 3-line block ×4, first 2 shown]
; %bb.70:                               ;   in Loop: Header=BB215_40 Depth=1
	s_or_b64 exec, exec, s[12:13]
	v_lshl_add_u64 v[42:43], v[42:43], 0, v[24:25]
	global_load_dword v42, v[42:43], off
	s_waitcnt vmcnt(0)
	v_and_b32_e32 v43, 0xffff, v42
	v_lshrrev_b32_e32 v48, 16, v42
	v_cvt_pk_f32_fp8_e32 v[42:43], v43
	v_cvt_pk_f32_fp8_e32 v[104:105], v48
	v_pk_mul_f32 v[48:49], s[2:3], v[42:43]
	v_pk_mul_f32 v[42:43], s[2:3], v[104:105]
	s_and_saveexec_b64 s[0:1], vcc
	s_cbranch_execz .LBB215_39
; %bb.71:                               ;   in Loop: Header=BB215_40 Depth=1
	v_cmp_gt_i32_e32 vcc, s33, v101
	s_nop 1
	v_cndmask_b32_e32 v48, 0, v48, vcc
	v_cmp_gt_i32_e32 vcc, s33, v102
	s_nop 1
	v_cndmask_b32_e32 v49, 0, v49, vcc
	;; [unrolled: 3-line block ×4, first 2 shown]
	s_branch .LBB215_39
.LBB215_72:
	s_or_b64 exec, exec, s[10:11]
.LBB215_73:
	s_or_b64 exec, exec, s[8:9]
	ds_bpermute_b32 v4, v96, v18
	ds_bpermute_b32 v5, v96, v19
	ds_bpermute_b32 v2, v96, v20
	ds_bpermute_b32 v3, v96, v21
	ds_bpermute_b32 v22, v96, v16
	ds_bpermute_b32 v23, v96, v17
	s_waitcnt lgkmcnt(4)
	v_pk_add_f32 v[4:5], v[18:19], v[4:5]
	ds_bpermute_b32 v18, v95, v4
	ds_bpermute_b32 v19, v95, v5
	s_waitcnt lgkmcnt(4)
	v_pk_add_f32 v[2:3], v[20:21], v[2:3]
	s_waitcnt lgkmcnt(2)
	v_pk_add_f32 v[16:17], v[16:17], v[22:23]
	ds_bpermute_b32 v20, v95, v2
	ds_bpermute_b32 v21, v95, v3
	s_waitcnt lgkmcnt(2)
	v_pk_add_f32 v[4:5], v[4:5], v[18:19]
	ds_bpermute_b32 v18, v95, v16
	ds_bpermute_b32 v19, v95, v17
	;; [unrolled: 1-line block ×3, first 2 shown]
	s_waitcnt lgkmcnt(3)
	v_pk_add_f32 v[2:3], v[2:3], v[20:21]
	ds_bpermute_b32 v20, v97, v2
	ds_bpermute_b32 v21, v97, v3
	s_waitcnt lgkmcnt(3)
	v_pk_add_f32 v[16:17], v[16:17], v[18:19]
	ds_bpermute_b32 v25, v96, v15
	ds_bpermute_b32 v18, v97, v16
	;; [unrolled: 1-line block ×5, first 2 shown]
	s_waitcnt lgkmcnt(4)
	v_pk_add_f32 v[24:25], v[14:15], v[24:25]
	v_pk_add_f32 v[14:15], v[2:3], v[20:21]
	s_waitcnt lgkmcnt(2)
	v_pk_add_f32 v[2:3], v[16:17], v[18:19]
	ds_bpermute_b32 v18, v96, v12
	ds_bpermute_b32 v19, v96, v13
	;; [unrolled: 1-line block ×4, first 2 shown]
	s_waitcnt lgkmcnt(4)
	v_pk_add_f32 v[4:5], v[4:5], v[22:23]
	ds_bpermute_b32 v22, v96, v10
	ds_bpermute_b32 v23, v96, v11
	s_waitcnt lgkmcnt(4)
	v_pk_add_f32 v[12:13], v[12:13], v[18:19]
	ds_bpermute_b32 v18, v95, v12
	ds_bpermute_b32 v19, v95, v13
	s_waitcnt lgkmcnt(4)
	v_pk_add_f32 v[16:17], v[24:25], v[26:27]
	s_waitcnt lgkmcnt(2)
	v_pk_add_f32 v[10:11], v[10:11], v[22:23]
	ds_bpermute_b32 v24, v96, v8
	ds_bpermute_b32 v25, v96, v9
	;; [unrolled: 1-line block ×4, first 2 shown]
	s_waitcnt lgkmcnt(4)
	v_pk_add_f32 v[18:19], v[12:13], v[18:19]
	ds_bpermute_b32 v12, v96, v6
	ds_bpermute_b32 v13, v96, v7
	s_waitcnt lgkmcnt(4)
	v_pk_add_f32 v[8:9], v[8:9], v[24:25]
	s_waitcnt lgkmcnt(2)
	v_pk_add_f32 v[22:23], v[10:11], v[22:23]
	ds_bpermute_b32 v10, v95, v8
	ds_bpermute_b32 v11, v95, v9
	s_waitcnt lgkmcnt(2)
	v_pk_add_f32 v[32:33], v[6:7], v[12:13]
	ds_bpermute_b32 v20, v97, v16
	ds_bpermute_b32 v21, v97, v17
	;; [unrolled: 1-line block ×6, first 2 shown]
	s_waitcnt lgkmcnt(6)
	v_pk_add_f32 v[28:29], v[8:9], v[10:11]
	ds_bpermute_b32 v24, v97, v22
	ds_bpermute_b32 v25, v97, v23
	;; [unrolled: 1-line block ×4, first 2 shown]
	s_waitcnt lgkmcnt(8)
	v_pk_add_f32 v[12:13], v[16:17], v[20:21]
	s_waitcnt lgkmcnt(6)
	v_pk_add_f32 v[16:17], v[32:33], v[34:35]
	;; [unrolled: 2-line block ×3, first 2 shown]
	ds_bpermute_b32 v18, v97, v16
	ds_bpermute_b32 v19, v97, v17
	v_and_b32_e32 v1, 0x3c7, v0
	s_waitcnt lgkmcnt(4)
	v_pk_add_f32 v[8:9], v[22:23], v[24:25]
	s_waitcnt lgkmcnt(2)
	v_pk_add_f32 v[6:7], v[28:29], v[30:31]
	v_cmp_ne_u32_e32 vcc, 64, v1
	s_waitcnt lgkmcnt(0)
	s_barrier
	s_and_saveexec_b64 s[0:1], vcc
	s_xor_b64 s[0:1], exec, s[0:1]
; %bb.74:
                                        ; implicit-def: $vgpr94
; %bb.75:
	s_or_saveexec_b64 s[0:1], s[0:1]
	v_pk_add_f32 v[16:17], v[16:17], v[18:19]
	s_xor_b64 exec, exec, s[0:1]
	s_cbranch_execz .LBB215_77
; %bb.76:
	v_lshrrev_b32_e32 v18, 1, v94
	v_add_u32_e32 v18, 0x210, v18
	ds_write2_b32 v18, v14, v15 offset1:8
	ds_write2_b32 v18, v4, v5 offset0:16 offset1:24
	ds_write2_b32 v18, v2, v3 offset0:32 offset1:40
	;; [unrolled: 1-line block ×7, first 2 shown]
.LBB215_77:
	s_or_b64 exec, exec, s[0:1]
	s_waitcnt lgkmcnt(0)
	s_barrier
	s_and_saveexec_b64 s[0:1], s[6:7]
	s_cbranch_execz .LBB215_96
; %bb.78:
	v_cmp_eq_u32_e32 vcc, 0, v98
	v_lshrrev_b32_e32 v18, 3, v0
	s_and_saveexec_b64 s[2:3], vcc
	s_cbranch_execnz .LBB215_99
; %bb.79:
	s_or_b64 exec, exec, s[2:3]
	s_and_saveexec_b64 s[2:3], vcc
	s_cbranch_execnz .LBB215_100
.LBB215_80:
	s_or_b64 exec, exec, s[2:3]
	s_and_saveexec_b64 s[2:3], vcc
	s_cbranch_execnz .LBB215_101
.LBB215_81:
	s_or_b64 exec, exec, s[2:3]
	s_and_saveexec_b64 s[2:3], vcc
	s_cbranch_execnz .LBB215_102
.LBB215_82:
	s_or_b64 exec, exec, s[2:3]
	s_and_saveexec_b64 s[2:3], vcc
	s_cbranch_execnz .LBB215_103
.LBB215_83:
	s_or_b64 exec, exec, s[2:3]
	s_and_saveexec_b64 s[2:3], vcc
	s_cbranch_execnz .LBB215_104
.LBB215_84:
	s_or_b64 exec, exec, s[2:3]
	s_and_saveexec_b64 s[2:3], vcc
	s_cbranch_execnz .LBB215_105
.LBB215_85:
	s_or_b64 exec, exec, s[2:3]
	s_and_saveexec_b64 s[2:3], vcc
	s_cbranch_execnz .LBB215_106
.LBB215_86:
	s_or_b64 exec, exec, s[2:3]
	s_and_saveexec_b64 s[2:3], vcc
	s_cbranch_execnz .LBB215_107
.LBB215_87:
	s_or_b64 exec, exec, s[2:3]
	s_and_saveexec_b64 s[2:3], vcc
	s_cbranch_execnz .LBB215_108
.LBB215_88:
	s_or_b64 exec, exec, s[2:3]
	s_and_saveexec_b64 s[2:3], vcc
	s_cbranch_execnz .LBB215_109
.LBB215_89:
	s_or_b64 exec, exec, s[2:3]
	s_and_saveexec_b64 s[2:3], vcc
	s_cbranch_execnz .LBB215_110
.LBB215_90:
	s_or_b64 exec, exec, s[2:3]
	s_and_saveexec_b64 s[2:3], vcc
	s_cbranch_execnz .LBB215_111
.LBB215_91:
	s_or_b64 exec, exec, s[2:3]
	s_and_saveexec_b64 s[2:3], vcc
	s_cbranch_execnz .LBB215_112
.LBB215_92:
	s_or_b64 exec, exec, s[2:3]
	s_and_saveexec_b64 s[2:3], vcc
	s_cbranch_execnz .LBB215_113
.LBB215_93:
	s_or_b64 exec, exec, s[2:3]
	s_and_saveexec_b64 s[2:3], vcc
	s_cbranch_execz .LBB215_95
.LBB215_94:
	v_mov_b32_e32 v19, 0x210
	v_lshl_add_u32 v18, v18, 2, v19
	ds_read_b32 v18, v18 offset:480
	s_waitcnt lgkmcnt(0)
	v_add_f32_e32 v17, v17, v18
.LBB215_95:
	s_or_b64 exec, exec, s[2:3]
.LBB215_96:
	s_or_b64 exec, exec, s[0:1]
	v_cmp_eq_u32_e32 vcc, 0, v1
	s_barrier
	s_and_saveexec_b64 s[0:1], vcc
	s_cbranch_execz .LBB215_98
; %bb.97:
	s_mul_i32 s0, s20, s21
	s_mul_i32 s0, s0, s5
	s_lshl_b32 s0, s0, 7
	s_ashr_i32 s1, s0, 31
	s_lshl_b64 s[0:1], s[0:1], 2
	s_add_u32 s2, s24, s0
	s_mul_i32 s0, s21, s22
	s_addc_u32 s3, s25, s1
	s_ashr_i32 s1, s0, 31
	s_lshl_b64 s[0:1], s[0:1], 2
	s_add_u32 s2, s2, s0
	s_addc_u32 s3, s3, s1
	s_lshl_b32 s0, s4, 7
	s_ashr_i32 s1, s0, 31
	s_lshl_b64 s[0:1], s[0:1], 2
	s_add_u32 s0, s2, s0
	s_addc_u32 s1, s3, s1
	v_lshrrev_b32_e32 v0, 1, v0
	global_store_dword v0, v14, s[0:1]
	global_store_dword v0, v15, s[0:1] offset:32
	global_store_dword v0, v4, s[0:1] offset:64
	;; [unrolled: 1-line block ×15, first 2 shown]
.LBB215_98:
	s_endpgm
.LBB215_99:
	v_mov_b32_e32 v19, 0x210
	v_lshl_add_u32 v19, v18, 2, v19
	ds_read_b32 v19, v19
	s_waitcnt lgkmcnt(0)
	v_add_f32_e32 v14, v14, v19
	s_or_b64 exec, exec, s[2:3]
	s_and_saveexec_b64 s[2:3], vcc
	s_cbranch_execz .LBB215_80
.LBB215_100:
	v_mov_b32_e32 v19, 0x210
	v_lshl_add_u32 v19, v18, 2, v19
	ds_read_b32 v19, v19 offset:32
	s_waitcnt lgkmcnt(0)
	v_add_f32_e32 v15, v15, v19
	s_or_b64 exec, exec, s[2:3]
	s_and_saveexec_b64 s[2:3], vcc
	s_cbranch_execz .LBB215_81
.LBB215_101:
	v_mov_b32_e32 v19, 0x210
	v_lshl_add_u32 v19, v18, 2, v19
	ds_read_b32 v19, v19 offset:64
	s_waitcnt lgkmcnt(0)
	v_add_f32_e32 v4, v4, v19
	s_or_b64 exec, exec, s[2:3]
	s_and_saveexec_b64 s[2:3], vcc
	s_cbranch_execz .LBB215_82
.LBB215_102:
	v_mov_b32_e32 v19, 0x210
	v_lshl_add_u32 v19, v18, 2, v19
	ds_read_b32 v19, v19 offset:96
	s_waitcnt lgkmcnt(0)
	v_add_f32_e32 v5, v5, v19
	s_or_b64 exec, exec, s[2:3]
	s_and_saveexec_b64 s[2:3], vcc
	s_cbranch_execz .LBB215_83
.LBB215_103:
	v_mov_b32_e32 v19, 0x210
	v_lshl_add_u32 v19, v18, 2, v19
	ds_read_b32 v19, v19 offset:128
	s_waitcnt lgkmcnt(0)
	v_add_f32_e32 v2, v2, v19
	s_or_b64 exec, exec, s[2:3]
	s_and_saveexec_b64 s[2:3], vcc
	s_cbranch_execz .LBB215_84
.LBB215_104:
	v_mov_b32_e32 v19, 0x210
	v_lshl_add_u32 v19, v18, 2, v19
	ds_read_b32 v19, v19 offset:160
	s_waitcnt lgkmcnt(0)
	v_add_f32_e32 v3, v3, v19
	s_or_b64 exec, exec, s[2:3]
	s_and_saveexec_b64 s[2:3], vcc
	s_cbranch_execz .LBB215_85
.LBB215_105:
	v_mov_b32_e32 v19, 0x210
	v_lshl_add_u32 v19, v18, 2, v19
	ds_read_b32 v19, v19 offset:192
	s_waitcnt lgkmcnt(0)
	v_add_f32_e32 v12, v12, v19
	s_or_b64 exec, exec, s[2:3]
	s_and_saveexec_b64 s[2:3], vcc
	s_cbranch_execz .LBB215_86
.LBB215_106:
	v_mov_b32_e32 v19, 0x210
	v_lshl_add_u32 v19, v18, 2, v19
	ds_read_b32 v19, v19 offset:224
	s_waitcnt lgkmcnt(0)
	v_add_f32_e32 v13, v13, v19
	s_or_b64 exec, exec, s[2:3]
	s_and_saveexec_b64 s[2:3], vcc
	s_cbranch_execz .LBB215_87
.LBB215_107:
	v_mov_b32_e32 v19, 0x210
	v_lshl_add_u32 v19, v18, 2, v19
	ds_read_b32 v19, v19 offset:256
	s_waitcnt lgkmcnt(0)
	v_add_f32_e32 v10, v10, v19
	s_or_b64 exec, exec, s[2:3]
	s_and_saveexec_b64 s[2:3], vcc
	s_cbranch_execz .LBB215_88
.LBB215_108:
	v_mov_b32_e32 v19, 0x210
	v_lshl_add_u32 v19, v18, 2, v19
	ds_read_b32 v19, v19 offset:288
	s_waitcnt lgkmcnt(0)
	v_add_f32_e32 v11, v11, v19
	s_or_b64 exec, exec, s[2:3]
	s_and_saveexec_b64 s[2:3], vcc
	s_cbranch_execz .LBB215_89
.LBB215_109:
	v_mov_b32_e32 v19, 0x210
	v_lshl_add_u32 v19, v18, 2, v19
	ds_read_b32 v19, v19 offset:320
	s_waitcnt lgkmcnt(0)
	v_add_f32_e32 v8, v8, v19
	s_or_b64 exec, exec, s[2:3]
	s_and_saveexec_b64 s[2:3], vcc
	s_cbranch_execz .LBB215_90
.LBB215_110:
	v_mov_b32_e32 v19, 0x210
	v_lshl_add_u32 v19, v18, 2, v19
	ds_read_b32 v19, v19 offset:352
	s_waitcnt lgkmcnt(0)
	v_add_f32_e32 v9, v9, v19
	s_or_b64 exec, exec, s[2:3]
	s_and_saveexec_b64 s[2:3], vcc
	s_cbranch_execz .LBB215_91
.LBB215_111:
	v_mov_b32_e32 v19, 0x210
	v_lshl_add_u32 v19, v18, 2, v19
	ds_read_b32 v19, v19 offset:384
	s_waitcnt lgkmcnt(0)
	v_add_f32_e32 v6, v6, v19
	s_or_b64 exec, exec, s[2:3]
	s_and_saveexec_b64 s[2:3], vcc
	s_cbranch_execz .LBB215_92
.LBB215_112:
	v_mov_b32_e32 v19, 0x210
	v_lshl_add_u32 v19, v18, 2, v19
	ds_read_b32 v19, v19 offset:416
	s_waitcnt lgkmcnt(0)
	v_add_f32_e32 v7, v7, v19
	s_or_b64 exec, exec, s[2:3]
	s_and_saveexec_b64 s[2:3], vcc
	s_cbranch_execz .LBB215_93
.LBB215_113:
	v_mov_b32_e32 v19, 0x210
	v_lshl_add_u32 v19, v18, 2, v19
	ds_read_b32 v19, v19 offset:448
	s_waitcnt lgkmcnt(0)
	v_add_f32_e32 v16, v16, v19
	s_or_b64 exec, exec, s[2:3]
	s_and_saveexec_b64 s[2:3], vcc
	s_cbranch_execnz .LBB215_94
	s_branch .LBB215_95
	.section	.rodata,"a",@progbits
	.p2align	6, 0x0
	.amdhsa_kernel _ZN4vllm25paged_attention_v1_kernelIfhLi128ELi32ELi128ELNS_18Fp8KVCacheDataTypeE1ELb0EEEvPT_PKS2_PKT0_S8_ifPKiSA_iPKfiiiSC_SC_iiiii
		.amdhsa_group_segment_fixed_size 528
		.amdhsa_private_segment_fixed_size 0
		.amdhsa_kernarg_size 384
		.amdhsa_user_sgpr_count 2
		.amdhsa_user_sgpr_dispatch_ptr 0
		.amdhsa_user_sgpr_queue_ptr 0
		.amdhsa_user_sgpr_kernarg_segment_ptr 1
		.amdhsa_user_sgpr_dispatch_id 0
		.amdhsa_user_sgpr_kernarg_preload_length 0
		.amdhsa_user_sgpr_kernarg_preload_offset 0
		.amdhsa_user_sgpr_private_segment_size 0
		.amdhsa_uses_dynamic_stack 0
		.amdhsa_enable_private_segment 0
		.amdhsa_system_sgpr_workgroup_id_x 1
		.amdhsa_system_sgpr_workgroup_id_y 1
		.amdhsa_system_sgpr_workgroup_id_z 1
		.amdhsa_system_sgpr_workgroup_info 0
		.amdhsa_system_vgpr_workitem_id 0
		.amdhsa_next_free_vgpr 109
		.amdhsa_next_free_sgpr 40
		.amdhsa_accum_offset 112
		.amdhsa_reserve_vcc 1
		.amdhsa_float_round_mode_32 0
		.amdhsa_float_round_mode_16_64 0
		.amdhsa_float_denorm_mode_32 3
		.amdhsa_float_denorm_mode_16_64 3
		.amdhsa_dx10_clamp 1
		.amdhsa_ieee_mode 1
		.amdhsa_fp16_overflow 0
		.amdhsa_tg_split 0
		.amdhsa_exception_fp_ieee_invalid_op 0
		.amdhsa_exception_fp_denorm_src 0
		.amdhsa_exception_fp_ieee_div_zero 0
		.amdhsa_exception_fp_ieee_overflow 0
		.amdhsa_exception_fp_ieee_underflow 0
		.amdhsa_exception_fp_ieee_inexact 0
		.amdhsa_exception_int_div_zero 0
	.end_amdhsa_kernel
	.section	.text._ZN4vllm25paged_attention_v1_kernelIfhLi128ELi32ELi128ELNS_18Fp8KVCacheDataTypeE1ELb0EEEvPT_PKS2_PKT0_S8_ifPKiSA_iPKfiiiSC_SC_iiiii,"axG",@progbits,_ZN4vllm25paged_attention_v1_kernelIfhLi128ELi32ELi128ELNS_18Fp8KVCacheDataTypeE1ELb0EEEvPT_PKS2_PKT0_S8_ifPKiSA_iPKfiiiSC_SC_iiiii,comdat
.Lfunc_end215:
	.size	_ZN4vllm25paged_attention_v1_kernelIfhLi128ELi32ELi128ELNS_18Fp8KVCacheDataTypeE1ELb0EEEvPT_PKS2_PKT0_S8_ifPKiSA_iPKfiiiSC_SC_iiiii, .Lfunc_end215-_ZN4vllm25paged_attention_v1_kernelIfhLi128ELi32ELi128ELNS_18Fp8KVCacheDataTypeE1ELb0EEEvPT_PKS2_PKT0_S8_ifPKiSA_iPKfiiiSC_SC_iiiii
                                        ; -- End function
	.section	.AMDGPU.csdata,"",@progbits
; Kernel info:
; codeLenInByte = 8260
; NumSgprs: 46
; NumVgprs: 109
; NumAgprs: 0
; TotalNumVgprs: 109
; ScratchSize: 0
; MemoryBound: 0
; FloatMode: 240
; IeeeMode: 1
; LDSByteSize: 528 bytes/workgroup (compile time only)
; SGPRBlocks: 5
; VGPRBlocks: 13
; NumSGPRsForWavesPerEU: 46
; NumVGPRsForWavesPerEU: 109
; AccumOffset: 112
; Occupancy: 4
; WaveLimiterHint : 1
; COMPUTE_PGM_RSRC2:SCRATCH_EN: 0
; COMPUTE_PGM_RSRC2:USER_SGPR: 2
; COMPUTE_PGM_RSRC2:TRAP_HANDLER: 0
; COMPUTE_PGM_RSRC2:TGID_X_EN: 1
; COMPUTE_PGM_RSRC2:TGID_Y_EN: 1
; COMPUTE_PGM_RSRC2:TGID_Z_EN: 1
; COMPUTE_PGM_RSRC2:TIDIG_COMP_CNT: 0
; COMPUTE_PGM_RSRC3_GFX90A:ACCUM_OFFSET: 27
; COMPUTE_PGM_RSRC3_GFX90A:TG_SPLIT: 0
	.section	.text._ZN4vllm25paged_attention_v1_kernelIfhLi192ELi32ELi128ELNS_18Fp8KVCacheDataTypeE1ELb0EEEvPT_PKS2_PKT0_S8_ifPKiSA_iPKfiiiSC_SC_iiiii,"axG",@progbits,_ZN4vllm25paged_attention_v1_kernelIfhLi192ELi32ELi128ELNS_18Fp8KVCacheDataTypeE1ELb0EEEvPT_PKS2_PKT0_S8_ifPKiSA_iPKfiiiSC_SC_iiiii,comdat
	.protected	_ZN4vllm25paged_attention_v1_kernelIfhLi192ELi32ELi128ELNS_18Fp8KVCacheDataTypeE1ELb0EEEvPT_PKS2_PKT0_S8_ifPKiSA_iPKfiiiSC_SC_iiiii ; -- Begin function _ZN4vllm25paged_attention_v1_kernelIfhLi192ELi32ELi128ELNS_18Fp8KVCacheDataTypeE1ELb0EEEvPT_PKS2_PKT0_S8_ifPKiSA_iPKfiiiSC_SC_iiiii
	.globl	_ZN4vllm25paged_attention_v1_kernelIfhLi192ELi32ELi128ELNS_18Fp8KVCacheDataTypeE1ELb0EEEvPT_PKS2_PKT0_S8_ifPKiSA_iPKfiiiSC_SC_iiiii
	.p2align	8
	.type	_ZN4vllm25paged_attention_v1_kernelIfhLi192ELi32ELi128ELNS_18Fp8KVCacheDataTypeE1ELb0EEEvPT_PKS2_PKT0_S8_ifPKiSA_iPKfiiiSC_SC_iiiii,@function
_ZN4vllm25paged_attention_v1_kernelIfhLi192ELi32ELi128ELNS_18Fp8KVCacheDataTypeE1ELb0EEEvPT_PKS2_PKT0_S8_ifPKiSA_iPKfiiiSC_SC_iiiii: ; @_ZN4vllm25paged_attention_v1_kernelIfhLi192ELi32ELi128ELNS_18Fp8KVCacheDataTypeE1ELb0EEEvPT_PKS2_PKT0_S8_ifPKiSA_iPKfiiiSC_SC_iiiii
; %bb.0:
	s_load_dword s5, s[0:1], 0x80
	s_load_dwordx2 s[6:7], s[0:1], 0x30
	s_load_dwordx2 s[28:29], s[0:1], 0x20
	s_mov_b32 s16, s3
	s_ashr_i32 s17, s3, 31
	s_lshl_b64 s[8:9], s[16:17], 2
	s_waitcnt lgkmcnt(0)
	s_add_u32 s6, s6, s8
	s_addc_u32 s7, s7, s9
	s_abs_i32 s3, s28
	v_mov_b32_e32 v42, v0
	v_cvt_f32_u32_e32 v0, s3
	s_sub_i32 s10, 0, s3
	s_abs_i32 s9, s5
	s_xor_b32 s8, s5, s28
	v_rcp_iflag_f32_e32 v0, v0
	s_ashr_i32 s8, s8, 31
	s_mov_b32 s28, 0
	v_mul_f32_e32 v0, 0x4f7ffffe, v0
	v_cvt_u32_f32_e32 v0, v0
	s_nop 0
	v_readfirstlane_b32 s11, v0
	s_mul_i32 s10, s10, s11
	s_mul_hi_u32 s10, s11, s10
	s_add_i32 s11, s11, s10
	s_mul_hi_u32 s10, s9, s11
	s_mul_i32 s11, s10, s3
	s_sub_i32 s9, s9, s11
	s_add_i32 s11, s10, 1
	s_sub_i32 s12, s9, s3
	s_cmp_ge_u32 s9, s3
	s_cselect_b32 s10, s11, s10
	s_cselect_b32 s9, s12, s9
	s_add_i32 s11, s10, 1
	s_cmp_ge_u32 s9, s3
	s_cselect_b32 s3, s11, s10
	s_xor_b32 s3, s3, s8
	s_sub_i32 s12, s3, s8
	s_abs_i32 s10, s12
	v_cvt_f32_u32_e32 v0, s10
	s_load_dwordx2 s[8:9], s[0:1], 0x40
	s_sub_i32 s3, 0, s10
	s_abs_i32 s11, s2
	v_rcp_iflag_f32_e32 v0, v0
	s_nop 0
	v_mul_f32_e32 v0, 0x4f7ffffe, v0
	v_cvt_u32_f32_e32 v0, v0
	s_nop 0
	v_readfirstlane_b32 s13, v0
	s_mul_i32 s3, s3, s13
	s_mul_hi_u32 s3, s13, s3
	s_add_i32 s13, s13, s3
	s_waitcnt lgkmcnt(0)
	s_cmp_eq_u64 s[8:9], 0
	s_mul_hi_u32 s20, s11, s13
	s_cbranch_scc1 .LBB216_2
; %bb.1:
	s_ashr_i32 s3, s2, 31
	s_lshl_b64 s[14:15], s[2:3], 2
	s_add_u32 s8, s8, s14
	s_addc_u32 s9, s9, s15
	s_load_dword s28, s[8:9], 0x0
.LBB216_2:
	s_load_dword s17, s[6:7], 0x0
	s_ashr_i32 s7, s12, 31
	s_load_dwordx4 s[12:15], s[0:1], 0x48
	s_ashr_i32 s6, s2, 31
	s_mul_i32 s18, s2, 0xc0
	s_movk_i32 s2, 0x60
	v_and_b32_e32 v0, 1, v42
	v_cmp_gt_u32_e32 vcc, s2, v42
	v_lshlrev_b32_e32 v30, 2, v42
	s_and_saveexec_b64 s[2:3], vcc
	s_cbranch_execz .LBB216_4
; %bb.3:
	s_load_dwordx2 s[8:9], s[0:1], 0x8
	s_waitcnt lgkmcnt(0)
	s_mul_i32 s22, s16, s12
	s_ashr_i32 s23, s22, 31
	s_lshl_b64 s[22:23], s[22:23], 2
	v_lshlrev_b32_e32 v1, 3, v42
	s_add_u32 s12, s8, s22
	s_addc_u32 s15, s9, s23
	s_ashr_i32 s19, s18, 31
	s_lshl_b64 s[8:9], s[18:19], 2
	s_add_u32 s8, s12, s8
	s_addc_u32 s9, s15, s9
	global_load_dwordx2 v[2:3], v1, s[8:9]
	v_and_b32_e32 v1, 0xff8, v30
	s_movk_i32 s8, 0x180
	v_mad_u32_u24 v1, v0, s8, v1
	s_waitcnt vmcnt(0)
	ds_write_b64 v1, v[2:3]
.LBB216_4:
	s_or_b64 exec, exec, s[2:3]
	s_waitcnt lgkmcnt(0)
	s_add_i32 s3, s17, 31
	s_ashr_i32 s8, s3, 31
	s_lshr_b32 s8, s8, 27
	s_add_i32 s3, s3, s8
	s_ashr_i32 s19, s3, 5
	s_xor_b32 s3, s6, s7
	s_mul_i32 s6, s20, s10
	s_sub_i32 s6, s11, s6
	s_add_i32 s7, s20, 1
	s_sub_i32 s8, s6, s10
	s_load_dwordx2 s[22:23], s[0:1], 0x28
	s_load_dword s2, s[0:1], 0x38
	s_cmp_ge_u32 s6, s10
	s_cselect_b32 s7, s7, s20
	s_cselect_b32 s6, s8, s6
	s_add_i32 s8, s7, 1
	s_cmp_ge_u32 s6, s10
	s_cselect_b32 s6, s8, s7
	v_lshrrev_b32_e32 v114, 6, v42
	s_xor_b32 s6, s6, s3
	s_waitcnt lgkmcnt(0)
	s_mul_i32 s24, s16, s2
	s_sub_i32 s33, s6, s3
	s_ashr_i32 s25, s24, 31
	v_cmp_gt_i32_e64 s[6:7], s19, v114
	v_cmp_le_i32_e32 vcc, s19, v114
	v_mbcnt_lo_u32_b32 v1, -1, 0
	s_barrier
	s_waitcnt lgkmcnt(0)
                                        ; implicit-def: $sgpr15
                                        ; implicit-def: $vgpr108
                                        ; implicit-def: $vgpr109
	s_and_saveexec_b64 s[2:3], vcc
	s_xor_b64 s[2:3], exec, s[2:3]
; %bb.5:
	v_mbcnt_hi_u32_b32 v108, -1, v1
	v_and_b32_e32 v0, 64, v108
	v_add_u32_e32 v109, 64, v0
	s_mov_b32 s15, 0xff7fffff
                                        ; implicit-def: $vgpr0
                                        ; implicit-def: $vgpr1
; %bb.6:
	s_or_saveexec_b64 s[30:31], s[2:3]
	s_load_dwordx2 s[20:21], s[0:1], 0x0
	s_load_dwordx2 s[26:27], s[0:1], 0x18
	s_load_dword s12, s[0:1], 0x88
	s_load_dwordx4 s[8:11], s[0:1], 0x58
	v_mov_b32_e32 v110, s15
	s_mul_i32 s33, s33, s14
	v_lshrrev_b32_e32 v48, 4, v42
	s_xor_b64 exec, exec, s[30:31]
	s_cbranch_execz .LBB216_12
; %bb.7:
	s_load_dwordx2 s[0:1], s[0:1], 0x10
	v_mbcnt_hi_u32_b32 v108, -1, v1
	s_ashr_i32 s2, s33, 31
	v_and_b32_e32 v43, 64, v108
	v_mov_b32_e32 v106, v42
	v_bfe_u32 v42, v42, 1, 5
	s_waitcnt lgkmcnt(0)
	s_add_u32 s0, s0, s33
	v_xor_b32_e32 v1, 1, v108
	v_add_u32_e32 v109, 64, v43
	v_lshlrev_b32_e32 v98, 4, v42
	s_addc_u32 s1, s1, s2
	v_mov_b32_e32 v99, 0
	v_cmp_lt_i32_e32 vcc, v1, v109
	scratch_store_dword off, v30, off       ; 4-byte Folded Spill
	v_lshl_add_u64 v[100:101], s[0:1], 0, v[98:99]
	v_lshlrev_b32_e32 v98, 1, v0
	v_mul_u32_u24_e32 v94, 0x180, v0
	v_cndmask_b32_e32 v1, v108, v1, vcc
	v_cmp_eq_u32_e32 vcc, 0, v0
	v_lshlrev_b32_e32 v0, 2, v42
	ds_read_b128 v[2:5], v94
	ds_read_b128 v[6:9], v94 offset:16
	ds_read_b128 v[10:13], v94 offset:32
	;; [unrolled: 1-line block ×9, first 2 shown]
	v_lshl_or_b32 v0, v114, 7, v0
	scratch_store_dword off, v48, off offset:8 ; 4-byte Folded Spill
	s_load_dword s8, s[8:9], 0x0
	v_lshl_or_b32 v112, v114, 5, v42
	v_add_u32_e32 v113, 0x310, v0
	v_and_b32_e32 v0, 60, v48
	ds_read_b128 v[42:45], v94 offset:160
	ds_read_b128 v[46:49], v94 offset:176
	;; [unrolled: 1-line block ×14, first 2 shown]
	s_sub_i32 s45, 1, s17
	s_lshl_b64 s[0:1], s[24:25], 2
	s_add_u32 s0, s22, s0
	v_lshlrev_b32_e32 v111, 2, v1
	v_mov_b32_e32 v1, v99
	s_addc_u32 s1, s23, s1
	s_mov_b32 s44, s13
	v_cmp_neq_f32_e64 s[2:3], s28, 0
	s_waitcnt lgkmcnt(0)
	s_mov_b32 s9, s8
	v_lshl_add_u64 v[102:103], s[0:1], 0, v[0:1]
	s_mov_b64 s[14:15], 0
	v_mov_b32_e32 v110, 0xff7fffff
	s_mov_b64 s[34:35], 0x1000
	s_movk_i32 s46, 0x1000
	s_mov_b64 s[36:37], 0x1200
	s_mov_b64 s[38:39], 0x1400
	;; [unrolled: 1-line block ×3, first 2 shown]
	scratch_store_dword off, v114, off offset:16 ; 4-byte Folded Spill
	s_branch .LBB216_9
.LBB216_8:                              ;   in Loop: Header=BB216_9 Depth=1
	s_or_b64 exec, exec, s[42:43]
	v_add_u32_e32 v114, 2, v114
	v_cmp_le_i32_e64 s[0:1], s19, v114
	v_add_u32_e32 v112, 64, v112
	v_add_u32_e32 v113, 0x100, v113
	s_or_b64 s[14:15], s[0:1], s[14:15]
	v_lshl_add_u64 v[102:103], v[102:103], 0, 8
	s_andn2_b64 exec, exec, s[14:15]
	s_cbranch_execz .LBB216_11
.LBB216_9:                              ; =>This Inner Loop Header: Depth=1
	global_load_dword v0, v[102:103], off
	s_waitcnt vmcnt(0) lgkmcnt(0)
	v_mad_i64_i32 v[0:1], s[0:1], v0, s44, v[100:101]
	v_lshl_add_u64 v[104:105], v[0:1], 0, v[98:99]
	global_load_ushort v0, v[104:105], off offset:4
	global_load_ushort v117, v[104:105], off
	global_load_ushort v118, v[104:105], off offset:8
	global_load_ushort v119, v[104:105], off offset:12
	;; [unrolled: 1-line block ×9, first 2 shown]
	s_waitcnt vmcnt(10)
	v_cvt_pk_f32_fp8_e32 v[0:1], v0
	v_pk_mul_f32 v[0:1], s[8:9], v[0:1]
	s_nop 0
	v_mul_f32_e32 v115, v4, v0
	v_mul_f32_e32 v116, v5, v1
	s_waitcnt vmcnt(9)
	v_cvt_pk_f32_fp8_e32 v[0:1], v117
	global_load_ushort v117, v[104:105], off offset:1032
	v_pk_mul_f32 v[0:1], s[8:9], v[0:1]
	s_nop 0
	v_fmac_f32_e32 v115, v2, v0
	v_fmac_f32_e32 v116, v3, v1
	s_waitcnt vmcnt(9)
	v_cvt_pk_f32_fp8_e32 v[0:1], v118
	v_pk_mul_f32 v[0:1], s[8:9], v[0:1]
	s_nop 0
	v_fmac_f32_e32 v115, v6, v0
	v_fmac_f32_e32 v116, v7, v1
	s_waitcnt vmcnt(8)
	v_cvt_pk_f32_fp8_e32 v[0:1], v119
	s_waitcnt vmcnt(5)
	v_cvt_pk_f32_fp8_e32 v[118:119], v122
	v_pk_mul_f32 v[0:1], s[8:9], v[0:1]
	s_nop 0
	v_fmac_f32_e32 v115, v8, v0
	v_fmac_f32_e32 v116, v9, v1
	v_cvt_pk_f32_fp8_e32 v[0:1], v120
	global_load_ushort v120, v[104:105], off offset:1536
	v_pk_mul_f32 v[0:1], s[8:9], v[0:1]
	s_nop 0
	v_fmac_f32_e32 v115, v10, v0
	v_fmac_f32_e32 v116, v11, v1
	v_cvt_pk_f32_fp8_e32 v[0:1], v121
	global_load_ushort v121, v[104:105], off offset:1540
	global_load_ushort v122, v[104:105], off offset:1544
	;; [unrolled: 1-line block ×3, first 2 shown]
	v_pk_mul_f32 v[0:1], s[8:9], v[0:1]
	s_nop 0
	v_fmac_f32_e32 v115, v12, v0
	v_fmac_f32_e32 v116, v13, v1
	v_pk_mul_f32 v[0:1], s[8:9], v[118:119]
	s_waitcnt vmcnt(1)
	v_cvt_pk_f32_fp8_e32 v[118:119], v122
	v_fmac_f32_e32 v115, v14, v0
	v_fmac_f32_e32 v116, v15, v1
	v_cvt_pk_f32_fp8_e32 v[0:1], v123
	global_load_ushort v123, v[104:105], off offset:1548
	v_pk_mul_f32 v[118:119], s[8:9], v[118:119]
	v_pk_mul_f32 v[0:1], s[8:9], v[0:1]
	s_nop 0
	v_fmac_f32_e32 v115, v16, v0
	v_fmac_f32_e32 v116, v17, v1
	v_cvt_pk_f32_fp8_e32 v[0:1], v124
	global_load_ushort v124, v[104:105], off offset:2052
	v_pk_mul_f32 v[0:1], s[8:9], v[0:1]
	s_nop 0
	v_fmac_f32_e32 v115, v18, v0
	v_fmac_f32_e32 v116, v19, v1
	v_cvt_pk_f32_fp8_e32 v[0:1], v125
	global_load_ushort v125, v[104:105], off offset:2056
	;; [unrolled: 6-line block ×6, first 2 shown]
	v_pk_mul_f32 v[0:1], s[8:9], v[0:1]
	s_nop 0
	v_fmac_f32_e32 v115, v28, v0
	v_fmac_f32_e32 v116, v29, v1
	;; [unrolled: 1-line block ×4, first 2 shown]
	s_waitcnt vmcnt(7)
	v_cvt_pk_f32_fp8_e32 v[118:119], v127
	s_waitcnt vmcnt(6)
	v_cvt_pk_f32_fp8_e32 v[0:1], v123
	global_load_ushort v122, v[104:105], off offset:2572
	global_load_ushort v123, v[104:105], off offset:3072
	;; [unrolled: 1-line block ×3, first 2 shown]
	v_pk_mul_f32 v[0:1], s[8:9], v[0:1]
	s_nop 0
	v_fmac_f32_e32 v115, v32, v0
	v_fmac_f32_e32 v116, v33, v1
	v_pk_mul_f32 v[0:1], s[8:9], v[118:119]
	s_waitcnt vmcnt(2)
	v_cvt_pk_f32_fp8_e32 v[118:119], v122
	v_fmac_f32_e32 v115, v34, v0
	v_fmac_f32_e32 v116, v35, v1
	v_cvt_pk_f32_fp8_e32 v[0:1], v124
	global_load_ushort v124, v[104:105], off offset:3076
	v_pk_mul_f32 v[118:119], s[8:9], v[118:119]
	global_load_ushort v122, v[104:105], off offset:3592
	v_pk_mul_f32 v[0:1], s[8:9], v[0:1]
	s_nop 0
	v_fmac_f32_e32 v115, v36, v0
	v_fmac_f32_e32 v116, v37, v1
	v_cvt_pk_f32_fp8_e32 v[0:1], v125
	global_load_ushort v125, v[104:105], off offset:3080
	v_pk_mul_f32 v[0:1], s[8:9], v[0:1]
	s_nop 0
	v_fmac_f32_e32 v115, v38, v0
	v_fmac_f32_e32 v116, v39, v1
	v_cvt_pk_f32_fp8_e32 v[0:1], v117
	;; [unrolled: 6-line block ×4, first 2 shown]
	v_pk_mul_f32 v[0:1], s[8:9], v[0:1]
	s_nop 0
	v_fmac_f32_e32 v115, v44, v0
	v_fmac_f32_e32 v116, v45, v1
	v_cvt_pk_f32_fp8_e32 v[0:1], v121
	s_waitcnt vmcnt(5)
	v_cvt_pk_f32_fp8_e32 v[120:121], v127
	v_pk_mul_f32 v[0:1], s[8:9], v[0:1]
	s_nop 0
	v_fmac_f32_e32 v115, v46, v0
	v_fmac_f32_e32 v116, v47, v1
	v_cvt_pk_f32_fp8_e32 v[0:1], v123
	global_load_ushort v123, v[104:105], off offset:3596
	v_fmac_f32_e32 v115, v48, v118
	v_fmac_f32_e32 v116, v49, v119
	v_pk_mul_f32 v[0:1], s[8:9], v[0:1]
	v_pk_mul_f32 v[120:121], s[8:9], v[120:121]
	v_fmac_f32_e32 v115, v50, v0
	v_fmac_f32_e32 v116, v51, v1
	s_waitcnt vmcnt(5)
	v_cvt_pk_f32_fp8_e32 v[118:119], v124
	v_pk_mul_f32 v[118:119], s[8:9], v[118:119]
	s_nop 0
	v_fmac_f32_e32 v115, v52, v118
	v_fmac_f32_e32 v116, v53, v119
	v_lshl_add_u64 v[118:119], v[104:105], 0, s[34:35]
	s_waitcnt vmcnt(3)
	v_cvt_pk_f32_fp8_e32 v[0:1], v125
	v_pk_mul_f32 v[0:1], s[8:9], v[0:1]
	s_nop 0
	v_fmac_f32_e32 v115, v54, v0
	v_add_co_u32_e64 v0, s[0:1], s46, v104
	v_fmac_f32_e32 v116, v55, v1
	s_nop 0
	v_addc_co_u32_e64 v1, s[0:1], 0, v105, s[0:1]
	v_fmac_f32_e32 v115, v56, v120
	v_fmac_f32_e32 v116, v57, v121
	s_waitcnt vmcnt(2)
	v_cvt_pk_f32_fp8_e32 v[120:121], v117
	global_load_ushort v117, v[0:1], off
	global_load_ushort v124, v[118:119], off offset:4
	global_load_ushort v125, v[118:119], off offset:8
	;; [unrolled: 1-line block ×3, first 2 shown]
	s_waitcnt vmcnt(5)
	v_cvt_pk_f32_fp8_e32 v[118:119], v126
	global_load_ushort v126, v[0:1], off offset:512
	v_pk_mul_f32 v[120:121], s[8:9], v[120:121]
	v_pk_mul_f32 v[118:119], s[8:9], v[118:119]
	v_fmac_f32_e32 v115, v58, v120
	v_fmac_f32_e32 v116, v59, v121
	;; [unrolled: 1-line block ×4, first 2 shown]
	v_cvt_pk_f32_fp8_e32 v[118:119], v122
	v_pk_mul_f32 v[118:119], s[8:9], v[118:119]
	s_nop 0
	v_fmac_f32_e32 v115, v62, v118
	v_fmac_f32_e32 v116, v63, v119
	s_waitcnt vmcnt(5)
	v_cvt_pk_f32_fp8_e32 v[118:119], v123
	v_pk_mul_f32 v[118:119], s[8:9], v[118:119]
	s_nop 0
	v_fmac_f32_e32 v115, v64, v118
	v_fmac_f32_e32 v116, v65, v119
	s_waitcnt vmcnt(3)
	v_cvt_pk_f32_fp8_e32 v[118:119], v124
	v_cvt_pk_f32_fp8_e32 v[120:121], v117
	v_pk_mul_f32 v[118:119], s[8:9], v[118:119]
	v_pk_mul_f32 v[120:121], s[8:9], v[120:121]
	s_nop 0
	v_fmac_f32_e32 v115, v66, v120
	v_fmac_f32_e32 v116, v67, v121
	v_lshl_add_u64 v[120:121], v[104:105], 0, s[36:37]
	global_load_ushort v117, v[120:121], off offset:4
	v_fmac_f32_e32 v115, v68, v118
	v_fmac_f32_e32 v116, v69, v119
	s_waitcnt vmcnt(3)
	v_cvt_pk_f32_fp8_e32 v[118:119], v125
	global_load_ushort v122, v[120:121], off offset:8
	global_load_ushort v123, v[120:121], off offset:12
	s_waitcnt vmcnt(4)
	v_cvt_pk_f32_fp8_e32 v[120:121], v127
	v_pk_mul_f32 v[118:119], s[8:9], v[118:119]
	s_nop 0
	v_fmac_f32_e32 v115, v70, v118
	v_fmac_f32_e32 v116, v71, v119
	v_lshl_add_u64 v[118:119], v[104:105], 0, s[38:39]
	v_pk_mul_f32 v[120:121], s[8:9], v[120:121]
	v_lshl_add_u64 v[104:105], v[104:105], 0, s[40:41]
	v_fmac_f32_e32 v115, v72, v120
	v_fmac_f32_e32 v116, v73, v121
	global_load_ushort v120, v[118:119], off offset:4
	global_load_ushort v121, v[118:119], off offset:8
	global_load_ushort v124, v[118:119], off offset:12
	s_nop 0
	global_load_ushort v118, v[0:1], off offset:1024
	global_load_ushort v125, v[0:1], off offset:1536
	s_waitcnt vmcnt(8)
	v_cvt_pk_f32_fp8_e32 v[0:1], v126
	global_load_ushort v126, v[104:105], off offset:4
	global_load_ushort v127, v[104:105], off offset:8
	;; [unrolled: 1-line block ×3, first 2 shown]
	v_pk_mul_f32 v[0:1], s[8:9], v[0:1]
	s_nop 0
	v_fmac_f32_e32 v115, v74, v0
	v_fmac_f32_e32 v116, v75, v1
	s_waitcnt vmcnt(10)
	v_cvt_pk_f32_fp8_e32 v[0:1], v117
	v_pk_mul_f32 v[0:1], s[8:9], v[0:1]
	s_nop 0
	v_fmac_f32_e32 v115, v76, v0
	v_fmac_f32_e32 v116, v77, v1
	s_waitcnt vmcnt(9)
	v_cvt_pk_f32_fp8_e32 v[0:1], v122
	s_waitcnt vmcnt(8)
	v_cvt_pk_f32_fp8_e32 v[104:105], v123
	v_pk_mul_f32 v[0:1], s[8:9], v[0:1]
	s_nop 0
	v_fmac_f32_e32 v115, v78, v0
	v_fmac_f32_e32 v116, v79, v1
	s_waitcnt vmcnt(4)
	v_cvt_pk_f32_fp8_e32 v[0:1], v118
	v_pk_mul_f32 v[104:105], s[8:9], v[104:105]
	v_cvt_pk_f32_fp8_e32 v[118:119], v120
	v_fmac_f32_e32 v115, v80, v104
	v_fmac_f32_e32 v116, v81, v105
	v_cvt_pk_f32_fp8_e32 v[104:105], v121
	v_cvt_pk_f32_fp8_e32 v[120:121], v124
	v_pk_mul_f32 v[0:1], s[8:9], v[0:1]
	v_pk_mul_f32 v[118:119], s[8:9], v[118:119]
	v_fmac_f32_e32 v115, v82, v0
	v_fmac_f32_e32 v116, v83, v1
	s_waitcnt vmcnt(3)
	v_cvt_pk_f32_fp8_e32 v[0:1], v125
	s_waitcnt vmcnt(2)
	v_cvt_pk_f32_fp8_e32 v[122:123], v126
	v_pk_mul_f32 v[104:105], s[8:9], v[104:105]
	v_fmac_f32_e32 v115, v84, v118
	v_fmac_f32_e32 v116, v85, v119
	s_waitcnt vmcnt(1)
	v_cvt_pk_f32_fp8_e32 v[118:119], v127
	v_pk_mul_f32 v[120:121], s[8:9], v[120:121]
	s_waitcnt vmcnt(0)
	v_cvt_pk_f32_fp8_e32 v[124:125], v107
	v_fmac_f32_e32 v115, v86, v104
	v_fmac_f32_e32 v116, v87, v105
	v_pk_mul_f32 v[0:1], s[8:9], v[0:1]
	v_fmac_f32_e32 v115, v88, v120
	v_fmac_f32_e32 v116, v89, v121
	v_pk_mul_f32 v[122:123], s[8:9], v[122:123]
	;; [unrolled: 3-line block ×4, first 2 shown]
	v_fmac_f32_e32 v115, v94, v118
	v_fmac_f32_e32 v116, v95, v119
	;; [unrolled: 1-line block ×4, first 2 shown]
	v_add_f32_e32 v0, v115, v116
	ds_bpermute_b32 v1, v111, v0
	s_and_saveexec_b64 s[42:43], vcc
	s_cbranch_execz .LBB216_8
; %bb.10:                               ;   in Loop: Header=BB216_9 Depth=1
	v_add_u32_e32 v104, s45, v112
	v_cvt_f32_i32_e32 v104, v104
	s_waitcnt lgkmcnt(0)
	v_add_f32_e32 v0, v0, v1
	v_cmp_gt_i32_e64 s[0:1], s17, v112
	v_max_f32_e32 v1, v110, v110
	v_mul_f32_e32 v104, s28, v104
	v_cndmask_b32_e64 v104, 0, v104, s[2:3]
	v_fmac_f32_e32 v104, s29, v0
	v_cndmask_b32_e64 v0, 0, v104, s[0:1]
	ds_write_b32 v113, v0
	v_max_f32_e32 v0, v1, v104
	v_cndmask_b32_e64 v110, v110, v0, s[0:1]
	s_branch .LBB216_8
.LBB216_11:
	s_or_b64 exec, exec, s[14:15]
	scratch_load_dword v114, off, off offset:16 ; 4-byte Folded Reload
	scratch_load_dword v30, off, off        ; 4-byte Folded Reload
	scratch_load_dword v48, off, off offset:8 ; 4-byte Folded Reload
	v_mov_b32_e32 v42, v106
.LBB216_12:
	s_or_b64 exec, exec, s[30:31]
	v_xor_b32_e32 v0, 32, v108
	v_cmp_lt_i32_e32 vcc, v0, v109
	v_xor_b32_e32 v3, 16, v108
	v_max_f32_e32 v2, v110, v110
	v_cndmask_b32_e32 v0, v108, v0, vcc
	v_lshlrev_b32_e32 v0, 2, v0
	s_waitcnt lgkmcnt(0)
	ds_bpermute_b32 v1, v0, v110
	v_cmp_lt_i32_e32 vcc, v3, v109
	v_xor_b32_e32 v4, 8, v108
	v_xor_b32_e32 v5, 4, v108
	v_and_b32_e32 v43, 63, v42
	s_waitcnt lgkmcnt(0)
	v_max_f32_e32 v1, v1, v1
	v_max_f32_e32 v2, v2, v1
	v_cndmask_b32_e32 v1, v108, v3, vcc
	v_lshlrev_b32_e32 v1, 2, v1
	ds_bpermute_b32 v3, v1, v2
	v_cmp_lt_i32_e32 vcc, v4, v109
	s_waitcnt lgkmcnt(0)
	v_max_f32_e32 v3, v3, v3
	v_max_f32_e32 v3, v2, v3
	v_cndmask_b32_e32 v2, v108, v4, vcc
	v_lshlrev_b32_e32 v2, 2, v2
	ds_bpermute_b32 v4, v2, v3
	v_cmp_lt_i32_e32 vcc, v5, v109
	s_waitcnt lgkmcnt(0)
	v_max_f32_e32 v4, v4, v4
	v_max_f32_e32 v3, v3, v4
	v_cndmask_b32_e32 v4, v108, v5, vcc
	v_lshlrev_b32_e32 v45, 2, v4
	ds_bpermute_b32 v4, v45, v3
	v_xor_b32_e32 v5, 2, v108
	v_cmp_lt_i32_e32 vcc, v5, v109
	s_waitcnt lgkmcnt(0)
	v_max_f32_e32 v4, v4, v4
	v_max_f32_e32 v4, v3, v4
	v_cndmask_b32_e32 v3, v108, v5, vcc
	v_lshlrev_b32_e32 v44, 2, v3
	ds_bpermute_b32 v5, v44, v4
	v_cmp_eq_u32_e32 vcc, 0, v43
	s_waitcnt vmcnt(2)
	v_lshlrev_b32_e32 v3, 2, v114
	s_and_saveexec_b64 s[0:1], vcc
	s_cbranch_execz .LBB216_14
; %bb.13:
	s_waitcnt lgkmcnt(0)
	v_max_f32_e32 v5, v5, v5
	v_max_f32_e32 v4, v4, v4
	v_max_f32_e32 v4, v4, v5
	ds_write_b32 v3, v4 offset:768
.LBB216_14:
	s_or_b64 exec, exec, s[0:1]
	v_cmp_gt_u32_e64 s[0:1], 2, v43
	s_waitcnt lgkmcnt(0)
	v_mov_b32_e32 v5, 0xff7fffff
	v_lshlrev_b32_e32 v4, 2, v43
	s_barrier
	s_and_saveexec_b64 s[2:3], s[0:1]
	s_cbranch_execz .LBB216_16
; %bb.15:
	ds_read_b32 v5, v4 offset:768
.LBB216_16:
	s_or_b64 exec, exec, s[2:3]
	v_xor_b32_e32 v6, 1, v108
	v_cmp_lt_i32_e64 s[2:3], v6, v109
	v_lshlrev_b32_e32 v7, 2, v108
	s_nop 0
	v_cndmask_b32_e64 v6, v108, v6, s[2:3]
	v_lshlrev_b32_e32 v46, 2, v6
	s_waitcnt lgkmcnt(0)
	ds_bpermute_b32 v6, v46, v5
	v_max_f32_e32 v5, v5, v5
	s_lshl_b32 s2, s19, 5
	s_min_i32 s30, s2, s17
	v_cmp_gt_i32_e64 s[2:3], s30, v42
	s_waitcnt lgkmcnt(0)
	v_max_f32_e32 v6, v6, v6
	v_max_f32_e32 v6, v5, v6
	v_and_b32_e32 v5, 0xffffff00, v7
	ds_bpermute_b32 v7, v5, v6
	v_mov_b32_e32 v6, 0
	s_and_saveexec_b64 s[14:15], s[2:3]
	s_cbranch_execz .LBB216_20
; %bb.17:
	v_mov_b32_e32 v6, 0x310
	v_lshl_add_u32 v8, v42, 2, v6
	s_mov_b64 s[28:29], 0
	v_mov_b32_e32 v6, 0
	v_mov_b32_e32 v9, v42
.LBB216_18:                             ; =>This Inner Loop Header: Depth=1
	ds_read_b32 v10, v8
	v_add_u32_e32 v9, 0x80, v9
	v_cmp_le_i32_e64 s[8:9], s30, v9
	s_or_b64 s[28:29], s[8:9], s[28:29]
	s_waitcnt lgkmcnt(0)
	v_sub_f32_e32 v10, v10, v7
	v_mul_f32_e32 v10, 0x3fb8aa3b, v10
	v_exp_f32_e32 v10, v10
	ds_write_b32 v8, v10
	v_add_f32_e32 v6, v6, v10
	v_add_u32_e32 v8, 0x200, v8
	s_andn2_b64 exec, exec, s[28:29]
	s_cbranch_execnz .LBB216_18
; %bb.19:
	s_or_b64 exec, exec, s[28:29]
.LBB216_20:
	s_or_b64 exec, exec, s[14:15]
	ds_bpermute_b32 v0, v0, v6
	s_waitcnt lgkmcnt(0)
	v_add_f32_e32 v0, v6, v0
	ds_bpermute_b32 v1, v1, v0
	s_waitcnt lgkmcnt(0)
	v_add_f32_e32 v0, v0, v1
	ds_bpermute_b32 v1, v2, v0
	s_waitcnt lgkmcnt(0)
	v_add_f32_e32 v0, v0, v1
	ds_bpermute_b32 v1, v45, v0
	s_waitcnt lgkmcnt(0)
	v_add_f32_e32 v0, v0, v1
	ds_bpermute_b32 v1, v44, v0
	s_waitcnt lgkmcnt(0)
	v_add_f32_e32 v0, v0, v1
	ds_bpermute_b32 v1, v46, v0
	s_waitcnt lgkmcnt(0)
	v_add_f32_e32 v0, v0, v1
	s_and_saveexec_b64 s[8:9], vcc
	s_cbranch_execz .LBB216_22
; %bb.21:
	ds_write_b32 v3, v0 offset:776
.LBB216_22:
	s_or_b64 exec, exec, s[8:9]
	s_waitcnt lgkmcnt(0)
	s_barrier
	s_and_saveexec_b64 s[8:9], s[0:1]
	s_cbranch_execz .LBB216_24
; %bb.23:
	ds_read_b32 v0, v4 offset:776
.LBB216_24:
	s_or_b64 exec, exec, s[8:9]
	s_waitcnt lgkmcnt(0)
	ds_bpermute_b32 v1, v46, v0
	s_waitcnt lgkmcnt(0)
	v_add_f32_e32 v0, v0, v1
	ds_bpermute_b32 v0, v5, v0
	s_and_saveexec_b64 s[0:1], s[2:3]
	s_cbranch_execz .LBB216_37
; %bb.25:
	s_waitcnt lgkmcnt(0)
	v_add_f32_e32 v0, 0x358637bd, v0
	v_div_scale_f32 v1, s[2:3], v0, v0, 1.0
	v_rcp_f32_e32 v2, v1
	v_div_scale_f32 v3, vcc, 1.0, v0, 1.0
	s_movk_i32 s2, 0x7f
	v_fma_f32 v4, -v1, v2, 1.0
	v_fmac_f32_e32 v2, v4, v2
	v_mul_f32_e32 v4, v3, v2
	v_fma_f32 v5, -v1, v4, v3
	v_fmac_f32_e32 v4, v5, v2
	v_fma_f32 v1, -v1, v4, v3
	v_div_fmas_f32 v1, v1, v2, v4
	v_xad_u32 v2, v42, -1, s30
	v_div_fixup_f32 v0, v1, v0, 1.0
	v_cmp_lt_u32_e32 vcc, s2, v2
	s_mov_b64 s[8:9], -1
	v_mov_b32_e32 v1, v42
	s_and_saveexec_b64 s[2:3], vcc
	s_cbranch_execz .LBB216_34
; %bb.26:
	v_lshrrev_b32_e32 v2, 7, v2
	v_add_u32_e32 v4, -1, v2
	v_lshrrev_b32_e32 v3, 1, v4
	v_mov_b32_e32 v1, v0
	v_add_u32_e32 v3, 1, v3
	v_cmp_lt_u32_e32 vcc, 13, v4
	v_mov_b32_e32 v6, 0
	s_and_saveexec_b64 s[8:9], vcc
	s_cbranch_execz .LBB216_30
; %bb.27:
	v_mov_b32_e32 v5, 0x310
	v_and_b32_e32 v4, -8, v3
	v_lshl_add_u32 v5, v42, 2, v5
	s_mov_b32 s28, 0
	s_mov_b64 s[14:15], 0
.LBB216_28:                             ; =>This Inner Loop Header: Depth=1
	ds_read2st64_b32 v[6:7], v5 offset1:2
	ds_read2st64_b32 v[8:9], v5 offset0:4 offset1:6
	ds_read2st64_b32 v[10:11], v5 offset0:8 offset1:10
	;; [unrolled: 1-line block ×3, first 2 shown]
	v_add_u32_e32 v4, -8, v4
	s_waitcnt lgkmcnt(3)
	v_pk_mul_f32 v[6:7], v[0:1], v[6:7]
	s_waitcnt lgkmcnt(2)
	v_pk_mul_f32 v[8:9], v[0:1], v[8:9]
	ds_write2st64_b32 v5, v6, v7 offset1:2
	ds_write2st64_b32 v5, v8, v9 offset0:4 offset1:6
	ds_read2st64_b32 v[8:9], v5 offset0:16 offset1:18
	s_waitcnt lgkmcnt(4)
	v_pk_mul_f32 v[6:7], v[0:1], v[10:11]
	ds_write2st64_b32 v5, v6, v7 offset0:8 offset1:10
	s_waitcnt lgkmcnt(4)
	v_pk_mul_f32 v[6:7], v[0:1], v[12:13]
	ds_write2st64_b32 v5, v6, v7 offset0:12 offset1:14
	ds_read2st64_b32 v[6:7], v5 offset0:20 offset1:22
	s_waitcnt lgkmcnt(3)
	v_pk_mul_f32 v[8:9], v[0:1], v[8:9]
	ds_read2st64_b32 v[10:11], v5 offset0:24 offset1:26
	ds_write2st64_b32 v5, v8, v9 offset0:16 offset1:18
	ds_read2st64_b32 v[8:9], v5 offset0:28 offset1:30
	s_waitcnt lgkmcnt(3)
	v_pk_mul_f32 v[6:7], v[0:1], v[6:7]
	ds_write2st64_b32 v5, v6, v7 offset0:20 offset1:22
	s_waitcnt lgkmcnt(3)
	v_pk_mul_f32 v[6:7], v[0:1], v[10:11]
	ds_write2st64_b32 v5, v6, v7 offset0:24 offset1:26
	s_waitcnt lgkmcnt(2)
	v_pk_mul_f32 v[6:7], v[0:1], v[8:9]
	s_add_i32 s28, s28, 16
	v_cmp_eq_u32_e32 vcc, 0, v4
	ds_write2st64_b32 v5, v6, v7 offset0:28 offset1:30
	v_add_u32_e32 v5, 0x2000, v5
	s_or_b64 s[14:15], vcc, s[14:15]
	v_mov_b32_e32 v6, s28
	s_andn2_b64 exec, exec, s[14:15]
	s_cbranch_execnz .LBB216_28
; %bb.29:
	s_or_b64 exec, exec, s[14:15]
.LBB216_30:
	s_or_b64 exec, exec, s[8:9]
	v_and_b32_e32 v3, 7, v3
	v_cmp_ne_u32_e32 vcc, 0, v3
	s_and_saveexec_b64 s[8:9], vcc
	s_cbranch_execz .LBB216_33
; %bb.31:
	v_lshlrev_b32_e32 v4, 9, v6
	s_movk_i32 s14, 0x310
	s_waitcnt vmcnt(1)
	v_add3_u32 v4, v4, v30, s14
	s_mov_b64 s[14:15], 0
.LBB216_32:                             ; =>This Inner Loop Header: Depth=1
	ds_read2st64_b32 v[6:7], v4 offset1:2
	v_add_u32_e32 v3, -1, v3
	v_cmp_eq_u32_e32 vcc, 0, v3
	s_or_b64 s[14:15], vcc, s[14:15]
	s_waitcnt lgkmcnt(0)
	v_pk_mul_f32 v[6:7], v[0:1], v[6:7]
	ds_write2st64_b32 v4, v6, v7 offset1:2
	v_add_u32_e32 v4, 0x400, v4
	s_andn2_b64 exec, exec, s[14:15]
	s_cbranch_execnz .LBB216_32
.LBB216_33:
	s_or_b64 exec, exec, s[8:9]
	v_add_u32_e32 v2, 1, v2
	v_and_b32_e32 v3, 0x3fffffe, v2
	v_cmp_ne_u32_e32 vcc, v2, v3
	v_lshl_add_u32 v1, v3, 7, v42
	s_orn2_b64 s[8:9], vcc, exec
.LBB216_34:
	s_or_b64 exec, exec, s[2:3]
	s_and_b64 exec, exec, s[8:9]
	s_cbranch_execz .LBB216_37
; %bb.35:
	v_mov_b32_e32 v2, 0x310
	v_lshl_add_u32 v2, v1, 2, v2
	s_mov_b64 s[2:3], 0
.LBB216_36:                             ; =>This Inner Loop Header: Depth=1
	ds_read_b32 v3, v2
	v_add_u32_e32 v1, 0x80, v1
	v_cmp_le_i32_e32 vcc, s30, v1
	s_or_b64 s[2:3], vcc, s[2:3]
	s_waitcnt lgkmcnt(0)
	v_mul_f32_e32 v3, v0, v3
	ds_write_b32 v2, v3
	v_add_u32_e32 v2, 0x200, v2
	s_andn2_b64 exec, exec, s[2:3]
	s_cbranch_execnz .LBB216_36
.LBB216_37:
	s_or_b64 exec, exec, s[0:1]
	v_mov_b32_e32 v28, 0
	v_and_b32_e32 v47, 7, v42
	v_mov_b32_e32 v29, 0
	v_mov_b32_e32 v26, 0
	;; [unrolled: 1-line block ×23, first 2 shown]
	s_waitcnt lgkmcnt(0)
	s_barrier
	s_and_saveexec_b64 s[2:3], s[6:7]
	s_cbranch_execz .LBB216_89
; %bb.38:
	v_mov_b32_e32 v3, 0
	s_waitcnt vmcnt(1)
	v_and_b32_e32 v2, 0xfc, v30
	v_or_b32_e32 v4, 0xf00, v30
	v_mov_b32_e32 v5, v3
	scratch_store_dword off, v46, off offset:124 ; 4-byte Folded Spill
	scratch_store_dword off, v45, off offset:120 ; 4-byte Folded Spill
	;; [unrolled: 1-line block ×5, first 2 shown]
	scratch_store_dwordx2 off, v[4:5], off offset:28 ; 8-byte Folded Spill
	v_or_b32_e32 v4, 0x1000, v2
	scratch_store_dwordx2 off, v[4:5], off offset:36 ; 8-byte Folded Spill
	v_or_b32_e32 v4, 0x1100, v2
	s_load_dword s6, s[10:11], 0x0
	s_ashr_i32 s1, s33, 31
	scratch_store_dwordx2 off, v[4:5], off offset:44 ; 8-byte Folded Spill
	v_or_b32_e32 v4, 0x1200, v2
	v_and_b32_e32 v0, 28, v30
	s_add_u32 s0, s26, s33
	scratch_store_dwordx2 off, v[4:5], off offset:52 ; 8-byte Folded Spill
	v_or_b32_e32 v4, 0x1300, v2
	v_lshlrev_b32_e32 v1, 5, v114
	s_addc_u32 s1, s27, s1
	s_add_i32 s14, s19, -1
	scratch_store_dwordx2 off, v[4:5], off offset:60 ; 8-byte Folded Spill
	v_or_b32_e32 v4, 0x1400, v2
	v_or3_b32 v30, v1, v0, 3
	v_lshlrev_b32_e32 v0, 4, v47
	s_lshl_b64 s[8:9], s[24:25], 2
	scratch_store_dwordx2 off, v[4:5], off offset:68 ; 8-byte Folded Spill
	v_or_b32_e32 v4, 0x1500, v2
	v_lshl_or_b32 v0, v114, 7, v0
	s_add_u32 s8, s22, s8
	scratch_store_dwordx2 off, v[4:5], off offset:76 ; 8-byte Folded Spill
	v_or_b32_e32 v4, 0x1600, v2
	v_add_u32_e32 v31, 0x310, v0
	s_waitcnt vmcnt(12)
	v_and_b32_e32 v0, 60, v48
	v_mov_b32_e32 v1, v3
	s_addc_u32 s9, s23, s9
	s_waitcnt lgkmcnt(0)
	s_mov_b32 s7, s6
	scratch_store_dwordx2 off, v[4:5], off offset:84 ; 8-byte Folded Spill
	v_or_b32_e32 v4, 0x1700, v2
	v_lshl_add_u64 v[50:51], s[8:9], 0, v[0:1]
	s_mov_b64 s[8:9], 0
	v_mov_b64_e32 v[0:1], s[0:1]
	v_mov_b32_e32 v7, v3
	v_mov_b32_e32 v6, v3
	;; [unrolled: 1-line block ×24, first 2 shown]
	scratch_store_dwordx2 off, v[4:5], off offset:92 ; 8-byte Folded Spill
	scratch_store_dword off, v47, off offset:128 ; 4-byte Folded Spill
	scratch_store_dwordx2 off, v[0:1], off offset:100 ; 8-byte Folded Spill
	scratch_store_dwordx2 off, v[2:3], off offset:20 ; 8-byte Folded Spill
	s_branch .LBB216_40
.LBB216_39:                             ;   in Loop: Header=BB216_40 Depth=1
	s_or_b64 exec, exec, s[0:1]
	s_waitcnt lgkmcnt(0)
	v_mul_f32_e32 v35, v3, v35
	v_fmac_f32_e32 v35, v2, v34
	v_fmac_f32_e32 v35, v4, v32
	;; [unrolled: 1-line block ×3, first 2 shown]
	scratch_load_dwordx2 v[32:33], off, off offset:8 ; 8-byte Folded Reload
	v_mul_f32_e32 v1, v3, v1
	v_fmac_f32_e32 v1, v2, v0
	v_mul_f32_e32 v0, v3, v127
	v_fmac_f32_e32 v0, v2, v126
	v_fmac_f32_e32 v0, v4, v124
	v_fmac_f32_e32 v0, v5, v125
	v_add_f32_e32 v13, v13, v0
	v_mul_f32_e32 v0, v3, v123
	v_fmac_f32_e32 v0, v2, v122
	v_fmac_f32_e32 v0, v4, v120
	v_fmac_f32_e32 v0, v5, v121
	v_add_f32_e32 v12, v12, v0
	;; [unrolled: 5-line block ×17, first 2 shown]
	s_waitcnt vmcnt(0)
	v_mul_f32_e32 v0, v3, v33
	v_fmac_f32_e32 v0, v2, v32
	scratch_load_dwordx2 v[32:33], off, off ; 8-byte Folded Reload
	scratch_load_dword v114, off, off offset:16 ; 4-byte Folded Reload
	v_mul_f32_e32 v49, v3, v49
	v_mul_f32_e32 v45, v3, v45
	;; [unrolled: 1-line block ×3, first 2 shown]
	v_fmac_f32_e32 v49, v2, v48
	v_fmac_f32_e32 v45, v2, v44
	;; [unrolled: 1-line block ×11, first 2 shown]
	v_add_f32_e32 v6, v6, v49
	v_add_f32_e32 v9, v9, v45
	v_add_f32_e32 v8, v8, v41
	v_add_f32_e32 v11, v11, v35
	v_add_f32_e32 v10, v10, v1
	v_add_u32_e32 v30, 64, v30
	v_add_u32_e32 v31, 0x100, v31
	v_lshl_add_u64 v[50:51], v[50:51], 0, 8
	s_waitcnt vmcnt(1)
	v_fmac_f32_e32 v0, v4, v32
	v_fmac_f32_e32 v0, v5, v33
	v_add_f32_e32 v28, v28, v0
	v_mul_f32_e32 v0, v3, v37
	v_fmac_f32_e32 v0, v2, v36
	v_fmac_f32_e32 v0, v4, v74
	s_waitcnt vmcnt(0)
	v_add_u32_e32 v114, 2, v114
	v_fmac_f32_e32 v0, v5, v75
	v_cmp_le_i32_e32 vcc, s19, v114
	v_add_f32_e32 v7, v7, v0
	s_or_b64 s[8:9], vcc, s[8:9]
	s_andn2_b64 exec, exec, s[8:9]
	s_cbranch_execz .LBB216_88
.LBB216_40:                             ; =>This Inner Loop Header: Depth=1
	global_load_dword v0, v[50:51], off
	scratch_load_dwordx2 v[2:3], off, off offset:100 ; 8-byte Folded Reload
	v_add_u32_e32 v54, -3, v30
	v_cmp_eq_u32_e32 vcc, s14, v114
	v_add_u32_e32 v55, -2, v30
	v_add_u32_e32 v56, -1, v30
	scratch_store_dword off, v114, off offset:16 ; 4-byte Folded Spill
	s_waitcnt vmcnt(1)
	v_mad_i64_i32 v[74:75], s[0:1], v0, s13, v[2:3]
	scratch_load_dwordx2 v[0:1], off, off offset:20 ; 8-byte Folded Reload
	ds_read_b128 v[2:5], v31
	s_waitcnt vmcnt(0)
	v_lshl_add_u64 v[108:109], v[74:75], 0, v[0:1]
	global_load_dword v0, v[108:109], off
	s_waitcnt vmcnt(0)
	v_and_b32_e32 v1, 0xffff, v0
	v_lshrrev_b32_e32 v32, 16, v0
	v_cvt_pk_f32_fp8_e32 v[0:1], v1
	v_cvt_pk_f32_fp8_e32 v[32:33], v32
	v_pk_mul_f32 v[0:1], s[6:7], v[0:1]
	scratch_store_dwordx2 off, v[0:1], off offset:8 ; 8-byte Folded Spill
	v_pk_mul_f32 v[0:1], s[6:7], v[32:33]
	scratch_store_dwordx2 off, v[0:1], off  ; 8-byte Folded Spill
	s_and_saveexec_b64 s[10:11], vcc
	s_cbranch_execz .LBB216_42
; %bb.41:                               ;   in Loop: Header=BB216_40 Depth=1
	scratch_load_dwordx2 v[0:1], off, off offset:8 ; 8-byte Folded Reload
	v_cmp_gt_i32_e64 s[0:1], s17, v54
	s_waitcnt vmcnt(0)
	s_nop 0
	v_cndmask_b32_e64 v0, 0, v0, s[0:1]
	v_cmp_gt_i32_e64 s[0:1], s17, v55
	s_nop 1
	v_cndmask_b32_e64 v1, 0, v1, s[0:1]
	scratch_store_dwordx2 off, v[0:1], off offset:8 ; 8-byte Folded Spill
	scratch_load_dwordx2 v[0:1], off, off   ; 8-byte Folded Reload
	v_cmp_gt_i32_e64 s[0:1], s17, v56
	s_waitcnt vmcnt(0)
	s_nop 0
	v_cndmask_b32_e64 v0, 0, v0, s[0:1]
	v_cmp_gt_i32_e64 s[0:1], s17, v30
	s_nop 1
	v_cndmask_b32_e64 v1, 0, v1, s[0:1]
	scratch_store_dwordx2 off, v[0:1], off  ; 8-byte Folded Spill
.LBB216_42:                             ;   in Loop: Header=BB216_40 Depth=1
	s_or_b64 exec, exec, s[10:11]
	global_load_dword v0, v[108:109], off offset:256
	s_waitcnt vmcnt(0)
	v_and_b32_e32 v1, 0xffff, v0
	v_lshrrev_b32_e32 v32, 16, v0
	v_cvt_pk_f32_fp8_e32 v[0:1], v1
	v_cvt_pk_f32_fp8_e32 v[32:33], v32
	v_pk_mul_f32 v[60:61], s[6:7], v[0:1]
	v_pk_mul_f32 v[58:59], s[6:7], v[32:33]
	s_and_saveexec_b64 s[10:11], vcc
; %bb.43:                               ;   in Loop: Header=BB216_40 Depth=1
	v_cmp_gt_i32_e64 s[0:1], s17, v54
	s_nop 1
	v_cndmask_b32_e64 v60, 0, v60, s[0:1]
	v_cmp_gt_i32_e64 s[0:1], s17, v55
	s_nop 1
	v_cndmask_b32_e64 v61, 0, v61, s[0:1]
	v_cmp_gt_i32_e64 s[0:1], s17, v56
	s_nop 1
	v_cndmask_b32_e64 v58, 0, v58, s[0:1]
	v_cmp_gt_i32_e64 s[0:1], s17, v30
	s_nop 1
	v_cndmask_b32_e64 v59, 0, v59, s[0:1]
; %bb.44:                               ;   in Loop: Header=BB216_40 Depth=1
	s_or_b64 exec, exec, s[10:11]
	global_load_dword v0, v[108:109], off offset:512
	s_waitcnt vmcnt(0)
	v_and_b32_e32 v1, 0xffff, v0
	v_lshrrev_b32_e32 v32, 16, v0
	v_cvt_pk_f32_fp8_e32 v[0:1], v1
	v_cvt_pk_f32_fp8_e32 v[32:33], v32
	v_pk_mul_f32 v[64:65], s[6:7], v[0:1]
	v_pk_mul_f32 v[62:63], s[6:7], v[32:33]
	s_and_saveexec_b64 s[10:11], vcc
; %bb.45:                               ;   in Loop: Header=BB216_40 Depth=1
	v_cmp_gt_i32_e64 s[0:1], s17, v54
	s_nop 1
	v_cndmask_b32_e64 v64, 0, v64, s[0:1]
	v_cmp_gt_i32_e64 s[0:1], s17, v55
	s_nop 1
	v_cndmask_b32_e64 v65, 0, v65, s[0:1]
	v_cmp_gt_i32_e64 s[0:1], s17, v56
	s_nop 1
	v_cndmask_b32_e64 v62, 0, v62, s[0:1]
	v_cmp_gt_i32_e64 s[0:1], s17, v30
	s_nop 1
	v_cndmask_b32_e64 v63, 0, v63, s[0:1]
; %bb.46:                               ;   in Loop: Header=BB216_40 Depth=1
	;; [unrolled: 24-line block ×14, first 2 shown]
	s_or_b64 exec, exec, s[10:11]
	scratch_load_dwordx2 v[0:1], off, off offset:28 ; 8-byte Folded Reload
	s_waitcnt vmcnt(0)
	v_lshl_add_u64 v[0:1], v[74:75], 0, v[0:1]
	global_load_dword v0, v[0:1], off
	s_waitcnt vmcnt(0)
	v_and_b32_e32 v1, 0xffff, v0
	v_lshrrev_b32_e32 v32, 16, v0
	v_cvt_pk_f32_fp8_e32 v[0:1], v1
	v_cvt_pk_f32_fp8_e32 v[32:33], v32
	v_pk_mul_f32 v[118:119], s[6:7], v[0:1]
	v_pk_mul_f32 v[116:117], s[6:7], v[32:33]
	s_and_saveexec_b64 s[10:11], vcc
; %bb.71:                               ;   in Loop: Header=BB216_40 Depth=1
	v_cmp_gt_i32_e64 s[0:1], s17, v54
	s_nop 1
	v_cndmask_b32_e64 v118, 0, v118, s[0:1]
	v_cmp_gt_i32_e64 s[0:1], s17, v55
	s_nop 1
	v_cndmask_b32_e64 v119, 0, v119, s[0:1]
	v_cmp_gt_i32_e64 s[0:1], s17, v56
	s_nop 1
	v_cndmask_b32_e64 v116, 0, v116, s[0:1]
	v_cmp_gt_i32_e64 s[0:1], s17, v30
	s_nop 1
	v_cndmask_b32_e64 v117, 0, v117, s[0:1]
; %bb.72:                               ;   in Loop: Header=BB216_40 Depth=1
	s_or_b64 exec, exec, s[10:11]
	scratch_load_dwordx2 v[0:1], off, off offset:36 ; 8-byte Folded Reload
	s_waitcnt vmcnt(0)
	v_lshl_add_u64 v[0:1], v[74:75], 0, v[0:1]
	global_load_dword v0, v[0:1], off
	s_waitcnt vmcnt(0)
	v_and_b32_e32 v1, 0xffff, v0
	v_lshrrev_b32_e32 v32, 16, v0
	v_cvt_pk_f32_fp8_e32 v[0:1], v1
	v_cvt_pk_f32_fp8_e32 v[32:33], v32
	v_pk_mul_f32 v[122:123], s[6:7], v[0:1]
	v_pk_mul_f32 v[120:121], s[6:7], v[32:33]
	s_and_saveexec_b64 s[10:11], vcc
; %bb.73:                               ;   in Loop: Header=BB216_40 Depth=1
	v_cmp_gt_i32_e64 s[0:1], s17, v54
	s_nop 1
	v_cndmask_b32_e64 v122, 0, v122, s[0:1]
	v_cmp_gt_i32_e64 s[0:1], s17, v55
	s_nop 1
	v_cndmask_b32_e64 v123, 0, v123, s[0:1]
	v_cmp_gt_i32_e64 s[0:1], s17, v56
	s_nop 1
	v_cndmask_b32_e64 v120, 0, v120, s[0:1]
	v_cmp_gt_i32_e64 s[0:1], s17, v30
	s_nop 1
	v_cndmask_b32_e64 v121, 0, v121, s[0:1]
; %bb.74:                               ;   in Loop: Header=BB216_40 Depth=1
	;; [unrolled: 27-line block ×8, first 2 shown]
	s_or_b64 exec, exec, s[10:11]
	scratch_load_dwordx2 v[36:37], off, off offset:92 ; 8-byte Folded Reload
	s_waitcnt vmcnt(0)
	v_lshl_add_u64 v[36:37], v[74:75], 0, v[36:37]
	global_load_dword v36, v[36:37], off
	s_waitcnt vmcnt(0)
	v_and_b32_e32 v37, 0xffff, v36
	v_lshrrev_b32_e32 v57, 16, v36
	v_cvt_pk_f32_fp8_e32 v[36:37], v37
	v_cvt_pk_f32_fp8_e32 v[74:75], v57
	v_pk_mul_f32 v[36:37], s[6:7], v[36:37]
	v_pk_mul_f32 v[74:75], s[6:7], v[74:75]
	s_and_saveexec_b64 s[0:1], vcc
	s_cbranch_execz .LBB216_39
; %bb.87:                               ;   in Loop: Header=BB216_40 Depth=1
	v_cmp_gt_i32_e32 vcc, s17, v54
	s_nop 1
	v_cndmask_b32_e32 v36, 0, v36, vcc
	v_cmp_gt_i32_e32 vcc, s17, v55
	s_nop 1
	v_cndmask_b32_e32 v37, 0, v37, vcc
	;; [unrolled: 3-line block ×4, first 2 shown]
	s_branch .LBB216_39
.LBB216_88:
	s_or_b64 exec, exec, s[8:9]
	scratch_load_dword v42, off, off offset:108 ; 4-byte Folded Reload
	scratch_load_dword v43, off, off offset:112 ; 4-byte Folded Reload
	scratch_load_dword v44, off, off offset:116 ; 4-byte Folded Reload
	scratch_load_dword v45, off, off offset:120 ; 4-byte Folded Reload
	scratch_load_dword v46, off, off offset:124 ; 4-byte Folded Reload
	scratch_load_dword v47, off, off offset:128 ; 4-byte Folded Reload
.LBB216_89:
	s_or_b64 exec, exec, s[2:3]
	s_waitcnt vmcnt(2)
	ds_bpermute_b32 v0, v45, v28
	ds_bpermute_b32 v1, v45, v29
	;; [unrolled: 1-line block ×4, first 2 shown]
	s_waitcnt vmcnt(1)
	ds_bpermute_b32 v30, v45, v22
	ds_bpermute_b32 v31, v45, v23
	s_waitcnt lgkmcnt(4)
	v_pk_add_f32 v[0:1], v[28:29], v[0:1]
	ds_bpermute_b32 v28, v45, v24
	s_waitcnt lgkmcnt(3)
	v_pk_add_f32 v[2:3], v[26:27], v[2:3]
	ds_bpermute_b32 v29, v45, v25
	ds_bpermute_b32 v26, v44, v2
	;; [unrolled: 1-line block ×5, first 2 shown]
	s_waitcnt lgkmcnt(4)
	v_pk_add_f32 v[24:25], v[24:25], v[28:29]
	v_pk_add_f32 v[30:31], v[22:23], v[30:31]
	s_waitcnt lgkmcnt(2)
	v_pk_add_f32 v[2:3], v[2:3], v[26:27]
	ds_bpermute_b32 v26, v44, v24
	ds_bpermute_b32 v27, v44, v25
	s_waitcnt lgkmcnt(2)
	v_pk_add_f32 v[0:1], v[0:1], v[4:5]
	ds_bpermute_b32 v4, v46, v0
	ds_bpermute_b32 v5, v46, v1
	ds_bpermute_b32 v28, v46, v2
	s_waitcnt lgkmcnt(3)
	v_pk_add_f32 v[24:25], v[24:25], v[26:27]
	ds_bpermute_b32 v29, v46, v3
	;; [unrolled: 5-line block ×3, first 2 shown]
	s_waitcnt lgkmcnt(3)
	v_pk_add_f32 v[4:5], v[2:3], v[28:29]
	ds_bpermute_b32 v33, v44, v31
	s_waitcnt lgkmcnt(2)
	v_pk_add_f32 v[2:3], v[24:25], v[26:27]
	ds_bpermute_b32 v24, v45, v20
	ds_bpermute_b32 v25, v45, v21
	;; [unrolled: 1-line block ×4, first 2 shown]
	s_waitcnt lgkmcnt(4)
	v_pk_add_f32 v[0:1], v[30:31], v[32:33]
	ds_bpermute_b32 v30, v45, v16
	s_waitcnt lgkmcnt(3)
	v_pk_add_f32 v[20:21], v[20:21], v[24:25]
	ds_bpermute_b32 v24, v44, v20
	ds_bpermute_b32 v25, v44, v21
	s_waitcnt lgkmcnt(3)
	v_pk_add_f32 v[18:19], v[18:19], v[28:29]
	ds_bpermute_b32 v31, v45, v17
	ds_bpermute_b32 v28, v44, v18
	;; [unrolled: 1-line block ×3, first 2 shown]
	s_waitcnt lgkmcnt(3)
	v_pk_add_f32 v[24:25], v[20:21], v[24:25]
	ds_bpermute_b32 v32, v46, v24
	s_waitcnt lgkmcnt(3)
	v_pk_add_f32 v[16:17], v[16:17], v[30:31]
	ds_bpermute_b32 v33, v46, v25
	;; [unrolled: 3-line block ×3, first 2 shown]
	ds_bpermute_b32 v19, v44, v17
	ds_bpermute_b32 v30, v46, v28
	;; [unrolled: 1-line block ×5, first 2 shown]
	s_waitcnt lgkmcnt(4)
	v_pk_add_f32 v[34:35], v[16:17], v[18:19]
	v_pk_add_f32 v[18:19], v[24:25], v[32:33]
	ds_bpermute_b32 v24, v45, v12
	ds_bpermute_b32 v25, v45, v13
	s_waitcnt lgkmcnt(4)
	v_pk_add_f32 v[16:17], v[28:29], v[30:31]
	ds_bpermute_b32 v28, v45, v10
	ds_bpermute_b32 v29, v45, v11
	s_waitcnt lgkmcnt(4)
	v_pk_add_f32 v[38:39], v[14:15], v[20:21]
	s_waitcnt lgkmcnt(2)
	v_pk_add_f32 v[12:13], v[12:13], v[24:25]
	ds_bpermute_b32 v24, v44, v12
	ds_bpermute_b32 v25, v44, v13
	s_waitcnt lgkmcnt(2)
	v_pk_add_f32 v[10:11], v[10:11], v[28:29]
	ds_bpermute_b32 v30, v45, v8
	ds_bpermute_b32 v31, v45, v9
	;; [unrolled: 1-line block ×8, first 2 shown]
	s_waitcnt lgkmcnt(8)
	v_pk_add_f32 v[24:25], v[12:13], v[24:25]
	ds_bpermute_b32 v12, v45, v6
	ds_bpermute_b32 v13, v45, v7
	s_waitcnt lgkmcnt(8)
	v_pk_add_f32 v[8:9], v[8:9], v[30:31]
	ds_bpermute_b32 v36, v46, v34
	ds_bpermute_b32 v37, v46, v35
	s_waitcnt lgkmcnt(8)
	v_pk_add_f32 v[20:21], v[0:1], v[26:27]
	s_waitcnt lgkmcnt(6)
	v_pk_add_f32 v[0:1], v[38:39], v[40:41]
	;; [unrolled: 2-line block ×3, first 2 shown]
	ds_bpermute_b32 v10, v44, v8
	ds_bpermute_b32 v11, v44, v9
	s_waitcnt lgkmcnt(4)
	v_pk_add_f32 v[38:39], v[6:7], v[12:13]
	ds_bpermute_b32 v26, v46, v0
	ds_bpermute_b32 v27, v46, v1
	;; [unrolled: 1-line block ×6, first 2 shown]
	s_waitcnt lgkmcnt(8)
	v_pk_add_f32 v[14:15], v[34:35], v[36:37]
	s_waitcnt lgkmcnt(6)
	v_pk_add_f32 v[34:35], v[8:9], v[10:11]
	ds_bpermute_b32 v30, v46, v28
	ds_bpermute_b32 v31, v46, v29
	ds_bpermute_b32 v36, v46, v34
	ds_bpermute_b32 v37, v46, v35
	s_waitcnt lgkmcnt(8)
	v_pk_add_f32 v[12:13], v[0:1], v[26:27]
	s_waitcnt lgkmcnt(6)
	v_pk_add_f32 v[0:1], v[38:39], v[40:41]
	;; [unrolled: 2-line block ×3, first 2 shown]
	ds_bpermute_b32 v24, v46, v0
	ds_bpermute_b32 v25, v46, v1
	v_and_b32_e32 v26, 0x3c7, v42
	s_waitcnt lgkmcnt(4)
	v_pk_add_f32 v[8:9], v[28:29], v[30:31]
	s_waitcnt lgkmcnt(2)
	v_pk_add_f32 v[6:7], v[34:35], v[36:37]
	v_cmp_ne_u32_e32 vcc, 64, v26
	s_waitcnt lgkmcnt(0)
	s_barrier
	s_and_saveexec_b64 s[0:1], vcc
	s_xor_b64 s[0:1], exec, s[0:1]
; %bb.90:
                                        ; implicit-def: $vgpr43
; %bb.91:
	s_or_saveexec_b64 s[0:1], s[0:1]
	v_pk_add_f32 v[24:25], v[0:1], v[24:25]
	s_xor_b64 exec, exec, s[0:1]
	s_cbranch_execz .LBB216_93
; %bb.92:
	v_lshrrev_b32_e32 v0, 1, v43
	v_add_u32_e32 v0, 0x310, v0
	ds_write2_b32 v0, v22, v23 offset1:8
	ds_write2_b32 v0, v4, v5 offset0:16 offset1:24
	ds_write2_b32 v0, v2, v3 offset0:32 offset1:40
	;; [unrolled: 1-line block ×11, first 2 shown]
.LBB216_93:
	s_or_b64 exec, exec, s[0:1]
	v_cmp_gt_u32_e32 vcc, 64, v42
	s_waitcnt lgkmcnt(0)
	s_barrier
	s_and_saveexec_b64 s[0:1], vcc
	s_cbranch_execz .LBB216_120
; %bb.94:
	s_waitcnt vmcnt(0)
	v_cmp_eq_u32_e32 vcc, 0, v47
	v_lshrrev_b32_e32 v0, 3, v42
	s_and_saveexec_b64 s[2:3], vcc
	s_cbranch_execnz .LBB216_123
; %bb.95:
	s_or_b64 exec, exec, s[2:3]
	s_and_saveexec_b64 s[2:3], vcc
	s_cbranch_execnz .LBB216_124
.LBB216_96:
	s_or_b64 exec, exec, s[2:3]
	s_and_saveexec_b64 s[2:3], vcc
	s_cbranch_execnz .LBB216_125
.LBB216_97:
	s_or_b64 exec, exec, s[2:3]
	s_and_saveexec_b64 s[2:3], vcc
	s_cbranch_execnz .LBB216_126
.LBB216_98:
	s_or_b64 exec, exec, s[2:3]
	s_and_saveexec_b64 s[2:3], vcc
	s_cbranch_execnz .LBB216_127
.LBB216_99:
	s_or_b64 exec, exec, s[2:3]
	s_and_saveexec_b64 s[2:3], vcc
	s_cbranch_execnz .LBB216_128
.LBB216_100:
	s_or_b64 exec, exec, s[2:3]
	s_and_saveexec_b64 s[2:3], vcc
	s_cbranch_execnz .LBB216_129
.LBB216_101:
	s_or_b64 exec, exec, s[2:3]
	s_and_saveexec_b64 s[2:3], vcc
	s_cbranch_execnz .LBB216_130
.LBB216_102:
	s_or_b64 exec, exec, s[2:3]
	s_and_saveexec_b64 s[2:3], vcc
	s_cbranch_execnz .LBB216_131
.LBB216_103:
	s_or_b64 exec, exec, s[2:3]
	s_and_saveexec_b64 s[2:3], vcc
	s_cbranch_execnz .LBB216_132
.LBB216_104:
	s_or_b64 exec, exec, s[2:3]
	s_and_saveexec_b64 s[2:3], vcc
	s_cbranch_execnz .LBB216_133
.LBB216_105:
	s_or_b64 exec, exec, s[2:3]
	s_and_saveexec_b64 s[2:3], vcc
	s_cbranch_execnz .LBB216_134
.LBB216_106:
	s_or_b64 exec, exec, s[2:3]
	s_and_saveexec_b64 s[2:3], vcc
	s_cbranch_execnz .LBB216_135
.LBB216_107:
	s_or_b64 exec, exec, s[2:3]
	s_and_saveexec_b64 s[2:3], vcc
	s_cbranch_execnz .LBB216_136
.LBB216_108:
	s_or_b64 exec, exec, s[2:3]
	s_and_saveexec_b64 s[2:3], vcc
	s_cbranch_execnz .LBB216_137
.LBB216_109:
	s_or_b64 exec, exec, s[2:3]
	s_and_saveexec_b64 s[2:3], vcc
	s_cbranch_execnz .LBB216_138
.LBB216_110:
	s_or_b64 exec, exec, s[2:3]
	s_and_saveexec_b64 s[2:3], vcc
	s_cbranch_execnz .LBB216_139
.LBB216_111:
	s_or_b64 exec, exec, s[2:3]
	s_and_saveexec_b64 s[2:3], vcc
	s_cbranch_execnz .LBB216_140
.LBB216_112:
	s_or_b64 exec, exec, s[2:3]
	s_and_saveexec_b64 s[2:3], vcc
	s_cbranch_execnz .LBB216_141
.LBB216_113:
	s_or_b64 exec, exec, s[2:3]
	s_and_saveexec_b64 s[2:3], vcc
	s_cbranch_execnz .LBB216_142
.LBB216_114:
	s_or_b64 exec, exec, s[2:3]
	s_and_saveexec_b64 s[2:3], vcc
	s_cbranch_execnz .LBB216_143
.LBB216_115:
	s_or_b64 exec, exec, s[2:3]
	s_and_saveexec_b64 s[2:3], vcc
	s_cbranch_execnz .LBB216_144
.LBB216_116:
	s_or_b64 exec, exec, s[2:3]
	s_and_saveexec_b64 s[2:3], vcc
	s_cbranch_execnz .LBB216_145
.LBB216_117:
	s_or_b64 exec, exec, s[2:3]
	s_and_saveexec_b64 s[2:3], vcc
	s_cbranch_execz .LBB216_119
.LBB216_118:
	v_mov_b32_e32 v1, 0x310
	v_lshl_add_u32 v0, v0, 2, v1
	ds_read_b32 v0, v0 offset:736
	s_waitcnt lgkmcnt(0)
	v_add_f32_e32 v25, v25, v0
.LBB216_119:
	s_or_b64 exec, exec, s[2:3]
.LBB216_120:
	s_or_b64 exec, exec, s[0:1]
	v_cmp_eq_u32_e32 vcc, 0, v26
	s_barrier
	s_and_saveexec_b64 s[0:1], vcc
	s_cbranch_execz .LBB216_122
; %bb.121:
	s_mul_i32 s0, s16, s12
	s_mul_i32 s0, s0, s5
	s_mulk_i32 s0, 0xc0
	s_ashr_i32 s1, s0, 31
	s_lshl_b64 s[0:1], s[0:1], 2
	s_add_u32 s2, s20, s0
	s_mul_i32 s0, s12, s18
	s_addc_u32 s3, s21, s1
	s_ashr_i32 s1, s0, 31
	s_lshl_b64 s[0:1], s[0:1], 2
	s_add_u32 s2, s2, s0
	s_mul_i32 s0, s4, 0xc0
	s_addc_u32 s3, s3, s1
	s_ashr_i32 s1, s0, 31
	s_lshl_b64 s[0:1], s[0:1], 2
	s_add_u32 s0, s2, s0
	s_addc_u32 s1, s3, s1
	v_lshrrev_b32_e32 v0, 1, v42
	global_store_dword v0, v22, s[0:1]
	global_store_dword v0, v23, s[0:1] offset:32
	global_store_dword v0, v4, s[0:1] offset:64
	;; [unrolled: 1-line block ×23, first 2 shown]
.LBB216_122:
	s_endpgm
.LBB216_123:
	v_mov_b32_e32 v1, 0x310
	v_lshl_add_u32 v1, v0, 2, v1
	ds_read_b32 v1, v1
	s_waitcnt lgkmcnt(0)
	v_add_f32_e32 v22, v22, v1
	s_or_b64 exec, exec, s[2:3]
	s_and_saveexec_b64 s[2:3], vcc
	s_cbranch_execz .LBB216_96
.LBB216_124:
	v_mov_b32_e32 v1, 0x310
	v_lshl_add_u32 v1, v0, 2, v1
	ds_read_b32 v1, v1 offset:32
	s_waitcnt lgkmcnt(0)
	v_add_f32_e32 v23, v23, v1
	s_or_b64 exec, exec, s[2:3]
	s_and_saveexec_b64 s[2:3], vcc
	s_cbranch_execz .LBB216_97
.LBB216_125:
	v_mov_b32_e32 v1, 0x310
	v_lshl_add_u32 v1, v0, 2, v1
	ds_read_b32 v1, v1 offset:64
	s_waitcnt lgkmcnt(0)
	v_add_f32_e32 v4, v4, v1
	s_or_b64 exec, exec, s[2:3]
	s_and_saveexec_b64 s[2:3], vcc
	s_cbranch_execz .LBB216_98
.LBB216_126:
	v_mov_b32_e32 v1, 0x310
	v_lshl_add_u32 v1, v0, 2, v1
	ds_read_b32 v1, v1 offset:96
	s_waitcnt lgkmcnt(0)
	v_add_f32_e32 v5, v5, v1
	s_or_b64 exec, exec, s[2:3]
	s_and_saveexec_b64 s[2:3], vcc
	s_cbranch_execz .LBB216_99
.LBB216_127:
	v_mov_b32_e32 v1, 0x310
	v_lshl_add_u32 v1, v0, 2, v1
	ds_read_b32 v1, v1 offset:128
	s_waitcnt lgkmcnt(0)
	v_add_f32_e32 v2, v2, v1
	s_or_b64 exec, exec, s[2:3]
	s_and_saveexec_b64 s[2:3], vcc
	s_cbranch_execz .LBB216_100
.LBB216_128:
	v_mov_b32_e32 v1, 0x310
	v_lshl_add_u32 v1, v0, 2, v1
	ds_read_b32 v1, v1 offset:160
	s_waitcnt lgkmcnt(0)
	v_add_f32_e32 v3, v3, v1
	s_or_b64 exec, exec, s[2:3]
	s_and_saveexec_b64 s[2:3], vcc
	s_cbranch_execz .LBB216_101
.LBB216_129:
	v_mov_b32_e32 v1, 0x310
	v_lshl_add_u32 v1, v0, 2, v1
	ds_read_b32 v1, v1 offset:192
	s_waitcnt lgkmcnt(0)
	v_add_f32_e32 v20, v20, v1
	s_or_b64 exec, exec, s[2:3]
	s_and_saveexec_b64 s[2:3], vcc
	s_cbranch_execz .LBB216_102
.LBB216_130:
	v_mov_b32_e32 v1, 0x310
	v_lshl_add_u32 v1, v0, 2, v1
	ds_read_b32 v1, v1 offset:224
	s_waitcnt lgkmcnt(0)
	v_add_f32_e32 v21, v21, v1
	s_or_b64 exec, exec, s[2:3]
	s_and_saveexec_b64 s[2:3], vcc
	s_cbranch_execz .LBB216_103
.LBB216_131:
	v_mov_b32_e32 v1, 0x310
	v_lshl_add_u32 v1, v0, 2, v1
	ds_read_b32 v1, v1 offset:256
	s_waitcnt lgkmcnt(0)
	v_add_f32_e32 v18, v18, v1
	s_or_b64 exec, exec, s[2:3]
	s_and_saveexec_b64 s[2:3], vcc
	s_cbranch_execz .LBB216_104
.LBB216_132:
	v_mov_b32_e32 v1, 0x310
	v_lshl_add_u32 v1, v0, 2, v1
	ds_read_b32 v1, v1 offset:288
	s_waitcnt lgkmcnt(0)
	v_add_f32_e32 v19, v19, v1
	s_or_b64 exec, exec, s[2:3]
	s_and_saveexec_b64 s[2:3], vcc
	s_cbranch_execz .LBB216_105
.LBB216_133:
	v_mov_b32_e32 v1, 0x310
	v_lshl_add_u32 v1, v0, 2, v1
	ds_read_b32 v1, v1 offset:320
	s_waitcnt lgkmcnt(0)
	v_add_f32_e32 v16, v16, v1
	s_or_b64 exec, exec, s[2:3]
	s_and_saveexec_b64 s[2:3], vcc
	s_cbranch_execz .LBB216_106
.LBB216_134:
	v_mov_b32_e32 v1, 0x310
	v_lshl_add_u32 v1, v0, 2, v1
	ds_read_b32 v1, v1 offset:352
	s_waitcnt lgkmcnt(0)
	v_add_f32_e32 v17, v17, v1
	s_or_b64 exec, exec, s[2:3]
	s_and_saveexec_b64 s[2:3], vcc
	s_cbranch_execz .LBB216_107
.LBB216_135:
	v_mov_b32_e32 v1, 0x310
	v_lshl_add_u32 v1, v0, 2, v1
	ds_read_b32 v1, v1 offset:384
	s_waitcnt lgkmcnt(0)
	v_add_f32_e32 v14, v14, v1
	s_or_b64 exec, exec, s[2:3]
	s_and_saveexec_b64 s[2:3], vcc
	s_cbranch_execz .LBB216_108
.LBB216_136:
	v_mov_b32_e32 v1, 0x310
	v_lshl_add_u32 v1, v0, 2, v1
	ds_read_b32 v1, v1 offset:416
	s_waitcnt lgkmcnt(0)
	v_add_f32_e32 v15, v15, v1
	s_or_b64 exec, exec, s[2:3]
	s_and_saveexec_b64 s[2:3], vcc
	s_cbranch_execz .LBB216_109
.LBB216_137:
	v_mov_b32_e32 v1, 0x310
	v_lshl_add_u32 v1, v0, 2, v1
	ds_read_b32 v1, v1 offset:448
	s_waitcnt lgkmcnt(0)
	v_add_f32_e32 v12, v12, v1
	s_or_b64 exec, exec, s[2:3]
	s_and_saveexec_b64 s[2:3], vcc
	s_cbranch_execz .LBB216_110
.LBB216_138:
	v_mov_b32_e32 v1, 0x310
	v_lshl_add_u32 v1, v0, 2, v1
	ds_read_b32 v1, v1 offset:480
	s_waitcnt lgkmcnt(0)
	v_add_f32_e32 v13, v13, v1
	s_or_b64 exec, exec, s[2:3]
	s_and_saveexec_b64 s[2:3], vcc
	s_cbranch_execz .LBB216_111
.LBB216_139:
	v_mov_b32_e32 v1, 0x310
	v_lshl_add_u32 v1, v0, 2, v1
	ds_read_b32 v1, v1 offset:512
	s_waitcnt lgkmcnt(0)
	v_add_f32_e32 v10, v10, v1
	s_or_b64 exec, exec, s[2:3]
	s_and_saveexec_b64 s[2:3], vcc
	s_cbranch_execz .LBB216_112
.LBB216_140:
	v_mov_b32_e32 v1, 0x310
	v_lshl_add_u32 v1, v0, 2, v1
	ds_read_b32 v1, v1 offset:544
	s_waitcnt lgkmcnt(0)
	v_add_f32_e32 v11, v11, v1
	s_or_b64 exec, exec, s[2:3]
	s_and_saveexec_b64 s[2:3], vcc
	s_cbranch_execz .LBB216_113
.LBB216_141:
	v_mov_b32_e32 v1, 0x310
	v_lshl_add_u32 v1, v0, 2, v1
	ds_read_b32 v1, v1 offset:576
	s_waitcnt lgkmcnt(0)
	v_add_f32_e32 v8, v8, v1
	s_or_b64 exec, exec, s[2:3]
	s_and_saveexec_b64 s[2:3], vcc
	s_cbranch_execz .LBB216_114
.LBB216_142:
	v_mov_b32_e32 v1, 0x310
	v_lshl_add_u32 v1, v0, 2, v1
	ds_read_b32 v1, v1 offset:608
	s_waitcnt lgkmcnt(0)
	v_add_f32_e32 v9, v9, v1
	s_or_b64 exec, exec, s[2:3]
	s_and_saveexec_b64 s[2:3], vcc
	s_cbranch_execz .LBB216_115
.LBB216_143:
	v_mov_b32_e32 v1, 0x310
	v_lshl_add_u32 v1, v0, 2, v1
	ds_read_b32 v1, v1 offset:640
	s_waitcnt lgkmcnt(0)
	v_add_f32_e32 v6, v6, v1
	s_or_b64 exec, exec, s[2:3]
	s_and_saveexec_b64 s[2:3], vcc
	s_cbranch_execz .LBB216_116
.LBB216_144:
	v_mov_b32_e32 v1, 0x310
	v_lshl_add_u32 v1, v0, 2, v1
	ds_read_b32 v1, v1 offset:672
	s_waitcnt lgkmcnt(0)
	v_add_f32_e32 v7, v7, v1
	s_or_b64 exec, exec, s[2:3]
	s_and_saveexec_b64 s[2:3], vcc
	s_cbranch_execz .LBB216_117
.LBB216_145:
	v_mov_b32_e32 v1, 0x310
	v_lshl_add_u32 v1, v0, 2, v1
	ds_read_b32 v1, v1 offset:704
	s_waitcnt lgkmcnt(0)
	v_add_f32_e32 v24, v24, v1
	s_or_b64 exec, exec, s[2:3]
	s_and_saveexec_b64 s[2:3], vcc
	s_cbranch_execnz .LBB216_118
	s_branch .LBB216_119
	.section	.rodata,"a",@progbits
	.p2align	6, 0x0
	.amdhsa_kernel _ZN4vllm25paged_attention_v1_kernelIfhLi192ELi32ELi128ELNS_18Fp8KVCacheDataTypeE1ELb0EEEvPT_PKS2_PKT0_S8_ifPKiSA_iPKfiiiSC_SC_iiiii
		.amdhsa_group_segment_fixed_size 784
		.amdhsa_private_segment_fixed_size 136
		.amdhsa_kernarg_size 384
		.amdhsa_user_sgpr_count 2
		.amdhsa_user_sgpr_dispatch_ptr 0
		.amdhsa_user_sgpr_queue_ptr 0
		.amdhsa_user_sgpr_kernarg_segment_ptr 1
		.amdhsa_user_sgpr_dispatch_id 0
		.amdhsa_user_sgpr_kernarg_preload_length 0
		.amdhsa_user_sgpr_kernarg_preload_offset 0
		.amdhsa_user_sgpr_private_segment_size 0
		.amdhsa_uses_dynamic_stack 0
		.amdhsa_enable_private_segment 1
		.amdhsa_system_sgpr_workgroup_id_x 1
		.amdhsa_system_sgpr_workgroup_id_y 1
		.amdhsa_system_sgpr_workgroup_id_z 1
		.amdhsa_system_sgpr_workgroup_info 0
		.amdhsa_system_vgpr_workitem_id 0
		.amdhsa_next_free_vgpr 128
		.amdhsa_next_free_sgpr 47
		.amdhsa_accum_offset 128
		.amdhsa_reserve_vcc 1
		.amdhsa_float_round_mode_32 0
		.amdhsa_float_round_mode_16_64 0
		.amdhsa_float_denorm_mode_32 3
		.amdhsa_float_denorm_mode_16_64 3
		.amdhsa_dx10_clamp 1
		.amdhsa_ieee_mode 1
		.amdhsa_fp16_overflow 0
		.amdhsa_tg_split 0
		.amdhsa_exception_fp_ieee_invalid_op 0
		.amdhsa_exception_fp_denorm_src 0
		.amdhsa_exception_fp_ieee_div_zero 0
		.amdhsa_exception_fp_ieee_overflow 0
		.amdhsa_exception_fp_ieee_underflow 0
		.amdhsa_exception_fp_ieee_inexact 0
		.amdhsa_exception_int_div_zero 0
	.end_amdhsa_kernel
	.section	.text._ZN4vllm25paged_attention_v1_kernelIfhLi192ELi32ELi128ELNS_18Fp8KVCacheDataTypeE1ELb0EEEvPT_PKS2_PKT0_S8_ifPKiSA_iPKfiiiSC_SC_iiiii,"axG",@progbits,_ZN4vllm25paged_attention_v1_kernelIfhLi192ELi32ELi128ELNS_18Fp8KVCacheDataTypeE1ELb0EEEvPT_PKS2_PKT0_S8_ifPKiSA_iPKfiiiSC_SC_iiiii,comdat
.Lfunc_end216:
	.size	_ZN4vllm25paged_attention_v1_kernelIfhLi192ELi32ELi128ELNS_18Fp8KVCacheDataTypeE1ELb0EEEvPT_PKS2_PKT0_S8_ifPKiSA_iPKfiiiSC_SC_iiiii, .Lfunc_end216-_ZN4vllm25paged_attention_v1_kernelIfhLi192ELi32ELi128ELNS_18Fp8KVCacheDataTypeE1ELb0EEEvPT_PKS2_PKT0_S8_ifPKiSA_iPKfiiiSC_SC_iiiii
                                        ; -- End function
	.section	.AMDGPU.csdata,"",@progbits
; Kernel info:
; codeLenInByte = 11820
; NumSgprs: 53
; NumVgprs: 128
; NumAgprs: 0
; TotalNumVgprs: 128
; ScratchSize: 136
; MemoryBound: 0
; FloatMode: 240
; IeeeMode: 1
; LDSByteSize: 784 bytes/workgroup (compile time only)
; SGPRBlocks: 6
; VGPRBlocks: 15
; NumSGPRsForWavesPerEU: 53
; NumVGPRsForWavesPerEU: 128
; AccumOffset: 128
; Occupancy: 4
; WaveLimiterHint : 1
; COMPUTE_PGM_RSRC2:SCRATCH_EN: 1
; COMPUTE_PGM_RSRC2:USER_SGPR: 2
; COMPUTE_PGM_RSRC2:TRAP_HANDLER: 0
; COMPUTE_PGM_RSRC2:TGID_X_EN: 1
; COMPUTE_PGM_RSRC2:TGID_Y_EN: 1
; COMPUTE_PGM_RSRC2:TGID_Z_EN: 1
; COMPUTE_PGM_RSRC2:TIDIG_COMP_CNT: 0
; COMPUTE_PGM_RSRC3_GFX90A:ACCUM_OFFSET: 31
; COMPUTE_PGM_RSRC3_GFX90A:TG_SPLIT: 0
	.section	.text._ZN4vllm25paged_attention_v1_kernelIfhLi256ELi32ELi128ELNS_18Fp8KVCacheDataTypeE1ELb0EEEvPT_PKS2_PKT0_S8_ifPKiSA_iPKfiiiSC_SC_iiiii,"axG",@progbits,_ZN4vllm25paged_attention_v1_kernelIfhLi256ELi32ELi128ELNS_18Fp8KVCacheDataTypeE1ELb0EEEvPT_PKS2_PKT0_S8_ifPKiSA_iPKfiiiSC_SC_iiiii,comdat
	.protected	_ZN4vllm25paged_attention_v1_kernelIfhLi256ELi32ELi128ELNS_18Fp8KVCacheDataTypeE1ELb0EEEvPT_PKS2_PKT0_S8_ifPKiSA_iPKfiiiSC_SC_iiiii ; -- Begin function _ZN4vllm25paged_attention_v1_kernelIfhLi256ELi32ELi128ELNS_18Fp8KVCacheDataTypeE1ELb0EEEvPT_PKS2_PKT0_S8_ifPKiSA_iPKfiiiSC_SC_iiiii
	.globl	_ZN4vllm25paged_attention_v1_kernelIfhLi256ELi32ELi128ELNS_18Fp8KVCacheDataTypeE1ELb0EEEvPT_PKS2_PKT0_S8_ifPKiSA_iPKfiiiSC_SC_iiiii
	.p2align	8
	.type	_ZN4vllm25paged_attention_v1_kernelIfhLi256ELi32ELi128ELNS_18Fp8KVCacheDataTypeE1ELb0EEEvPT_PKS2_PKT0_S8_ifPKiSA_iPKfiiiSC_SC_iiiii,@function
_ZN4vllm25paged_attention_v1_kernelIfhLi256ELi32ELi128ELNS_18Fp8KVCacheDataTypeE1ELb0EEEvPT_PKS2_PKT0_S8_ifPKiSA_iPKfiiiSC_SC_iiiii: ; @_ZN4vllm25paged_attention_v1_kernelIfhLi256ELi32ELi128ELNS_18Fp8KVCacheDataTypeE1ELb0EEEvPT_PKS2_PKT0_S8_ifPKiSA_iPKfiiiSC_SC_iiiii
; %bb.0:
	s_load_dword s5, s[0:1], 0x80
	s_load_dwordx2 s[6:7], s[0:1], 0x30
	s_load_dwordx2 s[28:29], s[0:1], 0x20
	s_mov_b32 s16, s3
	s_ashr_i32 s17, s3, 31
	s_lshl_b64 s[8:9], s[16:17], 2
	s_waitcnt lgkmcnt(0)
	s_add_u32 s6, s6, s8
	s_addc_u32 s7, s7, s9
	s_abs_i32 s3, s28
	v_mov_b32_e32 v50, v0
	v_cvt_f32_u32_e32 v0, s3
	s_sub_i32 s10, 0, s3
	s_abs_i32 s9, s5
	s_xor_b32 s8, s5, s28
	v_rcp_iflag_f32_e32 v0, v0
	s_ashr_i32 s8, s8, 31
	s_mov_b32 s28, 0
	v_mul_f32_e32 v0, 0x4f7ffffe, v0
	v_cvt_u32_f32_e32 v0, v0
	s_nop 0
	v_readfirstlane_b32 s11, v0
	s_mul_i32 s10, s10, s11
	s_mul_hi_u32 s10, s11, s10
	s_add_i32 s11, s11, s10
	s_mul_hi_u32 s10, s9, s11
	s_mul_i32 s11, s10, s3
	s_sub_i32 s9, s9, s11
	s_add_i32 s11, s10, 1
	s_sub_i32 s12, s9, s3
	s_cmp_ge_u32 s9, s3
	s_cselect_b32 s10, s11, s10
	s_cselect_b32 s9, s12, s9
	s_add_i32 s11, s10, 1
	s_cmp_ge_u32 s9, s3
	s_cselect_b32 s3, s11, s10
	s_xor_b32 s3, s3, s8
	s_sub_i32 s12, s3, s8
	s_abs_i32 s10, s12
	v_cvt_f32_u32_e32 v0, s10
	s_load_dwordx2 s[8:9], s[0:1], 0x40
	s_sub_i32 s3, 0, s10
	s_abs_i32 s11, s2
	v_rcp_iflag_f32_e32 v0, v0
	s_nop 0
	v_mul_f32_e32 v0, 0x4f7ffffe, v0
	v_cvt_u32_f32_e32 v0, v0
	s_nop 0
	v_readfirstlane_b32 s13, v0
	s_mul_i32 s3, s3, s13
	s_mul_hi_u32 s3, s13, s3
	s_add_i32 s13, s13, s3
	s_waitcnt lgkmcnt(0)
	s_cmp_eq_u64 s[8:9], 0
	s_mul_hi_u32 s20, s11, s13
	s_cbranch_scc1 .LBB217_2
; %bb.1:
	s_ashr_i32 s3, s2, 31
	s_lshl_b64 s[14:15], s[2:3], 2
	s_add_u32 s8, s8, s14
	s_addc_u32 s9, s9, s15
	s_load_dword s28, s[8:9], 0x0
.LBB217_2:
	s_load_dword s17, s[6:7], 0x0
	s_ashr_i32 s7, s12, 31
	s_load_dwordx4 s[12:15], s[0:1], 0x48
	s_ashr_i32 s6, s2, 31
	s_lshl_b32 s18, s2, 8
	s_movk_i32 s2, 0x80
	v_and_b32_e32 v0, 1, v50
	v_cmp_gt_u32_e32 vcc, s2, v50
	v_lshlrev_b32_e32 v39, 2, v50
	s_and_saveexec_b64 s[2:3], vcc
	s_cbranch_execz .LBB217_4
; %bb.3:
	s_load_dwordx2 s[8:9], s[0:1], 0x8
	s_waitcnt lgkmcnt(0)
	s_mul_i32 s22, s16, s12
	s_ashr_i32 s23, s22, 31
	s_lshl_b64 s[22:23], s[22:23], 2
	v_lshlrev_b32_e32 v1, 3, v50
	s_add_u32 s12, s8, s22
	s_addc_u32 s15, s9, s23
	s_ashr_i32 s19, s18, 31
	s_lshl_b64 s[8:9], s[18:19], 2
	s_add_u32 s8, s12, s8
	s_addc_u32 s9, s15, s9
	global_load_dwordx2 v[2:3], v1, s[8:9]
	v_and_b32_e32 v1, 0xff8, v39
	v_lshl_add_u32 v1, v0, 9, v1
	s_waitcnt vmcnt(0)
	ds_write_b64 v1, v[2:3]
.LBB217_4:
	s_or_b64 exec, exec, s[2:3]
	s_waitcnt lgkmcnt(0)
	s_add_i32 s3, s17, 31
	s_ashr_i32 s8, s3, 31
	s_lshr_b32 s8, s8, 27
	s_add_i32 s3, s3, s8
	s_ashr_i32 s19, s3, 5
	s_xor_b32 s3, s6, s7
	s_mul_i32 s6, s20, s10
	s_sub_i32 s6, s11, s6
	s_add_i32 s7, s20, 1
	s_sub_i32 s8, s6, s10
	s_load_dwordx2 s[22:23], s[0:1], 0x28
	s_load_dword s2, s[0:1], 0x38
	s_cmp_ge_u32 s6, s10
	s_cselect_b32 s7, s7, s20
	s_cselect_b32 s6, s8, s6
	s_add_i32 s8, s7, 1
	s_cmp_ge_u32 s6, s10
	s_cselect_b32 s6, s8, s7
	v_lshrrev_b32_e32 v38, 6, v50
	s_xor_b32 s6, s6, s3
	s_waitcnt lgkmcnt(0)
	s_mul_i32 s24, s16, s2
	s_sub_i32 s33, s6, s3
	s_ashr_i32 s25, s24, 31
	v_cmp_gt_i32_e64 s[6:7], s19, v38
	v_cmp_le_i32_e32 vcc, s19, v38
	v_mbcnt_lo_u32_b32 v1, -1, 0
	s_barrier
	s_waitcnt lgkmcnt(0)
                                        ; implicit-def: $sgpr15
                                        ; implicit-def: $vgpr7
                                        ; implicit-def: $vgpr8
	s_and_saveexec_b64 s[2:3], vcc
	s_xor_b64 s[2:3], exec, s[2:3]
; %bb.5:
	v_mbcnt_hi_u32_b32 v7, -1, v1
	v_and_b32_e32 v0, 64, v7
	v_add_u32_e32 v8, 64, v0
	s_mov_b32 s15, 0xff7fffff
                                        ; implicit-def: $vgpr0
                                        ; implicit-def: $vgpr1
; %bb.6:
	s_or_saveexec_b64 s[30:31], s[2:3]
	s_load_dwordx2 s[20:21], s[0:1], 0x0
	s_load_dwordx2 s[26:27], s[0:1], 0x18
	s_load_dword s12, s[0:1], 0x88
	s_load_dwordx4 s[8:11], s[0:1], 0x58
	v_mov_b32_e32 v2, s15
	s_mul_i32 s33, s33, s14
	v_lshrrev_b32_e32 v126, 4, v50
	scratch_store_dword off, v50, off offset:360 ; 4-byte Folded Spill
	s_xor_b64 exec, exec, s[30:31]
	s_cbranch_execz .LBB217_12
; %bb.7:
	s_load_dwordx2 s[0:1], s[0:1], 0x10
	s_ashr_i32 s2, s33, 31
	v_bfe_u32 v6, v50, 1, 5
	v_lshlrev_b32_e32 v12, 4, v6
	v_mov_b32_e32 v13, 0
	s_waitcnt lgkmcnt(0)
	s_add_u32 s0, s0, s33
	s_addc_u32 s1, s1, s2
	v_lshl_add_u64 v[2:3], s[0:1], 0, v[12:13]
	scratch_store_dwordx2 off, v[2:3], off offset:16 ; 8-byte Folded Spill
	v_lshlrev_b32_e32 v2, 9, v0
	ds_read_b128 v[8:11], v2
	v_mbcnt_hi_u32_b32 v4, -1, v1
	v_and_b32_e32 v3, 64, v4
	v_xor_b32_e32 v1, 1, v4
	v_add_u32_e32 v3, 64, v3
	s_waitcnt lgkmcnt(0)
	scratch_store_dwordx4 off, v[8:11], off offset:24 ; 16-byte Folded Spill
	ds_read_b128 v[8:11], v2 offset:16
	v_cmp_lt_i32_e32 vcc, v1, v3
	scratch_store_dword off, v39, off offset:96 ; 4-byte Folded Spill
	v_lshlrev_b32_e32 v12, 1, v0
	v_cndmask_b32_e32 v1, v4, v1, vcc
	s_waitcnt lgkmcnt(0)
	scratch_store_dwordx4 off, v[8:11], off offset:40 ; 16-byte Folded Spill
	ds_read_b128 v[8:11], v2 offset:32
	v_lshlrev_b32_e32 v1, 2, v1
	v_cmp_eq_u32_e32 vcc, 0, v0
	s_sub_i32 s53, 1, s17
	v_lshlrev_b32_e32 v0, 2, v6
	s_waitcnt lgkmcnt(0)
	scratch_store_dwordx4 off, v[8:11], off offset:56 ; 16-byte Folded Spill
	ds_read_b128 v[8:11], v2 offset:48
	s_lshl_b64 s[0:1], s[24:25], 2
	s_add_u32 s0, s22, s0
	s_addc_u32 s1, s23, s1
	s_mov_b32 s52, s13
	s_waitcnt lgkmcnt(0)
	scratch_store_dwordx4 off, v[8:11], off offset:72 ; 16-byte Folded Spill
	ds_read_b128 v[18:21], v2 offset:64
	ds_read_b128 v[22:25], v2 offset:80
	;; [unrolled: 1-line block ×5, first 2 shown]
	v_mov_b32_e32 v10, v38
	ds_read_b128 v[38:41], v2 offset:144
	ds_read_b128 v[42:45], v2 offset:160
	;; [unrolled: 1-line block ×4, first 2 shown]
	scratch_store_dword off, v3, off offset:120 ; 4-byte Folded Spill
	scratch_store_dword off, v4, off offset:112 ; 4-byte Folded Spill
	;; [unrolled: 1-line block ×3, first 2 shown]
	ds_read_b128 v[54:57], v2 offset:208
	ds_read_b128 v[58:61], v2 offset:224
	ds_read_b128 v[62:65], v2 offset:240
	ds_read_b128 v[66:69], v2 offset:256
	ds_read_b128 v[70:73], v2 offset:272
	ds_read_b128 v[74:77], v2 offset:288
	ds_read_b128 v[78:81], v2 offset:304
	ds_read_b128 v[82:85], v2 offset:320
	ds_read_b128 v[86:89], v2 offset:336
	ds_read_b128 v[90:93], v2 offset:352
	ds_read_b128 v[94:97], v2 offset:368
	ds_read_b128 v[98:101], v2 offset:384
	ds_read_b128 v[102:105], v2 offset:400
	ds_read_b128 v[106:109], v2 offset:416
	ds_read_b128 v[110:113], v2 offset:432
	ds_read_b128 v[114:117], v2 offset:448
	ds_read_b128 v[118:121], v2 offset:464
	ds_read_b128 v[122:125], v2 offset:480
	ds_read_b128 v[2:5], v2 offset:496
	s_load_dword s8, s[8:9], 0x0
	v_lshl_or_b32 v0, v10, 7, v0
	v_add_u32_e32 v9, 0x410, v0
	v_and_b32_e32 v0, 60, v126
	v_mov_b32_e32 v1, v13
	v_cmp_neq_f32_e64 s[2:3], s28, 0
	s_waitcnt lgkmcnt(0)
	s_mov_b32 s9, s8
	v_lshl_or_b32 v8, v10, 5, v6
	v_lshl_add_u64 v[0:1], s[0:1], 0, v[0:1]
	s_mov_b64 s[14:15], 0
	v_mov_b32_e32 v6, 0xff7fffff
	s_mov_b64 s[34:35], 0x1000
	s_movk_i32 s54, 0x1000
	s_mov_b64 s[36:37], 0x1200
	s_mov_b64 s[38:39], 0x1400
	;; [unrolled: 1-line block ×7, first 2 shown]
	scratch_store_dword off, v126, off offset:104 ; 4-byte Folded Spill
	scratch_store_dwordx2 off, v[12:13], off offset:8 ; 8-byte Folded Spill
	scratch_store_dword off, v6, off        ; 4-byte Folded Spill
	scratch_store_dword off, v10, off offset:192 ; 4-byte Folded Spill
	s_branch .LBB217_9
.LBB217_8:                              ;   in Loop: Header=BB217_9 Depth=1
	s_or_b64 exec, exec, s[50:51]
	v_add_u32_e32 v10, 2, v10
	v_cmp_le_i32_e64 s[0:1], s19, v10
	v_add_u32_e32 v8, 64, v8
	v_add_u32_e32 v9, 0x100, v9
	s_or_b64 s[14:15], s[0:1], s[14:15]
	v_lshl_add_u64 v[0:1], v[0:1], 0, 8
	s_andn2_b64 exec, exec, s[14:15]
	s_cbranch_execz .LBB217_11
.LBB217_9:                              ; =>This Inner Loop Header: Depth=1
	global_load_dword v6, v[0:1], off
	scratch_load_dwordx2 v[12:13], off, off offset:16 ; 8-byte Folded Reload
	scratch_load_dwordx4 v[14:17], off, off offset:24 ; 16-byte Folded Reload
	s_waitcnt vmcnt(1) lgkmcnt(0)
	v_mad_i64_i32 v[6:7], s[0:1], v6, s52, v[12:13]
	scratch_load_dwordx2 v[12:13], off, off offset:8 ; 8-byte Folded Reload
	s_waitcnt vmcnt(0)
	v_lshl_add_u64 v[126:127], v[6:7], 0, v[12:13]
	global_load_ushort v6, v[126:127], off offset:4
	s_waitcnt vmcnt(0)
	v_cvt_pk_f32_fp8_e32 v[6:7], v6
	v_pk_mul_f32 v[6:7], s[8:9], v[6:7]
	s_nop 0
	v_mul_f32_e32 v11, v16, v6
	global_load_ushort v6, v[126:127], off
	v_mul_f32_e32 v12, v17, v7
	s_waitcnt vmcnt(0)
	v_cvt_pk_f32_fp8_e32 v[6:7], v6
	v_pk_mul_f32 v[6:7], s[8:9], v[6:7]
	s_nop 0
	v_fmac_f32_e32 v11, v14, v6
	global_load_ushort v6, v[126:127], off offset:8
	v_fmac_f32_e32 v12, v15, v7
	scratch_load_dwordx4 v[14:17], off, off offset:40 ; 16-byte Folded Reload
	s_waitcnt vmcnt(1)
	v_cvt_pk_f32_fp8_e32 v[6:7], v6
	v_pk_mul_f32 v[6:7], s[8:9], v[6:7]
	s_waitcnt vmcnt(0)
	v_fmac_f32_e32 v11, v14, v6
	global_load_ushort v6, v[126:127], off offset:12
	v_fmac_f32_e32 v12, v15, v7
	s_waitcnt vmcnt(0)
	v_cvt_pk_f32_fp8_e32 v[6:7], v6
	v_pk_mul_f32 v[6:7], s[8:9], v[6:7]
	s_nop 0
	v_fmac_f32_e32 v11, v16, v6
	global_load_ushort v6, v[126:127], off offset:512
	v_fmac_f32_e32 v12, v17, v7
	scratch_load_dwordx4 v[14:17], off, off offset:56 ; 16-byte Folded Reload
	s_waitcnt vmcnt(1)
	v_cvt_pk_f32_fp8_e32 v[6:7], v6
	v_pk_mul_f32 v[6:7], s[8:9], v[6:7]
	s_waitcnt vmcnt(0)
	v_fmac_f32_e32 v11, v14, v6
	global_load_ushort v6, v[126:127], off offset:516
	v_fmac_f32_e32 v12, v15, v7
	;; [unrolled: 15-line block ×3, first 2 shown]
	s_waitcnt vmcnt(0)
	v_cvt_pk_f32_fp8_e32 v[6:7], v6
	v_pk_mul_f32 v[6:7], s[8:9], v[6:7]
	s_nop 0
	v_fmac_f32_e32 v11, v16, v6
	global_load_ushort v6, v[126:127], off offset:1024
	v_fmac_f32_e32 v12, v17, v7
	s_waitcnt vmcnt(0)
	v_cvt_pk_f32_fp8_e32 v[6:7], v6
	v_pk_mul_f32 v[6:7], s[8:9], v[6:7]
	s_nop 0
	v_fmac_f32_e32 v11, v18, v6
	global_load_ushort v6, v[126:127], off offset:1028
	v_fmac_f32_e32 v12, v19, v7
	;; [unrolled: 7-line block ×24, first 2 shown]
	s_waitcnt vmcnt(0)
	v_cvt_pk_f32_fp8_e32 v[6:7], v6
	v_pk_mul_f32 v[6:7], s[8:9], v[6:7]
	s_nop 0
	v_fmac_f32_e32 v11, v64, v6
	v_add_co_u32_e64 v6, s[0:1], s54, v126
	v_fmac_f32_e32 v12, v65, v7
	s_nop 0
	v_addc_co_u32_e64 v7, s[0:1], 0, v127, s[0:1]
	global_load_ushort v13, v[6:7], off
	s_waitcnt vmcnt(0)
	v_cvt_pk_f32_fp8_e32 v[14:15], v13
	v_pk_mul_f32 v[14:15], s[8:9], v[14:15]
	s_nop 0
	v_fmac_f32_e32 v11, v66, v14
	v_fmac_f32_e32 v12, v67, v15
	v_lshl_add_u64 v[14:15], v[126:127], 0, s[34:35]
	global_load_ushort v13, v[14:15], off offset:4
	s_waitcnt vmcnt(0)
	v_cvt_pk_f32_fp8_e32 v[16:17], v13
	global_load_ushort v13, v[14:15], off offset:8
	v_pk_mul_f32 v[16:17], s[8:9], v[16:17]
	s_nop 0
	v_fmac_f32_e32 v11, v68, v16
	v_fmac_f32_e32 v12, v69, v17
	s_waitcnt vmcnt(0)
	v_cvt_pk_f32_fp8_e32 v[16:17], v13
	global_load_ushort v13, v[14:15], off offset:12
	v_pk_mul_f32 v[16:17], s[8:9], v[16:17]
	s_nop 0
	v_fmac_f32_e32 v11, v70, v16
	v_fmac_f32_e32 v12, v71, v17
	s_waitcnt vmcnt(0)
	v_cvt_pk_f32_fp8_e32 v[14:15], v13
	global_load_ushort v13, v[6:7], off offset:512
	v_pk_mul_f32 v[14:15], s[8:9], v[14:15]
	s_nop 0
	v_fmac_f32_e32 v11, v72, v14
	v_fmac_f32_e32 v12, v73, v15
	s_waitcnt vmcnt(0)
	v_cvt_pk_f32_fp8_e32 v[14:15], v13
	v_pk_mul_f32 v[14:15], s[8:9], v[14:15]
	s_nop 0
	v_fmac_f32_e32 v11, v74, v14
	v_fmac_f32_e32 v12, v75, v15
	v_lshl_add_u64 v[14:15], v[126:127], 0, s[36:37]
	global_load_ushort v13, v[14:15], off offset:4
	s_waitcnt vmcnt(0)
	v_cvt_pk_f32_fp8_e32 v[16:17], v13
	global_load_ushort v13, v[14:15], off offset:8
	v_pk_mul_f32 v[16:17], s[8:9], v[16:17]
	s_nop 0
	v_fmac_f32_e32 v11, v76, v16
	v_fmac_f32_e32 v12, v77, v17
	s_waitcnt vmcnt(0)
	v_cvt_pk_f32_fp8_e32 v[16:17], v13
	global_load_ushort v13, v[14:15], off offset:12
	v_pk_mul_f32 v[16:17], s[8:9], v[16:17]
	s_nop 0
	v_fmac_f32_e32 v11, v78, v16
	v_fmac_f32_e32 v12, v79, v17
	s_waitcnt vmcnt(0)
	v_cvt_pk_f32_fp8_e32 v[14:15], v13
	global_load_ushort v13, v[6:7], off offset:1024
	v_pk_mul_f32 v[14:15], s[8:9], v[14:15]
	s_nop 0
	v_fmac_f32_e32 v11, v80, v14
	v_fmac_f32_e32 v12, v81, v15
	;; [unrolled: 29-line block ×6, first 2 shown]
	global_load_ushort v6, v[6:7], off offset:3584
	s_waitcnt vmcnt(1)
	v_cvt_pk_f32_fp8_e32 v[14:15], v13
	v_pk_mul_f32 v[14:15], s[8:9], v[14:15]
	s_nop 0
	v_fmac_f32_e32 v11, v114, v14
	v_fmac_f32_e32 v12, v115, v15
	v_lshl_add_u64 v[14:15], v[126:127], 0, s[46:47]
	global_load_ushort v13, v[14:15], off offset:4
	s_waitcnt vmcnt(1)
	v_cvt_pk_f32_fp8_e32 v[6:7], v6
	v_pk_mul_f32 v[6:7], s[8:9], v[6:7]
	s_waitcnt vmcnt(0)
	v_cvt_pk_f32_fp8_e32 v[16:17], v13
	global_load_ushort v13, v[14:15], off offset:8
	v_pk_mul_f32 v[16:17], s[8:9], v[16:17]
	s_nop 0
	v_fmac_f32_e32 v11, v116, v16
	v_fmac_f32_e32 v12, v117, v17
	s_waitcnt vmcnt(0)
	v_cvt_pk_f32_fp8_e32 v[16:17], v13
	global_load_ushort v13, v[14:15], off offset:12
	v_pk_mul_f32 v[16:17], s[8:9], v[16:17]
	s_nop 0
	v_fmac_f32_e32 v11, v118, v16
	v_fmac_f32_e32 v12, v119, v17
	s_waitcnt vmcnt(0)
	v_cvt_pk_f32_fp8_e32 v[14:15], v13
	v_pk_mul_f32 v[14:15], s[8:9], v[14:15]
	s_nop 0
	v_fmac_f32_e32 v11, v120, v14
	v_fmac_f32_e32 v12, v121, v15
	;; [unrolled: 1-line block ×4, first 2 shown]
	v_lshl_add_u64 v[6:7], v[126:127], 0, s[48:49]
	global_load_ushort v13, v[6:7], off offset:4
	s_waitcnt vmcnt(0)
	v_cvt_pk_f32_fp8_e32 v[14:15], v13
	global_load_ushort v13, v[6:7], off offset:8
	v_pk_mul_f32 v[14:15], s[8:9], v[14:15]
	global_load_ushort v6, v[6:7], off offset:12
	v_fmac_f32_e32 v11, v124, v14
	v_fmac_f32_e32 v12, v125, v15
	s_waitcnt vmcnt(1)
	v_cvt_pk_f32_fp8_e32 v[14:15], v13
	s_waitcnt vmcnt(0)
	v_cvt_pk_f32_fp8_e32 v[6:7], v6
	v_pk_mul_f32 v[14:15], s[8:9], v[14:15]
	v_pk_mul_f32 v[6:7], s[8:9], v[6:7]
	v_fmac_f32_e32 v12, v3, v15
	v_fmac_f32_e32 v12, v5, v7
	scratch_load_dword v7, off, off offset:88 ; 4-byte Folded Reload
	v_fmac_f32_e32 v11, v2, v14
	v_fmac_f32_e32 v11, v4, v6
	v_add_f32_e32 v6, v11, v12
	s_waitcnt vmcnt(0)
	ds_bpermute_b32 v7, v7, v6
	s_and_saveexec_b64 s[50:51], vcc
	s_cbranch_execz .LBB217_8
; %bb.10:                               ;   in Loop: Header=BB217_9 Depth=1
	scratch_load_dword v12, off, off        ; 4-byte Folded Reload
	v_add_u32_e32 v11, s53, v8
	v_cvt_f32_i32_e32 v11, v11
	s_waitcnt lgkmcnt(0)
	v_add_f32_e32 v6, v6, v7
	v_cmp_gt_i32_e64 s[0:1], s17, v8
	v_mul_f32_e32 v11, s28, v11
	v_cndmask_b32_e64 v11, 0, v11, s[2:3]
	v_fmac_f32_e32 v11, s29, v6
	v_cndmask_b32_e64 v6, 0, v11, s[0:1]
	ds_write_b32 v9, v6
	s_waitcnt vmcnt(0)
	v_max_f32_e32 v7, v12, v12
	v_max_f32_e32 v6, v7, v11
	v_cndmask_b32_e64 v12, v12, v6, s[0:1]
	scratch_store_dword off, v12, off       ; 4-byte Folded Spill
	s_branch .LBB217_8
.LBB217_11:
	s_or_b64 exec, exec, s[14:15]
	scratch_load_dword v50, off, off offset:360 ; 4-byte Folded Reload
	scratch_load_dword v38, off, off offset:192 ; 4-byte Folded Reload
	;; [unrolled: 1-line block ×4, first 2 shown]
	s_waitcnt lgkmcnt(0)
	scratch_load_dword v7, off, off offset:112 ; 4-byte Folded Reload
	scratch_load_dword v8, off, off offset:120 ; 4-byte Folded Reload
	scratch_load_dword v2, off, off         ; 4-byte Folded Reload
.LBB217_12:
	s_or_b64 exec, exec, s[30:31]
	s_waitcnt vmcnt(2)
	v_xor_b32_e32 v0, 32, v7
	s_waitcnt vmcnt(1)
	v_cmp_lt_i32_e32 vcc, v0, v8
	v_xor_b32_e32 v3, 16, v7
	v_xor_b32_e32 v4, 8, v7
	v_cndmask_b32_e32 v0, v7, v0, vcc
	v_lshlrev_b32_e32 v0, 2, v0
	s_waitcnt vmcnt(0)
	ds_bpermute_b32 v1, v0, v2
	v_max_f32_e32 v2, v2, v2
	v_cmp_lt_i32_e32 vcc, v3, v8
	v_xor_b32_e32 v5, 4, v7
	v_and_b32_e32 v51, 63, v50
	s_waitcnt lgkmcnt(0)
	v_max_f32_e32 v1, v1, v1
	v_max_f32_e32 v2, v2, v1
	v_cndmask_b32_e32 v1, v7, v3, vcc
	v_lshlrev_b32_e32 v1, 2, v1
	ds_bpermute_b32 v3, v1, v2
	v_cmp_lt_i32_e32 vcc, v4, v8
	s_waitcnt lgkmcnt(0)
	v_max_f32_e32 v3, v3, v3
	v_max_f32_e32 v3, v2, v3
	v_cndmask_b32_e32 v2, v7, v4, vcc
	v_lshlrev_b32_e32 v2, 2, v2
	ds_bpermute_b32 v4, v2, v3
	v_cmp_lt_i32_e32 vcc, v5, v8
	s_waitcnt lgkmcnt(0)
	v_max_f32_e32 v4, v4, v4
	v_max_f32_e32 v3, v3, v4
	v_cndmask_b32_e32 v4, v7, v5, vcc
	v_lshlrev_b32_e32 v53, 2, v4
	ds_bpermute_b32 v4, v53, v3
	v_xor_b32_e32 v5, 2, v7
	v_cmp_lt_i32_e32 vcc, v5, v8
	s_waitcnt lgkmcnt(0)
	v_max_f32_e32 v4, v4, v4
	v_max_f32_e32 v4, v3, v4
	v_cndmask_b32_e32 v3, v7, v5, vcc
	v_lshlrev_b32_e32 v52, 2, v3
	ds_bpermute_b32 v5, v52, v4
	v_cmp_eq_u32_e32 vcc, 0, v51
	v_lshlrev_b32_e32 v3, 2, v38
	s_and_saveexec_b64 s[0:1], vcc
	s_cbranch_execz .LBB217_14
; %bb.13:
	s_waitcnt lgkmcnt(0)
	v_max_f32_e32 v5, v5, v5
	v_max_f32_e32 v4, v4, v4
	;; [unrolled: 1-line block ×3, first 2 shown]
	ds_write_b32 v3, v4 offset:1024
.LBB217_14:
	s_or_b64 exec, exec, s[0:1]
	v_cmp_gt_u32_e64 s[0:1], 2, v51
	s_waitcnt lgkmcnt(0)
	v_mov_b32_e32 v5, 0xff7fffff
	v_lshlrev_b32_e32 v4, 2, v51
	s_barrier
	s_and_saveexec_b64 s[2:3], s[0:1]
	s_cbranch_execz .LBB217_16
; %bb.15:
	ds_read_b32 v5, v4 offset:1024
.LBB217_16:
	s_or_b64 exec, exec, s[2:3]
	v_xor_b32_e32 v6, 1, v7
	v_cmp_lt_i32_e64 s[2:3], v6, v8
	s_nop 1
	v_cndmask_b32_e64 v6, v7, v6, s[2:3]
	v_lshlrev_b32_e32 v54, 2, v6
	s_waitcnt lgkmcnt(0)
	ds_bpermute_b32 v6, v54, v5
	v_max_f32_e32 v5, v5, v5
	v_lshlrev_b32_e32 v7, 2, v7
	s_lshl_b32 s2, s19, 5
	s_min_i32 s30, s2, s17
	s_waitcnt lgkmcnt(0)
	v_max_f32_e32 v6, v6, v6
	v_max_f32_e32 v6, v5, v6
	v_and_b32_e32 v5, 0xffffff00, v7
	ds_bpermute_b32 v7, v5, v6
	v_cmp_gt_i32_e64 s[2:3], s30, v50
	v_mov_b32_e32 v6, 0
	s_and_saveexec_b64 s[14:15], s[2:3]
	s_cbranch_execz .LBB217_20
; %bb.17:
	v_mov_b32_e32 v6, 0x410
	v_lshl_add_u32 v8, v50, 2, v6
	s_mov_b64 s[28:29], 0
	v_mov_b32_e32 v6, 0
	v_mov_b32_e32 v9, v50
.LBB217_18:                             ; =>This Inner Loop Header: Depth=1
	ds_read_b32 v10, v8
	v_add_u32_e32 v9, 0x80, v9
	v_cmp_le_i32_e64 s[8:9], s30, v9
	s_or_b64 s[28:29], s[8:9], s[28:29]
	s_waitcnt lgkmcnt(0)
	v_sub_f32_e32 v10, v10, v7
	v_mul_f32_e32 v10, 0x3fb8aa3b, v10
	v_exp_f32_e32 v10, v10
	ds_write_b32 v8, v10
	v_add_f32_e32 v6, v6, v10
	v_add_u32_e32 v8, 0x200, v8
	s_andn2_b64 exec, exec, s[28:29]
	s_cbranch_execnz .LBB217_18
; %bb.19:
	s_or_b64 exec, exec, s[28:29]
.LBB217_20:
	s_or_b64 exec, exec, s[14:15]
	ds_bpermute_b32 v0, v0, v6
	s_waitcnt lgkmcnt(0)
	v_add_f32_e32 v0, v6, v0
	ds_bpermute_b32 v1, v1, v0
	s_waitcnt lgkmcnt(0)
	v_add_f32_e32 v0, v0, v1
	;; [unrolled: 3-line block ×6, first 2 shown]
	s_and_saveexec_b64 s[8:9], vcc
	s_cbranch_execz .LBB217_22
; %bb.21:
	ds_write_b32 v3, v0 offset:1032
.LBB217_22:
	s_or_b64 exec, exec, s[8:9]
	s_waitcnt lgkmcnt(0)
	s_barrier
	s_and_saveexec_b64 s[8:9], s[0:1]
	s_cbranch_execz .LBB217_24
; %bb.23:
	ds_read_b32 v0, v4 offset:1032
.LBB217_24:
	s_or_b64 exec, exec, s[8:9]
	s_waitcnt lgkmcnt(0)
	ds_bpermute_b32 v1, v54, v0
	s_waitcnt lgkmcnt(0)
	v_add_f32_e32 v0, v0, v1
	ds_bpermute_b32 v0, v5, v0
	s_and_saveexec_b64 s[0:1], s[2:3]
	s_cbranch_execz .LBB217_37
; %bb.25:
	s_waitcnt lgkmcnt(0)
	v_add_f32_e32 v0, 0x358637bd, v0
	v_div_scale_f32 v1, s[2:3], v0, v0, 1.0
	v_rcp_f32_e32 v2, v1
	v_div_scale_f32 v3, vcc, 1.0, v0, 1.0
	s_movk_i32 s2, 0x7f
	v_fma_f32 v4, -v1, v2, 1.0
	v_fmac_f32_e32 v2, v4, v2
	v_mul_f32_e32 v4, v3, v2
	v_fma_f32 v5, -v1, v4, v3
	v_fmac_f32_e32 v4, v5, v2
	v_fma_f32 v1, -v1, v4, v3
	v_div_fmas_f32 v1, v1, v2, v4
	v_xad_u32 v2, v50, -1, s30
	v_div_fixup_f32 v0, v1, v0, 1.0
	v_cmp_lt_u32_e32 vcc, s2, v2
	s_mov_b64 s[8:9], -1
	v_mov_b32_e32 v1, v50
	s_and_saveexec_b64 s[2:3], vcc
	s_cbranch_execz .LBB217_34
; %bb.26:
	v_lshrrev_b32_e32 v2, 7, v2
	v_add_u32_e32 v4, -1, v2
	v_lshrrev_b32_e32 v3, 1, v4
	v_mov_b32_e32 v1, v0
	v_add_u32_e32 v3, 1, v3
	v_cmp_lt_u32_e32 vcc, 13, v4
	v_mov_b32_e32 v6, 0
	s_and_saveexec_b64 s[8:9], vcc
	s_cbranch_execz .LBB217_30
; %bb.27:
	v_mov_b32_e32 v5, 0x410
	v_and_b32_e32 v4, -8, v3
	v_lshl_add_u32 v5, v50, 2, v5
	s_mov_b32 s28, 0
	s_mov_b64 s[14:15], 0
.LBB217_28:                             ; =>This Inner Loop Header: Depth=1
	ds_read2st64_b32 v[6:7], v5 offset1:2
	ds_read2st64_b32 v[8:9], v5 offset0:4 offset1:6
	ds_read2st64_b32 v[10:11], v5 offset0:8 offset1:10
	;; [unrolled: 1-line block ×3, first 2 shown]
	v_add_u32_e32 v4, -8, v4
	s_waitcnt lgkmcnt(3)
	v_pk_mul_f32 v[6:7], v[0:1], v[6:7]
	s_waitcnt lgkmcnt(2)
	v_pk_mul_f32 v[8:9], v[0:1], v[8:9]
	ds_write2st64_b32 v5, v6, v7 offset1:2
	ds_write2st64_b32 v5, v8, v9 offset0:4 offset1:6
	ds_read2st64_b32 v[8:9], v5 offset0:16 offset1:18
	s_waitcnt lgkmcnt(4)
	v_pk_mul_f32 v[6:7], v[0:1], v[10:11]
	ds_write2st64_b32 v5, v6, v7 offset0:8 offset1:10
	s_waitcnt lgkmcnt(4)
	v_pk_mul_f32 v[6:7], v[0:1], v[12:13]
	ds_write2st64_b32 v5, v6, v7 offset0:12 offset1:14
	ds_read2st64_b32 v[6:7], v5 offset0:20 offset1:22
	s_waitcnt lgkmcnt(3)
	v_pk_mul_f32 v[8:9], v[0:1], v[8:9]
	ds_read2st64_b32 v[10:11], v5 offset0:24 offset1:26
	ds_write2st64_b32 v5, v8, v9 offset0:16 offset1:18
	ds_read2st64_b32 v[8:9], v5 offset0:28 offset1:30
	s_waitcnt lgkmcnt(3)
	v_pk_mul_f32 v[6:7], v[0:1], v[6:7]
	ds_write2st64_b32 v5, v6, v7 offset0:20 offset1:22
	s_waitcnt lgkmcnt(3)
	v_pk_mul_f32 v[6:7], v[0:1], v[10:11]
	ds_write2st64_b32 v5, v6, v7 offset0:24 offset1:26
	s_waitcnt lgkmcnt(2)
	v_pk_mul_f32 v[6:7], v[0:1], v[8:9]
	s_add_i32 s28, s28, 16
	v_cmp_eq_u32_e32 vcc, 0, v4
	ds_write2st64_b32 v5, v6, v7 offset0:28 offset1:30
	v_add_u32_e32 v5, 0x2000, v5
	s_or_b64 s[14:15], vcc, s[14:15]
	v_mov_b32_e32 v6, s28
	s_andn2_b64 exec, exec, s[14:15]
	s_cbranch_execnz .LBB217_28
; %bb.29:
	s_or_b64 exec, exec, s[14:15]
.LBB217_30:
	s_or_b64 exec, exec, s[8:9]
	v_and_b32_e32 v3, 7, v3
	v_cmp_ne_u32_e32 vcc, 0, v3
	s_and_saveexec_b64 s[8:9], vcc
	s_cbranch_execz .LBB217_33
; %bb.31:
	v_lshlrev_b32_e32 v4, 9, v6
	s_movk_i32 s14, 0x410
	v_add3_u32 v4, v4, v39, s14
	s_mov_b64 s[14:15], 0
.LBB217_32:                             ; =>This Inner Loop Header: Depth=1
	ds_read2st64_b32 v[6:7], v4 offset1:2
	v_add_u32_e32 v3, -1, v3
	v_cmp_eq_u32_e32 vcc, 0, v3
	s_or_b64 s[14:15], vcc, s[14:15]
	s_waitcnt lgkmcnt(0)
	v_pk_mul_f32 v[6:7], v[0:1], v[6:7]
	ds_write2st64_b32 v4, v6, v7 offset1:2
	v_add_u32_e32 v4, 0x400, v4
	s_andn2_b64 exec, exec, s[14:15]
	s_cbranch_execnz .LBB217_32
.LBB217_33:
	s_or_b64 exec, exec, s[8:9]
	v_add_u32_e32 v2, 1, v2
	v_and_b32_e32 v3, 0x3fffffe, v2
	v_cmp_ne_u32_e32 vcc, v2, v3
	v_lshl_add_u32 v1, v3, 7, v50
	s_orn2_b64 s[8:9], vcc, exec
.LBB217_34:
	s_or_b64 exec, exec, s[2:3]
	s_and_b64 exec, exec, s[8:9]
	s_cbranch_execz .LBB217_37
; %bb.35:
	v_mov_b32_e32 v2, 0x410
	v_lshl_add_u32 v2, v1, 2, v2
	s_mov_b64 s[2:3], 0
.LBB217_36:                             ; =>This Inner Loop Header: Depth=1
	ds_read_b32 v3, v2
	v_add_u32_e32 v1, 0x80, v1
	v_cmp_le_i32_e32 vcc, s30, v1
	s_or_b64 s[2:3], vcc, s[2:3]
	s_waitcnt lgkmcnt(0)
	v_mul_f32_e32 v3, v0, v3
	ds_write_b32 v2, v3
	v_add_u32_e32 v2, 0x200, v2
	s_andn2_b64 exec, exec, s[2:3]
	s_cbranch_execnz .LBB217_36
.LBB217_37:
	s_or_b64 exec, exec, s[0:1]
	v_mov_b32_e32 v36, 0
	s_waitcnt lgkmcnt(0)
	v_and_b32_e32 v0, 7, v50
	v_mov_b32_e32 v37, 0
	v_mov_b32_e32 v34, 0
	v_mov_b32_e32 v35, 0
	v_mov_b32_e32 v32, 0
	v_mov_b32_e32 v33, 0
	v_mov_b32_e32 v30, 0
	v_mov_b32_e32 v31, 0
	v_mov_b32_e32 v28, 0
	v_mov_b32_e32 v29, 0
	v_mov_b32_e32 v26, 0
	v_mov_b32_e32 v27, 0
	v_mov_b32_e32 v24, 0
	v_mov_b32_e32 v25, 0
	v_mov_b32_e32 v22, 0
	v_mov_b32_e32 v23, 0
	v_mov_b32_e32 v20, 0
	v_mov_b32_e32 v21, 0
	v_mov_b32_e32 v18, 0
	v_mov_b32_e32 v19, 0
	v_mov_b32_e32 v16, 0
	v_mov_b32_e32 v17, 0
	v_mov_b32_e32 v14, 0
	v_mov_b32_e32 v15, 0
	v_mov_b32_e32 v12, 0
	v_mov_b32_e32 v13, 0
	v_mov_b32_e32 v10, 0
	v_mov_b32_e32 v11, 0
	v_mov_b32_e32 v8, 0
	v_mov_b32_e32 v9, 0
	v_mov_b32_e32 v6, 0
	v_mov_b32_e32 v7, 0
	s_barrier
	scratch_store_dword off, v0, off offset:364 ; 4-byte Folded Spill
	s_and_saveexec_b64 s[2:3], s[6:7]
	s_cbranch_execz .LBB217_105
; %bb.38:
	scratch_store_dword off, v54, off offset:380 ; 4-byte Folded Spill
	scratch_store_dword off, v53, off offset:376 ; 4-byte Folded Spill
	scratch_store_dword off, v52, off offset:372 ; 4-byte Folded Spill
	scratch_store_dword off, v51, off offset:368 ; 4-byte Folded Spill
	v_and_b32_e32 v0, 28, v39
	v_lshlrev_b32_e32 v1, 5, v38
	v_or3_b32 v114, v1, v0, 3
	scratch_load_dword v0, off, off offset:364 ; 4-byte Folded Reload
	v_mov_b32_e32 v3, 0
	v_and_b32_e32 v2, 0xfc, v39
	v_or_b32_e32 v4, 0xf00, v39
	v_mov_b32_e32 v5, v3
	scratch_store_dwordx2 off, v[4:5], off offset:216 ; 8-byte Folded Spill
	v_or_b32_e32 v4, 0x1000, v2
	scratch_store_dwordx2 off, v[4:5], off offset:224 ; 8-byte Folded Spill
	v_or_b32_e32 v4, 0x1100, v2
	;; [unrolled: 2-line block ×12, first 2 shown]
	s_load_dword s6, s[10:11], 0x0
	s_ashr_i32 s1, s33, 31
	scratch_store_dwordx2 off, v[4:5], off offset:312 ; 8-byte Folded Spill
	v_or_b32_e32 v4, 0x1c00, v2
	s_add_u32 s0, s26, s33
	scratch_store_dwordx2 off, v[4:5], off offset:320 ; 8-byte Folded Spill
	v_or_b32_e32 v4, 0x1d00, v2
	s_addc_u32 s1, s27, s1
	s_add_i32 s14, s19, -1
	scratch_store_dwordx2 off, v[4:5], off offset:328 ; 8-byte Folded Spill
	v_or_b32_e32 v4, 0x1e00, v2
	s_lshl_b64 s[8:9], s[24:25], 2
	scratch_store_dwordx2 off, v[4:5], off offset:336 ; 8-byte Folded Spill
	v_or_b32_e32 v4, 0x1f00, v39
	s_add_u32 s8, s22, s8
	scratch_store_dwordx2 off, v[4:5], off offset:344 ; 8-byte Folded Spill
	v_mov_b32_e32 v1, v3
	s_addc_u32 s9, s23, s9
	v_mov_b64_e32 v[6:7], s[0:1]
	s_waitcnt lgkmcnt(0)
	s_mov_b32 s7, s6
	scratch_store_dwordx2 off, v[6:7], off offset:352 ; 8-byte Folded Spill
	v_mov_b32_e32 v7, v3
	v_mov_b32_e32 v6, v3
	;; [unrolled: 1-line block ×30, first 2 shown]
	s_waitcnt vmcnt(18)
	v_lshlrev_b32_e32 v0, 4, v0
	v_lshl_or_b32 v0, v38, 7, v0
	v_add_u32_e32 v4, 0x410, v0
	v_and_b32_e32 v0, 60, v126
	v_lshl_add_u64 v[0:1], s[8:9], 0, v[0:1]
	s_mov_b64 s[8:9], 0
	v_mov_b32_e32 v37, v3
	v_mov_b32_e32 v36, v3
	scratch_store_dwordx2 off, v[2:3], off offset:208 ; 8-byte Folded Spill
	s_branch .LBB217_40
.LBB217_39:                             ;   in Loop: Header=BB217_40 Depth=1
	s_or_b64 exec, exec, s[0:1]
	s_waitcnt lgkmcnt(0)
	v_mul_f32_e32 v39, v3, v39
	v_fmac_f32_e32 v39, v2, v38
	v_mul_f32_e32 v38, v3, v71
	v_fmac_f32_e32 v38, v2, v70
	v_fmac_f32_e32 v39, v4, v72
	;; [unrolled: 1-line block ×5, first 2 shown]
	v_add_f32_e32 v17, v17, v39
	v_add_f32_e32 v16, v16, v38
	scratch_load_dwordx2 v[38:39], off, off offset:184 ; 8-byte Folded Reload
	v_mul_f32_e32 v91, v3, v91
	v_fmac_f32_e32 v91, v2, v90
	v_fmac_f32_e32 v91, v4, v0
	v_mul_f32_e32 v0, v3, v89
	v_fmac_f32_e32 v0, v2, v88
	v_fmac_f32_e32 v0, v4, v86
	v_fmac_f32_e32 v0, v5, v87
	v_add_f32_e32 v12, v12, v0
	v_mul_f32_e32 v0, v3, v63
	v_fmac_f32_e32 v0, v2, v62
	v_fmac_f32_e32 v0, v4, v60
	v_fmac_f32_e32 v0, v5, v61
	v_add_f32_e32 v18, v18, v0
	;; [unrolled: 5-line block ×10, first 2 shown]
	v_fmac_f32_e32 v91, v5, v1
	v_mul_f32_e32 v1, v3, v85
	v_mul_f32_e32 v75, v3, v75
	v_fmac_f32_e32 v1, v2, v84
	v_mul_f32_e32 v113, v3, v113
	v_fmac_f32_e32 v75, v2, v74
	v_mul_f32_e32 v74, v3, v107
	v_mul_f32_e32 v101, v3, v101
	;; [unrolled: 1-line block ×3, first 2 shown]
	v_fmac_f32_e32 v1, v4, v82
	v_mul_f32_e32 v81, v3, v81
	v_mul_f32_e32 v67, v3, v67
	v_fmac_f32_e32 v113, v2, v112
	v_fmac_f32_e32 v74, v2, v106
	;; [unrolled: 1-line block ×13, first 2 shown]
	v_add_f32_e32 v15, v15, v1
	s_waitcnt vmcnt(0)
	v_mul_f32_e32 v0, v3, v39
	v_fmac_f32_e32 v0, v2, v38
	scratch_load_dwordx2 v[38:39], off, off offset:176 ; 8-byte Folded Reload
	v_fmac_f32_e32 v67, v4, v64
	v_fmac_f32_e32 v113, v5, v111
	;; [unrolled: 1-line block ×8, first 2 shown]
	v_add_f32_e32 v6, v6, v113
	v_add_f32_e32 v9, v9, v75
	;; [unrolled: 1-line block ×8, first 2 shown]
	v_add_u32_e32 v114, 64, v114
	s_waitcnt vmcnt(0)
	v_fmac_f32_e32 v0, v4, v38
	v_fmac_f32_e32 v0, v5, v39
	scratch_load_dwordx2 v[38:39], off, off offset:168 ; 8-byte Folded Reload
	v_add_f32_e32 v29, v29, v0
	s_waitcnt vmcnt(0)
	v_mul_f32_e32 v0, v3, v39
	v_fmac_f32_e32 v0, v2, v38
	scratch_load_dwordx2 v[38:39], off, off offset:160 ; 8-byte Folded Reload
	s_waitcnt vmcnt(0)
	v_fmac_f32_e32 v0, v4, v38
	v_fmac_f32_e32 v0, v5, v39
	scratch_load_dwordx2 v[38:39], off, off offset:152 ; 8-byte Folded Reload
	v_add_f32_e32 v28, v28, v0
	s_waitcnt vmcnt(0)
	v_mul_f32_e32 v0, v3, v39
	v_fmac_f32_e32 v0, v2, v38
	scratch_load_dwordx2 v[38:39], off, off offset:144 ; 8-byte Folded Reload
	;; [unrolled: 9-line block ×8, first 2 shown]
	s_waitcnt vmcnt(0)
	v_fmac_f32_e32 v0, v4, v38
	v_fmac_f32_e32 v0, v5, v39
	scratch_load_dwordx2 v[38:39], off, off offset:8 ; 8-byte Folded Reload
	v_add_f32_e32 v37, v37, v0
	s_waitcnt vmcnt(0)
	v_mul_f32_e32 v0, v3, v39
	v_fmac_f32_e32 v0, v2, v38
	scratch_load_dwordx2 v[38:39], off, off ; 8-byte Folded Reload
	s_waitcnt vmcnt(0)
	v_fmac_f32_e32 v0, v4, v38
	v_fmac_f32_e32 v0, v5, v39
	v_add_f32_e32 v36, v36, v0
	v_mul_f32_e32 v0, v3, v93
	v_fmac_f32_e32 v0, v2, v92
	v_fmac_f32_e32 v0, v4, v104
	scratch_load_dword v38, off, off offset:192 ; 4-byte Folded Reload
	scratch_load_dword v4, off, off offset:196 ; 4-byte Folded Reload
	v_fmac_f32_e32 v0, v5, v105
	v_add_f32_e32 v7, v7, v0
	scratch_load_dwordx2 v[0:1], off, off offset:200 ; 8-byte Folded Reload
	s_waitcnt vmcnt(2)
	v_add_u32_e32 v38, 2, v38
	v_cmp_le_i32_e32 vcc, s19, v38
	s_waitcnt vmcnt(1)
	v_add_u32_e32 v4, 0x100, v4
	s_or_b64 s[8:9], vcc, s[8:9]
	s_waitcnt vmcnt(0)
	v_lshl_add_u64 v[0:1], v[0:1], 0, 8
	s_andn2_b64 exec, exec, s[8:9]
	s_cbranch_execz .LBB217_104
.LBB217_40:                             ; =>This Inner Loop Header: Depth=1
	scratch_store_dwordx2 off, v[0:1], off offset:200 ; 8-byte Folded Spill
	global_load_dword v0, v[0:1], off
	s_nop 0
	scratch_load_dwordx2 v[2:3], off, off offset:352 ; 8-byte Folded Reload
	v_mov_b32_e32 v40, v38
	scratch_store_dword off, v4, off offset:196 ; 4-byte Folded Spill
	v_add_u32_e32 v115, -3, v114
	v_cmp_eq_u32_e32 vcc, s14, v40
	v_add_u32_e32 v116, -2, v114
	v_add_u32_e32 v117, -1, v114
	scratch_store_dword off, v40, off offset:192 ; 4-byte Folded Spill
	s_waitcnt vmcnt(2)
	v_mad_i64_i32 v[104:105], s[0:1], v0, s13, v[2:3]
	scratch_load_dwordx2 v[0:1], off, off offset:208 ; 8-byte Folded Reload
	ds_read_b128 v[2:5], v4
	s_waitcnt vmcnt(0)
	v_lshl_add_u64 v[44:45], v[104:105], 0, v[0:1]
	global_load_dword v0, v[44:45], off
	s_waitcnt vmcnt(0)
	v_and_b32_e32 v1, 0xffff, v0
	v_lshrrev_b32_e32 v38, 16, v0
	v_cvt_pk_f32_fp8_e32 v[0:1], v1
	v_cvt_pk_f32_fp8_e32 v[38:39], v38
	v_pk_mul_f32 v[0:1], s[6:7], v[0:1]
	scratch_store_dwordx2 off, v[0:1], off offset:8 ; 8-byte Folded Spill
	v_pk_mul_f32 v[0:1], s[6:7], v[38:39]
	scratch_store_dwordx2 off, v[0:1], off  ; 8-byte Folded Spill
	s_and_saveexec_b64 s[10:11], vcc
	s_cbranch_execz .LBB217_42
; %bb.41:                               ;   in Loop: Header=BB217_40 Depth=1
	scratch_load_dwordx2 v[0:1], off, off offset:8 ; 8-byte Folded Reload
	v_cmp_gt_i32_e64 s[0:1], s17, v115
	s_waitcnt vmcnt(0)
	s_nop 0
	v_cndmask_b32_e64 v0, 0, v0, s[0:1]
	v_cmp_gt_i32_e64 s[0:1], s17, v116
	s_nop 1
	v_cndmask_b32_e64 v1, 0, v1, s[0:1]
	scratch_store_dwordx2 off, v[0:1], off offset:8 ; 8-byte Folded Spill
	scratch_load_dwordx2 v[0:1], off, off   ; 8-byte Folded Reload
	v_cmp_gt_i32_e64 s[0:1], s17, v117
	s_waitcnt vmcnt(0)
	s_nop 0
	v_cndmask_b32_e64 v0, 0, v0, s[0:1]
	v_cmp_gt_i32_e64 s[0:1], s17, v114
	s_nop 1
	v_cndmask_b32_e64 v1, 0, v1, s[0:1]
	scratch_store_dwordx2 off, v[0:1], off  ; 8-byte Folded Spill
.LBB217_42:                             ;   in Loop: Header=BB217_40 Depth=1
	s_or_b64 exec, exec, s[10:11]
	global_load_dword v0, v[44:45], off offset:256
	s_waitcnt vmcnt(0)
	v_and_b32_e32 v1, 0xffff, v0
	v_lshrrev_b32_e32 v38, 16, v0
	v_cvt_pk_f32_fp8_e32 v[0:1], v1
	v_cvt_pk_f32_fp8_e32 v[38:39], v38
	v_pk_mul_f32 v[0:1], s[6:7], v[0:1]
	scratch_store_dwordx2 off, v[0:1], off offset:24 ; 8-byte Folded Spill
	v_pk_mul_f32 v[0:1], s[6:7], v[38:39]
	scratch_store_dwordx2 off, v[0:1], off offset:16 ; 8-byte Folded Spill
	s_and_saveexec_b64 s[10:11], vcc
	s_cbranch_execz .LBB217_44
; %bb.43:                               ;   in Loop: Header=BB217_40 Depth=1
	scratch_load_dwordx2 v[0:1], off, off offset:24 ; 8-byte Folded Reload
	v_cmp_gt_i32_e64 s[0:1], s17, v115
	s_waitcnt vmcnt(0)
	s_nop 0
	v_cndmask_b32_e64 v0, 0, v0, s[0:1]
	v_cmp_gt_i32_e64 s[0:1], s17, v116
	s_nop 1
	v_cndmask_b32_e64 v1, 0, v1, s[0:1]
	scratch_store_dwordx2 off, v[0:1], off offset:24 ; 8-byte Folded Spill
	scratch_load_dwordx2 v[0:1], off, off offset:16 ; 8-byte Folded Reload
	v_cmp_gt_i32_e64 s[0:1], s17, v117
	s_waitcnt vmcnt(0)
	s_nop 0
	v_cndmask_b32_e64 v0, 0, v0, s[0:1]
	v_cmp_gt_i32_e64 s[0:1], s17, v114
	s_nop 1
	v_cndmask_b32_e64 v1, 0, v1, s[0:1]
	scratch_store_dwordx2 off, v[0:1], off offset:16 ; 8-byte Folded Spill
.LBB217_44:                             ;   in Loop: Header=BB217_40 Depth=1
	s_or_b64 exec, exec, s[10:11]
	global_load_dword v0, v[44:45], off offset:512
	s_waitcnt vmcnt(0)
	v_and_b32_e32 v1, 0xffff, v0
	v_lshrrev_b32_e32 v38, 16, v0
	v_cvt_pk_f32_fp8_e32 v[0:1], v1
	v_cvt_pk_f32_fp8_e32 v[38:39], v38
	v_pk_mul_f32 v[0:1], s[6:7], v[0:1]
	scratch_store_dwordx2 off, v[0:1], off offset:56 ; 8-byte Folded Spill
	v_pk_mul_f32 v[0:1], s[6:7], v[38:39]
	scratch_store_dwordx2 off, v[0:1], off offset:40 ; 8-byte Folded Spill
	s_and_saveexec_b64 s[10:11], vcc
	s_cbranch_execz .LBB217_46
; %bb.45:                               ;   in Loop: Header=BB217_40 Depth=1
	scratch_load_dwordx2 v[0:1], off, off offset:56 ; 8-byte Folded Reload
	v_cmp_gt_i32_e64 s[0:1], s17, v115
	s_waitcnt vmcnt(0)
	s_nop 0
	v_cndmask_b32_e64 v0, 0, v0, s[0:1]
	v_cmp_gt_i32_e64 s[0:1], s17, v116
	s_nop 1
	v_cndmask_b32_e64 v1, 0, v1, s[0:1]
	scratch_store_dwordx2 off, v[0:1], off offset:56 ; 8-byte Folded Spill
	scratch_load_dwordx2 v[0:1], off, off offset:40 ; 8-byte Folded Reload
	v_cmp_gt_i32_e64 s[0:1], s17, v117
	s_waitcnt vmcnt(0)
	s_nop 0
	v_cndmask_b32_e64 v0, 0, v0, s[0:1]
	v_cmp_gt_i32_e64 s[0:1], s17, v114
	s_nop 1
	v_cndmask_b32_e64 v1, 0, v1, s[0:1]
	scratch_store_dwordx2 off, v[0:1], off offset:40 ; 8-byte Folded Spill
.LBB217_46:                             ;   in Loop: Header=BB217_40 Depth=1
	;; [unrolled: 33-line block ×9, first 2 shown]
	s_or_b64 exec, exec, s[10:11]
	global_load_dword v0, v[44:45], off offset:2560
	s_waitcnt vmcnt(0)
	v_and_b32_e32 v1, 0xffff, v0
	v_lshrrev_b32_e32 v38, 16, v0
	v_cvt_pk_f32_fp8_e32 v[0:1], v1
	v_cvt_pk_f32_fp8_e32 v[38:39], v38
	v_pk_mul_f32 v[120:121], s[6:7], v[0:1]
	v_pk_mul_f32 v[118:119], s[6:7], v[38:39]
	s_and_saveexec_b64 s[10:11], vcc
; %bb.61:                               ;   in Loop: Header=BB217_40 Depth=1
	v_cmp_gt_i32_e64 s[0:1], s17, v115
	s_nop 1
	v_cndmask_b32_e64 v120, 0, v120, s[0:1]
	v_cmp_gt_i32_e64 s[0:1], s17, v116
	s_nop 1
	v_cndmask_b32_e64 v121, 0, v121, s[0:1]
	v_cmp_gt_i32_e64 s[0:1], s17, v117
	s_nop 1
	v_cndmask_b32_e64 v118, 0, v118, s[0:1]
	v_cmp_gt_i32_e64 s[0:1], s17, v114
	s_nop 1
	v_cndmask_b32_e64 v119, 0, v119, s[0:1]
; %bb.62:                               ;   in Loop: Header=BB217_40 Depth=1
	s_or_b64 exec, exec, s[10:11]
	global_load_dword v0, v[44:45], off offset:2816
	s_waitcnt vmcnt(0)
	v_and_b32_e32 v1, 0xffff, v0
	v_lshrrev_b32_e32 v38, 16, v0
	v_cvt_pk_f32_fp8_e32 v[0:1], v1
	v_cvt_pk_f32_fp8_e32 v[38:39], v38
	v_pk_mul_f32 v[124:125], s[6:7], v[0:1]
	v_pk_mul_f32 v[122:123], s[6:7], v[38:39]
	s_and_saveexec_b64 s[10:11], vcc
; %bb.63:                               ;   in Loop: Header=BB217_40 Depth=1
	v_cmp_gt_i32_e64 s[0:1], s17, v115
	s_nop 1
	v_cndmask_b32_e64 v124, 0, v124, s[0:1]
	v_cmp_gt_i32_e64 s[0:1], s17, v116
	s_nop 1
	v_cndmask_b32_e64 v125, 0, v125, s[0:1]
	v_cmp_gt_i32_e64 s[0:1], s17, v117
	s_nop 1
	v_cndmask_b32_e64 v122, 0, v122, s[0:1]
	v_cmp_gt_i32_e64 s[0:1], s17, v114
	s_nop 1
	v_cndmask_b32_e64 v123, 0, v123, s[0:1]
; %bb.64:                               ;   in Loop: Header=BB217_40 Depth=1
	;; [unrolled: 24-line block ×5, first 2 shown]
	s_or_b64 exec, exec, s[10:11]
	scratch_load_dwordx2 v[0:1], off, off offset:216 ; 8-byte Folded Reload
	s_waitcnt vmcnt(0)
	v_lshl_add_u64 v[0:1], v[104:105], 0, v[0:1]
	global_load_dword v0, v[0:1], off
	s_waitcnt vmcnt(0)
	v_and_b32_e32 v1, 0xffff, v0
	v_lshrrev_b32_e32 v38, 16, v0
	v_cvt_pk_f32_fp8_e32 v[0:1], v1
	v_cvt_pk_f32_fp8_e32 v[38:39], v38
	v_pk_mul_f32 v[50:51], s[6:7], v[0:1]
	v_pk_mul_f32 v[48:49], s[6:7], v[38:39]
	s_and_saveexec_b64 s[10:11], vcc
; %bb.71:                               ;   in Loop: Header=BB217_40 Depth=1
	v_cmp_gt_i32_e64 s[0:1], s17, v115
	s_nop 1
	v_cndmask_b32_e64 v50, 0, v50, s[0:1]
	v_cmp_gt_i32_e64 s[0:1], s17, v116
	s_nop 1
	v_cndmask_b32_e64 v51, 0, v51, s[0:1]
	v_cmp_gt_i32_e64 s[0:1], s17, v117
	s_nop 1
	v_cndmask_b32_e64 v48, 0, v48, s[0:1]
	v_cmp_gt_i32_e64 s[0:1], s17, v114
	s_nop 1
	v_cndmask_b32_e64 v49, 0, v49, s[0:1]
; %bb.72:                               ;   in Loop: Header=BB217_40 Depth=1
	s_or_b64 exec, exec, s[10:11]
	scratch_load_dwordx2 v[0:1], off, off offset:224 ; 8-byte Folded Reload
	s_waitcnt vmcnt(0)
	v_lshl_add_u64 v[0:1], v[104:105], 0, v[0:1]
	global_load_dword v0, v[0:1], off
	s_waitcnt vmcnt(0)
	v_and_b32_e32 v1, 0xffff, v0
	v_lshrrev_b32_e32 v38, 16, v0
	v_cvt_pk_f32_fp8_e32 v[0:1], v1
	v_cvt_pk_f32_fp8_e32 v[38:39], v38
	v_pk_mul_f32 v[54:55], s[6:7], v[0:1]
	v_pk_mul_f32 v[52:53], s[6:7], v[38:39]
	s_and_saveexec_b64 s[10:11], vcc
; %bb.73:                               ;   in Loop: Header=BB217_40 Depth=1
	v_cmp_gt_i32_e64 s[0:1], s17, v115
	s_nop 1
	v_cndmask_b32_e64 v54, 0, v54, s[0:1]
	v_cmp_gt_i32_e64 s[0:1], s17, v116
	s_nop 1
	v_cndmask_b32_e64 v55, 0, v55, s[0:1]
	v_cmp_gt_i32_e64 s[0:1], s17, v117
	s_nop 1
	v_cndmask_b32_e64 v52, 0, v52, s[0:1]
	v_cmp_gt_i32_e64 s[0:1], s17, v114
	s_nop 1
	v_cndmask_b32_e64 v53, 0, v53, s[0:1]
; %bb.74:                               ;   in Loop: Header=BB217_40 Depth=1
	;; [unrolled: 27-line block ×14, first 2 shown]
	s_or_b64 exec, exec, s[10:11]
	scratch_load_dwordx2 v[74:75], off, off offset:328 ; 8-byte Folded Reload
	s_waitcnt vmcnt(0)
	v_lshl_add_u64 v[74:75], v[104:105], 0, v[74:75]
	global_load_dword v74, v[74:75], off
	s_waitcnt vmcnt(0)
	v_and_b32_e32 v75, 0xffff, v74
	v_lshrrev_b32_e32 v92, 16, v74
	v_cvt_pk_f32_fp8_e32 v[74:75], v75
	v_cvt_pk_f32_fp8_e32 v[92:93], v92
	v_pk_mul_f32 v[74:75], s[6:7], v[74:75]
	v_pk_mul_f32 v[108:109], s[6:7], v[92:93]
	s_and_saveexec_b64 s[10:11], vcc
; %bb.99:                               ;   in Loop: Header=BB217_40 Depth=1
	v_cmp_gt_i32_e64 s[0:1], s17, v115
	s_nop 1
	v_cndmask_b32_e64 v74, 0, v74, s[0:1]
	v_cmp_gt_i32_e64 s[0:1], s17, v116
	s_nop 1
	v_cndmask_b32_e64 v75, 0, v75, s[0:1]
	;; [unrolled: 3-line block ×4, first 2 shown]
; %bb.100:                              ;   in Loop: Header=BB217_40 Depth=1
	s_or_b64 exec, exec, s[10:11]
	scratch_load_dwordx2 v[92:93], off, off offset:336 ; 8-byte Folded Reload
	s_waitcnt vmcnt(0)
	v_lshl_add_u64 v[92:93], v[104:105], 0, v[92:93]
	global_load_dword v92, v[92:93], off
	s_waitcnt vmcnt(0)
	v_and_b32_e32 v93, 0xffff, v92
	v_lshrrev_b32_e32 v110, 16, v92
	v_cvt_pk_f32_fp8_e32 v[92:93], v93
	v_cvt_pk_f32_fp8_e32 v[110:111], v110
	v_pk_mul_f32 v[112:113], s[6:7], v[92:93]
	v_pk_mul_f32 v[110:111], s[6:7], v[110:111]
	s_and_saveexec_b64 s[10:11], vcc
; %bb.101:                              ;   in Loop: Header=BB217_40 Depth=1
	v_cmp_gt_i32_e64 s[0:1], s17, v115
	s_nop 1
	v_cndmask_b32_e64 v112, 0, v112, s[0:1]
	v_cmp_gt_i32_e64 s[0:1], s17, v116
	s_nop 1
	v_cndmask_b32_e64 v113, 0, v113, s[0:1]
	;; [unrolled: 3-line block ×4, first 2 shown]
; %bb.102:                              ;   in Loop: Header=BB217_40 Depth=1
	s_or_b64 exec, exec, s[10:11]
	scratch_load_dwordx2 v[92:93], off, off offset:344 ; 8-byte Folded Reload
	s_waitcnt vmcnt(0)
	v_lshl_add_u64 v[92:93], v[104:105], 0, v[92:93]
	global_load_dword v92, v[92:93], off
	s_waitcnt vmcnt(0)
	v_and_b32_e32 v93, 0xffff, v92
	v_lshrrev_b32_e32 v104, 16, v92
	v_cvt_pk_f32_fp8_e32 v[92:93], v93
	v_cvt_pk_f32_fp8_e32 v[104:105], v104
	v_pk_mul_f32 v[92:93], s[6:7], v[92:93]
	v_pk_mul_f32 v[104:105], s[6:7], v[104:105]
	s_and_saveexec_b64 s[0:1], vcc
	s_cbranch_execz .LBB217_39
; %bb.103:                              ;   in Loop: Header=BB217_40 Depth=1
	v_cmp_gt_i32_e32 vcc, s17, v115
	s_nop 1
	v_cndmask_b32_e32 v92, 0, v92, vcc
	v_cmp_gt_i32_e32 vcc, s17, v116
	s_nop 1
	v_cndmask_b32_e32 v93, 0, v93, vcc
	;; [unrolled: 3-line block ×4, first 2 shown]
	s_branch .LBB217_39
.LBB217_104:
	s_or_b64 exec, exec, s[8:9]
	scratch_load_dword v50, off, off offset:360 ; 4-byte Folded Reload
	scratch_load_dword v51, off, off offset:368 ; 4-byte Folded Reload
	;; [unrolled: 1-line block ×5, first 2 shown]
.LBB217_105:
	s_or_b64 exec, exec, s[2:3]
	s_waitcnt vmcnt(1)
	ds_bpermute_b32 v0, v53, v36
	ds_bpermute_b32 v1, v53, v37
	;; [unrolled: 1-line block ×6, first 2 shown]
	s_waitcnt lgkmcnt(4)
	v_pk_add_f32 v[0:1], v[36:37], v[0:1]
	ds_bpermute_b32 v36, v53, v32
	s_waitcnt lgkmcnt(3)
	v_pk_add_f32 v[2:3], v[34:35], v[2:3]
	ds_bpermute_b32 v37, v53, v33
	ds_bpermute_b32 v34, v52, v2
	;; [unrolled: 1-line block ×5, first 2 shown]
	s_waitcnt lgkmcnt(4)
	v_pk_add_f32 v[32:33], v[32:33], v[36:37]
	v_pk_add_f32 v[30:31], v[30:31], v[38:39]
	s_waitcnt lgkmcnt(2)
	v_pk_add_f32 v[2:3], v[2:3], v[34:35]
	ds_bpermute_b32 v34, v52, v32
	ds_bpermute_b32 v35, v52, v33
	s_waitcnt lgkmcnt(2)
	v_pk_add_f32 v[0:1], v[0:1], v[4:5]
	s_waitcnt vmcnt(0)
	ds_bpermute_b32 v4, v54, v0
	ds_bpermute_b32 v5, v54, v1
	;; [unrolled: 1-line block ×3, first 2 shown]
	s_waitcnt lgkmcnt(3)
	v_pk_add_f32 v[32:33], v[32:33], v[34:35]
	ds_bpermute_b32 v34, v54, v32
	ds_bpermute_b32 v35, v54, v33
	ds_bpermute_b32 v37, v54, v3
	s_waitcnt lgkmcnt(4)
	v_pk_add_f32 v[4:5], v[0:1], v[4:5]
	ds_bpermute_b32 v38, v52, v30
	ds_bpermute_b32 v39, v52, v31
	s_waitcnt lgkmcnt(3)
	v_pk_add_f32 v[0:1], v[32:33], v[34:35]
	ds_bpermute_b32 v32, v53, v28
	ds_bpermute_b32 v33, v53, v29
	;; [unrolled: 4-line block ×3, first 2 shown]
	s_waitcnt lgkmcnt(4)
	v_pk_add_f32 v[30:31], v[30:31], v[38:39]
	s_waitcnt lgkmcnt(2)
	v_pk_add_f32 v[28:29], v[28:29], v[32:33]
	ds_bpermute_b32 v32, v52, v28
	ds_bpermute_b32 v33, v52, v29
	s_waitcnt lgkmcnt(2)
	v_pk_add_f32 v[26:27], v[26:27], v[36:37]
	ds_bpermute_b32 v38, v53, v24
	ds_bpermute_b32 v39, v53, v25
	;; [unrolled: 1-line block ×4, first 2 shown]
	s_waitcnt lgkmcnt(4)
	v_pk_add_f32 v[32:33], v[28:29], v[32:33]
	ds_bpermute_b32 v40, v54, v32
	s_waitcnt lgkmcnt(3)
	v_pk_add_f32 v[24:25], v[24:25], v[38:39]
	ds_bpermute_b32 v41, v54, v33
	;; [unrolled: 3-line block ×3, first 2 shown]
	ds_bpermute_b32 v27, v52, v25
	ds_bpermute_b32 v38, v54, v36
	;; [unrolled: 1-line block ×5, first 2 shown]
	s_waitcnt lgkmcnt(4)
	v_pk_add_f32 v[42:43], v[24:25], v[26:27]
	v_pk_add_f32 v[26:27], v[32:33], v[40:41]
	ds_bpermute_b32 v32, v53, v20
	ds_bpermute_b32 v33, v53, v21
	s_waitcnt lgkmcnt(4)
	v_pk_add_f32 v[24:25], v[36:37], v[38:39]
	ds_bpermute_b32 v36, v53, v18
	ds_bpermute_b32 v37, v53, v19
	;; [unrolled: 1-line block ×3, first 2 shown]
	s_waitcnt lgkmcnt(3)
	v_pk_add_f32 v[20:21], v[20:21], v[32:33]
	ds_bpermute_b32 v32, v52, v20
	ds_bpermute_b32 v33, v52, v21
	s_waitcnt lgkmcnt(3)
	v_pk_add_f32 v[18:19], v[18:19], v[36:37]
	ds_bpermute_b32 v39, v53, v17
	ds_bpermute_b32 v36, v52, v18
	;; [unrolled: 1-line block ×3, first 2 shown]
	s_waitcnt lgkmcnt(3)
	v_pk_add_f32 v[32:33], v[20:21], v[32:33]
	ds_bpermute_b32 v44, v54, v42
	s_waitcnt lgkmcnt(3)
	v_pk_add_f32 v[16:17], v[16:17], v[38:39]
	ds_bpermute_b32 v45, v54, v43
	ds_bpermute_b32 v40, v54, v32
	;; [unrolled: 1-line block ×3, first 2 shown]
	s_waitcnt lgkmcnt(4)
	v_pk_add_f32 v[36:37], v[18:19], v[36:37]
	ds_bpermute_b32 v18, v52, v16
	ds_bpermute_b32 v19, v52, v17
	v_pk_add_f32 v[46:47], v[22:23], v[28:29]
	s_waitcnt lgkmcnt(4)
	v_pk_add_f32 v[22:23], v[42:43], v[44:45]
	ds_bpermute_b32 v38, v54, v36
	ds_bpermute_b32 v39, v54, v37
	s_waitcnt lgkmcnt(2)
	v_pk_add_f32 v[42:43], v[16:17], v[18:19]
	v_pk_add_f32 v[18:19], v[32:33], v[40:41]
	ds_bpermute_b32 v32, v53, v12
	ds_bpermute_b32 v33, v53, v13
	ds_bpermute_b32 v34, v54, v30
	ds_bpermute_b32 v35, v54, v31
	ds_bpermute_b32 v48, v52, v46
	ds_bpermute_b32 v49, v52, v47
	ds_bpermute_b32 v20, v53, v14
	ds_bpermute_b32 v21, v53, v15
	s_waitcnt lgkmcnt(8)
	v_pk_add_f32 v[16:17], v[36:37], v[38:39]
	ds_bpermute_b32 v36, v53, v10
	ds_bpermute_b32 v37, v53, v11
	s_waitcnt lgkmcnt(8)
	v_pk_add_f32 v[12:13], v[12:13], v[32:33]
	ds_bpermute_b32 v32, v52, v12
	ds_bpermute_b32 v33, v52, v13
	s_waitcnt lgkmcnt(8)
	v_pk_add_f32 v[28:29], v[30:31], v[34:35]
	s_waitcnt lgkmcnt(6)
	v_pk_add_f32 v[30:31], v[46:47], v[48:49]
	;; [unrolled: 2-line block ×4, first 2 shown]
	ds_bpermute_b32 v38, v53, v8
	ds_bpermute_b32 v39, v53, v9
	;; [unrolled: 1-line block ×8, first 2 shown]
	s_waitcnt lgkmcnt(8)
	v_pk_add_f32 v[32:33], v[12:13], v[32:33]
	ds_bpermute_b32 v12, v53, v6
	ds_bpermute_b32 v13, v53, v7
	s_waitcnt lgkmcnt(8)
	v_pk_add_f32 v[8:9], v[8:9], v[38:39]
	ds_bpermute_b32 v44, v54, v42
	ds_bpermute_b32 v45, v54, v43
	s_waitcnt lgkmcnt(8)
	v_pk_add_f32 v[20:21], v[30:31], v[34:35]
	s_waitcnt lgkmcnt(6)
	v_pk_add_f32 v[30:31], v[46:47], v[48:49]
	;; [unrolled: 2-line block ×3, first 2 shown]
	ds_bpermute_b32 v10, v52, v8
	ds_bpermute_b32 v11, v52, v9
	s_waitcnt lgkmcnt(4)
	v_pk_add_f32 v[46:47], v[6:7], v[12:13]
	ds_bpermute_b32 v34, v54, v30
	ds_bpermute_b32 v35, v54, v31
	ds_bpermute_b32 v48, v52, v46
	ds_bpermute_b32 v49, v52, v47
	ds_bpermute_b32 v40, v54, v32
	ds_bpermute_b32 v41, v54, v33
	s_waitcnt lgkmcnt(8)
	v_pk_add_f32 v[14:15], v[42:43], v[44:45]
	s_waitcnt lgkmcnt(6)
	v_pk_add_f32 v[42:43], v[8:9], v[10:11]
	ds_bpermute_b32 v38, v54, v36
	ds_bpermute_b32 v39, v54, v37
	ds_bpermute_b32 v44, v54, v42
	ds_bpermute_b32 v45, v54, v43
	s_waitcnt lgkmcnt(8)
	v_pk_add_f32 v[12:13], v[30:31], v[34:35]
	s_waitcnt lgkmcnt(6)
	v_pk_add_f32 v[30:31], v[46:47], v[48:49]
	;; [unrolled: 2-line block ×3, first 2 shown]
	ds_bpermute_b32 v32, v54, v30
	ds_bpermute_b32 v33, v54, v31
	v_and_b32_e32 v34, 0x3c7, v50
	s_waitcnt lgkmcnt(4)
	v_pk_add_f32 v[8:9], v[36:37], v[38:39]
	s_waitcnt lgkmcnt(2)
	v_pk_add_f32 v[6:7], v[42:43], v[44:45]
	v_cmp_ne_u32_e32 vcc, 64, v34
	s_waitcnt lgkmcnt(0)
	s_barrier
	s_and_saveexec_b64 s[0:1], vcc
	s_xor_b64 s[0:1], exec, s[0:1]
; %bb.106:
                                        ; implicit-def: $vgpr51
; %bb.107:
	s_or_saveexec_b64 s[0:1], s[0:1]
	v_pk_add_f32 v[30:31], v[30:31], v[32:33]
	s_xor_b64 exec, exec, s[0:1]
	s_cbranch_execz .LBB217_109
; %bb.108:
	v_lshrrev_b32_e32 v32, 1, v51
	v_add_u32_e32 v32, 0x410, v32
	ds_write2_b32 v32, v4, v5 offset1:8
	ds_write2_b32 v32, v2, v3 offset0:16 offset1:24
	ds_write2_b32 v32, v0, v1 offset0:32 offset1:40
	;; [unrolled: 1-line block ×15, first 2 shown]
.LBB217_109:
	s_or_b64 exec, exec, s[0:1]
	v_cmp_gt_u32_e32 vcc, 64, v50
	s_waitcnt lgkmcnt(0)
	s_barrier
	s_and_saveexec_b64 s[0:1], vcc
	s_cbranch_execz .LBB217_144
; %bb.110:
	scratch_load_dword v32, off, off offset:364 ; 4-byte Folded Reload
	s_waitcnt vmcnt(0)
	v_cmp_eq_u32_e32 vcc, 0, v32
	v_lshrrev_b32_e32 v32, 3, v50
	s_and_saveexec_b64 s[2:3], vcc
	s_cbranch_execnz .LBB217_147
; %bb.111:
	s_or_b64 exec, exec, s[2:3]
	s_and_saveexec_b64 s[2:3], vcc
	s_cbranch_execnz .LBB217_148
.LBB217_112:
	s_or_b64 exec, exec, s[2:3]
	s_and_saveexec_b64 s[2:3], vcc
	s_cbranch_execnz .LBB217_149
.LBB217_113:
	s_or_b64 exec, exec, s[2:3]
	s_and_saveexec_b64 s[2:3], vcc
	s_cbranch_execnz .LBB217_150
.LBB217_114:
	s_or_b64 exec, exec, s[2:3]
	s_and_saveexec_b64 s[2:3], vcc
	s_cbranch_execnz .LBB217_151
.LBB217_115:
	s_or_b64 exec, exec, s[2:3]
	s_and_saveexec_b64 s[2:3], vcc
	s_cbranch_execnz .LBB217_152
.LBB217_116:
	s_or_b64 exec, exec, s[2:3]
	s_and_saveexec_b64 s[2:3], vcc
	s_cbranch_execnz .LBB217_153
.LBB217_117:
	s_or_b64 exec, exec, s[2:3]
	s_and_saveexec_b64 s[2:3], vcc
	s_cbranch_execnz .LBB217_154
.LBB217_118:
	s_or_b64 exec, exec, s[2:3]
	s_and_saveexec_b64 s[2:3], vcc
	s_cbranch_execnz .LBB217_155
.LBB217_119:
	s_or_b64 exec, exec, s[2:3]
	s_and_saveexec_b64 s[2:3], vcc
	s_cbranch_execnz .LBB217_156
.LBB217_120:
	s_or_b64 exec, exec, s[2:3]
	s_and_saveexec_b64 s[2:3], vcc
	s_cbranch_execnz .LBB217_157
.LBB217_121:
	s_or_b64 exec, exec, s[2:3]
	s_and_saveexec_b64 s[2:3], vcc
	s_cbranch_execnz .LBB217_158
.LBB217_122:
	s_or_b64 exec, exec, s[2:3]
	s_and_saveexec_b64 s[2:3], vcc
	s_cbranch_execnz .LBB217_159
.LBB217_123:
	s_or_b64 exec, exec, s[2:3]
	s_and_saveexec_b64 s[2:3], vcc
	s_cbranch_execnz .LBB217_160
.LBB217_124:
	s_or_b64 exec, exec, s[2:3]
	s_and_saveexec_b64 s[2:3], vcc
	s_cbranch_execnz .LBB217_161
.LBB217_125:
	s_or_b64 exec, exec, s[2:3]
	s_and_saveexec_b64 s[2:3], vcc
	s_cbranch_execnz .LBB217_162
.LBB217_126:
	s_or_b64 exec, exec, s[2:3]
	s_and_saveexec_b64 s[2:3], vcc
	s_cbranch_execnz .LBB217_163
.LBB217_127:
	s_or_b64 exec, exec, s[2:3]
	s_and_saveexec_b64 s[2:3], vcc
	s_cbranch_execnz .LBB217_164
.LBB217_128:
	s_or_b64 exec, exec, s[2:3]
	s_and_saveexec_b64 s[2:3], vcc
	s_cbranch_execnz .LBB217_165
.LBB217_129:
	s_or_b64 exec, exec, s[2:3]
	s_and_saveexec_b64 s[2:3], vcc
	s_cbranch_execnz .LBB217_166
.LBB217_130:
	s_or_b64 exec, exec, s[2:3]
	s_and_saveexec_b64 s[2:3], vcc
	s_cbranch_execnz .LBB217_167
.LBB217_131:
	s_or_b64 exec, exec, s[2:3]
	s_and_saveexec_b64 s[2:3], vcc
	s_cbranch_execnz .LBB217_168
.LBB217_132:
	s_or_b64 exec, exec, s[2:3]
	s_and_saveexec_b64 s[2:3], vcc
	s_cbranch_execnz .LBB217_169
.LBB217_133:
	s_or_b64 exec, exec, s[2:3]
	s_and_saveexec_b64 s[2:3], vcc
	s_cbranch_execnz .LBB217_170
.LBB217_134:
	s_or_b64 exec, exec, s[2:3]
	s_and_saveexec_b64 s[2:3], vcc
	s_cbranch_execnz .LBB217_171
.LBB217_135:
	s_or_b64 exec, exec, s[2:3]
	s_and_saveexec_b64 s[2:3], vcc
	s_cbranch_execnz .LBB217_172
.LBB217_136:
	s_or_b64 exec, exec, s[2:3]
	s_and_saveexec_b64 s[2:3], vcc
	s_cbranch_execnz .LBB217_173
.LBB217_137:
	s_or_b64 exec, exec, s[2:3]
	s_and_saveexec_b64 s[2:3], vcc
	s_cbranch_execnz .LBB217_174
.LBB217_138:
	s_or_b64 exec, exec, s[2:3]
	s_and_saveexec_b64 s[2:3], vcc
	s_cbranch_execnz .LBB217_175
.LBB217_139:
	s_or_b64 exec, exec, s[2:3]
	s_and_saveexec_b64 s[2:3], vcc
	s_cbranch_execnz .LBB217_176
.LBB217_140:
	s_or_b64 exec, exec, s[2:3]
	s_and_saveexec_b64 s[2:3], vcc
	s_cbranch_execnz .LBB217_177
.LBB217_141:
	s_or_b64 exec, exec, s[2:3]
	s_and_saveexec_b64 s[2:3], vcc
	s_cbranch_execz .LBB217_143
.LBB217_142:
	v_mov_b32_e32 v33, 0x410
	v_lshl_add_u32 v32, v32, 2, v33
	ds_read_b32 v32, v32 offset:992
	s_waitcnt lgkmcnt(0)
	v_add_f32_e32 v31, v31, v32
.LBB217_143:
	s_or_b64 exec, exec, s[2:3]
.LBB217_144:
	s_or_b64 exec, exec, s[0:1]
	v_cmp_eq_u32_e32 vcc, 0, v34
	s_barrier
	s_and_saveexec_b64 s[0:1], vcc
	s_cbranch_execz .LBB217_146
; %bb.145:
	s_mul_i32 s0, s16, s12
	s_mul_i32 s0, s0, s5
	s_lshl_b32 s0, s0, 8
	s_ashr_i32 s1, s0, 31
	s_lshl_b64 s[0:1], s[0:1], 2
	s_add_u32 s2, s20, s0
	s_mul_i32 s0, s12, s18
	s_addc_u32 s3, s21, s1
	s_ashr_i32 s1, s0, 31
	s_lshl_b64 s[0:1], s[0:1], 2
	s_add_u32 s2, s2, s0
	s_addc_u32 s3, s3, s1
	s_lshl_b32 s0, s4, 8
	s_ashr_i32 s1, s0, 31
	s_lshl_b64 s[0:1], s[0:1], 2
	s_add_u32 s0, s2, s0
	s_addc_u32 s1, s3, s1
	v_lshrrev_b32_e32 v32, 1, v50
	global_store_dword v32, v4, s[0:1]
	global_store_dword v32, v5, s[0:1] offset:32
	global_store_dword v32, v2, s[0:1] offset:64
	global_store_dword v32, v3, s[0:1] offset:96
	global_store_dword v32, v0, s[0:1] offset:128
	global_store_dword v32, v1, s[0:1] offset:160
	global_store_dword v32, v28, s[0:1] offset:192
	global_store_dword v32, v29, s[0:1] offset:224
	global_store_dword v32, v26, s[0:1] offset:256
	global_store_dword v32, v27, s[0:1] offset:288
	global_store_dword v32, v24, s[0:1] offset:320
	global_store_dword v32, v25, s[0:1] offset:352
	global_store_dword v32, v22, s[0:1] offset:384
	global_store_dword v32, v23, s[0:1] offset:416
	global_store_dword v32, v20, s[0:1] offset:448
	global_store_dword v32, v21, s[0:1] offset:480
	global_store_dword v32, v18, s[0:1] offset:512
	global_store_dword v32, v19, s[0:1] offset:544
	global_store_dword v32, v16, s[0:1] offset:576
	global_store_dword v32, v17, s[0:1] offset:608
	global_store_dword v32, v14, s[0:1] offset:640
	global_store_dword v32, v15, s[0:1] offset:672
	global_store_dword v32, v12, s[0:1] offset:704
	global_store_dword v32, v13, s[0:1] offset:736
	global_store_dword v32, v10, s[0:1] offset:768
	global_store_dword v32, v11, s[0:1] offset:800
	global_store_dword v32, v8, s[0:1] offset:832
	global_store_dword v32, v9, s[0:1] offset:864
	global_store_dword v32, v6, s[0:1] offset:896
	global_store_dword v32, v7, s[0:1] offset:928
	global_store_dword v32, v30, s[0:1] offset:960
	global_store_dword v32, v31, s[0:1] offset:992
.LBB217_146:
	s_endpgm
.LBB217_147:
	v_mov_b32_e32 v33, 0x410
	v_lshl_add_u32 v33, v32, 2, v33
	ds_read_b32 v33, v33
	s_waitcnt lgkmcnt(0)
	v_add_f32_e32 v4, v4, v33
	s_or_b64 exec, exec, s[2:3]
	s_and_saveexec_b64 s[2:3], vcc
	s_cbranch_execz .LBB217_112
.LBB217_148:
	v_mov_b32_e32 v33, 0x410
	v_lshl_add_u32 v33, v32, 2, v33
	ds_read_b32 v33, v33 offset:32
	s_waitcnt lgkmcnt(0)
	v_add_f32_e32 v5, v5, v33
	s_or_b64 exec, exec, s[2:3]
	s_and_saveexec_b64 s[2:3], vcc
	s_cbranch_execz .LBB217_113
.LBB217_149:
	v_mov_b32_e32 v33, 0x410
	v_lshl_add_u32 v33, v32, 2, v33
	ds_read_b32 v33, v33 offset:64
	s_waitcnt lgkmcnt(0)
	v_add_f32_e32 v2, v2, v33
	s_or_b64 exec, exec, s[2:3]
	s_and_saveexec_b64 s[2:3], vcc
	s_cbranch_execz .LBB217_114
.LBB217_150:
	v_mov_b32_e32 v33, 0x410
	v_lshl_add_u32 v33, v32, 2, v33
	ds_read_b32 v33, v33 offset:96
	s_waitcnt lgkmcnt(0)
	v_add_f32_e32 v3, v3, v33
	s_or_b64 exec, exec, s[2:3]
	s_and_saveexec_b64 s[2:3], vcc
	s_cbranch_execz .LBB217_115
.LBB217_151:
	v_mov_b32_e32 v33, 0x410
	v_lshl_add_u32 v33, v32, 2, v33
	ds_read_b32 v33, v33 offset:128
	s_waitcnt lgkmcnt(0)
	v_add_f32_e32 v0, v0, v33
	s_or_b64 exec, exec, s[2:3]
	s_and_saveexec_b64 s[2:3], vcc
	s_cbranch_execz .LBB217_116
.LBB217_152:
	v_mov_b32_e32 v33, 0x410
	v_lshl_add_u32 v33, v32, 2, v33
	ds_read_b32 v33, v33 offset:160
	s_waitcnt lgkmcnt(0)
	v_add_f32_e32 v1, v1, v33
	s_or_b64 exec, exec, s[2:3]
	s_and_saveexec_b64 s[2:3], vcc
	s_cbranch_execz .LBB217_117
.LBB217_153:
	v_mov_b32_e32 v33, 0x410
	v_lshl_add_u32 v33, v32, 2, v33
	ds_read_b32 v33, v33 offset:192
	s_waitcnt lgkmcnt(0)
	v_add_f32_e32 v28, v28, v33
	s_or_b64 exec, exec, s[2:3]
	s_and_saveexec_b64 s[2:3], vcc
	s_cbranch_execz .LBB217_118
.LBB217_154:
	v_mov_b32_e32 v33, 0x410
	v_lshl_add_u32 v33, v32, 2, v33
	ds_read_b32 v33, v33 offset:224
	s_waitcnt lgkmcnt(0)
	v_add_f32_e32 v29, v29, v33
	s_or_b64 exec, exec, s[2:3]
	s_and_saveexec_b64 s[2:3], vcc
	s_cbranch_execz .LBB217_119
.LBB217_155:
	v_mov_b32_e32 v33, 0x410
	v_lshl_add_u32 v33, v32, 2, v33
	ds_read_b32 v33, v33 offset:256
	s_waitcnt lgkmcnt(0)
	v_add_f32_e32 v26, v26, v33
	s_or_b64 exec, exec, s[2:3]
	s_and_saveexec_b64 s[2:3], vcc
	s_cbranch_execz .LBB217_120
.LBB217_156:
	v_mov_b32_e32 v33, 0x410
	v_lshl_add_u32 v33, v32, 2, v33
	ds_read_b32 v33, v33 offset:288
	s_waitcnt lgkmcnt(0)
	v_add_f32_e32 v27, v27, v33
	s_or_b64 exec, exec, s[2:3]
	s_and_saveexec_b64 s[2:3], vcc
	s_cbranch_execz .LBB217_121
.LBB217_157:
	v_mov_b32_e32 v33, 0x410
	v_lshl_add_u32 v33, v32, 2, v33
	ds_read_b32 v33, v33 offset:320
	s_waitcnt lgkmcnt(0)
	v_add_f32_e32 v24, v24, v33
	s_or_b64 exec, exec, s[2:3]
	s_and_saveexec_b64 s[2:3], vcc
	s_cbranch_execz .LBB217_122
.LBB217_158:
	v_mov_b32_e32 v33, 0x410
	v_lshl_add_u32 v33, v32, 2, v33
	ds_read_b32 v33, v33 offset:352
	s_waitcnt lgkmcnt(0)
	v_add_f32_e32 v25, v25, v33
	s_or_b64 exec, exec, s[2:3]
	s_and_saveexec_b64 s[2:3], vcc
	s_cbranch_execz .LBB217_123
.LBB217_159:
	v_mov_b32_e32 v33, 0x410
	v_lshl_add_u32 v33, v32, 2, v33
	ds_read_b32 v33, v33 offset:384
	s_waitcnt lgkmcnt(0)
	v_add_f32_e32 v22, v22, v33
	s_or_b64 exec, exec, s[2:3]
	s_and_saveexec_b64 s[2:3], vcc
	s_cbranch_execz .LBB217_124
.LBB217_160:
	v_mov_b32_e32 v33, 0x410
	v_lshl_add_u32 v33, v32, 2, v33
	ds_read_b32 v33, v33 offset:416
	s_waitcnt lgkmcnt(0)
	v_add_f32_e32 v23, v23, v33
	s_or_b64 exec, exec, s[2:3]
	s_and_saveexec_b64 s[2:3], vcc
	s_cbranch_execz .LBB217_125
.LBB217_161:
	v_mov_b32_e32 v33, 0x410
	v_lshl_add_u32 v33, v32, 2, v33
	ds_read_b32 v33, v33 offset:448
	s_waitcnt lgkmcnt(0)
	v_add_f32_e32 v20, v20, v33
	s_or_b64 exec, exec, s[2:3]
	s_and_saveexec_b64 s[2:3], vcc
	s_cbranch_execz .LBB217_126
.LBB217_162:
	v_mov_b32_e32 v33, 0x410
	v_lshl_add_u32 v33, v32, 2, v33
	ds_read_b32 v33, v33 offset:480
	s_waitcnt lgkmcnt(0)
	v_add_f32_e32 v21, v21, v33
	s_or_b64 exec, exec, s[2:3]
	s_and_saveexec_b64 s[2:3], vcc
	s_cbranch_execz .LBB217_127
.LBB217_163:
	v_mov_b32_e32 v33, 0x410
	v_lshl_add_u32 v33, v32, 2, v33
	ds_read_b32 v33, v33 offset:512
	s_waitcnt lgkmcnt(0)
	v_add_f32_e32 v18, v18, v33
	s_or_b64 exec, exec, s[2:3]
	s_and_saveexec_b64 s[2:3], vcc
	s_cbranch_execz .LBB217_128
.LBB217_164:
	v_mov_b32_e32 v33, 0x410
	v_lshl_add_u32 v33, v32, 2, v33
	ds_read_b32 v33, v33 offset:544
	s_waitcnt lgkmcnt(0)
	v_add_f32_e32 v19, v19, v33
	s_or_b64 exec, exec, s[2:3]
	s_and_saveexec_b64 s[2:3], vcc
	s_cbranch_execz .LBB217_129
.LBB217_165:
	v_mov_b32_e32 v33, 0x410
	v_lshl_add_u32 v33, v32, 2, v33
	ds_read_b32 v33, v33 offset:576
	s_waitcnt lgkmcnt(0)
	v_add_f32_e32 v16, v16, v33
	s_or_b64 exec, exec, s[2:3]
	s_and_saveexec_b64 s[2:3], vcc
	s_cbranch_execz .LBB217_130
.LBB217_166:
	v_mov_b32_e32 v33, 0x410
	v_lshl_add_u32 v33, v32, 2, v33
	ds_read_b32 v33, v33 offset:608
	s_waitcnt lgkmcnt(0)
	v_add_f32_e32 v17, v17, v33
	s_or_b64 exec, exec, s[2:3]
	s_and_saveexec_b64 s[2:3], vcc
	s_cbranch_execz .LBB217_131
.LBB217_167:
	v_mov_b32_e32 v33, 0x410
	v_lshl_add_u32 v33, v32, 2, v33
	ds_read_b32 v33, v33 offset:640
	s_waitcnt lgkmcnt(0)
	v_add_f32_e32 v14, v14, v33
	s_or_b64 exec, exec, s[2:3]
	s_and_saveexec_b64 s[2:3], vcc
	s_cbranch_execz .LBB217_132
.LBB217_168:
	v_mov_b32_e32 v33, 0x410
	v_lshl_add_u32 v33, v32, 2, v33
	ds_read_b32 v33, v33 offset:672
	s_waitcnt lgkmcnt(0)
	v_add_f32_e32 v15, v15, v33
	s_or_b64 exec, exec, s[2:3]
	s_and_saveexec_b64 s[2:3], vcc
	s_cbranch_execz .LBB217_133
.LBB217_169:
	v_mov_b32_e32 v33, 0x410
	v_lshl_add_u32 v33, v32, 2, v33
	ds_read_b32 v33, v33 offset:704
	s_waitcnt lgkmcnt(0)
	v_add_f32_e32 v12, v12, v33
	s_or_b64 exec, exec, s[2:3]
	s_and_saveexec_b64 s[2:3], vcc
	s_cbranch_execz .LBB217_134
.LBB217_170:
	v_mov_b32_e32 v33, 0x410
	v_lshl_add_u32 v33, v32, 2, v33
	ds_read_b32 v33, v33 offset:736
	s_waitcnt lgkmcnt(0)
	v_add_f32_e32 v13, v13, v33
	s_or_b64 exec, exec, s[2:3]
	s_and_saveexec_b64 s[2:3], vcc
	s_cbranch_execz .LBB217_135
.LBB217_171:
	v_mov_b32_e32 v33, 0x410
	v_lshl_add_u32 v33, v32, 2, v33
	ds_read_b32 v33, v33 offset:768
	s_waitcnt lgkmcnt(0)
	v_add_f32_e32 v10, v10, v33
	s_or_b64 exec, exec, s[2:3]
	s_and_saveexec_b64 s[2:3], vcc
	s_cbranch_execz .LBB217_136
.LBB217_172:
	v_mov_b32_e32 v33, 0x410
	v_lshl_add_u32 v33, v32, 2, v33
	ds_read_b32 v33, v33 offset:800
	s_waitcnt lgkmcnt(0)
	v_add_f32_e32 v11, v11, v33
	s_or_b64 exec, exec, s[2:3]
	s_and_saveexec_b64 s[2:3], vcc
	s_cbranch_execz .LBB217_137
.LBB217_173:
	v_mov_b32_e32 v33, 0x410
	v_lshl_add_u32 v33, v32, 2, v33
	ds_read_b32 v33, v33 offset:832
	s_waitcnt lgkmcnt(0)
	v_add_f32_e32 v8, v8, v33
	s_or_b64 exec, exec, s[2:3]
	s_and_saveexec_b64 s[2:3], vcc
	s_cbranch_execz .LBB217_138
.LBB217_174:
	v_mov_b32_e32 v33, 0x410
	v_lshl_add_u32 v33, v32, 2, v33
	ds_read_b32 v33, v33 offset:864
	s_waitcnt lgkmcnt(0)
	v_add_f32_e32 v9, v9, v33
	s_or_b64 exec, exec, s[2:3]
	s_and_saveexec_b64 s[2:3], vcc
	s_cbranch_execz .LBB217_139
.LBB217_175:
	v_mov_b32_e32 v33, 0x410
	v_lshl_add_u32 v33, v32, 2, v33
	ds_read_b32 v33, v33 offset:896
	s_waitcnt lgkmcnt(0)
	v_add_f32_e32 v6, v6, v33
	s_or_b64 exec, exec, s[2:3]
	s_and_saveexec_b64 s[2:3], vcc
	s_cbranch_execz .LBB217_140
.LBB217_176:
	v_mov_b32_e32 v33, 0x410
	v_lshl_add_u32 v33, v32, 2, v33
	ds_read_b32 v33, v33 offset:928
	s_waitcnt lgkmcnt(0)
	v_add_f32_e32 v7, v7, v33
	s_or_b64 exec, exec, s[2:3]
	s_and_saveexec_b64 s[2:3], vcc
	s_cbranch_execz .LBB217_141
.LBB217_177:
	v_mov_b32_e32 v33, 0x410
	v_lshl_add_u32 v33, v32, 2, v33
	ds_read_b32 v33, v33 offset:960
	s_waitcnt lgkmcnt(0)
	v_add_f32_e32 v30, v30, v33
	s_or_b64 exec, exec, s[2:3]
	s_and_saveexec_b64 s[2:3], vcc
	s_cbranch_execnz .LBB217_142
	s_branch .LBB217_143
	.section	.rodata,"a",@progbits
	.p2align	6, 0x0
	.amdhsa_kernel _ZN4vllm25paged_attention_v1_kernelIfhLi256ELi32ELi128ELNS_18Fp8KVCacheDataTypeE1ELb0EEEvPT_PKS2_PKT0_S8_ifPKiSA_iPKfiiiSC_SC_iiiii
		.amdhsa_group_segment_fixed_size 1040
		.amdhsa_private_segment_fixed_size 388
		.amdhsa_kernarg_size 384
		.amdhsa_user_sgpr_count 2
		.amdhsa_user_sgpr_dispatch_ptr 0
		.amdhsa_user_sgpr_queue_ptr 0
		.amdhsa_user_sgpr_kernarg_segment_ptr 1
		.amdhsa_user_sgpr_dispatch_id 0
		.amdhsa_user_sgpr_kernarg_preload_length 0
		.amdhsa_user_sgpr_kernarg_preload_offset 0
		.amdhsa_user_sgpr_private_segment_size 0
		.amdhsa_uses_dynamic_stack 0
		.amdhsa_enable_private_segment 1
		.amdhsa_system_sgpr_workgroup_id_x 1
		.amdhsa_system_sgpr_workgroup_id_y 1
		.amdhsa_system_sgpr_workgroup_id_z 1
		.amdhsa_system_sgpr_workgroup_info 0
		.amdhsa_system_vgpr_workitem_id 0
		.amdhsa_next_free_vgpr 128
		.amdhsa_next_free_sgpr 55
		.amdhsa_accum_offset 128
		.amdhsa_reserve_vcc 1
		.amdhsa_float_round_mode_32 0
		.amdhsa_float_round_mode_16_64 0
		.amdhsa_float_denorm_mode_32 3
		.amdhsa_float_denorm_mode_16_64 3
		.amdhsa_dx10_clamp 1
		.amdhsa_ieee_mode 1
		.amdhsa_fp16_overflow 0
		.amdhsa_tg_split 0
		.amdhsa_exception_fp_ieee_invalid_op 0
		.amdhsa_exception_fp_denorm_src 0
		.amdhsa_exception_fp_ieee_div_zero 0
		.amdhsa_exception_fp_ieee_overflow 0
		.amdhsa_exception_fp_ieee_underflow 0
		.amdhsa_exception_fp_ieee_inexact 0
		.amdhsa_exception_int_div_zero 0
	.end_amdhsa_kernel
	.section	.text._ZN4vllm25paged_attention_v1_kernelIfhLi256ELi32ELi128ELNS_18Fp8KVCacheDataTypeE1ELb0EEEvPT_PKS2_PKT0_S8_ifPKiSA_iPKfiiiSC_SC_iiiii,"axG",@progbits,_ZN4vllm25paged_attention_v1_kernelIfhLi256ELi32ELi128ELNS_18Fp8KVCacheDataTypeE1ELb0EEEvPT_PKS2_PKT0_S8_ifPKiSA_iPKfiiiSC_SC_iiiii,comdat
.Lfunc_end217:
	.size	_ZN4vllm25paged_attention_v1_kernelIfhLi256ELi32ELi128ELNS_18Fp8KVCacheDataTypeE1ELb0EEEvPT_PKS2_PKT0_S8_ifPKiSA_iPKfiiiSC_SC_iiiii, .Lfunc_end217-_ZN4vllm25paged_attention_v1_kernelIfhLi256ELi32ELi128ELNS_18Fp8KVCacheDataTypeE1ELb0EEEvPT_PKS2_PKT0_S8_ifPKiSA_iPKfiiiSC_SC_iiiii
                                        ; -- End function
	.section	.AMDGPU.csdata,"",@progbits
; Kernel info:
; codeLenInByte = 16140
; NumSgprs: 61
; NumVgprs: 128
; NumAgprs: 0
; TotalNumVgprs: 128
; ScratchSize: 388
; MemoryBound: 0
; FloatMode: 240
; IeeeMode: 1
; LDSByteSize: 1040 bytes/workgroup (compile time only)
; SGPRBlocks: 7
; VGPRBlocks: 15
; NumSGPRsForWavesPerEU: 61
; NumVGPRsForWavesPerEU: 128
; AccumOffset: 128
; Occupancy: 4
; WaveLimiterHint : 1
; COMPUTE_PGM_RSRC2:SCRATCH_EN: 1
; COMPUTE_PGM_RSRC2:USER_SGPR: 2
; COMPUTE_PGM_RSRC2:TRAP_HANDLER: 0
; COMPUTE_PGM_RSRC2:TGID_X_EN: 1
; COMPUTE_PGM_RSRC2:TGID_Y_EN: 1
; COMPUTE_PGM_RSRC2:TGID_Z_EN: 1
; COMPUTE_PGM_RSRC2:TIDIG_COMP_CNT: 0
; COMPUTE_PGM_RSRC3_GFX90A:ACCUM_OFFSET: 31
; COMPUTE_PGM_RSRC3_GFX90A:TG_SPLIT: 0
	.section	.text._ZN4vllm25paged_attention_v1_kernelIthLi32ELi8ELi128ELNS_18Fp8KVCacheDataTypeE1ELb1EEEvPT_PKS2_PKT0_S8_ifPKiSA_iPKfiiiSC_SC_iiiii,"axG",@progbits,_ZN4vllm25paged_attention_v1_kernelIthLi32ELi8ELi128ELNS_18Fp8KVCacheDataTypeE1ELb1EEEvPT_PKS2_PKT0_S8_ifPKiSA_iPKfiiiSC_SC_iiiii,comdat
	.protected	_ZN4vllm25paged_attention_v1_kernelIthLi32ELi8ELi128ELNS_18Fp8KVCacheDataTypeE1ELb1EEEvPT_PKS2_PKT0_S8_ifPKiSA_iPKfiiiSC_SC_iiiii ; -- Begin function _ZN4vllm25paged_attention_v1_kernelIthLi32ELi8ELi128ELNS_18Fp8KVCacheDataTypeE1ELb1EEEvPT_PKS2_PKT0_S8_ifPKiSA_iPKfiiiSC_SC_iiiii
	.globl	_ZN4vllm25paged_attention_v1_kernelIthLi32ELi8ELi128ELNS_18Fp8KVCacheDataTypeE1ELb1EEEvPT_PKS2_PKT0_S8_ifPKiSA_iPKfiiiSC_SC_iiiii
	.p2align	8
	.type	_ZN4vllm25paged_attention_v1_kernelIthLi32ELi8ELi128ELNS_18Fp8KVCacheDataTypeE1ELb1EEEvPT_PKS2_PKT0_S8_ifPKiSA_iPKfiiiSC_SC_iiiii,@function
_ZN4vllm25paged_attention_v1_kernelIthLi32ELi8ELi128ELNS_18Fp8KVCacheDataTypeE1ELb1EEEvPT_PKS2_PKT0_S8_ifPKiSA_iPKfiiiSC_SC_iiiii: ; @_ZN4vllm25paged_attention_v1_kernelIthLi32ELi8ELi128ELNS_18Fp8KVCacheDataTypeE1ELb1EEEvPT_PKS2_PKT0_S8_ifPKiSA_iPKfiiiSC_SC_iiiii
; %bb.0:
	s_load_dword s5, s[0:1], 0x80
	s_load_dwordx2 s[6:7], s[0:1], 0x30
	s_load_dwordx2 s[36:37], s[0:1], 0x20
	s_mov_b32 s10, s3
	s_ashr_i32 s11, s3, 31
	s_lshl_b64 s[8:9], s[10:11], 2
	s_waitcnt lgkmcnt(0)
	s_add_u32 s6, s6, s8
	s_addc_u32 s7, s7, s9
	s_abs_i32 s3, s36
	v_cvt_f32_u32_e32 v1, s3
	s_sub_i32 s11, 0, s3
	s_abs_i32 s9, s5
	s_xor_b32 s8, s5, s36
	v_rcp_iflag_f32_e32 v1, v1
	s_ashr_i32 s8, s8, 31
	s_mov_b32 s44, 0
	v_mul_f32_e32 v1, 0x4f7ffffe, v1
	v_cvt_u32_f32_e32 v1, v1
	s_nop 0
	v_readfirstlane_b32 s12, v1
	s_mul_i32 s11, s11, s12
	s_mul_hi_u32 s11, s12, s11
	s_add_i32 s12, s12, s11
	s_mul_hi_u32 s11, s9, s12
	s_mul_i32 s12, s11, s3
	s_sub_i32 s9, s9, s12
	s_add_i32 s12, s11, 1
	s_sub_i32 s13, s9, s3
	s_cmp_ge_u32 s9, s3
	s_cselect_b32 s11, s12, s11
	s_cselect_b32 s9, s13, s9
	s_add_i32 s12, s11, 1
	s_cmp_ge_u32 s9, s3
	s_cselect_b32 s3, s12, s11
	s_xor_b32 s3, s3, s8
	s_sub_i32 s15, s3, s8
	s_abs_i32 s12, s15
	v_cvt_f32_u32_e32 v1, s12
	s_load_dwordx2 s[8:9], s[0:1], 0x40
	s_sub_i32 s3, 0, s12
	s_abs_i32 s13, s2
	v_rcp_iflag_f32_e32 v1, v1
	s_nop 0
	v_mul_f32_e32 v1, 0x4f7ffffe, v1
	v_cvt_u32_f32_e32 v1, v1
	s_nop 0
	v_readfirstlane_b32 s11, v1
	s_mul_i32 s3, s3, s11
	s_mul_hi_u32 s3, s11, s3
	s_add_i32 s11, s11, s3
	s_waitcnt lgkmcnt(0)
	s_cmp_eq_u64 s[8:9], 0
	s_mul_hi_u32 s14, s13, s11
	s_cbranch_scc1 .LBB218_2
; %bb.1:
	s_ashr_i32 s3, s2, 31
	s_lshl_b64 s[16:17], s[2:3], 2
	s_add_u32 s8, s8, s16
	s_addc_u32 s9, s9, s17
	s_load_dword s44, s[8:9], 0x0
.LBB218_2:
	s_load_dword s11, s[6:7], 0x0
	s_load_dwordx4 s[16:19], s[0:1], 0x48
	s_ashr_i32 s8, s2, 31
	s_ashr_i32 s9, s15, 31
	v_and_b32_e32 v2, 7, v0
	s_lshl_b32 s24, s2, 5
	v_cmp_gt_u32_e32 vcc, 32, v0
	s_and_saveexec_b64 s[6:7], vcc
	s_cbranch_execz .LBB218_4
; %bb.3:
	s_load_dwordx2 s[20:21], s[0:1], 0x8
	s_waitcnt lgkmcnt(0)
	s_mul_i32 s22, s10, s16
	s_ashr_i32 s23, s22, 31
	s_lshl_b64 s[22:23], s[22:23], 1
	v_lshlrev_b32_e32 v1, 1, v0
	s_add_u32 s3, s20, s22
	s_addc_u32 s15, s21, s23
	s_ashr_i32 s25, s24, 31
	s_lshl_b64 s[20:21], s[24:25], 1
	s_add_u32 s20, s3, s20
	s_addc_u32 s21, s15, s21
	global_load_ushort v1, v1, s[20:21]
	v_lshrrev_b32_e32 v3, 2, v0
	v_and_b32_e32 v3, 0xfe, v3
	v_lshl_add_u32 v3, v2, 3, v3
	s_waitcnt vmcnt(0)
	ds_write_b16 v3, v1
.LBB218_4:
	s_or_b64 exec, exec, s[6:7]
	s_mul_i32 s7, s14, s12
	s_sub_i32 s7, s13, s7
	s_xor_b32 s6, s8, s9
	s_add_i32 s8, s14, 1
	s_sub_i32 s9, s7, s12
	s_load_dwordx4 s[20:23], s[0:1], 0x68
	s_load_dword s3, s[0:1], 0x78
	s_cmp_ge_u32 s7, s12
	s_cselect_b32 s8, s8, s14
	s_cselect_b32 s7, s9, s7
	s_add_i32 s9, s8, 1
	s_cmp_ge_u32 s7, s12
	s_cselect_b32 s7, s9, s8
	s_waitcnt lgkmcnt(0)
	s_abs_i32 s25, s23
	v_cvt_f32_u32_e32 v1, s25
	s_xor_b32 s7, s7, s6
	s_sub_i32 s8, s7, s6
	s_sub_i32 s6, 0, s25
	v_rcp_iflag_f32_e32 v1, v1
	s_add_i32 s12, s11, -1
	s_abs_i32 s9, s12
	v_mul_f32_e32 v1, 0x4f7ffffe, v1
	v_cvt_u32_f32_e32 v1, v1
	s_barrier
	v_readfirstlane_b32 s33, v1
	s_mul_i32 s6, s6, s33
	s_mul_hi_u32 s6, s33, s6
	s_add_i32 s33, s33, s6
	s_cmp_lt_i32 s3, 0
	s_mul_hi_u32 s16, s9, s33
	s_cbranch_scc0 .LBB218_6
; %bb.5:
	s_mul_i32 s6, s20, s36
	s_add_i32 s6, s8, s6
	s_mul_i32 s6, s6, s3
	s_sub_i32 s36, 1, s6
	s_mov_b64 s[6:7], 0
	s_branch .LBB218_7
.LBB218_6:
	s_mov_b64 s[6:7], -1
                                        ; implicit-def: $sgpr36
.LBB218_7:
	s_load_dwordx2 s[28:29], s[0:1], 0x28
	s_ashr_i32 s19, s12, 31
	s_andn2_b64 vcc, exec, s[6:7]
	s_ashr_i32 s42, s23, 31
	s_cbranch_vccnz .LBB218_9
; %bb.8:
	s_mul_i32 s6, s5, s20
	s_add_i32 s2, s6, s2
	s_mul_i32 s2, s2, s3
	s_add_i32 s36, s2, 1
.LBB218_9:
	s_load_dword s2, s[0:1], 0x38
	s_load_dwordx2 s[26:27], s[0:1], 0x0
	s_load_dwordx2 s[34:35], s[0:1], 0x18
	s_load_dword s23, s[0:1], 0x88
	s_load_dwordx4 s[12:15], s[0:1], 0x58
	s_mul_i32 s3, s16, s25
	s_waitcnt lgkmcnt(0)
	s_mul_i32 s30, s10, s2
	s_sub_i32 s3, s9, s3
	s_ashr_i32 s31, s30, 31
	s_xor_b32 s2, s19, s42
	s_add_i32 s6, s16, 1
	s_sub_i32 s7, s3, s25
	s_cmp_ge_u32 s3, s25
	s_cselect_b32 s6, s6, s16
	s_cselect_b32 s3, s7, s3
	s_add_i32 s7, s6, 1
	s_cmp_ge_u32 s3, s25
	s_cselect_b32 s3, s7, s6
	s_xor_b32 s3, s3, s2
	s_sub_i32 s16, s3, s2
	s_add_i32 s2, s11, 7
	s_ashr_i32 s3, s2, 31
	s_lshr_b32 s3, s3, 29
	s_add_i32 s2, s2, s3
	s_ashr_i32 s43, s2, 3
	v_lshrrev_b32_e32 v1, 6, v0
	v_cmp_gt_i32_e64 s[2:3], s43, v1
	v_mov_b32_e32 v13, 0xff7fffff
	s_mul_i32 s20, s8, s18
	v_lshrrev_b32_e32 v8, 4, v0
	v_lshlrev_b32_e32 v9, 3, v1
	v_mbcnt_lo_u32_b32 v10, -1, 0
	s_and_saveexec_b64 s[18:19], s[2:3]
	s_cbranch_execz .LBB218_19
; %bb.10:
	s_load_dwordx2 s[0:1], s[0:1], 0x10
	s_sub_i32 s45, s16, s21
	s_ashr_i32 s7, s20, 31
	v_bfe_u32 v11, v0, 3, 3
	v_mov_b32_e32 v3, 0
	s_waitcnt lgkmcnt(0)
	s_add_u32 s6, s0, s20
	s_addc_u32 s7, s1, s7
	s_abs_i32 s46, s22
	v_cvt_f32_u32_e32 v4, s46
	v_lshlrev_b32_e32 v13, 2, v11
	v_lshl_or_b32 v13, v1, 5, v13
	v_add_u32_e32 v16, 0x50, v13
	v_rcp_iflag_f32_e32 v5, v4
	v_lshlrev_b32_e32 v4, 4, v11
	v_subrev_u32_e32 v13, s11, v11
	v_mbcnt_hi_u32_b32 v19, -1, v10
	v_mul_f32_e32 v5, 0x4f7ffffe, v5
	v_cvt_u32_f32_e32 v6, v5
	v_mov_b32_e32 v5, v3
	v_lshl_add_u64 v[4:5], s[6:7], 0, v[4:5]
	s_sub_i32 s6, 0, s46
	v_mul_lo_u32 v7, s6, v6
	s_lshl_b64 s[6:7], s[30:31], 2
	v_mul_hi_u32 v7, v6, v7
	s_add_u32 s6, s28, s6
	v_add_u32_e32 v14, v6, v7
	v_and_b32_e32 v6, 60, v8
	v_mov_b32_e32 v7, v3
	s_addc_u32 s7, s29, s7
	v_add_u32_e32 v17, 1, v13
	v_and_b32_e32 v13, 64, v19
	v_cmp_eq_u32_e32 vcc, 0, v2
	s_mov_b32 s47, s17
	v_lshlrev_b32_e32 v12, 3, v2
	v_cmp_neq_f32_e64 s[0:1], s44, 0
	v_lshl_add_u64 v[6:7], s[6:7], 0, v[6:7]
	v_lshlrev_b32_e32 v15, 3, v1
	s_mov_b64 s[38:39], 0
	v_mov_b32_e32 v18, 0xff7fffff
	v_add_u32_e32 v20, 64, v13
	v_xor_b32_e32 v21, 4, v19
	v_xor_b32_e32 v22, 2, v19
	v_xor_b32_e32 v23, 1, v19
	v_mov_b32_e32 v13, 0xff7fffff
	v_mov_b32_e32 v24, v1
	s_branch .LBB218_13
.LBB218_11:                             ;   in Loop: Header=BB218_13 Depth=1
	s_or_b64 exec, exec, s[40:41]
.LBB218_12:                             ;   in Loop: Header=BB218_13 Depth=1
	s_or_b64 exec, exec, s[8:9]
	v_add_u32_e32 v24, 2, v24
	v_cmp_le_i32_e64 s[6:7], s43, v24
	v_lshl_add_u64 v[6:7], v[6:7], 0, 8
	v_add_u32_e32 v15, 16, v15
	s_or_b64 s[38:39], s[6:7], s[38:39]
	v_add_u32_e32 v16, 64, v16
	s_andn2_b64 exec, exec, s[38:39]
	s_cbranch_execz .LBB218_18
.LBB218_13:                             ; =>This Inner Loop Header: Depth=1
	v_mul_hi_u32 v25, v15, s33
	s_waitcnt lgkmcnt(0)
	v_mul_lo_u32 v26, v25, s25
	v_sub_u32_e32 v26, v15, v26
	v_add_u32_e32 v27, 1, v25
	v_cmp_le_u32_e64 s[6:7], s25, v26
	s_nop 1
	v_cndmask_b32_e64 v25, v25, v27, s[6:7]
	v_subrev_u32_e32 v27, s25, v26
	v_cndmask_b32_e64 v26, v26, v27, s[6:7]
	v_add_u32_e32 v27, 1, v25
	v_cmp_le_u32_e64 s[6:7], s25, v26
	s_nop 1
	v_cndmask_b32_e64 v25, v25, v27, s[6:7]
	v_xor_b32_e32 v25, s42, v25
	v_subrev_u32_e32 v25, s42, v25
	v_add_u32_e32 v26, s36, v25
	v_sub_u32_e32 v28, 0, v26
	v_ashrrev_i32_e32 v27, 31, v26
	v_max_i32_e32 v26, v26, v28
	v_mul_hi_u32 v28, v26, v14
	v_mul_lo_u32 v28, v28, s46
	v_sub_u32_e32 v26, v26, v28
	v_subrev_u32_e32 v28, s46, v26
	v_cmp_le_u32_e64 s[6:7], s46, v26
	v_cmp_ge_i32_e64 s[8:9], s45, v25
	s_nop 0
	v_cndmask_b32_e64 v26, v26, v28, s[6:7]
	v_subrev_u32_e32 v28, s46, v26
	v_cmp_le_u32_e64 s[6:7], s46, v26
	s_nop 1
	v_cndmask_b32_e64 v26, v26, v28, s[6:7]
	v_xor_b32_e32 v26, v26, v27
	v_sub_u32_e32 v26, v26, v27
	v_cmp_ne_u32_e64 s[6:7], 0, v26
	s_and_b64 s[6:7], s[6:7], s[8:9]
	s_and_b64 s[40:41], vcc, s[6:7]
	s_and_saveexec_b64 s[8:9], s[40:41]
	s_cbranch_execz .LBB218_15
; %bb.14:                               ;   in Loop: Header=BB218_13 Depth=1
	ds_write_b32 v16, v18
.LBB218_15:                             ;   in Loop: Header=BB218_13 Depth=1
	s_or_b64 exec, exec, s[8:9]
	s_xor_b64 s[6:7], s[6:7], -1
	s_and_saveexec_b64 s[8:9], s[6:7]
	s_cbranch_execz .LBB218_12
; %bb.16:                               ;   in Loop: Header=BB218_13 Depth=1
	global_load_dword v25, v[6:7], off
	s_waitcnt vmcnt(0)
	v_mad_i64_i32 v[26:27], s[6:7], v25, s47, v[4:5]
	v_lshl_add_u64 v[26:27], v[26:27], 0, v[2:3]
	global_load_ubyte v25, v[26:27], off
	global_load_ubyte v28, v[26:27], off offset:8
	global_load_dword v29, v3, s[12:13]
	global_load_ubyte v30, v[26:27], off offset:128
	global_load_ubyte v31, v[26:27], off offset:136
	ds_read_u16 v26, v12
	s_waitcnt lgkmcnt(0)
	;;#ASMSTART
	v_cvt_f32_f16 v26, v26;
	;;#ASMEND
	v_cmp_lt_i32_e64 s[6:7], v21, v20
	s_waitcnt vmcnt(4)
	v_cvt_f32_fp8_sdwa v25, v25 src0_sel:BYTE_0
	s_waitcnt vmcnt(3)
	v_cvt_f32_fp8_sdwa v28, v28 src0_sel:BYTE_0
	v_cndmask_b32_e64 v27, v19, v21, s[6:7]
	s_waitcnt vmcnt(1)
	v_cvt_f32_fp8_sdwa v30, v30 src0_sel:BYTE_0
	v_fma_mixlo_f16 v25, v29, v25, 0
	v_and_b32_e32 v25, 0xffff, v25
	v_fma_mixlo_f16 v28, v29, v28, 0
	;;#ASMSTART
	v_cvt_f32_f16 v25, v25;
	;;#ASMEND
	ds_read_u16 v32, v12 offset:2
	s_waitcnt vmcnt(0)
	v_cvt_f32_fp8_sdwa v31, v31 src0_sel:BYTE_0
	v_and_b32_e32 v28, 0xffff, v28
	s_waitcnt lgkmcnt(0)
	;;#ASMSTART
	v_cvt_f32_f16 v32, v32;
	;;#ASMEND
	;;#ASMSTART
	v_cvt_f32_f16 v28, v28;
	;;#ASMEND
	v_fma_mixlo_f16 v30, v29, v30, 0
	v_mul_f32_e32 v28, v32, v28
	v_and_b32_e32 v30, 0xffff, v30
	v_fmac_f32_e32 v28, v26, v25
	ds_read_u16 v33, v12 offset:4
	v_fma_mixlo_f16 v29, v29, v31, 0
	s_waitcnt lgkmcnt(0)
	;;#ASMSTART
	v_cvt_f32_f16 v31, v33;
	;;#ASMEND
	;;#ASMSTART
	v_cvt_f32_f16 v30, v30;
	;;#ASMEND
	v_lshlrev_b32_e32 v27, 2, v27
	v_fmac_f32_e32 v28, v31, v30
	ds_read_u16 v33, v12 offset:6
	v_and_b32_e32 v29, 0xffff, v29
	s_waitcnt lgkmcnt(0)
	;;#ASMSTART
	v_cvt_f32_f16 v25, v33;
	;;#ASMEND
	;;#ASMSTART
	v_cvt_f32_f16 v26, v29;
	;;#ASMEND
	v_cmp_lt_i32_e64 s[6:7], v22, v20
	v_fmac_f32_e32 v28, v25, v26
	ds_bpermute_b32 v25, v27, v28
	v_cndmask_b32_e64 v26, v19, v22, s[6:7]
	v_lshlrev_b32_e32 v26, 2, v26
	v_cmp_lt_i32_e64 s[6:7], v23, v20
	s_waitcnt lgkmcnt(0)
	v_add_f32_e32 v25, v28, v25
	ds_bpermute_b32 v26, v26, v25
	v_cndmask_b32_e64 v27, v19, v23, s[6:7]
	s_waitcnt lgkmcnt(0)
	v_add_f32_e32 v25, v25, v26
	v_lshlrev_b32_e32 v26, 2, v27
	ds_bpermute_b32 v26, v26, v25
	s_and_saveexec_b64 s[40:41], vcc
	s_cbranch_execz .LBB218_11
; %bb.17:                               ;   in Loop: Header=BB218_13 Depth=1
	v_add_u32_e32 v27, v17, v15
	v_cvt_f32_i32_e32 v27, v27
	s_waitcnt lgkmcnt(0)
	v_add_f32_e32 v25, v25, v26
	v_add_u32_e32 v28, v11, v15
	v_cmp_gt_i32_e64 s[6:7], s11, v28
	v_mul_f32_e32 v26, s44, v27
	v_cndmask_b32_e64 v26, 0, v26, s[0:1]
	v_fmac_f32_e32 v26, s37, v25
	v_cndmask_b32_e64 v25, 0, v26, s[6:7]
	ds_write_b32 v16, v25
	v_max_f32_e32 v25, v13, v13
	v_max_f32_e32 v25, v25, v26
	v_cndmask_b32_e64 v13, v13, v25, s[6:7]
	s_branch .LBB218_11
.LBB218_18:
	s_or_b64 exec, exec, s[38:39]
.LBB218_19:
	s_or_b64 exec, exec, s[18:19]
	v_mbcnt_hi_u32_b32 v2, -1, v10
	v_and_b32_e32 v3, 64, v2
	v_add_u32_e32 v3, 64, v3
	v_xor_b32_e32 v4, 32, v2
	v_cmp_lt_i32_e32 vcc, v4, v3
	v_xor_b32_e32 v7, 16, v2
	v_max_f32_e32 v6, v13, v13
	v_cndmask_b32_e32 v4, v2, v4, vcc
	v_lshlrev_b32_e32 v5, 2, v4
	ds_bpermute_b32 v4, v5, v13
	v_cmp_lt_i32_e32 vcc, v7, v3
	v_xor_b32_e32 v10, 8, v2
	v_and_b32_e32 v16, 63, v0
	s_waitcnt lgkmcnt(0)
	v_max_f32_e32 v4, v4, v4
	v_max_f32_e32 v4, v6, v4
	v_cndmask_b32_e32 v6, v2, v7, vcc
	v_lshlrev_b32_e32 v7, 2, v6
	ds_bpermute_b32 v6, v7, v4
	v_cmp_lt_i32_e32 vcc, v10, v3
	s_waitcnt lgkmcnt(0)
	v_max_f32_e32 v6, v6, v6
	v_max_f32_e32 v6, v4, v6
	v_cndmask_b32_e32 v4, v2, v10, vcc
	v_lshlrev_b32_e32 v11, 2, v4
	ds_bpermute_b32 v10, v11, v6
	v_cmp_eq_u32_e32 vcc, 0, v16
	v_lshlrev_b32_e32 v4, 2, v1
	s_and_saveexec_b64 s[0:1], vcc
	s_cbranch_execz .LBB218_21
; %bb.20:
	s_waitcnt lgkmcnt(0)
	v_max_f32_e32 v10, v10, v10
	v_max_f32_e32 v6, v6, v6
	;; [unrolled: 1-line block ×3, first 2 shown]
	ds_write_b32 v4, v6 offset:64
.LBB218_21:
	s_or_b64 exec, exec, s[0:1]
	v_cmp_gt_u32_e64 s[0:1], 2, v16
	v_mov_b32_e32 v12, 0xff7fffff
	v_lshlrev_b32_e32 v6, 2, v16
	s_waitcnt lgkmcnt(0)
	s_barrier
	s_and_saveexec_b64 s[6:7], s[0:1]
	s_cbranch_execz .LBB218_23
; %bb.22:
	ds_read_b32 v12, v6 offset:64
.LBB218_23:
	s_or_b64 exec, exec, s[6:7]
	v_xor_b32_e32 v10, 1, v2
	v_cmp_lt_i32_e64 s[6:7], v10, v3
	v_lshlrev_b32_e32 v14, 2, v2
	s_nop 0
	v_cndmask_b32_e64 v10, v2, v10, s[6:7]
	v_lshlrev_b32_e32 v10, 2, v10
	s_waitcnt lgkmcnt(0)
	ds_bpermute_b32 v13, v10, v12
	v_max_f32_e32 v12, v12, v12
	s_lshl_b32 s6, s43, 3
	s_min_i32 s37, s6, s11
	v_cmp_gt_i32_e64 s[6:7], s37, v0
	s_waitcnt lgkmcnt(0)
	v_max_f32_e32 v13, v13, v13
	v_max_f32_e32 v13, v12, v13
	v_and_b32_e32 v12, 0x100, v14
	ds_bpermute_b32 v14, v12, v13
	v_mov_b32_e32 v13, 0
	s_and_saveexec_b64 s[12:13], s[6:7]
	s_cbranch_execz .LBB218_27
; %bb.24:
	v_mov_b32_e32 v13, 0x50
	v_lshl_add_u32 v15, v0, 2, v13
	s_mov_b64 s[18:19], 0
	v_mov_b32_e32 v13, 0
	v_mov_b32_e32 v17, v0
.LBB218_25:                             ; =>This Inner Loop Header: Depth=1
	ds_read_b32 v18, v15
	v_add_u32_e32 v17, 0x80, v17
	v_cmp_le_i32_e64 s[8:9], s37, v17
	s_or_b64 s[18:19], s[8:9], s[18:19]
	s_waitcnt lgkmcnt(0)
	v_sub_f32_e32 v18, v18, v14
	v_mul_f32_e32 v18, 0x3fb8aa3b, v18
	v_exp_f32_e32 v18, v18
	ds_write_b32 v15, v18
	v_add_f32_e32 v13, v13, v18
	v_add_u32_e32 v15, 0x200, v15
	s_andn2_b64 exec, exec, s[18:19]
	s_cbranch_execnz .LBB218_25
; %bb.26:
	s_or_b64 exec, exec, s[18:19]
.LBB218_27:
	s_or_b64 exec, exec, s[12:13]
	ds_bpermute_b32 v5, v5, v13
	s_waitcnt lgkmcnt(0)
	v_add_f32_e32 v5, v13, v5
	ds_bpermute_b32 v7, v7, v5
	s_waitcnt lgkmcnt(0)
	v_add_f32_e32 v5, v5, v7
	ds_bpermute_b32 v7, v11, v5
	v_xor_b32_e32 v11, 4, v2
	v_cmp_lt_i32_e64 s[8:9], v11, v3
	s_waitcnt lgkmcnt(0)
	v_add_f32_e32 v5, v5, v7
	v_cndmask_b32_e64 v11, v2, v11, s[8:9]
	v_lshlrev_b32_e32 v11, 2, v11
	ds_bpermute_b32 v7, v11, v5
	v_xor_b32_e32 v11, 2, v2
	v_cmp_lt_i32_e64 s[8:9], v11, v3
	s_waitcnt lgkmcnt(0)
	v_add_f32_e32 v3, v5, v7
	v_cndmask_b32_e64 v2, v2, v11, s[8:9]
	v_lshlrev_b32_e32 v2, 2, v2
	ds_bpermute_b32 v2, v2, v3
	s_waitcnt lgkmcnt(0)
	v_add_f32_e32 v2, v3, v2
	ds_bpermute_b32 v3, v10, v2
	s_waitcnt lgkmcnt(0)
	v_add_f32_e32 v2, v2, v3
	s_and_saveexec_b64 s[8:9], vcc
	s_cbranch_execz .LBB218_29
; %bb.28:
	ds_write_b32 v4, v2 offset:72
.LBB218_29:
	s_or_b64 exec, exec, s[8:9]
	s_waitcnt lgkmcnt(0)
	s_barrier
	s_and_saveexec_b64 s[8:9], s[0:1]
	s_cbranch_execz .LBB218_31
; %bb.30:
	ds_read_b32 v2, v6 offset:72
.LBB218_31:
	s_or_b64 exec, exec, s[8:9]
	s_waitcnt lgkmcnt(0)
	ds_bpermute_b32 v3, v10, v2
	s_waitcnt lgkmcnt(0)
	v_add_f32_e32 v2, v2, v3
	ds_bpermute_b32 v2, v12, v2
	s_and_saveexec_b64 s[0:1], s[6:7]
	s_cbranch_execz .LBB218_44
; %bb.32:
	s_waitcnt lgkmcnt(0)
	v_add_f32_e32 v2, 0x358637bd, v2
	v_div_scale_f32 v3, s[6:7], v2, v2, 1.0
	v_rcp_f32_e32 v4, v3
	v_div_scale_f32 v5, vcc, 1.0, v2, 1.0
	s_movk_i32 s6, 0x7f
	v_fma_f32 v6, -v3, v4, 1.0
	v_fmac_f32_e32 v4, v6, v4
	v_mul_f32_e32 v6, v5, v4
	v_fma_f32 v7, -v3, v6, v5
	v_fmac_f32_e32 v6, v7, v4
	v_fma_f32 v3, -v3, v6, v5
	v_div_fmas_f32 v3, v3, v4, v6
	v_xad_u32 v4, v0, -1, s37
	v_div_fixup_f32 v2, v3, v2, 1.0
	v_cmp_lt_u32_e32 vcc, s6, v4
	s_mov_b64 s[8:9], -1
	v_mov_b32_e32 v3, v0
	s_and_saveexec_b64 s[6:7], vcc
	s_cbranch_execz .LBB218_41
; %bb.33:
	v_lshrrev_b32_e32 v4, 7, v4
	v_add_u32_e32 v6, -1, v4
	v_lshrrev_b32_e32 v5, 1, v6
	v_mov_b32_e32 v3, v2
	v_add_u32_e32 v5, 1, v5
	v_cmp_lt_u32_e32 vcc, 13, v6
	v_mov_b32_e32 v10, 0
	s_and_saveexec_b64 s[8:9], vcc
	s_cbranch_execz .LBB218_37
; %bb.34:
	v_mov_b32_e32 v7, 0x50
	v_and_b32_e32 v6, -8, v5
	v_lshl_add_u32 v7, v0, 2, v7
	s_mov_b32 s18, 0
	s_mov_b64 s[12:13], 0
.LBB218_35:                             ; =>This Inner Loop Header: Depth=1
	ds_read2st64_b32 v[10:11], v7 offset1:2
	ds_read2st64_b32 v[12:13], v7 offset0:4 offset1:6
	ds_read2st64_b32 v[14:15], v7 offset0:8 offset1:10
	;; [unrolled: 1-line block ×3, first 2 shown]
	v_add_u32_e32 v6, -8, v6
	s_waitcnt lgkmcnt(3)
	v_pk_mul_f32 v[10:11], v[2:3], v[10:11]
	s_waitcnt lgkmcnt(2)
	v_pk_mul_f32 v[12:13], v[2:3], v[12:13]
	ds_write2st64_b32 v7, v10, v11 offset1:2
	ds_write2st64_b32 v7, v12, v13 offset0:4 offset1:6
	ds_read2st64_b32 v[12:13], v7 offset0:16 offset1:18
	s_waitcnt lgkmcnt(4)
	v_pk_mul_f32 v[10:11], v[2:3], v[14:15]
	ds_write2st64_b32 v7, v10, v11 offset0:8 offset1:10
	s_waitcnt lgkmcnt(4)
	v_pk_mul_f32 v[10:11], v[2:3], v[18:19]
	ds_write2st64_b32 v7, v10, v11 offset0:12 offset1:14
	ds_read2st64_b32 v[10:11], v7 offset0:20 offset1:22
	s_waitcnt lgkmcnt(3)
	v_pk_mul_f32 v[12:13], v[2:3], v[12:13]
	ds_read2st64_b32 v[14:15], v7 offset0:24 offset1:26
	ds_write2st64_b32 v7, v12, v13 offset0:16 offset1:18
	ds_read2st64_b32 v[12:13], v7 offset0:28 offset1:30
	s_waitcnt lgkmcnt(3)
	v_pk_mul_f32 v[10:11], v[2:3], v[10:11]
	ds_write2st64_b32 v7, v10, v11 offset0:20 offset1:22
	s_waitcnt lgkmcnt(3)
	v_pk_mul_f32 v[10:11], v[2:3], v[14:15]
	ds_write2st64_b32 v7, v10, v11 offset0:24 offset1:26
	s_waitcnt lgkmcnt(2)
	v_pk_mul_f32 v[10:11], v[2:3], v[12:13]
	s_add_i32 s18, s18, 16
	v_cmp_eq_u32_e32 vcc, 0, v6
	ds_write2st64_b32 v7, v10, v11 offset0:28 offset1:30
	v_add_u32_e32 v7, 0x2000, v7
	s_or_b64 s[12:13], vcc, s[12:13]
	v_mov_b32_e32 v10, s18
	s_andn2_b64 exec, exec, s[12:13]
	s_cbranch_execnz .LBB218_35
; %bb.36:
	s_or_b64 exec, exec, s[12:13]
.LBB218_37:
	s_or_b64 exec, exec, s[8:9]
	v_and_b32_e32 v5, 7, v5
	v_cmp_ne_u32_e32 vcc, 0, v5
	s_and_saveexec_b64 s[8:9], vcc
	s_cbranch_execz .LBB218_40
; %bb.38:
	v_lshlrev_b32_e32 v6, 9, v10
	v_lshlrev_b32_e32 v7, 2, v0
	s_movk_i32 s12, 0x50
	v_add3_u32 v6, v6, v7, s12
	s_mov_b64 s[12:13], 0
.LBB218_39:                             ; =>This Inner Loop Header: Depth=1
	ds_read2st64_b32 v[10:11], v6 offset1:2
	v_add_u32_e32 v5, -1, v5
	v_cmp_eq_u32_e32 vcc, 0, v5
	s_or_b64 s[12:13], vcc, s[12:13]
	s_waitcnt lgkmcnt(0)
	v_pk_mul_f32 v[10:11], v[2:3], v[10:11]
	ds_write2st64_b32 v6, v10, v11 offset1:2
	v_add_u32_e32 v6, 0x400, v6
	s_andn2_b64 exec, exec, s[12:13]
	s_cbranch_execnz .LBB218_39
.LBB218_40:
	s_or_b64 exec, exec, s[8:9]
	v_add_u32_e32 v4, 1, v4
	v_and_b32_e32 v5, 0x3fffffe, v4
	v_cmp_ne_u32_e32 vcc, v4, v5
	v_lshl_add_u32 v3, v5, 7, v0
	s_orn2_b64 s[8:9], vcc, exec
.LBB218_41:
	s_or_b64 exec, exec, s[6:7]
	s_and_b64 exec, exec, s[8:9]
	s_cbranch_execz .LBB218_44
; %bb.42:
	v_mov_b32_e32 v4, 0x50
	v_lshl_add_u32 v4, v3, 2, v4
	s_mov_b64 s[6:7], 0
.LBB218_43:                             ; =>This Inner Loop Header: Depth=1
	ds_read_b32 v5, v4
	v_add_u32_e32 v3, 0x80, v3
	v_cmp_le_i32_e32 vcc, s37, v3
	s_or_b64 s[6:7], vcc, s[6:7]
	s_waitcnt lgkmcnt(0)
	v_mul_f32_e32 v5, v2, v5
	ds_write_b32 v4, v5
	v_add_u32_e32 v4, 0x200, v4
	s_andn2_b64 exec, exec, s[6:7]
	s_cbranch_execnz .LBB218_43
.LBB218_44:
	s_or_b64 exec, exec, s[0:1]
	v_mov_b32_e32 v17, 0
	s_waitcnt lgkmcnt(0)
	s_barrier
	s_and_saveexec_b64 s[6:7], s[2:3]
	s_cbranch_execz .LBB218_118
; %bb.45:
	s_sub_i32 s37, s16, s21
	s_ashr_i32 s1, s20, 31
	s_add_u32 s0, s34, s20
	s_addc_u32 s1, s35, s1
	s_abs_i32 s22, s22
	v_cvt_f32_u32_e32 v2, s22
	v_mov_b32_e32 v3, 0
	s_add_i32 s35, s43, -1
	v_cmp_gt_u32_e32 vcc, 32, v16
	v_rcp_iflag_f32_e32 v6, v2
	v_lshlrev_b32_e32 v2, 3, v16
	v_lshl_add_u64 v[4:5], s[0:1], 0, v[2:3]
	s_sub_i32 s0, 0, s22
	v_mul_f32_e32 v2, 0x4f7ffffe, v6
	v_cvt_u32_f32_e32 v2, v2
	s_mov_b32 s34, s17
	s_mov_b32 s38, s11
	s_mov_b64 s[8:9], 0
	v_mul_lo_u32 v6, s0, v2
	s_lshl_b64 s[0:1], s[30:31], 2
	v_mul_hi_u32 v6, v2, v6
	s_add_u32 s0, s28, s0
	v_add_u32_e32 v18, v2, v6
	v_and_b32_e32 v2, 60, v8
	s_addc_u32 s1, s29, s1
	v_lshl_add_u64 v[6:7], s[0:1], 0, v[2:3]
	v_mov_b32_e32 v2, 0x50
	v_lshl_add_u32 v19, v1, 5, v2
	s_movk_i32 s28, 0x7f
	s_movk_i32 s29, 0x80
	s_mov_b32 s30, 0x8000
	s_movk_i32 s31, 0x380
	s_mov_b32 s39, 0x3020706
	s_mov_b32 s40, 0x1000504
	;; [unrolled: 1-line block ×3, first 2 shown]
	v_mov_b32_e32 v20, 0x1c00
	v_mov_b32_e32 v17, 0
	s_branch .LBB218_49
.LBB218_46:                             ;   in Loop: Header=BB218_49 Depth=1
	s_or_b64 exec, exec, s[16:17]
	v_and_b32_e32 v12, 0xffff, v21
	v_and_b32_e32 v13, 0xffff, v23
	v_lshl_or_b32 v12, v22, 16, v12
	v_lshl_or_b32 v13, v24, 16, v13
	v_and_b32_e32 v14, 0xffff, v25
	v_and_b32_e32 v15, 0xffff, v27
	;;#ASMSTART
	v_pk_mul_f16 v11, v12, v11;

	;;#ASMEND
	;;#ASMSTART
	v_pk_mul_f16 v2, v13, v2;

	;;#ASMEND
	v_lshl_or_b32 v14, v26, 16, v14
	v_lshl_or_b32 v15, v28, 16, v15
	;;#ASMSTART
	v_pk_mul_f16 v10, v14, v10;

	;;#ASMEND
	;;#ASMSTART
	v_pk_mul_f16 v8, v15, v8;

	;;#ASMEND
	;;#ASMSTART
	v_pk_add_f16 v2, v11, v2;

	;;#ASMEND
	s_nop 0
	;;#ASMSTART
	v_pk_add_f16 v2, v2, v10;

	;;#ASMEND
	s_nop 0
	;; [unrolled: 5-line block ×3, first 2 shown]
	v_lshrrev_b32_e32 v8, 16, v2
	v_and_b32_e32 v2, 0xffff, v2
	;;#ASMSTART
	v_cvt_f32_f16 v2, v2;
	;;#ASMEND
	;;#ASMSTART
	v_cvt_f32_f16 v8, v8;
	;;#ASMEND
	s_nop 0
	v_add_f32_e32 v2, v2, v8
	v_add_f32_e32 v17, v17, v2
.LBB218_47:                             ;   in Loop: Header=BB218_49 Depth=1
	s_or_b64 exec, exec, s[12:13]
.LBB218_48:                             ;   in Loop: Header=BB218_49 Depth=1
	s_or_b64 exec, exec, s[2:3]
	v_add_u32_e32 v1, 2, v1
	v_cmp_le_i32_e64 s[0:1], s43, v1
	v_lshl_add_u64 v[6:7], v[6:7], 0, 8
	v_add_u32_e32 v9, 16, v9
	s_or_b64 s[8:9], s[0:1], s[8:9]
	v_add_u32_e32 v19, 64, v19
	s_andn2_b64 exec, exec, s[8:9]
	s_cbranch_execz .LBB218_117
.LBB218_49:                             ; =>This Inner Loop Header: Depth=1
	v_mul_hi_u32 v2, v9, s33
	v_mul_lo_u32 v8, v2, s25
	v_sub_u32_e32 v8, v9, v8
	v_add_u32_e32 v10, 1, v2
	v_cmp_le_u32_e64 s[0:1], s25, v8
	s_nop 1
	v_cndmask_b32_e64 v2, v2, v10, s[0:1]
	v_subrev_u32_e32 v10, s25, v8
	v_cndmask_b32_e64 v8, v8, v10, s[0:1]
	v_add_u32_e32 v10, 1, v2
	v_cmp_le_u32_e64 s[0:1], s25, v8
	s_nop 1
	v_cndmask_b32_e64 v2, v2, v10, s[0:1]
	v_xor_b32_e32 v2, s42, v2
	v_subrev_u32_e32 v2, s42, v2
	v_add_u32_e32 v8, s36, v2
	v_sub_u32_e32 v11, 0, v8
	v_ashrrev_i32_e32 v10, 31, v8
	v_max_i32_e32 v8, v8, v11
	v_mul_hi_u32 v11, v8, v18
	v_mul_lo_u32 v11, v11, s22
	v_sub_u32_e32 v8, v8, v11
	v_subrev_u32_e32 v11, s22, v8
	v_cmp_le_u32_e64 s[0:1], s22, v8
	v_cmp_lt_i32_e64 s[2:3], s37, v2
	s_nop 0
	v_cndmask_b32_e64 v8, v8, v11, s[0:1]
	v_subrev_u32_e32 v11, s22, v8
	v_cmp_le_u32_e64 s[0:1], s22, v8
	s_nop 1
	v_cndmask_b32_e64 v8, v8, v11, s[0:1]
	v_xor_b32_e32 v8, v8, v10
	v_sub_u32_e32 v8, v8, v10
	v_cmp_eq_u32_e64 s[0:1], 0, v8
	s_or_b64 s[0:1], s[0:1], s[2:3]
	s_and_saveexec_b64 s[2:3], s[0:1]
	s_cbranch_execz .LBB218_48
; %bb.50:                               ;   in Loop: Header=BB218_49 Depth=1
	ds_read2_b64 v[10:13], v19 offset1:1
	ds_read2_b64 v[26:29], v19 offset0:2 offset1:3
	s_waitcnt lgkmcnt(1)
	;;#ASMSTART
	v_cvt_f16_f32 v21, v10;

	;;#ASMEND
	;;#ASMSTART
	v_cvt_f16_f32 v22, v11;

	;;#ASMEND
	;;#ASMSTART
	v_cvt_f16_f32 v23, v12;

	;;#ASMEND
	;;#ASMSTART
	v_cvt_f16_f32 v24, v13;

	;;#ASMEND
	s_waitcnt lgkmcnt(0)
	;;#ASMSTART
	v_cvt_f16_f32 v25, v26;

	;;#ASMEND
	;;#ASMSTART
	v_cvt_f16_f32 v26, v27;

	;;#ASMEND
	;; [unrolled: 4-line block ×4, first 2 shown]
	s_and_saveexec_b64 s[12:13], vcc
	s_cbranch_execz .LBB218_47
; %bb.51:                               ;   in Loop: Header=BB218_49 Depth=1
	global_load_dword v2, v[6:7], off
                                        ; implicit-def: $sgpr20
	s_waitcnt vmcnt(0)
	v_mad_i64_i32 v[12:13], s[0:1], v2, s34, v[4:5]
	global_load_dwordx2 v[10:11], v[12:13], off
	global_load_dword v8, v3, s[14:15]
	s_mov_b64 s[0:1], 0
	s_waitcnt vmcnt(1)
	v_cmp_gt_i16_sdwa s[16:17], v10, s28 src0_sel:BYTE_0 src1_sel:DWORD
	s_and_saveexec_b64 s[18:19], s[16:17]
	s_xor_b64 s[16:17], exec, s[18:19]
	s_cbranch_execnz .LBB218_85
; %bb.52:                               ;   in Loop: Header=BB218_49 Depth=1
	s_or_saveexec_b64 s[16:17], s[16:17]
	v_mov_b32_e32 v12, s20
	s_xor_b64 exec, exec, s[16:17]
	s_cbranch_execnz .LBB218_88
.LBB218_53:                             ;   in Loop: Header=BB218_49 Depth=1
	s_or_b64 exec, exec, s[16:17]
	s_and_saveexec_b64 s[16:17], s[0:1]
	s_cbranch_execz .LBB218_55
.LBB218_54:                             ;   in Loop: Header=BB218_49 Depth=1
	v_and_b32_e32 v2, 7, v10
	v_ffbh_u32_e32 v2, v2
	v_bfe_u32 v12, v10, 3, 4
	v_min_u32_e32 v2, 32, v2
	v_subrev_u32_e32 v13, 28, v2
	v_sub_u32_e32 v2, 29, v2
	v_cmp_eq_u32_e64 s[0:1], 0, v12
	s_nop 1
	v_cndmask_b32_e64 v2, v12, v2, s[0:1]
	v_cndmask_b32_e64 v12, 0, v13, s[0:1]
	v_lshlrev_b64 v[12:13], v12, v[10:11]
	v_lshlrev_b32_e32 v13, 8, v10
	v_lshl_add_u32 v2, v2, 10, v20
	v_lshlrev_b32_e32 v12, 7, v12
	v_and_or_b32 v2, v13, s30, v2
	v_and_or_b32 v2, v12, s31, v2
	v_cvt_f32_f16_e32 v12, v2
.LBB218_55:                             ;   in Loop: Header=BB218_49 Depth=1
	s_or_b64 exec, exec, s[16:17]
	v_lshrrev_b16_e32 v2, 8, v10
	v_cmp_lt_i16_e64 s[0:1], s28, v2
	s_mov_b64 s[16:17], 0
                                        ; implicit-def: $sgpr44
	s_and_saveexec_b64 s[18:19], s[0:1]
	s_xor_b64 s[18:19], exec, s[18:19]
	s_cbranch_execnz .LBB218_89
; %bb.56:                               ;   in Loop: Header=BB218_49 Depth=1
	s_or_saveexec_b64 s[18:19], s[18:19]
	v_mov_b32_e32 v14, s44
	s_xor_b64 exec, exec, s[18:19]
	s_cbranch_execnz .LBB218_92
.LBB218_57:                             ;   in Loop: Header=BB218_49 Depth=1
	s_or_b64 exec, exec, s[18:19]
	s_and_saveexec_b64 s[18:19], s[16:17]
	s_cbranch_execz .LBB218_59
.LBB218_58:                             ;   in Loop: Header=BB218_49 Depth=1
	v_and_b32_e32 v13, 7, v2
	v_ffbh_u32_e32 v14, v13
	v_min_u32_e32 v30, 32, v14
	v_subrev_u32_e32 v14, 28, v30
	v_bfe_u32 v29, v2, 3, 4
	v_lshlrev_b64 v[14:15], v14, v[2:3]
	v_sub_u32_e32 v15, 29, v30
	v_cmp_eq_u32_e64 s[0:1], 0, v29
	v_and_b32_e32 v14, 7, v14
	v_lshlrev_b32_e32 v2, 8, v2
	v_cndmask_b32_e64 v15, v29, v15, s[0:1]
	v_cndmask_b32_e64 v13, v13, v14, s[0:1]
	v_lshl_add_u32 v14, v15, 10, v20
	v_and_or_b32 v2, v2, s30, v14
	v_lshl_or_b32 v2, v13, 7, v2
	v_cvt_f32_f16_e32 v14, v2
.LBB218_59:                             ;   in Loop: Header=BB218_49 Depth=1
	s_or_b64 exec, exec, s[18:19]
	v_lshrrev_b32_e32 v2, 16, v10
	v_cmp_gt_i16_sdwa s[16:17], v2, s28 src0_sel:BYTE_0 src1_sel:DWORD
	s_mov_b64 s[0:1], 0
                                        ; implicit-def: $sgpr20
	s_and_saveexec_b64 s[18:19], s[16:17]
	s_xor_b64 s[16:17], exec, s[18:19]
	s_cbranch_execnz .LBB218_93
; %bb.60:                               ;   in Loop: Header=BB218_49 Depth=1
	s_or_saveexec_b64 s[16:17], s[16:17]
	v_mov_b32_e32 v13, s20
	s_xor_b64 exec, exec, s[16:17]
	s_cbranch_execnz .LBB218_96
.LBB218_61:                             ;   in Loop: Header=BB218_49 Depth=1
	s_or_b64 exec, exec, s[16:17]
	s_and_saveexec_b64 s[16:17], s[0:1]
	s_cbranch_execz .LBB218_63
.LBB218_62:                             ;   in Loop: Header=BB218_49 Depth=1
	v_bfe_u32 v13, v10, 16, 3
	v_ffbh_u32_e32 v29, v13
	v_bfe_u32 v15, v10, 19, 4
	v_min_u32_e32 v29, 32, v29
	v_subrev_u32_e32 v30, 28, v29
	v_sub_u32_e32 v29, 29, v29
	v_cmp_eq_u32_e64 s[0:1], 0, v15
	v_lshlrev_b64 v[30:31], v30, v[2:3]
	v_and_b32_e32 v30, 7, v30
	v_cndmask_b32_e64 v15, v15, v29, s[0:1]
	v_lshlrev_b32_e32 v2, 8, v2
	v_lshl_add_u32 v15, v15, 10, v20
	v_cndmask_b32_e64 v13, v13, v30, s[0:1]
	v_and_or_b32 v2, v2, s30, v15
	v_lshl_or_b32 v2, v13, 7, v2
	v_cvt_f32_f16_e32 v13, v2
.LBB218_63:                             ;   in Loop: Header=BB218_49 Depth=1
	s_or_b64 exec, exec, s[16:17]
	v_lshrrev_b32_e32 v2, 24, v10
	v_cmp_lt_i16_e64 s[0:1], s28, v2
	s_mov_b64 s[16:17], 0
                                        ; implicit-def: $sgpr44
	s_and_saveexec_b64 s[18:19], s[0:1]
	s_xor_b64 s[18:19], exec, s[18:19]
	s_cbranch_execnz .LBB218_97
; %bb.64:                               ;   in Loop: Header=BB218_49 Depth=1
	s_or_saveexec_b64 s[18:19], s[18:19]
	v_mov_b32_e32 v15, s44
	s_xor_b64 exec, exec, s[18:19]
	s_cbranch_execnz .LBB218_100
.LBB218_65:                             ;   in Loop: Header=BB218_49 Depth=1
	s_or_b64 exec, exec, s[18:19]
	s_and_saveexec_b64 s[18:19], s[16:17]
	s_cbranch_execz .LBB218_67
.LBB218_66:                             ;   in Loop: Header=BB218_49 Depth=1
	v_bfe_u32 v15, v10, 24, 3
	v_ffbh_u32_e32 v29, v15
	v_bfe_u32 v10, v10, 27, 4
	v_min_u32_e32 v29, 32, v29
	v_subrev_u32_e32 v30, 28, v29
	v_sub_u32_e32 v29, 29, v29
	v_cmp_eq_u32_e64 s[0:1], 0, v10
	v_lshlrev_b64 v[30:31], v30, v[2:3]
	v_and_b32_e32 v30, 7, v30
	v_cndmask_b32_e64 v10, v10, v29, s[0:1]
	v_lshlrev_b32_e32 v2, 8, v2
	v_lshl_add_u32 v10, v10, 10, v20
	v_cndmask_b32_e64 v15, v15, v30, s[0:1]
	v_and_or_b32 v2, v2, s30, v10
	v_lshl_or_b32 v2, v15, 7, v2
	v_cvt_f32_f16_e32 v15, v2
.LBB218_67:                             ;   in Loop: Header=BB218_49 Depth=1
	s_or_b64 exec, exec, s[18:19]
	v_cmp_gt_i16_sdwa s[16:17], v11, s28 src0_sel:BYTE_0 src1_sel:DWORD
	s_mov_b64 s[0:1], 0
                                        ; implicit-def: $sgpr20
	s_and_saveexec_b64 s[18:19], s[16:17]
	s_xor_b64 s[16:17], exec, s[18:19]
	s_cbranch_execnz .LBB218_101
; %bb.68:                               ;   in Loop: Header=BB218_49 Depth=1
	s_or_saveexec_b64 s[16:17], s[16:17]
	v_mov_b32_e32 v10, s20
	s_xor_b64 exec, exec, s[16:17]
	s_cbranch_execnz .LBB218_104
.LBB218_69:                             ;   in Loop: Header=BB218_49 Depth=1
	s_or_b64 exec, exec, s[16:17]
	v_mov_b32_e32 v2, v11
	s_and_saveexec_b64 s[16:17], s[0:1]
	s_cbranch_execz .LBB218_71
.LBB218_70:                             ;   in Loop: Header=BB218_49 Depth=1
	v_and_b32_e32 v10, 7, v11
	v_ffbh_u32_e32 v10, v10
	v_bfe_u32 v29, v11, 3, 4
	v_min_u32_e32 v10, 32, v10
	v_subrev_u32_e32 v30, 28, v10
	v_sub_u32_e32 v10, 29, v10
	v_cmp_eq_u32_e64 s[0:1], 0, v29
	s_nop 1
	v_cndmask_b32_e64 v10, v29, v10, s[0:1]
	v_cndmask_b32_e64 v29, 0, v30, s[0:1]
	v_lshlrev_b64 v[30:31], v29, v[2:3]
	v_lshlrev_b32_e32 v29, 7, v30
	v_lshlrev_b32_e32 v30, 8, v11
	v_lshl_add_u32 v10, v10, 10, v20
	v_and_or_b32 v10, v30, s30, v10
	v_and_or_b32 v10, v29, s31, v10
	v_cvt_f32_f16_e32 v10, v10
.LBB218_71:                             ;   in Loop: Header=BB218_49 Depth=1
	s_or_b64 exec, exec, s[16:17]
	v_lshrrev_b16_e32 v2, 8, v2
	v_cmp_lt_i16_e64 s[0:1], s28, v2
	s_mov_b64 s[16:17], 0
                                        ; implicit-def: $sgpr44
	s_and_saveexec_b64 s[18:19], s[0:1]
	s_xor_b64 s[18:19], exec, s[18:19]
	s_cbranch_execnz .LBB218_105
; %bb.72:                               ;   in Loop: Header=BB218_49 Depth=1
	s_or_saveexec_b64 s[18:19], s[18:19]
	v_mov_b32_e32 v29, s44
	s_xor_b64 exec, exec, s[18:19]
	s_cbranch_execnz .LBB218_108
.LBB218_73:                             ;   in Loop: Header=BB218_49 Depth=1
	s_or_b64 exec, exec, s[18:19]
	s_and_saveexec_b64 s[18:19], s[16:17]
	s_cbranch_execz .LBB218_75
.LBB218_74:                             ;   in Loop: Header=BB218_49 Depth=1
	v_and_b32_e32 v29, 7, v2
	v_ffbh_u32_e32 v30, v29
	v_min_u32_e32 v33, 32, v30
	v_subrev_u32_e32 v30, 28, v33
	v_bfe_u32 v32, v2, 3, 4
	v_lshlrev_b64 v[30:31], v30, v[2:3]
	v_sub_u32_e32 v31, 29, v33
	v_cmp_eq_u32_e64 s[0:1], 0, v32
	v_and_b32_e32 v30, 7, v30
	v_lshlrev_b32_e32 v2, 8, v2
	v_cndmask_b32_e64 v31, v32, v31, s[0:1]
	v_cndmask_b32_e64 v29, v29, v30, s[0:1]
	v_lshl_add_u32 v30, v31, 10, v20
	v_and_or_b32 v2, v2, s30, v30
	v_lshl_or_b32 v2, v29, 7, v2
	v_cvt_f32_f16_e32 v29, v2
.LBB218_75:                             ;   in Loop: Header=BB218_49 Depth=1
	s_or_b64 exec, exec, s[18:19]
	v_lshrrev_b32_e32 v2, 16, v11
	v_cmp_gt_i16_sdwa s[16:17], v2, s28 src0_sel:BYTE_0 src1_sel:DWORD
	s_mov_b64 s[0:1], 0
                                        ; implicit-def: $sgpr20
	s_and_saveexec_b64 s[18:19], s[16:17]
	s_xor_b64 s[16:17], exec, s[18:19]
	s_cbranch_execnz .LBB218_109
; %bb.76:                               ;   in Loop: Header=BB218_49 Depth=1
	s_or_saveexec_b64 s[16:17], s[16:17]
	v_mov_b32_e32 v30, s20
	s_xor_b64 exec, exec, s[16:17]
	s_cbranch_execnz .LBB218_112
.LBB218_77:                             ;   in Loop: Header=BB218_49 Depth=1
	s_or_b64 exec, exec, s[16:17]
	s_and_saveexec_b64 s[16:17], s[0:1]
	s_cbranch_execz .LBB218_79
.LBB218_78:                             ;   in Loop: Header=BB218_49 Depth=1
	v_bfe_u32 v32, v11, 16, 3
	v_ffbh_u32_e32 v30, v32
	v_min_u32_e32 v34, 32, v30
	v_subrev_u32_e32 v30, 28, v34
	v_bfe_u32 v33, v11, 19, 4
	v_lshlrev_b64 v[30:31], v30, v[2:3]
	v_sub_u32_e32 v31, 29, v34
	v_cmp_eq_u32_e64 s[0:1], 0, v33
	v_and_b32_e32 v30, 7, v30
	v_lshlrev_b32_e32 v2, 8, v2
	v_cndmask_b32_e64 v31, v33, v31, s[0:1]
	v_lshl_add_u32 v31, v31, 10, v20
	v_cndmask_b32_e64 v30, v32, v30, s[0:1]
	v_and_or_b32 v2, v2, s30, v31
	v_lshl_or_b32 v2, v30, 7, v2
	v_cvt_f32_f16_e32 v30, v2
.LBB218_79:                             ;   in Loop: Header=BB218_49 Depth=1
	s_or_b64 exec, exec, s[16:17]
	v_lshrrev_b32_e32 v2, 24, v11
	v_cmp_lt_i16_e64 s[0:1], s28, v2
	s_mov_b64 s[16:17], 0
                                        ; implicit-def: $sgpr44
	s_and_saveexec_b64 s[18:19], s[0:1]
	s_xor_b64 s[18:19], exec, s[18:19]
	s_cbranch_execnz .LBB218_113
; %bb.80:                               ;   in Loop: Header=BB218_49 Depth=1
	s_or_saveexec_b64 s[18:19], s[18:19]
	v_mov_b32_e32 v31, s44
	s_xor_b64 exec, exec, s[18:19]
	s_cbranch_execnz .LBB218_116
.LBB218_81:                             ;   in Loop: Header=BB218_49 Depth=1
	s_or_b64 exec, exec, s[18:19]
	s_and_saveexec_b64 s[18:19], s[16:17]
	s_cbranch_execz .LBB218_83
.LBB218_82:                             ;   in Loop: Header=BB218_49 Depth=1
	v_bfe_u32 v31, v11, 24, 3
	v_ffbh_u32_e32 v32, v31
	v_min_u32_e32 v34, 32, v32
	v_subrev_u32_e32 v32, 28, v34
	v_bfe_u32 v11, v11, 27, 4
	v_lshlrev_b64 v[32:33], v32, v[2:3]
	v_sub_u32_e32 v33, 29, v34
	v_cmp_eq_u32_e64 s[0:1], 0, v11
	v_and_b32_e32 v32, 7, v32
	v_lshlrev_b32_e32 v2, 8, v2
	v_cndmask_b32_e64 v11, v11, v33, s[0:1]
	v_lshl_add_u32 v11, v11, 10, v20
	v_cndmask_b32_e64 v31, v31, v32, s[0:1]
	v_and_or_b32 v2, v2, s30, v11
	v_lshl_or_b32 v2, v31, 7, v2
	v_cvt_f32_f16_e32 v31, v2
.LBB218_83:                             ;   in Loop: Header=BB218_49 Depth=1
	s_or_b64 exec, exec, s[18:19]
	s_waitcnt vmcnt(0)
	v_pk_mul_f32 v[14:15], v[8:9], v[14:15] op_sel_hi:[0,1]
	v_pk_mul_f32 v[12:13], v[8:9], v[12:13] op_sel_hi:[0,1]
	v_cvt_f16_f32_e32 v2, v15
	v_cvt_f16_f32_e32 v11, v14
	;; [unrolled: 1-line block ×4, first 2 shown]
	v_fma_mixlo_f16 v10, v8, v10, 0
	v_pack_b32_f16 v11, v11, v2
	v_cmp_eq_u32_e64 s[0:1], s35, v1
	v_pack_b32_f16 v12, v12, v13
	v_perm_b32 v2, v12, v11, s39
	v_perm_b32 v11, v12, v11, s40
	v_fma_mixlo_f16 v12, v8, v29, 0
	v_lshlrev_b32_e32 v12, 16, v12
	v_or_b32_sdwa v10, v12, v10 dst_sel:DWORD dst_unused:UNUSED_PAD src0_sel:DWORD src1_sel:WORD_0
	v_fma_mixlo_f16 v12, v8, v30, 0
	v_fma_mixlo_f16 v8, v8, v31, 0
	v_lshlrev_b32_e32 v8, 16, v8
	v_or_b32_sdwa v8, v8, v12 dst_sel:DWORD dst_unused:UNUSED_PAD src0_sel:DWORD src1_sel:WORD_0
	s_and_saveexec_b64 s[16:17], s[0:1]
	s_cbranch_execz .LBB218_46
; %bb.84:                               ;   in Loop: Header=BB218_49 Depth=1
	v_add_u32_e32 v13, 1, v9
	v_lshrrev_b32_e32 v14, 16, v11
	v_cmp_gt_i32_e64 s[0:1], s38, v13
	v_lshrrev_b32_e32 v15, 16, v2
	v_lshrrev_b32_e32 v8, 16, v8
	v_cndmask_b32_e64 v13, 0, v14, s[0:1]
	v_cmp_gt_i32_e64 s[0:1], s11, v9
	v_or_b32_e32 v14, 2, v9
	s_nop 0
	v_cndmask_b32_e64 v11, 0, v11, s[0:1]
	v_perm_b32 v11, v13, v11, s41
	v_or_b32_e32 v13, 3, v9
	v_cmp_gt_i32_e64 s[0:1], s38, v13
	s_nop 1
	v_cndmask_b32_e64 v13, 0, v15, s[0:1]
	v_cmp_gt_i32_e64 s[0:1], s11, v14
	v_or_b32_e32 v14, 4, v9
	v_lshrrev_b32_e32 v15, 16, v10
	v_cndmask_b32_e64 v2, 0, v2, s[0:1]
	v_perm_b32 v2, v13, v2, s41
	v_or_b32_e32 v13, 5, v9
	v_cmp_gt_i32_e64 s[0:1], s38, v13
	s_nop 1
	v_cndmask_b32_e64 v13, 0, v15, s[0:1]
	v_cmp_gt_i32_e64 s[0:1], s11, v14
	v_or_b32_e32 v14, 6, v9
	s_nop 0
	v_cndmask_b32_e64 v10, 0, v10, s[0:1]
	v_perm_b32 v10, v13, v10, s41
	v_or_b32_e32 v13, 7, v9
	v_cmp_gt_i32_e64 s[0:1], s38, v13
	s_nop 1
	v_cndmask_b32_e64 v8, 0, v8, s[0:1]
	v_cmp_gt_i32_e64 s[0:1], s11, v14
	s_nop 1
	v_cndmask_b32_e64 v12, 0, v12, s[0:1]
	v_perm_b32 v8, v8, v12, s41
	s_branch .LBB218_46
.LBB218_85:                             ;   in Loop: Header=BB218_49 Depth=1
	v_cmp_eq_u16_sdwa s[44:45], v10, s29 src0_sel:BYTE_0 src1_sel:DWORD
	s_mov_b64 s[0:1], -1
                                        ; implicit-def: $sgpr20
	s_and_saveexec_b64 s[18:19], s[44:45]
; %bb.86:                               ;   in Loop: Header=BB218_49 Depth=1
	s_mov_b32 s20, 0x7fc02000
	s_xor_b64 s[0:1], exec, -1
; %bb.87:                               ;   in Loop: Header=BB218_49 Depth=1
	s_or_b64 exec, exec, s[18:19]
	s_and_b64 s[0:1], s[0:1], exec
	s_or_saveexec_b64 s[16:17], s[16:17]
	v_mov_b32_e32 v12, s20
	s_xor_b64 exec, exec, s[16:17]
	s_cbranch_execz .LBB218_53
.LBB218_88:                             ;   in Loop: Header=BB218_49 Depth=1
	v_cmp_ne_u16_sdwa s[18:19], v10, v3 src0_sel:BYTE_0 src1_sel:DWORD
	s_andn2_b64 s[0:1], s[0:1], exec
	s_and_b64 s[18:19], s[18:19], exec
	v_mov_b32_e32 v12, 0
	s_or_b64 s[0:1], s[0:1], s[18:19]
	s_or_b64 exec, exec, s[16:17]
	s_and_saveexec_b64 s[16:17], s[0:1]
	s_cbranch_execnz .LBB218_54
	s_branch .LBB218_55
.LBB218_89:                             ;   in Loop: Header=BB218_49 Depth=1
	v_cmp_eq_u16_e64 s[0:1], s29, v2
	s_mov_b64 s[16:17], -1
                                        ; implicit-def: $sgpr44
	s_and_saveexec_b64 s[20:21], s[0:1]
; %bb.90:                               ;   in Loop: Header=BB218_49 Depth=1
	s_mov_b32 s44, 0x7fc02000
	s_xor_b64 s[16:17], exec, -1
; %bb.91:                               ;   in Loop: Header=BB218_49 Depth=1
	s_or_b64 exec, exec, s[20:21]
	s_and_b64 s[16:17], s[16:17], exec
	s_or_saveexec_b64 s[18:19], s[18:19]
	v_mov_b32_e32 v14, s44
	s_xor_b64 exec, exec, s[18:19]
	s_cbranch_execz .LBB218_57
.LBB218_92:                             ;   in Loop: Header=BB218_49 Depth=1
	v_cmp_ne_u16_e64 s[0:1], 0, v2
	s_andn2_b64 s[16:17], s[16:17], exec
	s_and_b64 s[0:1], s[0:1], exec
	v_mov_b32_e32 v14, 0
	s_or_b64 s[16:17], s[16:17], s[0:1]
	s_or_b64 exec, exec, s[18:19]
	s_and_saveexec_b64 s[18:19], s[16:17]
	s_cbranch_execnz .LBB218_58
	s_branch .LBB218_59
.LBB218_93:                             ;   in Loop: Header=BB218_49 Depth=1
	v_cmp_eq_u16_sdwa s[44:45], v2, s29 src0_sel:BYTE_0 src1_sel:DWORD
	s_mov_b64 s[0:1], -1
                                        ; implicit-def: $sgpr20
	s_and_saveexec_b64 s[18:19], s[44:45]
; %bb.94:                               ;   in Loop: Header=BB218_49 Depth=1
	s_mov_b32 s20, 0x7fc02000
	s_xor_b64 s[0:1], exec, -1
; %bb.95:                               ;   in Loop: Header=BB218_49 Depth=1
	s_or_b64 exec, exec, s[18:19]
	s_and_b64 s[0:1], s[0:1], exec
	s_or_saveexec_b64 s[16:17], s[16:17]
	v_mov_b32_e32 v13, s20
	s_xor_b64 exec, exec, s[16:17]
	s_cbranch_execz .LBB218_61
.LBB218_96:                             ;   in Loop: Header=BB218_49 Depth=1
	v_cmp_ne_u16_sdwa s[18:19], v2, v3 src0_sel:BYTE_0 src1_sel:DWORD
	s_andn2_b64 s[0:1], s[0:1], exec
	s_and_b64 s[18:19], s[18:19], exec
	v_mov_b32_e32 v13, 0
	s_or_b64 s[0:1], s[0:1], s[18:19]
	s_or_b64 exec, exec, s[16:17]
	s_and_saveexec_b64 s[16:17], s[0:1]
	s_cbranch_execnz .LBB218_62
	s_branch .LBB218_63
.LBB218_97:                             ;   in Loop: Header=BB218_49 Depth=1
	v_cmp_eq_u16_e64 s[0:1], s29, v2
	s_mov_b64 s[16:17], -1
                                        ; implicit-def: $sgpr44
	s_and_saveexec_b64 s[20:21], s[0:1]
; %bb.98:                               ;   in Loop: Header=BB218_49 Depth=1
	s_mov_b32 s44, 0x7fc02000
	s_xor_b64 s[16:17], exec, -1
; %bb.99:                               ;   in Loop: Header=BB218_49 Depth=1
	s_or_b64 exec, exec, s[20:21]
	s_and_b64 s[16:17], s[16:17], exec
	s_or_saveexec_b64 s[18:19], s[18:19]
	v_mov_b32_e32 v15, s44
	s_xor_b64 exec, exec, s[18:19]
	s_cbranch_execz .LBB218_65
.LBB218_100:                            ;   in Loop: Header=BB218_49 Depth=1
	v_cmp_ne_u16_e64 s[0:1], 0, v2
	s_andn2_b64 s[16:17], s[16:17], exec
	s_and_b64 s[0:1], s[0:1], exec
	v_mov_b32_e32 v15, 0
	s_or_b64 s[16:17], s[16:17], s[0:1]
	s_or_b64 exec, exec, s[18:19]
	s_and_saveexec_b64 s[18:19], s[16:17]
	s_cbranch_execnz .LBB218_66
	s_branch .LBB218_67
.LBB218_101:                            ;   in Loop: Header=BB218_49 Depth=1
	v_cmp_eq_u16_sdwa s[44:45], v11, s29 src0_sel:BYTE_0 src1_sel:DWORD
	s_mov_b64 s[0:1], -1
                                        ; implicit-def: $sgpr20
	s_and_saveexec_b64 s[18:19], s[44:45]
; %bb.102:                              ;   in Loop: Header=BB218_49 Depth=1
	s_mov_b32 s20, 0x7fc02000
	s_xor_b64 s[0:1], exec, -1
; %bb.103:                              ;   in Loop: Header=BB218_49 Depth=1
	s_or_b64 exec, exec, s[18:19]
	s_and_b64 s[0:1], s[0:1], exec
	s_or_saveexec_b64 s[16:17], s[16:17]
	v_mov_b32_e32 v10, s20
	s_xor_b64 exec, exec, s[16:17]
	s_cbranch_execz .LBB218_69
.LBB218_104:                            ;   in Loop: Header=BB218_49 Depth=1
	v_cmp_ne_u16_sdwa s[18:19], v11, v3 src0_sel:BYTE_0 src1_sel:DWORD
	s_andn2_b64 s[0:1], s[0:1], exec
	s_and_b64 s[18:19], s[18:19], exec
	v_mov_b32_e32 v10, 0
	s_or_b64 s[0:1], s[0:1], s[18:19]
	s_or_b64 exec, exec, s[16:17]
	v_mov_b32_e32 v2, v11
	s_and_saveexec_b64 s[16:17], s[0:1]
	s_cbranch_execnz .LBB218_70
	s_branch .LBB218_71
.LBB218_105:                            ;   in Loop: Header=BB218_49 Depth=1
	v_cmp_eq_u16_e64 s[0:1], s29, v2
	s_mov_b64 s[16:17], -1
                                        ; implicit-def: $sgpr44
	s_and_saveexec_b64 s[20:21], s[0:1]
; %bb.106:                              ;   in Loop: Header=BB218_49 Depth=1
	s_mov_b32 s44, 0x7fc02000
	s_xor_b64 s[16:17], exec, -1
; %bb.107:                              ;   in Loop: Header=BB218_49 Depth=1
	s_or_b64 exec, exec, s[20:21]
	s_and_b64 s[16:17], s[16:17], exec
	s_or_saveexec_b64 s[18:19], s[18:19]
	v_mov_b32_e32 v29, s44
	s_xor_b64 exec, exec, s[18:19]
	s_cbranch_execz .LBB218_73
.LBB218_108:                            ;   in Loop: Header=BB218_49 Depth=1
	v_cmp_ne_u16_e64 s[0:1], 0, v2
	s_andn2_b64 s[16:17], s[16:17], exec
	s_and_b64 s[0:1], s[0:1], exec
	v_mov_b32_e32 v29, 0
	s_or_b64 s[16:17], s[16:17], s[0:1]
	s_or_b64 exec, exec, s[18:19]
	s_and_saveexec_b64 s[18:19], s[16:17]
	s_cbranch_execnz .LBB218_74
	s_branch .LBB218_75
.LBB218_109:                            ;   in Loop: Header=BB218_49 Depth=1
	v_cmp_eq_u16_sdwa s[44:45], v2, s29 src0_sel:BYTE_0 src1_sel:DWORD
	s_mov_b64 s[0:1], -1
                                        ; implicit-def: $sgpr20
	s_and_saveexec_b64 s[18:19], s[44:45]
; %bb.110:                              ;   in Loop: Header=BB218_49 Depth=1
	s_mov_b32 s20, 0x7fc02000
	s_xor_b64 s[0:1], exec, -1
; %bb.111:                              ;   in Loop: Header=BB218_49 Depth=1
	s_or_b64 exec, exec, s[18:19]
	s_and_b64 s[0:1], s[0:1], exec
	s_or_saveexec_b64 s[16:17], s[16:17]
	v_mov_b32_e32 v30, s20
	s_xor_b64 exec, exec, s[16:17]
	s_cbranch_execz .LBB218_77
.LBB218_112:                            ;   in Loop: Header=BB218_49 Depth=1
	v_cmp_ne_u16_sdwa s[18:19], v2, v3 src0_sel:BYTE_0 src1_sel:DWORD
	s_andn2_b64 s[0:1], s[0:1], exec
	s_and_b64 s[18:19], s[18:19], exec
	v_mov_b32_e32 v30, 0
	s_or_b64 s[0:1], s[0:1], s[18:19]
	s_or_b64 exec, exec, s[16:17]
	s_and_saveexec_b64 s[16:17], s[0:1]
	s_cbranch_execnz .LBB218_78
	s_branch .LBB218_79
.LBB218_113:                            ;   in Loop: Header=BB218_49 Depth=1
	v_cmp_eq_u16_e64 s[0:1], s29, v2
	s_mov_b64 s[16:17], -1
                                        ; implicit-def: $sgpr44
	s_and_saveexec_b64 s[20:21], s[0:1]
; %bb.114:                              ;   in Loop: Header=BB218_49 Depth=1
	s_mov_b32 s44, 0x7fc02000
	s_xor_b64 s[16:17], exec, -1
; %bb.115:                              ;   in Loop: Header=BB218_49 Depth=1
	s_or_b64 exec, exec, s[20:21]
	s_and_b64 s[16:17], s[16:17], exec
	s_or_saveexec_b64 s[18:19], s[18:19]
	v_mov_b32_e32 v31, s44
	s_xor_b64 exec, exec, s[18:19]
	s_cbranch_execz .LBB218_81
.LBB218_116:                            ;   in Loop: Header=BB218_49 Depth=1
	v_cmp_ne_u16_e64 s[0:1], 0, v2
	s_andn2_b64 s[16:17], s[16:17], exec
	s_and_b64 s[0:1], s[0:1], exec
	v_mov_b32_e32 v31, 0
	s_or_b64 s[16:17], s[16:17], s[0:1]
	s_or_b64 exec, exec, s[18:19]
	s_and_saveexec_b64 s[18:19], s[16:17]
	s_cbranch_execnz .LBB218_82
	s_branch .LBB218_83
.LBB218_117:
	s_or_b64 exec, exec, s[8:9]
.LBB218_118:
	s_or_b64 exec, exec, s[6:7]
	v_and_b32_e32 v1, 0x3c0, v0
	v_cmp_eq_u32_e64 s[0:1], 64, v1
	v_cmp_gt_u32_e32 vcc, 32, v16
	s_and_b64 s[2:3], s[0:1], vcc
	s_barrier
	s_and_saveexec_b64 s[0:1], s[2:3]
	s_cbranch_execz .LBB218_120
; %bb.119:
	v_mov_b32_e32 v1, 0x50
	v_lshl_add_u32 v1, v16, 2, v1
	ds_write_b32 v1, v17
.LBB218_120:
	s_or_b64 exec, exec, s[0:1]
	v_cmp_gt_u32_e64 s[0:1], 64, v0
	s_and_b64 s[0:1], s[0:1], vcc
	s_waitcnt lgkmcnt(0)
	s_barrier
	s_and_saveexec_b64 s[2:3], s[0:1]
	s_cbranch_execz .LBB218_122
; %bb.121:
	v_mov_b32_e32 v0, 0x50
	v_lshl_add_u32 v0, v16, 2, v0
	ds_read_b32 v0, v0
	s_waitcnt lgkmcnt(0)
	v_add_f32_e32 v17, v17, v0
.LBB218_122:
	s_or_b64 exec, exec, s[2:3]
	s_barrier
	s_and_saveexec_b64 s[2:3], s[0:1]
	s_cbranch_execz .LBB218_124
; %bb.123:
	s_mul_i32 s0, s10, s23
	s_mul_i32 s0, s0, s5
	s_lshl_b32 s0, s0, 5
	s_ashr_i32 s1, s0, 31
	s_lshl_b64 s[0:1], s[0:1], 1
	s_add_u32 s2, s26, s0
	s_mul_i32 s0, s23, s24
	s_addc_u32 s3, s27, s1
	s_ashr_i32 s1, s0, 31
	s_lshl_b64 s[0:1], s[0:1], 1
	s_add_u32 s2, s2, s0
	s_addc_u32 s3, s3, s1
	s_lshl_b32 s0, s4, 5
	s_ashr_i32 s1, s0, 31
	s_lshl_b64 s[0:1], s[0:1], 1
	s_add_u32 s0, s2, s0
	s_addc_u32 s1, s3, s1
	v_lshlrev_b32_e32 v0, 1, v16
	;;#ASMSTART
	v_cvt_f16_f32 v1, v17;

	;;#ASMEND
	global_store_short v0, v1, s[0:1]
.LBB218_124:
	s_endpgm
	.section	.rodata,"a",@progbits
	.p2align	6, 0x0
	.amdhsa_kernel _ZN4vllm25paged_attention_v1_kernelIthLi32ELi8ELi128ELNS_18Fp8KVCacheDataTypeE1ELb1EEEvPT_PKS2_PKT0_S8_ifPKiSA_iPKfiiiSC_SC_iiiii
		.amdhsa_group_segment_fixed_size 80
		.amdhsa_private_segment_fixed_size 0
		.amdhsa_kernarg_size 384
		.amdhsa_user_sgpr_count 2
		.amdhsa_user_sgpr_dispatch_ptr 0
		.amdhsa_user_sgpr_queue_ptr 0
		.amdhsa_user_sgpr_kernarg_segment_ptr 1
		.amdhsa_user_sgpr_dispatch_id 0
		.amdhsa_user_sgpr_kernarg_preload_length 0
		.amdhsa_user_sgpr_kernarg_preload_offset 0
		.amdhsa_user_sgpr_private_segment_size 0
		.amdhsa_uses_dynamic_stack 0
		.amdhsa_enable_private_segment 0
		.amdhsa_system_sgpr_workgroup_id_x 1
		.amdhsa_system_sgpr_workgroup_id_y 1
		.amdhsa_system_sgpr_workgroup_id_z 1
		.amdhsa_system_sgpr_workgroup_info 0
		.amdhsa_system_vgpr_workitem_id 0
		.amdhsa_next_free_vgpr 35
		.amdhsa_next_free_sgpr 48
		.amdhsa_accum_offset 36
		.amdhsa_reserve_vcc 1
		.amdhsa_float_round_mode_32 0
		.amdhsa_float_round_mode_16_64 0
		.amdhsa_float_denorm_mode_32 3
		.amdhsa_float_denorm_mode_16_64 3
		.amdhsa_dx10_clamp 1
		.amdhsa_ieee_mode 1
		.amdhsa_fp16_overflow 0
		.amdhsa_tg_split 0
		.amdhsa_exception_fp_ieee_invalid_op 0
		.amdhsa_exception_fp_denorm_src 0
		.amdhsa_exception_fp_ieee_div_zero 0
		.amdhsa_exception_fp_ieee_overflow 0
		.amdhsa_exception_fp_ieee_underflow 0
		.amdhsa_exception_fp_ieee_inexact 0
		.amdhsa_exception_int_div_zero 0
	.end_amdhsa_kernel
	.section	.text._ZN4vllm25paged_attention_v1_kernelIthLi32ELi8ELi128ELNS_18Fp8KVCacheDataTypeE1ELb1EEEvPT_PKS2_PKT0_S8_ifPKiSA_iPKfiiiSC_SC_iiiii,"axG",@progbits,_ZN4vllm25paged_attention_v1_kernelIthLi32ELi8ELi128ELNS_18Fp8KVCacheDataTypeE1ELb1EEEvPT_PKS2_PKT0_S8_ifPKiSA_iPKfiiiSC_SC_iiiii,comdat
.Lfunc_end218:
	.size	_ZN4vllm25paged_attention_v1_kernelIthLi32ELi8ELi128ELNS_18Fp8KVCacheDataTypeE1ELb1EEEvPT_PKS2_PKT0_S8_ifPKiSA_iPKfiiiSC_SC_iiiii, .Lfunc_end218-_ZN4vllm25paged_attention_v1_kernelIthLi32ELi8ELi128ELNS_18Fp8KVCacheDataTypeE1ELb1EEEvPT_PKS2_PKT0_S8_ifPKiSA_iPKfiiiSC_SC_iiiii
                                        ; -- End function
	.section	.AMDGPU.csdata,"",@progbits
; Kernel info:
; codeLenInByte = 6552
; NumSgprs: 54
; NumVgprs: 35
; NumAgprs: 0
; TotalNumVgprs: 35
; ScratchSize: 0
; MemoryBound: 0
; FloatMode: 240
; IeeeMode: 1
; LDSByteSize: 80 bytes/workgroup (compile time only)
; SGPRBlocks: 6
; VGPRBlocks: 4
; NumSGPRsForWavesPerEU: 54
; NumVGPRsForWavesPerEU: 35
; AccumOffset: 36
; Occupancy: 8
; WaveLimiterHint : 1
; COMPUTE_PGM_RSRC2:SCRATCH_EN: 0
; COMPUTE_PGM_RSRC2:USER_SGPR: 2
; COMPUTE_PGM_RSRC2:TRAP_HANDLER: 0
; COMPUTE_PGM_RSRC2:TGID_X_EN: 1
; COMPUTE_PGM_RSRC2:TGID_Y_EN: 1
; COMPUTE_PGM_RSRC2:TGID_Z_EN: 1
; COMPUTE_PGM_RSRC2:TIDIG_COMP_CNT: 0
; COMPUTE_PGM_RSRC3_GFX90A:ACCUM_OFFSET: 8
; COMPUTE_PGM_RSRC3_GFX90A:TG_SPLIT: 0
	.section	.text._ZN4vllm25paged_attention_v1_kernelIthLi64ELi8ELi128ELNS_18Fp8KVCacheDataTypeE1ELb1EEEvPT_PKS2_PKT0_S8_ifPKiSA_iPKfiiiSC_SC_iiiii,"axG",@progbits,_ZN4vllm25paged_attention_v1_kernelIthLi64ELi8ELi128ELNS_18Fp8KVCacheDataTypeE1ELb1EEEvPT_PKS2_PKT0_S8_ifPKiSA_iPKfiiiSC_SC_iiiii,comdat
	.protected	_ZN4vllm25paged_attention_v1_kernelIthLi64ELi8ELi128ELNS_18Fp8KVCacheDataTypeE1ELb1EEEvPT_PKS2_PKT0_S8_ifPKiSA_iPKfiiiSC_SC_iiiii ; -- Begin function _ZN4vllm25paged_attention_v1_kernelIthLi64ELi8ELi128ELNS_18Fp8KVCacheDataTypeE1ELb1EEEvPT_PKS2_PKT0_S8_ifPKiSA_iPKfiiiSC_SC_iiiii
	.globl	_ZN4vllm25paged_attention_v1_kernelIthLi64ELi8ELi128ELNS_18Fp8KVCacheDataTypeE1ELb1EEEvPT_PKS2_PKT0_S8_ifPKiSA_iPKfiiiSC_SC_iiiii
	.p2align	8
	.type	_ZN4vllm25paged_attention_v1_kernelIthLi64ELi8ELi128ELNS_18Fp8KVCacheDataTypeE1ELb1EEEvPT_PKS2_PKT0_S8_ifPKiSA_iPKfiiiSC_SC_iiiii,@function
_ZN4vllm25paged_attention_v1_kernelIthLi64ELi8ELi128ELNS_18Fp8KVCacheDataTypeE1ELb1EEEvPT_PKS2_PKT0_S8_ifPKiSA_iPKfiiiSC_SC_iiiii: ; @_ZN4vllm25paged_attention_v1_kernelIthLi64ELi8ELi128ELNS_18Fp8KVCacheDataTypeE1ELb1EEEvPT_PKS2_PKT0_S8_ifPKiSA_iPKfiiiSC_SC_iiiii
; %bb.0:
	s_load_dword s5, s[0:1], 0x80
	s_load_dwordx2 s[6:7], s[0:1], 0x30
	s_load_dwordx2 s[38:39], s[0:1], 0x20
	s_mov_b32 s24, s3
	s_ashr_i32 s25, s3, 31
	s_lshl_b64 s[8:9], s[24:25], 2
	s_waitcnt lgkmcnt(0)
	s_add_u32 s6, s6, s8
	s_addc_u32 s7, s7, s9
	s_abs_i32 s3, s38
	v_cvt_f32_u32_e32 v1, s3
	s_sub_i32 s10, 0, s3
	s_abs_i32 s9, s5
	s_xor_b32 s8, s5, s38
	v_rcp_iflag_f32_e32 v1, v1
	s_ashr_i32 s8, s8, 31
	s_mov_b32 s46, 0
	v_mul_f32_e32 v1, 0x4f7ffffe, v1
	v_cvt_u32_f32_e32 v1, v1
	s_nop 0
	v_readfirstlane_b32 s11, v1
	s_mul_i32 s10, s10, s11
	s_mul_hi_u32 s10, s11, s10
	s_add_i32 s11, s11, s10
	s_mul_hi_u32 s10, s9, s11
	s_mul_i32 s11, s10, s3
	s_sub_i32 s9, s9, s11
	s_add_i32 s11, s10, 1
	s_sub_i32 s12, s9, s3
	s_cmp_ge_u32 s9, s3
	s_cselect_b32 s10, s11, s10
	s_cselect_b32 s9, s12, s9
	s_add_i32 s11, s10, 1
	s_cmp_ge_u32 s9, s3
	s_cselect_b32 s3, s11, s10
	s_xor_b32 s3, s3, s8
	s_sub_i32 s14, s3, s8
	s_abs_i32 s10, s14
	v_cvt_f32_u32_e32 v1, s10
	s_load_dwordx2 s[8:9], s[0:1], 0x40
	s_sub_i32 s3, 0, s10
	s_abs_i32 s11, s2
	v_rcp_iflag_f32_e32 v1, v1
	s_nop 0
	v_mul_f32_e32 v1, 0x4f7ffffe, v1
	v_cvt_u32_f32_e32 v1, v1
	s_nop 0
	v_readfirstlane_b32 s12, v1
	s_mul_i32 s3, s3, s12
	s_mul_hi_u32 s3, s12, s3
	s_add_i32 s12, s12, s3
	s_waitcnt lgkmcnt(0)
	s_cmp_eq_u64 s[8:9], 0
	s_mul_hi_u32 s12, s11, s12
	s_cbranch_scc1 .LBB219_2
; %bb.1:
	s_ashr_i32 s3, s2, 31
	s_lshl_b64 s[16:17], s[2:3], 2
	s_add_u32 s8, s8, s16
	s_addc_u32 s9, s9, s17
	s_load_dword s46, s[8:9], 0x0
.LBB219_2:
	s_load_dword s25, s[6:7], 0x0
	s_load_dwordx4 s[16:19], s[0:1], 0x48
	s_ashr_i32 s13, s2, 31
	s_ashr_i32 s14, s14, 31
	v_and_b32_e32 v2, 7, v0
	s_lshl_b32 s26, s2, 6
	v_cmp_gt_u32_e64 s[6:7], 64, v0
	s_and_saveexec_b64 s[8:9], s[6:7]
	s_cbranch_execz .LBB219_4
; %bb.3:
	s_load_dwordx2 s[20:21], s[0:1], 0x8
	s_waitcnt lgkmcnt(0)
	s_mul_i32 s22, s24, s16
	s_ashr_i32 s23, s22, 31
	s_lshl_b64 s[22:23], s[22:23], 1
	v_lshlrev_b32_e32 v1, 1, v0
	s_add_u32 s3, s20, s22
	s_addc_u32 s15, s21, s23
	s_ashr_i32 s27, s26, 31
	s_lshl_b64 s[20:21], s[26:27], 1
	s_add_u32 s20, s3, s20
	s_addc_u32 s21, s15, s21
	global_load_ushort v1, v1, s[20:21]
	v_lshrrev_b32_e32 v3, 2, v0
	v_and_b32_e32 v3, 0xfe, v3
	v_lshl_add_u32 v3, v2, 4, v3
	s_waitcnt vmcnt(0)
	ds_write_b16 v3, v1
.LBB219_4:
	s_or_b64 exec, exec, s[8:9]
	s_mul_i32 s9, s12, s10
	s_sub_i32 s9, s11, s9
	s_xor_b32 s8, s13, s14
	s_add_i32 s11, s12, 1
	s_sub_i32 s13, s9, s10
	s_load_dwordx4 s[20:23], s[0:1], 0x68
	s_load_dword s3, s[0:1], 0x78
	s_cmp_ge_u32 s9, s10
	s_cselect_b32 s11, s11, s12
	s_cselect_b32 s9, s13, s9
	s_add_i32 s12, s11, 1
	s_cmp_ge_u32 s9, s10
	s_cselect_b32 s9, s12, s11
	s_waitcnt lgkmcnt(0)
	s_abs_i32 s27, s23
	v_cvt_f32_u32_e32 v1, s27
	s_xor_b32 s9, s9, s8
	s_sub_i32 s45, s9, s8
	s_sub_i32 s8, 0, s27
	v_rcp_iflag_f32_e32 v1, v1
	s_add_i32 s12, s25, -1
	s_abs_i32 s10, s12
	v_mul_f32_e32 v1, 0x4f7ffffe, v1
	v_cvt_u32_f32_e32 v1, v1
	s_barrier
	v_readfirstlane_b32 s33, v1
	s_mul_i32 s8, s8, s33
	s_mul_hi_u32 s8, s33, s8
	s_add_i32 s33, s33, s8
	s_cmp_lt_i32 s3, 0
	s_mul_hi_u32 s11, s10, s33
	s_cbranch_scc0 .LBB219_6
; %bb.5:
	s_mul_i32 s8, s20, s38
	s_add_i32 s8, s45, s8
	s_mul_i32 s8, s8, s3
	s_sub_i32 s38, 1, s8
	s_mov_b64 s[8:9], 0
	s_branch .LBB219_7
.LBB219_6:
	s_mov_b64 s[8:9], -1
                                        ; implicit-def: $sgpr38
.LBB219_7:
	s_load_dwordx2 s[30:31], s[0:1], 0x28
	s_ashr_i32 s16, s12, 31
	s_andn2_b64 vcc, exec, s[8:9]
	s_ashr_i32 s23, s23, 31
	s_cbranch_vccnz .LBB219_9
; %bb.8:
	s_mul_i32 s8, s5, s20
	s_add_i32 s2, s8, s2
	s_mul_i32 s2, s2, s3
	s_add_i32 s38, s2, 1
.LBB219_9:
	s_load_dword s2, s[0:1], 0x38
	s_load_dwordx2 s[28:29], s[0:1], 0x0
	s_load_dwordx2 s[36:37], s[0:1], 0x18
	s_load_dword s20, s[0:1], 0x88
	s_load_dwordx4 s[12:15], s[0:1], 0x58
	s_mul_i32 s3, s11, s27
	s_waitcnt lgkmcnt(0)
	s_mul_i32 s34, s24, s2
	s_sub_i32 s3, s10, s3
	s_ashr_i32 s35, s34, 31
	s_xor_b32 s2, s16, s23
	s_add_i32 s8, s11, 1
	s_sub_i32 s9, s3, s27
	s_cmp_ge_u32 s3, s27
	s_cselect_b32 s8, s8, s11
	s_cselect_b32 s3, s9, s3
	s_add_i32 s9, s8, 1
	s_cmp_ge_u32 s3, s27
	s_cselect_b32 s3, s9, s8
	s_xor_b32 s3, s3, s2
	s_sub_i32 s16, s3, s2
	s_add_i32 s2, s25, 7
	s_ashr_i32 s3, s2, 31
	s_lshr_b32 s3, s3, 29
	s_add_i32 s2, s2, s3
	s_ashr_i32 s44, s2, 3
	v_lshrrev_b32_e32 v1, 6, v0
	v_cmp_gt_i32_e64 s[2:3], s44, v1
	v_mov_b32_e32 v13, 0xff7fffff
	s_mul_i32 s45, s45, s18
	v_lshrrev_b32_e32 v8, 4, v0
	v_lshlrev_b32_e32 v9, 3, v1
	v_mbcnt_lo_u32_b32 v10, -1, 0
	s_and_saveexec_b64 s[18:19], s[2:3]
	s_cbranch_execz .LBB219_19
; %bb.10:
	s_load_dwordx2 s[0:1], s[0:1], 0x10
	s_sub_i32 s47, s16, s21
	s_ashr_i32 s9, s45, 31
	v_bfe_u32 v11, v0, 3, 3
	v_mov_b32_e32 v3, 0
	s_waitcnt lgkmcnt(0)
	s_add_u32 s8, s0, s45
	s_addc_u32 s9, s1, s9
	s_abs_i32 s48, s22
	v_cvt_f32_u32_e32 v4, s48
	v_lshlrev_b32_e32 v13, 2, v11
	v_lshl_or_b32 v13, v1, 5, v13
	v_add_u32_e32 v16, 0x90, v13
	v_rcp_iflag_f32_e32 v5, v4
	v_lshlrev_b32_e32 v4, 4, v11
	v_subrev_u32_e32 v13, s25, v11
	v_mbcnt_hi_u32_b32 v19, -1, v10
	v_mul_f32_e32 v5, 0x4f7ffffe, v5
	v_cvt_u32_f32_e32 v6, v5
	v_mov_b32_e32 v5, v3
	v_lshl_add_u64 v[4:5], s[8:9], 0, v[4:5]
	s_sub_i32 s8, 0, s48
	v_mul_lo_u32 v7, s8, v6
	s_lshl_b64 s[8:9], s[34:35], 2
	v_mul_hi_u32 v7, v6, v7
	s_add_u32 s8, s30, s8
	v_add_u32_e32 v14, v6, v7
	v_and_b32_e32 v6, 60, v8
	v_mov_b32_e32 v7, v3
	s_addc_u32 s9, s31, s9
	v_add_u32_e32 v17, 1, v13
	v_and_b32_e32 v13, 64, v19
	v_cmp_eq_u32_e32 vcc, 0, v2
	s_mov_b32 s49, s17
	v_lshlrev_b32_e32 v12, 4, v2
	v_cmp_neq_f32_e64 s[0:1], s46, 0
	v_lshl_add_u64 v[6:7], s[8:9], 0, v[6:7]
	v_lshlrev_b32_e32 v15, 3, v1
	s_mov_b64 s[40:41], 0
	v_mov_b32_e32 v18, 0xff7fffff
	v_add_u32_e32 v20, 64, v13
	v_xor_b32_e32 v21, 4, v19
	v_xor_b32_e32 v22, 2, v19
	;; [unrolled: 1-line block ×3, first 2 shown]
	v_mov_b32_e32 v13, 0xff7fffff
	v_mov_b32_e32 v24, v1
	s_branch .LBB219_13
.LBB219_11:                             ;   in Loop: Header=BB219_13 Depth=1
	s_or_b64 exec, exec, s[42:43]
.LBB219_12:                             ;   in Loop: Header=BB219_13 Depth=1
	s_or_b64 exec, exec, s[10:11]
	v_add_u32_e32 v24, 2, v24
	v_cmp_le_i32_e64 s[8:9], s44, v24
	v_lshl_add_u64 v[6:7], v[6:7], 0, 8
	v_add_u32_e32 v15, 16, v15
	s_or_b64 s[40:41], s[8:9], s[40:41]
	v_add_u32_e32 v16, 64, v16
	s_andn2_b64 exec, exec, s[40:41]
	s_cbranch_execz .LBB219_18
.LBB219_13:                             ; =>This Inner Loop Header: Depth=1
	v_mul_hi_u32 v25, v15, s33
	s_waitcnt lgkmcnt(0)
	v_mul_lo_u32 v26, v25, s27
	v_sub_u32_e32 v26, v15, v26
	v_add_u32_e32 v27, 1, v25
	v_cmp_le_u32_e64 s[8:9], s27, v26
	s_nop 1
	v_cndmask_b32_e64 v25, v25, v27, s[8:9]
	v_subrev_u32_e32 v27, s27, v26
	v_cndmask_b32_e64 v26, v26, v27, s[8:9]
	v_add_u32_e32 v27, 1, v25
	v_cmp_le_u32_e64 s[8:9], s27, v26
	s_nop 1
	v_cndmask_b32_e64 v25, v25, v27, s[8:9]
	v_xor_b32_e32 v25, s23, v25
	v_subrev_u32_e32 v25, s23, v25
	v_add_u32_e32 v26, s38, v25
	v_sub_u32_e32 v28, 0, v26
	v_ashrrev_i32_e32 v27, 31, v26
	v_max_i32_e32 v26, v26, v28
	v_mul_hi_u32 v28, v26, v14
	v_mul_lo_u32 v28, v28, s48
	v_sub_u32_e32 v26, v26, v28
	v_subrev_u32_e32 v28, s48, v26
	v_cmp_le_u32_e64 s[8:9], s48, v26
	v_cmp_ge_i32_e64 s[10:11], s47, v25
	s_nop 0
	v_cndmask_b32_e64 v26, v26, v28, s[8:9]
	v_subrev_u32_e32 v28, s48, v26
	v_cmp_le_u32_e64 s[8:9], s48, v26
	s_nop 1
	v_cndmask_b32_e64 v26, v26, v28, s[8:9]
	v_xor_b32_e32 v26, v26, v27
	v_sub_u32_e32 v26, v26, v27
	v_cmp_ne_u32_e64 s[8:9], 0, v26
	s_and_b64 s[8:9], s[8:9], s[10:11]
	s_and_b64 s[42:43], vcc, s[8:9]
	s_and_saveexec_b64 s[10:11], s[42:43]
	s_cbranch_execz .LBB219_15
; %bb.14:                               ;   in Loop: Header=BB219_13 Depth=1
	ds_write_b32 v16, v18
.LBB219_15:                             ;   in Loop: Header=BB219_13 Depth=1
	s_or_b64 exec, exec, s[10:11]
	s_xor_b64 s[8:9], s[8:9], -1
	s_and_saveexec_b64 s[10:11], s[8:9]
	s_cbranch_execz .LBB219_12
; %bb.16:                               ;   in Loop: Header=BB219_13 Depth=1
	global_load_dword v25, v[6:7], off
	s_waitcnt vmcnt(0)
	v_mad_i64_i32 v[26:27], s[8:9], v25, s49, v[4:5]
	v_lshl_add_u64 v[26:27], v[26:27], 0, v[2:3]
	global_load_ubyte v25, v[26:27], off
	global_load_ubyte v28, v[26:27], off offset:8
	global_load_dword v29, v3, s[12:13]
	global_load_ubyte v30, v[26:27], off offset:128
	global_load_ubyte v31, v[26:27], off offset:136
	;; [unrolled: 1-line block ×6, first 2 shown]
	ds_read_u16 v26, v12
	s_waitcnt lgkmcnt(0)
	;;#ASMSTART
	v_cvt_f32_f16 v26, v26;
	;;#ASMEND
	v_cmp_lt_i32_e64 s[8:9], v21, v20
	s_waitcnt vmcnt(8)
	v_cvt_f32_fp8_sdwa v25, v25 src0_sel:BYTE_0
	s_waitcnt vmcnt(7)
	v_cvt_f32_fp8_sdwa v28, v28 src0_sel:BYTE_0
	v_cndmask_b32_e64 v27, v19, v21, s[8:9]
	s_waitcnt vmcnt(5)
	v_cvt_f32_fp8_sdwa v30, v30 src0_sel:BYTE_0
	v_fma_mixlo_f16 v25, v29, v25, 0
	v_and_b32_e32 v25, 0xffff, v25
	v_fma_mixlo_f16 v28, v29, v28, 0
	s_waitcnt vmcnt(4)
	v_cvt_f32_fp8_sdwa v31, v31 src0_sel:BYTE_0
	;;#ASMSTART
	v_cvt_f32_f16 v25, v25;
	;;#ASMEND
	ds_read_u16 v36, v12 offset:2
	v_and_b32_e32 v28, 0xffff, v28
	s_waitcnt vmcnt(3)
	v_cvt_f32_fp8_sdwa v32, v32 src0_sel:BYTE_0
	s_waitcnt lgkmcnt(0)
	;;#ASMSTART
	v_cvt_f32_f16 v36, v36;
	;;#ASMEND
	;;#ASMSTART
	v_cvt_f32_f16 v28, v28;
	;;#ASMEND
	s_waitcnt vmcnt(2)
	v_cvt_f32_fp8_sdwa v33, v33 src0_sel:BYTE_0
	v_fma_mixlo_f16 v30, v29, v30, 0
	v_mul_f32_e32 v28, v36, v28
	ds_read_u16 v37, v12 offset:4
	v_and_b32_e32 v30, 0xffff, v30
	s_waitcnt vmcnt(1)
	v_cvt_f32_fp8_sdwa v34, v34 src0_sel:BYTE_0
	v_fma_mixlo_f16 v31, v29, v31, 0
	s_waitcnt vmcnt(0)
	v_cvt_f32_fp8_sdwa v35, v35 src0_sel:BYTE_0
	v_fmac_f32_e32 v28, v26, v25
	s_waitcnt lgkmcnt(0)
	;;#ASMSTART
	v_cvt_f32_f16 v37, v37;
	;;#ASMEND
	;;#ASMSTART
	v_cvt_f32_f16 v30, v30;
	;;#ASMEND
	ds_read_u16 v38, v12 offset:6
	v_and_b32_e32 v31, 0xffff, v31
	v_fma_mixlo_f16 v32, v29, v32, 0
	v_fmac_f32_e32 v28, v37, v30
	s_waitcnt lgkmcnt(0)
	;;#ASMSTART
	v_cvt_f32_f16 v38, v38;
	;;#ASMEND
	;;#ASMSTART
	v_cvt_f32_f16 v31, v31;
	;;#ASMEND
	ds_read_u16 v39, v12 offset:8
	v_fma_mixlo_f16 v33, v29, v33, 0
	v_and_b32_e32 v32, 0xffff, v32
	v_fmac_f32_e32 v28, v38, v31
	s_waitcnt lgkmcnt(0)
	;;#ASMSTART
	v_cvt_f32_f16 v39, v39;
	;;#ASMEND
	;;#ASMSTART
	v_cvt_f32_f16 v32, v32;
	;;#ASMEND
	v_and_b32_e32 v33, 0xffff, v33
	v_fmac_f32_e32 v28, v39, v32
	ds_read_u16 v40, v12 offset:10
	v_fma_mixlo_f16 v34, v29, v34, 0
	v_fma_mixlo_f16 v29, v29, v35, 0
	s_waitcnt lgkmcnt(0)
	;;#ASMSTART
	v_cvt_f32_f16 v35, v40;
	;;#ASMEND
	;;#ASMSTART
	v_cvt_f32_f16 v33, v33;
	;;#ASMEND
	v_and_b32_e32 v34, 0xffff, v34
	v_fmac_f32_e32 v28, v35, v33
	ds_read_u16 v40, v12 offset:12
	s_waitcnt lgkmcnt(0)
	;;#ASMSTART
	v_cvt_f32_f16 v25, v40;
	;;#ASMEND
	;;#ASMSTART
	v_cvt_f32_f16 v26, v34;
	;;#ASMEND
	v_lshlrev_b32_e32 v27, 2, v27
	v_fmac_f32_e32 v28, v25, v26
	v_and_b32_e32 v29, 0xffff, v29
	ds_read_u16 v30, v12 offset:14
	s_waitcnt lgkmcnt(0)
	;;#ASMSTART
	v_cvt_f32_f16 v25, v30;
	;;#ASMEND
	;;#ASMSTART
	v_cvt_f32_f16 v26, v29;
	;;#ASMEND
	v_cmp_lt_i32_e64 s[8:9], v22, v20
	v_fmac_f32_e32 v28, v25, v26
	ds_bpermute_b32 v25, v27, v28
	v_cndmask_b32_e64 v26, v19, v22, s[8:9]
	v_lshlrev_b32_e32 v26, 2, v26
	v_cmp_lt_i32_e64 s[8:9], v23, v20
	s_waitcnt lgkmcnt(0)
	v_add_f32_e32 v25, v28, v25
	ds_bpermute_b32 v26, v26, v25
	v_cndmask_b32_e64 v27, v19, v23, s[8:9]
	s_waitcnt lgkmcnt(0)
	v_add_f32_e32 v25, v25, v26
	v_lshlrev_b32_e32 v26, 2, v27
	ds_bpermute_b32 v26, v26, v25
	s_and_saveexec_b64 s[42:43], vcc
	s_cbranch_execz .LBB219_11
; %bb.17:                               ;   in Loop: Header=BB219_13 Depth=1
	v_add_u32_e32 v27, v17, v15
	v_cvt_f32_i32_e32 v27, v27
	s_waitcnt lgkmcnt(0)
	v_add_f32_e32 v25, v25, v26
	v_add_u32_e32 v28, v11, v15
	v_cmp_gt_i32_e64 s[8:9], s25, v28
	v_mul_f32_e32 v26, s46, v27
	v_cndmask_b32_e64 v26, 0, v26, s[0:1]
	v_fmac_f32_e32 v26, s39, v25
	v_cndmask_b32_e64 v25, 0, v26, s[8:9]
	ds_write_b32 v16, v25
	v_max_f32_e32 v25, v13, v13
	v_max_f32_e32 v25, v25, v26
	v_cndmask_b32_e64 v13, v13, v25, s[8:9]
	s_branch .LBB219_11
.LBB219_18:
	s_or_b64 exec, exec, s[40:41]
.LBB219_19:
	s_or_b64 exec, exec, s[18:19]
	v_mbcnt_hi_u32_b32 v2, -1, v10
	v_and_b32_e32 v3, 64, v2
	v_add_u32_e32 v3, 64, v3
	v_xor_b32_e32 v4, 32, v2
	v_cmp_lt_i32_e32 vcc, v4, v3
	v_xor_b32_e32 v7, 16, v2
	v_max_f32_e32 v6, v13, v13
	v_cndmask_b32_e32 v4, v2, v4, vcc
	v_lshlrev_b32_e32 v5, 2, v4
	ds_bpermute_b32 v4, v5, v13
	v_cmp_lt_i32_e32 vcc, v7, v3
	v_xor_b32_e32 v10, 8, v2
	v_and_b32_e32 v16, 63, v0
	s_waitcnt lgkmcnt(0)
	v_max_f32_e32 v4, v4, v4
	v_max_f32_e32 v4, v6, v4
	v_cndmask_b32_e32 v6, v2, v7, vcc
	v_lshlrev_b32_e32 v7, 2, v6
	ds_bpermute_b32 v6, v7, v4
	v_cmp_lt_i32_e32 vcc, v10, v3
	s_waitcnt lgkmcnt(0)
	v_max_f32_e32 v6, v6, v6
	v_max_f32_e32 v6, v4, v6
	v_cndmask_b32_e32 v4, v2, v10, vcc
	v_lshlrev_b32_e32 v11, 2, v4
	ds_bpermute_b32 v10, v11, v6
	v_cmp_eq_u32_e32 vcc, 0, v16
	v_lshlrev_b32_e32 v4, 2, v1
	s_and_saveexec_b64 s[0:1], vcc
	s_cbranch_execz .LBB219_21
; %bb.20:
	s_waitcnt lgkmcnt(0)
	v_max_f32_e32 v10, v10, v10
	v_max_f32_e32 v6, v6, v6
	;; [unrolled: 1-line block ×3, first 2 shown]
	ds_write_b32 v4, v6 offset:128
.LBB219_21:
	s_or_b64 exec, exec, s[0:1]
	v_cmp_gt_u32_e64 s[0:1], 2, v16
	v_mov_b32_e32 v12, 0xff7fffff
	v_lshlrev_b32_e32 v6, 2, v16
	s_waitcnt lgkmcnt(0)
	s_barrier
	s_and_saveexec_b64 s[8:9], s[0:1]
	s_cbranch_execz .LBB219_23
; %bb.22:
	ds_read_b32 v12, v6 offset:128
.LBB219_23:
	s_or_b64 exec, exec, s[8:9]
	v_xor_b32_e32 v10, 1, v2
	v_cmp_lt_i32_e64 s[8:9], v10, v3
	v_lshlrev_b32_e32 v14, 2, v2
	s_nop 0
	v_cndmask_b32_e64 v10, v2, v10, s[8:9]
	v_lshlrev_b32_e32 v10, 2, v10
	s_waitcnt lgkmcnt(0)
	ds_bpermute_b32 v13, v10, v12
	v_max_f32_e32 v12, v12, v12
	s_lshl_b32 s8, s44, 3
	s_min_i32 s39, s8, s25
	v_cmp_gt_i32_e64 s[8:9], s39, v0
	s_waitcnt lgkmcnt(0)
	v_max_f32_e32 v13, v13, v13
	v_max_f32_e32 v13, v12, v13
	v_and_b32_e32 v12, 0x100, v14
	ds_bpermute_b32 v14, v12, v13
	v_mov_b32_e32 v13, 0
	s_and_saveexec_b64 s[12:13], s[8:9]
	s_cbranch_execz .LBB219_27
; %bb.24:
	v_mov_b32_e32 v13, 0x90
	v_lshl_add_u32 v15, v0, 2, v13
	s_mov_b64 s[18:19], 0
	v_mov_b32_e32 v13, 0
	v_mov_b32_e32 v17, v0
.LBB219_25:                             ; =>This Inner Loop Header: Depth=1
	ds_read_b32 v18, v15
	v_add_u32_e32 v17, 0x80, v17
	v_cmp_le_i32_e64 s[10:11], s39, v17
	s_or_b64 s[18:19], s[10:11], s[18:19]
	s_waitcnt lgkmcnt(0)
	v_sub_f32_e32 v18, v18, v14
	v_mul_f32_e32 v18, 0x3fb8aa3b, v18
	v_exp_f32_e32 v18, v18
	ds_write_b32 v15, v18
	v_add_f32_e32 v13, v13, v18
	v_add_u32_e32 v15, 0x200, v15
	s_andn2_b64 exec, exec, s[18:19]
	s_cbranch_execnz .LBB219_25
; %bb.26:
	s_or_b64 exec, exec, s[18:19]
.LBB219_27:
	s_or_b64 exec, exec, s[12:13]
	ds_bpermute_b32 v5, v5, v13
	s_waitcnt lgkmcnt(0)
	v_add_f32_e32 v5, v13, v5
	ds_bpermute_b32 v7, v7, v5
	s_waitcnt lgkmcnt(0)
	v_add_f32_e32 v5, v5, v7
	ds_bpermute_b32 v7, v11, v5
	v_xor_b32_e32 v11, 4, v2
	v_cmp_lt_i32_e64 s[10:11], v11, v3
	s_waitcnt lgkmcnt(0)
	v_add_f32_e32 v5, v5, v7
	v_cndmask_b32_e64 v11, v2, v11, s[10:11]
	v_lshlrev_b32_e32 v11, 2, v11
	ds_bpermute_b32 v7, v11, v5
	v_xor_b32_e32 v11, 2, v2
	v_cmp_lt_i32_e64 s[10:11], v11, v3
	s_waitcnt lgkmcnt(0)
	v_add_f32_e32 v3, v5, v7
	v_cndmask_b32_e64 v2, v2, v11, s[10:11]
	v_lshlrev_b32_e32 v2, 2, v2
	ds_bpermute_b32 v2, v2, v3
	s_waitcnt lgkmcnt(0)
	v_add_f32_e32 v2, v3, v2
	ds_bpermute_b32 v3, v10, v2
	s_waitcnt lgkmcnt(0)
	v_add_f32_e32 v2, v2, v3
	s_and_saveexec_b64 s[10:11], vcc
	s_cbranch_execz .LBB219_29
; %bb.28:
	ds_write_b32 v4, v2 offset:136
.LBB219_29:
	s_or_b64 exec, exec, s[10:11]
	s_waitcnt lgkmcnt(0)
	s_barrier
	s_and_saveexec_b64 s[10:11], s[0:1]
	s_cbranch_execz .LBB219_31
; %bb.30:
	ds_read_b32 v2, v6 offset:136
.LBB219_31:
	s_or_b64 exec, exec, s[10:11]
	s_waitcnt lgkmcnt(0)
	ds_bpermute_b32 v3, v10, v2
	s_waitcnt lgkmcnt(0)
	v_add_f32_e32 v2, v2, v3
	ds_bpermute_b32 v2, v12, v2
	s_and_saveexec_b64 s[0:1], s[8:9]
	s_cbranch_execz .LBB219_44
; %bb.32:
	s_waitcnt lgkmcnt(0)
	v_add_f32_e32 v2, 0x358637bd, v2
	v_div_scale_f32 v3, s[8:9], v2, v2, 1.0
	v_rcp_f32_e32 v4, v3
	v_div_scale_f32 v5, vcc, 1.0, v2, 1.0
	s_movk_i32 s8, 0x7f
	v_fma_f32 v6, -v3, v4, 1.0
	v_fmac_f32_e32 v4, v6, v4
	v_mul_f32_e32 v6, v5, v4
	v_fma_f32 v7, -v3, v6, v5
	v_fmac_f32_e32 v6, v7, v4
	v_fma_f32 v3, -v3, v6, v5
	v_div_fmas_f32 v3, v3, v4, v6
	v_xad_u32 v4, v0, -1, s39
	v_div_fixup_f32 v2, v3, v2, 1.0
	v_cmp_lt_u32_e32 vcc, s8, v4
	s_mov_b64 s[10:11], -1
	v_mov_b32_e32 v3, v0
	s_and_saveexec_b64 s[8:9], vcc
	s_cbranch_execz .LBB219_41
; %bb.33:
	v_lshrrev_b32_e32 v4, 7, v4
	v_add_u32_e32 v6, -1, v4
	v_lshrrev_b32_e32 v5, 1, v6
	v_mov_b32_e32 v3, v2
	v_add_u32_e32 v5, 1, v5
	v_cmp_lt_u32_e32 vcc, 13, v6
	v_mov_b32_e32 v10, 0
	s_and_saveexec_b64 s[10:11], vcc
	s_cbranch_execz .LBB219_37
; %bb.34:
	v_mov_b32_e32 v7, 0x90
	v_and_b32_e32 v6, -8, v5
	v_lshl_add_u32 v7, v0, 2, v7
	s_mov_b32 s18, 0
	s_mov_b64 s[12:13], 0
.LBB219_35:                             ; =>This Inner Loop Header: Depth=1
	ds_read2st64_b32 v[10:11], v7 offset1:2
	ds_read2st64_b32 v[12:13], v7 offset0:4 offset1:6
	ds_read2st64_b32 v[14:15], v7 offset0:8 offset1:10
	;; [unrolled: 1-line block ×3, first 2 shown]
	v_add_u32_e32 v6, -8, v6
	s_waitcnt lgkmcnt(3)
	v_pk_mul_f32 v[10:11], v[2:3], v[10:11]
	s_waitcnt lgkmcnt(2)
	v_pk_mul_f32 v[12:13], v[2:3], v[12:13]
	ds_write2st64_b32 v7, v10, v11 offset1:2
	ds_write2st64_b32 v7, v12, v13 offset0:4 offset1:6
	ds_read2st64_b32 v[12:13], v7 offset0:16 offset1:18
	s_waitcnt lgkmcnt(4)
	v_pk_mul_f32 v[10:11], v[2:3], v[14:15]
	ds_write2st64_b32 v7, v10, v11 offset0:8 offset1:10
	s_waitcnt lgkmcnt(4)
	v_pk_mul_f32 v[10:11], v[2:3], v[18:19]
	ds_write2st64_b32 v7, v10, v11 offset0:12 offset1:14
	ds_read2st64_b32 v[10:11], v7 offset0:20 offset1:22
	s_waitcnt lgkmcnt(3)
	v_pk_mul_f32 v[12:13], v[2:3], v[12:13]
	ds_read2st64_b32 v[14:15], v7 offset0:24 offset1:26
	ds_write2st64_b32 v7, v12, v13 offset0:16 offset1:18
	ds_read2st64_b32 v[12:13], v7 offset0:28 offset1:30
	s_waitcnt lgkmcnt(3)
	v_pk_mul_f32 v[10:11], v[2:3], v[10:11]
	ds_write2st64_b32 v7, v10, v11 offset0:20 offset1:22
	s_waitcnt lgkmcnt(3)
	v_pk_mul_f32 v[10:11], v[2:3], v[14:15]
	ds_write2st64_b32 v7, v10, v11 offset0:24 offset1:26
	s_waitcnt lgkmcnt(2)
	v_pk_mul_f32 v[10:11], v[2:3], v[12:13]
	s_add_i32 s18, s18, 16
	v_cmp_eq_u32_e32 vcc, 0, v6
	ds_write2st64_b32 v7, v10, v11 offset0:28 offset1:30
	v_add_u32_e32 v7, 0x2000, v7
	s_or_b64 s[12:13], vcc, s[12:13]
	v_mov_b32_e32 v10, s18
	s_andn2_b64 exec, exec, s[12:13]
	s_cbranch_execnz .LBB219_35
; %bb.36:
	s_or_b64 exec, exec, s[12:13]
.LBB219_37:
	s_or_b64 exec, exec, s[10:11]
	v_and_b32_e32 v5, 7, v5
	v_cmp_ne_u32_e32 vcc, 0, v5
	s_and_saveexec_b64 s[10:11], vcc
	s_cbranch_execz .LBB219_40
; %bb.38:
	v_lshlrev_b32_e32 v6, 9, v10
	v_lshlrev_b32_e32 v7, 2, v0
	s_movk_i32 s12, 0x90
	v_add3_u32 v6, v6, v7, s12
	s_mov_b64 s[12:13], 0
.LBB219_39:                             ; =>This Inner Loop Header: Depth=1
	ds_read2st64_b32 v[10:11], v6 offset1:2
	v_add_u32_e32 v5, -1, v5
	v_cmp_eq_u32_e32 vcc, 0, v5
	s_or_b64 s[12:13], vcc, s[12:13]
	s_waitcnt lgkmcnt(0)
	v_pk_mul_f32 v[10:11], v[2:3], v[10:11]
	ds_write2st64_b32 v6, v10, v11 offset1:2
	v_add_u32_e32 v6, 0x400, v6
	s_andn2_b64 exec, exec, s[12:13]
	s_cbranch_execnz .LBB219_39
.LBB219_40:
	s_or_b64 exec, exec, s[10:11]
	v_add_u32_e32 v4, 1, v4
	v_and_b32_e32 v5, 0x3fffffe, v4
	v_cmp_ne_u32_e32 vcc, v4, v5
	v_lshl_add_u32 v3, v5, 7, v0
	s_orn2_b64 s[10:11], vcc, exec
.LBB219_41:
	s_or_b64 exec, exec, s[8:9]
	s_and_b64 exec, exec, s[10:11]
	s_cbranch_execz .LBB219_44
; %bb.42:
	v_mov_b32_e32 v4, 0x90
	v_lshl_add_u32 v4, v3, 2, v4
	s_mov_b64 s[8:9], 0
.LBB219_43:                             ; =>This Inner Loop Header: Depth=1
	ds_read_b32 v5, v4
	v_add_u32_e32 v3, 0x80, v3
	v_cmp_le_i32_e32 vcc, s39, v3
	s_or_b64 s[8:9], vcc, s[8:9]
	s_waitcnt lgkmcnt(0)
	v_mul_f32_e32 v5, v2, v5
	ds_write_b32 v4, v5
	v_add_u32_e32 v4, 0x200, v4
	s_andn2_b64 exec, exec, s[8:9]
	s_cbranch_execnz .LBB219_43
.LBB219_44:
	s_or_b64 exec, exec, s[0:1]
	v_mov_b32_e32 v17, 0
	s_waitcnt lgkmcnt(0)
	s_barrier
	s_and_saveexec_b64 s[8:9], s[2:3]
	s_cbranch_execz .LBB219_116
; %bb.45:
	s_sub_i32 s18, s16, s21
	s_ashr_i32 s1, s45, 31
	s_add_u32 s0, s36, s45
	s_addc_u32 s1, s37, s1
	s_abs_i32 s19, s22
	v_cvt_f32_u32_e32 v2, s19
	v_mov_b32_e32 v3, 0
	s_add_i32 s36, s44, -1
	s_mov_b32 s21, s17
	v_rcp_iflag_f32_e32 v4, v2
	v_lshlrev_b32_e32 v2, 3, v16
	s_mov_b32 s22, s25
	s_mov_b64 s[2:3], 0
	v_mul_f32_e32 v4, 0x4f7ffffe, v4
	v_cvt_u32_f32_e32 v6, v4
	v_lshl_add_u64 v[4:5], s[0:1], 0, v[2:3]
	s_sub_i32 s0, 0, s19
	s_mov_b32 s37, 0x3020706
	v_mul_lo_u32 v2, s0, v6
	s_lshl_b64 s[0:1], s[34:35], 2
	v_mul_hi_u32 v2, v6, v2
	s_add_u32 s0, s30, s0
	v_add_u32_e32 v18, v6, v2
	v_and_b32_e32 v2, 60, v8
	s_addc_u32 s1, s31, s1
	v_lshl_add_u64 v[6:7], s[0:1], 0, v[2:3]
	v_mov_b32_e32 v2, 0x90
	v_lshl_add_u32 v19, v1, 5, v2
	s_movk_i32 s30, 0x7f
	s_movk_i32 s31, 0x80
	s_mov_b32 s34, 0x8000
	s_movk_i32 s35, 0x380
	s_mov_b32 s39, 0x1000504
	s_mov_b32 s40, 0x5040100
	v_mov_b32_e32 v20, 0x1c00
	v_mov_b32_e32 v17, 0
	s_branch .LBB219_48
.LBB219_46:                             ;   in Loop: Header=BB219_48 Depth=1
	s_or_b64 exec, exec, s[10:11]
	v_and_b32_e32 v12, 0xffff, v21
	v_and_b32_e32 v13, 0xffff, v23
	v_lshl_or_b32 v12, v22, 16, v12
	v_lshl_or_b32 v13, v24, 16, v13
	v_and_b32_e32 v14, 0xffff, v25
	v_and_b32_e32 v15, 0xffff, v27
	;;#ASMSTART
	v_pk_mul_f16 v11, v12, v11;

	;;#ASMEND
	;;#ASMSTART
	v_pk_mul_f16 v2, v13, v2;

	;;#ASMEND
	v_lshl_or_b32 v14, v26, 16, v14
	v_lshl_or_b32 v15, v28, 16, v15
	;;#ASMSTART
	v_pk_mul_f16 v10, v14, v10;

	;;#ASMEND
	;;#ASMSTART
	v_pk_mul_f16 v8, v15, v8;

	;;#ASMEND
	;;#ASMSTART
	v_pk_add_f16 v2, v11, v2;

	;;#ASMEND
	s_nop 0
	;;#ASMSTART
	v_pk_add_f16 v2, v2, v10;

	;;#ASMEND
	s_nop 0
	;; [unrolled: 5-line block ×3, first 2 shown]
	v_lshrrev_b32_e32 v8, 16, v2
	v_and_b32_e32 v2, 0xffff, v2
	;;#ASMSTART
	v_cvt_f32_f16 v2, v2;
	;;#ASMEND
	;;#ASMSTART
	v_cvt_f32_f16 v8, v8;
	;;#ASMEND
	s_nop 0
	v_add_f32_e32 v2, v2, v8
	v_add_f32_e32 v17, v17, v2
.LBB219_47:                             ;   in Loop: Header=BB219_48 Depth=1
	s_or_b64 exec, exec, s[0:1]
	v_add_u32_e32 v1, 2, v1
	v_cmp_le_i32_e32 vcc, s44, v1
	v_lshl_add_u64 v[6:7], v[6:7], 0, 8
	v_add_u32_e32 v9, 16, v9
	s_or_b64 s[2:3], vcc, s[2:3]
	v_add_u32_e32 v19, 64, v19
	s_andn2_b64 exec, exec, s[2:3]
	s_cbranch_execz .LBB219_115
.LBB219_48:                             ; =>This Inner Loop Header: Depth=1
	v_mul_hi_u32 v2, v9, s33
	v_mul_lo_u32 v8, v2, s27
	v_sub_u32_e32 v8, v9, v8
	v_add_u32_e32 v10, 1, v2
	v_cmp_le_u32_e32 vcc, s27, v8
	s_nop 1
	v_cndmask_b32_e32 v2, v2, v10, vcc
	v_subrev_u32_e32 v10, s27, v8
	v_cndmask_b32_e32 v8, v8, v10, vcc
	v_add_u32_e32 v10, 1, v2
	v_cmp_le_u32_e32 vcc, s27, v8
	s_nop 1
	v_cndmask_b32_e32 v2, v2, v10, vcc
	v_xor_b32_e32 v2, s23, v2
	v_subrev_u32_e32 v2, s23, v2
	v_add_u32_e32 v8, s38, v2
	v_sub_u32_e32 v11, 0, v8
	v_ashrrev_i32_e32 v10, 31, v8
	v_max_i32_e32 v8, v8, v11
	v_mul_hi_u32 v11, v8, v18
	v_mul_lo_u32 v11, v11, s19
	v_sub_u32_e32 v8, v8, v11
	v_subrev_u32_e32 v11, s19, v8
	v_cmp_le_u32_e32 vcc, s19, v8
	v_cmp_lt_i32_e64 s[0:1], s18, v2
	s_nop 0
	v_cndmask_b32_e32 v8, v8, v11, vcc
	v_subrev_u32_e32 v11, s19, v8
	v_cmp_le_u32_e32 vcc, s19, v8
	s_nop 1
	v_cndmask_b32_e32 v8, v8, v11, vcc
	v_xor_b32_e32 v8, v8, v10
	v_sub_u32_e32 v8, v8, v10
	v_cmp_eq_u32_e32 vcc, 0, v8
	s_or_b64 s[10:11], vcc, s[0:1]
	s_and_saveexec_b64 s[0:1], s[10:11]
	s_cbranch_execz .LBB219_47
; %bb.49:                               ;   in Loop: Header=BB219_48 Depth=1
	ds_read2_b64 v[10:13], v19 offset1:1
	ds_read2_b64 v[26:29], v19 offset0:2 offset1:3
                                        ; implicit-def: $sgpr41
	s_waitcnt lgkmcnt(1)
	;;#ASMSTART
	v_cvt_f16_f32 v21, v10;

	;;#ASMEND
	;;#ASMSTART
	v_cvt_f16_f32 v22, v11;

	;;#ASMEND
	;; [unrolled: 4-line block ×4, first 2 shown]
	s_waitcnt lgkmcnt(0)
	;;#ASMSTART
	v_cvt_f16_f32 v25, v26;

	;;#ASMEND
	;;#ASMSTART
	v_cvt_f16_f32 v26, v27;

	;;#ASMEND
	;; [unrolled: 4-line block ×4, first 2 shown]
	global_load_dword v2, v[6:7], off
	s_waitcnt vmcnt(0)
	v_mad_i64_i32 v[12:13], s[10:11], v2, s21, v[4:5]
	global_load_dwordx2 v[10:11], v[12:13], off
	global_load_dword v8, v3, s[14:15]
	s_mov_b64 s[10:11], 0
	s_waitcnt vmcnt(1)
	v_cmp_gt_i16_sdwa s[12:13], v10, s30 src0_sel:BYTE_0 src1_sel:DWORD
	s_and_saveexec_b64 s[16:17], s[12:13]
	s_xor_b64 s[12:13], exec, s[16:17]
	s_cbranch_execnz .LBB219_83
; %bb.50:                               ;   in Loop: Header=BB219_48 Depth=1
	s_or_saveexec_b64 s[12:13], s[12:13]
	v_mov_b32_e32 v12, s41
	s_xor_b64 exec, exec, s[12:13]
	s_cbranch_execnz .LBB219_86
.LBB219_51:                             ;   in Loop: Header=BB219_48 Depth=1
	s_or_b64 exec, exec, s[12:13]
	s_and_saveexec_b64 s[12:13], s[10:11]
	s_cbranch_execz .LBB219_53
.LBB219_52:                             ;   in Loop: Header=BB219_48 Depth=1
	v_and_b32_e32 v2, 7, v10
	v_ffbh_u32_e32 v2, v2
	v_bfe_u32 v12, v10, 3, 4
	v_min_u32_e32 v2, 32, v2
	v_subrev_u32_e32 v13, 28, v2
	v_sub_u32_e32 v2, 29, v2
	v_cmp_eq_u32_e32 vcc, 0, v12
	s_nop 1
	v_cndmask_b32_e32 v2, v12, v2, vcc
	v_cndmask_b32_e32 v12, 0, v13, vcc
	v_lshlrev_b64 v[12:13], v12, v[10:11]
	v_lshlrev_b32_e32 v13, 8, v10
	v_lshl_add_u32 v2, v2, 10, v20
	v_lshlrev_b32_e32 v12, 7, v12
	v_and_or_b32 v2, v13, s34, v2
	v_and_or_b32 v2, v12, s35, v2
	v_cvt_f32_f16_e32 v12, v2
.LBB219_53:                             ;   in Loop: Header=BB219_48 Depth=1
	s_or_b64 exec, exec, s[12:13]
	v_lshrrev_b16_e32 v2, 8, v10
	v_cmp_lt_i16_e32 vcc, s30, v2
	s_mov_b64 s[10:11], 0
                                        ; implicit-def: $sgpr41
	s_and_saveexec_b64 s[12:13], vcc
	s_xor_b64 s[12:13], exec, s[12:13]
	s_cbranch_execnz .LBB219_87
; %bb.54:                               ;   in Loop: Header=BB219_48 Depth=1
	s_or_saveexec_b64 s[12:13], s[12:13]
	v_mov_b32_e32 v14, s41
	s_xor_b64 exec, exec, s[12:13]
	s_cbranch_execnz .LBB219_90
.LBB219_55:                             ;   in Loop: Header=BB219_48 Depth=1
	s_or_b64 exec, exec, s[12:13]
	s_and_saveexec_b64 s[12:13], s[10:11]
	s_cbranch_execz .LBB219_57
.LBB219_56:                             ;   in Loop: Header=BB219_48 Depth=1
	v_and_b32_e32 v13, 7, v2
	v_ffbh_u32_e32 v14, v13
	v_min_u32_e32 v30, 32, v14
	v_subrev_u32_e32 v14, 28, v30
	v_bfe_u32 v29, v2, 3, 4
	v_lshlrev_b64 v[14:15], v14, v[2:3]
	v_sub_u32_e32 v15, 29, v30
	v_cmp_eq_u32_e32 vcc, 0, v29
	v_and_b32_e32 v14, 7, v14
	v_lshlrev_b32_e32 v2, 8, v2
	v_cndmask_b32_e32 v15, v29, v15, vcc
	v_cndmask_b32_e32 v13, v13, v14, vcc
	v_lshl_add_u32 v14, v15, 10, v20
	v_and_or_b32 v2, v2, s34, v14
	v_lshl_or_b32 v2, v13, 7, v2
	v_cvt_f32_f16_e32 v14, v2
.LBB219_57:                             ;   in Loop: Header=BB219_48 Depth=1
	s_or_b64 exec, exec, s[12:13]
	v_lshrrev_b32_e32 v2, 16, v10
	v_cmp_gt_i16_sdwa s[12:13], v2, s30 src0_sel:BYTE_0 src1_sel:DWORD
	s_mov_b64 s[10:11], 0
                                        ; implicit-def: $sgpr41
	s_and_saveexec_b64 s[16:17], s[12:13]
	s_xor_b64 s[12:13], exec, s[16:17]
	s_cbranch_execnz .LBB219_91
; %bb.58:                               ;   in Loop: Header=BB219_48 Depth=1
	s_or_saveexec_b64 s[12:13], s[12:13]
	v_mov_b32_e32 v13, s41
	s_xor_b64 exec, exec, s[12:13]
	s_cbranch_execnz .LBB219_94
.LBB219_59:                             ;   in Loop: Header=BB219_48 Depth=1
	s_or_b64 exec, exec, s[12:13]
	s_and_saveexec_b64 s[12:13], s[10:11]
	s_cbranch_execz .LBB219_61
.LBB219_60:                             ;   in Loop: Header=BB219_48 Depth=1
	v_bfe_u32 v13, v10, 16, 3
	v_ffbh_u32_e32 v29, v13
	v_bfe_u32 v15, v10, 19, 4
	v_min_u32_e32 v29, 32, v29
	v_subrev_u32_e32 v30, 28, v29
	v_sub_u32_e32 v29, 29, v29
	v_cmp_eq_u32_e32 vcc, 0, v15
	v_lshlrev_b64 v[30:31], v30, v[2:3]
	v_and_b32_e32 v30, 7, v30
	v_cndmask_b32_e32 v15, v15, v29, vcc
	v_lshlrev_b32_e32 v2, 8, v2
	v_lshl_add_u32 v15, v15, 10, v20
	v_cndmask_b32_e32 v13, v13, v30, vcc
	v_and_or_b32 v2, v2, s34, v15
	v_lshl_or_b32 v2, v13, 7, v2
	v_cvt_f32_f16_e32 v13, v2
.LBB219_61:                             ;   in Loop: Header=BB219_48 Depth=1
	s_or_b64 exec, exec, s[12:13]
	v_lshrrev_b32_e32 v2, 24, v10
	v_cmp_lt_i16_e32 vcc, s30, v2
	s_mov_b64 s[10:11], 0
                                        ; implicit-def: $sgpr41
	s_and_saveexec_b64 s[12:13], vcc
	s_xor_b64 s[12:13], exec, s[12:13]
	s_cbranch_execnz .LBB219_95
; %bb.62:                               ;   in Loop: Header=BB219_48 Depth=1
	s_or_saveexec_b64 s[12:13], s[12:13]
	v_mov_b32_e32 v15, s41
	s_xor_b64 exec, exec, s[12:13]
	s_cbranch_execnz .LBB219_98
.LBB219_63:                             ;   in Loop: Header=BB219_48 Depth=1
	s_or_b64 exec, exec, s[12:13]
	s_and_saveexec_b64 s[12:13], s[10:11]
	s_cbranch_execz .LBB219_65
.LBB219_64:                             ;   in Loop: Header=BB219_48 Depth=1
	v_bfe_u32 v15, v10, 24, 3
	v_ffbh_u32_e32 v29, v15
	v_bfe_u32 v10, v10, 27, 4
	v_min_u32_e32 v29, 32, v29
	v_subrev_u32_e32 v30, 28, v29
	v_sub_u32_e32 v29, 29, v29
	v_cmp_eq_u32_e32 vcc, 0, v10
	v_lshlrev_b64 v[30:31], v30, v[2:3]
	v_and_b32_e32 v30, 7, v30
	v_cndmask_b32_e32 v10, v10, v29, vcc
	v_lshlrev_b32_e32 v2, 8, v2
	v_lshl_add_u32 v10, v10, 10, v20
	v_cndmask_b32_e32 v15, v15, v30, vcc
	v_and_or_b32 v2, v2, s34, v10
	v_lshl_or_b32 v2, v15, 7, v2
	v_cvt_f32_f16_e32 v15, v2
.LBB219_65:                             ;   in Loop: Header=BB219_48 Depth=1
	s_or_b64 exec, exec, s[12:13]
	v_cmp_gt_i16_sdwa s[12:13], v11, s30 src0_sel:BYTE_0 src1_sel:DWORD
	s_mov_b64 s[10:11], 0
                                        ; implicit-def: $sgpr41
	s_and_saveexec_b64 s[16:17], s[12:13]
	s_xor_b64 s[12:13], exec, s[16:17]
	s_cbranch_execnz .LBB219_99
; %bb.66:                               ;   in Loop: Header=BB219_48 Depth=1
	s_or_saveexec_b64 s[12:13], s[12:13]
	v_mov_b32_e32 v10, s41
	s_xor_b64 exec, exec, s[12:13]
	s_cbranch_execnz .LBB219_102
.LBB219_67:                             ;   in Loop: Header=BB219_48 Depth=1
	s_or_b64 exec, exec, s[12:13]
	v_mov_b32_e32 v2, v11
	s_and_saveexec_b64 s[12:13], s[10:11]
	s_cbranch_execz .LBB219_69
.LBB219_68:                             ;   in Loop: Header=BB219_48 Depth=1
	v_and_b32_e32 v10, 7, v11
	v_ffbh_u32_e32 v10, v10
	v_bfe_u32 v29, v11, 3, 4
	v_min_u32_e32 v10, 32, v10
	v_subrev_u32_e32 v30, 28, v10
	v_sub_u32_e32 v10, 29, v10
	v_cmp_eq_u32_e32 vcc, 0, v29
	s_nop 1
	v_cndmask_b32_e32 v10, v29, v10, vcc
	v_cndmask_b32_e32 v29, 0, v30, vcc
	v_lshlrev_b64 v[30:31], v29, v[2:3]
	v_lshlrev_b32_e32 v29, 7, v30
	v_lshlrev_b32_e32 v30, 8, v11
	v_lshl_add_u32 v10, v10, 10, v20
	v_and_or_b32 v10, v30, s34, v10
	v_and_or_b32 v10, v29, s35, v10
	v_cvt_f32_f16_e32 v10, v10
.LBB219_69:                             ;   in Loop: Header=BB219_48 Depth=1
	s_or_b64 exec, exec, s[12:13]
	v_lshrrev_b16_e32 v2, 8, v2
	v_cmp_lt_i16_e32 vcc, s30, v2
	s_mov_b64 s[10:11], 0
                                        ; implicit-def: $sgpr41
	s_and_saveexec_b64 s[12:13], vcc
	s_xor_b64 s[12:13], exec, s[12:13]
	s_cbranch_execnz .LBB219_103
; %bb.70:                               ;   in Loop: Header=BB219_48 Depth=1
	s_or_saveexec_b64 s[12:13], s[12:13]
	v_mov_b32_e32 v29, s41
	s_xor_b64 exec, exec, s[12:13]
	s_cbranch_execnz .LBB219_106
.LBB219_71:                             ;   in Loop: Header=BB219_48 Depth=1
	s_or_b64 exec, exec, s[12:13]
	s_and_saveexec_b64 s[12:13], s[10:11]
	s_cbranch_execz .LBB219_73
.LBB219_72:                             ;   in Loop: Header=BB219_48 Depth=1
	v_and_b32_e32 v29, 7, v2
	v_ffbh_u32_e32 v30, v29
	v_min_u32_e32 v33, 32, v30
	v_subrev_u32_e32 v30, 28, v33
	v_bfe_u32 v32, v2, 3, 4
	v_lshlrev_b64 v[30:31], v30, v[2:3]
	v_sub_u32_e32 v31, 29, v33
	v_cmp_eq_u32_e32 vcc, 0, v32
	v_and_b32_e32 v30, 7, v30
	v_lshlrev_b32_e32 v2, 8, v2
	v_cndmask_b32_e32 v31, v32, v31, vcc
	v_cndmask_b32_e32 v29, v29, v30, vcc
	v_lshl_add_u32 v30, v31, 10, v20
	v_and_or_b32 v2, v2, s34, v30
	v_lshl_or_b32 v2, v29, 7, v2
	v_cvt_f32_f16_e32 v29, v2
.LBB219_73:                             ;   in Loop: Header=BB219_48 Depth=1
	s_or_b64 exec, exec, s[12:13]
	v_lshrrev_b32_e32 v2, 16, v11
	v_cmp_gt_i16_sdwa s[12:13], v2, s30 src0_sel:BYTE_0 src1_sel:DWORD
	s_mov_b64 s[10:11], 0
                                        ; implicit-def: $sgpr41
	s_and_saveexec_b64 s[16:17], s[12:13]
	s_xor_b64 s[12:13], exec, s[16:17]
	s_cbranch_execnz .LBB219_107
; %bb.74:                               ;   in Loop: Header=BB219_48 Depth=1
	s_or_saveexec_b64 s[12:13], s[12:13]
	v_mov_b32_e32 v30, s41
	s_xor_b64 exec, exec, s[12:13]
	s_cbranch_execnz .LBB219_110
.LBB219_75:                             ;   in Loop: Header=BB219_48 Depth=1
	s_or_b64 exec, exec, s[12:13]
	s_and_saveexec_b64 s[12:13], s[10:11]
	s_cbranch_execz .LBB219_77
.LBB219_76:                             ;   in Loop: Header=BB219_48 Depth=1
	v_bfe_u32 v32, v11, 16, 3
	v_ffbh_u32_e32 v30, v32
	v_min_u32_e32 v34, 32, v30
	v_subrev_u32_e32 v30, 28, v34
	v_bfe_u32 v33, v11, 19, 4
	v_lshlrev_b64 v[30:31], v30, v[2:3]
	v_sub_u32_e32 v31, 29, v34
	v_cmp_eq_u32_e32 vcc, 0, v33
	v_and_b32_e32 v30, 7, v30
	v_lshlrev_b32_e32 v2, 8, v2
	v_cndmask_b32_e32 v31, v33, v31, vcc
	v_lshl_add_u32 v31, v31, 10, v20
	v_cndmask_b32_e32 v30, v32, v30, vcc
	v_and_or_b32 v2, v2, s34, v31
	v_lshl_or_b32 v2, v30, 7, v2
	v_cvt_f32_f16_e32 v30, v2
.LBB219_77:                             ;   in Loop: Header=BB219_48 Depth=1
	s_or_b64 exec, exec, s[12:13]
	v_lshrrev_b32_e32 v2, 24, v11
	v_cmp_lt_i16_e32 vcc, s30, v2
	s_mov_b64 s[10:11], 0
                                        ; implicit-def: $sgpr41
	s_and_saveexec_b64 s[12:13], vcc
	s_xor_b64 s[12:13], exec, s[12:13]
	s_cbranch_execnz .LBB219_111
; %bb.78:                               ;   in Loop: Header=BB219_48 Depth=1
	s_or_saveexec_b64 s[12:13], s[12:13]
	v_mov_b32_e32 v31, s41
	s_xor_b64 exec, exec, s[12:13]
	s_cbranch_execnz .LBB219_114
.LBB219_79:                             ;   in Loop: Header=BB219_48 Depth=1
	s_or_b64 exec, exec, s[12:13]
	s_and_saveexec_b64 s[12:13], s[10:11]
	s_cbranch_execz .LBB219_81
.LBB219_80:                             ;   in Loop: Header=BB219_48 Depth=1
	v_bfe_u32 v31, v11, 24, 3
	v_ffbh_u32_e32 v32, v31
	v_min_u32_e32 v34, 32, v32
	v_subrev_u32_e32 v32, 28, v34
	v_bfe_u32 v11, v11, 27, 4
	v_lshlrev_b64 v[32:33], v32, v[2:3]
	v_sub_u32_e32 v33, 29, v34
	v_cmp_eq_u32_e32 vcc, 0, v11
	v_and_b32_e32 v32, 7, v32
	v_lshlrev_b32_e32 v2, 8, v2
	v_cndmask_b32_e32 v11, v11, v33, vcc
	v_lshl_add_u32 v11, v11, 10, v20
	v_cndmask_b32_e32 v31, v31, v32, vcc
	v_and_or_b32 v2, v2, s34, v11
	v_lshl_or_b32 v2, v31, 7, v2
	v_cvt_f32_f16_e32 v31, v2
.LBB219_81:                             ;   in Loop: Header=BB219_48 Depth=1
	s_or_b64 exec, exec, s[12:13]
	s_waitcnt vmcnt(0)
	v_pk_mul_f32 v[14:15], v[8:9], v[14:15] op_sel_hi:[0,1]
	v_pk_mul_f32 v[12:13], v[8:9], v[12:13] op_sel_hi:[0,1]
	v_cvt_f16_f32_e32 v2, v15
	v_cvt_f16_f32_e32 v11, v14
	v_cvt_f16_f32_e32 v13, v13
	v_cvt_f16_f32_e32 v12, v12
	v_fma_mixlo_f16 v10, v8, v10, 0
	v_pack_b32_f16 v11, v11, v2
	v_cmp_eq_u32_e32 vcc, s36, v1
	v_pack_b32_f16 v12, v12, v13
	v_perm_b32 v2, v12, v11, s37
	v_perm_b32 v11, v12, v11, s39
	v_fma_mixlo_f16 v12, v8, v29, 0
	v_lshlrev_b32_e32 v12, 16, v12
	v_or_b32_sdwa v10, v12, v10 dst_sel:DWORD dst_unused:UNUSED_PAD src0_sel:DWORD src1_sel:WORD_0
	v_fma_mixlo_f16 v12, v8, v30, 0
	v_fma_mixlo_f16 v8, v8, v31, 0
	v_lshlrev_b32_e32 v8, 16, v8
	v_or_b32_sdwa v8, v8, v12 dst_sel:DWORD dst_unused:UNUSED_PAD src0_sel:DWORD src1_sel:WORD_0
	s_and_saveexec_b64 s[10:11], vcc
	s_cbranch_execz .LBB219_46
; %bb.82:                               ;   in Loop: Header=BB219_48 Depth=1
	v_add_u32_e32 v13, 1, v9
	v_lshrrev_b32_e32 v14, 16, v11
	v_cmp_gt_i32_e32 vcc, s22, v13
	v_lshrrev_b32_e32 v15, 16, v2
	v_lshrrev_b32_e32 v8, 16, v8
	v_cndmask_b32_e32 v13, 0, v14, vcc
	v_cmp_gt_i32_e32 vcc, s25, v9
	v_or_b32_e32 v14, 2, v9
	s_nop 0
	v_cndmask_b32_e32 v11, 0, v11, vcc
	v_perm_b32 v11, v13, v11, s40
	v_or_b32_e32 v13, 3, v9
	v_cmp_gt_i32_e32 vcc, s22, v13
	s_nop 1
	v_cndmask_b32_e32 v13, 0, v15, vcc
	v_cmp_gt_i32_e32 vcc, s25, v14
	v_or_b32_e32 v14, 4, v9
	v_lshrrev_b32_e32 v15, 16, v10
	v_cndmask_b32_e32 v2, 0, v2, vcc
	v_perm_b32 v2, v13, v2, s40
	v_or_b32_e32 v13, 5, v9
	v_cmp_gt_i32_e32 vcc, s22, v13
	s_nop 1
	v_cndmask_b32_e32 v13, 0, v15, vcc
	v_cmp_gt_i32_e32 vcc, s25, v14
	v_or_b32_e32 v14, 6, v9
	s_nop 0
	v_cndmask_b32_e32 v10, 0, v10, vcc
	v_perm_b32 v10, v13, v10, s40
	v_or_b32_e32 v13, 7, v9
	v_cmp_gt_i32_e32 vcc, s22, v13
	s_nop 1
	v_cndmask_b32_e32 v8, 0, v8, vcc
	v_cmp_gt_i32_e32 vcc, s25, v14
	s_nop 1
	v_cndmask_b32_e32 v12, 0, v12, vcc
	v_perm_b32 v8, v8, v12, s40
	s_branch .LBB219_46
.LBB219_83:                             ;   in Loop: Header=BB219_48 Depth=1
	v_cmp_eq_u16_sdwa s[42:43], v10, s31 src0_sel:BYTE_0 src1_sel:DWORD
	s_mov_b64 s[10:11], -1
                                        ; implicit-def: $sgpr41
	s_and_saveexec_b64 s[16:17], s[42:43]
; %bb.84:                               ;   in Loop: Header=BB219_48 Depth=1
	s_mov_b32 s41, 0x7fc02000
	s_xor_b64 s[10:11], exec, -1
; %bb.85:                               ;   in Loop: Header=BB219_48 Depth=1
	s_or_b64 exec, exec, s[16:17]
	s_and_b64 s[10:11], s[10:11], exec
	s_or_saveexec_b64 s[12:13], s[12:13]
	v_mov_b32_e32 v12, s41
	s_xor_b64 exec, exec, s[12:13]
	s_cbranch_execz .LBB219_51
.LBB219_86:                             ;   in Loop: Header=BB219_48 Depth=1
	v_cmp_ne_u16_sdwa s[16:17], v10, v3 src0_sel:BYTE_0 src1_sel:DWORD
	s_andn2_b64 s[10:11], s[10:11], exec
	s_and_b64 s[16:17], s[16:17], exec
	v_mov_b32_e32 v12, 0
	s_or_b64 s[10:11], s[10:11], s[16:17]
	s_or_b64 exec, exec, s[12:13]
	s_and_saveexec_b64 s[12:13], s[10:11]
	s_cbranch_execnz .LBB219_52
	s_branch .LBB219_53
.LBB219_87:                             ;   in Loop: Header=BB219_48 Depth=1
	v_cmp_eq_u16_e32 vcc, s31, v2
	s_mov_b64 s[10:11], -1
                                        ; implicit-def: $sgpr41
	s_and_saveexec_b64 s[16:17], vcc
; %bb.88:                               ;   in Loop: Header=BB219_48 Depth=1
	s_mov_b32 s41, 0x7fc02000
	s_xor_b64 s[10:11], exec, -1
; %bb.89:                               ;   in Loop: Header=BB219_48 Depth=1
	s_or_b64 exec, exec, s[16:17]
	s_and_b64 s[10:11], s[10:11], exec
	s_or_saveexec_b64 s[12:13], s[12:13]
	v_mov_b32_e32 v14, s41
	s_xor_b64 exec, exec, s[12:13]
	s_cbranch_execz .LBB219_55
.LBB219_90:                             ;   in Loop: Header=BB219_48 Depth=1
	v_cmp_ne_u16_e32 vcc, 0, v2
	s_andn2_b64 s[10:11], s[10:11], exec
	s_and_b64 s[16:17], vcc, exec
	v_mov_b32_e32 v14, 0
	s_or_b64 s[10:11], s[10:11], s[16:17]
	s_or_b64 exec, exec, s[12:13]
	s_and_saveexec_b64 s[12:13], s[10:11]
	s_cbranch_execnz .LBB219_56
	s_branch .LBB219_57
.LBB219_91:                             ;   in Loop: Header=BB219_48 Depth=1
	v_cmp_eq_u16_sdwa s[42:43], v2, s31 src0_sel:BYTE_0 src1_sel:DWORD
	s_mov_b64 s[10:11], -1
                                        ; implicit-def: $sgpr41
	s_and_saveexec_b64 s[16:17], s[42:43]
; %bb.92:                               ;   in Loop: Header=BB219_48 Depth=1
	s_mov_b32 s41, 0x7fc02000
	s_xor_b64 s[10:11], exec, -1
; %bb.93:                               ;   in Loop: Header=BB219_48 Depth=1
	s_or_b64 exec, exec, s[16:17]
	s_and_b64 s[10:11], s[10:11], exec
	s_or_saveexec_b64 s[12:13], s[12:13]
	v_mov_b32_e32 v13, s41
	s_xor_b64 exec, exec, s[12:13]
	s_cbranch_execz .LBB219_59
.LBB219_94:                             ;   in Loop: Header=BB219_48 Depth=1
	v_cmp_ne_u16_sdwa s[16:17], v2, v3 src0_sel:BYTE_0 src1_sel:DWORD
	s_andn2_b64 s[10:11], s[10:11], exec
	s_and_b64 s[16:17], s[16:17], exec
	v_mov_b32_e32 v13, 0
	s_or_b64 s[10:11], s[10:11], s[16:17]
	s_or_b64 exec, exec, s[12:13]
	s_and_saveexec_b64 s[12:13], s[10:11]
	s_cbranch_execnz .LBB219_60
	s_branch .LBB219_61
.LBB219_95:                             ;   in Loop: Header=BB219_48 Depth=1
	v_cmp_eq_u16_e32 vcc, s31, v2
	s_mov_b64 s[10:11], -1
                                        ; implicit-def: $sgpr41
	s_and_saveexec_b64 s[16:17], vcc
; %bb.96:                               ;   in Loop: Header=BB219_48 Depth=1
	s_mov_b32 s41, 0x7fc02000
	s_xor_b64 s[10:11], exec, -1
; %bb.97:                               ;   in Loop: Header=BB219_48 Depth=1
	s_or_b64 exec, exec, s[16:17]
	s_and_b64 s[10:11], s[10:11], exec
	s_or_saveexec_b64 s[12:13], s[12:13]
	v_mov_b32_e32 v15, s41
	s_xor_b64 exec, exec, s[12:13]
	s_cbranch_execz .LBB219_63
.LBB219_98:                             ;   in Loop: Header=BB219_48 Depth=1
	v_cmp_ne_u16_e32 vcc, 0, v2
	s_andn2_b64 s[10:11], s[10:11], exec
	s_and_b64 s[16:17], vcc, exec
	v_mov_b32_e32 v15, 0
	s_or_b64 s[10:11], s[10:11], s[16:17]
	s_or_b64 exec, exec, s[12:13]
	s_and_saveexec_b64 s[12:13], s[10:11]
	s_cbranch_execnz .LBB219_64
	s_branch .LBB219_65
.LBB219_99:                             ;   in Loop: Header=BB219_48 Depth=1
	v_cmp_eq_u16_sdwa s[42:43], v11, s31 src0_sel:BYTE_0 src1_sel:DWORD
	s_mov_b64 s[10:11], -1
                                        ; implicit-def: $sgpr41
	s_and_saveexec_b64 s[16:17], s[42:43]
; %bb.100:                              ;   in Loop: Header=BB219_48 Depth=1
	s_mov_b32 s41, 0x7fc02000
	s_xor_b64 s[10:11], exec, -1
; %bb.101:                              ;   in Loop: Header=BB219_48 Depth=1
	s_or_b64 exec, exec, s[16:17]
	s_and_b64 s[10:11], s[10:11], exec
	s_or_saveexec_b64 s[12:13], s[12:13]
	v_mov_b32_e32 v10, s41
	s_xor_b64 exec, exec, s[12:13]
	s_cbranch_execz .LBB219_67
.LBB219_102:                            ;   in Loop: Header=BB219_48 Depth=1
	v_cmp_ne_u16_sdwa s[16:17], v11, v3 src0_sel:BYTE_0 src1_sel:DWORD
	s_andn2_b64 s[10:11], s[10:11], exec
	s_and_b64 s[16:17], s[16:17], exec
	v_mov_b32_e32 v10, 0
	s_or_b64 s[10:11], s[10:11], s[16:17]
	s_or_b64 exec, exec, s[12:13]
	v_mov_b32_e32 v2, v11
	s_and_saveexec_b64 s[12:13], s[10:11]
	s_cbranch_execnz .LBB219_68
	s_branch .LBB219_69
.LBB219_103:                            ;   in Loop: Header=BB219_48 Depth=1
	v_cmp_eq_u16_e32 vcc, s31, v2
	s_mov_b64 s[10:11], -1
                                        ; implicit-def: $sgpr41
	s_and_saveexec_b64 s[16:17], vcc
; %bb.104:                              ;   in Loop: Header=BB219_48 Depth=1
	s_mov_b32 s41, 0x7fc02000
	s_xor_b64 s[10:11], exec, -1
; %bb.105:                              ;   in Loop: Header=BB219_48 Depth=1
	s_or_b64 exec, exec, s[16:17]
	s_and_b64 s[10:11], s[10:11], exec
	s_or_saveexec_b64 s[12:13], s[12:13]
	v_mov_b32_e32 v29, s41
	s_xor_b64 exec, exec, s[12:13]
	s_cbranch_execz .LBB219_71
.LBB219_106:                            ;   in Loop: Header=BB219_48 Depth=1
	v_cmp_ne_u16_e32 vcc, 0, v2
	s_andn2_b64 s[10:11], s[10:11], exec
	s_and_b64 s[16:17], vcc, exec
	v_mov_b32_e32 v29, 0
	s_or_b64 s[10:11], s[10:11], s[16:17]
	s_or_b64 exec, exec, s[12:13]
	s_and_saveexec_b64 s[12:13], s[10:11]
	s_cbranch_execnz .LBB219_72
	s_branch .LBB219_73
.LBB219_107:                            ;   in Loop: Header=BB219_48 Depth=1
	v_cmp_eq_u16_sdwa s[42:43], v2, s31 src0_sel:BYTE_0 src1_sel:DWORD
	s_mov_b64 s[10:11], -1
                                        ; implicit-def: $sgpr41
	s_and_saveexec_b64 s[16:17], s[42:43]
; %bb.108:                              ;   in Loop: Header=BB219_48 Depth=1
	s_mov_b32 s41, 0x7fc02000
	s_xor_b64 s[10:11], exec, -1
; %bb.109:                              ;   in Loop: Header=BB219_48 Depth=1
	s_or_b64 exec, exec, s[16:17]
	s_and_b64 s[10:11], s[10:11], exec
	s_or_saveexec_b64 s[12:13], s[12:13]
	v_mov_b32_e32 v30, s41
	s_xor_b64 exec, exec, s[12:13]
	s_cbranch_execz .LBB219_75
.LBB219_110:                            ;   in Loop: Header=BB219_48 Depth=1
	v_cmp_ne_u16_sdwa s[16:17], v2, v3 src0_sel:BYTE_0 src1_sel:DWORD
	s_andn2_b64 s[10:11], s[10:11], exec
	s_and_b64 s[16:17], s[16:17], exec
	v_mov_b32_e32 v30, 0
	s_or_b64 s[10:11], s[10:11], s[16:17]
	s_or_b64 exec, exec, s[12:13]
	s_and_saveexec_b64 s[12:13], s[10:11]
	s_cbranch_execnz .LBB219_76
	s_branch .LBB219_77
.LBB219_111:                            ;   in Loop: Header=BB219_48 Depth=1
	v_cmp_eq_u16_e32 vcc, s31, v2
	s_mov_b64 s[10:11], -1
                                        ; implicit-def: $sgpr41
	s_and_saveexec_b64 s[16:17], vcc
; %bb.112:                              ;   in Loop: Header=BB219_48 Depth=1
	s_mov_b32 s41, 0x7fc02000
	s_xor_b64 s[10:11], exec, -1
; %bb.113:                              ;   in Loop: Header=BB219_48 Depth=1
	s_or_b64 exec, exec, s[16:17]
	s_and_b64 s[10:11], s[10:11], exec
	s_or_saveexec_b64 s[12:13], s[12:13]
	v_mov_b32_e32 v31, s41
	s_xor_b64 exec, exec, s[12:13]
	s_cbranch_execz .LBB219_79
.LBB219_114:                            ;   in Loop: Header=BB219_48 Depth=1
	v_cmp_ne_u16_e32 vcc, 0, v2
	s_andn2_b64 s[10:11], s[10:11], exec
	s_and_b64 s[16:17], vcc, exec
	v_mov_b32_e32 v31, 0
	s_or_b64 s[10:11], s[10:11], s[16:17]
	s_or_b64 exec, exec, s[12:13]
	s_and_saveexec_b64 s[12:13], s[10:11]
	s_cbranch_execnz .LBB219_80
	s_branch .LBB219_81
.LBB219_115:
	s_or_b64 exec, exec, s[2:3]
.LBB219_116:
	s_or_b64 exec, exec, s[8:9]
	v_and_b32_e32 v0, 0x3c0, v0
	v_cmp_eq_u32_e32 vcc, 64, v0
	s_barrier
	s_and_saveexec_b64 s[0:1], vcc
	s_cbranch_execz .LBB219_118
; %bb.117:
	v_mov_b32_e32 v0, 0x90
	v_lshl_add_u32 v0, v16, 2, v0
	ds_write_b32 v0, v17
.LBB219_118:
	s_or_b64 exec, exec, s[0:1]
	s_waitcnt lgkmcnt(0)
	s_barrier
	s_and_saveexec_b64 s[0:1], s[6:7]
	s_cbranch_execz .LBB219_120
; %bb.119:
	v_mov_b32_e32 v0, 0x90
	v_lshl_add_u32 v0, v16, 2, v0
	ds_read_b32 v0, v0
	s_waitcnt lgkmcnt(0)
	v_add_f32_e32 v17, v17, v0
.LBB219_120:
	s_or_b64 exec, exec, s[0:1]
	s_barrier
	s_and_saveexec_b64 s[0:1], s[6:7]
	s_cbranch_execz .LBB219_122
; %bb.121:
	s_mul_i32 s0, s24, s20
	s_mul_i32 s0, s0, s5
	s_lshl_b32 s0, s0, 6
	s_ashr_i32 s1, s0, 31
	s_lshl_b64 s[0:1], s[0:1], 1
	s_add_u32 s2, s28, s0
	s_mul_i32 s0, s20, s26
	s_addc_u32 s3, s29, s1
	s_ashr_i32 s1, s0, 31
	s_lshl_b64 s[0:1], s[0:1], 1
	s_add_u32 s2, s2, s0
	s_addc_u32 s3, s3, s1
	s_lshl_b32 s0, s4, 6
	s_ashr_i32 s1, s0, 31
	s_lshl_b64 s[0:1], s[0:1], 1
	s_add_u32 s0, s2, s0
	s_addc_u32 s1, s3, s1
	v_lshlrev_b32_e32 v0, 1, v16
	;;#ASMSTART
	v_cvt_f16_f32 v1, v17;

	;;#ASMEND
	global_store_short v0, v1, s[0:1]
.LBB219_122:
	s_endpgm
	.section	.rodata,"a",@progbits
	.p2align	6, 0x0
	.amdhsa_kernel _ZN4vllm25paged_attention_v1_kernelIthLi64ELi8ELi128ELNS_18Fp8KVCacheDataTypeE1ELb1EEEvPT_PKS2_PKT0_S8_ifPKiSA_iPKfiiiSC_SC_iiiii
		.amdhsa_group_segment_fixed_size 144
		.amdhsa_private_segment_fixed_size 0
		.amdhsa_kernarg_size 384
		.amdhsa_user_sgpr_count 2
		.amdhsa_user_sgpr_dispatch_ptr 0
		.amdhsa_user_sgpr_queue_ptr 0
		.amdhsa_user_sgpr_kernarg_segment_ptr 1
		.amdhsa_user_sgpr_dispatch_id 0
		.amdhsa_user_sgpr_kernarg_preload_length 0
		.amdhsa_user_sgpr_kernarg_preload_offset 0
		.amdhsa_user_sgpr_private_segment_size 0
		.amdhsa_uses_dynamic_stack 0
		.amdhsa_enable_private_segment 0
		.amdhsa_system_sgpr_workgroup_id_x 1
		.amdhsa_system_sgpr_workgroup_id_y 1
		.amdhsa_system_sgpr_workgroup_id_z 1
		.amdhsa_system_sgpr_workgroup_info 0
		.amdhsa_system_vgpr_workitem_id 0
		.amdhsa_next_free_vgpr 41
		.amdhsa_next_free_sgpr 50
		.amdhsa_accum_offset 44
		.amdhsa_reserve_vcc 1
		.amdhsa_float_round_mode_32 0
		.amdhsa_float_round_mode_16_64 0
		.amdhsa_float_denorm_mode_32 3
		.amdhsa_float_denorm_mode_16_64 3
		.amdhsa_dx10_clamp 1
		.amdhsa_ieee_mode 1
		.amdhsa_fp16_overflow 0
		.amdhsa_tg_split 0
		.amdhsa_exception_fp_ieee_invalid_op 0
		.amdhsa_exception_fp_denorm_src 0
		.amdhsa_exception_fp_ieee_div_zero 0
		.amdhsa_exception_fp_ieee_overflow 0
		.amdhsa_exception_fp_ieee_underflow 0
		.amdhsa_exception_fp_ieee_inexact 0
		.amdhsa_exception_int_div_zero 0
	.end_amdhsa_kernel
	.section	.text._ZN4vllm25paged_attention_v1_kernelIthLi64ELi8ELi128ELNS_18Fp8KVCacheDataTypeE1ELb1EEEvPT_PKS2_PKT0_S8_ifPKiSA_iPKfiiiSC_SC_iiiii,"axG",@progbits,_ZN4vllm25paged_attention_v1_kernelIthLi64ELi8ELi128ELNS_18Fp8KVCacheDataTypeE1ELb1EEEvPT_PKS2_PKT0_S8_ifPKiSA_iPKfiiiSC_SC_iiiii,comdat
.Lfunc_end219:
	.size	_ZN4vllm25paged_attention_v1_kernelIthLi64ELi8ELi128ELNS_18Fp8KVCacheDataTypeE1ELb1EEEvPT_PKS2_PKT0_S8_ifPKiSA_iPKfiiiSC_SC_iiiii, .Lfunc_end219-_ZN4vllm25paged_attention_v1_kernelIthLi64ELi8ELi128ELNS_18Fp8KVCacheDataTypeE1ELb1EEEvPT_PKS2_PKT0_S8_ifPKiSA_iPKfiiiSC_SC_iiiii
                                        ; -- End function
	.section	.AMDGPU.csdata,"",@progbits
; Kernel info:
; codeLenInByte = 6532
; NumSgprs: 56
; NumVgprs: 41
; NumAgprs: 0
; TotalNumVgprs: 41
; ScratchSize: 0
; MemoryBound: 0
; FloatMode: 240
; IeeeMode: 1
; LDSByteSize: 144 bytes/workgroup (compile time only)
; SGPRBlocks: 6
; VGPRBlocks: 5
; NumSGPRsForWavesPerEU: 56
; NumVGPRsForWavesPerEU: 41
; AccumOffset: 44
; Occupancy: 8
; WaveLimiterHint : 1
; COMPUTE_PGM_RSRC2:SCRATCH_EN: 0
; COMPUTE_PGM_RSRC2:USER_SGPR: 2
; COMPUTE_PGM_RSRC2:TRAP_HANDLER: 0
; COMPUTE_PGM_RSRC2:TGID_X_EN: 1
; COMPUTE_PGM_RSRC2:TGID_Y_EN: 1
; COMPUTE_PGM_RSRC2:TGID_Z_EN: 1
; COMPUTE_PGM_RSRC2:TIDIG_COMP_CNT: 0
; COMPUTE_PGM_RSRC3_GFX90A:ACCUM_OFFSET: 10
; COMPUTE_PGM_RSRC3_GFX90A:TG_SPLIT: 0
	.section	.text._ZN4vllm25paged_attention_v1_kernelIthLi80ELi8ELi128ELNS_18Fp8KVCacheDataTypeE1ELb1EEEvPT_PKS2_PKT0_S8_ifPKiSA_iPKfiiiSC_SC_iiiii,"axG",@progbits,_ZN4vllm25paged_attention_v1_kernelIthLi80ELi8ELi128ELNS_18Fp8KVCacheDataTypeE1ELb1EEEvPT_PKS2_PKT0_S8_ifPKiSA_iPKfiiiSC_SC_iiiii,comdat
	.protected	_ZN4vllm25paged_attention_v1_kernelIthLi80ELi8ELi128ELNS_18Fp8KVCacheDataTypeE1ELb1EEEvPT_PKS2_PKT0_S8_ifPKiSA_iPKfiiiSC_SC_iiiii ; -- Begin function _ZN4vllm25paged_attention_v1_kernelIthLi80ELi8ELi128ELNS_18Fp8KVCacheDataTypeE1ELb1EEEvPT_PKS2_PKT0_S8_ifPKiSA_iPKfiiiSC_SC_iiiii
	.globl	_ZN4vllm25paged_attention_v1_kernelIthLi80ELi8ELi128ELNS_18Fp8KVCacheDataTypeE1ELb1EEEvPT_PKS2_PKT0_S8_ifPKiSA_iPKfiiiSC_SC_iiiii
	.p2align	8
	.type	_ZN4vllm25paged_attention_v1_kernelIthLi80ELi8ELi128ELNS_18Fp8KVCacheDataTypeE1ELb1EEEvPT_PKS2_PKT0_S8_ifPKiSA_iPKfiiiSC_SC_iiiii,@function
_ZN4vllm25paged_attention_v1_kernelIthLi80ELi8ELi128ELNS_18Fp8KVCacheDataTypeE1ELb1EEEvPT_PKS2_PKT0_S8_ifPKiSA_iPKfiiiSC_SC_iiiii: ; @_ZN4vllm25paged_attention_v1_kernelIthLi80ELi8ELi128ELNS_18Fp8KVCacheDataTypeE1ELb1EEEvPT_PKS2_PKT0_S8_ifPKiSA_iPKfiiiSC_SC_iiiii
; %bb.0:
	s_load_dword s5, s[0:1], 0x80
	s_load_dwordx2 s[6:7], s[0:1], 0x30
	s_load_dwordx2 s[38:39], s[0:1], 0x20
	s_mov_b32 s24, s3
	s_ashr_i32 s25, s3, 31
	s_lshl_b64 s[8:9], s[24:25], 2
	s_waitcnt lgkmcnt(0)
	s_add_u32 s6, s6, s8
	s_addc_u32 s7, s7, s9
	s_abs_i32 s3, s38
	v_cvt_f32_u32_e32 v1, s3
	s_sub_i32 s10, 0, s3
	s_abs_i32 s9, s5
	s_xor_b32 s8, s5, s38
	v_rcp_iflag_f32_e32 v1, v1
	s_ashr_i32 s8, s8, 31
	s_mov_b32 s47, 0
	v_mul_f32_e32 v1, 0x4f7ffffe, v1
	v_cvt_u32_f32_e32 v1, v1
	s_nop 0
	v_readfirstlane_b32 s11, v1
	s_mul_i32 s10, s10, s11
	s_mul_hi_u32 s10, s11, s10
	s_add_i32 s11, s11, s10
	s_mul_hi_u32 s10, s9, s11
	s_mul_i32 s11, s10, s3
	s_sub_i32 s9, s9, s11
	s_add_i32 s11, s10, 1
	s_sub_i32 s12, s9, s3
	s_cmp_ge_u32 s9, s3
	s_cselect_b32 s10, s11, s10
	s_cselect_b32 s9, s12, s9
	s_add_i32 s11, s10, 1
	s_cmp_ge_u32 s9, s3
	s_cselect_b32 s3, s11, s10
	s_xor_b32 s3, s3, s8
	s_sub_i32 s14, s3, s8
	s_abs_i32 s10, s14
	v_cvt_f32_u32_e32 v1, s10
	s_load_dwordx2 s[8:9], s[0:1], 0x40
	s_sub_i32 s3, 0, s10
	s_abs_i32 s11, s2
	v_rcp_iflag_f32_e32 v1, v1
	s_nop 0
	v_mul_f32_e32 v1, 0x4f7ffffe, v1
	v_cvt_u32_f32_e32 v1, v1
	s_nop 0
	v_readfirstlane_b32 s12, v1
	s_mul_i32 s3, s3, s12
	s_mul_hi_u32 s3, s12, s3
	s_add_i32 s12, s12, s3
	s_waitcnt lgkmcnt(0)
	s_cmp_eq_u64 s[8:9], 0
	s_mul_hi_u32 s12, s11, s12
	s_cbranch_scc1 .LBB220_2
; %bb.1:
	s_ashr_i32 s3, s2, 31
	s_lshl_b64 s[16:17], s[2:3], 2
	s_add_u32 s8, s8, s16
	s_addc_u32 s9, s9, s17
	s_load_dword s47, s[8:9], 0x0
.LBB220_2:
	s_load_dword s25, s[6:7], 0x0
	s_load_dwordx4 s[16:19], s[0:1], 0x48
	s_movk_i32 s3, 0x50
	s_ashr_i32 s13, s2, 31
	s_ashr_i32 s14, s14, 31
	v_and_b32_e32 v4, 7, v0
	s_mul_i32 s26, s2, 0x50
	v_cmp_gt_u32_e64 s[6:7], s3, v0
	v_lshlrev_b32_e32 v2, 1, v0
	s_and_saveexec_b64 s[8:9], s[6:7]
	s_cbranch_execz .LBB220_4
; %bb.3:
	s_load_dwordx2 s[20:21], s[0:1], 0x8
	s_waitcnt lgkmcnt(0)
	s_mul_i32 s22, s24, s16
	s_ashr_i32 s23, s22, 31
	s_lshl_b64 s[22:23], s[22:23], 1
	v_lshrrev_b32_e32 v3, 2, v0
	s_add_u32 s3, s20, s22
	s_addc_u32 s15, s21, s23
	s_ashr_i32 s27, s26, 31
	s_lshl_b64 s[20:21], s[26:27], 1
	s_add_u32 s20, s3, s20
	s_addc_u32 s21, s15, s21
	global_load_ushort v1, v2, s[20:21]
	v_and_b32_e32 v3, 0xfe, v3
	v_mad_u32_u24 v3, v4, 20, v3
	s_waitcnt vmcnt(0)
	ds_write_b16 v3, v1
.LBB220_4:
	s_or_b64 exec, exec, s[8:9]
	s_mul_i32 s9, s12, s10
	s_sub_i32 s9, s11, s9
	s_xor_b32 s8, s13, s14
	s_add_i32 s11, s12, 1
	s_sub_i32 s13, s9, s10
	s_load_dwordx4 s[20:23], s[0:1], 0x68
	s_load_dword s3, s[0:1], 0x78
	s_cmp_ge_u32 s9, s10
	s_cselect_b32 s11, s11, s12
	s_cselect_b32 s9, s13, s9
	s_add_i32 s12, s11, 1
	s_cmp_ge_u32 s9, s10
	s_cselect_b32 s9, s12, s11
	s_waitcnt lgkmcnt(0)
	s_abs_i32 s33, s23
	v_cvt_f32_u32_e32 v1, s33
	s_xor_b32 s9, s9, s8
	s_sub_i32 s10, s9, s8
	s_sub_i32 s8, 0, s33
	v_rcp_iflag_f32_e32 v1, v1
	s_add_i32 s12, s25, -1
	s_abs_i32 s11, s12
	v_mul_f32_e32 v1, 0x4f7ffffe, v1
	v_cvt_u32_f32_e32 v1, v1
	s_barrier
	v_readfirstlane_b32 s44, v1
	s_mul_i32 s8, s8, s44
	s_mul_hi_u32 s8, s44, s8
	s_add_i32 s44, s44, s8
	s_cmp_lt_i32 s3, 0
	s_mul_hi_u32 s16, s11, s44
	s_cbranch_scc0 .LBB220_6
; %bb.5:
	s_mul_i32 s8, s20, s38
	s_add_i32 s8, s10, s8
	s_mul_i32 s8, s8, s3
	s_sub_i32 s38, 1, s8
	s_mov_b64 s[8:9], 0
	s_branch .LBB220_7
.LBB220_6:
	s_mov_b64 s[8:9], -1
                                        ; implicit-def: $sgpr38
.LBB220_7:
	s_load_dwordx2 s[30:31], s[0:1], 0x28
	s_ashr_i32 s19, s12, 31
	s_andn2_b64 vcc, exec, s[8:9]
	s_ashr_i32 s45, s23, 31
	s_cbranch_vccnz .LBB220_9
; %bb.8:
	s_mul_i32 s8, s5, s20
	s_add_i32 s2, s8, s2
	s_mul_i32 s2, s2, s3
	s_add_i32 s38, s2, 1
.LBB220_9:
	s_load_dword s2, s[0:1], 0x38
	s_load_dwordx2 s[28:29], s[0:1], 0x0
	s_load_dwordx2 s[36:37], s[0:1], 0x18
	s_load_dword s27, s[0:1], 0x88
	s_load_dwordx4 s[12:15], s[0:1], 0x58
	s_mul_i32 s3, s16, s33
	s_waitcnt lgkmcnt(0)
	s_mul_i32 s34, s24, s2
	s_sub_i32 s3, s11, s3
	s_ashr_i32 s35, s34, 31
	s_xor_b32 s2, s19, s45
	s_add_i32 s8, s16, 1
	s_sub_i32 s9, s3, s33
	s_cmp_ge_u32 s3, s33
	s_cselect_b32 s8, s8, s16
	s_cselect_b32 s3, s9, s3
	s_add_i32 s9, s8, 1
	s_cmp_ge_u32 s3, s33
	s_cselect_b32 s3, s9, s8
	s_xor_b32 s3, s3, s2
	s_sub_i32 s16, s3, s2
	s_add_i32 s2, s25, 7
	s_ashr_i32 s3, s2, 31
	s_lshr_b32 s3, s3, 29
	s_add_i32 s2, s2, s3
	s_ashr_i32 s46, s2, 3
	v_lshrrev_b32_e32 v1, 6, v0
	v_cmp_gt_i32_e64 s[2:3], s46, v1
	v_mov_b32_e32 v14, 0xff7fffff
	s_mul_i32 s20, s10, s18
	v_lshrrev_b32_e32 v12, 4, v0
	v_lshlrev_b32_e32 v3, 3, v1
	v_mbcnt_lo_u32_b32 v10, -1, 0
	s_and_saveexec_b64 s[18:19], s[2:3]
	s_cbranch_execz .LBB220_19
; %bb.10:
	s_load_dwordx2 s[0:1], s[0:1], 0x10
	s_sub_i32 s23, s16, s21
	s_ashr_i32 s9, s20, 31
	v_bfe_u32 v11, v0, 3, 3
	v_mov_b32_e32 v5, 0
	s_waitcnt lgkmcnt(0)
	s_add_u32 s8, s0, s20
	s_addc_u32 s9, s1, s9
	s_abs_i32 s48, s22
	v_cvt_f32_u32_e32 v6, s48
	v_lshlrev_b32_e32 v14, 2, v11
	v_lshl_or_b32 v14, v1, 5, v14
	v_add_u32_e32 v17, 0xb0, v14
	v_rcp_iflag_f32_e32 v7, v6
	v_lshlrev_b32_e32 v6, 4, v11
	v_subrev_u32_e32 v14, s25, v11
	v_mbcnt_hi_u32_b32 v20, -1, v10
	v_mul_f32_e32 v7, 0x4f7ffffe, v7
	v_cvt_u32_f32_e32 v8, v7
	v_mov_b32_e32 v7, v5
	v_lshl_add_u64 v[6:7], s[8:9], 0, v[6:7]
	s_sub_i32 s8, 0, s48
	v_mul_lo_u32 v9, s8, v8
	s_lshl_b64 s[8:9], s[34:35], 2
	v_mul_hi_u32 v9, v8, v9
	s_add_u32 s8, s30, s8
	v_add_u32_e32 v15, v8, v9
	v_and_b32_e32 v8, 60, v12
	v_mov_b32_e32 v9, v5
	s_addc_u32 s9, s31, s9
	v_add_u32_e32 v18, 1, v14
	v_and_b32_e32 v14, 64, v20
	v_cmp_eq_u32_e32 vcc, 0, v4
	s_mov_b32 s49, s17
	v_mul_u32_u24_e32 v13, 20, v4
	v_cmp_neq_f32_e64 s[0:1], s47, 0
	v_lshl_add_u64 v[8:9], s[8:9], 0, v[8:9]
	v_lshlrev_b32_e32 v16, 3, v1
	s_mov_b64 s[40:41], 0
	v_mov_b32_e32 v19, 0xff7fffff
	v_add_u32_e32 v21, 64, v14
	v_xor_b32_e32 v22, 4, v20
	v_xor_b32_e32 v23, 2, v20
	;; [unrolled: 1-line block ×3, first 2 shown]
	v_mov_b32_e32 v14, 0xff7fffff
	v_mov_b32_e32 v25, v1
	s_branch .LBB220_13
.LBB220_11:                             ;   in Loop: Header=BB220_13 Depth=1
	s_or_b64 exec, exec, s[42:43]
.LBB220_12:                             ;   in Loop: Header=BB220_13 Depth=1
	s_or_b64 exec, exec, s[10:11]
	v_add_u32_e32 v25, 2, v25
	v_cmp_le_i32_e64 s[8:9], s46, v25
	v_lshl_add_u64 v[8:9], v[8:9], 0, 8
	v_add_u32_e32 v16, 16, v16
	s_or_b64 s[40:41], s[8:9], s[40:41]
	v_add_u32_e32 v17, 64, v17
	s_andn2_b64 exec, exec, s[40:41]
	s_cbranch_execz .LBB220_18
.LBB220_13:                             ; =>This Inner Loop Header: Depth=1
	v_mul_hi_u32 v26, v16, s44
	s_waitcnt lgkmcnt(0)
	v_mul_lo_u32 v27, v26, s33
	v_sub_u32_e32 v27, v16, v27
	v_add_u32_e32 v28, 1, v26
	v_cmp_le_u32_e64 s[8:9], s33, v27
	s_nop 1
	v_cndmask_b32_e64 v26, v26, v28, s[8:9]
	v_subrev_u32_e32 v28, s33, v27
	v_cndmask_b32_e64 v27, v27, v28, s[8:9]
	v_add_u32_e32 v28, 1, v26
	v_cmp_le_u32_e64 s[8:9], s33, v27
	s_nop 1
	v_cndmask_b32_e64 v26, v26, v28, s[8:9]
	v_xor_b32_e32 v26, s45, v26
	v_subrev_u32_e32 v26, s45, v26
	v_add_u32_e32 v27, s38, v26
	v_sub_u32_e32 v29, 0, v27
	v_ashrrev_i32_e32 v28, 31, v27
	v_max_i32_e32 v27, v27, v29
	v_mul_hi_u32 v29, v27, v15
	v_mul_lo_u32 v29, v29, s48
	v_sub_u32_e32 v27, v27, v29
	v_subrev_u32_e32 v29, s48, v27
	v_cmp_le_u32_e64 s[8:9], s48, v27
	v_cmp_ge_i32_e64 s[10:11], s23, v26
	s_nop 0
	v_cndmask_b32_e64 v27, v27, v29, s[8:9]
	v_subrev_u32_e32 v29, s48, v27
	v_cmp_le_u32_e64 s[8:9], s48, v27
	s_nop 1
	v_cndmask_b32_e64 v27, v27, v29, s[8:9]
	v_xor_b32_e32 v27, v27, v28
	v_sub_u32_e32 v27, v27, v28
	v_cmp_ne_u32_e64 s[8:9], 0, v27
	s_and_b64 s[8:9], s[8:9], s[10:11]
	s_and_b64 s[42:43], vcc, s[8:9]
	s_and_saveexec_b64 s[10:11], s[42:43]
	s_cbranch_execz .LBB220_15
; %bb.14:                               ;   in Loop: Header=BB220_13 Depth=1
	ds_write_b32 v17, v19
.LBB220_15:                             ;   in Loop: Header=BB220_13 Depth=1
	s_or_b64 exec, exec, s[10:11]
	s_xor_b64 s[8:9], s[8:9], -1
	s_and_saveexec_b64 s[10:11], s[8:9]
	s_cbranch_execz .LBB220_12
; %bb.16:                               ;   in Loop: Header=BB220_13 Depth=1
	global_load_dword v26, v[8:9], off
	s_waitcnt vmcnt(0)
	v_mad_i64_i32 v[26:27], s[8:9], v26, s49, v[6:7]
	v_lshl_add_u64 v[26:27], v[26:27], 0, v[4:5]
	global_load_ubyte v28, v[26:27], off
	global_load_ubyte v29, v[26:27], off offset:8
	global_load_dword v30, v5, s[12:13]
	global_load_ubyte v31, v[26:27], off offset:128
	global_load_ubyte v32, v[26:27], off offset:136
	;; [unrolled: 1-line block ×8, first 2 shown]
	ds_read_u16 v26, v13
	s_waitcnt lgkmcnt(0)
	;;#ASMSTART
	v_cvt_f32_f16 v26, v26;
	;;#ASMEND
	v_cmp_lt_i32_e64 s[8:9], v22, v21
	s_waitcnt vmcnt(10)
	v_cvt_f32_fp8_sdwa v27, v28 src0_sel:BYTE_0
	s_waitcnt vmcnt(9)
	v_cvt_f32_fp8_sdwa v29, v29 src0_sel:BYTE_0
	v_cndmask_b32_e64 v28, v20, v22, s[8:9]
	s_waitcnt vmcnt(7)
	v_cvt_f32_fp8_sdwa v31, v31 src0_sel:BYTE_0
	v_fma_mixlo_f16 v27, v30, v27, 0
	v_and_b32_e32 v27, 0xffff, v27
	v_fma_mixlo_f16 v29, v30, v29, 0
	s_waitcnt vmcnt(6)
	v_cvt_f32_fp8_sdwa v32, v32 src0_sel:BYTE_0
	;;#ASMSTART
	v_cvt_f32_f16 v27, v27;
	;;#ASMEND
	ds_read_u16 v39, v13 offset:2
	v_and_b32_e32 v29, 0xffff, v29
	s_waitcnt vmcnt(5)
	v_cvt_f32_fp8_sdwa v33, v33 src0_sel:BYTE_0
	s_waitcnt lgkmcnt(0)
	;;#ASMSTART
	v_cvt_f32_f16 v39, v39;
	;;#ASMEND
	;;#ASMSTART
	v_cvt_f32_f16 v29, v29;
	;;#ASMEND
	s_waitcnt vmcnt(4)
	v_cvt_f32_fp8_sdwa v34, v34 src0_sel:BYTE_0
	v_fma_mixlo_f16 v31, v30, v31, 0
	s_waitcnt vmcnt(3)
	v_cvt_f32_fp8_sdwa v35, v35 src0_sel:BYTE_0
	v_mul_f32_e32 v29, v39, v29
	ds_read_u16 v40, v13 offset:4
	v_and_b32_e32 v31, 0xffff, v31
	v_fma_mixlo_f16 v32, v30, v32, 0
	s_waitcnt vmcnt(2)
	v_cvt_f32_fp8_sdwa v36, v36 src0_sel:BYTE_0
	v_fmac_f32_e32 v29, v26, v27
	s_waitcnt lgkmcnt(0)
	;;#ASMSTART
	v_cvt_f32_f16 v40, v40;
	;;#ASMEND
	;;#ASMSTART
	v_cvt_f32_f16 v31, v31;
	;;#ASMEND
	ds_read_u16 v41, v13 offset:6
	v_and_b32_e32 v32, 0xffff, v32
	s_waitcnt vmcnt(1)
	v_cvt_f32_fp8_sdwa v37, v37 src0_sel:BYTE_0
	v_fma_mixlo_f16 v33, v30, v33, 0
	s_waitcnt vmcnt(0)
	v_cvt_f32_fp8_sdwa v38, v38 src0_sel:BYTE_0
	v_fmac_f32_e32 v29, v40, v31
	s_waitcnt lgkmcnt(0)
	;;#ASMSTART
	v_cvt_f32_f16 v41, v41;
	;;#ASMEND
	;;#ASMSTART
	v_cvt_f32_f16 v32, v32;
	;;#ASMEND
	ds_read_u16 v42, v13 offset:8
	v_and_b32_e32 v33, 0xffff, v33
	v_fma_mixlo_f16 v34, v30, v34, 0
	v_fmac_f32_e32 v29, v41, v32
	s_waitcnt lgkmcnt(0)
	;;#ASMSTART
	v_cvt_f32_f16 v42, v42;
	;;#ASMEND
	;;#ASMSTART
	v_cvt_f32_f16 v33, v33;
	;;#ASMEND
	ds_read_u16 v43, v13 offset:10
	v_fma_mixlo_f16 v35, v30, v35, 0
	v_and_b32_e32 v34, 0xffff, v34
	v_fmac_f32_e32 v29, v42, v33
	s_waitcnt lgkmcnt(0)
	;;#ASMSTART
	v_cvt_f32_f16 v43, v43;
	;;#ASMEND
	;;#ASMSTART
	v_cvt_f32_f16 v34, v34;
	;;#ASMEND
	v_fma_mixlo_f16 v36, v30, v36, 0
	v_and_b32_e32 v35, 0xffff, v35
	v_fmac_f32_e32 v29, v43, v34
	ds_read_u16 v44, v13 offset:12
	v_fma_mixlo_f16 v37, v30, v37, 0
	v_fma_mixlo_f16 v30, v30, v38, 0
	s_waitcnt lgkmcnt(0)
	;;#ASMSTART
	v_cvt_f32_f16 v38, v44;
	;;#ASMEND
	;;#ASMSTART
	v_cvt_f32_f16 v35, v35;
	;;#ASMEND
	v_and_b32_e32 v36, 0xffff, v36
	v_fmac_f32_e32 v29, v38, v35
	ds_read_u16 v44, v13 offset:14
	s_waitcnt lgkmcnt(0)
	;;#ASMSTART
	v_cvt_f32_f16 v39, v44;
	;;#ASMEND
	;;#ASMSTART
	v_cvt_f32_f16 v36, v36;
	;;#ASMEND
	v_and_b32_e32 v37, 0xffff, v37
	v_fmac_f32_e32 v29, v39, v36
	ds_read_u16 v44, v13 offset:16
	s_waitcnt lgkmcnt(0)
	;;#ASMSTART
	v_cvt_f32_f16 v26, v44;
	;;#ASMEND
	;;#ASMSTART
	v_cvt_f32_f16 v27, v37;
	;;#ASMEND
	v_lshlrev_b32_e32 v28, 2, v28
	v_fmac_f32_e32 v29, v26, v27
	v_and_b32_e32 v30, 0xffff, v30
	ds_read_u16 v31, v13 offset:18
	s_waitcnt lgkmcnt(0)
	;;#ASMSTART
	v_cvt_f32_f16 v26, v31;
	;;#ASMEND
	;;#ASMSTART
	v_cvt_f32_f16 v27, v30;
	;;#ASMEND
	v_cmp_lt_i32_e64 s[8:9], v23, v21
	v_fmac_f32_e32 v29, v26, v27
	ds_bpermute_b32 v26, v28, v29
	v_cndmask_b32_e64 v27, v20, v23, s[8:9]
	v_lshlrev_b32_e32 v27, 2, v27
	v_cmp_lt_i32_e64 s[8:9], v24, v21
	s_waitcnt lgkmcnt(0)
	v_add_f32_e32 v26, v29, v26
	ds_bpermute_b32 v27, v27, v26
	v_cndmask_b32_e64 v28, v20, v24, s[8:9]
	s_waitcnt lgkmcnt(0)
	v_add_f32_e32 v26, v26, v27
	v_lshlrev_b32_e32 v27, 2, v28
	ds_bpermute_b32 v27, v27, v26
	s_and_saveexec_b64 s[42:43], vcc
	s_cbranch_execz .LBB220_11
; %bb.17:                               ;   in Loop: Header=BB220_13 Depth=1
	v_add_u32_e32 v28, v18, v16
	v_cvt_f32_i32_e32 v28, v28
	s_waitcnt lgkmcnt(0)
	v_add_f32_e32 v26, v26, v27
	v_add_u32_e32 v29, v11, v16
	v_cmp_gt_i32_e64 s[8:9], s25, v29
	v_mul_f32_e32 v27, s47, v28
	v_cndmask_b32_e64 v27, 0, v27, s[0:1]
	v_fmac_f32_e32 v27, s39, v26
	v_cndmask_b32_e64 v26, 0, v27, s[8:9]
	ds_write_b32 v17, v26
	v_max_f32_e32 v26, v14, v14
	v_max_f32_e32 v26, v26, v27
	v_cndmask_b32_e64 v14, v14, v26, s[8:9]
	s_branch .LBB220_11
.LBB220_18:
	s_or_b64 exec, exec, s[40:41]
.LBB220_19:
	s_or_b64 exec, exec, s[18:19]
	v_mbcnt_hi_u32_b32 v4, -1, v10
	v_and_b32_e32 v5, 64, v4
	v_add_u32_e32 v5, 64, v5
	v_xor_b32_e32 v6, 32, v4
	v_cmp_lt_i32_e32 vcc, v6, v5
	v_xor_b32_e32 v9, 16, v4
	v_max_f32_e32 v8, v14, v14
	v_cndmask_b32_e32 v6, v4, v6, vcc
	v_lshlrev_b32_e32 v7, 2, v6
	ds_bpermute_b32 v6, v7, v14
	v_cmp_lt_i32_e32 vcc, v9, v5
	v_xor_b32_e32 v10, 8, v4
	v_and_b32_e32 v24, 63, v0
	s_waitcnt lgkmcnt(0)
	v_max_f32_e32 v6, v6, v6
	v_max_f32_e32 v6, v8, v6
	v_cndmask_b32_e32 v8, v4, v9, vcc
	v_lshlrev_b32_e32 v9, 2, v8
	ds_bpermute_b32 v8, v9, v6
	v_cmp_lt_i32_e32 vcc, v10, v5
	s_waitcnt lgkmcnt(0)
	v_max_f32_e32 v8, v8, v8
	v_max_f32_e32 v8, v6, v8
	v_cndmask_b32_e32 v6, v4, v10, vcc
	v_lshlrev_b32_e32 v11, 2, v6
	ds_bpermute_b32 v10, v11, v8
	v_cmp_eq_u32_e32 vcc, 0, v24
	v_lshlrev_b32_e32 v6, 2, v1
	s_and_saveexec_b64 s[0:1], vcc
	s_cbranch_execz .LBB220_21
; %bb.20:
	s_waitcnt lgkmcnt(0)
	v_max_f32_e32 v10, v10, v10
	v_max_f32_e32 v8, v8, v8
	;; [unrolled: 1-line block ×3, first 2 shown]
	ds_write_b32 v6, v8 offset:160
.LBB220_21:
	s_or_b64 exec, exec, s[0:1]
	v_cmp_gt_u32_e64 s[0:1], 2, v24
	v_mov_b32_e32 v13, 0xff7fffff
	v_lshlrev_b32_e32 v8, 2, v24
	s_waitcnt lgkmcnt(0)
	s_barrier
	s_and_saveexec_b64 s[8:9], s[0:1]
	s_cbranch_execz .LBB220_23
; %bb.22:
	ds_read_b32 v13, v8 offset:160
.LBB220_23:
	s_or_b64 exec, exec, s[8:9]
	v_xor_b32_e32 v10, 1, v4
	v_cmp_lt_i32_e64 s[8:9], v10, v5
	v_lshlrev_b32_e32 v15, 2, v4
	s_nop 0
	v_cndmask_b32_e64 v10, v4, v10, s[8:9]
	v_lshlrev_b32_e32 v10, 2, v10
	s_waitcnt lgkmcnt(0)
	ds_bpermute_b32 v14, v10, v13
	v_max_f32_e32 v13, v13, v13
	s_lshl_b32 s8, s46, 3
	s_min_i32 s23, s8, s25
	v_cmp_gt_i32_e64 s[8:9], s23, v0
	s_waitcnt lgkmcnt(0)
	v_max_f32_e32 v14, v14, v14
	v_max_f32_e32 v14, v13, v14
	v_and_b32_e32 v13, 0x100, v15
	ds_bpermute_b32 v15, v13, v14
	v_mov_b32_e32 v14, 0
	s_and_saveexec_b64 s[12:13], s[8:9]
	s_cbranch_execz .LBB220_27
; %bb.24:
	v_mov_b32_e32 v14, 0xb0
	v_lshl_add_u32 v16, v0, 2, v14
	s_mov_b64 s[18:19], 0
	v_mov_b32_e32 v14, 0
	v_mov_b32_e32 v17, v0
.LBB220_25:                             ; =>This Inner Loop Header: Depth=1
	ds_read_b32 v18, v16
	v_add_u32_e32 v17, 0x80, v17
	v_cmp_le_i32_e64 s[10:11], s23, v17
	s_or_b64 s[18:19], s[10:11], s[18:19]
	s_waitcnt lgkmcnt(0)
	v_sub_f32_e32 v18, v18, v15
	v_mul_f32_e32 v18, 0x3fb8aa3b, v18
	v_exp_f32_e32 v18, v18
	ds_write_b32 v16, v18
	v_add_f32_e32 v14, v14, v18
	v_add_u32_e32 v16, 0x200, v16
	s_andn2_b64 exec, exec, s[18:19]
	s_cbranch_execnz .LBB220_25
; %bb.26:
	s_or_b64 exec, exec, s[18:19]
.LBB220_27:
	s_or_b64 exec, exec, s[12:13]
	ds_bpermute_b32 v7, v7, v14
	s_waitcnt lgkmcnt(0)
	v_add_f32_e32 v7, v14, v7
	ds_bpermute_b32 v9, v9, v7
	s_waitcnt lgkmcnt(0)
	v_add_f32_e32 v7, v7, v9
	ds_bpermute_b32 v9, v11, v7
	v_xor_b32_e32 v11, 4, v4
	v_cmp_lt_i32_e64 s[10:11], v11, v5
	s_waitcnt lgkmcnt(0)
	v_add_f32_e32 v7, v7, v9
	v_cndmask_b32_e64 v11, v4, v11, s[10:11]
	v_lshlrev_b32_e32 v11, 2, v11
	ds_bpermute_b32 v9, v11, v7
	v_xor_b32_e32 v11, 2, v4
	v_cmp_lt_i32_e64 s[10:11], v11, v5
	s_waitcnt lgkmcnt(0)
	v_add_f32_e32 v5, v7, v9
	v_cndmask_b32_e64 v4, v4, v11, s[10:11]
	v_lshlrev_b32_e32 v4, 2, v4
	ds_bpermute_b32 v4, v4, v5
	s_waitcnt lgkmcnt(0)
	v_add_f32_e32 v4, v5, v4
	ds_bpermute_b32 v5, v10, v4
	s_waitcnt lgkmcnt(0)
	v_add_f32_e32 v4, v4, v5
	s_and_saveexec_b64 s[10:11], vcc
	s_cbranch_execz .LBB220_29
; %bb.28:
	ds_write_b32 v6, v4 offset:168
.LBB220_29:
	s_or_b64 exec, exec, s[10:11]
	s_waitcnt lgkmcnt(0)
	s_barrier
	s_and_saveexec_b64 s[10:11], s[0:1]
	s_cbranch_execz .LBB220_31
; %bb.30:
	ds_read_b32 v4, v8 offset:168
.LBB220_31:
	s_or_b64 exec, exec, s[10:11]
	s_waitcnt lgkmcnt(0)
	ds_bpermute_b32 v5, v10, v4
	s_waitcnt lgkmcnt(0)
	v_add_f32_e32 v4, v4, v5
	ds_bpermute_b32 v4, v13, v4
	s_and_saveexec_b64 s[0:1], s[8:9]
	s_cbranch_execz .LBB220_44
; %bb.32:
	s_waitcnt lgkmcnt(0)
	v_add_f32_e32 v4, 0x358637bd, v4
	v_div_scale_f32 v5, s[8:9], v4, v4, 1.0
	v_rcp_f32_e32 v6, v5
	v_div_scale_f32 v7, vcc, 1.0, v4, 1.0
	s_movk_i32 s8, 0x7f
	v_fma_f32 v8, -v5, v6, 1.0
	v_fmac_f32_e32 v6, v8, v6
	v_mul_f32_e32 v8, v7, v6
	v_fma_f32 v9, -v5, v8, v7
	v_fmac_f32_e32 v8, v9, v6
	v_fma_f32 v5, -v5, v8, v7
	v_div_fmas_f32 v5, v5, v6, v8
	v_xad_u32 v6, v0, -1, s23
	v_div_fixup_f32 v4, v5, v4, 1.0
	v_cmp_lt_u32_e32 vcc, s8, v6
	s_mov_b64 s[10:11], -1
	v_mov_b32_e32 v5, v0
	s_and_saveexec_b64 s[8:9], vcc
	s_cbranch_execz .LBB220_41
; %bb.33:
	v_lshrrev_b32_e32 v6, 7, v6
	v_add_u32_e32 v8, -1, v6
	v_lshrrev_b32_e32 v7, 1, v8
	v_mov_b32_e32 v5, v4
	v_add_u32_e32 v7, 1, v7
	v_cmp_lt_u32_e32 vcc, 13, v8
	v_mov_b32_e32 v10, 0
	s_and_saveexec_b64 s[10:11], vcc
	s_cbranch_execz .LBB220_37
; %bb.34:
	v_mov_b32_e32 v9, 0xb0
	v_and_b32_e32 v8, -8, v7
	v_lshl_add_u32 v9, v0, 2, v9
	s_mov_b32 s18, 0
	s_mov_b64 s[12:13], 0
.LBB220_35:                             ; =>This Inner Loop Header: Depth=1
	ds_read2st64_b32 v[10:11], v9 offset1:2
	ds_read2st64_b32 v[14:15], v9 offset0:4 offset1:6
	ds_read2st64_b32 v[16:17], v9 offset0:8 offset1:10
	;; [unrolled: 1-line block ×3, first 2 shown]
	v_add_u32_e32 v8, -8, v8
	s_waitcnt lgkmcnt(3)
	v_pk_mul_f32 v[10:11], v[4:5], v[10:11]
	s_waitcnt lgkmcnt(2)
	v_pk_mul_f32 v[14:15], v[4:5], v[14:15]
	ds_write2st64_b32 v9, v10, v11 offset1:2
	ds_write2st64_b32 v9, v14, v15 offset0:4 offset1:6
	ds_read2st64_b32 v[14:15], v9 offset0:16 offset1:18
	s_waitcnt lgkmcnt(4)
	v_pk_mul_f32 v[10:11], v[4:5], v[16:17]
	ds_write2st64_b32 v9, v10, v11 offset0:8 offset1:10
	s_waitcnt lgkmcnt(4)
	v_pk_mul_f32 v[10:11], v[4:5], v[18:19]
	ds_write2st64_b32 v9, v10, v11 offset0:12 offset1:14
	ds_read2st64_b32 v[10:11], v9 offset0:20 offset1:22
	s_waitcnt lgkmcnt(3)
	v_pk_mul_f32 v[14:15], v[4:5], v[14:15]
	ds_read2st64_b32 v[16:17], v9 offset0:24 offset1:26
	ds_write2st64_b32 v9, v14, v15 offset0:16 offset1:18
	ds_read2st64_b32 v[14:15], v9 offset0:28 offset1:30
	s_waitcnt lgkmcnt(3)
	v_pk_mul_f32 v[10:11], v[4:5], v[10:11]
	ds_write2st64_b32 v9, v10, v11 offset0:20 offset1:22
	s_waitcnt lgkmcnt(3)
	v_pk_mul_f32 v[10:11], v[4:5], v[16:17]
	ds_write2st64_b32 v9, v10, v11 offset0:24 offset1:26
	s_waitcnt lgkmcnt(2)
	v_pk_mul_f32 v[10:11], v[4:5], v[14:15]
	s_add_i32 s18, s18, 16
	v_cmp_eq_u32_e32 vcc, 0, v8
	ds_write2st64_b32 v9, v10, v11 offset0:28 offset1:30
	v_add_u32_e32 v9, 0x2000, v9
	s_or_b64 s[12:13], vcc, s[12:13]
	v_mov_b32_e32 v10, s18
	s_andn2_b64 exec, exec, s[12:13]
	s_cbranch_execnz .LBB220_35
; %bb.36:
	s_or_b64 exec, exec, s[12:13]
.LBB220_37:
	s_or_b64 exec, exec, s[10:11]
	v_and_b32_e32 v7, 7, v7
	v_cmp_ne_u32_e32 vcc, 0, v7
	s_and_saveexec_b64 s[10:11], vcc
	s_cbranch_execz .LBB220_40
; %bb.38:
	v_lshlrev_b32_e32 v8, 9, v10
	v_lshlrev_b32_e32 v9, 2, v0
	s_movk_i32 s12, 0xb0
	v_add3_u32 v8, v8, v9, s12
	s_mov_b64 s[12:13], 0
.LBB220_39:                             ; =>This Inner Loop Header: Depth=1
	ds_read2st64_b32 v[10:11], v8 offset1:2
	v_add_u32_e32 v7, -1, v7
	v_cmp_eq_u32_e32 vcc, 0, v7
	s_or_b64 s[12:13], vcc, s[12:13]
	s_waitcnt lgkmcnt(0)
	v_pk_mul_f32 v[10:11], v[4:5], v[10:11]
	ds_write2st64_b32 v8, v10, v11 offset1:2
	v_add_u32_e32 v8, 0x400, v8
	s_andn2_b64 exec, exec, s[12:13]
	s_cbranch_execnz .LBB220_39
.LBB220_40:
	s_or_b64 exec, exec, s[10:11]
	v_add_u32_e32 v6, 1, v6
	v_and_b32_e32 v7, 0x3fffffe, v6
	v_cmp_ne_u32_e32 vcc, v6, v7
	v_lshl_add_u32 v5, v7, 7, v0
	s_orn2_b64 s[10:11], vcc, exec
.LBB220_41:
	s_or_b64 exec, exec, s[8:9]
	s_and_b64 exec, exec, s[10:11]
	s_cbranch_execz .LBB220_44
; %bb.42:
	v_mov_b32_e32 v6, 0xb0
	v_lshl_add_u32 v6, v5, 2, v6
	s_mov_b64 s[8:9], 0
.LBB220_43:                             ; =>This Inner Loop Header: Depth=1
	ds_read_b32 v7, v6
	v_add_u32_e32 v5, 0x80, v5
	v_cmp_le_i32_e32 vcc, s23, v5
	s_or_b64 s[8:9], vcc, s[8:9]
	s_waitcnt lgkmcnt(0)
	v_mul_f32_e32 v7, v4, v7
	ds_write_b32 v6, v7
	v_add_u32_e32 v6, 0x200, v6
	s_andn2_b64 exec, exec, s[8:9]
	s_cbranch_execnz .LBB220_43
.LBB220_44:
	s_or_b64 exec, exec, s[0:1]
	s_mov_b32 s0, 0
	s_mov_b32 s1, s0
	s_waitcnt lgkmcnt(0)
	v_mov_b64_e32 v[4:5], s[0:1]
	s_barrier
	s_and_saveexec_b64 s[8:9], s[2:3]
	s_cbranch_execz .LBB220_184
; %bb.45:
	s_sub_i32 s39, s16, s21
	s_ashr_i32 s2, s20, 31
	s_add_u32 s10, s36, s20
	s_addc_u32 s11, s37, s2
	s_abs_i32 s37, s22
	v_cvt_f32_u32_e32 v4, s37
	v_or_b32_e32 v5, 64, v24
	s_movk_i32 s2, 0x50
	v_cmp_gt_u32_e32 vcc, s2, v5
	v_rcp_iflag_f32_e32 v4, v4
	s_sub_i32 s2, 0, s37
	s_add_i32 s36, s46, -1
	v_lshlrev_b32_e32 v10, 3, v5
	v_mul_f32_e32 v4, 0x4f7ffffe, v4
	v_cvt_u32_f32_e32 v4, v4
	v_mov_b32_e32 v9, 0
	v_and_b32_e32 v8, 60, v12
	s_mov_b32 s40, s17
	v_mul_lo_u32 v5, s2, v4
	s_lshl_b64 s[2:3], s[34:35], 2
	v_mul_hi_u32 v5, v4, v5
	s_add_u32 s2, s30, s2
	v_add_u32_e32 v25, v4, v5
	s_addc_u32 s3, s31, s3
	v_mov_b32_e32 v4, 0xb0
	v_lshlrev_b32_e32 v6, 3, v24
	v_mov_b32_e32 v7, v9
	v_mov_b32_e32 v11, v9
	s_mov_b32 s41, s25
	v_lshl_add_u64 v[12:13], s[2:3], 0, v[8:9]
	v_lshl_add_u32 v26, v1, 5, v4
	s_mov_b64 s[12:13], 0
	v_mov_b64_e32 v[4:5], s[0:1]
	s_movk_i32 s34, 0x7f
	s_movk_i32 s35, 0x80
	s_mov_b32 s42, 0x8000
	s_movk_i32 s43, 0x380
	s_mov_b32 s47, 0x3020706
	s_mov_b32 s48, 0x1000504
	;; [unrolled: 1-line block ×3, first 2 shown]
	v_mov_b32_e32 v27, 0x1c00
	s_branch .LBB220_49
.LBB220_46:                             ;   in Loop: Header=BB220_49 Depth=1
	s_or_b64 exec, exec, s[20:21]
	;;#ASMSTART
	v_pk_mul_f16 v16, v29, v17;

	;;#ASMEND
	;;#ASMSTART
	v_pk_mul_f16 v8, v28, v8;

	;;#ASMEND
	;;#ASMSTART
	v_pk_mul_f16 v15, v23, v15;

	;;#ASMEND
	;;#ASMSTART
	v_pk_mul_f16 v14, v22, v14;

	;;#ASMEND
	s_nop 0
	;;#ASMSTART
	v_pk_add_f16 v8, v16, v8;

	;;#ASMEND
	s_nop 0
	;;#ASMSTART
	v_pk_add_f16 v8, v8, v15;

	;;#ASMEND
	;; [unrolled: 5-line block ×3, first 2 shown]
	s_nop 0
	v_lshrrev_b32_e32 v14, 16, v8
	v_and_b32_e32 v8, 0xffff, v8
	;;#ASMSTART
	v_cvt_f32_f16 v8, v8;
	;;#ASMEND
	;;#ASMSTART
	v_cvt_f32_f16 v14, v14;
	;;#ASMEND
	s_nop 0
	v_add_f32_e32 v8, v8, v14
	v_add_f32_e32 v5, v5, v8
.LBB220_47:                             ;   in Loop: Header=BB220_49 Depth=1
	s_or_b64 exec, exec, s[18:19]
.LBB220_48:                             ;   in Loop: Header=BB220_49 Depth=1
	s_or_b64 exec, exec, s[16:17]
	v_add_u32_e32 v1, 2, v1
	v_cmp_le_i32_e64 s[0:1], s46, v1
	v_lshl_add_u64 v[12:13], v[12:13], 0, 8
	v_add_u32_e32 v3, 16, v3
	s_or_b64 s[12:13], s[0:1], s[12:13]
	v_add_u32_e32 v26, 64, v26
	s_andn2_b64 exec, exec, s[12:13]
	s_cbranch_execz .LBB220_183
.LBB220_49:                             ; =>This Inner Loop Header: Depth=1
	v_mul_hi_u32 v8, v3, s44
	v_mul_lo_u32 v14, v8, s33
	v_sub_u32_e32 v14, v3, v14
	v_add_u32_e32 v15, 1, v8
	v_cmp_le_u32_e64 s[0:1], s33, v14
	s_nop 1
	v_cndmask_b32_e64 v8, v8, v15, s[0:1]
	v_subrev_u32_e32 v15, s33, v14
	v_cndmask_b32_e64 v14, v14, v15, s[0:1]
	v_add_u32_e32 v15, 1, v8
	v_cmp_le_u32_e64 s[0:1], s33, v14
	s_nop 1
	v_cndmask_b32_e64 v8, v8, v15, s[0:1]
	v_xor_b32_e32 v8, s45, v8
	v_subrev_u32_e32 v8, s45, v8
	v_add_u32_e32 v14, s38, v8
	v_sub_u32_e32 v16, 0, v14
	v_ashrrev_i32_e32 v15, 31, v14
	v_max_i32_e32 v14, v14, v16
	v_mul_hi_u32 v16, v14, v25
	v_mul_lo_u32 v16, v16, s37
	v_sub_u32_e32 v14, v14, v16
	v_subrev_u32_e32 v16, s37, v14
	v_cmp_le_u32_e64 s[0:1], s37, v14
	v_cmp_lt_i32_e64 s[2:3], s39, v8
	s_nop 0
	v_cndmask_b32_e64 v14, v14, v16, s[0:1]
	v_subrev_u32_e32 v16, s37, v14
	v_cmp_le_u32_e64 s[0:1], s37, v14
	s_nop 1
	v_cndmask_b32_e64 v14, v14, v16, s[0:1]
	v_xor_b32_e32 v14, v14, v15
	v_sub_u32_e32 v14, v14, v15
	v_cmp_eq_u32_e64 s[0:1], 0, v14
	s_or_b64 s[0:1], s[0:1], s[2:3]
	s_and_saveexec_b64 s[16:17], s[0:1]
	s_cbranch_execz .LBB220_48
; %bb.50:                               ;   in Loop: Header=BB220_49 Depth=1
	ds_read2_b64 v[18:21], v26 offset1:1
	ds_read2_b64 v[32:35], v26 offset0:2 offset1:3
	v_mov_b64_e32 v[14:15], s[10:11]
                                        ; implicit-def: $sgpr20
	s_waitcnt lgkmcnt(1)
	;;#ASMSTART
	v_cvt_f16_f32 v17, v18;

	;;#ASMEND
	;;#ASMSTART
	v_cvt_f16_f32 v28, v19;

	;;#ASMEND
	;; [unrolled: 4-line block ×4, first 2 shown]
	s_waitcnt lgkmcnt(0)
	;;#ASMSTART
	v_cvt_f16_f32 v32, v32;

	;;#ASMEND
	;;#ASMSTART
	v_cvt_f16_f32 v33, v33;

	;;#ASMEND
	;; [unrolled: 4-line block ×4, first 2 shown]
	global_load_dword v8, v[12:13], off
	s_waitcnt vmcnt(0)
	v_mad_i64_i32 v[14:15], s[0:1], v8, s40, v[14:15]
	v_lshl_add_u64 v[20:21], v[14:15], 0, v[6:7]
	global_load_dwordx2 v[18:19], v[20:21], off
	global_load_dword v16, v9, s[14:15]
	s_mov_b64 s[0:1], 0
	s_waitcnt vmcnt(1)
	v_cmp_gt_i16_sdwa s[2:3], v18, s34 src0_sel:BYTE_0 src1_sel:DWORD
	s_and_saveexec_b64 s[18:19], s[2:3]
	s_xor_b64 s[2:3], exec, s[18:19]
	s_cbranch_execnz .LBB220_119
; %bb.51:                               ;   in Loop: Header=BB220_49 Depth=1
	s_or_saveexec_b64 s[2:3], s[2:3]
	v_mov_b32_e32 v20, s20
	s_xor_b64 exec, exec, s[2:3]
	s_cbranch_execnz .LBB220_122
.LBB220_52:                             ;   in Loop: Header=BB220_49 Depth=1
	s_or_b64 exec, exec, s[2:3]
	s_and_saveexec_b64 s[2:3], s[0:1]
	s_cbranch_execz .LBB220_54
.LBB220_53:                             ;   in Loop: Header=BB220_49 Depth=1
	v_and_b32_e32 v8, 7, v18
	v_ffbh_u32_e32 v8, v8
	v_bfe_u32 v20, v18, 3, 4
	v_min_u32_e32 v8, 32, v8
	v_subrev_u32_e32 v21, 28, v8
	v_sub_u32_e32 v8, 29, v8
	v_cmp_eq_u32_e64 s[0:1], 0, v20
	s_nop 1
	v_cndmask_b32_e64 v8, v20, v8, s[0:1]
	v_cndmask_b32_e64 v20, 0, v21, s[0:1]
	v_lshlrev_b64 v[20:21], v20, v[18:19]
	v_lshlrev_b32_e32 v21, 8, v18
	v_lshl_add_u32 v8, v8, 10, v27
	v_lshlrev_b32_e32 v20, 7, v20
	v_and_or_b32 v8, v21, s42, v8
	v_and_or_b32 v8, v20, s43, v8
	v_cvt_f32_f16_e32 v20, v8
.LBB220_54:                             ;   in Loop: Header=BB220_49 Depth=1
	s_or_b64 exec, exec, s[2:3]
	v_lshrrev_b16_e32 v8, 8, v18
	v_cmp_lt_i16_e64 s[0:1], s34, v8
	s_mov_b64 s[2:3], 0
                                        ; implicit-def: $sgpr22
	s_and_saveexec_b64 s[18:19], s[0:1]
	s_xor_b64 s[18:19], exec, s[18:19]
	s_cbranch_execnz .LBB220_123
; %bb.55:                               ;   in Loop: Header=BB220_49 Depth=1
	s_or_saveexec_b64 s[18:19], s[18:19]
	v_mov_b32_e32 v22, s22
	s_xor_b64 exec, exec, s[18:19]
	s_cbranch_execnz .LBB220_126
.LBB220_56:                             ;   in Loop: Header=BB220_49 Depth=1
	s_or_b64 exec, exec, s[18:19]
	s_and_saveexec_b64 s[18:19], s[2:3]
	s_cbranch_execz .LBB220_58
.LBB220_57:                             ;   in Loop: Header=BB220_49 Depth=1
	v_and_b32_e32 v21, 7, v8
	v_ffbh_u32_e32 v22, v21
	v_min_u32_e32 v36, 32, v22
	v_subrev_u32_e32 v22, 28, v36
	v_bfe_u32 v29, v8, 3, 4
	v_lshlrev_b64 v[22:23], v22, v[8:9]
	v_sub_u32_e32 v23, 29, v36
	v_cmp_eq_u32_e64 s[0:1], 0, v29
	v_and_b32_e32 v22, 7, v22
	v_lshlrev_b32_e32 v8, 8, v8
	v_cndmask_b32_e64 v23, v29, v23, s[0:1]
	v_cndmask_b32_e64 v21, v21, v22, s[0:1]
	v_lshl_add_u32 v22, v23, 10, v27
	v_and_or_b32 v8, v8, s42, v22
	v_lshl_or_b32 v8, v21, 7, v8
	v_cvt_f32_f16_e32 v22, v8
.LBB220_58:                             ;   in Loop: Header=BB220_49 Depth=1
	s_or_b64 exec, exec, s[18:19]
	v_lshrrev_b32_e32 v8, 16, v18
	v_cmp_gt_i16_sdwa s[2:3], v8, s34 src0_sel:BYTE_0 src1_sel:DWORD
	s_mov_b64 s[0:1], 0
                                        ; implicit-def: $sgpr20
	s_and_saveexec_b64 s[18:19], s[2:3]
	s_xor_b64 s[2:3], exec, s[18:19]
	s_cbranch_execnz .LBB220_127
; %bb.59:                               ;   in Loop: Header=BB220_49 Depth=1
	s_or_saveexec_b64 s[2:3], s[2:3]
	v_mov_b32_e32 v21, s20
	s_xor_b64 exec, exec, s[2:3]
	s_cbranch_execnz .LBB220_130
.LBB220_60:                             ;   in Loop: Header=BB220_49 Depth=1
	s_or_b64 exec, exec, s[2:3]
	s_and_saveexec_b64 s[2:3], s[0:1]
	s_cbranch_execz .LBB220_62
.LBB220_61:                             ;   in Loop: Header=BB220_49 Depth=1
	v_bfe_u32 v21, v18, 16, 3
	v_ffbh_u32_e32 v29, v21
	v_bfe_u32 v23, v18, 19, 4
	v_min_u32_e32 v29, 32, v29
	v_subrev_u32_e32 v36, 28, v29
	v_sub_u32_e32 v29, 29, v29
	v_cmp_eq_u32_e64 s[0:1], 0, v23
	v_lshlrev_b64 v[36:37], v36, v[8:9]
	v_and_b32_e32 v36, 7, v36
	v_cndmask_b32_e64 v23, v23, v29, s[0:1]
	v_lshlrev_b32_e32 v8, 8, v8
	v_lshl_add_u32 v23, v23, 10, v27
	v_cndmask_b32_e64 v21, v21, v36, s[0:1]
	v_and_or_b32 v8, v8, s42, v23
	v_lshl_or_b32 v8, v21, 7, v8
	v_cvt_f32_f16_e32 v21, v8
.LBB220_62:                             ;   in Loop: Header=BB220_49 Depth=1
	s_or_b64 exec, exec, s[2:3]
	v_lshrrev_b32_e32 v8, 24, v18
	v_cmp_lt_i16_e64 s[0:1], s34, v8
	s_mov_b64 s[2:3], 0
                                        ; implicit-def: $sgpr22
	s_and_saveexec_b64 s[18:19], s[0:1]
	s_xor_b64 s[18:19], exec, s[18:19]
	s_cbranch_execnz .LBB220_131
; %bb.63:                               ;   in Loop: Header=BB220_49 Depth=1
	s_or_saveexec_b64 s[18:19], s[18:19]
	v_mov_b32_e32 v23, s22
	s_xor_b64 exec, exec, s[18:19]
	s_cbranch_execnz .LBB220_134
.LBB220_64:                             ;   in Loop: Header=BB220_49 Depth=1
	s_or_b64 exec, exec, s[18:19]
	s_and_saveexec_b64 s[18:19], s[2:3]
	s_cbranch_execz .LBB220_66
.LBB220_65:                             ;   in Loop: Header=BB220_49 Depth=1
	v_bfe_u32 v23, v18, 24, 3
	v_ffbh_u32_e32 v29, v23
	v_bfe_u32 v18, v18, 27, 4
	v_min_u32_e32 v29, 32, v29
	v_subrev_u32_e32 v36, 28, v29
	v_sub_u32_e32 v29, 29, v29
	v_cmp_eq_u32_e64 s[0:1], 0, v18
	v_lshlrev_b64 v[36:37], v36, v[8:9]
	v_and_b32_e32 v36, 7, v36
	v_cndmask_b32_e64 v18, v18, v29, s[0:1]
	v_lshlrev_b32_e32 v8, 8, v8
	v_lshl_add_u32 v18, v18, 10, v27
	v_cndmask_b32_e64 v23, v23, v36, s[0:1]
	v_and_or_b32 v8, v8, s42, v18
	v_lshl_or_b32 v8, v23, 7, v8
	v_cvt_f32_f16_e32 v23, v8
.LBB220_66:                             ;   in Loop: Header=BB220_49 Depth=1
	s_or_b64 exec, exec, s[18:19]
	v_cmp_gt_i16_sdwa s[2:3], v19, s34 src0_sel:BYTE_0 src1_sel:DWORD
	s_mov_b64 s[0:1], 0
                                        ; implicit-def: $sgpr20
	s_and_saveexec_b64 s[18:19], s[2:3]
	s_xor_b64 s[2:3], exec, s[18:19]
	s_cbranch_execnz .LBB220_135
; %bb.67:                               ;   in Loop: Header=BB220_49 Depth=1
	s_or_saveexec_b64 s[2:3], s[2:3]
	v_mov_b32_e32 v18, s20
	s_xor_b64 exec, exec, s[2:3]
	s_cbranch_execnz .LBB220_138
.LBB220_68:                             ;   in Loop: Header=BB220_49 Depth=1
	s_or_b64 exec, exec, s[2:3]
	v_mov_b32_e32 v8, v19
	s_and_saveexec_b64 s[2:3], s[0:1]
	s_cbranch_execz .LBB220_70
.LBB220_69:                             ;   in Loop: Header=BB220_49 Depth=1
	v_and_b32_e32 v18, 7, v19
	v_ffbh_u32_e32 v18, v18
	v_bfe_u32 v29, v19, 3, 4
	v_min_u32_e32 v18, 32, v18
	v_subrev_u32_e32 v36, 28, v18
	v_sub_u32_e32 v18, 29, v18
	v_cmp_eq_u32_e64 s[0:1], 0, v29
	s_nop 1
	v_cndmask_b32_e64 v18, v29, v18, s[0:1]
	v_cndmask_b32_e64 v29, 0, v36, s[0:1]
	v_lshlrev_b64 v[36:37], v29, v[8:9]
	v_lshlrev_b32_e32 v29, 7, v36
	v_lshlrev_b32_e32 v36, 8, v19
	v_lshl_add_u32 v18, v18, 10, v27
	v_and_or_b32 v18, v36, s42, v18
	v_and_or_b32 v18, v29, s43, v18
	v_cvt_f32_f16_e32 v18, v18
.LBB220_70:                             ;   in Loop: Header=BB220_49 Depth=1
	s_or_b64 exec, exec, s[2:3]
	v_lshrrev_b16_e32 v8, 8, v8
	v_cmp_lt_i16_e64 s[0:1], s34, v8
	s_mov_b64 s[2:3], 0
                                        ; implicit-def: $sgpr22
	s_and_saveexec_b64 s[18:19], s[0:1]
	s_xor_b64 s[18:19], exec, s[18:19]
	s_cbranch_execnz .LBB220_139
; %bb.71:                               ;   in Loop: Header=BB220_49 Depth=1
	s_or_saveexec_b64 s[18:19], s[18:19]
	v_mov_b32_e32 v29, s22
	s_xor_b64 exec, exec, s[18:19]
	s_cbranch_execnz .LBB220_142
.LBB220_72:                             ;   in Loop: Header=BB220_49 Depth=1
	s_or_b64 exec, exec, s[18:19]
	s_and_saveexec_b64 s[18:19], s[2:3]
	s_cbranch_execz .LBB220_74
.LBB220_73:                             ;   in Loop: Header=BB220_49 Depth=1
	v_and_b32_e32 v29, 7, v8
	v_ffbh_u32_e32 v36, v29
	v_min_u32_e32 v39, 32, v36
	v_subrev_u32_e32 v36, 28, v39
	v_bfe_u32 v38, v8, 3, 4
	v_lshlrev_b64 v[36:37], v36, v[8:9]
	v_sub_u32_e32 v37, 29, v39
	v_cmp_eq_u32_e64 s[0:1], 0, v38
	v_and_b32_e32 v36, 7, v36
	v_lshlrev_b32_e32 v8, 8, v8
	v_cndmask_b32_e64 v37, v38, v37, s[0:1]
	v_cndmask_b32_e64 v29, v29, v36, s[0:1]
	v_lshl_add_u32 v36, v37, 10, v27
	v_and_or_b32 v8, v8, s42, v36
	v_lshl_or_b32 v8, v29, 7, v8
	v_cvt_f32_f16_e32 v29, v8
.LBB220_74:                             ;   in Loop: Header=BB220_49 Depth=1
	s_or_b64 exec, exec, s[18:19]
	v_lshrrev_b32_e32 v8, 16, v19
	v_cmp_gt_i16_sdwa s[2:3], v8, s34 src0_sel:BYTE_0 src1_sel:DWORD
	s_mov_b64 s[0:1], 0
                                        ; implicit-def: $sgpr20
	s_and_saveexec_b64 s[18:19], s[2:3]
	s_xor_b64 s[2:3], exec, s[18:19]
	s_cbranch_execnz .LBB220_143
; %bb.75:                               ;   in Loop: Header=BB220_49 Depth=1
	s_or_saveexec_b64 s[2:3], s[2:3]
	v_mov_b32_e32 v36, s20
	s_xor_b64 exec, exec, s[2:3]
	s_cbranch_execnz .LBB220_146
.LBB220_76:                             ;   in Loop: Header=BB220_49 Depth=1
	s_or_b64 exec, exec, s[2:3]
	s_and_saveexec_b64 s[2:3], s[0:1]
	s_cbranch_execz .LBB220_78
.LBB220_77:                             ;   in Loop: Header=BB220_49 Depth=1
	v_bfe_u32 v38, v19, 16, 3
	v_ffbh_u32_e32 v36, v38
	v_min_u32_e32 v40, 32, v36
	v_subrev_u32_e32 v36, 28, v40
	v_bfe_u32 v39, v19, 19, 4
	v_lshlrev_b64 v[36:37], v36, v[8:9]
	v_sub_u32_e32 v37, 29, v40
	v_cmp_eq_u32_e64 s[0:1], 0, v39
	v_and_b32_e32 v36, 7, v36
	v_lshlrev_b32_e32 v8, 8, v8
	v_cndmask_b32_e64 v37, v39, v37, s[0:1]
	v_lshl_add_u32 v37, v37, 10, v27
	v_cndmask_b32_e64 v36, v38, v36, s[0:1]
	v_and_or_b32 v8, v8, s42, v37
	v_lshl_or_b32 v8, v36, 7, v8
	v_cvt_f32_f16_e32 v36, v8
.LBB220_78:                             ;   in Loop: Header=BB220_49 Depth=1
	s_or_b64 exec, exec, s[2:3]
	v_lshrrev_b32_e32 v8, 24, v19
	v_cmp_lt_i16_e64 s[0:1], s34, v8
	s_mov_b64 s[2:3], 0
                                        ; implicit-def: $sgpr22
	s_and_saveexec_b64 s[18:19], s[0:1]
	s_xor_b64 s[18:19], exec, s[18:19]
	s_cbranch_execnz .LBB220_147
; %bb.79:                               ;   in Loop: Header=BB220_49 Depth=1
	s_or_saveexec_b64 s[18:19], s[18:19]
	v_mov_b32_e32 v37, s22
	s_xor_b64 exec, exec, s[18:19]
	s_cbranch_execnz .LBB220_150
.LBB220_80:                             ;   in Loop: Header=BB220_49 Depth=1
	s_or_b64 exec, exec, s[18:19]
	s_and_saveexec_b64 s[18:19], s[2:3]
	s_cbranch_execz .LBB220_82
.LBB220_81:                             ;   in Loop: Header=BB220_49 Depth=1
	v_bfe_u32 v37, v19, 24, 3
	v_ffbh_u32_e32 v38, v37
	v_min_u32_e32 v40, 32, v38
	v_subrev_u32_e32 v38, 28, v40
	v_bfe_u32 v19, v19, 27, 4
	v_lshlrev_b64 v[38:39], v38, v[8:9]
	v_sub_u32_e32 v39, 29, v40
	v_cmp_eq_u32_e64 s[0:1], 0, v19
	v_and_b32_e32 v38, 7, v38
	v_lshlrev_b32_e32 v8, 8, v8
	v_cndmask_b32_e64 v19, v19, v39, s[0:1]
	v_lshl_add_u32 v19, v19, 10, v27
	v_cndmask_b32_e64 v37, v37, v38, s[0:1]
	v_and_or_b32 v8, v8, s42, v19
	v_lshl_or_b32 v8, v37, 7, v8
	v_cvt_f32_f16_e32 v37, v8
.LBB220_82:                             ;   in Loop: Header=BB220_49 Depth=1
	s_or_b64 exec, exec, s[18:19]
	s_waitcnt vmcnt(0)
	v_pk_mul_f32 v[22:23], v[16:17], v[22:23] op_sel_hi:[0,1]
	v_pk_mul_f32 v[20:21], v[16:17], v[20:21] op_sel_hi:[0,1]
	v_cvt_f16_f32_e32 v8, v23
	v_cvt_f16_f32_e32 v19, v22
	;; [unrolled: 1-line block ×4, first 2 shown]
	v_fma_mixlo_f16 v18, v16, v18, 0
	v_pack_b32_f16 v19, v19, v8
	v_cmp_eq_u32_e64 s[2:3], s36, v1
	v_pack_b32_f16 v20, v20, v21
	v_perm_b32 v8, v20, v19, s47
	v_perm_b32 v19, v20, v19, s48
	v_fma_mixlo_f16 v20, v16, v29, 0
	v_lshlrev_b32_e32 v20, 16, v20
	v_or_b32_sdwa v18, v20, v18 dst_sel:DWORD dst_unused:UNUSED_PAD src0_sel:DWORD src1_sel:WORD_0
	v_fma_mixlo_f16 v20, v16, v36, 0
	v_fma_mixlo_f16 v16, v16, v37, 0
	v_lshlrev_b32_e32 v16, 16, v16
	v_or_b32_sdwa v16, v16, v20 dst_sel:DWORD dst_unused:UNUSED_PAD src0_sel:DWORD src1_sel:WORD_0
	s_and_saveexec_b64 s[18:19], s[2:3]
	s_cbranch_execz .LBB220_84
; %bb.83:                               ;   in Loop: Header=BB220_49 Depth=1
	v_add_u32_e32 v21, 1, v3
	v_lshrrev_b32_e32 v22, 16, v19
	v_cmp_gt_i32_e64 s[0:1], s41, v21
	v_lshrrev_b32_e32 v23, 16, v8
	v_lshrrev_b32_e32 v16, 16, v16
	v_cndmask_b32_e64 v21, 0, v22, s[0:1]
	v_cmp_gt_i32_e64 s[0:1], s25, v3
	v_or_b32_e32 v22, 2, v3
	s_nop 0
	v_cndmask_b32_e64 v19, 0, v19, s[0:1]
	v_perm_b32 v19, v21, v19, s49
	v_or_b32_e32 v21, 3, v3
	v_cmp_gt_i32_e64 s[0:1], s41, v21
	s_nop 1
	v_cndmask_b32_e64 v21, 0, v23, s[0:1]
	v_cmp_gt_i32_e64 s[0:1], s25, v22
	v_or_b32_e32 v22, 4, v3
	v_lshrrev_b32_e32 v23, 16, v18
	v_cndmask_b32_e64 v8, 0, v8, s[0:1]
	v_perm_b32 v8, v21, v8, s49
	v_or_b32_e32 v21, 5, v3
	v_cmp_gt_i32_e64 s[0:1], s41, v21
	s_nop 1
	v_cndmask_b32_e64 v21, 0, v23, s[0:1]
	v_cmp_gt_i32_e64 s[0:1], s25, v22
	v_or_b32_e32 v22, 6, v3
	s_nop 0
	v_cndmask_b32_e64 v18, 0, v18, s[0:1]
	v_perm_b32 v18, v21, v18, s49
	v_or_b32_e32 v21, 7, v3
	v_cmp_gt_i32_e64 s[0:1], s41, v21
	s_nop 1
	v_cndmask_b32_e64 v16, 0, v16, s[0:1]
	v_cmp_gt_i32_e64 s[0:1], s25, v22
	s_nop 1
	v_cndmask_b32_e64 v20, 0, v20, s[0:1]
	v_perm_b32 v16, v16, v20, s49
.LBB220_84:                             ;   in Loop: Header=BB220_49 Depth=1
	s_or_b64 exec, exec, s[18:19]
	v_and_b32_e32 v17, 0xffff, v17
	v_lshl_or_b32 v29, v28, 16, v17
	v_and_b32_e32 v17, 0xffff, v30
	v_lshl_or_b32 v28, v31, 16, v17
	;; [unrolled: 2-line block ×4, first 2 shown]
	;;#ASMSTART
	v_pk_mul_f16 v17, v29, v19;

	;;#ASMEND
	;;#ASMSTART
	v_pk_mul_f16 v8, v28, v8;

	;;#ASMEND
	;; [unrolled: 4-line block ×4, first 2 shown]
	s_nop 0
	;;#ASMSTART
	v_pk_add_f16 v8, v17, v8;

	;;#ASMEND
	s_nop 0
	;;#ASMSTART
	v_pk_add_f16 v8, v8, v18;

	;;#ASMEND
	;; [unrolled: 5-line block ×3, first 2 shown]
	s_nop 0
	v_lshrrev_b32_e32 v16, 16, v8
	v_and_b32_e32 v8, 0xffff, v8
	;;#ASMSTART
	v_cvt_f32_f16 v8, v8;
	;;#ASMEND
	;;#ASMSTART
	v_cvt_f32_f16 v16, v16;
	;;#ASMEND
	s_nop 0
	v_add_f32_e32 v8, v8, v16
	v_add_f32_e32 v4, v4, v8
	s_and_saveexec_b64 s[18:19], vcc
	s_cbranch_execz .LBB220_47
; %bb.85:                               ;   in Loop: Header=BB220_49 Depth=1
	v_lshl_add_u64 v[18:19], v[14:15], 0, v[10:11]
	global_load_dwordx2 v[16:17], v[18:19], off
	global_load_dword v14, v9, s[14:15]
	s_mov_b64 s[0:1], 0
                                        ; implicit-def: $sgpr30
	s_waitcnt vmcnt(1)
	v_cmp_gt_i16_sdwa s[20:21], v16, s34 src0_sel:BYTE_0 src1_sel:DWORD
	s_and_saveexec_b64 s[22:23], s[20:21]
	s_xor_b64 s[20:21], exec, s[22:23]
	s_cbranch_execnz .LBB220_151
; %bb.86:                               ;   in Loop: Header=BB220_49 Depth=1
	s_or_saveexec_b64 s[20:21], s[20:21]
	v_mov_b32_e32 v18, s30
	s_xor_b64 exec, exec, s[20:21]
	s_cbranch_execnz .LBB220_154
.LBB220_87:                             ;   in Loop: Header=BB220_49 Depth=1
	s_or_b64 exec, exec, s[20:21]
	s_and_saveexec_b64 s[20:21], s[0:1]
	s_cbranch_execz .LBB220_89
.LBB220_88:                             ;   in Loop: Header=BB220_49 Depth=1
	v_and_b32_e32 v8, 7, v16
	v_ffbh_u32_e32 v8, v8
	v_bfe_u32 v15, v16, 3, 4
	v_min_u32_e32 v8, 32, v8
	v_subrev_u32_e32 v18, 28, v8
	v_sub_u32_e32 v8, 29, v8
	v_cmp_eq_u32_e64 s[0:1], 0, v15
	s_nop 1
	v_cndmask_b32_e64 v8, v15, v8, s[0:1]
	v_cndmask_b32_e64 v15, 0, v18, s[0:1]
	v_lshlrev_b64 v[18:19], v15, v[16:17]
	v_lshlrev_b32_e32 v15, 7, v18
	v_lshlrev_b32_e32 v18, 8, v16
	v_lshl_add_u32 v8, v8, 10, v27
	v_and_or_b32 v8, v18, s42, v8
	v_and_or_b32 v8, v15, s43, v8
	v_cvt_f32_f16_e32 v18, v8
.LBB220_89:                             ;   in Loop: Header=BB220_49 Depth=1
	s_or_b64 exec, exec, s[20:21]
	v_lshrrev_b16_e32 v8, 8, v16
	v_cmp_lt_i16_e64 s[0:1], s34, v8
	s_mov_b64 s[20:21], 0
                                        ; implicit-def: $sgpr50
	s_and_saveexec_b64 s[22:23], s[0:1]
	s_xor_b64 s[22:23], exec, s[22:23]
	s_cbranch_execnz .LBB220_155
; %bb.90:                               ;   in Loop: Header=BB220_49 Depth=1
	s_or_saveexec_b64 s[22:23], s[22:23]
	v_mov_b32_e32 v20, s50
	s_xor_b64 exec, exec, s[22:23]
	s_cbranch_execnz .LBB220_158
.LBB220_91:                             ;   in Loop: Header=BB220_49 Depth=1
	s_or_b64 exec, exec, s[22:23]
	s_and_saveexec_b64 s[22:23], s[20:21]
	s_cbranch_execz .LBB220_93
.LBB220_92:                             ;   in Loop: Header=BB220_49 Depth=1
	v_and_b32_e32 v15, 7, v8
	v_ffbh_u32_e32 v20, v15
	v_min_u32_e32 v30, 32, v20
	v_subrev_u32_e32 v20, 28, v30
	v_bfe_u32 v19, v8, 3, 4
	v_lshlrev_b64 v[20:21], v20, v[8:9]
	v_sub_u32_e32 v21, 29, v30
	v_cmp_eq_u32_e64 s[0:1], 0, v19
	v_and_b32_e32 v20, 7, v20
	v_lshlrev_b32_e32 v8, 8, v8
	v_cndmask_b32_e64 v19, v19, v21, s[0:1]
	v_lshl_add_u32 v19, v19, 10, v27
	v_cndmask_b32_e64 v15, v15, v20, s[0:1]
	v_and_or_b32 v8, v8, s42, v19
	v_lshl_or_b32 v8, v15, 7, v8
	v_cvt_f32_f16_e32 v20, v8
.LBB220_93:                             ;   in Loop: Header=BB220_49 Depth=1
	s_or_b64 exec, exec, s[22:23]
	v_lshrrev_b32_e32 v8, 16, v16
	v_cmp_gt_i16_sdwa s[20:21], v8, s34 src0_sel:BYTE_0 src1_sel:DWORD
	s_mov_b64 s[0:1], 0
                                        ; implicit-def: $sgpr30
	s_and_saveexec_b64 s[22:23], s[20:21]
	s_xor_b64 s[20:21], exec, s[22:23]
	s_cbranch_execnz .LBB220_159
; %bb.94:                               ;   in Loop: Header=BB220_49 Depth=1
	s_or_saveexec_b64 s[20:21], s[20:21]
	v_mov_b32_e32 v19, s30
	s_xor_b64 exec, exec, s[20:21]
	s_cbranch_execnz .LBB220_162
.LBB220_95:                             ;   in Loop: Header=BB220_49 Depth=1
	s_or_b64 exec, exec, s[20:21]
	s_and_saveexec_b64 s[20:21], s[0:1]
	s_cbranch_execz .LBB220_97
.LBB220_96:                             ;   in Loop: Header=BB220_49 Depth=1
	v_bfe_u32 v15, v16, 16, 3
	v_ffbh_u32_e32 v21, v15
	v_bfe_u32 v19, v16, 19, 4
	v_min_u32_e32 v21, 32, v21
	v_subrev_u32_e32 v30, 28, v21
	v_sub_u32_e32 v21, 29, v21
	v_cmp_eq_u32_e64 s[0:1], 0, v19
	v_lshlrev_b64 v[30:31], v30, v[8:9]
	v_and_b32_e32 v30, 7, v30
	v_cndmask_b32_e64 v19, v19, v21, s[0:1]
	v_lshlrev_b32_e32 v8, 8, v8
	v_lshl_add_u32 v19, v19, 10, v27
	v_cndmask_b32_e64 v15, v15, v30, s[0:1]
	v_and_or_b32 v8, v8, s42, v19
	v_lshl_or_b32 v8, v15, 7, v8
	v_cvt_f32_f16_e32 v19, v8
.LBB220_97:                             ;   in Loop: Header=BB220_49 Depth=1
	s_or_b64 exec, exec, s[20:21]
	v_lshrrev_b32_e32 v8, 24, v16
	v_cmp_lt_i16_e64 s[0:1], s34, v8
	s_mov_b64 s[20:21], 0
                                        ; implicit-def: $sgpr50
	s_and_saveexec_b64 s[22:23], s[0:1]
	s_xor_b64 s[22:23], exec, s[22:23]
	s_cbranch_execnz .LBB220_163
; %bb.98:                               ;   in Loop: Header=BB220_49 Depth=1
	s_or_saveexec_b64 s[22:23], s[22:23]
	v_mov_b32_e32 v21, s50
	s_xor_b64 exec, exec, s[22:23]
	s_cbranch_execnz .LBB220_166
.LBB220_99:                             ;   in Loop: Header=BB220_49 Depth=1
	s_or_b64 exec, exec, s[22:23]
	s_and_saveexec_b64 s[22:23], s[20:21]
	s_cbranch_execz .LBB220_101
.LBB220_100:                            ;   in Loop: Header=BB220_49 Depth=1
	v_bfe_u32 v15, v16, 24, 3
	v_ffbh_u32_e32 v21, v15
	v_bfe_u32 v16, v16, 27, 4
	v_min_u32_e32 v21, 32, v21
	v_subrev_u32_e32 v30, 28, v21
	v_sub_u32_e32 v21, 29, v21
	v_cmp_eq_u32_e64 s[0:1], 0, v16
	v_lshlrev_b64 v[30:31], v30, v[8:9]
	v_and_b32_e32 v30, 7, v30
	v_cndmask_b32_e64 v16, v16, v21, s[0:1]
	v_lshlrev_b32_e32 v8, 8, v8
	v_lshl_add_u32 v16, v16, 10, v27
	v_cndmask_b32_e64 v15, v15, v30, s[0:1]
	v_and_or_b32 v8, v8, s42, v16
	v_lshl_or_b32 v8, v15, 7, v8
	v_cvt_f32_f16_e32 v21, v8
.LBB220_101:                            ;   in Loop: Header=BB220_49 Depth=1
	s_or_b64 exec, exec, s[22:23]
	v_cmp_gt_i16_sdwa s[20:21], v17, s34 src0_sel:BYTE_0 src1_sel:DWORD
	s_mov_b64 s[0:1], 0
                                        ; implicit-def: $sgpr30
	s_and_saveexec_b64 s[22:23], s[20:21]
	s_xor_b64 s[20:21], exec, s[22:23]
	s_cbranch_execnz .LBB220_167
; %bb.102:                              ;   in Loop: Header=BB220_49 Depth=1
	s_or_saveexec_b64 s[20:21], s[20:21]
	v_mov_b32_e32 v15, s30
	s_xor_b64 exec, exec, s[20:21]
	s_cbranch_execnz .LBB220_170
.LBB220_103:                            ;   in Loop: Header=BB220_49 Depth=1
	s_or_b64 exec, exec, s[20:21]
	v_mov_b32_e32 v8, v17
	s_and_saveexec_b64 s[20:21], s[0:1]
	s_cbranch_execz .LBB220_105
.LBB220_104:                            ;   in Loop: Header=BB220_49 Depth=1
	v_and_b32_e32 v15, 7, v17
	v_ffbh_u32_e32 v15, v15
	v_bfe_u32 v16, v17, 3, 4
	v_min_u32_e32 v15, 32, v15
	v_subrev_u32_e32 v30, 28, v15
	v_sub_u32_e32 v15, 29, v15
	v_cmp_eq_u32_e64 s[0:1], 0, v16
	s_nop 1
	v_cndmask_b32_e64 v15, v16, v15, s[0:1]
	v_cndmask_b32_e64 v16, 0, v30, s[0:1]
	v_lshlrev_b64 v[30:31], v16, v[8:9]
	v_lshlrev_b32_e32 v16, 7, v30
	v_lshlrev_b32_e32 v30, 8, v17
	v_lshl_add_u32 v15, v15, 10, v27
	v_and_or_b32 v15, v30, s42, v15
	v_and_or_b32 v15, v16, s43, v15
	v_cvt_f32_f16_e32 v15, v15
.LBB220_105:                            ;   in Loop: Header=BB220_49 Depth=1
	s_or_b64 exec, exec, s[20:21]
	v_lshrrev_b16_e32 v8, 8, v8
	v_cmp_lt_i16_e64 s[0:1], s34, v8
	s_mov_b64 s[20:21], 0
                                        ; implicit-def: $sgpr50
	s_and_saveexec_b64 s[22:23], s[0:1]
	s_xor_b64 s[22:23], exec, s[22:23]
	s_cbranch_execnz .LBB220_171
; %bb.106:                              ;   in Loop: Header=BB220_49 Depth=1
	s_or_saveexec_b64 s[22:23], s[22:23]
	v_mov_b32_e32 v16, s50
	s_xor_b64 exec, exec, s[22:23]
	s_cbranch_execnz .LBB220_174
.LBB220_107:                            ;   in Loop: Header=BB220_49 Depth=1
	s_or_b64 exec, exec, s[22:23]
	s_and_saveexec_b64 s[22:23], s[20:21]
	s_cbranch_execz .LBB220_109
.LBB220_108:                            ;   in Loop: Header=BB220_49 Depth=1
	v_and_b32_e32 v16, 7, v8
	v_ffbh_u32_e32 v30, v16
	v_min_u32_e32 v33, 32, v30
	v_subrev_u32_e32 v30, 28, v33
	v_bfe_u32 v32, v8, 3, 4
	v_lshlrev_b64 v[30:31], v30, v[8:9]
	v_sub_u32_e32 v31, 29, v33
	v_cmp_eq_u32_e64 s[0:1], 0, v32
	v_and_b32_e32 v30, 7, v30
	v_lshlrev_b32_e32 v8, 8, v8
	v_cndmask_b32_e64 v31, v32, v31, s[0:1]
	v_cndmask_b32_e64 v16, v16, v30, s[0:1]
	v_lshl_add_u32 v30, v31, 10, v27
	v_and_or_b32 v8, v8, s42, v30
	v_lshl_or_b32 v8, v16, 7, v8
	v_cvt_f32_f16_e32 v16, v8
.LBB220_109:                            ;   in Loop: Header=BB220_49 Depth=1
	s_or_b64 exec, exec, s[22:23]
	v_lshrrev_b32_e32 v8, 16, v17
	v_cmp_gt_i16_sdwa s[20:21], v8, s34 src0_sel:BYTE_0 src1_sel:DWORD
	s_mov_b64 s[0:1], 0
                                        ; implicit-def: $sgpr30
	s_and_saveexec_b64 s[22:23], s[20:21]
	s_xor_b64 s[20:21], exec, s[22:23]
	s_cbranch_execnz .LBB220_175
; %bb.110:                              ;   in Loop: Header=BB220_49 Depth=1
	s_or_saveexec_b64 s[20:21], s[20:21]
	v_mov_b32_e32 v30, s30
	s_xor_b64 exec, exec, s[20:21]
	s_cbranch_execnz .LBB220_178
.LBB220_111:                            ;   in Loop: Header=BB220_49 Depth=1
	s_or_b64 exec, exec, s[20:21]
	s_and_saveexec_b64 s[20:21], s[0:1]
	s_cbranch_execz .LBB220_113
.LBB220_112:                            ;   in Loop: Header=BB220_49 Depth=1
	v_bfe_u32 v32, v17, 16, 3
	v_ffbh_u32_e32 v30, v32
	v_min_u32_e32 v34, 32, v30
	v_subrev_u32_e32 v30, 28, v34
	v_bfe_u32 v33, v17, 19, 4
	v_lshlrev_b64 v[30:31], v30, v[8:9]
	v_sub_u32_e32 v31, 29, v34
	v_cmp_eq_u32_e64 s[0:1], 0, v33
	v_and_b32_e32 v30, 7, v30
	v_lshlrev_b32_e32 v8, 8, v8
	v_cndmask_b32_e64 v31, v33, v31, s[0:1]
	v_lshl_add_u32 v31, v31, 10, v27
	v_cndmask_b32_e64 v30, v32, v30, s[0:1]
	v_and_or_b32 v8, v8, s42, v31
	v_lshl_or_b32 v8, v30, 7, v8
	v_cvt_f32_f16_e32 v30, v8
.LBB220_113:                            ;   in Loop: Header=BB220_49 Depth=1
	s_or_b64 exec, exec, s[20:21]
	v_lshrrev_b32_e32 v8, 24, v17
	v_cmp_lt_i16_e64 s[0:1], s34, v8
	s_mov_b64 s[20:21], 0
                                        ; implicit-def: $sgpr50
	s_and_saveexec_b64 s[22:23], s[0:1]
	s_xor_b64 s[22:23], exec, s[22:23]
	s_cbranch_execnz .LBB220_179
; %bb.114:                              ;   in Loop: Header=BB220_49 Depth=1
	s_or_saveexec_b64 s[22:23], s[22:23]
	v_mov_b32_e32 v31, s50
	s_xor_b64 exec, exec, s[22:23]
	s_cbranch_execnz .LBB220_182
.LBB220_115:                            ;   in Loop: Header=BB220_49 Depth=1
	s_or_b64 exec, exec, s[22:23]
	s_and_saveexec_b64 s[22:23], s[20:21]
	s_cbranch_execz .LBB220_117
.LBB220_116:                            ;   in Loop: Header=BB220_49 Depth=1
	v_bfe_u32 v31, v17, 24, 3
	v_ffbh_u32_e32 v32, v31
	v_min_u32_e32 v34, 32, v32
	v_subrev_u32_e32 v32, 28, v34
	v_bfe_u32 v17, v17, 27, 4
	v_lshlrev_b64 v[32:33], v32, v[8:9]
	v_sub_u32_e32 v33, 29, v34
	v_cmp_eq_u32_e64 s[0:1], 0, v17
	v_and_b32_e32 v32, 7, v32
	v_lshlrev_b32_e32 v8, 8, v8
	v_cndmask_b32_e64 v17, v17, v33, s[0:1]
	v_lshl_add_u32 v17, v17, 10, v27
	v_cndmask_b32_e64 v31, v31, v32, s[0:1]
	v_and_or_b32 v8, v8, s42, v17
	v_lshl_or_b32 v8, v31, 7, v8
	v_cvt_f32_f16_e32 v31, v8
.LBB220_117:                            ;   in Loop: Header=BB220_49 Depth=1
	s_or_b64 exec, exec, s[22:23]
	s_waitcnt vmcnt(0)
	v_pk_mul_f32 v[20:21], v[14:15], v[20:21] op_sel_hi:[0,1]
	v_pk_mul_f32 v[18:19], v[14:15], v[18:19] op_sel_hi:[0,1]
	v_cvt_f16_f32_e32 v8, v21
	v_cvt_f16_f32_e32 v17, v20
	;; [unrolled: 1-line block ×4, first 2 shown]
	v_fma_mixlo_f16 v16, v14, v16, 0
	v_lshlrev_b32_e32 v16, 16, v16
	v_fma_mixlo_f16 v15, v14, v15, 0
	v_or_b32_sdwa v15, v16, v15 dst_sel:DWORD dst_unused:UNUSED_PAD src0_sel:DWORD src1_sel:WORD_0
	v_fma_mixlo_f16 v16, v14, v30, 0
	v_fma_mixlo_f16 v14, v14, v31, 0
	v_pack_b32_f16 v17, v17, v8
	v_pack_b32_f16 v18, v18, v19
	v_lshlrev_b32_e32 v14, 16, v14
	v_perm_b32 v8, v18, v17, s47
	v_perm_b32 v17, v18, v17, s48
	v_or_b32_sdwa v14, v14, v16 dst_sel:DWORD dst_unused:UNUSED_PAD src0_sel:DWORD src1_sel:WORD_0
	s_and_saveexec_b64 s[20:21], s[2:3]
	s_cbranch_execz .LBB220_46
; %bb.118:                              ;   in Loop: Header=BB220_49 Depth=1
	v_add_u32_e32 v18, 1, v3
	v_lshrrev_b32_e32 v19, 16, v17
	v_cmp_gt_i32_e64 s[0:1], s41, v18
	v_lshrrev_b32_e32 v20, 16, v8
	v_lshrrev_b32_e32 v14, 16, v14
	v_cndmask_b32_e64 v18, 0, v19, s[0:1]
	v_cmp_gt_i32_e64 s[0:1], s25, v3
	v_or_b32_e32 v19, 2, v3
	s_nop 0
	v_cndmask_b32_e64 v17, 0, v17, s[0:1]
	v_perm_b32 v17, v18, v17, s49
	v_or_b32_e32 v18, 3, v3
	v_cmp_gt_i32_e64 s[0:1], s41, v18
	s_nop 1
	v_cndmask_b32_e64 v18, 0, v20, s[0:1]
	v_cmp_gt_i32_e64 s[0:1], s25, v19
	v_or_b32_e32 v19, 4, v3
	v_lshrrev_b32_e32 v20, 16, v15
	v_cndmask_b32_e64 v8, 0, v8, s[0:1]
	v_perm_b32 v8, v18, v8, s49
	v_or_b32_e32 v18, 5, v3
	v_cmp_gt_i32_e64 s[0:1], s41, v18
	s_nop 1
	v_cndmask_b32_e64 v18, 0, v20, s[0:1]
	v_cmp_gt_i32_e64 s[0:1], s25, v19
	v_or_b32_e32 v19, 6, v3
	s_nop 0
	v_cndmask_b32_e64 v15, 0, v15, s[0:1]
	v_perm_b32 v15, v18, v15, s49
	v_or_b32_e32 v18, 7, v3
	v_cmp_gt_i32_e64 s[0:1], s41, v18
	s_nop 1
	v_cndmask_b32_e64 v14, 0, v14, s[0:1]
	v_cmp_gt_i32_e64 s[0:1], s25, v19
	s_nop 1
	v_cndmask_b32_e64 v16, 0, v16, s[0:1]
	v_perm_b32 v14, v14, v16, s49
	s_branch .LBB220_46
.LBB220_119:                            ;   in Loop: Header=BB220_49 Depth=1
	v_cmp_eq_u16_sdwa s[22:23], v18, s35 src0_sel:BYTE_0 src1_sel:DWORD
	s_mov_b64 s[0:1], -1
                                        ; implicit-def: $sgpr20
	s_and_saveexec_b64 s[18:19], s[22:23]
; %bb.120:                              ;   in Loop: Header=BB220_49 Depth=1
	s_mov_b32 s20, 0x7fc02000
	s_xor_b64 s[0:1], exec, -1
; %bb.121:                              ;   in Loop: Header=BB220_49 Depth=1
	s_or_b64 exec, exec, s[18:19]
	s_and_b64 s[0:1], s[0:1], exec
	s_or_saveexec_b64 s[2:3], s[2:3]
	v_mov_b32_e32 v20, s20
	s_xor_b64 exec, exec, s[2:3]
	s_cbranch_execz .LBB220_52
.LBB220_122:                            ;   in Loop: Header=BB220_49 Depth=1
	v_cmp_ne_u16_sdwa s[18:19], v18, v9 src0_sel:BYTE_0 src1_sel:DWORD
	s_andn2_b64 s[0:1], s[0:1], exec
	s_and_b64 s[18:19], s[18:19], exec
	v_mov_b32_e32 v20, 0
	s_or_b64 s[0:1], s[0:1], s[18:19]
	s_or_b64 exec, exec, s[2:3]
	s_and_saveexec_b64 s[2:3], s[0:1]
	s_cbranch_execnz .LBB220_53
	s_branch .LBB220_54
.LBB220_123:                            ;   in Loop: Header=BB220_49 Depth=1
	v_cmp_eq_u16_e64 s[0:1], s35, v8
	s_mov_b64 s[2:3], -1
                                        ; implicit-def: $sgpr22
	s_and_saveexec_b64 s[20:21], s[0:1]
; %bb.124:                              ;   in Loop: Header=BB220_49 Depth=1
	s_mov_b32 s22, 0x7fc02000
	s_xor_b64 s[2:3], exec, -1
; %bb.125:                              ;   in Loop: Header=BB220_49 Depth=1
	s_or_b64 exec, exec, s[20:21]
	s_and_b64 s[2:3], s[2:3], exec
	s_or_saveexec_b64 s[18:19], s[18:19]
	v_mov_b32_e32 v22, s22
	s_xor_b64 exec, exec, s[18:19]
	s_cbranch_execz .LBB220_56
.LBB220_126:                            ;   in Loop: Header=BB220_49 Depth=1
	v_cmp_ne_u16_e64 s[0:1], 0, v8
	s_andn2_b64 s[2:3], s[2:3], exec
	s_and_b64 s[0:1], s[0:1], exec
	v_mov_b32_e32 v22, 0
	s_or_b64 s[2:3], s[2:3], s[0:1]
	s_or_b64 exec, exec, s[18:19]
	s_and_saveexec_b64 s[18:19], s[2:3]
	s_cbranch_execnz .LBB220_57
	s_branch .LBB220_58
.LBB220_127:                            ;   in Loop: Header=BB220_49 Depth=1
	v_cmp_eq_u16_sdwa s[22:23], v8, s35 src0_sel:BYTE_0 src1_sel:DWORD
	s_mov_b64 s[0:1], -1
                                        ; implicit-def: $sgpr20
	s_and_saveexec_b64 s[18:19], s[22:23]
; %bb.128:                              ;   in Loop: Header=BB220_49 Depth=1
	s_mov_b32 s20, 0x7fc02000
	s_xor_b64 s[0:1], exec, -1
; %bb.129:                              ;   in Loop: Header=BB220_49 Depth=1
	s_or_b64 exec, exec, s[18:19]
	s_and_b64 s[0:1], s[0:1], exec
	s_or_saveexec_b64 s[2:3], s[2:3]
	v_mov_b32_e32 v21, s20
	s_xor_b64 exec, exec, s[2:3]
	s_cbranch_execz .LBB220_60
.LBB220_130:                            ;   in Loop: Header=BB220_49 Depth=1
	v_cmp_ne_u16_sdwa s[18:19], v8, v9 src0_sel:BYTE_0 src1_sel:DWORD
	s_andn2_b64 s[0:1], s[0:1], exec
	s_and_b64 s[18:19], s[18:19], exec
	v_mov_b32_e32 v21, 0
	s_or_b64 s[0:1], s[0:1], s[18:19]
	s_or_b64 exec, exec, s[2:3]
	s_and_saveexec_b64 s[2:3], s[0:1]
	s_cbranch_execnz .LBB220_61
	s_branch .LBB220_62
.LBB220_131:                            ;   in Loop: Header=BB220_49 Depth=1
	v_cmp_eq_u16_e64 s[0:1], s35, v8
	s_mov_b64 s[2:3], -1
                                        ; implicit-def: $sgpr22
	s_and_saveexec_b64 s[20:21], s[0:1]
; %bb.132:                              ;   in Loop: Header=BB220_49 Depth=1
	s_mov_b32 s22, 0x7fc02000
	s_xor_b64 s[2:3], exec, -1
; %bb.133:                              ;   in Loop: Header=BB220_49 Depth=1
	s_or_b64 exec, exec, s[20:21]
	s_and_b64 s[2:3], s[2:3], exec
	s_or_saveexec_b64 s[18:19], s[18:19]
	v_mov_b32_e32 v23, s22
	s_xor_b64 exec, exec, s[18:19]
	s_cbranch_execz .LBB220_64
.LBB220_134:                            ;   in Loop: Header=BB220_49 Depth=1
	v_cmp_ne_u16_e64 s[0:1], 0, v8
	s_andn2_b64 s[2:3], s[2:3], exec
	s_and_b64 s[0:1], s[0:1], exec
	v_mov_b32_e32 v23, 0
	s_or_b64 s[2:3], s[2:3], s[0:1]
	s_or_b64 exec, exec, s[18:19]
	s_and_saveexec_b64 s[18:19], s[2:3]
	s_cbranch_execnz .LBB220_65
	s_branch .LBB220_66
.LBB220_135:                            ;   in Loop: Header=BB220_49 Depth=1
	v_cmp_eq_u16_sdwa s[22:23], v19, s35 src0_sel:BYTE_0 src1_sel:DWORD
	s_mov_b64 s[0:1], -1
                                        ; implicit-def: $sgpr20
	s_and_saveexec_b64 s[18:19], s[22:23]
; %bb.136:                              ;   in Loop: Header=BB220_49 Depth=1
	s_mov_b32 s20, 0x7fc02000
	s_xor_b64 s[0:1], exec, -1
; %bb.137:                              ;   in Loop: Header=BB220_49 Depth=1
	s_or_b64 exec, exec, s[18:19]
	s_and_b64 s[0:1], s[0:1], exec
	s_or_saveexec_b64 s[2:3], s[2:3]
	v_mov_b32_e32 v18, s20
	s_xor_b64 exec, exec, s[2:3]
	s_cbranch_execz .LBB220_68
.LBB220_138:                            ;   in Loop: Header=BB220_49 Depth=1
	v_cmp_ne_u16_sdwa s[18:19], v19, v9 src0_sel:BYTE_0 src1_sel:DWORD
	s_andn2_b64 s[0:1], s[0:1], exec
	s_and_b64 s[18:19], s[18:19], exec
	v_mov_b32_e32 v18, 0
	s_or_b64 s[0:1], s[0:1], s[18:19]
	s_or_b64 exec, exec, s[2:3]
	v_mov_b32_e32 v8, v19
	s_and_saveexec_b64 s[2:3], s[0:1]
	s_cbranch_execnz .LBB220_69
	s_branch .LBB220_70
.LBB220_139:                            ;   in Loop: Header=BB220_49 Depth=1
	v_cmp_eq_u16_e64 s[0:1], s35, v8
	s_mov_b64 s[2:3], -1
                                        ; implicit-def: $sgpr22
	s_and_saveexec_b64 s[20:21], s[0:1]
; %bb.140:                              ;   in Loop: Header=BB220_49 Depth=1
	s_mov_b32 s22, 0x7fc02000
	s_xor_b64 s[2:3], exec, -1
; %bb.141:                              ;   in Loop: Header=BB220_49 Depth=1
	s_or_b64 exec, exec, s[20:21]
	s_and_b64 s[2:3], s[2:3], exec
	s_or_saveexec_b64 s[18:19], s[18:19]
	v_mov_b32_e32 v29, s22
	s_xor_b64 exec, exec, s[18:19]
	s_cbranch_execz .LBB220_72
.LBB220_142:                            ;   in Loop: Header=BB220_49 Depth=1
	v_cmp_ne_u16_e64 s[0:1], 0, v8
	s_andn2_b64 s[2:3], s[2:3], exec
	s_and_b64 s[0:1], s[0:1], exec
	v_mov_b32_e32 v29, 0
	s_or_b64 s[2:3], s[2:3], s[0:1]
	s_or_b64 exec, exec, s[18:19]
	s_and_saveexec_b64 s[18:19], s[2:3]
	s_cbranch_execnz .LBB220_73
	s_branch .LBB220_74
.LBB220_143:                            ;   in Loop: Header=BB220_49 Depth=1
	v_cmp_eq_u16_sdwa s[22:23], v8, s35 src0_sel:BYTE_0 src1_sel:DWORD
	s_mov_b64 s[0:1], -1
                                        ; implicit-def: $sgpr20
	s_and_saveexec_b64 s[18:19], s[22:23]
; %bb.144:                              ;   in Loop: Header=BB220_49 Depth=1
	s_mov_b32 s20, 0x7fc02000
	s_xor_b64 s[0:1], exec, -1
; %bb.145:                              ;   in Loop: Header=BB220_49 Depth=1
	s_or_b64 exec, exec, s[18:19]
	s_and_b64 s[0:1], s[0:1], exec
	s_or_saveexec_b64 s[2:3], s[2:3]
	v_mov_b32_e32 v36, s20
	s_xor_b64 exec, exec, s[2:3]
	s_cbranch_execz .LBB220_76
.LBB220_146:                            ;   in Loop: Header=BB220_49 Depth=1
	v_cmp_ne_u16_sdwa s[18:19], v8, v9 src0_sel:BYTE_0 src1_sel:DWORD
	s_andn2_b64 s[0:1], s[0:1], exec
	s_and_b64 s[18:19], s[18:19], exec
	v_mov_b32_e32 v36, 0
	s_or_b64 s[0:1], s[0:1], s[18:19]
	s_or_b64 exec, exec, s[2:3]
	s_and_saveexec_b64 s[2:3], s[0:1]
	s_cbranch_execnz .LBB220_77
	s_branch .LBB220_78
.LBB220_147:                            ;   in Loop: Header=BB220_49 Depth=1
	v_cmp_eq_u16_e64 s[0:1], s35, v8
	s_mov_b64 s[2:3], -1
                                        ; implicit-def: $sgpr22
	s_and_saveexec_b64 s[20:21], s[0:1]
; %bb.148:                              ;   in Loop: Header=BB220_49 Depth=1
	s_mov_b32 s22, 0x7fc02000
	s_xor_b64 s[2:3], exec, -1
; %bb.149:                              ;   in Loop: Header=BB220_49 Depth=1
	s_or_b64 exec, exec, s[20:21]
	s_and_b64 s[2:3], s[2:3], exec
	s_or_saveexec_b64 s[18:19], s[18:19]
	v_mov_b32_e32 v37, s22
	s_xor_b64 exec, exec, s[18:19]
	s_cbranch_execz .LBB220_80
.LBB220_150:                            ;   in Loop: Header=BB220_49 Depth=1
	v_cmp_ne_u16_e64 s[0:1], 0, v8
	s_andn2_b64 s[2:3], s[2:3], exec
	s_and_b64 s[0:1], s[0:1], exec
	v_mov_b32_e32 v37, 0
	s_or_b64 s[2:3], s[2:3], s[0:1]
	s_or_b64 exec, exec, s[18:19]
	s_and_saveexec_b64 s[18:19], s[2:3]
	s_cbranch_execnz .LBB220_81
	s_branch .LBB220_82
.LBB220_151:                            ;   in Loop: Header=BB220_49 Depth=1
	v_cmp_eq_u16_sdwa s[50:51], v16, s35 src0_sel:BYTE_0 src1_sel:DWORD
	s_mov_b64 s[0:1], -1
                                        ; implicit-def: $sgpr30
	s_and_saveexec_b64 s[22:23], s[50:51]
; %bb.152:                              ;   in Loop: Header=BB220_49 Depth=1
	s_mov_b32 s30, 0x7fc02000
	s_xor_b64 s[0:1], exec, -1
; %bb.153:                              ;   in Loop: Header=BB220_49 Depth=1
	s_or_b64 exec, exec, s[22:23]
	s_and_b64 s[0:1], s[0:1], exec
	s_or_saveexec_b64 s[20:21], s[20:21]
	v_mov_b32_e32 v18, s30
	s_xor_b64 exec, exec, s[20:21]
	s_cbranch_execz .LBB220_87
.LBB220_154:                            ;   in Loop: Header=BB220_49 Depth=1
	v_cmp_ne_u16_sdwa s[22:23], v16, v9 src0_sel:BYTE_0 src1_sel:DWORD
	s_andn2_b64 s[0:1], s[0:1], exec
	s_and_b64 s[22:23], s[22:23], exec
	v_mov_b32_e32 v18, 0
	s_or_b64 s[0:1], s[0:1], s[22:23]
	s_or_b64 exec, exec, s[20:21]
	s_and_saveexec_b64 s[20:21], s[0:1]
	s_cbranch_execnz .LBB220_88
	s_branch .LBB220_89
.LBB220_155:                            ;   in Loop: Header=BB220_49 Depth=1
	v_cmp_eq_u16_e64 s[0:1], s35, v8
	s_mov_b64 s[20:21], -1
                                        ; implicit-def: $sgpr50
	s_and_saveexec_b64 s[30:31], s[0:1]
; %bb.156:                              ;   in Loop: Header=BB220_49 Depth=1
	s_mov_b32 s50, 0x7fc02000
	s_xor_b64 s[20:21], exec, -1
; %bb.157:                              ;   in Loop: Header=BB220_49 Depth=1
	s_or_b64 exec, exec, s[30:31]
	s_and_b64 s[20:21], s[20:21], exec
	s_or_saveexec_b64 s[22:23], s[22:23]
	v_mov_b32_e32 v20, s50
	s_xor_b64 exec, exec, s[22:23]
	s_cbranch_execz .LBB220_91
.LBB220_158:                            ;   in Loop: Header=BB220_49 Depth=1
	v_cmp_ne_u16_e64 s[0:1], 0, v8
	s_andn2_b64 s[20:21], s[20:21], exec
	s_and_b64 s[0:1], s[0:1], exec
	v_mov_b32_e32 v20, 0
	s_or_b64 s[20:21], s[20:21], s[0:1]
	s_or_b64 exec, exec, s[22:23]
	s_and_saveexec_b64 s[22:23], s[20:21]
	s_cbranch_execnz .LBB220_92
	s_branch .LBB220_93
.LBB220_159:                            ;   in Loop: Header=BB220_49 Depth=1
	v_cmp_eq_u16_sdwa s[50:51], v8, s35 src0_sel:BYTE_0 src1_sel:DWORD
	s_mov_b64 s[0:1], -1
                                        ; implicit-def: $sgpr30
	s_and_saveexec_b64 s[22:23], s[50:51]
; %bb.160:                              ;   in Loop: Header=BB220_49 Depth=1
	s_mov_b32 s30, 0x7fc02000
	s_xor_b64 s[0:1], exec, -1
; %bb.161:                              ;   in Loop: Header=BB220_49 Depth=1
	s_or_b64 exec, exec, s[22:23]
	s_and_b64 s[0:1], s[0:1], exec
	s_or_saveexec_b64 s[20:21], s[20:21]
	v_mov_b32_e32 v19, s30
	s_xor_b64 exec, exec, s[20:21]
	s_cbranch_execz .LBB220_95
.LBB220_162:                            ;   in Loop: Header=BB220_49 Depth=1
	v_cmp_ne_u16_sdwa s[22:23], v8, v9 src0_sel:BYTE_0 src1_sel:DWORD
	s_andn2_b64 s[0:1], s[0:1], exec
	s_and_b64 s[22:23], s[22:23], exec
	v_mov_b32_e32 v19, 0
	s_or_b64 s[0:1], s[0:1], s[22:23]
	s_or_b64 exec, exec, s[20:21]
	s_and_saveexec_b64 s[20:21], s[0:1]
	s_cbranch_execnz .LBB220_96
	s_branch .LBB220_97
.LBB220_163:                            ;   in Loop: Header=BB220_49 Depth=1
	v_cmp_eq_u16_e64 s[0:1], s35, v8
	s_mov_b64 s[20:21], -1
                                        ; implicit-def: $sgpr50
	s_and_saveexec_b64 s[30:31], s[0:1]
; %bb.164:                              ;   in Loop: Header=BB220_49 Depth=1
	s_mov_b32 s50, 0x7fc02000
	s_xor_b64 s[20:21], exec, -1
; %bb.165:                              ;   in Loop: Header=BB220_49 Depth=1
	s_or_b64 exec, exec, s[30:31]
	s_and_b64 s[20:21], s[20:21], exec
	s_or_saveexec_b64 s[22:23], s[22:23]
	v_mov_b32_e32 v21, s50
	s_xor_b64 exec, exec, s[22:23]
	s_cbranch_execz .LBB220_99
.LBB220_166:                            ;   in Loop: Header=BB220_49 Depth=1
	v_cmp_ne_u16_e64 s[0:1], 0, v8
	s_andn2_b64 s[20:21], s[20:21], exec
	s_and_b64 s[0:1], s[0:1], exec
	v_mov_b32_e32 v21, 0
	s_or_b64 s[20:21], s[20:21], s[0:1]
	s_or_b64 exec, exec, s[22:23]
	s_and_saveexec_b64 s[22:23], s[20:21]
	s_cbranch_execnz .LBB220_100
	s_branch .LBB220_101
.LBB220_167:                            ;   in Loop: Header=BB220_49 Depth=1
	v_cmp_eq_u16_sdwa s[50:51], v17, s35 src0_sel:BYTE_0 src1_sel:DWORD
	s_mov_b64 s[0:1], -1
                                        ; implicit-def: $sgpr30
	s_and_saveexec_b64 s[22:23], s[50:51]
; %bb.168:                              ;   in Loop: Header=BB220_49 Depth=1
	s_mov_b32 s30, 0x7fc02000
	s_xor_b64 s[0:1], exec, -1
; %bb.169:                              ;   in Loop: Header=BB220_49 Depth=1
	s_or_b64 exec, exec, s[22:23]
	s_and_b64 s[0:1], s[0:1], exec
	s_or_saveexec_b64 s[20:21], s[20:21]
	v_mov_b32_e32 v15, s30
	s_xor_b64 exec, exec, s[20:21]
	s_cbranch_execz .LBB220_103
.LBB220_170:                            ;   in Loop: Header=BB220_49 Depth=1
	v_cmp_ne_u16_sdwa s[22:23], v17, v9 src0_sel:BYTE_0 src1_sel:DWORD
	s_andn2_b64 s[0:1], s[0:1], exec
	s_and_b64 s[22:23], s[22:23], exec
	v_mov_b32_e32 v15, 0
	s_or_b64 s[0:1], s[0:1], s[22:23]
	s_or_b64 exec, exec, s[20:21]
	v_mov_b32_e32 v8, v17
	s_and_saveexec_b64 s[20:21], s[0:1]
	s_cbranch_execnz .LBB220_104
	s_branch .LBB220_105
.LBB220_171:                            ;   in Loop: Header=BB220_49 Depth=1
	v_cmp_eq_u16_e64 s[0:1], s35, v8
	s_mov_b64 s[20:21], -1
                                        ; implicit-def: $sgpr50
	s_and_saveexec_b64 s[30:31], s[0:1]
; %bb.172:                              ;   in Loop: Header=BB220_49 Depth=1
	s_mov_b32 s50, 0x7fc02000
	s_xor_b64 s[20:21], exec, -1
; %bb.173:                              ;   in Loop: Header=BB220_49 Depth=1
	s_or_b64 exec, exec, s[30:31]
	s_and_b64 s[20:21], s[20:21], exec
	s_or_saveexec_b64 s[22:23], s[22:23]
	v_mov_b32_e32 v16, s50
	s_xor_b64 exec, exec, s[22:23]
	s_cbranch_execz .LBB220_107
.LBB220_174:                            ;   in Loop: Header=BB220_49 Depth=1
	v_cmp_ne_u16_e64 s[0:1], 0, v8
	s_andn2_b64 s[20:21], s[20:21], exec
	s_and_b64 s[0:1], s[0:1], exec
	v_mov_b32_e32 v16, 0
	s_or_b64 s[20:21], s[20:21], s[0:1]
	s_or_b64 exec, exec, s[22:23]
	s_and_saveexec_b64 s[22:23], s[20:21]
	s_cbranch_execnz .LBB220_108
	s_branch .LBB220_109
.LBB220_175:                            ;   in Loop: Header=BB220_49 Depth=1
	v_cmp_eq_u16_sdwa s[50:51], v8, s35 src0_sel:BYTE_0 src1_sel:DWORD
	s_mov_b64 s[0:1], -1
                                        ; implicit-def: $sgpr30
	s_and_saveexec_b64 s[22:23], s[50:51]
; %bb.176:                              ;   in Loop: Header=BB220_49 Depth=1
	s_mov_b32 s30, 0x7fc02000
	s_xor_b64 s[0:1], exec, -1
; %bb.177:                              ;   in Loop: Header=BB220_49 Depth=1
	s_or_b64 exec, exec, s[22:23]
	s_and_b64 s[0:1], s[0:1], exec
	s_or_saveexec_b64 s[20:21], s[20:21]
	v_mov_b32_e32 v30, s30
	s_xor_b64 exec, exec, s[20:21]
	s_cbranch_execz .LBB220_111
.LBB220_178:                            ;   in Loop: Header=BB220_49 Depth=1
	v_cmp_ne_u16_sdwa s[22:23], v8, v9 src0_sel:BYTE_0 src1_sel:DWORD
	s_andn2_b64 s[0:1], s[0:1], exec
	s_and_b64 s[22:23], s[22:23], exec
	v_mov_b32_e32 v30, 0
	s_or_b64 s[0:1], s[0:1], s[22:23]
	s_or_b64 exec, exec, s[20:21]
	s_and_saveexec_b64 s[20:21], s[0:1]
	s_cbranch_execnz .LBB220_112
	s_branch .LBB220_113
.LBB220_179:                            ;   in Loop: Header=BB220_49 Depth=1
	v_cmp_eq_u16_e64 s[0:1], s35, v8
	s_mov_b64 s[20:21], -1
                                        ; implicit-def: $sgpr50
	s_and_saveexec_b64 s[30:31], s[0:1]
; %bb.180:                              ;   in Loop: Header=BB220_49 Depth=1
	s_mov_b32 s50, 0x7fc02000
	s_xor_b64 s[20:21], exec, -1
; %bb.181:                              ;   in Loop: Header=BB220_49 Depth=1
	s_or_b64 exec, exec, s[30:31]
	s_and_b64 s[20:21], s[20:21], exec
	s_or_saveexec_b64 s[22:23], s[22:23]
	v_mov_b32_e32 v31, s50
	s_xor_b64 exec, exec, s[22:23]
	s_cbranch_execz .LBB220_115
.LBB220_182:                            ;   in Loop: Header=BB220_49 Depth=1
	v_cmp_ne_u16_e64 s[0:1], 0, v8
	s_andn2_b64 s[20:21], s[20:21], exec
	s_and_b64 s[0:1], s[0:1], exec
	v_mov_b32_e32 v31, 0
	s_or_b64 s[20:21], s[20:21], s[0:1]
	s_or_b64 exec, exec, s[22:23]
	s_and_saveexec_b64 s[22:23], s[20:21]
	s_cbranch_execnz .LBB220_116
	s_branch .LBB220_117
.LBB220_183:
	s_or_b64 exec, exec, s[12:13]
.LBB220_184:
	s_or_b64 exec, exec, s[8:9]
	v_and_b32_e32 v1, 0x3c0, v0
	v_cmp_eq_u32_e32 vcc, 64, v1
	s_barrier
	s_and_saveexec_b64 s[0:1], vcc
	s_cbranch_execz .LBB220_187
; %bb.185:
	v_mov_b32_e32 v1, 0xb0
	v_lshl_add_u32 v3, v24, 2, v1
	ds_write_b32 v3, v4
	s_and_b64 exec, exec, s[6:7]
	s_cbranch_execz .LBB220_187
; %bb.186:
	v_lshl_add_u32 v1, v0, 2, v1
	ds_write_b32 v1, v5
.LBB220_187:
	s_or_b64 exec, exec, s[0:1]
	v_cmp_gt_u32_e32 vcc, 64, v0
	v_or_b32_e32 v1, 64, v0
	s_waitcnt lgkmcnt(0)
	s_barrier
	s_and_saveexec_b64 s[2:3], vcc
	s_cbranch_execz .LBB220_191
; %bb.188:
	v_mov_b32_e32 v3, 0xb0
	v_lshl_add_u32 v0, v0, 2, v3
	ds_read_b32 v3, v0
	s_movk_i32 s0, 0x50
	v_cmp_gt_u32_e64 s[0:1], s0, v1
	s_waitcnt lgkmcnt(0)
	v_add_f32_e32 v4, v4, v3
	s_and_saveexec_b64 s[6:7], s[0:1]
	s_cbranch_execz .LBB220_190
; %bb.189:
	ds_read_b32 v0, v0 offset:256
	s_waitcnt lgkmcnt(0)
	v_add_f32_e32 v5, v5, v0
.LBB220_190:
	s_or_b64 exec, exec, s[6:7]
.LBB220_191:
	s_or_b64 exec, exec, s[2:3]
	s_barrier
	s_and_saveexec_b64 s[0:1], vcc
	s_cbranch_execz .LBB220_194
; %bb.192:
	s_mul_i32 s0, s24, s27
	s_mul_i32 s0, s0, s5
	s_mulk_i32 s0, 0x50
	s_ashr_i32 s1, s0, 31
	s_lshl_b64 s[0:1], s[0:1], 1
	s_add_u32 s3, s28, s0
	s_mul_i32 s0, s27, s26
	s_addc_u32 s5, s29, s1
	s_ashr_i32 s1, s0, 31
	s_lshl_b64 s[0:1], s[0:1], 1
	s_add_u32 s3, s3, s0
	s_mul_i32 s0, s4, 0x50
	s_addc_u32 s5, s5, s1
	s_ashr_i32 s1, s0, 31
	s_lshl_b64 s[0:1], s[0:1], 1
	s_movk_i32 s2, 0x50
	s_add_u32 s0, s3, s0
	s_addc_u32 s1, s5, s1
	v_cmp_gt_u32_e32 vcc, s2, v1
	;;#ASMSTART
	v_cvt_f16_f32 v0, v4;

	;;#ASMEND
	global_store_short v2, v0, s[0:1]
	s_and_b64 exec, exec, vcc
	s_cbranch_execz .LBB220_194
; %bb.193:
	v_mov_b32_e32 v3, 0
	v_lshl_add_u64 v[0:1], s[0:1], 0, v[2:3]
	;;#ASMSTART
	v_cvt_f16_f32 v2, v5;

	;;#ASMEND
	global_store_short v[0:1], v2, off offset:128
.LBB220_194:
	s_endpgm
	.section	.rodata,"a",@progbits
	.p2align	6, 0x0
	.amdhsa_kernel _ZN4vllm25paged_attention_v1_kernelIthLi80ELi8ELi128ELNS_18Fp8KVCacheDataTypeE1ELb1EEEvPT_PKS2_PKT0_S8_ifPKiSA_iPKfiiiSC_SC_iiiii
		.amdhsa_group_segment_fixed_size 176
		.amdhsa_private_segment_fixed_size 0
		.amdhsa_kernarg_size 384
		.amdhsa_user_sgpr_count 2
		.amdhsa_user_sgpr_dispatch_ptr 0
		.amdhsa_user_sgpr_queue_ptr 0
		.amdhsa_user_sgpr_kernarg_segment_ptr 1
		.amdhsa_user_sgpr_dispatch_id 0
		.amdhsa_user_sgpr_kernarg_preload_length 0
		.amdhsa_user_sgpr_kernarg_preload_offset 0
		.amdhsa_user_sgpr_private_segment_size 0
		.amdhsa_uses_dynamic_stack 0
		.amdhsa_enable_private_segment 0
		.amdhsa_system_sgpr_workgroup_id_x 1
		.amdhsa_system_sgpr_workgroup_id_y 1
		.amdhsa_system_sgpr_workgroup_id_z 1
		.amdhsa_system_sgpr_workgroup_info 0
		.amdhsa_system_vgpr_workitem_id 0
		.amdhsa_next_free_vgpr 45
		.amdhsa_next_free_sgpr 52
		.amdhsa_accum_offset 48
		.amdhsa_reserve_vcc 1
		.amdhsa_float_round_mode_32 0
		.amdhsa_float_round_mode_16_64 0
		.amdhsa_float_denorm_mode_32 3
		.amdhsa_float_denorm_mode_16_64 3
		.amdhsa_dx10_clamp 1
		.amdhsa_ieee_mode 1
		.amdhsa_fp16_overflow 0
		.amdhsa_tg_split 0
		.amdhsa_exception_fp_ieee_invalid_op 0
		.amdhsa_exception_fp_denorm_src 0
		.amdhsa_exception_fp_ieee_div_zero 0
		.amdhsa_exception_fp_ieee_overflow 0
		.amdhsa_exception_fp_ieee_underflow 0
		.amdhsa_exception_fp_ieee_inexact 0
		.amdhsa_exception_int_div_zero 0
	.end_amdhsa_kernel
	.section	.text._ZN4vllm25paged_attention_v1_kernelIthLi80ELi8ELi128ELNS_18Fp8KVCacheDataTypeE1ELb1EEEvPT_PKS2_PKT0_S8_ifPKiSA_iPKfiiiSC_SC_iiiii,"axG",@progbits,_ZN4vllm25paged_attention_v1_kernelIthLi80ELi8ELi128ELNS_18Fp8KVCacheDataTypeE1ELb1EEEvPT_PKS2_PKT0_S8_ifPKiSA_iPKfiiiSC_SC_iiiii,comdat
.Lfunc_end220:
	.size	_ZN4vllm25paged_attention_v1_kernelIthLi80ELi8ELi128ELNS_18Fp8KVCacheDataTypeE1ELb1EEEvPT_PKS2_PKT0_S8_ifPKiSA_iPKfiiiSC_SC_iiiii, .Lfunc_end220-_ZN4vllm25paged_attention_v1_kernelIthLi80ELi8ELi128ELNS_18Fp8KVCacheDataTypeE1ELb1EEEvPT_PKS2_PKT0_S8_ifPKiSA_iPKfiiiSC_SC_iiiii
                                        ; -- End function
	.section	.AMDGPU.csdata,"",@progbits
; Kernel info:
; codeLenInByte = 9612
; NumSgprs: 58
; NumVgprs: 45
; NumAgprs: 0
; TotalNumVgprs: 45
; ScratchSize: 0
; MemoryBound: 0
; FloatMode: 240
; IeeeMode: 1
; LDSByteSize: 176 bytes/workgroup (compile time only)
; SGPRBlocks: 7
; VGPRBlocks: 5
; NumSGPRsForWavesPerEU: 58
; NumVGPRsForWavesPerEU: 45
; AccumOffset: 48
; Occupancy: 8
; WaveLimiterHint : 1
; COMPUTE_PGM_RSRC2:SCRATCH_EN: 0
; COMPUTE_PGM_RSRC2:USER_SGPR: 2
; COMPUTE_PGM_RSRC2:TRAP_HANDLER: 0
; COMPUTE_PGM_RSRC2:TGID_X_EN: 1
; COMPUTE_PGM_RSRC2:TGID_Y_EN: 1
; COMPUTE_PGM_RSRC2:TGID_Z_EN: 1
; COMPUTE_PGM_RSRC2:TIDIG_COMP_CNT: 0
; COMPUTE_PGM_RSRC3_GFX90A:ACCUM_OFFSET: 11
; COMPUTE_PGM_RSRC3_GFX90A:TG_SPLIT: 0
	.section	.text._ZN4vllm25paged_attention_v1_kernelIthLi96ELi8ELi128ELNS_18Fp8KVCacheDataTypeE1ELb1EEEvPT_PKS2_PKT0_S8_ifPKiSA_iPKfiiiSC_SC_iiiii,"axG",@progbits,_ZN4vllm25paged_attention_v1_kernelIthLi96ELi8ELi128ELNS_18Fp8KVCacheDataTypeE1ELb1EEEvPT_PKS2_PKT0_S8_ifPKiSA_iPKfiiiSC_SC_iiiii,comdat
	.protected	_ZN4vllm25paged_attention_v1_kernelIthLi96ELi8ELi128ELNS_18Fp8KVCacheDataTypeE1ELb1EEEvPT_PKS2_PKT0_S8_ifPKiSA_iPKfiiiSC_SC_iiiii ; -- Begin function _ZN4vllm25paged_attention_v1_kernelIthLi96ELi8ELi128ELNS_18Fp8KVCacheDataTypeE1ELb1EEEvPT_PKS2_PKT0_S8_ifPKiSA_iPKfiiiSC_SC_iiiii
	.globl	_ZN4vllm25paged_attention_v1_kernelIthLi96ELi8ELi128ELNS_18Fp8KVCacheDataTypeE1ELb1EEEvPT_PKS2_PKT0_S8_ifPKiSA_iPKfiiiSC_SC_iiiii
	.p2align	8
	.type	_ZN4vllm25paged_attention_v1_kernelIthLi96ELi8ELi128ELNS_18Fp8KVCacheDataTypeE1ELb1EEEvPT_PKS2_PKT0_S8_ifPKiSA_iPKfiiiSC_SC_iiiii,@function
_ZN4vllm25paged_attention_v1_kernelIthLi96ELi8ELi128ELNS_18Fp8KVCacheDataTypeE1ELb1EEEvPT_PKS2_PKT0_S8_ifPKiSA_iPKfiiiSC_SC_iiiii: ; @_ZN4vllm25paged_attention_v1_kernelIthLi96ELi8ELi128ELNS_18Fp8KVCacheDataTypeE1ELb1EEEvPT_PKS2_PKT0_S8_ifPKiSA_iPKfiiiSC_SC_iiiii
; %bb.0:
	s_load_dword s5, s[0:1], 0x80
	s_load_dwordx2 s[6:7], s[0:1], 0x30
	s_load_dwordx2 s[38:39], s[0:1], 0x20
	s_mov_b32 s24, s3
	s_ashr_i32 s25, s3, 31
	s_lshl_b64 s[8:9], s[24:25], 2
	s_waitcnt lgkmcnt(0)
	s_add_u32 s6, s6, s8
	s_addc_u32 s7, s7, s9
	s_abs_i32 s3, s38
	v_cvt_f32_u32_e32 v1, s3
	s_sub_i32 s10, 0, s3
	s_abs_i32 s9, s5
	s_xor_b32 s8, s5, s38
	v_rcp_iflag_f32_e32 v1, v1
	s_ashr_i32 s8, s8, 31
	s_mov_b32 s47, 0
	v_mul_f32_e32 v1, 0x4f7ffffe, v1
	v_cvt_u32_f32_e32 v1, v1
	s_nop 0
	v_readfirstlane_b32 s11, v1
	s_mul_i32 s10, s10, s11
	s_mul_hi_u32 s10, s11, s10
	s_add_i32 s11, s11, s10
	s_mul_hi_u32 s10, s9, s11
	s_mul_i32 s11, s10, s3
	s_sub_i32 s9, s9, s11
	s_add_i32 s11, s10, 1
	s_sub_i32 s12, s9, s3
	s_cmp_ge_u32 s9, s3
	s_cselect_b32 s10, s11, s10
	s_cselect_b32 s9, s12, s9
	s_add_i32 s11, s10, 1
	s_cmp_ge_u32 s9, s3
	s_cselect_b32 s3, s11, s10
	s_xor_b32 s3, s3, s8
	s_sub_i32 s14, s3, s8
	s_abs_i32 s10, s14
	v_cvt_f32_u32_e32 v1, s10
	s_load_dwordx2 s[8:9], s[0:1], 0x40
	s_sub_i32 s3, 0, s10
	s_abs_i32 s11, s2
	v_rcp_iflag_f32_e32 v1, v1
	s_nop 0
	v_mul_f32_e32 v1, 0x4f7ffffe, v1
	v_cvt_u32_f32_e32 v1, v1
	s_nop 0
	v_readfirstlane_b32 s12, v1
	s_mul_i32 s3, s3, s12
	s_mul_hi_u32 s3, s12, s3
	s_add_i32 s12, s12, s3
	s_waitcnt lgkmcnt(0)
	s_cmp_eq_u64 s[8:9], 0
	s_mul_hi_u32 s12, s11, s12
	s_cbranch_scc1 .LBB221_2
; %bb.1:
	s_ashr_i32 s3, s2, 31
	s_lshl_b64 s[16:17], s[2:3], 2
	s_add_u32 s8, s8, s16
	s_addc_u32 s9, s9, s17
	s_load_dword s47, s[8:9], 0x0
.LBB221_2:
	s_load_dword s25, s[6:7], 0x0
	s_load_dwordx4 s[16:19], s[0:1], 0x48
	s_movk_i32 s3, 0x60
	s_ashr_i32 s13, s2, 31
	s_ashr_i32 s14, s14, 31
	v_and_b32_e32 v4, 7, v0
	s_mul_i32 s26, s2, 0x60
	v_cmp_gt_u32_e64 s[6:7], s3, v0
	v_lshlrev_b32_e32 v2, 1, v0
	s_and_saveexec_b64 s[8:9], s[6:7]
	s_cbranch_execz .LBB221_4
; %bb.3:
	s_load_dwordx2 s[20:21], s[0:1], 0x8
	s_waitcnt lgkmcnt(0)
	s_mul_i32 s22, s24, s16
	s_ashr_i32 s23, s22, 31
	s_lshl_b64 s[22:23], s[22:23], 1
	v_lshrrev_b32_e32 v3, 2, v0
	s_add_u32 s3, s20, s22
	s_addc_u32 s15, s21, s23
	s_ashr_i32 s27, s26, 31
	s_lshl_b64 s[20:21], s[26:27], 1
	s_add_u32 s20, s3, s20
	s_addc_u32 s21, s15, s21
	global_load_ushort v1, v2, s[20:21]
	v_and_b32_e32 v3, 0xfe, v3
	v_mad_u32_u24 v3, v4, 24, v3
	s_waitcnt vmcnt(0)
	ds_write_b16 v3, v1
.LBB221_4:
	s_or_b64 exec, exec, s[8:9]
	s_mul_i32 s9, s12, s10
	s_sub_i32 s9, s11, s9
	s_xor_b32 s8, s13, s14
	s_add_i32 s11, s12, 1
	s_sub_i32 s13, s9, s10
	s_load_dwordx4 s[20:23], s[0:1], 0x68
	s_load_dword s3, s[0:1], 0x78
	s_cmp_ge_u32 s9, s10
	s_cselect_b32 s11, s11, s12
	s_cselect_b32 s9, s13, s9
	s_add_i32 s12, s11, 1
	s_cmp_ge_u32 s9, s10
	s_cselect_b32 s9, s12, s11
	s_waitcnt lgkmcnt(0)
	s_abs_i32 s33, s23
	v_cvt_f32_u32_e32 v1, s33
	s_xor_b32 s9, s9, s8
	s_sub_i32 s10, s9, s8
	s_sub_i32 s8, 0, s33
	v_rcp_iflag_f32_e32 v1, v1
	s_add_i32 s12, s25, -1
	s_abs_i32 s11, s12
	v_mul_f32_e32 v1, 0x4f7ffffe, v1
	v_cvt_u32_f32_e32 v1, v1
	s_barrier
	v_readfirstlane_b32 s44, v1
	s_mul_i32 s8, s8, s44
	s_mul_hi_u32 s8, s44, s8
	s_add_i32 s44, s44, s8
	s_cmp_lt_i32 s3, 0
	s_mul_hi_u32 s16, s11, s44
	s_cbranch_scc0 .LBB221_6
; %bb.5:
	s_mul_i32 s8, s20, s38
	s_add_i32 s8, s10, s8
	s_mul_i32 s8, s8, s3
	s_sub_i32 s38, 1, s8
	s_mov_b64 s[8:9], 0
	s_branch .LBB221_7
.LBB221_6:
	s_mov_b64 s[8:9], -1
                                        ; implicit-def: $sgpr38
.LBB221_7:
	s_load_dwordx2 s[30:31], s[0:1], 0x28
	s_ashr_i32 s19, s12, 31
	s_andn2_b64 vcc, exec, s[8:9]
	s_ashr_i32 s45, s23, 31
	s_cbranch_vccnz .LBB221_9
; %bb.8:
	s_mul_i32 s8, s5, s20
	s_add_i32 s2, s8, s2
	s_mul_i32 s2, s2, s3
	s_add_i32 s38, s2, 1
.LBB221_9:
	s_load_dword s2, s[0:1], 0x38
	s_load_dwordx2 s[28:29], s[0:1], 0x0
	s_load_dwordx2 s[36:37], s[0:1], 0x18
	s_load_dword s27, s[0:1], 0x88
	s_load_dwordx4 s[12:15], s[0:1], 0x58
	s_mul_i32 s3, s16, s33
	s_waitcnt lgkmcnt(0)
	s_mul_i32 s34, s24, s2
	s_sub_i32 s3, s11, s3
	s_ashr_i32 s35, s34, 31
	s_xor_b32 s2, s19, s45
	s_add_i32 s8, s16, 1
	s_sub_i32 s9, s3, s33
	s_cmp_ge_u32 s3, s33
	s_cselect_b32 s8, s8, s16
	s_cselect_b32 s3, s9, s3
	s_add_i32 s9, s8, 1
	s_cmp_ge_u32 s3, s33
	s_cselect_b32 s3, s9, s8
	s_xor_b32 s3, s3, s2
	s_sub_i32 s16, s3, s2
	s_add_i32 s2, s25, 7
	s_ashr_i32 s3, s2, 31
	s_lshr_b32 s3, s3, 29
	s_add_i32 s2, s2, s3
	s_ashr_i32 s46, s2, 3
	v_lshrrev_b32_e32 v1, 6, v0
	v_cmp_gt_i32_e64 s[2:3], s46, v1
	v_mov_b32_e32 v14, 0xff7fffff
	s_mul_i32 s20, s10, s18
	v_lshrrev_b32_e32 v12, 4, v0
	v_lshlrev_b32_e32 v3, 3, v1
	v_mbcnt_lo_u32_b32 v10, -1, 0
	s_and_saveexec_b64 s[18:19], s[2:3]
	s_cbranch_execz .LBB221_19
; %bb.10:
	s_load_dwordx2 s[0:1], s[0:1], 0x10
	s_sub_i32 s23, s16, s21
	s_ashr_i32 s9, s20, 31
	v_bfe_u32 v11, v0, 3, 3
	v_mov_b32_e32 v5, 0
	s_waitcnt lgkmcnt(0)
	s_add_u32 s8, s0, s20
	s_addc_u32 s9, s1, s9
	s_abs_i32 s48, s22
	v_cvt_f32_u32_e32 v6, s48
	v_lshlrev_b32_e32 v14, 2, v11
	v_lshl_or_b32 v14, v1, 5, v14
	v_add_u32_e32 v17, 0xd0, v14
	v_rcp_iflag_f32_e32 v7, v6
	v_lshlrev_b32_e32 v6, 4, v11
	v_subrev_u32_e32 v14, s25, v11
	v_mbcnt_hi_u32_b32 v20, -1, v10
	v_mul_f32_e32 v7, 0x4f7ffffe, v7
	v_cvt_u32_f32_e32 v8, v7
	v_mov_b32_e32 v7, v5
	v_lshl_add_u64 v[6:7], s[8:9], 0, v[6:7]
	s_sub_i32 s8, 0, s48
	v_mul_lo_u32 v9, s8, v8
	s_lshl_b64 s[8:9], s[34:35], 2
	v_mul_hi_u32 v9, v8, v9
	s_add_u32 s8, s30, s8
	v_add_u32_e32 v15, v8, v9
	v_and_b32_e32 v8, 60, v12
	v_mov_b32_e32 v9, v5
	s_addc_u32 s9, s31, s9
	v_add_u32_e32 v18, 1, v14
	v_and_b32_e32 v14, 64, v20
	v_cmp_eq_u32_e32 vcc, 0, v4
	s_mov_b32 s49, s17
	v_mul_u32_u24_e32 v13, 24, v4
	v_cmp_neq_f32_e64 s[0:1], s47, 0
	v_lshl_add_u64 v[8:9], s[8:9], 0, v[8:9]
	v_lshlrev_b32_e32 v16, 3, v1
	s_mov_b64 s[40:41], 0
	v_mov_b32_e32 v19, 0xff7fffff
	v_add_u32_e32 v21, 64, v14
	v_xor_b32_e32 v22, 4, v20
	v_xor_b32_e32 v23, 2, v20
	;; [unrolled: 1-line block ×3, first 2 shown]
	v_mov_b32_e32 v14, 0xff7fffff
	v_mov_b32_e32 v25, v1
	s_branch .LBB221_13
.LBB221_11:                             ;   in Loop: Header=BB221_13 Depth=1
	s_or_b64 exec, exec, s[42:43]
.LBB221_12:                             ;   in Loop: Header=BB221_13 Depth=1
	s_or_b64 exec, exec, s[10:11]
	v_add_u32_e32 v25, 2, v25
	v_cmp_le_i32_e64 s[8:9], s46, v25
	v_lshl_add_u64 v[8:9], v[8:9], 0, 8
	v_add_u32_e32 v16, 16, v16
	s_or_b64 s[40:41], s[8:9], s[40:41]
	v_add_u32_e32 v17, 64, v17
	s_andn2_b64 exec, exec, s[40:41]
	s_cbranch_execz .LBB221_18
.LBB221_13:                             ; =>This Inner Loop Header: Depth=1
	v_mul_hi_u32 v26, v16, s44
	s_waitcnt lgkmcnt(0)
	v_mul_lo_u32 v27, v26, s33
	v_sub_u32_e32 v27, v16, v27
	v_add_u32_e32 v28, 1, v26
	v_cmp_le_u32_e64 s[8:9], s33, v27
	s_nop 1
	v_cndmask_b32_e64 v26, v26, v28, s[8:9]
	v_subrev_u32_e32 v28, s33, v27
	v_cndmask_b32_e64 v27, v27, v28, s[8:9]
	v_add_u32_e32 v28, 1, v26
	v_cmp_le_u32_e64 s[8:9], s33, v27
	s_nop 1
	v_cndmask_b32_e64 v26, v26, v28, s[8:9]
	v_xor_b32_e32 v26, s45, v26
	v_subrev_u32_e32 v26, s45, v26
	v_add_u32_e32 v27, s38, v26
	v_sub_u32_e32 v29, 0, v27
	v_ashrrev_i32_e32 v28, 31, v27
	v_max_i32_e32 v27, v27, v29
	v_mul_hi_u32 v29, v27, v15
	v_mul_lo_u32 v29, v29, s48
	v_sub_u32_e32 v27, v27, v29
	v_subrev_u32_e32 v29, s48, v27
	v_cmp_le_u32_e64 s[8:9], s48, v27
	v_cmp_ge_i32_e64 s[10:11], s23, v26
	s_nop 0
	v_cndmask_b32_e64 v27, v27, v29, s[8:9]
	v_subrev_u32_e32 v29, s48, v27
	v_cmp_le_u32_e64 s[8:9], s48, v27
	s_nop 1
	v_cndmask_b32_e64 v27, v27, v29, s[8:9]
	v_xor_b32_e32 v27, v27, v28
	v_sub_u32_e32 v27, v27, v28
	v_cmp_ne_u32_e64 s[8:9], 0, v27
	s_and_b64 s[8:9], s[8:9], s[10:11]
	s_and_b64 s[42:43], vcc, s[8:9]
	s_and_saveexec_b64 s[10:11], s[42:43]
	s_cbranch_execz .LBB221_15
; %bb.14:                               ;   in Loop: Header=BB221_13 Depth=1
	ds_write_b32 v17, v19
.LBB221_15:                             ;   in Loop: Header=BB221_13 Depth=1
	s_or_b64 exec, exec, s[10:11]
	s_xor_b64 s[8:9], s[8:9], -1
	s_and_saveexec_b64 s[10:11], s[8:9]
	s_cbranch_execz .LBB221_12
; %bb.16:                               ;   in Loop: Header=BB221_13 Depth=1
	global_load_dword v26, v[8:9], off
	s_waitcnt vmcnt(0)
	v_mad_i64_i32 v[26:27], s[8:9], v26, s49, v[6:7]
	v_lshl_add_u64 v[26:27], v[26:27], 0, v[4:5]
	global_load_ubyte v28, v[26:27], off
	global_load_ubyte v29, v[26:27], off offset:8
	global_load_dword v30, v5, s[12:13]
	global_load_ubyte v31, v[26:27], off offset:128
	global_load_ubyte v32, v[26:27], off offset:136
	;; [unrolled: 1-line block ×10, first 2 shown]
	ds_read_u16 v26, v13
	s_waitcnt lgkmcnt(0)
	;;#ASMSTART
	v_cvt_f32_f16 v26, v26;
	;;#ASMEND
	v_cmp_lt_i32_e64 s[8:9], v22, v21
	s_waitcnt vmcnt(12)
	v_cvt_f32_fp8_sdwa v27, v28 src0_sel:BYTE_0
	s_waitcnt vmcnt(11)
	v_cvt_f32_fp8_sdwa v29, v29 src0_sel:BYTE_0
	v_cndmask_b32_e64 v28, v20, v22, s[8:9]
	s_waitcnt vmcnt(9)
	v_cvt_f32_fp8_sdwa v31, v31 src0_sel:BYTE_0
	v_fma_mixlo_f16 v27, v30, v27, 0
	v_and_b32_e32 v27, 0xffff, v27
	v_fma_mixlo_f16 v29, v30, v29, 0
	s_waitcnt vmcnt(8)
	v_cvt_f32_fp8_sdwa v32, v32 src0_sel:BYTE_0
	;;#ASMSTART
	v_cvt_f32_f16 v27, v27;
	;;#ASMEND
	ds_read_u16 v41, v13 offset:2
	v_and_b32_e32 v29, 0xffff, v29
	s_waitcnt vmcnt(7)
	v_cvt_f32_fp8_sdwa v33, v33 src0_sel:BYTE_0
	s_waitcnt lgkmcnt(0)
	;;#ASMSTART
	v_cvt_f32_f16 v41, v41;
	;;#ASMEND
	;;#ASMSTART
	v_cvt_f32_f16 v29, v29;
	;;#ASMEND
	s_waitcnt vmcnt(6)
	v_cvt_f32_fp8_sdwa v34, v34 src0_sel:BYTE_0
	v_fma_mixlo_f16 v31, v30, v31, 0
	s_waitcnt vmcnt(5)
	v_cvt_f32_fp8_sdwa v35, v35 src0_sel:BYTE_0
	v_mul_f32_e32 v29, v41, v29
	ds_read_u16 v42, v13 offset:4
	v_and_b32_e32 v31, 0xffff, v31
	v_fma_mixlo_f16 v32, v30, v32, 0
	s_waitcnt vmcnt(4)
	v_cvt_f32_fp8_sdwa v36, v36 src0_sel:BYTE_0
	v_fmac_f32_e32 v29, v26, v27
	s_waitcnt lgkmcnt(0)
	;;#ASMSTART
	v_cvt_f32_f16 v42, v42;
	;;#ASMEND
	;;#ASMSTART
	v_cvt_f32_f16 v31, v31;
	;;#ASMEND
	ds_read_u16 v43, v13 offset:6
	v_and_b32_e32 v32, 0xffff, v32
	s_waitcnt vmcnt(3)
	v_cvt_f32_fp8_sdwa v37, v37 src0_sel:BYTE_0
	v_fma_mixlo_f16 v33, v30, v33, 0
	v_fmac_f32_e32 v29, v42, v31
	s_waitcnt lgkmcnt(0)
	;;#ASMSTART
	v_cvt_f32_f16 v43, v43;
	;;#ASMEND
	;;#ASMSTART
	v_cvt_f32_f16 v32, v32;
	;;#ASMEND
	ds_read_u16 v44, v13 offset:8
	v_and_b32_e32 v33, 0xffff, v33
	v_fma_mixlo_f16 v34, v30, v34, 0
	v_fmac_f32_e32 v29, v43, v32
	s_waitcnt lgkmcnt(0)
	;;#ASMSTART
	v_cvt_f32_f16 v44, v44;
	;;#ASMEND
	;;#ASMSTART
	v_cvt_f32_f16 v33, v33;
	;;#ASMEND
	ds_read_u16 v45, v13 offset:10
	s_waitcnt vmcnt(2)
	v_cvt_f32_fp8_sdwa v38, v38 src0_sel:BYTE_0
	s_waitcnt vmcnt(1)
	v_cvt_f32_fp8_sdwa v39, v39 src0_sel:BYTE_0
	v_and_b32_e32 v34, 0xffff, v34
	s_waitcnt vmcnt(0)
	v_cvt_f32_fp8_sdwa v40, v40 src0_sel:BYTE_0
	v_fma_mixlo_f16 v35, v30, v35, 0
	v_fmac_f32_e32 v29, v44, v33
	s_waitcnt lgkmcnt(0)
	;;#ASMSTART
	v_cvt_f32_f16 v45, v45;
	;;#ASMEND
	;;#ASMSTART
	v_cvt_f32_f16 v34, v34;
	;;#ASMEND
	ds_read_u16 v46, v13 offset:12
	v_fma_mixlo_f16 v36, v30, v36, 0
	v_and_b32_e32 v35, 0xffff, v35
	v_fmac_f32_e32 v29, v45, v34
	s_waitcnt lgkmcnt(0)
	;;#ASMSTART
	v_cvt_f32_f16 v46, v46;
	;;#ASMEND
	;;#ASMSTART
	v_cvt_f32_f16 v35, v35;
	;;#ASMEND
	ds_read_u16 v47, v13 offset:14
	v_fma_mixlo_f16 v37, v30, v37, 0
	v_and_b32_e32 v36, 0xffff, v36
	v_fmac_f32_e32 v29, v46, v35
	s_waitcnt lgkmcnt(0)
	;;#ASMSTART
	v_cvt_f32_f16 v47, v47;
	;;#ASMEND
	;;#ASMSTART
	v_cvt_f32_f16 v36, v36;
	;;#ASMEND
	v_and_b32_e32 v37, 0xffff, v37
	v_fmac_f32_e32 v29, v47, v36
	v_fma_mixlo_f16 v38, v30, v38, 0
	v_fma_mixlo_f16 v39, v30, v39, 0
	ds_read_u16 v48, v13 offset:16
	v_fma_mixlo_f16 v30, v30, v40, 0
	s_waitcnt lgkmcnt(0)
	;;#ASMSTART
	v_cvt_f32_f16 v40, v48;
	;;#ASMEND
	;;#ASMSTART
	v_cvt_f32_f16 v37, v37;
	;;#ASMEND
	v_and_b32_e32 v38, 0xffff, v38
	v_fmac_f32_e32 v29, v40, v37
	ds_read_u16 v48, v13 offset:18
	s_waitcnt lgkmcnt(0)
	;;#ASMSTART
	v_cvt_f32_f16 v26, v48;
	;;#ASMEND
	;;#ASMSTART
	v_cvt_f32_f16 v27, v38;
	;;#ASMEND
	ds_read_u16 v31, v13 offset:20
	v_fmac_f32_e32 v29, v26, v27
	v_and_b32_e32 v39, 0xffff, v39
	s_waitcnt lgkmcnt(0)
	;;#ASMSTART
	v_cvt_f32_f16 v31, v31;
	;;#ASMEND
	;;#ASMSTART
	v_cvt_f32_f16 v32, v39;
	;;#ASMEND
	v_lshlrev_b32_e32 v28, 2, v28
	v_fmac_f32_e32 v29, v31, v32
	v_and_b32_e32 v30, 0xffff, v30
	ds_read_u16 v33, v13 offset:22
	s_waitcnt lgkmcnt(0)
	;;#ASMSTART
	v_cvt_f32_f16 v26, v33;
	;;#ASMEND
	;;#ASMSTART
	v_cvt_f32_f16 v27, v30;
	;;#ASMEND
	v_cmp_lt_i32_e64 s[8:9], v23, v21
	v_fmac_f32_e32 v29, v26, v27
	ds_bpermute_b32 v26, v28, v29
	v_cndmask_b32_e64 v27, v20, v23, s[8:9]
	v_lshlrev_b32_e32 v27, 2, v27
	v_cmp_lt_i32_e64 s[8:9], v24, v21
	s_waitcnt lgkmcnt(0)
	v_add_f32_e32 v26, v29, v26
	ds_bpermute_b32 v27, v27, v26
	v_cndmask_b32_e64 v28, v20, v24, s[8:9]
	s_waitcnt lgkmcnt(0)
	v_add_f32_e32 v26, v26, v27
	v_lshlrev_b32_e32 v27, 2, v28
	ds_bpermute_b32 v27, v27, v26
	s_and_saveexec_b64 s[42:43], vcc
	s_cbranch_execz .LBB221_11
; %bb.17:                               ;   in Loop: Header=BB221_13 Depth=1
	v_add_u32_e32 v28, v18, v16
	v_cvt_f32_i32_e32 v28, v28
	s_waitcnt lgkmcnt(0)
	v_add_f32_e32 v26, v26, v27
	v_add_u32_e32 v29, v11, v16
	v_cmp_gt_i32_e64 s[8:9], s25, v29
	v_mul_f32_e32 v27, s47, v28
	v_cndmask_b32_e64 v27, 0, v27, s[0:1]
	v_fmac_f32_e32 v27, s39, v26
	v_cndmask_b32_e64 v26, 0, v27, s[8:9]
	ds_write_b32 v17, v26
	v_max_f32_e32 v26, v14, v14
	v_max_f32_e32 v26, v26, v27
	v_cndmask_b32_e64 v14, v14, v26, s[8:9]
	s_branch .LBB221_11
.LBB221_18:
	s_or_b64 exec, exec, s[40:41]
.LBB221_19:
	s_or_b64 exec, exec, s[18:19]
	v_mbcnt_hi_u32_b32 v4, -1, v10
	v_and_b32_e32 v5, 64, v4
	v_add_u32_e32 v5, 64, v5
	v_xor_b32_e32 v6, 32, v4
	v_cmp_lt_i32_e32 vcc, v6, v5
	v_xor_b32_e32 v9, 16, v4
	v_max_f32_e32 v8, v14, v14
	v_cndmask_b32_e32 v6, v4, v6, vcc
	v_lshlrev_b32_e32 v7, 2, v6
	ds_bpermute_b32 v6, v7, v14
	v_cmp_lt_i32_e32 vcc, v9, v5
	v_xor_b32_e32 v10, 8, v4
	v_and_b32_e32 v24, 63, v0
	s_waitcnt lgkmcnt(0)
	v_max_f32_e32 v6, v6, v6
	v_max_f32_e32 v6, v8, v6
	v_cndmask_b32_e32 v8, v4, v9, vcc
	v_lshlrev_b32_e32 v9, 2, v8
	ds_bpermute_b32 v8, v9, v6
	v_cmp_lt_i32_e32 vcc, v10, v5
	s_waitcnt lgkmcnt(0)
	v_max_f32_e32 v8, v8, v8
	v_max_f32_e32 v8, v6, v8
	v_cndmask_b32_e32 v6, v4, v10, vcc
	v_lshlrev_b32_e32 v11, 2, v6
	ds_bpermute_b32 v10, v11, v8
	v_cmp_eq_u32_e32 vcc, 0, v24
	v_lshlrev_b32_e32 v6, 2, v1
	s_and_saveexec_b64 s[0:1], vcc
	s_cbranch_execz .LBB221_21
; %bb.20:
	s_waitcnt lgkmcnt(0)
	v_max_f32_e32 v10, v10, v10
	v_max_f32_e32 v8, v8, v8
	;; [unrolled: 1-line block ×3, first 2 shown]
	ds_write_b32 v6, v8 offset:192
.LBB221_21:
	s_or_b64 exec, exec, s[0:1]
	v_cmp_gt_u32_e64 s[0:1], 2, v24
	v_mov_b32_e32 v13, 0xff7fffff
	v_lshlrev_b32_e32 v8, 2, v24
	s_waitcnt lgkmcnt(0)
	s_barrier
	s_and_saveexec_b64 s[8:9], s[0:1]
	s_cbranch_execz .LBB221_23
; %bb.22:
	ds_read_b32 v13, v8 offset:192
.LBB221_23:
	s_or_b64 exec, exec, s[8:9]
	v_xor_b32_e32 v10, 1, v4
	v_cmp_lt_i32_e64 s[8:9], v10, v5
	v_lshlrev_b32_e32 v15, 2, v4
	s_nop 0
	v_cndmask_b32_e64 v10, v4, v10, s[8:9]
	v_lshlrev_b32_e32 v10, 2, v10
	s_waitcnt lgkmcnt(0)
	ds_bpermute_b32 v14, v10, v13
	v_max_f32_e32 v13, v13, v13
	s_lshl_b32 s8, s46, 3
	s_min_i32 s23, s8, s25
	v_cmp_gt_i32_e64 s[8:9], s23, v0
	s_waitcnt lgkmcnt(0)
	v_max_f32_e32 v14, v14, v14
	v_max_f32_e32 v14, v13, v14
	v_and_b32_e32 v13, 0x100, v15
	ds_bpermute_b32 v15, v13, v14
	v_mov_b32_e32 v14, 0
	s_and_saveexec_b64 s[12:13], s[8:9]
	s_cbranch_execz .LBB221_27
; %bb.24:
	v_mov_b32_e32 v14, 0xd0
	v_lshl_add_u32 v16, v0, 2, v14
	s_mov_b64 s[18:19], 0
	v_mov_b32_e32 v14, 0
	v_mov_b32_e32 v17, v0
.LBB221_25:                             ; =>This Inner Loop Header: Depth=1
	ds_read_b32 v18, v16
	v_add_u32_e32 v17, 0x80, v17
	v_cmp_le_i32_e64 s[10:11], s23, v17
	s_or_b64 s[18:19], s[10:11], s[18:19]
	s_waitcnt lgkmcnt(0)
	v_sub_f32_e32 v18, v18, v15
	v_mul_f32_e32 v18, 0x3fb8aa3b, v18
	v_exp_f32_e32 v18, v18
	ds_write_b32 v16, v18
	v_add_f32_e32 v14, v14, v18
	v_add_u32_e32 v16, 0x200, v16
	s_andn2_b64 exec, exec, s[18:19]
	s_cbranch_execnz .LBB221_25
; %bb.26:
	s_or_b64 exec, exec, s[18:19]
.LBB221_27:
	s_or_b64 exec, exec, s[12:13]
	ds_bpermute_b32 v7, v7, v14
	s_waitcnt lgkmcnt(0)
	v_add_f32_e32 v7, v14, v7
	ds_bpermute_b32 v9, v9, v7
	s_waitcnt lgkmcnt(0)
	v_add_f32_e32 v7, v7, v9
	ds_bpermute_b32 v9, v11, v7
	v_xor_b32_e32 v11, 4, v4
	v_cmp_lt_i32_e64 s[10:11], v11, v5
	s_waitcnt lgkmcnt(0)
	v_add_f32_e32 v7, v7, v9
	v_cndmask_b32_e64 v11, v4, v11, s[10:11]
	v_lshlrev_b32_e32 v11, 2, v11
	ds_bpermute_b32 v9, v11, v7
	v_xor_b32_e32 v11, 2, v4
	v_cmp_lt_i32_e64 s[10:11], v11, v5
	s_waitcnt lgkmcnt(0)
	v_add_f32_e32 v5, v7, v9
	v_cndmask_b32_e64 v4, v4, v11, s[10:11]
	v_lshlrev_b32_e32 v4, 2, v4
	ds_bpermute_b32 v4, v4, v5
	s_waitcnt lgkmcnt(0)
	v_add_f32_e32 v4, v5, v4
	ds_bpermute_b32 v5, v10, v4
	s_waitcnt lgkmcnt(0)
	v_add_f32_e32 v4, v4, v5
	s_and_saveexec_b64 s[10:11], vcc
	s_cbranch_execz .LBB221_29
; %bb.28:
	ds_write_b32 v6, v4 offset:200
.LBB221_29:
	s_or_b64 exec, exec, s[10:11]
	s_waitcnt lgkmcnt(0)
	s_barrier
	s_and_saveexec_b64 s[10:11], s[0:1]
	s_cbranch_execz .LBB221_31
; %bb.30:
	ds_read_b32 v4, v8 offset:200
.LBB221_31:
	s_or_b64 exec, exec, s[10:11]
	s_waitcnt lgkmcnt(0)
	ds_bpermute_b32 v5, v10, v4
	s_waitcnt lgkmcnt(0)
	v_add_f32_e32 v4, v4, v5
	ds_bpermute_b32 v4, v13, v4
	s_and_saveexec_b64 s[0:1], s[8:9]
	s_cbranch_execz .LBB221_44
; %bb.32:
	s_waitcnt lgkmcnt(0)
	v_add_f32_e32 v4, 0x358637bd, v4
	v_div_scale_f32 v5, s[8:9], v4, v4, 1.0
	v_rcp_f32_e32 v6, v5
	v_div_scale_f32 v7, vcc, 1.0, v4, 1.0
	s_movk_i32 s8, 0x7f
	v_fma_f32 v8, -v5, v6, 1.0
	v_fmac_f32_e32 v6, v8, v6
	v_mul_f32_e32 v8, v7, v6
	v_fma_f32 v9, -v5, v8, v7
	v_fmac_f32_e32 v8, v9, v6
	v_fma_f32 v5, -v5, v8, v7
	v_div_fmas_f32 v5, v5, v6, v8
	v_xad_u32 v6, v0, -1, s23
	v_div_fixup_f32 v4, v5, v4, 1.0
	v_cmp_lt_u32_e32 vcc, s8, v6
	s_mov_b64 s[10:11], -1
	v_mov_b32_e32 v5, v0
	s_and_saveexec_b64 s[8:9], vcc
	s_cbranch_execz .LBB221_41
; %bb.33:
	v_lshrrev_b32_e32 v6, 7, v6
	v_add_u32_e32 v8, -1, v6
	v_lshrrev_b32_e32 v7, 1, v8
	v_mov_b32_e32 v5, v4
	v_add_u32_e32 v7, 1, v7
	v_cmp_lt_u32_e32 vcc, 13, v8
	v_mov_b32_e32 v10, 0
	s_and_saveexec_b64 s[10:11], vcc
	s_cbranch_execz .LBB221_37
; %bb.34:
	v_mov_b32_e32 v9, 0xd0
	v_and_b32_e32 v8, -8, v7
	v_lshl_add_u32 v9, v0, 2, v9
	s_mov_b32 s18, 0
	s_mov_b64 s[12:13], 0
.LBB221_35:                             ; =>This Inner Loop Header: Depth=1
	ds_read2st64_b32 v[10:11], v9 offset1:2
	ds_read2st64_b32 v[14:15], v9 offset0:4 offset1:6
	ds_read2st64_b32 v[16:17], v9 offset0:8 offset1:10
	;; [unrolled: 1-line block ×3, first 2 shown]
	v_add_u32_e32 v8, -8, v8
	s_waitcnt lgkmcnt(3)
	v_pk_mul_f32 v[10:11], v[4:5], v[10:11]
	s_waitcnt lgkmcnt(2)
	v_pk_mul_f32 v[14:15], v[4:5], v[14:15]
	ds_write2st64_b32 v9, v10, v11 offset1:2
	ds_write2st64_b32 v9, v14, v15 offset0:4 offset1:6
	ds_read2st64_b32 v[14:15], v9 offset0:16 offset1:18
	s_waitcnt lgkmcnt(4)
	v_pk_mul_f32 v[10:11], v[4:5], v[16:17]
	ds_write2st64_b32 v9, v10, v11 offset0:8 offset1:10
	s_waitcnt lgkmcnt(4)
	v_pk_mul_f32 v[10:11], v[4:5], v[18:19]
	ds_write2st64_b32 v9, v10, v11 offset0:12 offset1:14
	ds_read2st64_b32 v[10:11], v9 offset0:20 offset1:22
	s_waitcnt lgkmcnt(3)
	v_pk_mul_f32 v[14:15], v[4:5], v[14:15]
	ds_read2st64_b32 v[16:17], v9 offset0:24 offset1:26
	ds_write2st64_b32 v9, v14, v15 offset0:16 offset1:18
	ds_read2st64_b32 v[14:15], v9 offset0:28 offset1:30
	s_waitcnt lgkmcnt(3)
	v_pk_mul_f32 v[10:11], v[4:5], v[10:11]
	ds_write2st64_b32 v9, v10, v11 offset0:20 offset1:22
	s_waitcnt lgkmcnt(3)
	v_pk_mul_f32 v[10:11], v[4:5], v[16:17]
	ds_write2st64_b32 v9, v10, v11 offset0:24 offset1:26
	s_waitcnt lgkmcnt(2)
	v_pk_mul_f32 v[10:11], v[4:5], v[14:15]
	s_add_i32 s18, s18, 16
	v_cmp_eq_u32_e32 vcc, 0, v8
	ds_write2st64_b32 v9, v10, v11 offset0:28 offset1:30
	v_add_u32_e32 v9, 0x2000, v9
	s_or_b64 s[12:13], vcc, s[12:13]
	v_mov_b32_e32 v10, s18
	s_andn2_b64 exec, exec, s[12:13]
	s_cbranch_execnz .LBB221_35
; %bb.36:
	s_or_b64 exec, exec, s[12:13]
.LBB221_37:
	s_or_b64 exec, exec, s[10:11]
	v_and_b32_e32 v7, 7, v7
	v_cmp_ne_u32_e32 vcc, 0, v7
	s_and_saveexec_b64 s[10:11], vcc
	s_cbranch_execz .LBB221_40
; %bb.38:
	v_lshlrev_b32_e32 v8, 9, v10
	v_lshlrev_b32_e32 v9, 2, v0
	s_movk_i32 s12, 0xd0
	v_add3_u32 v8, v8, v9, s12
	s_mov_b64 s[12:13], 0
.LBB221_39:                             ; =>This Inner Loop Header: Depth=1
	ds_read2st64_b32 v[10:11], v8 offset1:2
	v_add_u32_e32 v7, -1, v7
	v_cmp_eq_u32_e32 vcc, 0, v7
	s_or_b64 s[12:13], vcc, s[12:13]
	s_waitcnt lgkmcnt(0)
	v_pk_mul_f32 v[10:11], v[4:5], v[10:11]
	ds_write2st64_b32 v8, v10, v11 offset1:2
	v_add_u32_e32 v8, 0x400, v8
	s_andn2_b64 exec, exec, s[12:13]
	s_cbranch_execnz .LBB221_39
.LBB221_40:
	s_or_b64 exec, exec, s[10:11]
	v_add_u32_e32 v6, 1, v6
	v_and_b32_e32 v7, 0x3fffffe, v6
	v_cmp_ne_u32_e32 vcc, v6, v7
	v_lshl_add_u32 v5, v7, 7, v0
	s_orn2_b64 s[10:11], vcc, exec
.LBB221_41:
	s_or_b64 exec, exec, s[8:9]
	s_and_b64 exec, exec, s[10:11]
	s_cbranch_execz .LBB221_44
; %bb.42:
	v_mov_b32_e32 v6, 0xd0
	v_lshl_add_u32 v6, v5, 2, v6
	s_mov_b64 s[8:9], 0
.LBB221_43:                             ; =>This Inner Loop Header: Depth=1
	ds_read_b32 v7, v6
	v_add_u32_e32 v5, 0x80, v5
	v_cmp_le_i32_e32 vcc, s23, v5
	s_or_b64 s[8:9], vcc, s[8:9]
	s_waitcnt lgkmcnt(0)
	v_mul_f32_e32 v7, v4, v7
	ds_write_b32 v6, v7
	v_add_u32_e32 v6, 0x200, v6
	s_andn2_b64 exec, exec, s[8:9]
	s_cbranch_execnz .LBB221_43
.LBB221_44:
	s_or_b64 exec, exec, s[0:1]
	s_mov_b32 s0, 0
	s_mov_b32 s1, s0
	s_waitcnt lgkmcnt(0)
	v_mov_b64_e32 v[4:5], s[0:1]
	s_barrier
	s_and_saveexec_b64 s[8:9], s[2:3]
	s_cbranch_execz .LBB221_184
; %bb.45:
	s_sub_i32 s39, s16, s21
	s_ashr_i32 s2, s20, 31
	s_add_u32 s10, s36, s20
	s_addc_u32 s11, s37, s2
	s_abs_i32 s37, s22
	v_cvt_f32_u32_e32 v4, s37
	v_or_b32_e32 v5, 64, v24
	s_movk_i32 s2, 0x60
	v_cmp_gt_u32_e32 vcc, s2, v5
	v_rcp_iflag_f32_e32 v4, v4
	s_sub_i32 s2, 0, s37
	s_add_i32 s36, s46, -1
	v_lshlrev_b32_e32 v10, 3, v5
	v_mul_f32_e32 v4, 0x4f7ffffe, v4
	v_cvt_u32_f32_e32 v4, v4
	v_mov_b32_e32 v9, 0
	v_and_b32_e32 v8, 60, v12
	s_mov_b32 s40, s17
	v_mul_lo_u32 v5, s2, v4
	s_lshl_b64 s[2:3], s[34:35], 2
	v_mul_hi_u32 v5, v4, v5
	s_add_u32 s2, s30, s2
	v_add_u32_e32 v25, v4, v5
	s_addc_u32 s3, s31, s3
	v_mov_b32_e32 v4, 0xd0
	v_lshlrev_b32_e32 v6, 3, v24
	v_mov_b32_e32 v7, v9
	v_mov_b32_e32 v11, v9
	s_mov_b32 s41, s25
	v_lshl_add_u64 v[12:13], s[2:3], 0, v[8:9]
	v_lshl_add_u32 v26, v1, 5, v4
	s_mov_b64 s[12:13], 0
	v_mov_b64_e32 v[4:5], s[0:1]
	s_movk_i32 s34, 0x7f
	s_movk_i32 s35, 0x80
	s_mov_b32 s42, 0x8000
	s_movk_i32 s43, 0x380
	s_mov_b32 s47, 0x3020706
	s_mov_b32 s48, 0x1000504
	;; [unrolled: 1-line block ×3, first 2 shown]
	v_mov_b32_e32 v27, 0x1c00
	s_branch .LBB221_49
.LBB221_46:                             ;   in Loop: Header=BB221_49 Depth=1
	s_or_b64 exec, exec, s[20:21]
	;;#ASMSTART
	v_pk_mul_f16 v16, v29, v17;

	;;#ASMEND
	;;#ASMSTART
	v_pk_mul_f16 v8, v28, v8;

	;;#ASMEND
	;; [unrolled: 4-line block ×4, first 2 shown]
	s_nop 0
	;;#ASMSTART
	v_pk_add_f16 v8, v16, v8;

	;;#ASMEND
	s_nop 0
	;;#ASMSTART
	v_pk_add_f16 v8, v8, v15;

	;;#ASMEND
	;; [unrolled: 5-line block ×3, first 2 shown]
	s_nop 0
	v_lshrrev_b32_e32 v14, 16, v8
	v_and_b32_e32 v8, 0xffff, v8
	;;#ASMSTART
	v_cvt_f32_f16 v8, v8;
	;;#ASMEND
	;;#ASMSTART
	v_cvt_f32_f16 v14, v14;
	;;#ASMEND
	s_nop 0
	v_add_f32_e32 v8, v8, v14
	v_add_f32_e32 v5, v5, v8
.LBB221_47:                             ;   in Loop: Header=BB221_49 Depth=1
	s_or_b64 exec, exec, s[18:19]
.LBB221_48:                             ;   in Loop: Header=BB221_49 Depth=1
	s_or_b64 exec, exec, s[16:17]
	v_add_u32_e32 v1, 2, v1
	v_cmp_le_i32_e64 s[0:1], s46, v1
	v_lshl_add_u64 v[12:13], v[12:13], 0, 8
	v_add_u32_e32 v3, 16, v3
	s_or_b64 s[12:13], s[0:1], s[12:13]
	v_add_u32_e32 v26, 64, v26
	s_andn2_b64 exec, exec, s[12:13]
	s_cbranch_execz .LBB221_183
.LBB221_49:                             ; =>This Inner Loop Header: Depth=1
	v_mul_hi_u32 v8, v3, s44
	v_mul_lo_u32 v14, v8, s33
	v_sub_u32_e32 v14, v3, v14
	v_add_u32_e32 v15, 1, v8
	v_cmp_le_u32_e64 s[0:1], s33, v14
	s_nop 1
	v_cndmask_b32_e64 v8, v8, v15, s[0:1]
	v_subrev_u32_e32 v15, s33, v14
	v_cndmask_b32_e64 v14, v14, v15, s[0:1]
	v_add_u32_e32 v15, 1, v8
	v_cmp_le_u32_e64 s[0:1], s33, v14
	s_nop 1
	v_cndmask_b32_e64 v8, v8, v15, s[0:1]
	v_xor_b32_e32 v8, s45, v8
	v_subrev_u32_e32 v8, s45, v8
	v_add_u32_e32 v14, s38, v8
	v_sub_u32_e32 v16, 0, v14
	v_ashrrev_i32_e32 v15, 31, v14
	v_max_i32_e32 v14, v14, v16
	v_mul_hi_u32 v16, v14, v25
	v_mul_lo_u32 v16, v16, s37
	v_sub_u32_e32 v14, v14, v16
	v_subrev_u32_e32 v16, s37, v14
	v_cmp_le_u32_e64 s[0:1], s37, v14
	v_cmp_lt_i32_e64 s[2:3], s39, v8
	s_nop 0
	v_cndmask_b32_e64 v14, v14, v16, s[0:1]
	v_subrev_u32_e32 v16, s37, v14
	v_cmp_le_u32_e64 s[0:1], s37, v14
	s_nop 1
	v_cndmask_b32_e64 v14, v14, v16, s[0:1]
	v_xor_b32_e32 v14, v14, v15
	v_sub_u32_e32 v14, v14, v15
	v_cmp_eq_u32_e64 s[0:1], 0, v14
	s_or_b64 s[0:1], s[0:1], s[2:3]
	s_and_saveexec_b64 s[16:17], s[0:1]
	s_cbranch_execz .LBB221_48
; %bb.50:                               ;   in Loop: Header=BB221_49 Depth=1
	ds_read2_b64 v[18:21], v26 offset1:1
	ds_read2_b64 v[32:35], v26 offset0:2 offset1:3
	v_mov_b64_e32 v[14:15], s[10:11]
                                        ; implicit-def: $sgpr20
	s_waitcnt lgkmcnt(1)
	;;#ASMSTART
	v_cvt_f16_f32 v17, v18;

	;;#ASMEND
	;;#ASMSTART
	v_cvt_f16_f32 v28, v19;

	;;#ASMEND
	;; [unrolled: 4-line block ×4, first 2 shown]
	s_waitcnt lgkmcnt(0)
	;;#ASMSTART
	v_cvt_f16_f32 v32, v32;

	;;#ASMEND
	;;#ASMSTART
	v_cvt_f16_f32 v33, v33;

	;;#ASMEND
	;; [unrolled: 4-line block ×4, first 2 shown]
	global_load_dword v8, v[12:13], off
	s_waitcnt vmcnt(0)
	v_mad_i64_i32 v[14:15], s[0:1], v8, s40, v[14:15]
	v_lshl_add_u64 v[20:21], v[14:15], 0, v[6:7]
	global_load_dwordx2 v[18:19], v[20:21], off
	global_load_dword v16, v9, s[14:15]
	s_mov_b64 s[0:1], 0
	s_waitcnt vmcnt(1)
	v_cmp_gt_i16_sdwa s[2:3], v18, s34 src0_sel:BYTE_0 src1_sel:DWORD
	s_and_saveexec_b64 s[18:19], s[2:3]
	s_xor_b64 s[2:3], exec, s[18:19]
	s_cbranch_execnz .LBB221_119
; %bb.51:                               ;   in Loop: Header=BB221_49 Depth=1
	s_or_saveexec_b64 s[2:3], s[2:3]
	v_mov_b32_e32 v20, s20
	s_xor_b64 exec, exec, s[2:3]
	s_cbranch_execnz .LBB221_122
.LBB221_52:                             ;   in Loop: Header=BB221_49 Depth=1
	s_or_b64 exec, exec, s[2:3]
	s_and_saveexec_b64 s[2:3], s[0:1]
	s_cbranch_execz .LBB221_54
.LBB221_53:                             ;   in Loop: Header=BB221_49 Depth=1
	v_and_b32_e32 v8, 7, v18
	v_ffbh_u32_e32 v8, v8
	v_bfe_u32 v20, v18, 3, 4
	v_min_u32_e32 v8, 32, v8
	v_subrev_u32_e32 v21, 28, v8
	v_sub_u32_e32 v8, 29, v8
	v_cmp_eq_u32_e64 s[0:1], 0, v20
	s_nop 1
	v_cndmask_b32_e64 v8, v20, v8, s[0:1]
	v_cndmask_b32_e64 v20, 0, v21, s[0:1]
	v_lshlrev_b64 v[20:21], v20, v[18:19]
	v_lshlrev_b32_e32 v21, 8, v18
	v_lshl_add_u32 v8, v8, 10, v27
	v_lshlrev_b32_e32 v20, 7, v20
	v_and_or_b32 v8, v21, s42, v8
	v_and_or_b32 v8, v20, s43, v8
	v_cvt_f32_f16_e32 v20, v8
.LBB221_54:                             ;   in Loop: Header=BB221_49 Depth=1
	s_or_b64 exec, exec, s[2:3]
	v_lshrrev_b16_e32 v8, 8, v18
	v_cmp_lt_i16_e64 s[0:1], s34, v8
	s_mov_b64 s[2:3], 0
                                        ; implicit-def: $sgpr22
	s_and_saveexec_b64 s[18:19], s[0:1]
	s_xor_b64 s[18:19], exec, s[18:19]
	s_cbranch_execnz .LBB221_123
; %bb.55:                               ;   in Loop: Header=BB221_49 Depth=1
	s_or_saveexec_b64 s[18:19], s[18:19]
	v_mov_b32_e32 v22, s22
	s_xor_b64 exec, exec, s[18:19]
	s_cbranch_execnz .LBB221_126
.LBB221_56:                             ;   in Loop: Header=BB221_49 Depth=1
	s_or_b64 exec, exec, s[18:19]
	s_and_saveexec_b64 s[18:19], s[2:3]
	s_cbranch_execz .LBB221_58
.LBB221_57:                             ;   in Loop: Header=BB221_49 Depth=1
	v_and_b32_e32 v21, 7, v8
	v_ffbh_u32_e32 v22, v21
	v_min_u32_e32 v36, 32, v22
	v_subrev_u32_e32 v22, 28, v36
	v_bfe_u32 v29, v8, 3, 4
	v_lshlrev_b64 v[22:23], v22, v[8:9]
	v_sub_u32_e32 v23, 29, v36
	v_cmp_eq_u32_e64 s[0:1], 0, v29
	v_and_b32_e32 v22, 7, v22
	v_lshlrev_b32_e32 v8, 8, v8
	v_cndmask_b32_e64 v23, v29, v23, s[0:1]
	v_cndmask_b32_e64 v21, v21, v22, s[0:1]
	v_lshl_add_u32 v22, v23, 10, v27
	v_and_or_b32 v8, v8, s42, v22
	v_lshl_or_b32 v8, v21, 7, v8
	v_cvt_f32_f16_e32 v22, v8
.LBB221_58:                             ;   in Loop: Header=BB221_49 Depth=1
	s_or_b64 exec, exec, s[18:19]
	v_lshrrev_b32_e32 v8, 16, v18
	v_cmp_gt_i16_sdwa s[2:3], v8, s34 src0_sel:BYTE_0 src1_sel:DWORD
	s_mov_b64 s[0:1], 0
                                        ; implicit-def: $sgpr20
	s_and_saveexec_b64 s[18:19], s[2:3]
	s_xor_b64 s[2:3], exec, s[18:19]
	s_cbranch_execnz .LBB221_127
; %bb.59:                               ;   in Loop: Header=BB221_49 Depth=1
	s_or_saveexec_b64 s[2:3], s[2:3]
	v_mov_b32_e32 v21, s20
	s_xor_b64 exec, exec, s[2:3]
	s_cbranch_execnz .LBB221_130
.LBB221_60:                             ;   in Loop: Header=BB221_49 Depth=1
	s_or_b64 exec, exec, s[2:3]
	s_and_saveexec_b64 s[2:3], s[0:1]
	s_cbranch_execz .LBB221_62
.LBB221_61:                             ;   in Loop: Header=BB221_49 Depth=1
	v_bfe_u32 v21, v18, 16, 3
	v_ffbh_u32_e32 v29, v21
	v_bfe_u32 v23, v18, 19, 4
	v_min_u32_e32 v29, 32, v29
	v_subrev_u32_e32 v36, 28, v29
	v_sub_u32_e32 v29, 29, v29
	v_cmp_eq_u32_e64 s[0:1], 0, v23
	v_lshlrev_b64 v[36:37], v36, v[8:9]
	v_and_b32_e32 v36, 7, v36
	v_cndmask_b32_e64 v23, v23, v29, s[0:1]
	v_lshlrev_b32_e32 v8, 8, v8
	v_lshl_add_u32 v23, v23, 10, v27
	v_cndmask_b32_e64 v21, v21, v36, s[0:1]
	v_and_or_b32 v8, v8, s42, v23
	v_lshl_or_b32 v8, v21, 7, v8
	v_cvt_f32_f16_e32 v21, v8
.LBB221_62:                             ;   in Loop: Header=BB221_49 Depth=1
	s_or_b64 exec, exec, s[2:3]
	v_lshrrev_b32_e32 v8, 24, v18
	v_cmp_lt_i16_e64 s[0:1], s34, v8
	s_mov_b64 s[2:3], 0
                                        ; implicit-def: $sgpr22
	s_and_saveexec_b64 s[18:19], s[0:1]
	s_xor_b64 s[18:19], exec, s[18:19]
	s_cbranch_execnz .LBB221_131
; %bb.63:                               ;   in Loop: Header=BB221_49 Depth=1
	s_or_saveexec_b64 s[18:19], s[18:19]
	v_mov_b32_e32 v23, s22
	s_xor_b64 exec, exec, s[18:19]
	s_cbranch_execnz .LBB221_134
.LBB221_64:                             ;   in Loop: Header=BB221_49 Depth=1
	s_or_b64 exec, exec, s[18:19]
	s_and_saveexec_b64 s[18:19], s[2:3]
	s_cbranch_execz .LBB221_66
.LBB221_65:                             ;   in Loop: Header=BB221_49 Depth=1
	v_bfe_u32 v23, v18, 24, 3
	v_ffbh_u32_e32 v29, v23
	v_bfe_u32 v18, v18, 27, 4
	v_min_u32_e32 v29, 32, v29
	v_subrev_u32_e32 v36, 28, v29
	v_sub_u32_e32 v29, 29, v29
	v_cmp_eq_u32_e64 s[0:1], 0, v18
	v_lshlrev_b64 v[36:37], v36, v[8:9]
	v_and_b32_e32 v36, 7, v36
	v_cndmask_b32_e64 v18, v18, v29, s[0:1]
	v_lshlrev_b32_e32 v8, 8, v8
	v_lshl_add_u32 v18, v18, 10, v27
	v_cndmask_b32_e64 v23, v23, v36, s[0:1]
	v_and_or_b32 v8, v8, s42, v18
	v_lshl_or_b32 v8, v23, 7, v8
	v_cvt_f32_f16_e32 v23, v8
.LBB221_66:                             ;   in Loop: Header=BB221_49 Depth=1
	s_or_b64 exec, exec, s[18:19]
	v_cmp_gt_i16_sdwa s[2:3], v19, s34 src0_sel:BYTE_0 src1_sel:DWORD
	s_mov_b64 s[0:1], 0
                                        ; implicit-def: $sgpr20
	s_and_saveexec_b64 s[18:19], s[2:3]
	s_xor_b64 s[2:3], exec, s[18:19]
	s_cbranch_execnz .LBB221_135
; %bb.67:                               ;   in Loop: Header=BB221_49 Depth=1
	s_or_saveexec_b64 s[2:3], s[2:3]
	v_mov_b32_e32 v18, s20
	s_xor_b64 exec, exec, s[2:3]
	s_cbranch_execnz .LBB221_138
.LBB221_68:                             ;   in Loop: Header=BB221_49 Depth=1
	s_or_b64 exec, exec, s[2:3]
	v_mov_b32_e32 v8, v19
	s_and_saveexec_b64 s[2:3], s[0:1]
	s_cbranch_execz .LBB221_70
.LBB221_69:                             ;   in Loop: Header=BB221_49 Depth=1
	v_and_b32_e32 v18, 7, v19
	v_ffbh_u32_e32 v18, v18
	v_bfe_u32 v29, v19, 3, 4
	v_min_u32_e32 v18, 32, v18
	v_subrev_u32_e32 v36, 28, v18
	v_sub_u32_e32 v18, 29, v18
	v_cmp_eq_u32_e64 s[0:1], 0, v29
	s_nop 1
	v_cndmask_b32_e64 v18, v29, v18, s[0:1]
	v_cndmask_b32_e64 v29, 0, v36, s[0:1]
	v_lshlrev_b64 v[36:37], v29, v[8:9]
	v_lshlrev_b32_e32 v29, 7, v36
	v_lshlrev_b32_e32 v36, 8, v19
	v_lshl_add_u32 v18, v18, 10, v27
	v_and_or_b32 v18, v36, s42, v18
	v_and_or_b32 v18, v29, s43, v18
	v_cvt_f32_f16_e32 v18, v18
.LBB221_70:                             ;   in Loop: Header=BB221_49 Depth=1
	s_or_b64 exec, exec, s[2:3]
	v_lshrrev_b16_e32 v8, 8, v8
	v_cmp_lt_i16_e64 s[0:1], s34, v8
	s_mov_b64 s[2:3], 0
                                        ; implicit-def: $sgpr22
	s_and_saveexec_b64 s[18:19], s[0:1]
	s_xor_b64 s[18:19], exec, s[18:19]
	s_cbranch_execnz .LBB221_139
; %bb.71:                               ;   in Loop: Header=BB221_49 Depth=1
	s_or_saveexec_b64 s[18:19], s[18:19]
	v_mov_b32_e32 v29, s22
	s_xor_b64 exec, exec, s[18:19]
	s_cbranch_execnz .LBB221_142
.LBB221_72:                             ;   in Loop: Header=BB221_49 Depth=1
	s_or_b64 exec, exec, s[18:19]
	s_and_saveexec_b64 s[18:19], s[2:3]
	s_cbranch_execz .LBB221_74
.LBB221_73:                             ;   in Loop: Header=BB221_49 Depth=1
	v_and_b32_e32 v29, 7, v8
	v_ffbh_u32_e32 v36, v29
	v_min_u32_e32 v39, 32, v36
	v_subrev_u32_e32 v36, 28, v39
	v_bfe_u32 v38, v8, 3, 4
	v_lshlrev_b64 v[36:37], v36, v[8:9]
	v_sub_u32_e32 v37, 29, v39
	v_cmp_eq_u32_e64 s[0:1], 0, v38
	v_and_b32_e32 v36, 7, v36
	v_lshlrev_b32_e32 v8, 8, v8
	v_cndmask_b32_e64 v37, v38, v37, s[0:1]
	v_cndmask_b32_e64 v29, v29, v36, s[0:1]
	v_lshl_add_u32 v36, v37, 10, v27
	v_and_or_b32 v8, v8, s42, v36
	v_lshl_or_b32 v8, v29, 7, v8
	v_cvt_f32_f16_e32 v29, v8
.LBB221_74:                             ;   in Loop: Header=BB221_49 Depth=1
	s_or_b64 exec, exec, s[18:19]
	v_lshrrev_b32_e32 v8, 16, v19
	v_cmp_gt_i16_sdwa s[2:3], v8, s34 src0_sel:BYTE_0 src1_sel:DWORD
	s_mov_b64 s[0:1], 0
                                        ; implicit-def: $sgpr20
	s_and_saveexec_b64 s[18:19], s[2:3]
	s_xor_b64 s[2:3], exec, s[18:19]
	s_cbranch_execnz .LBB221_143
; %bb.75:                               ;   in Loop: Header=BB221_49 Depth=1
	s_or_saveexec_b64 s[2:3], s[2:3]
	v_mov_b32_e32 v36, s20
	s_xor_b64 exec, exec, s[2:3]
	s_cbranch_execnz .LBB221_146
.LBB221_76:                             ;   in Loop: Header=BB221_49 Depth=1
	s_or_b64 exec, exec, s[2:3]
	s_and_saveexec_b64 s[2:3], s[0:1]
	s_cbranch_execz .LBB221_78
.LBB221_77:                             ;   in Loop: Header=BB221_49 Depth=1
	v_bfe_u32 v38, v19, 16, 3
	v_ffbh_u32_e32 v36, v38
	v_min_u32_e32 v40, 32, v36
	v_subrev_u32_e32 v36, 28, v40
	v_bfe_u32 v39, v19, 19, 4
	v_lshlrev_b64 v[36:37], v36, v[8:9]
	v_sub_u32_e32 v37, 29, v40
	v_cmp_eq_u32_e64 s[0:1], 0, v39
	v_and_b32_e32 v36, 7, v36
	v_lshlrev_b32_e32 v8, 8, v8
	v_cndmask_b32_e64 v37, v39, v37, s[0:1]
	v_lshl_add_u32 v37, v37, 10, v27
	v_cndmask_b32_e64 v36, v38, v36, s[0:1]
	v_and_or_b32 v8, v8, s42, v37
	v_lshl_or_b32 v8, v36, 7, v8
	v_cvt_f32_f16_e32 v36, v8
.LBB221_78:                             ;   in Loop: Header=BB221_49 Depth=1
	s_or_b64 exec, exec, s[2:3]
	v_lshrrev_b32_e32 v8, 24, v19
	v_cmp_lt_i16_e64 s[0:1], s34, v8
	s_mov_b64 s[2:3], 0
                                        ; implicit-def: $sgpr22
	s_and_saveexec_b64 s[18:19], s[0:1]
	s_xor_b64 s[18:19], exec, s[18:19]
	s_cbranch_execnz .LBB221_147
; %bb.79:                               ;   in Loop: Header=BB221_49 Depth=1
	s_or_saveexec_b64 s[18:19], s[18:19]
	v_mov_b32_e32 v37, s22
	s_xor_b64 exec, exec, s[18:19]
	s_cbranch_execnz .LBB221_150
.LBB221_80:                             ;   in Loop: Header=BB221_49 Depth=1
	s_or_b64 exec, exec, s[18:19]
	s_and_saveexec_b64 s[18:19], s[2:3]
	s_cbranch_execz .LBB221_82
.LBB221_81:                             ;   in Loop: Header=BB221_49 Depth=1
	v_bfe_u32 v37, v19, 24, 3
	v_ffbh_u32_e32 v38, v37
	v_min_u32_e32 v40, 32, v38
	v_subrev_u32_e32 v38, 28, v40
	v_bfe_u32 v19, v19, 27, 4
	v_lshlrev_b64 v[38:39], v38, v[8:9]
	v_sub_u32_e32 v39, 29, v40
	v_cmp_eq_u32_e64 s[0:1], 0, v19
	v_and_b32_e32 v38, 7, v38
	v_lshlrev_b32_e32 v8, 8, v8
	v_cndmask_b32_e64 v19, v19, v39, s[0:1]
	v_lshl_add_u32 v19, v19, 10, v27
	v_cndmask_b32_e64 v37, v37, v38, s[0:1]
	v_and_or_b32 v8, v8, s42, v19
	v_lshl_or_b32 v8, v37, 7, v8
	v_cvt_f32_f16_e32 v37, v8
.LBB221_82:                             ;   in Loop: Header=BB221_49 Depth=1
	s_or_b64 exec, exec, s[18:19]
	s_waitcnt vmcnt(0)
	v_pk_mul_f32 v[22:23], v[16:17], v[22:23] op_sel_hi:[0,1]
	v_pk_mul_f32 v[20:21], v[16:17], v[20:21] op_sel_hi:[0,1]
	v_cvt_f16_f32_e32 v8, v23
	v_cvt_f16_f32_e32 v19, v22
	;; [unrolled: 1-line block ×4, first 2 shown]
	v_fma_mixlo_f16 v18, v16, v18, 0
	v_pack_b32_f16 v19, v19, v8
	v_cmp_eq_u32_e64 s[2:3], s36, v1
	v_pack_b32_f16 v20, v20, v21
	v_perm_b32 v8, v20, v19, s47
	v_perm_b32 v19, v20, v19, s48
	v_fma_mixlo_f16 v20, v16, v29, 0
	v_lshlrev_b32_e32 v20, 16, v20
	v_or_b32_sdwa v18, v20, v18 dst_sel:DWORD dst_unused:UNUSED_PAD src0_sel:DWORD src1_sel:WORD_0
	v_fma_mixlo_f16 v20, v16, v36, 0
	v_fma_mixlo_f16 v16, v16, v37, 0
	v_lshlrev_b32_e32 v16, 16, v16
	v_or_b32_sdwa v16, v16, v20 dst_sel:DWORD dst_unused:UNUSED_PAD src0_sel:DWORD src1_sel:WORD_0
	s_and_saveexec_b64 s[18:19], s[2:3]
	s_cbranch_execz .LBB221_84
; %bb.83:                               ;   in Loop: Header=BB221_49 Depth=1
	v_add_u32_e32 v21, 1, v3
	v_lshrrev_b32_e32 v22, 16, v19
	v_cmp_gt_i32_e64 s[0:1], s41, v21
	v_lshrrev_b32_e32 v23, 16, v8
	v_lshrrev_b32_e32 v16, 16, v16
	v_cndmask_b32_e64 v21, 0, v22, s[0:1]
	v_cmp_gt_i32_e64 s[0:1], s25, v3
	v_or_b32_e32 v22, 2, v3
	s_nop 0
	v_cndmask_b32_e64 v19, 0, v19, s[0:1]
	v_perm_b32 v19, v21, v19, s49
	v_or_b32_e32 v21, 3, v3
	v_cmp_gt_i32_e64 s[0:1], s41, v21
	s_nop 1
	v_cndmask_b32_e64 v21, 0, v23, s[0:1]
	v_cmp_gt_i32_e64 s[0:1], s25, v22
	v_or_b32_e32 v22, 4, v3
	v_lshrrev_b32_e32 v23, 16, v18
	v_cndmask_b32_e64 v8, 0, v8, s[0:1]
	v_perm_b32 v8, v21, v8, s49
	v_or_b32_e32 v21, 5, v3
	v_cmp_gt_i32_e64 s[0:1], s41, v21
	s_nop 1
	v_cndmask_b32_e64 v21, 0, v23, s[0:1]
	v_cmp_gt_i32_e64 s[0:1], s25, v22
	v_or_b32_e32 v22, 6, v3
	s_nop 0
	v_cndmask_b32_e64 v18, 0, v18, s[0:1]
	v_perm_b32 v18, v21, v18, s49
	v_or_b32_e32 v21, 7, v3
	v_cmp_gt_i32_e64 s[0:1], s41, v21
	s_nop 1
	v_cndmask_b32_e64 v16, 0, v16, s[0:1]
	v_cmp_gt_i32_e64 s[0:1], s25, v22
	s_nop 1
	v_cndmask_b32_e64 v20, 0, v20, s[0:1]
	v_perm_b32 v16, v16, v20, s49
.LBB221_84:                             ;   in Loop: Header=BB221_49 Depth=1
	s_or_b64 exec, exec, s[18:19]
	v_and_b32_e32 v17, 0xffff, v17
	v_lshl_or_b32 v29, v28, 16, v17
	v_and_b32_e32 v17, 0xffff, v30
	v_lshl_or_b32 v28, v31, 16, v17
	;; [unrolled: 2-line block ×4, first 2 shown]
	;;#ASMSTART
	v_pk_mul_f16 v17, v29, v19;

	;;#ASMEND
	;;#ASMSTART
	v_pk_mul_f16 v8, v28, v8;

	;;#ASMEND
	;;#ASMSTART
	v_pk_mul_f16 v18, v23, v18;

	;;#ASMEND
	;;#ASMSTART
	v_pk_mul_f16 v16, v22, v16;

	;;#ASMEND
	s_nop 0
	;;#ASMSTART
	v_pk_add_f16 v8, v17, v8;

	;;#ASMEND
	s_nop 0
	;;#ASMSTART
	v_pk_add_f16 v8, v8, v18;

	;;#ASMEND
	;; [unrolled: 5-line block ×3, first 2 shown]
	s_nop 0
	v_lshrrev_b32_e32 v16, 16, v8
	v_and_b32_e32 v8, 0xffff, v8
	;;#ASMSTART
	v_cvt_f32_f16 v8, v8;
	;;#ASMEND
	;;#ASMSTART
	v_cvt_f32_f16 v16, v16;
	;;#ASMEND
	s_nop 0
	v_add_f32_e32 v8, v8, v16
	v_add_f32_e32 v4, v4, v8
	s_and_saveexec_b64 s[18:19], vcc
	s_cbranch_execz .LBB221_47
; %bb.85:                               ;   in Loop: Header=BB221_49 Depth=1
	v_lshl_add_u64 v[18:19], v[14:15], 0, v[10:11]
	global_load_dwordx2 v[16:17], v[18:19], off
	global_load_dword v14, v9, s[14:15]
	s_mov_b64 s[0:1], 0
                                        ; implicit-def: $sgpr30
	s_waitcnt vmcnt(1)
	v_cmp_gt_i16_sdwa s[20:21], v16, s34 src0_sel:BYTE_0 src1_sel:DWORD
	s_and_saveexec_b64 s[22:23], s[20:21]
	s_xor_b64 s[20:21], exec, s[22:23]
	s_cbranch_execnz .LBB221_151
; %bb.86:                               ;   in Loop: Header=BB221_49 Depth=1
	s_or_saveexec_b64 s[20:21], s[20:21]
	v_mov_b32_e32 v18, s30
	s_xor_b64 exec, exec, s[20:21]
	s_cbranch_execnz .LBB221_154
.LBB221_87:                             ;   in Loop: Header=BB221_49 Depth=1
	s_or_b64 exec, exec, s[20:21]
	s_and_saveexec_b64 s[20:21], s[0:1]
	s_cbranch_execz .LBB221_89
.LBB221_88:                             ;   in Loop: Header=BB221_49 Depth=1
	v_and_b32_e32 v8, 7, v16
	v_ffbh_u32_e32 v8, v8
	v_bfe_u32 v15, v16, 3, 4
	v_min_u32_e32 v8, 32, v8
	v_subrev_u32_e32 v18, 28, v8
	v_sub_u32_e32 v8, 29, v8
	v_cmp_eq_u32_e64 s[0:1], 0, v15
	s_nop 1
	v_cndmask_b32_e64 v8, v15, v8, s[0:1]
	v_cndmask_b32_e64 v15, 0, v18, s[0:1]
	v_lshlrev_b64 v[18:19], v15, v[16:17]
	v_lshlrev_b32_e32 v15, 7, v18
	v_lshlrev_b32_e32 v18, 8, v16
	v_lshl_add_u32 v8, v8, 10, v27
	v_and_or_b32 v8, v18, s42, v8
	v_and_or_b32 v8, v15, s43, v8
	v_cvt_f32_f16_e32 v18, v8
.LBB221_89:                             ;   in Loop: Header=BB221_49 Depth=1
	s_or_b64 exec, exec, s[20:21]
	v_lshrrev_b16_e32 v8, 8, v16
	v_cmp_lt_i16_e64 s[0:1], s34, v8
	s_mov_b64 s[20:21], 0
                                        ; implicit-def: $sgpr50
	s_and_saveexec_b64 s[22:23], s[0:1]
	s_xor_b64 s[22:23], exec, s[22:23]
	s_cbranch_execnz .LBB221_155
; %bb.90:                               ;   in Loop: Header=BB221_49 Depth=1
	s_or_saveexec_b64 s[22:23], s[22:23]
	v_mov_b32_e32 v20, s50
	s_xor_b64 exec, exec, s[22:23]
	s_cbranch_execnz .LBB221_158
.LBB221_91:                             ;   in Loop: Header=BB221_49 Depth=1
	s_or_b64 exec, exec, s[22:23]
	s_and_saveexec_b64 s[22:23], s[20:21]
	s_cbranch_execz .LBB221_93
.LBB221_92:                             ;   in Loop: Header=BB221_49 Depth=1
	v_and_b32_e32 v15, 7, v8
	v_ffbh_u32_e32 v20, v15
	v_min_u32_e32 v30, 32, v20
	v_subrev_u32_e32 v20, 28, v30
	v_bfe_u32 v19, v8, 3, 4
	v_lshlrev_b64 v[20:21], v20, v[8:9]
	v_sub_u32_e32 v21, 29, v30
	v_cmp_eq_u32_e64 s[0:1], 0, v19
	v_and_b32_e32 v20, 7, v20
	v_lshlrev_b32_e32 v8, 8, v8
	v_cndmask_b32_e64 v19, v19, v21, s[0:1]
	v_lshl_add_u32 v19, v19, 10, v27
	v_cndmask_b32_e64 v15, v15, v20, s[0:1]
	v_and_or_b32 v8, v8, s42, v19
	v_lshl_or_b32 v8, v15, 7, v8
	v_cvt_f32_f16_e32 v20, v8
.LBB221_93:                             ;   in Loop: Header=BB221_49 Depth=1
	s_or_b64 exec, exec, s[22:23]
	v_lshrrev_b32_e32 v8, 16, v16
	v_cmp_gt_i16_sdwa s[20:21], v8, s34 src0_sel:BYTE_0 src1_sel:DWORD
	s_mov_b64 s[0:1], 0
                                        ; implicit-def: $sgpr30
	s_and_saveexec_b64 s[22:23], s[20:21]
	s_xor_b64 s[20:21], exec, s[22:23]
	s_cbranch_execnz .LBB221_159
; %bb.94:                               ;   in Loop: Header=BB221_49 Depth=1
	s_or_saveexec_b64 s[20:21], s[20:21]
	v_mov_b32_e32 v19, s30
	s_xor_b64 exec, exec, s[20:21]
	s_cbranch_execnz .LBB221_162
.LBB221_95:                             ;   in Loop: Header=BB221_49 Depth=1
	s_or_b64 exec, exec, s[20:21]
	s_and_saveexec_b64 s[20:21], s[0:1]
	s_cbranch_execz .LBB221_97
.LBB221_96:                             ;   in Loop: Header=BB221_49 Depth=1
	v_bfe_u32 v15, v16, 16, 3
	v_ffbh_u32_e32 v21, v15
	v_bfe_u32 v19, v16, 19, 4
	v_min_u32_e32 v21, 32, v21
	v_subrev_u32_e32 v30, 28, v21
	v_sub_u32_e32 v21, 29, v21
	v_cmp_eq_u32_e64 s[0:1], 0, v19
	v_lshlrev_b64 v[30:31], v30, v[8:9]
	v_and_b32_e32 v30, 7, v30
	v_cndmask_b32_e64 v19, v19, v21, s[0:1]
	v_lshlrev_b32_e32 v8, 8, v8
	v_lshl_add_u32 v19, v19, 10, v27
	v_cndmask_b32_e64 v15, v15, v30, s[0:1]
	v_and_or_b32 v8, v8, s42, v19
	v_lshl_or_b32 v8, v15, 7, v8
	v_cvt_f32_f16_e32 v19, v8
.LBB221_97:                             ;   in Loop: Header=BB221_49 Depth=1
	s_or_b64 exec, exec, s[20:21]
	v_lshrrev_b32_e32 v8, 24, v16
	v_cmp_lt_i16_e64 s[0:1], s34, v8
	s_mov_b64 s[20:21], 0
                                        ; implicit-def: $sgpr50
	s_and_saveexec_b64 s[22:23], s[0:1]
	s_xor_b64 s[22:23], exec, s[22:23]
	s_cbranch_execnz .LBB221_163
; %bb.98:                               ;   in Loop: Header=BB221_49 Depth=1
	s_or_saveexec_b64 s[22:23], s[22:23]
	v_mov_b32_e32 v21, s50
	s_xor_b64 exec, exec, s[22:23]
	s_cbranch_execnz .LBB221_166
.LBB221_99:                             ;   in Loop: Header=BB221_49 Depth=1
	s_or_b64 exec, exec, s[22:23]
	s_and_saveexec_b64 s[22:23], s[20:21]
	s_cbranch_execz .LBB221_101
.LBB221_100:                            ;   in Loop: Header=BB221_49 Depth=1
	v_bfe_u32 v15, v16, 24, 3
	v_ffbh_u32_e32 v21, v15
	v_bfe_u32 v16, v16, 27, 4
	v_min_u32_e32 v21, 32, v21
	v_subrev_u32_e32 v30, 28, v21
	v_sub_u32_e32 v21, 29, v21
	v_cmp_eq_u32_e64 s[0:1], 0, v16
	v_lshlrev_b64 v[30:31], v30, v[8:9]
	v_and_b32_e32 v30, 7, v30
	v_cndmask_b32_e64 v16, v16, v21, s[0:1]
	v_lshlrev_b32_e32 v8, 8, v8
	v_lshl_add_u32 v16, v16, 10, v27
	v_cndmask_b32_e64 v15, v15, v30, s[0:1]
	v_and_or_b32 v8, v8, s42, v16
	v_lshl_or_b32 v8, v15, 7, v8
	v_cvt_f32_f16_e32 v21, v8
.LBB221_101:                            ;   in Loop: Header=BB221_49 Depth=1
	s_or_b64 exec, exec, s[22:23]
	v_cmp_gt_i16_sdwa s[20:21], v17, s34 src0_sel:BYTE_0 src1_sel:DWORD
	s_mov_b64 s[0:1], 0
                                        ; implicit-def: $sgpr30
	s_and_saveexec_b64 s[22:23], s[20:21]
	s_xor_b64 s[20:21], exec, s[22:23]
	s_cbranch_execnz .LBB221_167
; %bb.102:                              ;   in Loop: Header=BB221_49 Depth=1
	s_or_saveexec_b64 s[20:21], s[20:21]
	v_mov_b32_e32 v15, s30
	s_xor_b64 exec, exec, s[20:21]
	s_cbranch_execnz .LBB221_170
.LBB221_103:                            ;   in Loop: Header=BB221_49 Depth=1
	s_or_b64 exec, exec, s[20:21]
	v_mov_b32_e32 v8, v17
	s_and_saveexec_b64 s[20:21], s[0:1]
	s_cbranch_execz .LBB221_105
.LBB221_104:                            ;   in Loop: Header=BB221_49 Depth=1
	v_and_b32_e32 v15, 7, v17
	v_ffbh_u32_e32 v15, v15
	v_bfe_u32 v16, v17, 3, 4
	v_min_u32_e32 v15, 32, v15
	v_subrev_u32_e32 v30, 28, v15
	v_sub_u32_e32 v15, 29, v15
	v_cmp_eq_u32_e64 s[0:1], 0, v16
	s_nop 1
	v_cndmask_b32_e64 v15, v16, v15, s[0:1]
	v_cndmask_b32_e64 v16, 0, v30, s[0:1]
	v_lshlrev_b64 v[30:31], v16, v[8:9]
	v_lshlrev_b32_e32 v16, 7, v30
	v_lshlrev_b32_e32 v30, 8, v17
	v_lshl_add_u32 v15, v15, 10, v27
	v_and_or_b32 v15, v30, s42, v15
	v_and_or_b32 v15, v16, s43, v15
	v_cvt_f32_f16_e32 v15, v15
.LBB221_105:                            ;   in Loop: Header=BB221_49 Depth=1
	s_or_b64 exec, exec, s[20:21]
	v_lshrrev_b16_e32 v8, 8, v8
	v_cmp_lt_i16_e64 s[0:1], s34, v8
	s_mov_b64 s[20:21], 0
                                        ; implicit-def: $sgpr50
	s_and_saveexec_b64 s[22:23], s[0:1]
	s_xor_b64 s[22:23], exec, s[22:23]
	s_cbranch_execnz .LBB221_171
; %bb.106:                              ;   in Loop: Header=BB221_49 Depth=1
	s_or_saveexec_b64 s[22:23], s[22:23]
	v_mov_b32_e32 v16, s50
	s_xor_b64 exec, exec, s[22:23]
	s_cbranch_execnz .LBB221_174
.LBB221_107:                            ;   in Loop: Header=BB221_49 Depth=1
	s_or_b64 exec, exec, s[22:23]
	s_and_saveexec_b64 s[22:23], s[20:21]
	s_cbranch_execz .LBB221_109
.LBB221_108:                            ;   in Loop: Header=BB221_49 Depth=1
	v_and_b32_e32 v16, 7, v8
	v_ffbh_u32_e32 v30, v16
	v_min_u32_e32 v33, 32, v30
	v_subrev_u32_e32 v30, 28, v33
	v_bfe_u32 v32, v8, 3, 4
	v_lshlrev_b64 v[30:31], v30, v[8:9]
	v_sub_u32_e32 v31, 29, v33
	v_cmp_eq_u32_e64 s[0:1], 0, v32
	v_and_b32_e32 v30, 7, v30
	v_lshlrev_b32_e32 v8, 8, v8
	v_cndmask_b32_e64 v31, v32, v31, s[0:1]
	v_cndmask_b32_e64 v16, v16, v30, s[0:1]
	v_lshl_add_u32 v30, v31, 10, v27
	v_and_or_b32 v8, v8, s42, v30
	v_lshl_or_b32 v8, v16, 7, v8
	v_cvt_f32_f16_e32 v16, v8
.LBB221_109:                            ;   in Loop: Header=BB221_49 Depth=1
	s_or_b64 exec, exec, s[22:23]
	v_lshrrev_b32_e32 v8, 16, v17
	v_cmp_gt_i16_sdwa s[20:21], v8, s34 src0_sel:BYTE_0 src1_sel:DWORD
	s_mov_b64 s[0:1], 0
                                        ; implicit-def: $sgpr30
	s_and_saveexec_b64 s[22:23], s[20:21]
	s_xor_b64 s[20:21], exec, s[22:23]
	s_cbranch_execnz .LBB221_175
; %bb.110:                              ;   in Loop: Header=BB221_49 Depth=1
	s_or_saveexec_b64 s[20:21], s[20:21]
	v_mov_b32_e32 v30, s30
	s_xor_b64 exec, exec, s[20:21]
	s_cbranch_execnz .LBB221_178
.LBB221_111:                            ;   in Loop: Header=BB221_49 Depth=1
	s_or_b64 exec, exec, s[20:21]
	s_and_saveexec_b64 s[20:21], s[0:1]
	s_cbranch_execz .LBB221_113
.LBB221_112:                            ;   in Loop: Header=BB221_49 Depth=1
	v_bfe_u32 v32, v17, 16, 3
	v_ffbh_u32_e32 v30, v32
	v_min_u32_e32 v34, 32, v30
	v_subrev_u32_e32 v30, 28, v34
	v_bfe_u32 v33, v17, 19, 4
	v_lshlrev_b64 v[30:31], v30, v[8:9]
	v_sub_u32_e32 v31, 29, v34
	v_cmp_eq_u32_e64 s[0:1], 0, v33
	v_and_b32_e32 v30, 7, v30
	v_lshlrev_b32_e32 v8, 8, v8
	v_cndmask_b32_e64 v31, v33, v31, s[0:1]
	v_lshl_add_u32 v31, v31, 10, v27
	v_cndmask_b32_e64 v30, v32, v30, s[0:1]
	v_and_or_b32 v8, v8, s42, v31
	v_lshl_or_b32 v8, v30, 7, v8
	v_cvt_f32_f16_e32 v30, v8
.LBB221_113:                            ;   in Loop: Header=BB221_49 Depth=1
	s_or_b64 exec, exec, s[20:21]
	v_lshrrev_b32_e32 v8, 24, v17
	v_cmp_lt_i16_e64 s[0:1], s34, v8
	s_mov_b64 s[20:21], 0
                                        ; implicit-def: $sgpr50
	s_and_saveexec_b64 s[22:23], s[0:1]
	s_xor_b64 s[22:23], exec, s[22:23]
	s_cbranch_execnz .LBB221_179
; %bb.114:                              ;   in Loop: Header=BB221_49 Depth=1
	s_or_saveexec_b64 s[22:23], s[22:23]
	v_mov_b32_e32 v31, s50
	s_xor_b64 exec, exec, s[22:23]
	s_cbranch_execnz .LBB221_182
.LBB221_115:                            ;   in Loop: Header=BB221_49 Depth=1
	s_or_b64 exec, exec, s[22:23]
	s_and_saveexec_b64 s[22:23], s[20:21]
	s_cbranch_execz .LBB221_117
.LBB221_116:                            ;   in Loop: Header=BB221_49 Depth=1
	v_bfe_u32 v31, v17, 24, 3
	v_ffbh_u32_e32 v32, v31
	v_min_u32_e32 v34, 32, v32
	v_subrev_u32_e32 v32, 28, v34
	v_bfe_u32 v17, v17, 27, 4
	v_lshlrev_b64 v[32:33], v32, v[8:9]
	v_sub_u32_e32 v33, 29, v34
	v_cmp_eq_u32_e64 s[0:1], 0, v17
	v_and_b32_e32 v32, 7, v32
	v_lshlrev_b32_e32 v8, 8, v8
	v_cndmask_b32_e64 v17, v17, v33, s[0:1]
	v_lshl_add_u32 v17, v17, 10, v27
	v_cndmask_b32_e64 v31, v31, v32, s[0:1]
	v_and_or_b32 v8, v8, s42, v17
	v_lshl_or_b32 v8, v31, 7, v8
	v_cvt_f32_f16_e32 v31, v8
.LBB221_117:                            ;   in Loop: Header=BB221_49 Depth=1
	s_or_b64 exec, exec, s[22:23]
	s_waitcnt vmcnt(0)
	v_pk_mul_f32 v[20:21], v[14:15], v[20:21] op_sel_hi:[0,1]
	v_pk_mul_f32 v[18:19], v[14:15], v[18:19] op_sel_hi:[0,1]
	v_cvt_f16_f32_e32 v8, v21
	v_cvt_f16_f32_e32 v17, v20
	v_cvt_f16_f32_e32 v19, v19
	v_cvt_f16_f32_e32 v18, v18
	v_fma_mixlo_f16 v16, v14, v16, 0
	v_lshlrev_b32_e32 v16, 16, v16
	v_fma_mixlo_f16 v15, v14, v15, 0
	v_or_b32_sdwa v15, v16, v15 dst_sel:DWORD dst_unused:UNUSED_PAD src0_sel:DWORD src1_sel:WORD_0
	v_fma_mixlo_f16 v16, v14, v30, 0
	v_fma_mixlo_f16 v14, v14, v31, 0
	v_pack_b32_f16 v17, v17, v8
	v_pack_b32_f16 v18, v18, v19
	v_lshlrev_b32_e32 v14, 16, v14
	v_perm_b32 v8, v18, v17, s47
	v_perm_b32 v17, v18, v17, s48
	v_or_b32_sdwa v14, v14, v16 dst_sel:DWORD dst_unused:UNUSED_PAD src0_sel:DWORD src1_sel:WORD_0
	s_and_saveexec_b64 s[20:21], s[2:3]
	s_cbranch_execz .LBB221_46
; %bb.118:                              ;   in Loop: Header=BB221_49 Depth=1
	v_add_u32_e32 v18, 1, v3
	v_lshrrev_b32_e32 v19, 16, v17
	v_cmp_gt_i32_e64 s[0:1], s41, v18
	v_lshrrev_b32_e32 v20, 16, v8
	v_lshrrev_b32_e32 v14, 16, v14
	v_cndmask_b32_e64 v18, 0, v19, s[0:1]
	v_cmp_gt_i32_e64 s[0:1], s25, v3
	v_or_b32_e32 v19, 2, v3
	s_nop 0
	v_cndmask_b32_e64 v17, 0, v17, s[0:1]
	v_perm_b32 v17, v18, v17, s49
	v_or_b32_e32 v18, 3, v3
	v_cmp_gt_i32_e64 s[0:1], s41, v18
	s_nop 1
	v_cndmask_b32_e64 v18, 0, v20, s[0:1]
	v_cmp_gt_i32_e64 s[0:1], s25, v19
	v_or_b32_e32 v19, 4, v3
	v_lshrrev_b32_e32 v20, 16, v15
	v_cndmask_b32_e64 v8, 0, v8, s[0:1]
	v_perm_b32 v8, v18, v8, s49
	v_or_b32_e32 v18, 5, v3
	v_cmp_gt_i32_e64 s[0:1], s41, v18
	s_nop 1
	v_cndmask_b32_e64 v18, 0, v20, s[0:1]
	v_cmp_gt_i32_e64 s[0:1], s25, v19
	v_or_b32_e32 v19, 6, v3
	s_nop 0
	v_cndmask_b32_e64 v15, 0, v15, s[0:1]
	v_perm_b32 v15, v18, v15, s49
	v_or_b32_e32 v18, 7, v3
	v_cmp_gt_i32_e64 s[0:1], s41, v18
	s_nop 1
	v_cndmask_b32_e64 v14, 0, v14, s[0:1]
	v_cmp_gt_i32_e64 s[0:1], s25, v19
	s_nop 1
	v_cndmask_b32_e64 v16, 0, v16, s[0:1]
	v_perm_b32 v14, v14, v16, s49
	s_branch .LBB221_46
.LBB221_119:                            ;   in Loop: Header=BB221_49 Depth=1
	v_cmp_eq_u16_sdwa s[22:23], v18, s35 src0_sel:BYTE_0 src1_sel:DWORD
	s_mov_b64 s[0:1], -1
                                        ; implicit-def: $sgpr20
	s_and_saveexec_b64 s[18:19], s[22:23]
; %bb.120:                              ;   in Loop: Header=BB221_49 Depth=1
	s_mov_b32 s20, 0x7fc02000
	s_xor_b64 s[0:1], exec, -1
; %bb.121:                              ;   in Loop: Header=BB221_49 Depth=1
	s_or_b64 exec, exec, s[18:19]
	s_and_b64 s[0:1], s[0:1], exec
	s_or_saveexec_b64 s[2:3], s[2:3]
	v_mov_b32_e32 v20, s20
	s_xor_b64 exec, exec, s[2:3]
	s_cbranch_execz .LBB221_52
.LBB221_122:                            ;   in Loop: Header=BB221_49 Depth=1
	v_cmp_ne_u16_sdwa s[18:19], v18, v9 src0_sel:BYTE_0 src1_sel:DWORD
	s_andn2_b64 s[0:1], s[0:1], exec
	s_and_b64 s[18:19], s[18:19], exec
	v_mov_b32_e32 v20, 0
	s_or_b64 s[0:1], s[0:1], s[18:19]
	s_or_b64 exec, exec, s[2:3]
	s_and_saveexec_b64 s[2:3], s[0:1]
	s_cbranch_execnz .LBB221_53
	s_branch .LBB221_54
.LBB221_123:                            ;   in Loop: Header=BB221_49 Depth=1
	v_cmp_eq_u16_e64 s[0:1], s35, v8
	s_mov_b64 s[2:3], -1
                                        ; implicit-def: $sgpr22
	s_and_saveexec_b64 s[20:21], s[0:1]
; %bb.124:                              ;   in Loop: Header=BB221_49 Depth=1
	s_mov_b32 s22, 0x7fc02000
	s_xor_b64 s[2:3], exec, -1
; %bb.125:                              ;   in Loop: Header=BB221_49 Depth=1
	s_or_b64 exec, exec, s[20:21]
	s_and_b64 s[2:3], s[2:3], exec
	s_or_saveexec_b64 s[18:19], s[18:19]
	v_mov_b32_e32 v22, s22
	s_xor_b64 exec, exec, s[18:19]
	s_cbranch_execz .LBB221_56
.LBB221_126:                            ;   in Loop: Header=BB221_49 Depth=1
	v_cmp_ne_u16_e64 s[0:1], 0, v8
	s_andn2_b64 s[2:3], s[2:3], exec
	s_and_b64 s[0:1], s[0:1], exec
	v_mov_b32_e32 v22, 0
	s_or_b64 s[2:3], s[2:3], s[0:1]
	s_or_b64 exec, exec, s[18:19]
	s_and_saveexec_b64 s[18:19], s[2:3]
	s_cbranch_execnz .LBB221_57
	s_branch .LBB221_58
.LBB221_127:                            ;   in Loop: Header=BB221_49 Depth=1
	v_cmp_eq_u16_sdwa s[22:23], v8, s35 src0_sel:BYTE_0 src1_sel:DWORD
	s_mov_b64 s[0:1], -1
                                        ; implicit-def: $sgpr20
	s_and_saveexec_b64 s[18:19], s[22:23]
; %bb.128:                              ;   in Loop: Header=BB221_49 Depth=1
	s_mov_b32 s20, 0x7fc02000
	s_xor_b64 s[0:1], exec, -1
; %bb.129:                              ;   in Loop: Header=BB221_49 Depth=1
	s_or_b64 exec, exec, s[18:19]
	s_and_b64 s[0:1], s[0:1], exec
	s_or_saveexec_b64 s[2:3], s[2:3]
	v_mov_b32_e32 v21, s20
	s_xor_b64 exec, exec, s[2:3]
	s_cbranch_execz .LBB221_60
.LBB221_130:                            ;   in Loop: Header=BB221_49 Depth=1
	v_cmp_ne_u16_sdwa s[18:19], v8, v9 src0_sel:BYTE_0 src1_sel:DWORD
	s_andn2_b64 s[0:1], s[0:1], exec
	s_and_b64 s[18:19], s[18:19], exec
	v_mov_b32_e32 v21, 0
	s_or_b64 s[0:1], s[0:1], s[18:19]
	s_or_b64 exec, exec, s[2:3]
	s_and_saveexec_b64 s[2:3], s[0:1]
	s_cbranch_execnz .LBB221_61
	s_branch .LBB221_62
.LBB221_131:                            ;   in Loop: Header=BB221_49 Depth=1
	v_cmp_eq_u16_e64 s[0:1], s35, v8
	s_mov_b64 s[2:3], -1
                                        ; implicit-def: $sgpr22
	s_and_saveexec_b64 s[20:21], s[0:1]
; %bb.132:                              ;   in Loop: Header=BB221_49 Depth=1
	s_mov_b32 s22, 0x7fc02000
	s_xor_b64 s[2:3], exec, -1
; %bb.133:                              ;   in Loop: Header=BB221_49 Depth=1
	s_or_b64 exec, exec, s[20:21]
	s_and_b64 s[2:3], s[2:3], exec
	s_or_saveexec_b64 s[18:19], s[18:19]
	v_mov_b32_e32 v23, s22
	s_xor_b64 exec, exec, s[18:19]
	s_cbranch_execz .LBB221_64
.LBB221_134:                            ;   in Loop: Header=BB221_49 Depth=1
	v_cmp_ne_u16_e64 s[0:1], 0, v8
	s_andn2_b64 s[2:3], s[2:3], exec
	s_and_b64 s[0:1], s[0:1], exec
	v_mov_b32_e32 v23, 0
	s_or_b64 s[2:3], s[2:3], s[0:1]
	s_or_b64 exec, exec, s[18:19]
	s_and_saveexec_b64 s[18:19], s[2:3]
	s_cbranch_execnz .LBB221_65
	s_branch .LBB221_66
.LBB221_135:                            ;   in Loop: Header=BB221_49 Depth=1
	v_cmp_eq_u16_sdwa s[22:23], v19, s35 src0_sel:BYTE_0 src1_sel:DWORD
	s_mov_b64 s[0:1], -1
                                        ; implicit-def: $sgpr20
	s_and_saveexec_b64 s[18:19], s[22:23]
; %bb.136:                              ;   in Loop: Header=BB221_49 Depth=1
	s_mov_b32 s20, 0x7fc02000
	s_xor_b64 s[0:1], exec, -1
; %bb.137:                              ;   in Loop: Header=BB221_49 Depth=1
	s_or_b64 exec, exec, s[18:19]
	s_and_b64 s[0:1], s[0:1], exec
	s_or_saveexec_b64 s[2:3], s[2:3]
	v_mov_b32_e32 v18, s20
	s_xor_b64 exec, exec, s[2:3]
	s_cbranch_execz .LBB221_68
.LBB221_138:                            ;   in Loop: Header=BB221_49 Depth=1
	v_cmp_ne_u16_sdwa s[18:19], v19, v9 src0_sel:BYTE_0 src1_sel:DWORD
	s_andn2_b64 s[0:1], s[0:1], exec
	s_and_b64 s[18:19], s[18:19], exec
	v_mov_b32_e32 v18, 0
	s_or_b64 s[0:1], s[0:1], s[18:19]
	s_or_b64 exec, exec, s[2:3]
	v_mov_b32_e32 v8, v19
	s_and_saveexec_b64 s[2:3], s[0:1]
	s_cbranch_execnz .LBB221_69
	s_branch .LBB221_70
.LBB221_139:                            ;   in Loop: Header=BB221_49 Depth=1
	v_cmp_eq_u16_e64 s[0:1], s35, v8
	s_mov_b64 s[2:3], -1
                                        ; implicit-def: $sgpr22
	s_and_saveexec_b64 s[20:21], s[0:1]
; %bb.140:                              ;   in Loop: Header=BB221_49 Depth=1
	s_mov_b32 s22, 0x7fc02000
	s_xor_b64 s[2:3], exec, -1
; %bb.141:                              ;   in Loop: Header=BB221_49 Depth=1
	s_or_b64 exec, exec, s[20:21]
	s_and_b64 s[2:3], s[2:3], exec
	s_or_saveexec_b64 s[18:19], s[18:19]
	v_mov_b32_e32 v29, s22
	s_xor_b64 exec, exec, s[18:19]
	s_cbranch_execz .LBB221_72
.LBB221_142:                            ;   in Loop: Header=BB221_49 Depth=1
	v_cmp_ne_u16_e64 s[0:1], 0, v8
	s_andn2_b64 s[2:3], s[2:3], exec
	s_and_b64 s[0:1], s[0:1], exec
	v_mov_b32_e32 v29, 0
	s_or_b64 s[2:3], s[2:3], s[0:1]
	s_or_b64 exec, exec, s[18:19]
	s_and_saveexec_b64 s[18:19], s[2:3]
	s_cbranch_execnz .LBB221_73
	s_branch .LBB221_74
.LBB221_143:                            ;   in Loop: Header=BB221_49 Depth=1
	v_cmp_eq_u16_sdwa s[22:23], v8, s35 src0_sel:BYTE_0 src1_sel:DWORD
	s_mov_b64 s[0:1], -1
                                        ; implicit-def: $sgpr20
	s_and_saveexec_b64 s[18:19], s[22:23]
; %bb.144:                              ;   in Loop: Header=BB221_49 Depth=1
	s_mov_b32 s20, 0x7fc02000
	s_xor_b64 s[0:1], exec, -1
; %bb.145:                              ;   in Loop: Header=BB221_49 Depth=1
	s_or_b64 exec, exec, s[18:19]
	s_and_b64 s[0:1], s[0:1], exec
	s_or_saveexec_b64 s[2:3], s[2:3]
	v_mov_b32_e32 v36, s20
	s_xor_b64 exec, exec, s[2:3]
	s_cbranch_execz .LBB221_76
.LBB221_146:                            ;   in Loop: Header=BB221_49 Depth=1
	v_cmp_ne_u16_sdwa s[18:19], v8, v9 src0_sel:BYTE_0 src1_sel:DWORD
	s_andn2_b64 s[0:1], s[0:1], exec
	s_and_b64 s[18:19], s[18:19], exec
	v_mov_b32_e32 v36, 0
	s_or_b64 s[0:1], s[0:1], s[18:19]
	s_or_b64 exec, exec, s[2:3]
	s_and_saveexec_b64 s[2:3], s[0:1]
	s_cbranch_execnz .LBB221_77
	s_branch .LBB221_78
.LBB221_147:                            ;   in Loop: Header=BB221_49 Depth=1
	v_cmp_eq_u16_e64 s[0:1], s35, v8
	s_mov_b64 s[2:3], -1
                                        ; implicit-def: $sgpr22
	s_and_saveexec_b64 s[20:21], s[0:1]
; %bb.148:                              ;   in Loop: Header=BB221_49 Depth=1
	s_mov_b32 s22, 0x7fc02000
	s_xor_b64 s[2:3], exec, -1
; %bb.149:                              ;   in Loop: Header=BB221_49 Depth=1
	s_or_b64 exec, exec, s[20:21]
	s_and_b64 s[2:3], s[2:3], exec
	s_or_saveexec_b64 s[18:19], s[18:19]
	v_mov_b32_e32 v37, s22
	s_xor_b64 exec, exec, s[18:19]
	s_cbranch_execz .LBB221_80
.LBB221_150:                            ;   in Loop: Header=BB221_49 Depth=1
	v_cmp_ne_u16_e64 s[0:1], 0, v8
	s_andn2_b64 s[2:3], s[2:3], exec
	s_and_b64 s[0:1], s[0:1], exec
	v_mov_b32_e32 v37, 0
	s_or_b64 s[2:3], s[2:3], s[0:1]
	s_or_b64 exec, exec, s[18:19]
	s_and_saveexec_b64 s[18:19], s[2:3]
	s_cbranch_execnz .LBB221_81
	s_branch .LBB221_82
.LBB221_151:                            ;   in Loop: Header=BB221_49 Depth=1
	v_cmp_eq_u16_sdwa s[50:51], v16, s35 src0_sel:BYTE_0 src1_sel:DWORD
	s_mov_b64 s[0:1], -1
                                        ; implicit-def: $sgpr30
	s_and_saveexec_b64 s[22:23], s[50:51]
; %bb.152:                              ;   in Loop: Header=BB221_49 Depth=1
	s_mov_b32 s30, 0x7fc02000
	s_xor_b64 s[0:1], exec, -1
; %bb.153:                              ;   in Loop: Header=BB221_49 Depth=1
	s_or_b64 exec, exec, s[22:23]
	s_and_b64 s[0:1], s[0:1], exec
	s_or_saveexec_b64 s[20:21], s[20:21]
	v_mov_b32_e32 v18, s30
	s_xor_b64 exec, exec, s[20:21]
	s_cbranch_execz .LBB221_87
.LBB221_154:                            ;   in Loop: Header=BB221_49 Depth=1
	v_cmp_ne_u16_sdwa s[22:23], v16, v9 src0_sel:BYTE_0 src1_sel:DWORD
	s_andn2_b64 s[0:1], s[0:1], exec
	s_and_b64 s[22:23], s[22:23], exec
	v_mov_b32_e32 v18, 0
	s_or_b64 s[0:1], s[0:1], s[22:23]
	s_or_b64 exec, exec, s[20:21]
	s_and_saveexec_b64 s[20:21], s[0:1]
	s_cbranch_execnz .LBB221_88
	s_branch .LBB221_89
.LBB221_155:                            ;   in Loop: Header=BB221_49 Depth=1
	v_cmp_eq_u16_e64 s[0:1], s35, v8
	s_mov_b64 s[20:21], -1
                                        ; implicit-def: $sgpr50
	s_and_saveexec_b64 s[30:31], s[0:1]
; %bb.156:                              ;   in Loop: Header=BB221_49 Depth=1
	s_mov_b32 s50, 0x7fc02000
	s_xor_b64 s[20:21], exec, -1
; %bb.157:                              ;   in Loop: Header=BB221_49 Depth=1
	s_or_b64 exec, exec, s[30:31]
	s_and_b64 s[20:21], s[20:21], exec
	s_or_saveexec_b64 s[22:23], s[22:23]
	v_mov_b32_e32 v20, s50
	s_xor_b64 exec, exec, s[22:23]
	s_cbranch_execz .LBB221_91
.LBB221_158:                            ;   in Loop: Header=BB221_49 Depth=1
	v_cmp_ne_u16_e64 s[0:1], 0, v8
	s_andn2_b64 s[20:21], s[20:21], exec
	s_and_b64 s[0:1], s[0:1], exec
	v_mov_b32_e32 v20, 0
	s_or_b64 s[20:21], s[20:21], s[0:1]
	s_or_b64 exec, exec, s[22:23]
	s_and_saveexec_b64 s[22:23], s[20:21]
	s_cbranch_execnz .LBB221_92
	s_branch .LBB221_93
.LBB221_159:                            ;   in Loop: Header=BB221_49 Depth=1
	v_cmp_eq_u16_sdwa s[50:51], v8, s35 src0_sel:BYTE_0 src1_sel:DWORD
	s_mov_b64 s[0:1], -1
                                        ; implicit-def: $sgpr30
	s_and_saveexec_b64 s[22:23], s[50:51]
; %bb.160:                              ;   in Loop: Header=BB221_49 Depth=1
	s_mov_b32 s30, 0x7fc02000
	s_xor_b64 s[0:1], exec, -1
; %bb.161:                              ;   in Loop: Header=BB221_49 Depth=1
	s_or_b64 exec, exec, s[22:23]
	s_and_b64 s[0:1], s[0:1], exec
	s_or_saveexec_b64 s[20:21], s[20:21]
	v_mov_b32_e32 v19, s30
	s_xor_b64 exec, exec, s[20:21]
	s_cbranch_execz .LBB221_95
.LBB221_162:                            ;   in Loop: Header=BB221_49 Depth=1
	v_cmp_ne_u16_sdwa s[22:23], v8, v9 src0_sel:BYTE_0 src1_sel:DWORD
	s_andn2_b64 s[0:1], s[0:1], exec
	s_and_b64 s[22:23], s[22:23], exec
	v_mov_b32_e32 v19, 0
	s_or_b64 s[0:1], s[0:1], s[22:23]
	s_or_b64 exec, exec, s[20:21]
	s_and_saveexec_b64 s[20:21], s[0:1]
	s_cbranch_execnz .LBB221_96
	s_branch .LBB221_97
.LBB221_163:                            ;   in Loop: Header=BB221_49 Depth=1
	v_cmp_eq_u16_e64 s[0:1], s35, v8
	s_mov_b64 s[20:21], -1
                                        ; implicit-def: $sgpr50
	s_and_saveexec_b64 s[30:31], s[0:1]
; %bb.164:                              ;   in Loop: Header=BB221_49 Depth=1
	s_mov_b32 s50, 0x7fc02000
	s_xor_b64 s[20:21], exec, -1
; %bb.165:                              ;   in Loop: Header=BB221_49 Depth=1
	s_or_b64 exec, exec, s[30:31]
	s_and_b64 s[20:21], s[20:21], exec
	s_or_saveexec_b64 s[22:23], s[22:23]
	v_mov_b32_e32 v21, s50
	s_xor_b64 exec, exec, s[22:23]
	s_cbranch_execz .LBB221_99
.LBB221_166:                            ;   in Loop: Header=BB221_49 Depth=1
	v_cmp_ne_u16_e64 s[0:1], 0, v8
	s_andn2_b64 s[20:21], s[20:21], exec
	s_and_b64 s[0:1], s[0:1], exec
	v_mov_b32_e32 v21, 0
	s_or_b64 s[20:21], s[20:21], s[0:1]
	s_or_b64 exec, exec, s[22:23]
	s_and_saveexec_b64 s[22:23], s[20:21]
	s_cbranch_execnz .LBB221_100
	s_branch .LBB221_101
.LBB221_167:                            ;   in Loop: Header=BB221_49 Depth=1
	v_cmp_eq_u16_sdwa s[50:51], v17, s35 src0_sel:BYTE_0 src1_sel:DWORD
	s_mov_b64 s[0:1], -1
                                        ; implicit-def: $sgpr30
	s_and_saveexec_b64 s[22:23], s[50:51]
; %bb.168:                              ;   in Loop: Header=BB221_49 Depth=1
	s_mov_b32 s30, 0x7fc02000
	s_xor_b64 s[0:1], exec, -1
; %bb.169:                              ;   in Loop: Header=BB221_49 Depth=1
	s_or_b64 exec, exec, s[22:23]
	s_and_b64 s[0:1], s[0:1], exec
	s_or_saveexec_b64 s[20:21], s[20:21]
	v_mov_b32_e32 v15, s30
	s_xor_b64 exec, exec, s[20:21]
	s_cbranch_execz .LBB221_103
.LBB221_170:                            ;   in Loop: Header=BB221_49 Depth=1
	v_cmp_ne_u16_sdwa s[22:23], v17, v9 src0_sel:BYTE_0 src1_sel:DWORD
	s_andn2_b64 s[0:1], s[0:1], exec
	s_and_b64 s[22:23], s[22:23], exec
	v_mov_b32_e32 v15, 0
	s_or_b64 s[0:1], s[0:1], s[22:23]
	s_or_b64 exec, exec, s[20:21]
	v_mov_b32_e32 v8, v17
	s_and_saveexec_b64 s[20:21], s[0:1]
	s_cbranch_execnz .LBB221_104
	s_branch .LBB221_105
.LBB221_171:                            ;   in Loop: Header=BB221_49 Depth=1
	v_cmp_eq_u16_e64 s[0:1], s35, v8
	s_mov_b64 s[20:21], -1
                                        ; implicit-def: $sgpr50
	s_and_saveexec_b64 s[30:31], s[0:1]
; %bb.172:                              ;   in Loop: Header=BB221_49 Depth=1
	s_mov_b32 s50, 0x7fc02000
	s_xor_b64 s[20:21], exec, -1
; %bb.173:                              ;   in Loop: Header=BB221_49 Depth=1
	s_or_b64 exec, exec, s[30:31]
	s_and_b64 s[20:21], s[20:21], exec
	s_or_saveexec_b64 s[22:23], s[22:23]
	v_mov_b32_e32 v16, s50
	s_xor_b64 exec, exec, s[22:23]
	s_cbranch_execz .LBB221_107
.LBB221_174:                            ;   in Loop: Header=BB221_49 Depth=1
	v_cmp_ne_u16_e64 s[0:1], 0, v8
	s_andn2_b64 s[20:21], s[20:21], exec
	s_and_b64 s[0:1], s[0:1], exec
	v_mov_b32_e32 v16, 0
	s_or_b64 s[20:21], s[20:21], s[0:1]
	s_or_b64 exec, exec, s[22:23]
	s_and_saveexec_b64 s[22:23], s[20:21]
	s_cbranch_execnz .LBB221_108
	s_branch .LBB221_109
.LBB221_175:                            ;   in Loop: Header=BB221_49 Depth=1
	v_cmp_eq_u16_sdwa s[50:51], v8, s35 src0_sel:BYTE_0 src1_sel:DWORD
	s_mov_b64 s[0:1], -1
                                        ; implicit-def: $sgpr30
	s_and_saveexec_b64 s[22:23], s[50:51]
; %bb.176:                              ;   in Loop: Header=BB221_49 Depth=1
	s_mov_b32 s30, 0x7fc02000
	s_xor_b64 s[0:1], exec, -1
; %bb.177:                              ;   in Loop: Header=BB221_49 Depth=1
	s_or_b64 exec, exec, s[22:23]
	s_and_b64 s[0:1], s[0:1], exec
	s_or_saveexec_b64 s[20:21], s[20:21]
	v_mov_b32_e32 v30, s30
	s_xor_b64 exec, exec, s[20:21]
	s_cbranch_execz .LBB221_111
.LBB221_178:                            ;   in Loop: Header=BB221_49 Depth=1
	v_cmp_ne_u16_sdwa s[22:23], v8, v9 src0_sel:BYTE_0 src1_sel:DWORD
	s_andn2_b64 s[0:1], s[0:1], exec
	s_and_b64 s[22:23], s[22:23], exec
	v_mov_b32_e32 v30, 0
	s_or_b64 s[0:1], s[0:1], s[22:23]
	s_or_b64 exec, exec, s[20:21]
	s_and_saveexec_b64 s[20:21], s[0:1]
	s_cbranch_execnz .LBB221_112
	s_branch .LBB221_113
.LBB221_179:                            ;   in Loop: Header=BB221_49 Depth=1
	v_cmp_eq_u16_e64 s[0:1], s35, v8
	s_mov_b64 s[20:21], -1
                                        ; implicit-def: $sgpr50
	s_and_saveexec_b64 s[30:31], s[0:1]
; %bb.180:                              ;   in Loop: Header=BB221_49 Depth=1
	s_mov_b32 s50, 0x7fc02000
	s_xor_b64 s[20:21], exec, -1
; %bb.181:                              ;   in Loop: Header=BB221_49 Depth=1
	s_or_b64 exec, exec, s[30:31]
	s_and_b64 s[20:21], s[20:21], exec
	s_or_saveexec_b64 s[22:23], s[22:23]
	v_mov_b32_e32 v31, s50
	s_xor_b64 exec, exec, s[22:23]
	s_cbranch_execz .LBB221_115
.LBB221_182:                            ;   in Loop: Header=BB221_49 Depth=1
	v_cmp_ne_u16_e64 s[0:1], 0, v8
	s_andn2_b64 s[20:21], s[20:21], exec
	s_and_b64 s[0:1], s[0:1], exec
	v_mov_b32_e32 v31, 0
	s_or_b64 s[20:21], s[20:21], s[0:1]
	s_or_b64 exec, exec, s[22:23]
	s_and_saveexec_b64 s[22:23], s[20:21]
	s_cbranch_execnz .LBB221_116
	s_branch .LBB221_117
.LBB221_183:
	s_or_b64 exec, exec, s[12:13]
.LBB221_184:
	s_or_b64 exec, exec, s[8:9]
	v_and_b32_e32 v1, 0x3c0, v0
	v_cmp_eq_u32_e32 vcc, 64, v1
	s_barrier
	s_and_saveexec_b64 s[0:1], vcc
	s_cbranch_execz .LBB221_187
; %bb.185:
	v_mov_b32_e32 v1, 0xd0
	v_lshl_add_u32 v3, v24, 2, v1
	ds_write_b32 v3, v4
	s_and_b64 exec, exec, s[6:7]
	s_cbranch_execz .LBB221_187
; %bb.186:
	v_lshl_add_u32 v1, v0, 2, v1
	ds_write_b32 v1, v5
.LBB221_187:
	s_or_b64 exec, exec, s[0:1]
	v_cmp_gt_u32_e32 vcc, 64, v0
	v_or_b32_e32 v1, 64, v0
	s_waitcnt lgkmcnt(0)
	s_barrier
	s_and_saveexec_b64 s[2:3], vcc
	s_cbranch_execz .LBB221_191
; %bb.188:
	v_mov_b32_e32 v3, 0xd0
	v_lshl_add_u32 v0, v0, 2, v3
	ds_read_b32 v3, v0
	s_movk_i32 s0, 0x60
	v_cmp_gt_u32_e64 s[0:1], s0, v1
	s_waitcnt lgkmcnt(0)
	v_add_f32_e32 v4, v4, v3
	s_and_saveexec_b64 s[6:7], s[0:1]
	s_cbranch_execz .LBB221_190
; %bb.189:
	ds_read_b32 v0, v0 offset:256
	s_waitcnt lgkmcnt(0)
	v_add_f32_e32 v5, v5, v0
.LBB221_190:
	s_or_b64 exec, exec, s[6:7]
.LBB221_191:
	s_or_b64 exec, exec, s[2:3]
	s_barrier
	s_and_saveexec_b64 s[0:1], vcc
	s_cbranch_execz .LBB221_194
; %bb.192:
	s_mul_i32 s0, s24, s27
	s_mul_i32 s0, s0, s5
	s_mulk_i32 s0, 0x60
	s_ashr_i32 s1, s0, 31
	s_lshl_b64 s[0:1], s[0:1], 1
	s_add_u32 s3, s28, s0
	s_mul_i32 s0, s27, s26
	s_addc_u32 s5, s29, s1
	s_ashr_i32 s1, s0, 31
	s_lshl_b64 s[0:1], s[0:1], 1
	s_add_u32 s3, s3, s0
	s_mul_i32 s0, s4, 0x60
	s_addc_u32 s5, s5, s1
	s_ashr_i32 s1, s0, 31
	s_lshl_b64 s[0:1], s[0:1], 1
	s_movk_i32 s2, 0x60
	s_add_u32 s0, s3, s0
	s_addc_u32 s1, s5, s1
	v_cmp_gt_u32_e32 vcc, s2, v1
	;;#ASMSTART
	v_cvt_f16_f32 v0, v4;

	;;#ASMEND
	global_store_short v2, v0, s[0:1]
	s_and_b64 exec, exec, vcc
	s_cbranch_execz .LBB221_194
; %bb.193:
	v_mov_b32_e32 v3, 0
	v_lshl_add_u64 v[0:1], s[0:1], 0, v[2:3]
	;;#ASMSTART
	v_cvt_f16_f32 v2, v5;

	;;#ASMEND
	global_store_short v[0:1], v2, off offset:128
.LBB221_194:
	s_endpgm
	.section	.rodata,"a",@progbits
	.p2align	6, 0x0
	.amdhsa_kernel _ZN4vllm25paged_attention_v1_kernelIthLi96ELi8ELi128ELNS_18Fp8KVCacheDataTypeE1ELb1EEEvPT_PKS2_PKT0_S8_ifPKiSA_iPKfiiiSC_SC_iiiii
		.amdhsa_group_segment_fixed_size 208
		.amdhsa_private_segment_fixed_size 0
		.amdhsa_kernarg_size 384
		.amdhsa_user_sgpr_count 2
		.amdhsa_user_sgpr_dispatch_ptr 0
		.amdhsa_user_sgpr_queue_ptr 0
		.amdhsa_user_sgpr_kernarg_segment_ptr 1
		.amdhsa_user_sgpr_dispatch_id 0
		.amdhsa_user_sgpr_kernarg_preload_length 0
		.amdhsa_user_sgpr_kernarg_preload_offset 0
		.amdhsa_user_sgpr_private_segment_size 0
		.amdhsa_uses_dynamic_stack 0
		.amdhsa_enable_private_segment 0
		.amdhsa_system_sgpr_workgroup_id_x 1
		.amdhsa_system_sgpr_workgroup_id_y 1
		.amdhsa_system_sgpr_workgroup_id_z 1
		.amdhsa_system_sgpr_workgroup_info 0
		.amdhsa_system_vgpr_workitem_id 0
		.amdhsa_next_free_vgpr 49
		.amdhsa_next_free_sgpr 52
		.amdhsa_accum_offset 52
		.amdhsa_reserve_vcc 1
		.amdhsa_float_round_mode_32 0
		.amdhsa_float_round_mode_16_64 0
		.amdhsa_float_denorm_mode_32 3
		.amdhsa_float_denorm_mode_16_64 3
		.amdhsa_dx10_clamp 1
		.amdhsa_ieee_mode 1
		.amdhsa_fp16_overflow 0
		.amdhsa_tg_split 0
		.amdhsa_exception_fp_ieee_invalid_op 0
		.amdhsa_exception_fp_denorm_src 0
		.amdhsa_exception_fp_ieee_div_zero 0
		.amdhsa_exception_fp_ieee_overflow 0
		.amdhsa_exception_fp_ieee_underflow 0
		.amdhsa_exception_fp_ieee_inexact 0
		.amdhsa_exception_int_div_zero 0
	.end_amdhsa_kernel
	.section	.text._ZN4vllm25paged_attention_v1_kernelIthLi96ELi8ELi128ELNS_18Fp8KVCacheDataTypeE1ELb1EEEvPT_PKS2_PKT0_S8_ifPKiSA_iPKfiiiSC_SC_iiiii,"axG",@progbits,_ZN4vllm25paged_attention_v1_kernelIthLi96ELi8ELi128ELNS_18Fp8KVCacheDataTypeE1ELb1EEEvPT_PKS2_PKT0_S8_ifPKiSA_iPKfiiiSC_SC_iiiii,comdat
.Lfunc_end221:
	.size	_ZN4vllm25paged_attention_v1_kernelIthLi96ELi8ELi128ELNS_18Fp8KVCacheDataTypeE1ELb1EEEvPT_PKS2_PKT0_S8_ifPKiSA_iPKfiiiSC_SC_iiiii, .Lfunc_end221-_ZN4vllm25paged_attention_v1_kernelIthLi96ELi8ELi128ELNS_18Fp8KVCacheDataTypeE1ELb1EEEvPT_PKS2_PKT0_S8_ifPKiSA_iPKfiiiSC_SC_iiiii
                                        ; -- End function
	.section	.AMDGPU.csdata,"",@progbits
; Kernel info:
; codeLenInByte = 9748
; NumSgprs: 58
; NumVgprs: 49
; NumAgprs: 0
; TotalNumVgprs: 49
; ScratchSize: 0
; MemoryBound: 0
; FloatMode: 240
; IeeeMode: 1
; LDSByteSize: 208 bytes/workgroup (compile time only)
; SGPRBlocks: 7
; VGPRBlocks: 6
; NumSGPRsForWavesPerEU: 58
; NumVGPRsForWavesPerEU: 49
; AccumOffset: 52
; Occupancy: 8
; WaveLimiterHint : 1
; COMPUTE_PGM_RSRC2:SCRATCH_EN: 0
; COMPUTE_PGM_RSRC2:USER_SGPR: 2
; COMPUTE_PGM_RSRC2:TRAP_HANDLER: 0
; COMPUTE_PGM_RSRC2:TGID_X_EN: 1
; COMPUTE_PGM_RSRC2:TGID_Y_EN: 1
; COMPUTE_PGM_RSRC2:TGID_Z_EN: 1
; COMPUTE_PGM_RSRC2:TIDIG_COMP_CNT: 0
; COMPUTE_PGM_RSRC3_GFX90A:ACCUM_OFFSET: 12
; COMPUTE_PGM_RSRC3_GFX90A:TG_SPLIT: 0
	.section	.text._ZN4vllm25paged_attention_v1_kernelIthLi112ELi8ELi128ELNS_18Fp8KVCacheDataTypeE1ELb1EEEvPT_PKS2_PKT0_S8_ifPKiSA_iPKfiiiSC_SC_iiiii,"axG",@progbits,_ZN4vllm25paged_attention_v1_kernelIthLi112ELi8ELi128ELNS_18Fp8KVCacheDataTypeE1ELb1EEEvPT_PKS2_PKT0_S8_ifPKiSA_iPKfiiiSC_SC_iiiii,comdat
	.protected	_ZN4vllm25paged_attention_v1_kernelIthLi112ELi8ELi128ELNS_18Fp8KVCacheDataTypeE1ELb1EEEvPT_PKS2_PKT0_S8_ifPKiSA_iPKfiiiSC_SC_iiiii ; -- Begin function _ZN4vllm25paged_attention_v1_kernelIthLi112ELi8ELi128ELNS_18Fp8KVCacheDataTypeE1ELb1EEEvPT_PKS2_PKT0_S8_ifPKiSA_iPKfiiiSC_SC_iiiii
	.globl	_ZN4vllm25paged_attention_v1_kernelIthLi112ELi8ELi128ELNS_18Fp8KVCacheDataTypeE1ELb1EEEvPT_PKS2_PKT0_S8_ifPKiSA_iPKfiiiSC_SC_iiiii
	.p2align	8
	.type	_ZN4vllm25paged_attention_v1_kernelIthLi112ELi8ELi128ELNS_18Fp8KVCacheDataTypeE1ELb1EEEvPT_PKS2_PKT0_S8_ifPKiSA_iPKfiiiSC_SC_iiiii,@function
_ZN4vllm25paged_attention_v1_kernelIthLi112ELi8ELi128ELNS_18Fp8KVCacheDataTypeE1ELb1EEEvPT_PKS2_PKT0_S8_ifPKiSA_iPKfiiiSC_SC_iiiii: ; @_ZN4vllm25paged_attention_v1_kernelIthLi112ELi8ELi128ELNS_18Fp8KVCacheDataTypeE1ELb1EEEvPT_PKS2_PKT0_S8_ifPKiSA_iPKfiiiSC_SC_iiiii
; %bb.0:
	s_load_dword s5, s[0:1], 0x80
	s_load_dwordx2 s[6:7], s[0:1], 0x30
	s_load_dwordx2 s[38:39], s[0:1], 0x20
	s_mov_b32 s24, s3
	s_ashr_i32 s25, s3, 31
	s_lshl_b64 s[8:9], s[24:25], 2
	s_waitcnt lgkmcnt(0)
	s_add_u32 s6, s6, s8
	s_addc_u32 s7, s7, s9
	s_abs_i32 s3, s38
	v_cvt_f32_u32_e32 v1, s3
	s_sub_i32 s10, 0, s3
	s_abs_i32 s9, s5
	s_xor_b32 s8, s5, s38
	v_rcp_iflag_f32_e32 v1, v1
	s_ashr_i32 s8, s8, 31
	s_mov_b32 s47, 0
	v_mul_f32_e32 v1, 0x4f7ffffe, v1
	v_cvt_u32_f32_e32 v1, v1
	s_nop 0
	v_readfirstlane_b32 s11, v1
	s_mul_i32 s10, s10, s11
	s_mul_hi_u32 s10, s11, s10
	s_add_i32 s11, s11, s10
	s_mul_hi_u32 s10, s9, s11
	s_mul_i32 s11, s10, s3
	s_sub_i32 s9, s9, s11
	s_add_i32 s11, s10, 1
	s_sub_i32 s12, s9, s3
	s_cmp_ge_u32 s9, s3
	s_cselect_b32 s10, s11, s10
	s_cselect_b32 s9, s12, s9
	s_add_i32 s11, s10, 1
	s_cmp_ge_u32 s9, s3
	s_cselect_b32 s3, s11, s10
	s_xor_b32 s3, s3, s8
	s_sub_i32 s14, s3, s8
	s_abs_i32 s10, s14
	v_cvt_f32_u32_e32 v1, s10
	s_load_dwordx2 s[8:9], s[0:1], 0x40
	s_sub_i32 s3, 0, s10
	s_abs_i32 s11, s2
	v_rcp_iflag_f32_e32 v1, v1
	s_nop 0
	v_mul_f32_e32 v1, 0x4f7ffffe, v1
	v_cvt_u32_f32_e32 v1, v1
	s_nop 0
	v_readfirstlane_b32 s12, v1
	s_mul_i32 s3, s3, s12
	s_mul_hi_u32 s3, s12, s3
	s_add_i32 s12, s12, s3
	s_waitcnt lgkmcnt(0)
	s_cmp_eq_u64 s[8:9], 0
	s_mul_hi_u32 s12, s11, s12
	s_cbranch_scc1 .LBB222_2
; %bb.1:
	s_ashr_i32 s3, s2, 31
	s_lshl_b64 s[16:17], s[2:3], 2
	s_add_u32 s8, s8, s16
	s_addc_u32 s9, s9, s17
	s_load_dword s47, s[8:9], 0x0
.LBB222_2:
	s_load_dword s25, s[6:7], 0x0
	s_load_dwordx4 s[16:19], s[0:1], 0x48
	s_movk_i32 s3, 0x70
	s_ashr_i32 s13, s2, 31
	s_ashr_i32 s14, s14, 31
	v_and_b32_e32 v4, 7, v0
	s_mul_i32 s26, s2, 0x70
	v_cmp_gt_u32_e64 s[6:7], s3, v0
	v_lshlrev_b32_e32 v2, 1, v0
	s_and_saveexec_b64 s[8:9], s[6:7]
	s_cbranch_execz .LBB222_4
; %bb.3:
	s_load_dwordx2 s[20:21], s[0:1], 0x8
	s_waitcnt lgkmcnt(0)
	s_mul_i32 s22, s24, s16
	s_ashr_i32 s23, s22, 31
	s_lshl_b64 s[22:23], s[22:23], 1
	v_lshrrev_b32_e32 v3, 2, v0
	s_add_u32 s3, s20, s22
	s_addc_u32 s15, s21, s23
	s_ashr_i32 s27, s26, 31
	s_lshl_b64 s[20:21], s[26:27], 1
	s_add_u32 s20, s3, s20
	s_addc_u32 s21, s15, s21
	global_load_ushort v1, v2, s[20:21]
	v_and_b32_e32 v3, 0xfe, v3
	v_mad_u32_u24 v3, v4, 28, v3
	s_waitcnt vmcnt(0)
	ds_write_b16 v3, v1
.LBB222_4:
	s_or_b64 exec, exec, s[8:9]
	s_mul_i32 s9, s12, s10
	s_sub_i32 s9, s11, s9
	s_xor_b32 s8, s13, s14
	s_add_i32 s11, s12, 1
	s_sub_i32 s13, s9, s10
	s_load_dwordx4 s[20:23], s[0:1], 0x68
	s_load_dword s3, s[0:1], 0x78
	s_cmp_ge_u32 s9, s10
	s_cselect_b32 s11, s11, s12
	s_cselect_b32 s9, s13, s9
	s_add_i32 s12, s11, 1
	s_cmp_ge_u32 s9, s10
	s_cselect_b32 s9, s12, s11
	s_waitcnt lgkmcnt(0)
	s_abs_i32 s33, s23
	v_cvt_f32_u32_e32 v1, s33
	s_xor_b32 s9, s9, s8
	s_sub_i32 s10, s9, s8
	s_sub_i32 s8, 0, s33
	v_rcp_iflag_f32_e32 v1, v1
	s_add_i32 s12, s25, -1
	s_abs_i32 s11, s12
	v_mul_f32_e32 v1, 0x4f7ffffe, v1
	v_cvt_u32_f32_e32 v1, v1
	s_barrier
	v_readfirstlane_b32 s44, v1
	s_mul_i32 s8, s8, s44
	s_mul_hi_u32 s8, s44, s8
	s_add_i32 s44, s44, s8
	s_cmp_lt_i32 s3, 0
	s_mul_hi_u32 s16, s11, s44
	s_cbranch_scc0 .LBB222_6
; %bb.5:
	s_mul_i32 s8, s20, s38
	s_add_i32 s8, s10, s8
	s_mul_i32 s8, s8, s3
	s_sub_i32 s38, 1, s8
	s_mov_b64 s[8:9], 0
	s_branch .LBB222_7
.LBB222_6:
	s_mov_b64 s[8:9], -1
                                        ; implicit-def: $sgpr38
.LBB222_7:
	s_load_dwordx2 s[30:31], s[0:1], 0x28
	s_ashr_i32 s19, s12, 31
	s_andn2_b64 vcc, exec, s[8:9]
	s_ashr_i32 s45, s23, 31
	s_cbranch_vccnz .LBB222_9
; %bb.8:
	s_mul_i32 s8, s5, s20
	s_add_i32 s2, s8, s2
	s_mul_i32 s2, s2, s3
	s_add_i32 s38, s2, 1
.LBB222_9:
	s_load_dword s2, s[0:1], 0x38
	s_load_dwordx2 s[28:29], s[0:1], 0x0
	s_load_dwordx2 s[36:37], s[0:1], 0x18
	s_load_dword s27, s[0:1], 0x88
	s_load_dwordx4 s[12:15], s[0:1], 0x58
	s_mul_i32 s3, s16, s33
	s_waitcnt lgkmcnt(0)
	s_mul_i32 s34, s24, s2
	s_sub_i32 s3, s11, s3
	s_ashr_i32 s35, s34, 31
	s_xor_b32 s2, s19, s45
	s_add_i32 s8, s16, 1
	s_sub_i32 s9, s3, s33
	s_cmp_ge_u32 s3, s33
	s_cselect_b32 s8, s8, s16
	s_cselect_b32 s3, s9, s3
	s_add_i32 s9, s8, 1
	s_cmp_ge_u32 s3, s33
	s_cselect_b32 s3, s9, s8
	s_xor_b32 s3, s3, s2
	s_sub_i32 s16, s3, s2
	s_add_i32 s2, s25, 7
	s_ashr_i32 s3, s2, 31
	s_lshr_b32 s3, s3, 29
	s_add_i32 s2, s2, s3
	s_ashr_i32 s46, s2, 3
	v_lshrrev_b32_e32 v1, 6, v0
	v_cmp_gt_i32_e64 s[2:3], s46, v1
	v_mov_b32_e32 v14, 0xff7fffff
	s_mul_i32 s20, s10, s18
	v_lshrrev_b32_e32 v10, 4, v0
	v_lshlrev_b32_e32 v3, 3, v1
	v_mbcnt_lo_u32_b32 v11, -1, 0
	s_and_saveexec_b64 s[18:19], s[2:3]
	s_cbranch_execz .LBB222_19
; %bb.10:
	s_load_dwordx2 s[0:1], s[0:1], 0x10
	s_sub_i32 s23, s16, s21
	s_ashr_i32 s9, s20, 31
	v_bfe_u32 v12, v0, 3, 3
	v_mov_b32_e32 v5, 0
	s_waitcnt lgkmcnt(0)
	s_add_u32 s8, s0, s20
	s_addc_u32 s9, s1, s9
	s_abs_i32 s48, s22
	v_cvt_f32_u32_e32 v6, s48
	v_lshlrev_b32_e32 v14, 2, v12
	v_lshl_or_b32 v14, v1, 5, v14
	v_add_u32_e32 v17, 0xf0, v14
	v_rcp_iflag_f32_e32 v7, v6
	v_lshlrev_b32_e32 v6, 4, v12
	v_subrev_u32_e32 v14, s25, v12
	v_mbcnt_hi_u32_b32 v20, -1, v11
	v_mul_f32_e32 v7, 0x4f7ffffe, v7
	v_cvt_u32_f32_e32 v8, v7
	v_mov_b32_e32 v7, v5
	v_lshl_add_u64 v[6:7], s[8:9], 0, v[6:7]
	s_sub_i32 s8, 0, s48
	v_mul_lo_u32 v9, s8, v8
	s_lshl_b64 s[8:9], s[34:35], 2
	v_mul_hi_u32 v9, v8, v9
	s_add_u32 s8, s30, s8
	v_add_u32_e32 v15, v8, v9
	v_and_b32_e32 v8, 60, v10
	v_mov_b32_e32 v9, v5
	s_addc_u32 s9, s31, s9
	v_add_u32_e32 v18, 1, v14
	v_and_b32_e32 v14, 64, v20
	v_cmp_eq_u32_e32 vcc, 0, v4
	s_mov_b32 s49, s17
	v_mul_u32_u24_e32 v13, 28, v4
	v_cmp_neq_f32_e64 s[0:1], s47, 0
	v_lshl_add_u64 v[8:9], s[8:9], 0, v[8:9]
	v_lshlrev_b32_e32 v16, 3, v1
	s_mov_b64 s[40:41], 0
	v_mov_b32_e32 v19, 0xff7fffff
	v_add_u32_e32 v21, 64, v14
	v_xor_b32_e32 v22, 4, v20
	v_xor_b32_e32 v23, 2, v20
	;; [unrolled: 1-line block ×3, first 2 shown]
	v_mov_b32_e32 v14, 0xff7fffff
	v_mov_b32_e32 v25, v1
	s_branch .LBB222_13
.LBB222_11:                             ;   in Loop: Header=BB222_13 Depth=1
	s_or_b64 exec, exec, s[42:43]
.LBB222_12:                             ;   in Loop: Header=BB222_13 Depth=1
	s_or_b64 exec, exec, s[10:11]
	v_add_u32_e32 v25, 2, v25
	v_cmp_le_i32_e64 s[8:9], s46, v25
	v_lshl_add_u64 v[8:9], v[8:9], 0, 8
	v_add_u32_e32 v16, 16, v16
	s_or_b64 s[40:41], s[8:9], s[40:41]
	v_add_u32_e32 v17, 64, v17
	s_andn2_b64 exec, exec, s[40:41]
	s_cbranch_execz .LBB222_18
.LBB222_13:                             ; =>This Inner Loop Header: Depth=1
	v_mul_hi_u32 v26, v16, s44
	s_waitcnt lgkmcnt(0)
	v_mul_lo_u32 v27, v26, s33
	v_sub_u32_e32 v27, v16, v27
	v_add_u32_e32 v28, 1, v26
	v_cmp_le_u32_e64 s[8:9], s33, v27
	s_nop 1
	v_cndmask_b32_e64 v26, v26, v28, s[8:9]
	v_subrev_u32_e32 v28, s33, v27
	v_cndmask_b32_e64 v27, v27, v28, s[8:9]
	v_add_u32_e32 v28, 1, v26
	v_cmp_le_u32_e64 s[8:9], s33, v27
	s_nop 1
	v_cndmask_b32_e64 v26, v26, v28, s[8:9]
	v_xor_b32_e32 v26, s45, v26
	v_subrev_u32_e32 v26, s45, v26
	v_add_u32_e32 v27, s38, v26
	v_sub_u32_e32 v29, 0, v27
	v_ashrrev_i32_e32 v28, 31, v27
	v_max_i32_e32 v27, v27, v29
	v_mul_hi_u32 v29, v27, v15
	v_mul_lo_u32 v29, v29, s48
	v_sub_u32_e32 v27, v27, v29
	v_subrev_u32_e32 v29, s48, v27
	v_cmp_le_u32_e64 s[8:9], s48, v27
	v_cmp_ge_i32_e64 s[10:11], s23, v26
	s_nop 0
	v_cndmask_b32_e64 v27, v27, v29, s[8:9]
	v_subrev_u32_e32 v29, s48, v27
	v_cmp_le_u32_e64 s[8:9], s48, v27
	s_nop 1
	v_cndmask_b32_e64 v27, v27, v29, s[8:9]
	v_xor_b32_e32 v27, v27, v28
	v_sub_u32_e32 v27, v27, v28
	v_cmp_ne_u32_e64 s[8:9], 0, v27
	s_and_b64 s[8:9], s[8:9], s[10:11]
	s_and_b64 s[42:43], vcc, s[8:9]
	s_and_saveexec_b64 s[10:11], s[42:43]
	s_cbranch_execz .LBB222_15
; %bb.14:                               ;   in Loop: Header=BB222_13 Depth=1
	ds_write_b32 v17, v19
.LBB222_15:                             ;   in Loop: Header=BB222_13 Depth=1
	s_or_b64 exec, exec, s[10:11]
	s_xor_b64 s[8:9], s[8:9], -1
	s_and_saveexec_b64 s[10:11], s[8:9]
	s_cbranch_execz .LBB222_12
; %bb.16:                               ;   in Loop: Header=BB222_13 Depth=1
	global_load_dword v26, v[8:9], off
	s_waitcnt vmcnt(0)
	v_mad_i64_i32 v[26:27], s[8:9], v26, s49, v[6:7]
	v_lshl_add_u64 v[26:27], v[26:27], 0, v[4:5]
	global_load_ubyte v28, v[26:27], off
	global_load_ubyte v29, v[26:27], off offset:8
	global_load_dword v30, v5, s[12:13]
	global_load_ubyte v31, v[26:27], off offset:128
	global_load_ubyte v32, v[26:27], off offset:136
	;; [unrolled: 1-line block ×12, first 2 shown]
	ds_read_u16 v26, v13
	s_waitcnt lgkmcnt(0)
	;;#ASMSTART
	v_cvt_f32_f16 v26, v26;
	;;#ASMEND
	v_cmp_lt_i32_e64 s[8:9], v22, v21
	s_waitcnt vmcnt(14)
	v_cvt_f32_fp8_sdwa v27, v28 src0_sel:BYTE_0
	s_waitcnt vmcnt(13)
	v_cvt_f32_fp8_sdwa v29, v29 src0_sel:BYTE_0
	v_cndmask_b32_e64 v28, v20, v22, s[8:9]
	s_waitcnt vmcnt(11)
	v_cvt_f32_fp8_sdwa v31, v31 src0_sel:BYTE_0
	v_fma_mixlo_f16 v27, v30, v27, 0
	v_and_b32_e32 v27, 0xffff, v27
	v_fma_mixlo_f16 v29, v30, v29, 0
	s_waitcnt vmcnt(10)
	v_cvt_f32_fp8_sdwa v32, v32 src0_sel:BYTE_0
	;;#ASMSTART
	v_cvt_f32_f16 v27, v27;
	;;#ASMEND
	ds_read_u16 v43, v13 offset:2
	v_and_b32_e32 v29, 0xffff, v29
	s_waitcnt vmcnt(9)
	v_cvt_f32_fp8_sdwa v33, v33 src0_sel:BYTE_0
	s_waitcnt lgkmcnt(0)
	;;#ASMSTART
	v_cvt_f32_f16 v43, v43;
	;;#ASMEND
	;;#ASMSTART
	v_cvt_f32_f16 v29, v29;
	;;#ASMEND
	s_waitcnt vmcnt(8)
	v_cvt_f32_fp8_sdwa v34, v34 src0_sel:BYTE_0
	v_fma_mixlo_f16 v31, v30, v31, 0
	s_waitcnt vmcnt(7)
	v_cvt_f32_fp8_sdwa v35, v35 src0_sel:BYTE_0
	v_mul_f32_e32 v29, v43, v29
	ds_read_u16 v44, v13 offset:4
	v_and_b32_e32 v31, 0xffff, v31
	v_fma_mixlo_f16 v32, v30, v32, 0
	s_waitcnt vmcnt(6)
	v_cvt_f32_fp8_sdwa v36, v36 src0_sel:BYTE_0
	v_fmac_f32_e32 v29, v26, v27
	s_waitcnt lgkmcnt(0)
	;;#ASMSTART
	v_cvt_f32_f16 v44, v44;
	;;#ASMEND
	;;#ASMSTART
	v_cvt_f32_f16 v31, v31;
	;;#ASMEND
	ds_read_u16 v45, v13 offset:6
	v_and_b32_e32 v32, 0xffff, v32
	s_waitcnt vmcnt(5)
	v_cvt_f32_fp8_sdwa v37, v37 src0_sel:BYTE_0
	v_fma_mixlo_f16 v33, v30, v33, 0
	v_fmac_f32_e32 v29, v44, v31
	s_waitcnt lgkmcnt(0)
	;;#ASMSTART
	v_cvt_f32_f16 v45, v45;
	;;#ASMEND
	;;#ASMSTART
	v_cvt_f32_f16 v32, v32;
	;;#ASMEND
	ds_read_u16 v46, v13 offset:8
	v_and_b32_e32 v33, 0xffff, v33
	s_waitcnt vmcnt(4)
	v_cvt_f32_fp8_sdwa v38, v38 src0_sel:BYTE_0
	v_fma_mixlo_f16 v34, v30, v34, 0
	v_fmac_f32_e32 v29, v45, v32
	s_waitcnt lgkmcnt(0)
	;;#ASMSTART
	v_cvt_f32_f16 v46, v46;
	;;#ASMEND
	;;#ASMSTART
	v_cvt_f32_f16 v33, v33;
	;;#ASMEND
	ds_read_u16 v47, v13 offset:10
	s_waitcnt vmcnt(3)
	v_cvt_f32_fp8_sdwa v39, v39 src0_sel:BYTE_0
	v_and_b32_e32 v34, 0xffff, v34
	v_fma_mixlo_f16 v35, v30, v35, 0
	v_fmac_f32_e32 v29, v46, v33
	s_waitcnt lgkmcnt(0)
	;;#ASMSTART
	v_cvt_f32_f16 v47, v47;
	;;#ASMEND
	;;#ASMSTART
	v_cvt_f32_f16 v34, v34;
	;;#ASMEND
	ds_read_u16 v48, v13 offset:12
	s_waitcnt vmcnt(2)
	v_cvt_f32_fp8_sdwa v40, v40 src0_sel:BYTE_0
	s_waitcnt vmcnt(1)
	v_cvt_f32_fp8_sdwa v41, v41 src0_sel:BYTE_0
	v_and_b32_e32 v35, 0xffff, v35
	s_waitcnt vmcnt(0)
	v_cvt_f32_fp8_sdwa v42, v42 src0_sel:BYTE_0
	v_fma_mixlo_f16 v36, v30, v36, 0
	v_fmac_f32_e32 v29, v47, v34
	s_waitcnt lgkmcnt(0)
	;;#ASMSTART
	v_cvt_f32_f16 v48, v48;
	;;#ASMEND
	;;#ASMSTART
	v_cvt_f32_f16 v35, v35;
	;;#ASMEND
	ds_read_u16 v49, v13 offset:14
	v_fma_mixlo_f16 v37, v30, v37, 0
	v_and_b32_e32 v36, 0xffff, v36
	v_fmac_f32_e32 v29, v48, v35
	s_waitcnt lgkmcnt(0)
	;;#ASMSTART
	v_cvt_f32_f16 v49, v49;
	;;#ASMEND
	;;#ASMSTART
	v_cvt_f32_f16 v36, v36;
	;;#ASMEND
	ds_read_u16 v50, v13 offset:16
	v_fma_mixlo_f16 v38, v30, v38, 0
	v_and_b32_e32 v37, 0xffff, v37
	v_fmac_f32_e32 v29, v49, v36
	v_fma_mixlo_f16 v39, v30, v39, 0
	s_waitcnt lgkmcnt(0)
	;;#ASMSTART
	v_cvt_f32_f16 v50, v50;
	;;#ASMEND
	;;#ASMSTART
	v_cvt_f32_f16 v37, v37;
	;;#ASMEND
	v_and_b32_e32 v38, 0xffff, v38
	v_fmac_f32_e32 v29, v50, v37
	v_fma_mixlo_f16 v40, v30, v40, 0
	ds_read_u16 v51, v13 offset:18
	v_fma_mixlo_f16 v41, v30, v41, 0
	v_fma_mixlo_f16 v30, v30, v42, 0
	v_and_b32_e32 v39, 0xffff, v39
	s_waitcnt lgkmcnt(0)
	;;#ASMSTART
	v_cvt_f32_f16 v42, v51;
	;;#ASMEND
	;;#ASMSTART
	v_cvt_f32_f16 v38, v38;
	;;#ASMEND
	ds_read_u16 v51, v13 offset:20
	v_fmac_f32_e32 v29, v42, v38
	s_waitcnt lgkmcnt(0)
	;;#ASMSTART
	v_cvt_f32_f16 v43, v51;
	;;#ASMEND
	;;#ASMSTART
	v_cvt_f32_f16 v39, v39;
	;;#ASMEND
	v_and_b32_e32 v40, 0xffff, v40
	v_fmac_f32_e32 v29, v43, v39
	ds_read_u16 v51, v13 offset:22
	s_waitcnt lgkmcnt(0)
	;;#ASMSTART
	v_cvt_f32_f16 v26, v51;
	;;#ASMEND
	;;#ASMSTART
	v_cvt_f32_f16 v27, v40;
	;;#ASMEND
	ds_read_u16 v31, v13 offset:24
	v_fmac_f32_e32 v29, v26, v27
	v_and_b32_e32 v41, 0xffff, v41
	s_waitcnt lgkmcnt(0)
	;;#ASMSTART
	v_cvt_f32_f16 v31, v31;
	;;#ASMEND
	;;#ASMSTART
	v_cvt_f32_f16 v32, v41;
	;;#ASMEND
	v_lshlrev_b32_e32 v28, 2, v28
	v_fmac_f32_e32 v29, v31, v32
	v_and_b32_e32 v30, 0xffff, v30
	ds_read_u16 v33, v13 offset:26
	s_waitcnt lgkmcnt(0)
	;;#ASMSTART
	v_cvt_f32_f16 v26, v33;
	;;#ASMEND
	;;#ASMSTART
	v_cvt_f32_f16 v27, v30;
	;;#ASMEND
	v_cmp_lt_i32_e64 s[8:9], v23, v21
	v_fmac_f32_e32 v29, v26, v27
	ds_bpermute_b32 v26, v28, v29
	v_cndmask_b32_e64 v27, v20, v23, s[8:9]
	v_lshlrev_b32_e32 v27, 2, v27
	v_cmp_lt_i32_e64 s[8:9], v24, v21
	s_waitcnt lgkmcnt(0)
	v_add_f32_e32 v26, v29, v26
	ds_bpermute_b32 v27, v27, v26
	v_cndmask_b32_e64 v28, v20, v24, s[8:9]
	s_waitcnt lgkmcnt(0)
	v_add_f32_e32 v26, v26, v27
	v_lshlrev_b32_e32 v27, 2, v28
	ds_bpermute_b32 v27, v27, v26
	s_and_saveexec_b64 s[42:43], vcc
	s_cbranch_execz .LBB222_11
; %bb.17:                               ;   in Loop: Header=BB222_13 Depth=1
	v_add_u32_e32 v28, v18, v16
	v_cvt_f32_i32_e32 v28, v28
	s_waitcnt lgkmcnt(0)
	v_add_f32_e32 v26, v26, v27
	v_add_u32_e32 v29, v12, v16
	v_cmp_gt_i32_e64 s[8:9], s25, v29
	v_mul_f32_e32 v27, s47, v28
	v_cndmask_b32_e64 v27, 0, v27, s[0:1]
	v_fmac_f32_e32 v27, s39, v26
	v_cndmask_b32_e64 v26, 0, v27, s[8:9]
	ds_write_b32 v17, v26
	v_max_f32_e32 v26, v14, v14
	v_max_f32_e32 v26, v26, v27
	v_cndmask_b32_e64 v14, v14, v26, s[8:9]
	s_branch .LBB222_11
.LBB222_18:
	s_or_b64 exec, exec, s[40:41]
.LBB222_19:
	s_or_b64 exec, exec, s[18:19]
	v_mbcnt_hi_u32_b32 v4, -1, v11
	v_and_b32_e32 v5, 64, v4
	v_add_u32_e32 v5, 64, v5
	v_xor_b32_e32 v6, 32, v4
	v_cmp_lt_i32_e32 vcc, v6, v5
	v_xor_b32_e32 v9, 16, v4
	v_max_f32_e32 v8, v14, v14
	v_cndmask_b32_e32 v6, v4, v6, vcc
	v_lshlrev_b32_e32 v7, 2, v6
	ds_bpermute_b32 v6, v7, v14
	v_cmp_lt_i32_e32 vcc, v9, v5
	v_xor_b32_e32 v11, 8, v4
	v_and_b32_e32 v22, 63, v0
	s_waitcnt lgkmcnt(0)
	v_max_f32_e32 v6, v6, v6
	v_max_f32_e32 v6, v8, v6
	v_cndmask_b32_e32 v8, v4, v9, vcc
	v_lshlrev_b32_e32 v9, 2, v8
	ds_bpermute_b32 v8, v9, v6
	v_cmp_lt_i32_e32 vcc, v11, v5
	s_waitcnt lgkmcnt(0)
	v_max_f32_e32 v8, v8, v8
	v_max_f32_e32 v8, v6, v8
	v_cndmask_b32_e32 v6, v4, v11, vcc
	v_lshlrev_b32_e32 v12, 2, v6
	ds_bpermute_b32 v11, v12, v8
	v_cmp_eq_u32_e32 vcc, 0, v22
	v_lshlrev_b32_e32 v6, 2, v1
	s_and_saveexec_b64 s[0:1], vcc
	s_cbranch_execz .LBB222_21
; %bb.20:
	s_waitcnt lgkmcnt(0)
	v_max_f32_e32 v11, v11, v11
	v_max_f32_e32 v8, v8, v8
	v_max_f32_e32 v8, v8, v11
	ds_write_b32 v6, v8 offset:224
.LBB222_21:
	s_or_b64 exec, exec, s[0:1]
	v_cmp_gt_u32_e64 s[0:1], 2, v22
	v_mov_b32_e32 v13, 0xff7fffff
	v_lshlrev_b32_e32 v8, 2, v22
	s_waitcnt lgkmcnt(0)
	s_barrier
	s_and_saveexec_b64 s[8:9], s[0:1]
	s_cbranch_execz .LBB222_23
; %bb.22:
	ds_read_b32 v13, v8 offset:224
.LBB222_23:
	s_or_b64 exec, exec, s[8:9]
	v_xor_b32_e32 v11, 1, v4
	v_cmp_lt_i32_e64 s[8:9], v11, v5
	v_lshlrev_b32_e32 v15, 2, v4
	s_nop 0
	v_cndmask_b32_e64 v11, v4, v11, s[8:9]
	v_lshlrev_b32_e32 v11, 2, v11
	s_waitcnt lgkmcnt(0)
	ds_bpermute_b32 v14, v11, v13
	v_max_f32_e32 v13, v13, v13
	s_lshl_b32 s8, s46, 3
	s_min_i32 s23, s8, s25
	v_cmp_gt_i32_e64 s[8:9], s23, v0
	s_waitcnt lgkmcnt(0)
	v_max_f32_e32 v14, v14, v14
	v_max_f32_e32 v14, v13, v14
	v_and_b32_e32 v13, 0x100, v15
	ds_bpermute_b32 v15, v13, v14
	v_mov_b32_e32 v14, 0
	s_and_saveexec_b64 s[12:13], s[8:9]
	s_cbranch_execz .LBB222_27
; %bb.24:
	v_mov_b32_e32 v14, 0xf0
	v_lshl_add_u32 v16, v0, 2, v14
	s_mov_b64 s[18:19], 0
	v_mov_b32_e32 v14, 0
	v_mov_b32_e32 v17, v0
.LBB222_25:                             ; =>This Inner Loop Header: Depth=1
	ds_read_b32 v18, v16
	v_add_u32_e32 v17, 0x80, v17
	v_cmp_le_i32_e64 s[10:11], s23, v17
	s_or_b64 s[18:19], s[10:11], s[18:19]
	s_waitcnt lgkmcnt(0)
	v_sub_f32_e32 v18, v18, v15
	v_mul_f32_e32 v18, 0x3fb8aa3b, v18
	v_exp_f32_e32 v18, v18
	ds_write_b32 v16, v18
	v_add_f32_e32 v14, v14, v18
	v_add_u32_e32 v16, 0x200, v16
	s_andn2_b64 exec, exec, s[18:19]
	s_cbranch_execnz .LBB222_25
; %bb.26:
	s_or_b64 exec, exec, s[18:19]
.LBB222_27:
	s_or_b64 exec, exec, s[12:13]
	ds_bpermute_b32 v7, v7, v14
	s_waitcnt lgkmcnt(0)
	v_add_f32_e32 v7, v14, v7
	ds_bpermute_b32 v9, v9, v7
	s_waitcnt lgkmcnt(0)
	v_add_f32_e32 v7, v7, v9
	ds_bpermute_b32 v9, v12, v7
	v_xor_b32_e32 v12, 4, v4
	v_cmp_lt_i32_e64 s[10:11], v12, v5
	s_waitcnt lgkmcnt(0)
	v_add_f32_e32 v7, v7, v9
	v_cndmask_b32_e64 v12, v4, v12, s[10:11]
	v_lshlrev_b32_e32 v12, 2, v12
	ds_bpermute_b32 v9, v12, v7
	v_xor_b32_e32 v12, 2, v4
	v_cmp_lt_i32_e64 s[10:11], v12, v5
	s_waitcnt lgkmcnt(0)
	v_add_f32_e32 v5, v7, v9
	v_cndmask_b32_e64 v4, v4, v12, s[10:11]
	v_lshlrev_b32_e32 v4, 2, v4
	ds_bpermute_b32 v4, v4, v5
	s_waitcnt lgkmcnt(0)
	v_add_f32_e32 v4, v5, v4
	ds_bpermute_b32 v5, v11, v4
	s_waitcnt lgkmcnt(0)
	v_add_f32_e32 v4, v4, v5
	s_and_saveexec_b64 s[10:11], vcc
	s_cbranch_execz .LBB222_29
; %bb.28:
	ds_write_b32 v6, v4 offset:232
.LBB222_29:
	s_or_b64 exec, exec, s[10:11]
	s_waitcnt lgkmcnt(0)
	s_barrier
	s_and_saveexec_b64 s[10:11], s[0:1]
	s_cbranch_execz .LBB222_31
; %bb.30:
	ds_read_b32 v4, v8 offset:232
.LBB222_31:
	s_or_b64 exec, exec, s[10:11]
	s_waitcnt lgkmcnt(0)
	ds_bpermute_b32 v5, v11, v4
	s_waitcnt lgkmcnt(0)
	v_add_f32_e32 v4, v4, v5
	ds_bpermute_b32 v4, v13, v4
	s_and_saveexec_b64 s[0:1], s[8:9]
	s_cbranch_execz .LBB222_44
; %bb.32:
	s_waitcnt lgkmcnt(0)
	v_add_f32_e32 v4, 0x358637bd, v4
	v_div_scale_f32 v5, s[8:9], v4, v4, 1.0
	v_rcp_f32_e32 v6, v5
	v_div_scale_f32 v7, vcc, 1.0, v4, 1.0
	s_movk_i32 s8, 0x7f
	v_fma_f32 v8, -v5, v6, 1.0
	v_fmac_f32_e32 v6, v8, v6
	v_mul_f32_e32 v8, v7, v6
	v_fma_f32 v9, -v5, v8, v7
	v_fmac_f32_e32 v8, v9, v6
	v_fma_f32 v5, -v5, v8, v7
	v_div_fmas_f32 v5, v5, v6, v8
	v_xad_u32 v6, v0, -1, s23
	v_div_fixup_f32 v4, v5, v4, 1.0
	v_cmp_lt_u32_e32 vcc, s8, v6
	s_mov_b64 s[10:11], -1
	v_mov_b32_e32 v5, v0
	s_and_saveexec_b64 s[8:9], vcc
	s_cbranch_execz .LBB222_41
; %bb.33:
	v_lshrrev_b32_e32 v6, 7, v6
	v_add_u32_e32 v8, -1, v6
	v_lshrrev_b32_e32 v7, 1, v8
	v_mov_b32_e32 v5, v4
	v_add_u32_e32 v7, 1, v7
	v_cmp_lt_u32_e32 vcc, 13, v8
	v_mov_b32_e32 v11, 0
	s_and_saveexec_b64 s[10:11], vcc
	s_cbranch_execz .LBB222_37
; %bb.34:
	v_mov_b32_e32 v9, 0xf0
	v_and_b32_e32 v8, -8, v7
	v_lshl_add_u32 v9, v0, 2, v9
	s_mov_b32 s18, 0
	s_mov_b64 s[12:13], 0
.LBB222_35:                             ; =>This Inner Loop Header: Depth=1
	ds_read2st64_b32 v[12:13], v9 offset1:2
	ds_read2st64_b32 v[14:15], v9 offset0:4 offset1:6
	ds_read2st64_b32 v[16:17], v9 offset0:8 offset1:10
	;; [unrolled: 1-line block ×3, first 2 shown]
	v_add_u32_e32 v8, -8, v8
	s_waitcnt lgkmcnt(3)
	v_pk_mul_f32 v[12:13], v[4:5], v[12:13]
	s_waitcnt lgkmcnt(2)
	v_pk_mul_f32 v[14:15], v[4:5], v[14:15]
	ds_write2st64_b32 v9, v12, v13 offset1:2
	ds_write2st64_b32 v9, v14, v15 offset0:4 offset1:6
	ds_read2st64_b32 v[14:15], v9 offset0:16 offset1:18
	s_waitcnt lgkmcnt(4)
	v_pk_mul_f32 v[12:13], v[4:5], v[16:17]
	ds_write2st64_b32 v9, v12, v13 offset0:8 offset1:10
	s_waitcnt lgkmcnt(4)
	v_pk_mul_f32 v[12:13], v[4:5], v[18:19]
	ds_write2st64_b32 v9, v12, v13 offset0:12 offset1:14
	ds_read2st64_b32 v[12:13], v9 offset0:20 offset1:22
	s_waitcnt lgkmcnt(3)
	v_pk_mul_f32 v[14:15], v[4:5], v[14:15]
	ds_read2st64_b32 v[16:17], v9 offset0:24 offset1:26
	ds_write2st64_b32 v9, v14, v15 offset0:16 offset1:18
	ds_read2st64_b32 v[14:15], v9 offset0:28 offset1:30
	s_waitcnt lgkmcnt(3)
	v_pk_mul_f32 v[12:13], v[4:5], v[12:13]
	ds_write2st64_b32 v9, v12, v13 offset0:20 offset1:22
	s_waitcnt lgkmcnt(3)
	v_pk_mul_f32 v[12:13], v[4:5], v[16:17]
	ds_write2st64_b32 v9, v12, v13 offset0:24 offset1:26
	s_waitcnt lgkmcnt(2)
	v_pk_mul_f32 v[12:13], v[4:5], v[14:15]
	s_add_i32 s18, s18, 16
	v_cmp_eq_u32_e32 vcc, 0, v8
	ds_write2st64_b32 v9, v12, v13 offset0:28 offset1:30
	v_add_u32_e32 v9, 0x2000, v9
	s_or_b64 s[12:13], vcc, s[12:13]
	v_mov_b32_e32 v11, s18
	s_andn2_b64 exec, exec, s[12:13]
	s_cbranch_execnz .LBB222_35
; %bb.36:
	s_or_b64 exec, exec, s[12:13]
.LBB222_37:
	s_or_b64 exec, exec, s[10:11]
	v_and_b32_e32 v7, 7, v7
	v_cmp_ne_u32_e32 vcc, 0, v7
	s_and_saveexec_b64 s[10:11], vcc
	s_cbranch_execz .LBB222_40
; %bb.38:
	v_lshlrev_b32_e32 v8, 9, v11
	v_lshlrev_b32_e32 v9, 2, v0
	s_movk_i32 s12, 0xf0
	v_add3_u32 v8, v8, v9, s12
	s_mov_b64 s[12:13], 0
.LBB222_39:                             ; =>This Inner Loop Header: Depth=1
	ds_read2st64_b32 v[12:13], v8 offset1:2
	v_add_u32_e32 v7, -1, v7
	v_cmp_eq_u32_e32 vcc, 0, v7
	s_or_b64 s[12:13], vcc, s[12:13]
	s_waitcnt lgkmcnt(0)
	v_pk_mul_f32 v[12:13], v[4:5], v[12:13]
	ds_write2st64_b32 v8, v12, v13 offset1:2
	v_add_u32_e32 v8, 0x400, v8
	s_andn2_b64 exec, exec, s[12:13]
	s_cbranch_execnz .LBB222_39
.LBB222_40:
	s_or_b64 exec, exec, s[10:11]
	v_add_u32_e32 v6, 1, v6
	v_and_b32_e32 v7, 0x3fffffe, v6
	v_cmp_ne_u32_e32 vcc, v6, v7
	v_lshl_add_u32 v5, v7, 7, v0
	s_orn2_b64 s[10:11], vcc, exec
.LBB222_41:
	s_or_b64 exec, exec, s[8:9]
	s_and_b64 exec, exec, s[10:11]
	s_cbranch_execz .LBB222_44
; %bb.42:
	v_mov_b32_e32 v6, 0xf0
	v_lshl_add_u32 v6, v5, 2, v6
	s_mov_b64 s[8:9], 0
.LBB222_43:                             ; =>This Inner Loop Header: Depth=1
	ds_read_b32 v7, v6
	v_add_u32_e32 v5, 0x80, v5
	v_cmp_le_i32_e32 vcc, s23, v5
	s_or_b64 s[8:9], vcc, s[8:9]
	s_waitcnt lgkmcnt(0)
	v_mul_f32_e32 v7, v4, v7
	ds_write_b32 v6, v7
	v_add_u32_e32 v6, 0x200, v6
	s_andn2_b64 exec, exec, s[8:9]
	s_cbranch_execnz .LBB222_43
.LBB222_44:
	s_or_b64 exec, exec, s[0:1]
	v_mov_b32_e32 v24, 0
	v_mov_b32_e32 v23, 0
	s_waitcnt lgkmcnt(0)
	s_barrier
	s_and_saveexec_b64 s[8:9], s[2:3]
	s_cbranch_execz .LBB222_184
; %bb.45:
	s_sub_i32 s39, s16, s21
	s_ashr_i32 s0, s20, 31
	s_add_u32 s10, s36, s20
	s_addc_u32 s11, s37, s0
	s_abs_i32 s37, s22
	v_cvt_f32_u32_e32 v6, s37
	v_or_b32_e32 v8, 64, v22
	s_movk_i32 s0, 0x70
	v_cmp_gt_u32_e32 vcc, s0, v8
	v_rcp_iflag_f32_e32 v6, v6
	s_sub_i32 s0, 0, s37
	s_add_i32 s36, s46, -1
	v_mov_b32_e32 v7, 0
	v_mul_f32_e32 v6, 0x4f7ffffe, v6
	v_cvt_u32_f32_e32 v6, v6
	s_mov_b32 s40, s17
	v_lshlrev_b32_e32 v4, 3, v22
	v_mov_b32_e32 v5, v7
	v_mul_lo_u32 v11, s0, v6
	s_lshl_b64 s[0:1], s[34:35], 2
	v_mul_hi_u32 v11, v6, v11
	s_add_u32 s0, s30, s0
	v_add_u32_e32 v25, v6, v11
	v_and_b32_e32 v6, 60, v10
	s_addc_u32 s1, s31, s1
	v_lshl_add_u64 v[10:11], s[0:1], 0, v[6:7]
	v_mov_b32_e32 v6, 0xf0
	v_lshlrev_b32_e32 v8, 3, v8
	v_mov_b32_e32 v9, v7
	s_mov_b32 s41, s25
	v_lshl_add_u32 v26, v1, 5, v6
	s_mov_b64 s[12:13], 0
	s_movk_i32 s34, 0x7f
	s_movk_i32 s35, 0x80
	s_mov_b32 s42, 0x8000
	s_movk_i32 s43, 0x380
	s_mov_b32 s47, 0x3020706
	s_mov_b32 s48, 0x1000504
	;; [unrolled: 1-line block ×3, first 2 shown]
	v_mov_b32_e32 v27, 0x1c00
	v_mov_b32_e32 v23, 0
	v_mov_b32_e32 v24, 0
	s_branch .LBB222_49
.LBB222_46:                             ;   in Loop: Header=BB222_49 Depth=1
	s_or_b64 exec, exec, s[20:21]
	;;#ASMSTART
	v_pk_mul_f16 v14, v31, v15;

	;;#ASMEND
	;;#ASMSTART
	v_pk_mul_f16 v6, v30, v6;

	;;#ASMEND
	;; [unrolled: 4-line block ×4, first 2 shown]
	s_nop 0
	;;#ASMSTART
	v_pk_add_f16 v6, v14, v6;

	;;#ASMEND
	s_nop 0
	;;#ASMSTART
	v_pk_add_f16 v6, v6, v13;

	;;#ASMEND
	;; [unrolled: 5-line block ×3, first 2 shown]
	s_nop 0
	v_lshrrev_b32_e32 v12, 16, v6
	v_and_b32_e32 v6, 0xffff, v6
	;;#ASMSTART
	v_cvt_f32_f16 v6, v6;
	;;#ASMEND
	;;#ASMSTART
	v_cvt_f32_f16 v12, v12;
	;;#ASMEND
	s_nop 0
	v_add_f32_e32 v6, v6, v12
	v_add_f32_e32 v23, v23, v6
.LBB222_47:                             ;   in Loop: Header=BB222_49 Depth=1
	s_or_b64 exec, exec, s[18:19]
	v_add_f32_e32 v6, v20, v21
	v_add_f32_e32 v24, v24, v6
.LBB222_48:                             ;   in Loop: Header=BB222_49 Depth=1
	s_or_b64 exec, exec, s[16:17]
	v_add_u32_e32 v1, 2, v1
	v_cmp_le_i32_e64 s[0:1], s46, v1
	v_lshl_add_u64 v[10:11], v[10:11], 0, 8
	v_add_u32_e32 v3, 16, v3
	s_or_b64 s[12:13], s[0:1], s[12:13]
	v_add_u32_e32 v26, 64, v26
	s_andn2_b64 exec, exec, s[12:13]
	s_cbranch_execz .LBB222_183
.LBB222_49:                             ; =>This Inner Loop Header: Depth=1
	v_mul_hi_u32 v6, v3, s44
	v_mul_lo_u32 v12, v6, s33
	v_sub_u32_e32 v12, v3, v12
	v_add_u32_e32 v13, 1, v6
	v_cmp_le_u32_e64 s[0:1], s33, v12
	s_nop 1
	v_cndmask_b32_e64 v6, v6, v13, s[0:1]
	v_subrev_u32_e32 v13, s33, v12
	v_cndmask_b32_e64 v12, v12, v13, s[0:1]
	v_add_u32_e32 v13, 1, v6
	v_cmp_le_u32_e64 s[0:1], s33, v12
	s_nop 1
	v_cndmask_b32_e64 v6, v6, v13, s[0:1]
	v_xor_b32_e32 v6, s45, v6
	v_subrev_u32_e32 v6, s45, v6
	v_add_u32_e32 v12, s38, v6
	v_sub_u32_e32 v14, 0, v12
	v_ashrrev_i32_e32 v13, 31, v12
	v_max_i32_e32 v12, v12, v14
	v_mul_hi_u32 v14, v12, v25
	v_mul_lo_u32 v14, v14, s37
	v_sub_u32_e32 v12, v12, v14
	v_subrev_u32_e32 v14, s37, v12
	v_cmp_le_u32_e64 s[0:1], s37, v12
	v_cmp_lt_i32_e64 s[2:3], s39, v6
	s_nop 0
	v_cndmask_b32_e64 v12, v12, v14, s[0:1]
	v_subrev_u32_e32 v14, s37, v12
	v_cmp_le_u32_e64 s[0:1], s37, v12
	s_nop 1
	v_cndmask_b32_e64 v12, v12, v14, s[0:1]
	v_xor_b32_e32 v12, v12, v13
	v_sub_u32_e32 v12, v12, v13
	v_cmp_eq_u32_e64 s[0:1], 0, v12
	s_or_b64 s[0:1], s[0:1], s[2:3]
	s_and_saveexec_b64 s[16:17], s[0:1]
	s_cbranch_execz .LBB222_48
; %bb.50:                               ;   in Loop: Header=BB222_49 Depth=1
	ds_read2_b64 v[16:19], v26 offset1:1
	ds_read2_b64 v[32:35], v26 offset0:2 offset1:3
	v_mov_b64_e32 v[12:13], s[10:11]
                                        ; implicit-def: $sgpr20
	s_waitcnt lgkmcnt(1)
	;;#ASMSTART
	v_cvt_f16_f32 v15, v16;

	;;#ASMEND
	;;#ASMSTART
	v_cvt_f16_f32 v28, v17;

	;;#ASMEND
	;; [unrolled: 4-line block ×4, first 2 shown]
	s_waitcnt lgkmcnt(0)
	;;#ASMSTART
	v_cvt_f16_f32 v32, v32;

	;;#ASMEND
	;;#ASMSTART
	v_cvt_f16_f32 v33, v33;

	;;#ASMEND
	;; [unrolled: 4-line block ×4, first 2 shown]
	global_load_dword v6, v[10:11], off
	s_waitcnt vmcnt(0)
	v_mad_i64_i32 v[12:13], s[0:1], v6, s40, v[12:13]
	v_lshl_add_u64 v[18:19], v[12:13], 0, v[4:5]
	global_load_dwordx2 v[16:17], v[18:19], off
	global_load_dword v14, v7, s[14:15]
	s_mov_b64 s[0:1], 0
	s_waitcnt vmcnt(1)
	v_cmp_gt_i16_sdwa s[2:3], v16, s34 src0_sel:BYTE_0 src1_sel:DWORD
	s_and_saveexec_b64 s[18:19], s[2:3]
	s_xor_b64 s[2:3], exec, s[18:19]
	s_cbranch_execnz .LBB222_119
; %bb.51:                               ;   in Loop: Header=BB222_49 Depth=1
	s_or_saveexec_b64 s[2:3], s[2:3]
	v_mov_b32_e32 v18, s20
	s_xor_b64 exec, exec, s[2:3]
	s_cbranch_execnz .LBB222_122
.LBB222_52:                             ;   in Loop: Header=BB222_49 Depth=1
	s_or_b64 exec, exec, s[2:3]
	s_and_saveexec_b64 s[2:3], s[0:1]
	s_cbranch_execz .LBB222_54
.LBB222_53:                             ;   in Loop: Header=BB222_49 Depth=1
	v_and_b32_e32 v6, 7, v16
	v_ffbh_u32_e32 v6, v6
	v_bfe_u32 v18, v16, 3, 4
	v_min_u32_e32 v6, 32, v6
	v_subrev_u32_e32 v19, 28, v6
	v_sub_u32_e32 v6, 29, v6
	v_cmp_eq_u32_e64 s[0:1], 0, v18
	s_nop 1
	v_cndmask_b32_e64 v6, v18, v6, s[0:1]
	v_cndmask_b32_e64 v18, 0, v19, s[0:1]
	v_lshlrev_b64 v[18:19], v18, v[16:17]
	v_lshlrev_b32_e32 v19, 8, v16
	v_lshl_add_u32 v6, v6, 10, v27
	v_lshlrev_b32_e32 v18, 7, v18
	v_and_or_b32 v6, v19, s42, v6
	v_and_or_b32 v6, v18, s43, v6
	v_cvt_f32_f16_e32 v18, v6
.LBB222_54:                             ;   in Loop: Header=BB222_49 Depth=1
	s_or_b64 exec, exec, s[2:3]
	v_lshrrev_b16_e32 v6, 8, v16
	v_cmp_lt_i16_e64 s[0:1], s34, v6
	s_mov_b64 s[2:3], 0
                                        ; implicit-def: $sgpr22
	s_and_saveexec_b64 s[18:19], s[0:1]
	s_xor_b64 s[18:19], exec, s[18:19]
	s_cbranch_execnz .LBB222_123
; %bb.55:                               ;   in Loop: Header=BB222_49 Depth=1
	s_or_saveexec_b64 s[18:19], s[18:19]
	v_mov_b32_e32 v20, s22
	s_xor_b64 exec, exec, s[18:19]
	s_cbranch_execnz .LBB222_126
.LBB222_56:                             ;   in Loop: Header=BB222_49 Depth=1
	s_or_b64 exec, exec, s[18:19]
	s_and_saveexec_b64 s[18:19], s[2:3]
	s_cbranch_execz .LBB222_58
.LBB222_57:                             ;   in Loop: Header=BB222_49 Depth=1
	v_and_b32_e32 v19, 7, v6
	v_ffbh_u32_e32 v20, v19
	v_min_u32_e32 v36, 32, v20
	v_subrev_u32_e32 v20, 28, v36
	v_bfe_u32 v31, v6, 3, 4
	v_lshlrev_b64 v[20:21], v20, v[6:7]
	v_sub_u32_e32 v21, 29, v36
	v_cmp_eq_u32_e64 s[0:1], 0, v31
	v_and_b32_e32 v20, 7, v20
	v_lshlrev_b32_e32 v6, 8, v6
	v_cndmask_b32_e64 v21, v31, v21, s[0:1]
	v_cndmask_b32_e64 v19, v19, v20, s[0:1]
	v_lshl_add_u32 v20, v21, 10, v27
	v_and_or_b32 v6, v6, s42, v20
	v_lshl_or_b32 v6, v19, 7, v6
	v_cvt_f32_f16_e32 v20, v6
.LBB222_58:                             ;   in Loop: Header=BB222_49 Depth=1
	s_or_b64 exec, exec, s[18:19]
	v_lshrrev_b32_e32 v6, 16, v16
	v_cmp_gt_i16_sdwa s[2:3], v6, s34 src0_sel:BYTE_0 src1_sel:DWORD
	s_mov_b64 s[0:1], 0
                                        ; implicit-def: $sgpr20
	s_and_saveexec_b64 s[18:19], s[2:3]
	s_xor_b64 s[2:3], exec, s[18:19]
	s_cbranch_execnz .LBB222_127
; %bb.59:                               ;   in Loop: Header=BB222_49 Depth=1
	s_or_saveexec_b64 s[2:3], s[2:3]
	v_mov_b32_e32 v19, s20
	s_xor_b64 exec, exec, s[2:3]
	s_cbranch_execnz .LBB222_130
.LBB222_60:                             ;   in Loop: Header=BB222_49 Depth=1
	s_or_b64 exec, exec, s[2:3]
	s_and_saveexec_b64 s[2:3], s[0:1]
	s_cbranch_execz .LBB222_62
.LBB222_61:                             ;   in Loop: Header=BB222_49 Depth=1
	v_bfe_u32 v19, v16, 16, 3
	v_ffbh_u32_e32 v31, v19
	v_bfe_u32 v21, v16, 19, 4
	v_min_u32_e32 v31, 32, v31
	v_subrev_u32_e32 v36, 28, v31
	v_sub_u32_e32 v31, 29, v31
	v_cmp_eq_u32_e64 s[0:1], 0, v21
	v_lshlrev_b64 v[36:37], v36, v[6:7]
	v_and_b32_e32 v36, 7, v36
	v_cndmask_b32_e64 v21, v21, v31, s[0:1]
	v_lshlrev_b32_e32 v6, 8, v6
	v_lshl_add_u32 v21, v21, 10, v27
	v_cndmask_b32_e64 v19, v19, v36, s[0:1]
	v_and_or_b32 v6, v6, s42, v21
	v_lshl_or_b32 v6, v19, 7, v6
	v_cvt_f32_f16_e32 v19, v6
.LBB222_62:                             ;   in Loop: Header=BB222_49 Depth=1
	s_or_b64 exec, exec, s[2:3]
	v_lshrrev_b32_e32 v6, 24, v16
	v_cmp_lt_i16_e64 s[0:1], s34, v6
	s_mov_b64 s[2:3], 0
                                        ; implicit-def: $sgpr22
	s_and_saveexec_b64 s[18:19], s[0:1]
	s_xor_b64 s[18:19], exec, s[18:19]
	s_cbranch_execnz .LBB222_131
; %bb.63:                               ;   in Loop: Header=BB222_49 Depth=1
	s_or_saveexec_b64 s[18:19], s[18:19]
	v_mov_b32_e32 v21, s22
	s_xor_b64 exec, exec, s[18:19]
	s_cbranch_execnz .LBB222_134
.LBB222_64:                             ;   in Loop: Header=BB222_49 Depth=1
	s_or_b64 exec, exec, s[18:19]
	s_and_saveexec_b64 s[18:19], s[2:3]
	s_cbranch_execz .LBB222_66
.LBB222_65:                             ;   in Loop: Header=BB222_49 Depth=1
	v_bfe_u32 v21, v16, 24, 3
	v_ffbh_u32_e32 v31, v21
	v_bfe_u32 v16, v16, 27, 4
	v_min_u32_e32 v31, 32, v31
	v_subrev_u32_e32 v36, 28, v31
	v_sub_u32_e32 v31, 29, v31
	v_cmp_eq_u32_e64 s[0:1], 0, v16
	v_lshlrev_b64 v[36:37], v36, v[6:7]
	v_and_b32_e32 v36, 7, v36
	v_cndmask_b32_e64 v16, v16, v31, s[0:1]
	v_lshlrev_b32_e32 v6, 8, v6
	v_lshl_add_u32 v16, v16, 10, v27
	v_cndmask_b32_e64 v21, v21, v36, s[0:1]
	v_and_or_b32 v6, v6, s42, v16
	v_lshl_or_b32 v6, v21, 7, v6
	v_cvt_f32_f16_e32 v21, v6
.LBB222_66:                             ;   in Loop: Header=BB222_49 Depth=1
	s_or_b64 exec, exec, s[18:19]
	v_cmp_gt_i16_sdwa s[2:3], v17, s34 src0_sel:BYTE_0 src1_sel:DWORD
	s_mov_b64 s[0:1], 0
                                        ; implicit-def: $sgpr20
	s_and_saveexec_b64 s[18:19], s[2:3]
	s_xor_b64 s[2:3], exec, s[18:19]
	s_cbranch_execnz .LBB222_135
; %bb.67:                               ;   in Loop: Header=BB222_49 Depth=1
	s_or_saveexec_b64 s[2:3], s[2:3]
	v_mov_b32_e32 v16, s20
	s_xor_b64 exec, exec, s[2:3]
	s_cbranch_execnz .LBB222_138
.LBB222_68:                             ;   in Loop: Header=BB222_49 Depth=1
	s_or_b64 exec, exec, s[2:3]
	v_mov_b32_e32 v6, v17
	s_and_saveexec_b64 s[2:3], s[0:1]
	s_cbranch_execz .LBB222_70
.LBB222_69:                             ;   in Loop: Header=BB222_49 Depth=1
	v_and_b32_e32 v16, 7, v17
	v_ffbh_u32_e32 v16, v16
	v_bfe_u32 v31, v17, 3, 4
	v_min_u32_e32 v16, 32, v16
	v_subrev_u32_e32 v36, 28, v16
	v_sub_u32_e32 v16, 29, v16
	v_cmp_eq_u32_e64 s[0:1], 0, v31
	s_nop 1
	v_cndmask_b32_e64 v16, v31, v16, s[0:1]
	v_cndmask_b32_e64 v31, 0, v36, s[0:1]
	v_lshlrev_b64 v[36:37], v31, v[6:7]
	v_lshlrev_b32_e32 v31, 7, v36
	v_lshlrev_b32_e32 v36, 8, v17
	v_lshl_add_u32 v16, v16, 10, v27
	v_and_or_b32 v16, v36, s42, v16
	v_and_or_b32 v16, v31, s43, v16
	v_cvt_f32_f16_e32 v16, v16
.LBB222_70:                             ;   in Loop: Header=BB222_49 Depth=1
	s_or_b64 exec, exec, s[2:3]
	v_lshrrev_b16_e32 v6, 8, v6
	v_cmp_lt_i16_e64 s[0:1], s34, v6
	s_mov_b64 s[2:3], 0
                                        ; implicit-def: $sgpr22
	s_and_saveexec_b64 s[18:19], s[0:1]
	s_xor_b64 s[18:19], exec, s[18:19]
	s_cbranch_execnz .LBB222_139
; %bb.71:                               ;   in Loop: Header=BB222_49 Depth=1
	s_or_saveexec_b64 s[18:19], s[18:19]
	v_mov_b32_e32 v31, s22
	s_xor_b64 exec, exec, s[18:19]
	s_cbranch_execnz .LBB222_142
.LBB222_72:                             ;   in Loop: Header=BB222_49 Depth=1
	s_or_b64 exec, exec, s[18:19]
	s_and_saveexec_b64 s[18:19], s[2:3]
	s_cbranch_execz .LBB222_74
.LBB222_73:                             ;   in Loop: Header=BB222_49 Depth=1
	v_and_b32_e32 v31, 7, v6
	v_ffbh_u32_e32 v36, v31
	v_min_u32_e32 v39, 32, v36
	v_subrev_u32_e32 v36, 28, v39
	v_bfe_u32 v38, v6, 3, 4
	v_lshlrev_b64 v[36:37], v36, v[6:7]
	v_sub_u32_e32 v37, 29, v39
	v_cmp_eq_u32_e64 s[0:1], 0, v38
	v_and_b32_e32 v36, 7, v36
	v_lshlrev_b32_e32 v6, 8, v6
	v_cndmask_b32_e64 v37, v38, v37, s[0:1]
	v_cndmask_b32_e64 v31, v31, v36, s[0:1]
	v_lshl_add_u32 v36, v37, 10, v27
	v_and_or_b32 v6, v6, s42, v36
	v_lshl_or_b32 v6, v31, 7, v6
	v_cvt_f32_f16_e32 v31, v6
.LBB222_74:                             ;   in Loop: Header=BB222_49 Depth=1
	s_or_b64 exec, exec, s[18:19]
	v_lshrrev_b32_e32 v6, 16, v17
	v_cmp_gt_i16_sdwa s[2:3], v6, s34 src0_sel:BYTE_0 src1_sel:DWORD
	s_mov_b64 s[0:1], 0
                                        ; implicit-def: $sgpr20
	s_and_saveexec_b64 s[18:19], s[2:3]
	s_xor_b64 s[2:3], exec, s[18:19]
	s_cbranch_execnz .LBB222_143
; %bb.75:                               ;   in Loop: Header=BB222_49 Depth=1
	s_or_saveexec_b64 s[2:3], s[2:3]
	v_mov_b32_e32 v36, s20
	s_xor_b64 exec, exec, s[2:3]
	s_cbranch_execnz .LBB222_146
.LBB222_76:                             ;   in Loop: Header=BB222_49 Depth=1
	s_or_b64 exec, exec, s[2:3]
	s_and_saveexec_b64 s[2:3], s[0:1]
	s_cbranch_execz .LBB222_78
.LBB222_77:                             ;   in Loop: Header=BB222_49 Depth=1
	v_bfe_u32 v38, v17, 16, 3
	v_ffbh_u32_e32 v36, v38
	v_min_u32_e32 v40, 32, v36
	v_subrev_u32_e32 v36, 28, v40
	v_bfe_u32 v39, v17, 19, 4
	v_lshlrev_b64 v[36:37], v36, v[6:7]
	v_sub_u32_e32 v37, 29, v40
	v_cmp_eq_u32_e64 s[0:1], 0, v39
	v_and_b32_e32 v36, 7, v36
	v_lshlrev_b32_e32 v6, 8, v6
	v_cndmask_b32_e64 v37, v39, v37, s[0:1]
	v_lshl_add_u32 v37, v37, 10, v27
	v_cndmask_b32_e64 v36, v38, v36, s[0:1]
	v_and_or_b32 v6, v6, s42, v37
	v_lshl_or_b32 v6, v36, 7, v6
	v_cvt_f32_f16_e32 v36, v6
.LBB222_78:                             ;   in Loop: Header=BB222_49 Depth=1
	s_or_b64 exec, exec, s[2:3]
	v_lshrrev_b32_e32 v6, 24, v17
	v_cmp_lt_i16_e64 s[0:1], s34, v6
	s_mov_b64 s[2:3], 0
                                        ; implicit-def: $sgpr22
	s_and_saveexec_b64 s[18:19], s[0:1]
	s_xor_b64 s[18:19], exec, s[18:19]
	s_cbranch_execnz .LBB222_147
; %bb.79:                               ;   in Loop: Header=BB222_49 Depth=1
	s_or_saveexec_b64 s[18:19], s[18:19]
	v_mov_b32_e32 v37, s22
	s_xor_b64 exec, exec, s[18:19]
	s_cbranch_execnz .LBB222_150
.LBB222_80:                             ;   in Loop: Header=BB222_49 Depth=1
	s_or_b64 exec, exec, s[18:19]
	s_and_saveexec_b64 s[18:19], s[2:3]
	s_cbranch_execz .LBB222_82
.LBB222_81:                             ;   in Loop: Header=BB222_49 Depth=1
	v_bfe_u32 v37, v17, 24, 3
	v_ffbh_u32_e32 v38, v37
	v_min_u32_e32 v40, 32, v38
	v_subrev_u32_e32 v38, 28, v40
	v_bfe_u32 v17, v17, 27, 4
	v_lshlrev_b64 v[38:39], v38, v[6:7]
	v_sub_u32_e32 v39, 29, v40
	v_cmp_eq_u32_e64 s[0:1], 0, v17
	v_and_b32_e32 v38, 7, v38
	v_lshlrev_b32_e32 v6, 8, v6
	v_cndmask_b32_e64 v17, v17, v39, s[0:1]
	v_lshl_add_u32 v17, v17, 10, v27
	v_cndmask_b32_e64 v37, v37, v38, s[0:1]
	v_and_or_b32 v6, v6, s42, v17
	v_lshl_or_b32 v6, v37, 7, v6
	v_cvt_f32_f16_e32 v37, v6
.LBB222_82:                             ;   in Loop: Header=BB222_49 Depth=1
	s_or_b64 exec, exec, s[18:19]
	s_waitcnt vmcnt(0)
	v_pk_mul_f32 v[20:21], v[14:15], v[20:21] op_sel_hi:[0,1]
	v_pk_mul_f32 v[18:19], v[14:15], v[18:19] op_sel_hi:[0,1]
	v_cvt_f16_f32_e32 v6, v21
	v_cvt_f16_f32_e32 v17, v20
	;; [unrolled: 1-line block ×4, first 2 shown]
	v_fma_mixlo_f16 v16, v14, v16, 0
	v_pack_b32_f16 v17, v17, v6
	v_cmp_eq_u32_e64 s[2:3], s36, v1
	v_pack_b32_f16 v18, v18, v19
	v_perm_b32 v6, v18, v17, s47
	v_perm_b32 v17, v18, v17, s48
	v_fma_mixlo_f16 v18, v14, v31, 0
	v_lshlrev_b32_e32 v18, 16, v18
	v_or_b32_sdwa v16, v18, v16 dst_sel:DWORD dst_unused:UNUSED_PAD src0_sel:DWORD src1_sel:WORD_0
	v_fma_mixlo_f16 v18, v14, v36, 0
	v_fma_mixlo_f16 v14, v14, v37, 0
	v_lshlrev_b32_e32 v14, 16, v14
	v_or_b32_sdwa v14, v14, v18 dst_sel:DWORD dst_unused:UNUSED_PAD src0_sel:DWORD src1_sel:WORD_0
	s_and_saveexec_b64 s[18:19], s[2:3]
	s_cbranch_execz .LBB222_84
; %bb.83:                               ;   in Loop: Header=BB222_49 Depth=1
	v_add_u32_e32 v19, 1, v3
	v_lshrrev_b32_e32 v20, 16, v17
	v_cmp_gt_i32_e64 s[0:1], s41, v19
	v_lshrrev_b32_e32 v21, 16, v6
	v_lshrrev_b32_e32 v14, 16, v14
	v_cndmask_b32_e64 v19, 0, v20, s[0:1]
	v_cmp_gt_i32_e64 s[0:1], s25, v3
	v_or_b32_e32 v20, 2, v3
	s_nop 0
	v_cndmask_b32_e64 v17, 0, v17, s[0:1]
	v_perm_b32 v17, v19, v17, s49
	v_or_b32_e32 v19, 3, v3
	v_cmp_gt_i32_e64 s[0:1], s41, v19
	s_nop 1
	v_cndmask_b32_e64 v19, 0, v21, s[0:1]
	v_cmp_gt_i32_e64 s[0:1], s25, v20
	v_or_b32_e32 v20, 4, v3
	v_lshrrev_b32_e32 v21, 16, v16
	v_cndmask_b32_e64 v6, 0, v6, s[0:1]
	v_perm_b32 v6, v19, v6, s49
	v_or_b32_e32 v19, 5, v3
	v_cmp_gt_i32_e64 s[0:1], s41, v19
	s_nop 1
	v_cndmask_b32_e64 v19, 0, v21, s[0:1]
	v_cmp_gt_i32_e64 s[0:1], s25, v20
	v_or_b32_e32 v20, 6, v3
	s_nop 0
	v_cndmask_b32_e64 v16, 0, v16, s[0:1]
	v_perm_b32 v16, v19, v16, s49
	v_or_b32_e32 v19, 7, v3
	v_cmp_gt_i32_e64 s[0:1], s41, v19
	s_nop 1
	v_cndmask_b32_e64 v14, 0, v14, s[0:1]
	v_cmp_gt_i32_e64 s[0:1], s25, v20
	s_nop 1
	v_cndmask_b32_e64 v18, 0, v18, s[0:1]
	v_perm_b32 v14, v14, v18, s49
.LBB222_84:                             ;   in Loop: Header=BB222_49 Depth=1
	s_or_b64 exec, exec, s[18:19]
	v_and_b32_e32 v15, 0xffff, v15
	v_lshl_or_b32 v31, v28, 16, v15
	v_and_b32_e32 v15, 0xffff, v29
	v_lshl_or_b32 v30, v30, 16, v15
	;; [unrolled: 2-line block ×4, first 2 shown]
	;;#ASMSTART
	v_pk_mul_f16 v15, v31, v17;

	;;#ASMEND
	;;#ASMSTART
	v_pk_mul_f16 v6, v30, v6;

	;;#ASMEND
	;; [unrolled: 4-line block ×4, first 2 shown]
	s_nop 0
	;;#ASMSTART
	v_pk_add_f16 v6, v15, v6;

	;;#ASMEND
	s_nop 0
	;;#ASMSTART
	v_pk_add_f16 v6, v6, v16;

	;;#ASMEND
	;; [unrolled: 5-line block ×3, first 2 shown]
	s_nop 0
	v_lshrrev_b32_e32 v14, 16, v6
	v_and_b32_e32 v6, 0xffff, v6
	;;#ASMSTART
	v_cvt_f32_f16 v20, v6;
	;;#ASMEND
	;;#ASMSTART
	v_cvt_f32_f16 v21, v14;
	;;#ASMEND
	s_and_saveexec_b64 s[18:19], vcc
	s_cbranch_execz .LBB222_47
; %bb.85:                               ;   in Loop: Header=BB222_49 Depth=1
	v_lshl_add_u64 v[16:17], v[12:13], 0, v[8:9]
	global_load_dwordx2 v[14:15], v[16:17], off
	global_load_dword v12, v7, s[14:15]
	s_mov_b64 s[0:1], 0
                                        ; implicit-def: $sgpr30
	s_waitcnt vmcnt(1)
	v_cmp_gt_i16_sdwa s[20:21], v14, s34 src0_sel:BYTE_0 src1_sel:DWORD
	s_and_saveexec_b64 s[22:23], s[20:21]
	s_xor_b64 s[20:21], exec, s[22:23]
	s_cbranch_execnz .LBB222_151
; %bb.86:                               ;   in Loop: Header=BB222_49 Depth=1
	s_or_saveexec_b64 s[20:21], s[20:21]
	v_mov_b32_e32 v16, s30
	s_xor_b64 exec, exec, s[20:21]
	s_cbranch_execnz .LBB222_154
.LBB222_87:                             ;   in Loop: Header=BB222_49 Depth=1
	s_or_b64 exec, exec, s[20:21]
	s_and_saveexec_b64 s[20:21], s[0:1]
	s_cbranch_execz .LBB222_89
.LBB222_88:                             ;   in Loop: Header=BB222_49 Depth=1
	v_and_b32_e32 v6, 7, v14
	v_ffbh_u32_e32 v6, v6
	v_bfe_u32 v13, v14, 3, 4
	v_min_u32_e32 v6, 32, v6
	v_subrev_u32_e32 v16, 28, v6
	v_sub_u32_e32 v6, 29, v6
	v_cmp_eq_u32_e64 s[0:1], 0, v13
	s_nop 1
	v_cndmask_b32_e64 v6, v13, v6, s[0:1]
	v_cndmask_b32_e64 v13, 0, v16, s[0:1]
	v_lshlrev_b64 v[16:17], v13, v[14:15]
	v_lshlrev_b32_e32 v13, 7, v16
	v_lshlrev_b32_e32 v16, 8, v14
	v_lshl_add_u32 v6, v6, 10, v27
	v_and_or_b32 v6, v16, s42, v6
	v_and_or_b32 v6, v13, s43, v6
	v_cvt_f32_f16_e32 v16, v6
.LBB222_89:                             ;   in Loop: Header=BB222_49 Depth=1
	s_or_b64 exec, exec, s[20:21]
	v_lshrrev_b16_e32 v6, 8, v14
	v_cmp_lt_i16_e64 s[0:1], s34, v6
	s_mov_b64 s[20:21], 0
                                        ; implicit-def: $sgpr50
	s_and_saveexec_b64 s[22:23], s[0:1]
	s_xor_b64 s[22:23], exec, s[22:23]
	s_cbranch_execnz .LBB222_155
; %bb.90:                               ;   in Loop: Header=BB222_49 Depth=1
	s_or_saveexec_b64 s[22:23], s[22:23]
	v_mov_b32_e32 v18, s50
	s_xor_b64 exec, exec, s[22:23]
	s_cbranch_execnz .LBB222_158
.LBB222_91:                             ;   in Loop: Header=BB222_49 Depth=1
	s_or_b64 exec, exec, s[22:23]
	s_and_saveexec_b64 s[22:23], s[20:21]
	s_cbranch_execz .LBB222_93
.LBB222_92:                             ;   in Loop: Header=BB222_49 Depth=1
	v_and_b32_e32 v13, 7, v6
	v_ffbh_u32_e32 v18, v13
	v_min_u32_e32 v32, 32, v18
	v_subrev_u32_e32 v18, 28, v32
	v_bfe_u32 v17, v6, 3, 4
	v_lshlrev_b64 v[18:19], v18, v[6:7]
	v_sub_u32_e32 v19, 29, v32
	v_cmp_eq_u32_e64 s[0:1], 0, v17
	v_and_b32_e32 v18, 7, v18
	v_lshlrev_b32_e32 v6, 8, v6
	v_cndmask_b32_e64 v17, v17, v19, s[0:1]
	v_lshl_add_u32 v17, v17, 10, v27
	v_cndmask_b32_e64 v13, v13, v18, s[0:1]
	v_and_or_b32 v6, v6, s42, v17
	v_lshl_or_b32 v6, v13, 7, v6
	v_cvt_f32_f16_e32 v18, v6
.LBB222_93:                             ;   in Loop: Header=BB222_49 Depth=1
	s_or_b64 exec, exec, s[22:23]
	v_lshrrev_b32_e32 v6, 16, v14
	v_cmp_gt_i16_sdwa s[20:21], v6, s34 src0_sel:BYTE_0 src1_sel:DWORD
	s_mov_b64 s[0:1], 0
                                        ; implicit-def: $sgpr30
	s_and_saveexec_b64 s[22:23], s[20:21]
	s_xor_b64 s[20:21], exec, s[22:23]
	s_cbranch_execnz .LBB222_159
; %bb.94:                               ;   in Loop: Header=BB222_49 Depth=1
	s_or_saveexec_b64 s[20:21], s[20:21]
	v_mov_b32_e32 v17, s30
	s_xor_b64 exec, exec, s[20:21]
	s_cbranch_execnz .LBB222_162
.LBB222_95:                             ;   in Loop: Header=BB222_49 Depth=1
	s_or_b64 exec, exec, s[20:21]
	s_and_saveexec_b64 s[20:21], s[0:1]
	s_cbranch_execz .LBB222_97
.LBB222_96:                             ;   in Loop: Header=BB222_49 Depth=1
	v_bfe_u32 v13, v14, 16, 3
	v_ffbh_u32_e32 v19, v13
	v_bfe_u32 v17, v14, 19, 4
	v_min_u32_e32 v19, 32, v19
	v_subrev_u32_e32 v32, 28, v19
	v_sub_u32_e32 v19, 29, v19
	v_cmp_eq_u32_e64 s[0:1], 0, v17
	v_lshlrev_b64 v[32:33], v32, v[6:7]
	v_and_b32_e32 v32, 7, v32
	v_cndmask_b32_e64 v17, v17, v19, s[0:1]
	v_lshlrev_b32_e32 v6, 8, v6
	v_lshl_add_u32 v17, v17, 10, v27
	v_cndmask_b32_e64 v13, v13, v32, s[0:1]
	v_and_or_b32 v6, v6, s42, v17
	v_lshl_or_b32 v6, v13, 7, v6
	v_cvt_f32_f16_e32 v17, v6
.LBB222_97:                             ;   in Loop: Header=BB222_49 Depth=1
	s_or_b64 exec, exec, s[20:21]
	v_lshrrev_b32_e32 v6, 24, v14
	v_cmp_lt_i16_e64 s[0:1], s34, v6
	s_mov_b64 s[20:21], 0
                                        ; implicit-def: $sgpr50
	s_and_saveexec_b64 s[22:23], s[0:1]
	s_xor_b64 s[22:23], exec, s[22:23]
	s_cbranch_execnz .LBB222_163
; %bb.98:                               ;   in Loop: Header=BB222_49 Depth=1
	s_or_saveexec_b64 s[22:23], s[22:23]
	v_mov_b32_e32 v19, s50
	s_xor_b64 exec, exec, s[22:23]
	s_cbranch_execnz .LBB222_166
.LBB222_99:                             ;   in Loop: Header=BB222_49 Depth=1
	s_or_b64 exec, exec, s[22:23]
	s_and_saveexec_b64 s[22:23], s[20:21]
	s_cbranch_execz .LBB222_101
.LBB222_100:                            ;   in Loop: Header=BB222_49 Depth=1
	v_bfe_u32 v13, v14, 24, 3
	v_ffbh_u32_e32 v19, v13
	v_bfe_u32 v14, v14, 27, 4
	v_min_u32_e32 v19, 32, v19
	v_subrev_u32_e32 v32, 28, v19
	v_sub_u32_e32 v19, 29, v19
	v_cmp_eq_u32_e64 s[0:1], 0, v14
	v_lshlrev_b64 v[32:33], v32, v[6:7]
	v_and_b32_e32 v32, 7, v32
	v_cndmask_b32_e64 v14, v14, v19, s[0:1]
	v_lshlrev_b32_e32 v6, 8, v6
	v_lshl_add_u32 v14, v14, 10, v27
	v_cndmask_b32_e64 v13, v13, v32, s[0:1]
	v_and_or_b32 v6, v6, s42, v14
	v_lshl_or_b32 v6, v13, 7, v6
	v_cvt_f32_f16_e32 v19, v6
.LBB222_101:                            ;   in Loop: Header=BB222_49 Depth=1
	s_or_b64 exec, exec, s[22:23]
	v_cmp_gt_i16_sdwa s[20:21], v15, s34 src0_sel:BYTE_0 src1_sel:DWORD
	s_mov_b64 s[0:1], 0
                                        ; implicit-def: $sgpr30
	s_and_saveexec_b64 s[22:23], s[20:21]
	s_xor_b64 s[20:21], exec, s[22:23]
	s_cbranch_execnz .LBB222_167
; %bb.102:                              ;   in Loop: Header=BB222_49 Depth=1
	s_or_saveexec_b64 s[20:21], s[20:21]
	v_mov_b32_e32 v13, s30
	s_xor_b64 exec, exec, s[20:21]
	s_cbranch_execnz .LBB222_170
.LBB222_103:                            ;   in Loop: Header=BB222_49 Depth=1
	s_or_b64 exec, exec, s[20:21]
	v_mov_b32_e32 v6, v15
	s_and_saveexec_b64 s[20:21], s[0:1]
	s_cbranch_execz .LBB222_105
.LBB222_104:                            ;   in Loop: Header=BB222_49 Depth=1
	v_and_b32_e32 v13, 7, v15
	v_ffbh_u32_e32 v13, v13
	v_bfe_u32 v14, v15, 3, 4
	v_min_u32_e32 v13, 32, v13
	v_subrev_u32_e32 v32, 28, v13
	v_sub_u32_e32 v13, 29, v13
	v_cmp_eq_u32_e64 s[0:1], 0, v14
	s_nop 1
	v_cndmask_b32_e64 v13, v14, v13, s[0:1]
	v_cndmask_b32_e64 v14, 0, v32, s[0:1]
	v_lshlrev_b64 v[32:33], v14, v[6:7]
	v_lshlrev_b32_e32 v14, 7, v32
	v_lshlrev_b32_e32 v32, 8, v15
	v_lshl_add_u32 v13, v13, 10, v27
	v_and_or_b32 v13, v32, s42, v13
	v_and_or_b32 v13, v14, s43, v13
	v_cvt_f32_f16_e32 v13, v13
.LBB222_105:                            ;   in Loop: Header=BB222_49 Depth=1
	s_or_b64 exec, exec, s[20:21]
	v_lshrrev_b16_e32 v6, 8, v6
	v_cmp_lt_i16_e64 s[0:1], s34, v6
	s_mov_b64 s[20:21], 0
                                        ; implicit-def: $sgpr50
	s_and_saveexec_b64 s[22:23], s[0:1]
	s_xor_b64 s[22:23], exec, s[22:23]
	s_cbranch_execnz .LBB222_171
; %bb.106:                              ;   in Loop: Header=BB222_49 Depth=1
	s_or_saveexec_b64 s[22:23], s[22:23]
	v_mov_b32_e32 v14, s50
	s_xor_b64 exec, exec, s[22:23]
	s_cbranch_execnz .LBB222_174
.LBB222_107:                            ;   in Loop: Header=BB222_49 Depth=1
	s_or_b64 exec, exec, s[22:23]
	s_and_saveexec_b64 s[22:23], s[20:21]
	s_cbranch_execz .LBB222_109
.LBB222_108:                            ;   in Loop: Header=BB222_49 Depth=1
	v_and_b32_e32 v14, 7, v6
	v_ffbh_u32_e32 v32, v14
	v_min_u32_e32 v35, 32, v32
	v_subrev_u32_e32 v32, 28, v35
	v_bfe_u32 v34, v6, 3, 4
	v_lshlrev_b64 v[32:33], v32, v[6:7]
	v_sub_u32_e32 v33, 29, v35
	v_cmp_eq_u32_e64 s[0:1], 0, v34
	v_and_b32_e32 v32, 7, v32
	v_lshlrev_b32_e32 v6, 8, v6
	v_cndmask_b32_e64 v33, v34, v33, s[0:1]
	v_cndmask_b32_e64 v14, v14, v32, s[0:1]
	v_lshl_add_u32 v32, v33, 10, v27
	v_and_or_b32 v6, v6, s42, v32
	v_lshl_or_b32 v6, v14, 7, v6
	v_cvt_f32_f16_e32 v14, v6
.LBB222_109:                            ;   in Loop: Header=BB222_49 Depth=1
	s_or_b64 exec, exec, s[22:23]
	v_lshrrev_b32_e32 v6, 16, v15
	v_cmp_gt_i16_sdwa s[20:21], v6, s34 src0_sel:BYTE_0 src1_sel:DWORD
	s_mov_b64 s[0:1], 0
                                        ; implicit-def: $sgpr30
	s_and_saveexec_b64 s[22:23], s[20:21]
	s_xor_b64 s[20:21], exec, s[22:23]
	s_cbranch_execnz .LBB222_175
; %bb.110:                              ;   in Loop: Header=BB222_49 Depth=1
	s_or_saveexec_b64 s[20:21], s[20:21]
	v_mov_b32_e32 v32, s30
	s_xor_b64 exec, exec, s[20:21]
	s_cbranch_execnz .LBB222_178
.LBB222_111:                            ;   in Loop: Header=BB222_49 Depth=1
	s_or_b64 exec, exec, s[20:21]
	s_and_saveexec_b64 s[20:21], s[0:1]
	s_cbranch_execz .LBB222_113
.LBB222_112:                            ;   in Loop: Header=BB222_49 Depth=1
	v_bfe_u32 v34, v15, 16, 3
	v_ffbh_u32_e32 v32, v34
	v_min_u32_e32 v36, 32, v32
	v_subrev_u32_e32 v32, 28, v36
	v_bfe_u32 v35, v15, 19, 4
	v_lshlrev_b64 v[32:33], v32, v[6:7]
	v_sub_u32_e32 v33, 29, v36
	v_cmp_eq_u32_e64 s[0:1], 0, v35
	v_and_b32_e32 v32, 7, v32
	v_lshlrev_b32_e32 v6, 8, v6
	v_cndmask_b32_e64 v33, v35, v33, s[0:1]
	v_lshl_add_u32 v33, v33, 10, v27
	v_cndmask_b32_e64 v32, v34, v32, s[0:1]
	v_and_or_b32 v6, v6, s42, v33
	v_lshl_or_b32 v6, v32, 7, v6
	v_cvt_f32_f16_e32 v32, v6
.LBB222_113:                            ;   in Loop: Header=BB222_49 Depth=1
	s_or_b64 exec, exec, s[20:21]
	v_lshrrev_b32_e32 v6, 24, v15
	v_cmp_lt_i16_e64 s[0:1], s34, v6
	s_mov_b64 s[20:21], 0
                                        ; implicit-def: $sgpr50
	s_and_saveexec_b64 s[22:23], s[0:1]
	s_xor_b64 s[22:23], exec, s[22:23]
	s_cbranch_execnz .LBB222_179
; %bb.114:                              ;   in Loop: Header=BB222_49 Depth=1
	s_or_saveexec_b64 s[22:23], s[22:23]
	v_mov_b32_e32 v33, s50
	s_xor_b64 exec, exec, s[22:23]
	s_cbranch_execnz .LBB222_182
.LBB222_115:                            ;   in Loop: Header=BB222_49 Depth=1
	s_or_b64 exec, exec, s[22:23]
	s_and_saveexec_b64 s[22:23], s[20:21]
	s_cbranch_execz .LBB222_117
.LBB222_116:                            ;   in Loop: Header=BB222_49 Depth=1
	v_bfe_u32 v33, v15, 24, 3
	v_ffbh_u32_e32 v34, v33
	v_min_u32_e32 v36, 32, v34
	v_subrev_u32_e32 v34, 28, v36
	v_bfe_u32 v15, v15, 27, 4
	v_lshlrev_b64 v[34:35], v34, v[6:7]
	v_sub_u32_e32 v35, 29, v36
	v_cmp_eq_u32_e64 s[0:1], 0, v15
	v_and_b32_e32 v34, 7, v34
	v_lshlrev_b32_e32 v6, 8, v6
	v_cndmask_b32_e64 v15, v15, v35, s[0:1]
	v_lshl_add_u32 v15, v15, 10, v27
	v_cndmask_b32_e64 v33, v33, v34, s[0:1]
	v_and_or_b32 v6, v6, s42, v15
	v_lshl_or_b32 v6, v33, 7, v6
	v_cvt_f32_f16_e32 v33, v6
.LBB222_117:                            ;   in Loop: Header=BB222_49 Depth=1
	s_or_b64 exec, exec, s[22:23]
	s_waitcnt vmcnt(0)
	v_pk_mul_f32 v[18:19], v[12:13], v[18:19] op_sel_hi:[0,1]
	v_pk_mul_f32 v[16:17], v[12:13], v[16:17] op_sel_hi:[0,1]
	v_cvt_f16_f32_e32 v6, v19
	v_cvt_f16_f32_e32 v15, v18
	;; [unrolled: 1-line block ×4, first 2 shown]
	v_fma_mixlo_f16 v14, v12, v14, 0
	v_lshlrev_b32_e32 v14, 16, v14
	v_fma_mixlo_f16 v13, v12, v13, 0
	v_or_b32_sdwa v13, v14, v13 dst_sel:DWORD dst_unused:UNUSED_PAD src0_sel:DWORD src1_sel:WORD_0
	v_fma_mixlo_f16 v14, v12, v32, 0
	v_fma_mixlo_f16 v12, v12, v33, 0
	v_pack_b32_f16 v15, v15, v6
	v_pack_b32_f16 v16, v16, v17
	v_lshlrev_b32_e32 v12, 16, v12
	v_perm_b32 v6, v16, v15, s47
	v_perm_b32 v15, v16, v15, s48
	v_or_b32_sdwa v12, v12, v14 dst_sel:DWORD dst_unused:UNUSED_PAD src0_sel:DWORD src1_sel:WORD_0
	s_and_saveexec_b64 s[20:21], s[2:3]
	s_cbranch_execz .LBB222_46
; %bb.118:                              ;   in Loop: Header=BB222_49 Depth=1
	v_add_u32_e32 v16, 1, v3
	v_lshrrev_b32_e32 v17, 16, v15
	v_cmp_gt_i32_e64 s[0:1], s41, v16
	v_lshrrev_b32_e32 v18, 16, v6
	v_lshrrev_b32_e32 v12, 16, v12
	v_cndmask_b32_e64 v16, 0, v17, s[0:1]
	v_cmp_gt_i32_e64 s[0:1], s25, v3
	v_or_b32_e32 v17, 2, v3
	s_nop 0
	v_cndmask_b32_e64 v15, 0, v15, s[0:1]
	v_perm_b32 v15, v16, v15, s49
	v_or_b32_e32 v16, 3, v3
	v_cmp_gt_i32_e64 s[0:1], s41, v16
	s_nop 1
	v_cndmask_b32_e64 v16, 0, v18, s[0:1]
	v_cmp_gt_i32_e64 s[0:1], s25, v17
	v_or_b32_e32 v17, 4, v3
	v_lshrrev_b32_e32 v18, 16, v13
	v_cndmask_b32_e64 v6, 0, v6, s[0:1]
	v_perm_b32 v6, v16, v6, s49
	v_or_b32_e32 v16, 5, v3
	v_cmp_gt_i32_e64 s[0:1], s41, v16
	s_nop 1
	v_cndmask_b32_e64 v16, 0, v18, s[0:1]
	v_cmp_gt_i32_e64 s[0:1], s25, v17
	v_or_b32_e32 v17, 6, v3
	s_nop 0
	v_cndmask_b32_e64 v13, 0, v13, s[0:1]
	v_perm_b32 v13, v16, v13, s49
	v_or_b32_e32 v16, 7, v3
	v_cmp_gt_i32_e64 s[0:1], s41, v16
	s_nop 1
	v_cndmask_b32_e64 v12, 0, v12, s[0:1]
	v_cmp_gt_i32_e64 s[0:1], s25, v17
	s_nop 1
	v_cndmask_b32_e64 v14, 0, v14, s[0:1]
	v_perm_b32 v12, v12, v14, s49
	s_branch .LBB222_46
.LBB222_119:                            ;   in Loop: Header=BB222_49 Depth=1
	v_cmp_eq_u16_sdwa s[22:23], v16, s35 src0_sel:BYTE_0 src1_sel:DWORD
	s_mov_b64 s[0:1], -1
                                        ; implicit-def: $sgpr20
	s_and_saveexec_b64 s[18:19], s[22:23]
; %bb.120:                              ;   in Loop: Header=BB222_49 Depth=1
	s_mov_b32 s20, 0x7fc02000
	s_xor_b64 s[0:1], exec, -1
; %bb.121:                              ;   in Loop: Header=BB222_49 Depth=1
	s_or_b64 exec, exec, s[18:19]
	s_and_b64 s[0:1], s[0:1], exec
	s_or_saveexec_b64 s[2:3], s[2:3]
	v_mov_b32_e32 v18, s20
	s_xor_b64 exec, exec, s[2:3]
	s_cbranch_execz .LBB222_52
.LBB222_122:                            ;   in Loop: Header=BB222_49 Depth=1
	v_cmp_ne_u16_sdwa s[18:19], v16, v7 src0_sel:BYTE_0 src1_sel:DWORD
	s_andn2_b64 s[0:1], s[0:1], exec
	s_and_b64 s[18:19], s[18:19], exec
	v_mov_b32_e32 v18, 0
	s_or_b64 s[0:1], s[0:1], s[18:19]
	s_or_b64 exec, exec, s[2:3]
	s_and_saveexec_b64 s[2:3], s[0:1]
	s_cbranch_execnz .LBB222_53
	s_branch .LBB222_54
.LBB222_123:                            ;   in Loop: Header=BB222_49 Depth=1
	v_cmp_eq_u16_e64 s[0:1], s35, v6
	s_mov_b64 s[2:3], -1
                                        ; implicit-def: $sgpr22
	s_and_saveexec_b64 s[20:21], s[0:1]
; %bb.124:                              ;   in Loop: Header=BB222_49 Depth=1
	s_mov_b32 s22, 0x7fc02000
	s_xor_b64 s[2:3], exec, -1
; %bb.125:                              ;   in Loop: Header=BB222_49 Depth=1
	s_or_b64 exec, exec, s[20:21]
	s_and_b64 s[2:3], s[2:3], exec
	s_or_saveexec_b64 s[18:19], s[18:19]
	v_mov_b32_e32 v20, s22
	s_xor_b64 exec, exec, s[18:19]
	s_cbranch_execz .LBB222_56
.LBB222_126:                            ;   in Loop: Header=BB222_49 Depth=1
	v_cmp_ne_u16_e64 s[0:1], 0, v6
	s_andn2_b64 s[2:3], s[2:3], exec
	s_and_b64 s[0:1], s[0:1], exec
	v_mov_b32_e32 v20, 0
	s_or_b64 s[2:3], s[2:3], s[0:1]
	s_or_b64 exec, exec, s[18:19]
	s_and_saveexec_b64 s[18:19], s[2:3]
	s_cbranch_execnz .LBB222_57
	s_branch .LBB222_58
.LBB222_127:                            ;   in Loop: Header=BB222_49 Depth=1
	v_cmp_eq_u16_sdwa s[22:23], v6, s35 src0_sel:BYTE_0 src1_sel:DWORD
	s_mov_b64 s[0:1], -1
                                        ; implicit-def: $sgpr20
	s_and_saveexec_b64 s[18:19], s[22:23]
; %bb.128:                              ;   in Loop: Header=BB222_49 Depth=1
	s_mov_b32 s20, 0x7fc02000
	s_xor_b64 s[0:1], exec, -1
; %bb.129:                              ;   in Loop: Header=BB222_49 Depth=1
	s_or_b64 exec, exec, s[18:19]
	s_and_b64 s[0:1], s[0:1], exec
	s_or_saveexec_b64 s[2:3], s[2:3]
	v_mov_b32_e32 v19, s20
	s_xor_b64 exec, exec, s[2:3]
	s_cbranch_execz .LBB222_60
.LBB222_130:                            ;   in Loop: Header=BB222_49 Depth=1
	v_cmp_ne_u16_sdwa s[18:19], v6, v7 src0_sel:BYTE_0 src1_sel:DWORD
	s_andn2_b64 s[0:1], s[0:1], exec
	s_and_b64 s[18:19], s[18:19], exec
	v_mov_b32_e32 v19, 0
	s_or_b64 s[0:1], s[0:1], s[18:19]
	s_or_b64 exec, exec, s[2:3]
	s_and_saveexec_b64 s[2:3], s[0:1]
	s_cbranch_execnz .LBB222_61
	s_branch .LBB222_62
.LBB222_131:                            ;   in Loop: Header=BB222_49 Depth=1
	v_cmp_eq_u16_e64 s[0:1], s35, v6
	s_mov_b64 s[2:3], -1
                                        ; implicit-def: $sgpr22
	s_and_saveexec_b64 s[20:21], s[0:1]
; %bb.132:                              ;   in Loop: Header=BB222_49 Depth=1
	s_mov_b32 s22, 0x7fc02000
	s_xor_b64 s[2:3], exec, -1
; %bb.133:                              ;   in Loop: Header=BB222_49 Depth=1
	s_or_b64 exec, exec, s[20:21]
	s_and_b64 s[2:3], s[2:3], exec
	s_or_saveexec_b64 s[18:19], s[18:19]
	v_mov_b32_e32 v21, s22
	s_xor_b64 exec, exec, s[18:19]
	s_cbranch_execz .LBB222_64
.LBB222_134:                            ;   in Loop: Header=BB222_49 Depth=1
	v_cmp_ne_u16_e64 s[0:1], 0, v6
	s_andn2_b64 s[2:3], s[2:3], exec
	s_and_b64 s[0:1], s[0:1], exec
	v_mov_b32_e32 v21, 0
	s_or_b64 s[2:3], s[2:3], s[0:1]
	s_or_b64 exec, exec, s[18:19]
	s_and_saveexec_b64 s[18:19], s[2:3]
	s_cbranch_execnz .LBB222_65
	s_branch .LBB222_66
.LBB222_135:                            ;   in Loop: Header=BB222_49 Depth=1
	v_cmp_eq_u16_sdwa s[22:23], v17, s35 src0_sel:BYTE_0 src1_sel:DWORD
	s_mov_b64 s[0:1], -1
                                        ; implicit-def: $sgpr20
	s_and_saveexec_b64 s[18:19], s[22:23]
; %bb.136:                              ;   in Loop: Header=BB222_49 Depth=1
	s_mov_b32 s20, 0x7fc02000
	s_xor_b64 s[0:1], exec, -1
; %bb.137:                              ;   in Loop: Header=BB222_49 Depth=1
	s_or_b64 exec, exec, s[18:19]
	s_and_b64 s[0:1], s[0:1], exec
	s_or_saveexec_b64 s[2:3], s[2:3]
	v_mov_b32_e32 v16, s20
	s_xor_b64 exec, exec, s[2:3]
	s_cbranch_execz .LBB222_68
.LBB222_138:                            ;   in Loop: Header=BB222_49 Depth=1
	v_cmp_ne_u16_sdwa s[18:19], v17, v7 src0_sel:BYTE_0 src1_sel:DWORD
	s_andn2_b64 s[0:1], s[0:1], exec
	s_and_b64 s[18:19], s[18:19], exec
	v_mov_b32_e32 v16, 0
	s_or_b64 s[0:1], s[0:1], s[18:19]
	s_or_b64 exec, exec, s[2:3]
	v_mov_b32_e32 v6, v17
	s_and_saveexec_b64 s[2:3], s[0:1]
	s_cbranch_execnz .LBB222_69
	s_branch .LBB222_70
.LBB222_139:                            ;   in Loop: Header=BB222_49 Depth=1
	v_cmp_eq_u16_e64 s[0:1], s35, v6
	s_mov_b64 s[2:3], -1
                                        ; implicit-def: $sgpr22
	s_and_saveexec_b64 s[20:21], s[0:1]
; %bb.140:                              ;   in Loop: Header=BB222_49 Depth=1
	s_mov_b32 s22, 0x7fc02000
	s_xor_b64 s[2:3], exec, -1
; %bb.141:                              ;   in Loop: Header=BB222_49 Depth=1
	s_or_b64 exec, exec, s[20:21]
	s_and_b64 s[2:3], s[2:3], exec
	s_or_saveexec_b64 s[18:19], s[18:19]
	v_mov_b32_e32 v31, s22
	s_xor_b64 exec, exec, s[18:19]
	s_cbranch_execz .LBB222_72
.LBB222_142:                            ;   in Loop: Header=BB222_49 Depth=1
	v_cmp_ne_u16_e64 s[0:1], 0, v6
	s_andn2_b64 s[2:3], s[2:3], exec
	s_and_b64 s[0:1], s[0:1], exec
	v_mov_b32_e32 v31, 0
	s_or_b64 s[2:3], s[2:3], s[0:1]
	s_or_b64 exec, exec, s[18:19]
	s_and_saveexec_b64 s[18:19], s[2:3]
	s_cbranch_execnz .LBB222_73
	s_branch .LBB222_74
.LBB222_143:                            ;   in Loop: Header=BB222_49 Depth=1
	v_cmp_eq_u16_sdwa s[22:23], v6, s35 src0_sel:BYTE_0 src1_sel:DWORD
	s_mov_b64 s[0:1], -1
                                        ; implicit-def: $sgpr20
	s_and_saveexec_b64 s[18:19], s[22:23]
; %bb.144:                              ;   in Loop: Header=BB222_49 Depth=1
	s_mov_b32 s20, 0x7fc02000
	s_xor_b64 s[0:1], exec, -1
; %bb.145:                              ;   in Loop: Header=BB222_49 Depth=1
	s_or_b64 exec, exec, s[18:19]
	s_and_b64 s[0:1], s[0:1], exec
	s_or_saveexec_b64 s[2:3], s[2:3]
	v_mov_b32_e32 v36, s20
	s_xor_b64 exec, exec, s[2:3]
	s_cbranch_execz .LBB222_76
.LBB222_146:                            ;   in Loop: Header=BB222_49 Depth=1
	v_cmp_ne_u16_sdwa s[18:19], v6, v7 src0_sel:BYTE_0 src1_sel:DWORD
	s_andn2_b64 s[0:1], s[0:1], exec
	s_and_b64 s[18:19], s[18:19], exec
	v_mov_b32_e32 v36, 0
	s_or_b64 s[0:1], s[0:1], s[18:19]
	s_or_b64 exec, exec, s[2:3]
	s_and_saveexec_b64 s[2:3], s[0:1]
	s_cbranch_execnz .LBB222_77
	s_branch .LBB222_78
.LBB222_147:                            ;   in Loop: Header=BB222_49 Depth=1
	v_cmp_eq_u16_e64 s[0:1], s35, v6
	s_mov_b64 s[2:3], -1
                                        ; implicit-def: $sgpr22
	s_and_saveexec_b64 s[20:21], s[0:1]
; %bb.148:                              ;   in Loop: Header=BB222_49 Depth=1
	s_mov_b32 s22, 0x7fc02000
	s_xor_b64 s[2:3], exec, -1
; %bb.149:                              ;   in Loop: Header=BB222_49 Depth=1
	s_or_b64 exec, exec, s[20:21]
	s_and_b64 s[2:3], s[2:3], exec
	s_or_saveexec_b64 s[18:19], s[18:19]
	v_mov_b32_e32 v37, s22
	s_xor_b64 exec, exec, s[18:19]
	s_cbranch_execz .LBB222_80
.LBB222_150:                            ;   in Loop: Header=BB222_49 Depth=1
	v_cmp_ne_u16_e64 s[0:1], 0, v6
	s_andn2_b64 s[2:3], s[2:3], exec
	s_and_b64 s[0:1], s[0:1], exec
	v_mov_b32_e32 v37, 0
	s_or_b64 s[2:3], s[2:3], s[0:1]
	s_or_b64 exec, exec, s[18:19]
	s_and_saveexec_b64 s[18:19], s[2:3]
	s_cbranch_execnz .LBB222_81
	s_branch .LBB222_82
.LBB222_151:                            ;   in Loop: Header=BB222_49 Depth=1
	v_cmp_eq_u16_sdwa s[50:51], v14, s35 src0_sel:BYTE_0 src1_sel:DWORD
	s_mov_b64 s[0:1], -1
                                        ; implicit-def: $sgpr30
	s_and_saveexec_b64 s[22:23], s[50:51]
; %bb.152:                              ;   in Loop: Header=BB222_49 Depth=1
	s_mov_b32 s30, 0x7fc02000
	s_xor_b64 s[0:1], exec, -1
; %bb.153:                              ;   in Loop: Header=BB222_49 Depth=1
	s_or_b64 exec, exec, s[22:23]
	s_and_b64 s[0:1], s[0:1], exec
	s_or_saveexec_b64 s[20:21], s[20:21]
	v_mov_b32_e32 v16, s30
	s_xor_b64 exec, exec, s[20:21]
	s_cbranch_execz .LBB222_87
.LBB222_154:                            ;   in Loop: Header=BB222_49 Depth=1
	v_cmp_ne_u16_sdwa s[22:23], v14, v7 src0_sel:BYTE_0 src1_sel:DWORD
	s_andn2_b64 s[0:1], s[0:1], exec
	s_and_b64 s[22:23], s[22:23], exec
	v_mov_b32_e32 v16, 0
	s_or_b64 s[0:1], s[0:1], s[22:23]
	s_or_b64 exec, exec, s[20:21]
	s_and_saveexec_b64 s[20:21], s[0:1]
	s_cbranch_execnz .LBB222_88
	s_branch .LBB222_89
.LBB222_155:                            ;   in Loop: Header=BB222_49 Depth=1
	v_cmp_eq_u16_e64 s[0:1], s35, v6
	s_mov_b64 s[20:21], -1
                                        ; implicit-def: $sgpr50
	s_and_saveexec_b64 s[30:31], s[0:1]
; %bb.156:                              ;   in Loop: Header=BB222_49 Depth=1
	s_mov_b32 s50, 0x7fc02000
	s_xor_b64 s[20:21], exec, -1
; %bb.157:                              ;   in Loop: Header=BB222_49 Depth=1
	s_or_b64 exec, exec, s[30:31]
	s_and_b64 s[20:21], s[20:21], exec
	s_or_saveexec_b64 s[22:23], s[22:23]
	v_mov_b32_e32 v18, s50
	s_xor_b64 exec, exec, s[22:23]
	s_cbranch_execz .LBB222_91
.LBB222_158:                            ;   in Loop: Header=BB222_49 Depth=1
	v_cmp_ne_u16_e64 s[0:1], 0, v6
	s_andn2_b64 s[20:21], s[20:21], exec
	s_and_b64 s[0:1], s[0:1], exec
	v_mov_b32_e32 v18, 0
	s_or_b64 s[20:21], s[20:21], s[0:1]
	s_or_b64 exec, exec, s[22:23]
	s_and_saveexec_b64 s[22:23], s[20:21]
	s_cbranch_execnz .LBB222_92
	s_branch .LBB222_93
.LBB222_159:                            ;   in Loop: Header=BB222_49 Depth=1
	v_cmp_eq_u16_sdwa s[50:51], v6, s35 src0_sel:BYTE_0 src1_sel:DWORD
	s_mov_b64 s[0:1], -1
                                        ; implicit-def: $sgpr30
	s_and_saveexec_b64 s[22:23], s[50:51]
; %bb.160:                              ;   in Loop: Header=BB222_49 Depth=1
	s_mov_b32 s30, 0x7fc02000
	s_xor_b64 s[0:1], exec, -1
; %bb.161:                              ;   in Loop: Header=BB222_49 Depth=1
	s_or_b64 exec, exec, s[22:23]
	s_and_b64 s[0:1], s[0:1], exec
	s_or_saveexec_b64 s[20:21], s[20:21]
	v_mov_b32_e32 v17, s30
	s_xor_b64 exec, exec, s[20:21]
	s_cbranch_execz .LBB222_95
.LBB222_162:                            ;   in Loop: Header=BB222_49 Depth=1
	v_cmp_ne_u16_sdwa s[22:23], v6, v7 src0_sel:BYTE_0 src1_sel:DWORD
	s_andn2_b64 s[0:1], s[0:1], exec
	s_and_b64 s[22:23], s[22:23], exec
	v_mov_b32_e32 v17, 0
	s_or_b64 s[0:1], s[0:1], s[22:23]
	s_or_b64 exec, exec, s[20:21]
	s_and_saveexec_b64 s[20:21], s[0:1]
	s_cbranch_execnz .LBB222_96
	s_branch .LBB222_97
.LBB222_163:                            ;   in Loop: Header=BB222_49 Depth=1
	v_cmp_eq_u16_e64 s[0:1], s35, v6
	s_mov_b64 s[20:21], -1
                                        ; implicit-def: $sgpr50
	s_and_saveexec_b64 s[30:31], s[0:1]
; %bb.164:                              ;   in Loop: Header=BB222_49 Depth=1
	s_mov_b32 s50, 0x7fc02000
	s_xor_b64 s[20:21], exec, -1
; %bb.165:                              ;   in Loop: Header=BB222_49 Depth=1
	s_or_b64 exec, exec, s[30:31]
	s_and_b64 s[20:21], s[20:21], exec
	s_or_saveexec_b64 s[22:23], s[22:23]
	v_mov_b32_e32 v19, s50
	s_xor_b64 exec, exec, s[22:23]
	s_cbranch_execz .LBB222_99
.LBB222_166:                            ;   in Loop: Header=BB222_49 Depth=1
	v_cmp_ne_u16_e64 s[0:1], 0, v6
	s_andn2_b64 s[20:21], s[20:21], exec
	s_and_b64 s[0:1], s[0:1], exec
	v_mov_b32_e32 v19, 0
	s_or_b64 s[20:21], s[20:21], s[0:1]
	s_or_b64 exec, exec, s[22:23]
	s_and_saveexec_b64 s[22:23], s[20:21]
	s_cbranch_execnz .LBB222_100
	s_branch .LBB222_101
.LBB222_167:                            ;   in Loop: Header=BB222_49 Depth=1
	v_cmp_eq_u16_sdwa s[50:51], v15, s35 src0_sel:BYTE_0 src1_sel:DWORD
	s_mov_b64 s[0:1], -1
                                        ; implicit-def: $sgpr30
	s_and_saveexec_b64 s[22:23], s[50:51]
; %bb.168:                              ;   in Loop: Header=BB222_49 Depth=1
	s_mov_b32 s30, 0x7fc02000
	s_xor_b64 s[0:1], exec, -1
; %bb.169:                              ;   in Loop: Header=BB222_49 Depth=1
	s_or_b64 exec, exec, s[22:23]
	s_and_b64 s[0:1], s[0:1], exec
	s_or_saveexec_b64 s[20:21], s[20:21]
	v_mov_b32_e32 v13, s30
	s_xor_b64 exec, exec, s[20:21]
	s_cbranch_execz .LBB222_103
.LBB222_170:                            ;   in Loop: Header=BB222_49 Depth=1
	v_cmp_ne_u16_sdwa s[22:23], v15, v7 src0_sel:BYTE_0 src1_sel:DWORD
	s_andn2_b64 s[0:1], s[0:1], exec
	s_and_b64 s[22:23], s[22:23], exec
	v_mov_b32_e32 v13, 0
	s_or_b64 s[0:1], s[0:1], s[22:23]
	s_or_b64 exec, exec, s[20:21]
	v_mov_b32_e32 v6, v15
	s_and_saveexec_b64 s[20:21], s[0:1]
	s_cbranch_execnz .LBB222_104
	s_branch .LBB222_105
.LBB222_171:                            ;   in Loop: Header=BB222_49 Depth=1
	v_cmp_eq_u16_e64 s[0:1], s35, v6
	s_mov_b64 s[20:21], -1
                                        ; implicit-def: $sgpr50
	s_and_saveexec_b64 s[30:31], s[0:1]
; %bb.172:                              ;   in Loop: Header=BB222_49 Depth=1
	s_mov_b32 s50, 0x7fc02000
	s_xor_b64 s[20:21], exec, -1
; %bb.173:                              ;   in Loop: Header=BB222_49 Depth=1
	s_or_b64 exec, exec, s[30:31]
	s_and_b64 s[20:21], s[20:21], exec
	s_or_saveexec_b64 s[22:23], s[22:23]
	v_mov_b32_e32 v14, s50
	s_xor_b64 exec, exec, s[22:23]
	s_cbranch_execz .LBB222_107
.LBB222_174:                            ;   in Loop: Header=BB222_49 Depth=1
	v_cmp_ne_u16_e64 s[0:1], 0, v6
	s_andn2_b64 s[20:21], s[20:21], exec
	s_and_b64 s[0:1], s[0:1], exec
	v_mov_b32_e32 v14, 0
	s_or_b64 s[20:21], s[20:21], s[0:1]
	s_or_b64 exec, exec, s[22:23]
	s_and_saveexec_b64 s[22:23], s[20:21]
	s_cbranch_execnz .LBB222_108
	s_branch .LBB222_109
.LBB222_175:                            ;   in Loop: Header=BB222_49 Depth=1
	v_cmp_eq_u16_sdwa s[50:51], v6, s35 src0_sel:BYTE_0 src1_sel:DWORD
	s_mov_b64 s[0:1], -1
                                        ; implicit-def: $sgpr30
	s_and_saveexec_b64 s[22:23], s[50:51]
; %bb.176:                              ;   in Loop: Header=BB222_49 Depth=1
	s_mov_b32 s30, 0x7fc02000
	s_xor_b64 s[0:1], exec, -1
; %bb.177:                              ;   in Loop: Header=BB222_49 Depth=1
	s_or_b64 exec, exec, s[22:23]
	s_and_b64 s[0:1], s[0:1], exec
	s_or_saveexec_b64 s[20:21], s[20:21]
	v_mov_b32_e32 v32, s30
	s_xor_b64 exec, exec, s[20:21]
	s_cbranch_execz .LBB222_111
.LBB222_178:                            ;   in Loop: Header=BB222_49 Depth=1
	v_cmp_ne_u16_sdwa s[22:23], v6, v7 src0_sel:BYTE_0 src1_sel:DWORD
	s_andn2_b64 s[0:1], s[0:1], exec
	s_and_b64 s[22:23], s[22:23], exec
	v_mov_b32_e32 v32, 0
	s_or_b64 s[0:1], s[0:1], s[22:23]
	s_or_b64 exec, exec, s[20:21]
	s_and_saveexec_b64 s[20:21], s[0:1]
	s_cbranch_execnz .LBB222_112
	s_branch .LBB222_113
.LBB222_179:                            ;   in Loop: Header=BB222_49 Depth=1
	v_cmp_eq_u16_e64 s[0:1], s35, v6
	s_mov_b64 s[20:21], -1
                                        ; implicit-def: $sgpr50
	s_and_saveexec_b64 s[30:31], s[0:1]
; %bb.180:                              ;   in Loop: Header=BB222_49 Depth=1
	s_mov_b32 s50, 0x7fc02000
	s_xor_b64 s[20:21], exec, -1
; %bb.181:                              ;   in Loop: Header=BB222_49 Depth=1
	s_or_b64 exec, exec, s[30:31]
	s_and_b64 s[20:21], s[20:21], exec
	s_or_saveexec_b64 s[22:23], s[22:23]
	v_mov_b32_e32 v33, s50
	s_xor_b64 exec, exec, s[22:23]
	s_cbranch_execz .LBB222_115
.LBB222_182:                            ;   in Loop: Header=BB222_49 Depth=1
	v_cmp_ne_u16_e64 s[0:1], 0, v6
	s_andn2_b64 s[20:21], s[20:21], exec
	s_and_b64 s[0:1], s[0:1], exec
	v_mov_b32_e32 v33, 0
	s_or_b64 s[20:21], s[20:21], s[0:1]
	s_or_b64 exec, exec, s[22:23]
	s_and_saveexec_b64 s[22:23], s[20:21]
	s_cbranch_execnz .LBB222_116
	s_branch .LBB222_117
.LBB222_183:
	s_or_b64 exec, exec, s[12:13]
.LBB222_184:
	s_or_b64 exec, exec, s[8:9]
	v_and_b32_e32 v1, 0x3c0, v0
	v_cmp_eq_u32_e32 vcc, 64, v1
	s_barrier
	s_and_saveexec_b64 s[0:1], vcc
	s_cbranch_execz .LBB222_187
; %bb.185:
	v_mov_b32_e32 v1, 0xf0
	v_lshl_add_u32 v3, v22, 2, v1
	ds_write_b32 v3, v24
	s_and_b64 exec, exec, s[6:7]
	s_cbranch_execz .LBB222_187
; %bb.186:
	v_lshl_add_u32 v1, v0, 2, v1
	ds_write_b32 v1, v23
.LBB222_187:
	s_or_b64 exec, exec, s[0:1]
	v_cmp_gt_u32_e32 vcc, 64, v0
	v_or_b32_e32 v1, 64, v0
	s_waitcnt lgkmcnt(0)
	s_barrier
	s_and_saveexec_b64 s[2:3], vcc
	s_cbranch_execz .LBB222_191
; %bb.188:
	v_mov_b32_e32 v3, 0xf0
	v_lshl_add_u32 v3, v0, 2, v3
	ds_read_b32 v0, v3
	s_movk_i32 s0, 0x70
	v_cmp_gt_u32_e64 s[0:1], s0, v1
	s_and_saveexec_b64 s[6:7], s[0:1]
	s_cbranch_execz .LBB222_190
; %bb.189:
	ds_read_b32 v3, v3 offset:256
	s_waitcnt lgkmcnt(0)
	v_add_f32_e32 v23, v23, v3
.LBB222_190:
	s_or_b64 exec, exec, s[6:7]
	s_waitcnt lgkmcnt(0)
	v_add_f32_e32 v24, v24, v0
.LBB222_191:
	s_or_b64 exec, exec, s[2:3]
	s_barrier
	s_and_saveexec_b64 s[0:1], vcc
	s_cbranch_execz .LBB222_194
; %bb.192:
	s_mul_i32 s0, s24, s27
	s_mul_i32 s0, s0, s5
	s_mulk_i32 s0, 0x70
	s_ashr_i32 s1, s0, 31
	s_lshl_b64 s[0:1], s[0:1], 1
	s_add_u32 s3, s28, s0
	s_mul_i32 s0, s27, s26
	s_addc_u32 s5, s29, s1
	s_ashr_i32 s1, s0, 31
	s_lshl_b64 s[0:1], s[0:1], 1
	s_add_u32 s3, s3, s0
	s_mul_i32 s0, s4, 0x70
	s_addc_u32 s5, s5, s1
	s_ashr_i32 s1, s0, 31
	s_lshl_b64 s[0:1], s[0:1], 1
	s_movk_i32 s2, 0x70
	s_add_u32 s0, s3, s0
	s_addc_u32 s1, s5, s1
	v_cmp_gt_u32_e32 vcc, s2, v1
	;;#ASMSTART
	v_cvt_f16_f32 v0, v24;

	;;#ASMEND
	global_store_short v2, v0, s[0:1]
	s_and_b64 exec, exec, vcc
	s_cbranch_execz .LBB222_194
; %bb.193:
	v_mov_b32_e32 v3, 0
	v_lshl_add_u64 v[0:1], s[0:1], 0, v[2:3]
	;;#ASMSTART
	v_cvt_f16_f32 v2, v23;

	;;#ASMEND
	global_store_short v[0:1], v2, off offset:128
.LBB222_194:
	s_endpgm
	.section	.rodata,"a",@progbits
	.p2align	6, 0x0
	.amdhsa_kernel _ZN4vllm25paged_attention_v1_kernelIthLi112ELi8ELi128ELNS_18Fp8KVCacheDataTypeE1ELb1EEEvPT_PKS2_PKT0_S8_ifPKiSA_iPKfiiiSC_SC_iiiii
		.amdhsa_group_segment_fixed_size 240
		.amdhsa_private_segment_fixed_size 0
		.amdhsa_kernarg_size 384
		.amdhsa_user_sgpr_count 2
		.amdhsa_user_sgpr_dispatch_ptr 0
		.amdhsa_user_sgpr_queue_ptr 0
		.amdhsa_user_sgpr_kernarg_segment_ptr 1
		.amdhsa_user_sgpr_dispatch_id 0
		.amdhsa_user_sgpr_kernarg_preload_length 0
		.amdhsa_user_sgpr_kernarg_preload_offset 0
		.amdhsa_user_sgpr_private_segment_size 0
		.amdhsa_uses_dynamic_stack 0
		.amdhsa_enable_private_segment 0
		.amdhsa_system_sgpr_workgroup_id_x 1
		.amdhsa_system_sgpr_workgroup_id_y 1
		.amdhsa_system_sgpr_workgroup_id_z 1
		.amdhsa_system_sgpr_workgroup_info 0
		.amdhsa_system_vgpr_workitem_id 0
		.amdhsa_next_free_vgpr 52
		.amdhsa_next_free_sgpr 52
		.amdhsa_accum_offset 52
		.amdhsa_reserve_vcc 1
		.amdhsa_float_round_mode_32 0
		.amdhsa_float_round_mode_16_64 0
		.amdhsa_float_denorm_mode_32 3
		.amdhsa_float_denorm_mode_16_64 3
		.amdhsa_dx10_clamp 1
		.amdhsa_ieee_mode 1
		.amdhsa_fp16_overflow 0
		.amdhsa_tg_split 0
		.amdhsa_exception_fp_ieee_invalid_op 0
		.amdhsa_exception_fp_denorm_src 0
		.amdhsa_exception_fp_ieee_div_zero 0
		.amdhsa_exception_fp_ieee_overflow 0
		.amdhsa_exception_fp_ieee_underflow 0
		.amdhsa_exception_fp_ieee_inexact 0
		.amdhsa_exception_int_div_zero 0
	.end_amdhsa_kernel
	.section	.text._ZN4vllm25paged_attention_v1_kernelIthLi112ELi8ELi128ELNS_18Fp8KVCacheDataTypeE1ELb1EEEvPT_PKS2_PKT0_S8_ifPKiSA_iPKfiiiSC_SC_iiiii,"axG",@progbits,_ZN4vllm25paged_attention_v1_kernelIthLi112ELi8ELi128ELNS_18Fp8KVCacheDataTypeE1ELb1EEEvPT_PKS2_PKT0_S8_ifPKiSA_iPKfiiiSC_SC_iiiii,comdat
.Lfunc_end222:
	.size	_ZN4vllm25paged_attention_v1_kernelIthLi112ELi8ELi128ELNS_18Fp8KVCacheDataTypeE1ELb1EEEvPT_PKS2_PKT0_S8_ifPKiSA_iPKfiiiSC_SC_iiiii, .Lfunc_end222-_ZN4vllm25paged_attention_v1_kernelIthLi112ELi8ELi128ELNS_18Fp8KVCacheDataTypeE1ELb1EEEvPT_PKS2_PKT0_S8_ifPKiSA_iPKfiiiSC_SC_iiiii
                                        ; -- End function
	.section	.AMDGPU.csdata,"",@progbits
; Kernel info:
; codeLenInByte = 9880
; NumSgprs: 58
; NumVgprs: 52
; NumAgprs: 0
; TotalNumVgprs: 52
; ScratchSize: 0
; MemoryBound: 0
; FloatMode: 240
; IeeeMode: 1
; LDSByteSize: 240 bytes/workgroup (compile time only)
; SGPRBlocks: 7
; VGPRBlocks: 6
; NumSGPRsForWavesPerEU: 58
; NumVGPRsForWavesPerEU: 52
; AccumOffset: 52
; Occupancy: 8
; WaveLimiterHint : 1
; COMPUTE_PGM_RSRC2:SCRATCH_EN: 0
; COMPUTE_PGM_RSRC2:USER_SGPR: 2
; COMPUTE_PGM_RSRC2:TRAP_HANDLER: 0
; COMPUTE_PGM_RSRC2:TGID_X_EN: 1
; COMPUTE_PGM_RSRC2:TGID_Y_EN: 1
; COMPUTE_PGM_RSRC2:TGID_Z_EN: 1
; COMPUTE_PGM_RSRC2:TIDIG_COMP_CNT: 0
; COMPUTE_PGM_RSRC3_GFX90A:ACCUM_OFFSET: 12
; COMPUTE_PGM_RSRC3_GFX90A:TG_SPLIT: 0
	.section	.text._ZN4vllm25paged_attention_v1_kernelIthLi120ELi8ELi128ELNS_18Fp8KVCacheDataTypeE1ELb1EEEvPT_PKS2_PKT0_S8_ifPKiSA_iPKfiiiSC_SC_iiiii,"axG",@progbits,_ZN4vllm25paged_attention_v1_kernelIthLi120ELi8ELi128ELNS_18Fp8KVCacheDataTypeE1ELb1EEEvPT_PKS2_PKT0_S8_ifPKiSA_iPKfiiiSC_SC_iiiii,comdat
	.protected	_ZN4vllm25paged_attention_v1_kernelIthLi120ELi8ELi128ELNS_18Fp8KVCacheDataTypeE1ELb1EEEvPT_PKS2_PKT0_S8_ifPKiSA_iPKfiiiSC_SC_iiiii ; -- Begin function _ZN4vllm25paged_attention_v1_kernelIthLi120ELi8ELi128ELNS_18Fp8KVCacheDataTypeE1ELb1EEEvPT_PKS2_PKT0_S8_ifPKiSA_iPKfiiiSC_SC_iiiii
	.globl	_ZN4vllm25paged_attention_v1_kernelIthLi120ELi8ELi128ELNS_18Fp8KVCacheDataTypeE1ELb1EEEvPT_PKS2_PKT0_S8_ifPKiSA_iPKfiiiSC_SC_iiiii
	.p2align	8
	.type	_ZN4vllm25paged_attention_v1_kernelIthLi120ELi8ELi128ELNS_18Fp8KVCacheDataTypeE1ELb1EEEvPT_PKS2_PKT0_S8_ifPKiSA_iPKfiiiSC_SC_iiiii,@function
_ZN4vllm25paged_attention_v1_kernelIthLi120ELi8ELi128ELNS_18Fp8KVCacheDataTypeE1ELb1EEEvPT_PKS2_PKT0_S8_ifPKiSA_iPKfiiiSC_SC_iiiii: ; @_ZN4vllm25paged_attention_v1_kernelIthLi120ELi8ELi128ELNS_18Fp8KVCacheDataTypeE1ELb1EEEvPT_PKS2_PKT0_S8_ifPKiSA_iPKfiiiSC_SC_iiiii
; %bb.0:
	s_load_dword s5, s[0:1], 0x80
	s_load_dwordx2 s[6:7], s[0:1], 0x30
	s_load_dwordx2 s[38:39], s[0:1], 0x20
	s_mov_b32 s24, s3
	s_ashr_i32 s25, s3, 31
	s_lshl_b64 s[8:9], s[24:25], 2
	s_waitcnt lgkmcnt(0)
	s_add_u32 s6, s6, s8
	s_addc_u32 s7, s7, s9
	s_abs_i32 s3, s38
	v_cvt_f32_u32_e32 v1, s3
	s_sub_i32 s10, 0, s3
	s_abs_i32 s9, s5
	s_xor_b32 s8, s5, s38
	v_rcp_iflag_f32_e32 v1, v1
	s_ashr_i32 s8, s8, 31
	s_mov_b32 s47, 0
	v_mul_f32_e32 v1, 0x4f7ffffe, v1
	v_cvt_u32_f32_e32 v1, v1
	s_nop 0
	v_readfirstlane_b32 s11, v1
	s_mul_i32 s10, s10, s11
	s_mul_hi_u32 s10, s11, s10
	s_add_i32 s11, s11, s10
	s_mul_hi_u32 s10, s9, s11
	s_mul_i32 s11, s10, s3
	s_sub_i32 s9, s9, s11
	s_add_i32 s11, s10, 1
	s_sub_i32 s12, s9, s3
	s_cmp_ge_u32 s9, s3
	s_cselect_b32 s10, s11, s10
	s_cselect_b32 s9, s12, s9
	s_add_i32 s11, s10, 1
	s_cmp_ge_u32 s9, s3
	s_cselect_b32 s3, s11, s10
	s_xor_b32 s3, s3, s8
	s_sub_i32 s14, s3, s8
	s_abs_i32 s10, s14
	v_cvt_f32_u32_e32 v1, s10
	s_load_dwordx2 s[8:9], s[0:1], 0x40
	s_sub_i32 s3, 0, s10
	s_abs_i32 s11, s2
	v_rcp_iflag_f32_e32 v1, v1
	s_nop 0
	v_mul_f32_e32 v1, 0x4f7ffffe, v1
	v_cvt_u32_f32_e32 v1, v1
	s_nop 0
	v_readfirstlane_b32 s12, v1
	s_mul_i32 s3, s3, s12
	s_mul_hi_u32 s3, s12, s3
	s_add_i32 s12, s12, s3
	s_waitcnt lgkmcnt(0)
	s_cmp_eq_u64 s[8:9], 0
	s_mul_hi_u32 s12, s11, s12
	s_cbranch_scc1 .LBB223_2
; %bb.1:
	s_ashr_i32 s3, s2, 31
	s_lshl_b64 s[16:17], s[2:3], 2
	s_add_u32 s8, s8, s16
	s_addc_u32 s9, s9, s17
	s_load_dword s47, s[8:9], 0x0
.LBB223_2:
	s_load_dword s25, s[6:7], 0x0
	s_load_dwordx4 s[16:19], s[0:1], 0x48
	s_movk_i32 s3, 0x78
	s_ashr_i32 s13, s2, 31
	s_ashr_i32 s14, s14, 31
	v_and_b32_e32 v4, 7, v0
	s_mul_i32 s26, s2, 0x78
	v_cmp_gt_u32_e64 s[6:7], s3, v0
	v_lshlrev_b32_e32 v2, 1, v0
	s_and_saveexec_b64 s[8:9], s[6:7]
	s_cbranch_execz .LBB223_4
; %bb.3:
	s_load_dwordx2 s[20:21], s[0:1], 0x8
	s_waitcnt lgkmcnt(0)
	s_mul_i32 s22, s24, s16
	s_ashr_i32 s23, s22, 31
	s_lshl_b64 s[22:23], s[22:23], 1
	v_lshrrev_b32_e32 v3, 2, v0
	s_add_u32 s3, s20, s22
	s_addc_u32 s15, s21, s23
	s_ashr_i32 s27, s26, 31
	s_lshl_b64 s[20:21], s[26:27], 1
	s_add_u32 s20, s3, s20
	s_addc_u32 s21, s15, s21
	global_load_ushort v1, v2, s[20:21]
	v_and_b32_e32 v3, 0xfe, v3
	v_mad_u32_u24 v3, v4, 30, v3
	s_waitcnt vmcnt(0)
	ds_write_b16 v3, v1
.LBB223_4:
	s_or_b64 exec, exec, s[8:9]
	s_mul_i32 s9, s12, s10
	s_sub_i32 s9, s11, s9
	s_xor_b32 s8, s13, s14
	s_add_i32 s11, s12, 1
	s_sub_i32 s13, s9, s10
	s_load_dwordx4 s[20:23], s[0:1], 0x68
	s_load_dword s3, s[0:1], 0x78
	s_cmp_ge_u32 s9, s10
	s_cselect_b32 s11, s11, s12
	s_cselect_b32 s9, s13, s9
	s_add_i32 s12, s11, 1
	s_cmp_ge_u32 s9, s10
	s_cselect_b32 s9, s12, s11
	s_waitcnt lgkmcnt(0)
	s_abs_i32 s33, s23
	v_cvt_f32_u32_e32 v1, s33
	s_xor_b32 s9, s9, s8
	s_sub_i32 s10, s9, s8
	s_sub_i32 s8, 0, s33
	v_rcp_iflag_f32_e32 v1, v1
	s_add_i32 s12, s25, -1
	s_abs_i32 s11, s12
	v_mul_f32_e32 v1, 0x4f7ffffe, v1
	v_cvt_u32_f32_e32 v1, v1
	s_barrier
	v_readfirstlane_b32 s44, v1
	s_mul_i32 s8, s8, s44
	s_mul_hi_u32 s8, s44, s8
	s_add_i32 s44, s44, s8
	s_cmp_lt_i32 s3, 0
	s_mul_hi_u32 s16, s11, s44
	s_cbranch_scc0 .LBB223_6
; %bb.5:
	s_mul_i32 s8, s20, s38
	s_add_i32 s8, s10, s8
	s_mul_i32 s8, s8, s3
	s_sub_i32 s38, 1, s8
	s_mov_b64 s[8:9], 0
	s_branch .LBB223_7
.LBB223_6:
	s_mov_b64 s[8:9], -1
                                        ; implicit-def: $sgpr38
.LBB223_7:
	s_load_dwordx2 s[30:31], s[0:1], 0x28
	s_ashr_i32 s19, s12, 31
	s_andn2_b64 vcc, exec, s[8:9]
	s_ashr_i32 s45, s23, 31
	s_cbranch_vccnz .LBB223_9
; %bb.8:
	s_mul_i32 s8, s5, s20
	s_add_i32 s2, s8, s2
	s_mul_i32 s2, s2, s3
	s_add_i32 s38, s2, 1
.LBB223_9:
	s_load_dword s2, s[0:1], 0x38
	s_load_dwordx2 s[28:29], s[0:1], 0x0
	s_load_dwordx2 s[36:37], s[0:1], 0x18
	s_load_dword s27, s[0:1], 0x88
	s_load_dwordx4 s[12:15], s[0:1], 0x58
	s_mul_i32 s3, s16, s33
	s_waitcnt lgkmcnt(0)
	s_mul_i32 s34, s24, s2
	s_sub_i32 s3, s11, s3
	s_ashr_i32 s35, s34, 31
	s_xor_b32 s2, s19, s45
	s_add_i32 s8, s16, 1
	s_sub_i32 s9, s3, s33
	s_cmp_ge_u32 s3, s33
	s_cselect_b32 s8, s8, s16
	s_cselect_b32 s3, s9, s3
	s_add_i32 s9, s8, 1
	s_cmp_ge_u32 s3, s33
	s_cselect_b32 s3, s9, s8
	s_xor_b32 s3, s3, s2
	s_sub_i32 s16, s3, s2
	s_add_i32 s2, s25, 7
	s_ashr_i32 s3, s2, 31
	s_lshr_b32 s3, s3, 29
	s_add_i32 s2, s2, s3
	s_ashr_i32 s46, s2, 3
	v_lshrrev_b32_e32 v1, 6, v0
	v_cmp_gt_i32_e64 s[2:3], s46, v1
	v_mov_b32_e32 v14, 0xff7fffff
	s_mul_i32 s20, s10, s18
	v_lshrrev_b32_e32 v10, 4, v0
	v_lshlrev_b32_e32 v3, 3, v1
	v_mbcnt_lo_u32_b32 v11, -1, 0
	s_and_saveexec_b64 s[18:19], s[2:3]
	s_cbranch_execz .LBB223_19
; %bb.10:
	s_load_dwordx2 s[0:1], s[0:1], 0x10
	s_sub_i32 s23, s16, s21
	s_ashr_i32 s9, s20, 31
	v_bfe_u32 v12, v0, 3, 3
	v_mov_b32_e32 v5, 0
	s_waitcnt lgkmcnt(0)
	s_add_u32 s8, s0, s20
	s_addc_u32 s9, s1, s9
	s_abs_i32 s48, s22
	v_cvt_f32_u32_e32 v6, s48
	v_lshlrev_b32_e32 v14, 2, v12
	v_lshl_or_b32 v14, v1, 5, v14
	v_add_u32_e32 v17, 0x100, v14
	v_rcp_iflag_f32_e32 v7, v6
	v_lshlrev_b32_e32 v6, 4, v12
	v_subrev_u32_e32 v14, s25, v12
	v_mbcnt_hi_u32_b32 v20, -1, v11
	v_mul_f32_e32 v7, 0x4f7ffffe, v7
	v_cvt_u32_f32_e32 v8, v7
	v_mov_b32_e32 v7, v5
	v_lshl_add_u64 v[6:7], s[8:9], 0, v[6:7]
	s_sub_i32 s8, 0, s48
	v_mul_lo_u32 v9, s8, v8
	s_lshl_b64 s[8:9], s[34:35], 2
	v_mul_hi_u32 v9, v8, v9
	s_add_u32 s8, s30, s8
	v_add_u32_e32 v15, v8, v9
	v_and_b32_e32 v8, 60, v10
	v_mov_b32_e32 v9, v5
	s_addc_u32 s9, s31, s9
	v_add_u32_e32 v18, 1, v14
	v_and_b32_e32 v14, 64, v20
	v_cmp_eq_u32_e32 vcc, 0, v4
	s_mov_b32 s49, s17
	v_mul_u32_u24_e32 v13, 30, v4
	v_cmp_neq_f32_e64 s[0:1], s47, 0
	v_lshl_add_u64 v[8:9], s[8:9], 0, v[8:9]
	v_lshlrev_b32_e32 v16, 3, v1
	s_mov_b64 s[40:41], 0
	v_mov_b32_e32 v19, 0xff7fffff
	v_add_u32_e32 v21, 64, v14
	v_xor_b32_e32 v22, 4, v20
	v_xor_b32_e32 v23, 2, v20
	;; [unrolled: 1-line block ×3, first 2 shown]
	v_mov_b32_e32 v14, 0xff7fffff
	v_mov_b32_e32 v25, v1
	s_branch .LBB223_13
.LBB223_11:                             ;   in Loop: Header=BB223_13 Depth=1
	s_or_b64 exec, exec, s[42:43]
.LBB223_12:                             ;   in Loop: Header=BB223_13 Depth=1
	s_or_b64 exec, exec, s[10:11]
	v_add_u32_e32 v25, 2, v25
	v_cmp_le_i32_e64 s[8:9], s46, v25
	v_lshl_add_u64 v[8:9], v[8:9], 0, 8
	v_add_u32_e32 v16, 16, v16
	s_or_b64 s[40:41], s[8:9], s[40:41]
	v_add_u32_e32 v17, 64, v17
	s_andn2_b64 exec, exec, s[40:41]
	s_cbranch_execz .LBB223_18
.LBB223_13:                             ; =>This Inner Loop Header: Depth=1
	v_mul_hi_u32 v26, v16, s44
	s_waitcnt lgkmcnt(0)
	v_mul_lo_u32 v27, v26, s33
	v_sub_u32_e32 v27, v16, v27
	v_add_u32_e32 v28, 1, v26
	v_cmp_le_u32_e64 s[8:9], s33, v27
	s_nop 1
	v_cndmask_b32_e64 v26, v26, v28, s[8:9]
	v_subrev_u32_e32 v28, s33, v27
	v_cndmask_b32_e64 v27, v27, v28, s[8:9]
	v_add_u32_e32 v28, 1, v26
	v_cmp_le_u32_e64 s[8:9], s33, v27
	s_nop 1
	v_cndmask_b32_e64 v26, v26, v28, s[8:9]
	v_xor_b32_e32 v26, s45, v26
	v_subrev_u32_e32 v26, s45, v26
	v_add_u32_e32 v27, s38, v26
	v_sub_u32_e32 v29, 0, v27
	v_ashrrev_i32_e32 v28, 31, v27
	v_max_i32_e32 v27, v27, v29
	v_mul_hi_u32 v29, v27, v15
	v_mul_lo_u32 v29, v29, s48
	v_sub_u32_e32 v27, v27, v29
	v_subrev_u32_e32 v29, s48, v27
	v_cmp_le_u32_e64 s[8:9], s48, v27
	v_cmp_ge_i32_e64 s[10:11], s23, v26
	s_nop 0
	v_cndmask_b32_e64 v27, v27, v29, s[8:9]
	v_subrev_u32_e32 v29, s48, v27
	v_cmp_le_u32_e64 s[8:9], s48, v27
	s_nop 1
	v_cndmask_b32_e64 v27, v27, v29, s[8:9]
	v_xor_b32_e32 v27, v27, v28
	v_sub_u32_e32 v27, v27, v28
	v_cmp_ne_u32_e64 s[8:9], 0, v27
	s_and_b64 s[8:9], s[8:9], s[10:11]
	s_and_b64 s[42:43], vcc, s[8:9]
	s_and_saveexec_b64 s[10:11], s[42:43]
	s_cbranch_execz .LBB223_15
; %bb.14:                               ;   in Loop: Header=BB223_13 Depth=1
	ds_write_b32 v17, v19
.LBB223_15:                             ;   in Loop: Header=BB223_13 Depth=1
	s_or_b64 exec, exec, s[10:11]
	s_xor_b64 s[8:9], s[8:9], -1
	s_and_saveexec_b64 s[10:11], s[8:9]
	s_cbranch_execz .LBB223_12
; %bb.16:                               ;   in Loop: Header=BB223_13 Depth=1
	global_load_dword v26, v[8:9], off
	s_waitcnt vmcnt(0)
	v_mad_i64_i32 v[26:27], s[8:9], v26, s49, v[6:7]
	v_lshl_add_u64 v[26:27], v[26:27], 0, v[4:5]
	global_load_ubyte v28, v[26:27], off
	global_load_ubyte v29, v[26:27], off offset:8
	global_load_dword v30, v5, s[12:13]
	global_load_ubyte v31, v[26:27], off offset:128
	global_load_ubyte v32, v[26:27], off offset:136
	;; [unrolled: 1-line block ×12, first 2 shown]
	s_nop 0
	global_load_ubyte v26, v[26:27], off offset:896
	ds_read_u16 v27, v13
	s_waitcnt lgkmcnt(0)
	;;#ASMSTART
	v_cvt_f32_f16 v27, v27;
	;;#ASMEND
	v_cmp_lt_i32_e64 s[8:9], v22, v21
	s_waitcnt vmcnt(15)
	v_cvt_f32_fp8_sdwa v28, v28 src0_sel:BYTE_0
	s_waitcnt vmcnt(14)
	v_cvt_f32_fp8_sdwa v29, v29 src0_sel:BYTE_0
	v_cndmask_b32_e64 v43, v20, v22, s[8:9]
	s_waitcnt vmcnt(12)
	v_cvt_f32_fp8_sdwa v31, v31 src0_sel:BYTE_0
	v_fma_mixlo_f16 v28, v30, v28, 0
	v_and_b32_e32 v28, 0xffff, v28
	v_fma_mixlo_f16 v29, v30, v29, 0
	s_waitcnt vmcnt(11)
	v_cvt_f32_fp8_sdwa v32, v32 src0_sel:BYTE_0
	;;#ASMSTART
	v_cvt_f32_f16 v28, v28;
	;;#ASMEND
	ds_read_u16 v44, v13 offset:2
	v_and_b32_e32 v29, 0xffff, v29
	s_waitcnt vmcnt(10)
	v_cvt_f32_fp8_sdwa v33, v33 src0_sel:BYTE_0
	s_waitcnt lgkmcnt(0)
	;;#ASMSTART
	v_cvt_f32_f16 v44, v44;
	;;#ASMEND
	;;#ASMSTART
	v_cvt_f32_f16 v29, v29;
	;;#ASMEND
	s_waitcnt vmcnt(9)
	v_cvt_f32_fp8_sdwa v34, v34 src0_sel:BYTE_0
	v_fma_mixlo_f16 v31, v30, v31, 0
	s_waitcnt vmcnt(8)
	v_cvt_f32_fp8_sdwa v35, v35 src0_sel:BYTE_0
	v_mul_f32_e32 v29, v44, v29
	ds_read_u16 v45, v13 offset:4
	v_and_b32_e32 v31, 0xffff, v31
	v_fma_mixlo_f16 v32, v30, v32, 0
	s_waitcnt vmcnt(7)
	v_cvt_f32_fp8_sdwa v36, v36 src0_sel:BYTE_0
	v_fmac_f32_e32 v29, v27, v28
	s_waitcnt lgkmcnt(0)
	;;#ASMSTART
	v_cvt_f32_f16 v45, v45;
	;;#ASMEND
	;;#ASMSTART
	v_cvt_f32_f16 v31, v31;
	;;#ASMEND
	ds_read_u16 v46, v13 offset:6
	v_and_b32_e32 v32, 0xffff, v32
	s_waitcnt vmcnt(6)
	v_cvt_f32_fp8_sdwa v37, v37 src0_sel:BYTE_0
	v_fma_mixlo_f16 v33, v30, v33, 0
	v_fmac_f32_e32 v29, v45, v31
	s_waitcnt lgkmcnt(0)
	;;#ASMSTART
	v_cvt_f32_f16 v46, v46;
	;;#ASMEND
	;;#ASMSTART
	v_cvt_f32_f16 v32, v32;
	;;#ASMEND
	ds_read_u16 v47, v13 offset:8
	v_and_b32_e32 v33, 0xffff, v33
	s_waitcnt vmcnt(5)
	v_cvt_f32_fp8_sdwa v38, v38 src0_sel:BYTE_0
	v_fma_mixlo_f16 v34, v30, v34, 0
	v_fmac_f32_e32 v29, v46, v32
	s_waitcnt lgkmcnt(0)
	;;#ASMSTART
	v_cvt_f32_f16 v47, v47;
	;;#ASMEND
	;;#ASMSTART
	v_cvt_f32_f16 v33, v33;
	;;#ASMEND
	ds_read_u16 v48, v13 offset:10
	s_waitcnt vmcnt(4)
	v_cvt_f32_fp8_sdwa v39, v39 src0_sel:BYTE_0
	v_and_b32_e32 v34, 0xffff, v34
	v_fma_mixlo_f16 v35, v30, v35, 0
	v_fmac_f32_e32 v29, v47, v33
	s_waitcnt lgkmcnt(0)
	;;#ASMSTART
	v_cvt_f32_f16 v48, v48;
	;;#ASMEND
	;;#ASMSTART
	v_cvt_f32_f16 v34, v34;
	;;#ASMEND
	ds_read_u16 v49, v13 offset:12
	s_waitcnt vmcnt(3)
	v_cvt_f32_fp8_sdwa v40, v40 src0_sel:BYTE_0
	s_waitcnt vmcnt(2)
	v_cvt_f32_fp8_sdwa v41, v41 src0_sel:BYTE_0
	v_and_b32_e32 v35, 0xffff, v35
	s_waitcnt vmcnt(1)
	v_cvt_f32_fp8_sdwa v42, v42 src0_sel:BYTE_0
	s_waitcnt vmcnt(0)
	v_cvt_f32_fp8_sdwa v26, v26 src0_sel:BYTE_0
	v_fma_mixlo_f16 v36, v30, v36, 0
	v_fmac_f32_e32 v29, v48, v34
	s_waitcnt lgkmcnt(0)
	;;#ASMSTART
	v_cvt_f32_f16 v49, v49;
	;;#ASMEND
	;;#ASMSTART
	v_cvt_f32_f16 v35, v35;
	;;#ASMEND
	ds_read_u16 v50, v13 offset:14
	v_and_b32_e32 v36, 0xffff, v36
	v_fma_mixlo_f16 v37, v30, v37, 0
	v_fmac_f32_e32 v29, v49, v35
	s_waitcnt lgkmcnt(0)
	;;#ASMSTART
	v_cvt_f32_f16 v50, v50;
	;;#ASMEND
	;;#ASMSTART
	v_cvt_f32_f16 v36, v36;
	;;#ASMEND
	ds_read_u16 v51, v13 offset:16
	v_fma_mixlo_f16 v38, v30, v38, 0
	v_and_b32_e32 v37, 0xffff, v37
	v_fmac_f32_e32 v29, v50, v36
	v_fma_mixlo_f16 v39, v30, v39, 0
	s_waitcnt lgkmcnt(0)
	;;#ASMSTART
	v_cvt_f32_f16 v51, v51;
	;;#ASMEND
	;;#ASMSTART
	v_cvt_f32_f16 v37, v37;
	;;#ASMEND
	ds_read_u16 v52, v13 offset:18
	v_and_b32_e32 v38, 0xffff, v38
	v_fmac_f32_e32 v29, v51, v37
	v_fma_mixlo_f16 v40, v30, v40, 0
	v_fma_mixlo_f16 v41, v30, v41, 0
	;; [unrolled: 1-line block ×3, first 2 shown]
	s_waitcnt lgkmcnt(0)
	;;#ASMSTART
	v_cvt_f32_f16 v52, v52;
	;;#ASMEND
	;;#ASMSTART
	v_cvt_f32_f16 v38, v38;
	;;#ASMEND
	v_fma_mixlo_f16 v26, v30, v26, 0
	v_and_b32_e32 v30, 0xffff, v39
	v_fmac_f32_e32 v29, v52, v38
	ds_read_u16 v53, v13 offset:20
	v_and_b32_e32 v39, 0xffff, v40
	v_and_b32_e32 v40, 0xffff, v41
	s_waitcnt lgkmcnt(0)
	;;#ASMSTART
	v_cvt_f32_f16 v41, v53;
	;;#ASMEND
	;;#ASMSTART
	v_cvt_f32_f16 v30, v30;
	;;#ASMEND
	ds_read_u16 v53, v13 offset:22
	v_fmac_f32_e32 v29, v41, v30
	s_waitcnt lgkmcnt(0)
	;;#ASMSTART
	v_cvt_f32_f16 v27, v53;
	;;#ASMEND
	;;#ASMSTART
	v_cvt_f32_f16 v28, v39;
	;;#ASMEND
	ds_read_u16 v39, v13 offset:24
	v_fmac_f32_e32 v29, v27, v28
	;; [unrolled: 9-line block ×3, first 2 shown]
	v_and_b32_e32 v42, 0xffff, v42
	v_and_b32_e32 v26, 0xffff, v26
	s_waitcnt lgkmcnt(0)
	;;#ASMSTART
	v_cvt_f32_f16 v33, v33;
	;;#ASMEND
	;;#ASMSTART
	v_cvt_f32_f16 v34, v42;
	;;#ASMEND
	v_lshlrev_b32_e32 v43, 2, v43
	v_fmac_f32_e32 v29, v33, v34
	ds_read_u16 v35, v13 offset:28
	s_waitcnt lgkmcnt(0)
	;;#ASMSTART
	v_cvt_f32_f16 v27, v35;
	;;#ASMEND
	;;#ASMSTART
	v_cvt_f32_f16 v26, v26;
	;;#ASMEND
	v_cmp_lt_i32_e64 s[8:9], v23, v21
	v_fmac_f32_e32 v29, v27, v26
	ds_bpermute_b32 v26, v43, v29
	v_cndmask_b32_e64 v27, v20, v23, s[8:9]
	v_lshlrev_b32_e32 v27, 2, v27
	v_cmp_lt_i32_e64 s[8:9], v24, v21
	s_waitcnt lgkmcnt(0)
	v_add_f32_e32 v26, v29, v26
	ds_bpermute_b32 v27, v27, v26
	v_cndmask_b32_e64 v28, v20, v24, s[8:9]
	s_waitcnt lgkmcnt(0)
	v_add_f32_e32 v26, v26, v27
	v_lshlrev_b32_e32 v27, 2, v28
	ds_bpermute_b32 v27, v27, v26
	s_and_saveexec_b64 s[42:43], vcc
	s_cbranch_execz .LBB223_11
; %bb.17:                               ;   in Loop: Header=BB223_13 Depth=1
	v_add_u32_e32 v28, v18, v16
	v_cvt_f32_i32_e32 v28, v28
	s_waitcnt lgkmcnt(0)
	v_add_f32_e32 v26, v26, v27
	v_add_u32_e32 v29, v12, v16
	v_cmp_gt_i32_e64 s[8:9], s25, v29
	v_mul_f32_e32 v27, s47, v28
	v_cndmask_b32_e64 v27, 0, v27, s[0:1]
	v_fmac_f32_e32 v27, s39, v26
	v_cndmask_b32_e64 v26, 0, v27, s[8:9]
	ds_write_b32 v17, v26
	v_max_f32_e32 v26, v14, v14
	v_max_f32_e32 v26, v26, v27
	v_cndmask_b32_e64 v14, v14, v26, s[8:9]
	s_branch .LBB223_11
.LBB223_18:
	s_or_b64 exec, exec, s[40:41]
.LBB223_19:
	s_or_b64 exec, exec, s[18:19]
	v_mbcnt_hi_u32_b32 v4, -1, v11
	v_and_b32_e32 v5, 64, v4
	v_add_u32_e32 v5, 64, v5
	v_xor_b32_e32 v6, 32, v4
	v_cmp_lt_i32_e32 vcc, v6, v5
	v_xor_b32_e32 v9, 16, v4
	v_max_f32_e32 v8, v14, v14
	v_cndmask_b32_e32 v6, v4, v6, vcc
	v_lshlrev_b32_e32 v7, 2, v6
	ds_bpermute_b32 v6, v7, v14
	v_cmp_lt_i32_e32 vcc, v9, v5
	v_xor_b32_e32 v11, 8, v4
	v_and_b32_e32 v22, 63, v0
	s_waitcnt lgkmcnt(0)
	v_max_f32_e32 v6, v6, v6
	v_max_f32_e32 v6, v8, v6
	v_cndmask_b32_e32 v8, v4, v9, vcc
	v_lshlrev_b32_e32 v9, 2, v8
	ds_bpermute_b32 v8, v9, v6
	v_cmp_lt_i32_e32 vcc, v11, v5
	s_waitcnt lgkmcnt(0)
	v_max_f32_e32 v8, v8, v8
	v_max_f32_e32 v8, v6, v8
	v_cndmask_b32_e32 v6, v4, v11, vcc
	v_lshlrev_b32_e32 v12, 2, v6
	ds_bpermute_b32 v11, v12, v8
	v_cmp_eq_u32_e32 vcc, 0, v22
	v_lshlrev_b32_e32 v6, 2, v1
	s_and_saveexec_b64 s[0:1], vcc
	s_cbranch_execz .LBB223_21
; %bb.20:
	s_waitcnt lgkmcnt(0)
	v_max_f32_e32 v11, v11, v11
	v_max_f32_e32 v8, v8, v8
	;; [unrolled: 1-line block ×3, first 2 shown]
	ds_write_b32 v6, v8 offset:240
.LBB223_21:
	s_or_b64 exec, exec, s[0:1]
	v_cmp_gt_u32_e64 s[0:1], 2, v22
	v_mov_b32_e32 v13, 0xff7fffff
	v_lshlrev_b32_e32 v8, 2, v22
	s_waitcnt lgkmcnt(0)
	s_barrier
	s_and_saveexec_b64 s[8:9], s[0:1]
	s_cbranch_execz .LBB223_23
; %bb.22:
	ds_read_b32 v13, v8 offset:240
.LBB223_23:
	s_or_b64 exec, exec, s[8:9]
	v_xor_b32_e32 v11, 1, v4
	v_cmp_lt_i32_e64 s[8:9], v11, v5
	v_lshlrev_b32_e32 v15, 2, v4
	s_nop 0
	v_cndmask_b32_e64 v11, v4, v11, s[8:9]
	v_lshlrev_b32_e32 v11, 2, v11
	s_waitcnt lgkmcnt(0)
	ds_bpermute_b32 v14, v11, v13
	v_max_f32_e32 v13, v13, v13
	s_lshl_b32 s8, s46, 3
	s_min_i32 s23, s8, s25
	v_cmp_gt_i32_e64 s[8:9], s23, v0
	s_waitcnt lgkmcnt(0)
	v_max_f32_e32 v14, v14, v14
	v_max_f32_e32 v14, v13, v14
	v_and_b32_e32 v13, 0x100, v15
	ds_bpermute_b32 v15, v13, v14
	v_mov_b32_e32 v14, 0
	s_and_saveexec_b64 s[12:13], s[8:9]
	s_cbranch_execz .LBB223_27
; %bb.24:
	v_mov_b32_e32 v14, 0x100
	v_lshl_add_u32 v16, v0, 2, v14
	s_mov_b64 s[18:19], 0
	v_mov_b32_e32 v14, 0
	v_mov_b32_e32 v17, v0
.LBB223_25:                             ; =>This Inner Loop Header: Depth=1
	ds_read_b32 v18, v16
	v_add_u32_e32 v17, 0x80, v17
	v_cmp_le_i32_e64 s[10:11], s23, v17
	s_or_b64 s[18:19], s[10:11], s[18:19]
	s_waitcnt lgkmcnt(0)
	v_sub_f32_e32 v18, v18, v15
	v_mul_f32_e32 v18, 0x3fb8aa3b, v18
	v_exp_f32_e32 v18, v18
	ds_write_b32 v16, v18
	v_add_f32_e32 v14, v14, v18
	v_add_u32_e32 v16, 0x200, v16
	s_andn2_b64 exec, exec, s[18:19]
	s_cbranch_execnz .LBB223_25
; %bb.26:
	s_or_b64 exec, exec, s[18:19]
.LBB223_27:
	s_or_b64 exec, exec, s[12:13]
	ds_bpermute_b32 v7, v7, v14
	s_waitcnt lgkmcnt(0)
	v_add_f32_e32 v7, v14, v7
	ds_bpermute_b32 v9, v9, v7
	s_waitcnt lgkmcnt(0)
	v_add_f32_e32 v7, v7, v9
	ds_bpermute_b32 v9, v12, v7
	v_xor_b32_e32 v12, 4, v4
	v_cmp_lt_i32_e64 s[10:11], v12, v5
	s_waitcnt lgkmcnt(0)
	v_add_f32_e32 v7, v7, v9
	v_cndmask_b32_e64 v12, v4, v12, s[10:11]
	v_lshlrev_b32_e32 v12, 2, v12
	ds_bpermute_b32 v9, v12, v7
	v_xor_b32_e32 v12, 2, v4
	v_cmp_lt_i32_e64 s[10:11], v12, v5
	s_waitcnt lgkmcnt(0)
	v_add_f32_e32 v5, v7, v9
	v_cndmask_b32_e64 v4, v4, v12, s[10:11]
	v_lshlrev_b32_e32 v4, 2, v4
	ds_bpermute_b32 v4, v4, v5
	s_waitcnt lgkmcnt(0)
	v_add_f32_e32 v4, v5, v4
	ds_bpermute_b32 v5, v11, v4
	s_waitcnt lgkmcnt(0)
	v_add_f32_e32 v4, v4, v5
	s_and_saveexec_b64 s[10:11], vcc
	s_cbranch_execz .LBB223_29
; %bb.28:
	ds_write_b32 v6, v4 offset:248
.LBB223_29:
	s_or_b64 exec, exec, s[10:11]
	s_waitcnt lgkmcnt(0)
	s_barrier
	s_and_saveexec_b64 s[10:11], s[0:1]
	s_cbranch_execz .LBB223_31
; %bb.30:
	ds_read_b32 v4, v8 offset:248
.LBB223_31:
	s_or_b64 exec, exec, s[10:11]
	s_waitcnt lgkmcnt(0)
	ds_bpermute_b32 v5, v11, v4
	s_waitcnt lgkmcnt(0)
	v_add_f32_e32 v4, v4, v5
	ds_bpermute_b32 v4, v13, v4
	s_and_saveexec_b64 s[0:1], s[8:9]
	s_cbranch_execz .LBB223_44
; %bb.32:
	s_waitcnt lgkmcnt(0)
	v_add_f32_e32 v4, 0x358637bd, v4
	v_div_scale_f32 v5, s[8:9], v4, v4, 1.0
	v_rcp_f32_e32 v6, v5
	v_div_scale_f32 v7, vcc, 1.0, v4, 1.0
	s_movk_i32 s8, 0x7f
	v_fma_f32 v8, -v5, v6, 1.0
	v_fmac_f32_e32 v6, v8, v6
	v_mul_f32_e32 v8, v7, v6
	v_fma_f32 v9, -v5, v8, v7
	v_fmac_f32_e32 v8, v9, v6
	v_fma_f32 v5, -v5, v8, v7
	v_div_fmas_f32 v5, v5, v6, v8
	v_xad_u32 v6, v0, -1, s23
	v_div_fixup_f32 v4, v5, v4, 1.0
	v_cmp_lt_u32_e32 vcc, s8, v6
	s_mov_b64 s[10:11], -1
	v_mov_b32_e32 v5, v0
	s_and_saveexec_b64 s[8:9], vcc
	s_cbranch_execz .LBB223_41
; %bb.33:
	v_lshrrev_b32_e32 v6, 7, v6
	v_add_u32_e32 v8, -1, v6
	v_lshrrev_b32_e32 v7, 1, v8
	v_mov_b32_e32 v5, v4
	v_add_u32_e32 v7, 1, v7
	v_cmp_lt_u32_e32 vcc, 13, v8
	v_mov_b32_e32 v11, 0
	s_and_saveexec_b64 s[10:11], vcc
	s_cbranch_execz .LBB223_37
; %bb.34:
	v_mov_b32_e32 v9, 0x100
	v_and_b32_e32 v8, -8, v7
	v_lshl_add_u32 v9, v0, 2, v9
	s_mov_b32 s18, 0
	s_mov_b64 s[12:13], 0
.LBB223_35:                             ; =>This Inner Loop Header: Depth=1
	ds_read2st64_b32 v[12:13], v9 offset1:2
	ds_read2st64_b32 v[14:15], v9 offset0:4 offset1:6
	ds_read2st64_b32 v[16:17], v9 offset0:8 offset1:10
	;; [unrolled: 1-line block ×3, first 2 shown]
	v_add_u32_e32 v8, -8, v8
	s_waitcnt lgkmcnt(3)
	v_pk_mul_f32 v[12:13], v[4:5], v[12:13]
	s_waitcnt lgkmcnt(2)
	v_pk_mul_f32 v[14:15], v[4:5], v[14:15]
	ds_write2st64_b32 v9, v12, v13 offset1:2
	ds_write2st64_b32 v9, v14, v15 offset0:4 offset1:6
	ds_read2st64_b32 v[14:15], v9 offset0:16 offset1:18
	s_waitcnt lgkmcnt(4)
	v_pk_mul_f32 v[12:13], v[4:5], v[16:17]
	ds_write2st64_b32 v9, v12, v13 offset0:8 offset1:10
	s_waitcnt lgkmcnt(4)
	v_pk_mul_f32 v[12:13], v[4:5], v[18:19]
	ds_write2st64_b32 v9, v12, v13 offset0:12 offset1:14
	ds_read2st64_b32 v[12:13], v9 offset0:20 offset1:22
	s_waitcnt lgkmcnt(3)
	v_pk_mul_f32 v[14:15], v[4:5], v[14:15]
	ds_read2st64_b32 v[16:17], v9 offset0:24 offset1:26
	ds_write2st64_b32 v9, v14, v15 offset0:16 offset1:18
	ds_read2st64_b32 v[14:15], v9 offset0:28 offset1:30
	s_waitcnt lgkmcnt(3)
	v_pk_mul_f32 v[12:13], v[4:5], v[12:13]
	ds_write2st64_b32 v9, v12, v13 offset0:20 offset1:22
	s_waitcnt lgkmcnt(3)
	v_pk_mul_f32 v[12:13], v[4:5], v[16:17]
	ds_write2st64_b32 v9, v12, v13 offset0:24 offset1:26
	s_waitcnt lgkmcnt(2)
	v_pk_mul_f32 v[12:13], v[4:5], v[14:15]
	s_add_i32 s18, s18, 16
	v_cmp_eq_u32_e32 vcc, 0, v8
	ds_write2st64_b32 v9, v12, v13 offset0:28 offset1:30
	v_add_u32_e32 v9, 0x2000, v9
	s_or_b64 s[12:13], vcc, s[12:13]
	v_mov_b32_e32 v11, s18
	s_andn2_b64 exec, exec, s[12:13]
	s_cbranch_execnz .LBB223_35
; %bb.36:
	s_or_b64 exec, exec, s[12:13]
.LBB223_37:
	s_or_b64 exec, exec, s[10:11]
	v_and_b32_e32 v7, 7, v7
	v_cmp_ne_u32_e32 vcc, 0, v7
	s_and_saveexec_b64 s[10:11], vcc
	s_cbranch_execz .LBB223_40
; %bb.38:
	v_lshlrev_b32_e32 v8, 9, v11
	v_lshlrev_b32_e32 v9, 2, v0
	s_movk_i32 s12, 0x100
	v_add3_u32 v8, v8, v9, s12
	s_mov_b64 s[12:13], 0
.LBB223_39:                             ; =>This Inner Loop Header: Depth=1
	ds_read2st64_b32 v[12:13], v8 offset1:2
	v_add_u32_e32 v7, -1, v7
	v_cmp_eq_u32_e32 vcc, 0, v7
	s_or_b64 s[12:13], vcc, s[12:13]
	s_waitcnt lgkmcnt(0)
	v_pk_mul_f32 v[12:13], v[4:5], v[12:13]
	ds_write2st64_b32 v8, v12, v13 offset1:2
	v_add_u32_e32 v8, 0x400, v8
	s_andn2_b64 exec, exec, s[12:13]
	s_cbranch_execnz .LBB223_39
.LBB223_40:
	s_or_b64 exec, exec, s[10:11]
	v_add_u32_e32 v6, 1, v6
	v_and_b32_e32 v7, 0x3fffffe, v6
	v_cmp_ne_u32_e32 vcc, v6, v7
	v_lshl_add_u32 v5, v7, 7, v0
	s_orn2_b64 s[10:11], vcc, exec
.LBB223_41:
	s_or_b64 exec, exec, s[8:9]
	s_and_b64 exec, exec, s[10:11]
	s_cbranch_execz .LBB223_44
; %bb.42:
	v_mov_b32_e32 v6, 0x100
	v_lshl_add_u32 v6, v5, 2, v6
	s_mov_b64 s[8:9], 0
.LBB223_43:                             ; =>This Inner Loop Header: Depth=1
	ds_read_b32 v7, v6
	v_add_u32_e32 v5, 0x80, v5
	v_cmp_le_i32_e32 vcc, s23, v5
	s_or_b64 s[8:9], vcc, s[8:9]
	s_waitcnt lgkmcnt(0)
	v_mul_f32_e32 v7, v4, v7
	ds_write_b32 v6, v7
	v_add_u32_e32 v6, 0x200, v6
	s_andn2_b64 exec, exec, s[8:9]
	s_cbranch_execnz .LBB223_43
.LBB223_44:
	s_or_b64 exec, exec, s[0:1]
	v_mov_b32_e32 v24, 0
	v_mov_b32_e32 v23, 0
	s_waitcnt lgkmcnt(0)
	s_barrier
	s_and_saveexec_b64 s[8:9], s[2:3]
	s_cbranch_execz .LBB223_184
; %bb.45:
	s_sub_i32 s39, s16, s21
	s_ashr_i32 s0, s20, 31
	s_add_u32 s10, s36, s20
	s_addc_u32 s11, s37, s0
	s_abs_i32 s37, s22
	v_cvt_f32_u32_e32 v6, s37
	v_or_b32_e32 v8, 64, v22
	s_movk_i32 s0, 0x78
	v_cmp_gt_u32_e32 vcc, s0, v8
	v_rcp_iflag_f32_e32 v6, v6
	s_sub_i32 s0, 0, s37
	s_add_i32 s36, s46, -1
	v_mov_b32_e32 v7, 0
	v_mul_f32_e32 v6, 0x4f7ffffe, v6
	v_cvt_u32_f32_e32 v6, v6
	s_mov_b32 s40, s17
	v_lshlrev_b32_e32 v4, 3, v22
	v_mov_b32_e32 v5, v7
	v_mul_lo_u32 v11, s0, v6
	s_lshl_b64 s[0:1], s[34:35], 2
	v_mul_hi_u32 v11, v6, v11
	s_add_u32 s0, s30, s0
	v_add_u32_e32 v25, v6, v11
	v_and_b32_e32 v6, 60, v10
	s_addc_u32 s1, s31, s1
	v_lshl_add_u64 v[10:11], s[0:1], 0, v[6:7]
	v_mov_b32_e32 v6, 0x100
	v_lshlrev_b32_e32 v8, 3, v8
	v_mov_b32_e32 v9, v7
	s_mov_b32 s41, s25
	v_lshl_add_u32 v26, v1, 5, v6
	s_mov_b64 s[12:13], 0
	s_movk_i32 s34, 0x7f
	s_movk_i32 s35, 0x80
	s_mov_b32 s42, 0x8000
	s_movk_i32 s43, 0x380
	s_mov_b32 s47, 0x3020706
	s_mov_b32 s48, 0x1000504
	;; [unrolled: 1-line block ×3, first 2 shown]
	v_mov_b32_e32 v27, 0x1c00
	v_mov_b32_e32 v23, 0
	;; [unrolled: 1-line block ×3, first 2 shown]
	s_branch .LBB223_49
.LBB223_46:                             ;   in Loop: Header=BB223_49 Depth=1
	s_or_b64 exec, exec, s[20:21]
	;;#ASMSTART
	v_pk_mul_f16 v14, v31, v15;

	;;#ASMEND
	;;#ASMSTART
	v_pk_mul_f16 v6, v30, v6;

	;;#ASMEND
	;;#ASMSTART
	v_pk_mul_f16 v13, v29, v13;

	;;#ASMEND
	;;#ASMSTART
	v_pk_mul_f16 v12, v28, v12;

	;;#ASMEND
	s_nop 0
	;;#ASMSTART
	v_pk_add_f16 v6, v14, v6;

	;;#ASMEND
	s_nop 0
	;;#ASMSTART
	v_pk_add_f16 v6, v6, v13;

	;;#ASMEND
	;; [unrolled: 5-line block ×3, first 2 shown]
	s_nop 0
	v_lshrrev_b32_e32 v12, 16, v6
	v_and_b32_e32 v6, 0xffff, v6
	;;#ASMSTART
	v_cvt_f32_f16 v6, v6;
	;;#ASMEND
	;;#ASMSTART
	v_cvt_f32_f16 v12, v12;
	;;#ASMEND
	s_nop 0
	v_add_f32_e32 v6, v6, v12
	v_add_f32_e32 v23, v23, v6
.LBB223_47:                             ;   in Loop: Header=BB223_49 Depth=1
	s_or_b64 exec, exec, s[18:19]
	v_add_f32_e32 v6, v20, v21
	v_add_f32_e32 v24, v24, v6
.LBB223_48:                             ;   in Loop: Header=BB223_49 Depth=1
	s_or_b64 exec, exec, s[16:17]
	v_add_u32_e32 v1, 2, v1
	v_cmp_le_i32_e64 s[0:1], s46, v1
	v_lshl_add_u64 v[10:11], v[10:11], 0, 8
	v_add_u32_e32 v3, 16, v3
	s_or_b64 s[12:13], s[0:1], s[12:13]
	v_add_u32_e32 v26, 64, v26
	s_andn2_b64 exec, exec, s[12:13]
	s_cbranch_execz .LBB223_183
.LBB223_49:                             ; =>This Inner Loop Header: Depth=1
	v_mul_hi_u32 v6, v3, s44
	v_mul_lo_u32 v12, v6, s33
	v_sub_u32_e32 v12, v3, v12
	v_add_u32_e32 v13, 1, v6
	v_cmp_le_u32_e64 s[0:1], s33, v12
	s_nop 1
	v_cndmask_b32_e64 v6, v6, v13, s[0:1]
	v_subrev_u32_e32 v13, s33, v12
	v_cndmask_b32_e64 v12, v12, v13, s[0:1]
	v_add_u32_e32 v13, 1, v6
	v_cmp_le_u32_e64 s[0:1], s33, v12
	s_nop 1
	v_cndmask_b32_e64 v6, v6, v13, s[0:1]
	v_xor_b32_e32 v6, s45, v6
	v_subrev_u32_e32 v6, s45, v6
	v_add_u32_e32 v12, s38, v6
	v_sub_u32_e32 v14, 0, v12
	v_ashrrev_i32_e32 v13, 31, v12
	v_max_i32_e32 v12, v12, v14
	v_mul_hi_u32 v14, v12, v25
	v_mul_lo_u32 v14, v14, s37
	v_sub_u32_e32 v12, v12, v14
	v_subrev_u32_e32 v14, s37, v12
	v_cmp_le_u32_e64 s[0:1], s37, v12
	v_cmp_lt_i32_e64 s[2:3], s39, v6
	s_nop 0
	v_cndmask_b32_e64 v12, v12, v14, s[0:1]
	v_subrev_u32_e32 v14, s37, v12
	v_cmp_le_u32_e64 s[0:1], s37, v12
	s_nop 1
	v_cndmask_b32_e64 v12, v12, v14, s[0:1]
	v_xor_b32_e32 v12, v12, v13
	v_sub_u32_e32 v12, v12, v13
	v_cmp_eq_u32_e64 s[0:1], 0, v12
	s_or_b64 s[0:1], s[0:1], s[2:3]
	s_and_saveexec_b64 s[16:17], s[0:1]
	s_cbranch_execz .LBB223_48
; %bb.50:                               ;   in Loop: Header=BB223_49 Depth=1
	ds_read2_b64 v[16:19], v26 offset1:1
	ds_read2_b64 v[32:35], v26 offset0:2 offset1:3
	v_mov_b64_e32 v[12:13], s[10:11]
                                        ; implicit-def: $sgpr20
	s_waitcnt lgkmcnt(1)
	;;#ASMSTART
	v_cvt_f16_f32 v15, v16;

	;;#ASMEND
	;;#ASMSTART
	v_cvt_f16_f32 v28, v17;

	;;#ASMEND
	;; [unrolled: 4-line block ×4, first 2 shown]
	s_waitcnt lgkmcnt(0)
	;;#ASMSTART
	v_cvt_f16_f32 v32, v32;

	;;#ASMEND
	;;#ASMSTART
	v_cvt_f16_f32 v33, v33;

	;;#ASMEND
	;; [unrolled: 4-line block ×4, first 2 shown]
	global_load_dword v6, v[10:11], off
	s_waitcnt vmcnt(0)
	v_mad_i64_i32 v[12:13], s[0:1], v6, s40, v[12:13]
	v_lshl_add_u64 v[18:19], v[12:13], 0, v[4:5]
	global_load_dwordx2 v[16:17], v[18:19], off
	global_load_dword v14, v7, s[14:15]
	s_mov_b64 s[0:1], 0
	s_waitcnt vmcnt(1)
	v_cmp_gt_i16_sdwa s[2:3], v16, s34 src0_sel:BYTE_0 src1_sel:DWORD
	s_and_saveexec_b64 s[18:19], s[2:3]
	s_xor_b64 s[2:3], exec, s[18:19]
	s_cbranch_execnz .LBB223_119
; %bb.51:                               ;   in Loop: Header=BB223_49 Depth=1
	s_or_saveexec_b64 s[2:3], s[2:3]
	v_mov_b32_e32 v18, s20
	s_xor_b64 exec, exec, s[2:3]
	s_cbranch_execnz .LBB223_122
.LBB223_52:                             ;   in Loop: Header=BB223_49 Depth=1
	s_or_b64 exec, exec, s[2:3]
	s_and_saveexec_b64 s[2:3], s[0:1]
	s_cbranch_execz .LBB223_54
.LBB223_53:                             ;   in Loop: Header=BB223_49 Depth=1
	v_and_b32_e32 v6, 7, v16
	v_ffbh_u32_e32 v6, v6
	v_bfe_u32 v18, v16, 3, 4
	v_min_u32_e32 v6, 32, v6
	v_subrev_u32_e32 v19, 28, v6
	v_sub_u32_e32 v6, 29, v6
	v_cmp_eq_u32_e64 s[0:1], 0, v18
	s_nop 1
	v_cndmask_b32_e64 v6, v18, v6, s[0:1]
	v_cndmask_b32_e64 v18, 0, v19, s[0:1]
	v_lshlrev_b64 v[18:19], v18, v[16:17]
	v_lshlrev_b32_e32 v19, 8, v16
	v_lshl_add_u32 v6, v6, 10, v27
	v_lshlrev_b32_e32 v18, 7, v18
	v_and_or_b32 v6, v19, s42, v6
	v_and_or_b32 v6, v18, s43, v6
	v_cvt_f32_f16_e32 v18, v6
.LBB223_54:                             ;   in Loop: Header=BB223_49 Depth=1
	s_or_b64 exec, exec, s[2:3]
	v_lshrrev_b16_e32 v6, 8, v16
	v_cmp_lt_i16_e64 s[0:1], s34, v6
	s_mov_b64 s[2:3], 0
                                        ; implicit-def: $sgpr22
	s_and_saveexec_b64 s[18:19], s[0:1]
	s_xor_b64 s[18:19], exec, s[18:19]
	s_cbranch_execnz .LBB223_123
; %bb.55:                               ;   in Loop: Header=BB223_49 Depth=1
	s_or_saveexec_b64 s[18:19], s[18:19]
	v_mov_b32_e32 v20, s22
	s_xor_b64 exec, exec, s[18:19]
	s_cbranch_execnz .LBB223_126
.LBB223_56:                             ;   in Loop: Header=BB223_49 Depth=1
	s_or_b64 exec, exec, s[18:19]
	s_and_saveexec_b64 s[18:19], s[2:3]
	s_cbranch_execz .LBB223_58
.LBB223_57:                             ;   in Loop: Header=BB223_49 Depth=1
	v_and_b32_e32 v19, 7, v6
	v_ffbh_u32_e32 v20, v19
	v_min_u32_e32 v36, 32, v20
	v_subrev_u32_e32 v20, 28, v36
	v_bfe_u32 v31, v6, 3, 4
	v_lshlrev_b64 v[20:21], v20, v[6:7]
	v_sub_u32_e32 v21, 29, v36
	v_cmp_eq_u32_e64 s[0:1], 0, v31
	v_and_b32_e32 v20, 7, v20
	v_lshlrev_b32_e32 v6, 8, v6
	v_cndmask_b32_e64 v21, v31, v21, s[0:1]
	v_cndmask_b32_e64 v19, v19, v20, s[0:1]
	v_lshl_add_u32 v20, v21, 10, v27
	v_and_or_b32 v6, v6, s42, v20
	v_lshl_or_b32 v6, v19, 7, v6
	v_cvt_f32_f16_e32 v20, v6
.LBB223_58:                             ;   in Loop: Header=BB223_49 Depth=1
	s_or_b64 exec, exec, s[18:19]
	v_lshrrev_b32_e32 v6, 16, v16
	v_cmp_gt_i16_sdwa s[2:3], v6, s34 src0_sel:BYTE_0 src1_sel:DWORD
	s_mov_b64 s[0:1], 0
                                        ; implicit-def: $sgpr20
	s_and_saveexec_b64 s[18:19], s[2:3]
	s_xor_b64 s[2:3], exec, s[18:19]
	s_cbranch_execnz .LBB223_127
; %bb.59:                               ;   in Loop: Header=BB223_49 Depth=1
	s_or_saveexec_b64 s[2:3], s[2:3]
	v_mov_b32_e32 v19, s20
	s_xor_b64 exec, exec, s[2:3]
	s_cbranch_execnz .LBB223_130
.LBB223_60:                             ;   in Loop: Header=BB223_49 Depth=1
	s_or_b64 exec, exec, s[2:3]
	s_and_saveexec_b64 s[2:3], s[0:1]
	s_cbranch_execz .LBB223_62
.LBB223_61:                             ;   in Loop: Header=BB223_49 Depth=1
	v_bfe_u32 v19, v16, 16, 3
	v_ffbh_u32_e32 v31, v19
	v_bfe_u32 v21, v16, 19, 4
	v_min_u32_e32 v31, 32, v31
	v_subrev_u32_e32 v36, 28, v31
	v_sub_u32_e32 v31, 29, v31
	v_cmp_eq_u32_e64 s[0:1], 0, v21
	v_lshlrev_b64 v[36:37], v36, v[6:7]
	v_and_b32_e32 v36, 7, v36
	v_cndmask_b32_e64 v21, v21, v31, s[0:1]
	v_lshlrev_b32_e32 v6, 8, v6
	v_lshl_add_u32 v21, v21, 10, v27
	v_cndmask_b32_e64 v19, v19, v36, s[0:1]
	v_and_or_b32 v6, v6, s42, v21
	v_lshl_or_b32 v6, v19, 7, v6
	v_cvt_f32_f16_e32 v19, v6
.LBB223_62:                             ;   in Loop: Header=BB223_49 Depth=1
	s_or_b64 exec, exec, s[2:3]
	v_lshrrev_b32_e32 v6, 24, v16
	v_cmp_lt_i16_e64 s[0:1], s34, v6
	s_mov_b64 s[2:3], 0
                                        ; implicit-def: $sgpr22
	s_and_saveexec_b64 s[18:19], s[0:1]
	s_xor_b64 s[18:19], exec, s[18:19]
	s_cbranch_execnz .LBB223_131
; %bb.63:                               ;   in Loop: Header=BB223_49 Depth=1
	s_or_saveexec_b64 s[18:19], s[18:19]
	v_mov_b32_e32 v21, s22
	s_xor_b64 exec, exec, s[18:19]
	s_cbranch_execnz .LBB223_134
.LBB223_64:                             ;   in Loop: Header=BB223_49 Depth=1
	s_or_b64 exec, exec, s[18:19]
	s_and_saveexec_b64 s[18:19], s[2:3]
	s_cbranch_execz .LBB223_66
.LBB223_65:                             ;   in Loop: Header=BB223_49 Depth=1
	v_bfe_u32 v21, v16, 24, 3
	v_ffbh_u32_e32 v31, v21
	v_bfe_u32 v16, v16, 27, 4
	v_min_u32_e32 v31, 32, v31
	v_subrev_u32_e32 v36, 28, v31
	v_sub_u32_e32 v31, 29, v31
	v_cmp_eq_u32_e64 s[0:1], 0, v16
	v_lshlrev_b64 v[36:37], v36, v[6:7]
	v_and_b32_e32 v36, 7, v36
	v_cndmask_b32_e64 v16, v16, v31, s[0:1]
	v_lshlrev_b32_e32 v6, 8, v6
	v_lshl_add_u32 v16, v16, 10, v27
	v_cndmask_b32_e64 v21, v21, v36, s[0:1]
	v_and_or_b32 v6, v6, s42, v16
	v_lshl_or_b32 v6, v21, 7, v6
	v_cvt_f32_f16_e32 v21, v6
.LBB223_66:                             ;   in Loop: Header=BB223_49 Depth=1
	s_or_b64 exec, exec, s[18:19]
	v_cmp_gt_i16_sdwa s[2:3], v17, s34 src0_sel:BYTE_0 src1_sel:DWORD
	s_mov_b64 s[0:1], 0
                                        ; implicit-def: $sgpr20
	s_and_saveexec_b64 s[18:19], s[2:3]
	s_xor_b64 s[2:3], exec, s[18:19]
	s_cbranch_execnz .LBB223_135
; %bb.67:                               ;   in Loop: Header=BB223_49 Depth=1
	s_or_saveexec_b64 s[2:3], s[2:3]
	v_mov_b32_e32 v16, s20
	s_xor_b64 exec, exec, s[2:3]
	s_cbranch_execnz .LBB223_138
.LBB223_68:                             ;   in Loop: Header=BB223_49 Depth=1
	s_or_b64 exec, exec, s[2:3]
	v_mov_b32_e32 v6, v17
	s_and_saveexec_b64 s[2:3], s[0:1]
	s_cbranch_execz .LBB223_70
.LBB223_69:                             ;   in Loop: Header=BB223_49 Depth=1
	v_and_b32_e32 v16, 7, v17
	v_ffbh_u32_e32 v16, v16
	v_bfe_u32 v31, v17, 3, 4
	v_min_u32_e32 v16, 32, v16
	v_subrev_u32_e32 v36, 28, v16
	v_sub_u32_e32 v16, 29, v16
	v_cmp_eq_u32_e64 s[0:1], 0, v31
	s_nop 1
	v_cndmask_b32_e64 v16, v31, v16, s[0:1]
	v_cndmask_b32_e64 v31, 0, v36, s[0:1]
	v_lshlrev_b64 v[36:37], v31, v[6:7]
	v_lshlrev_b32_e32 v31, 7, v36
	v_lshlrev_b32_e32 v36, 8, v17
	v_lshl_add_u32 v16, v16, 10, v27
	v_and_or_b32 v16, v36, s42, v16
	v_and_or_b32 v16, v31, s43, v16
	v_cvt_f32_f16_e32 v16, v16
.LBB223_70:                             ;   in Loop: Header=BB223_49 Depth=1
	s_or_b64 exec, exec, s[2:3]
	v_lshrrev_b16_e32 v6, 8, v6
	v_cmp_lt_i16_e64 s[0:1], s34, v6
	s_mov_b64 s[2:3], 0
                                        ; implicit-def: $sgpr22
	s_and_saveexec_b64 s[18:19], s[0:1]
	s_xor_b64 s[18:19], exec, s[18:19]
	s_cbranch_execnz .LBB223_139
; %bb.71:                               ;   in Loop: Header=BB223_49 Depth=1
	s_or_saveexec_b64 s[18:19], s[18:19]
	v_mov_b32_e32 v31, s22
	s_xor_b64 exec, exec, s[18:19]
	s_cbranch_execnz .LBB223_142
.LBB223_72:                             ;   in Loop: Header=BB223_49 Depth=1
	s_or_b64 exec, exec, s[18:19]
	s_and_saveexec_b64 s[18:19], s[2:3]
	s_cbranch_execz .LBB223_74
.LBB223_73:                             ;   in Loop: Header=BB223_49 Depth=1
	v_and_b32_e32 v31, 7, v6
	v_ffbh_u32_e32 v36, v31
	v_min_u32_e32 v39, 32, v36
	v_subrev_u32_e32 v36, 28, v39
	v_bfe_u32 v38, v6, 3, 4
	v_lshlrev_b64 v[36:37], v36, v[6:7]
	v_sub_u32_e32 v37, 29, v39
	v_cmp_eq_u32_e64 s[0:1], 0, v38
	v_and_b32_e32 v36, 7, v36
	v_lshlrev_b32_e32 v6, 8, v6
	v_cndmask_b32_e64 v37, v38, v37, s[0:1]
	v_cndmask_b32_e64 v31, v31, v36, s[0:1]
	v_lshl_add_u32 v36, v37, 10, v27
	v_and_or_b32 v6, v6, s42, v36
	v_lshl_or_b32 v6, v31, 7, v6
	v_cvt_f32_f16_e32 v31, v6
.LBB223_74:                             ;   in Loop: Header=BB223_49 Depth=1
	s_or_b64 exec, exec, s[18:19]
	v_lshrrev_b32_e32 v6, 16, v17
	v_cmp_gt_i16_sdwa s[2:3], v6, s34 src0_sel:BYTE_0 src1_sel:DWORD
	s_mov_b64 s[0:1], 0
                                        ; implicit-def: $sgpr20
	s_and_saveexec_b64 s[18:19], s[2:3]
	s_xor_b64 s[2:3], exec, s[18:19]
	s_cbranch_execnz .LBB223_143
; %bb.75:                               ;   in Loop: Header=BB223_49 Depth=1
	s_or_saveexec_b64 s[2:3], s[2:3]
	v_mov_b32_e32 v36, s20
	s_xor_b64 exec, exec, s[2:3]
	s_cbranch_execnz .LBB223_146
.LBB223_76:                             ;   in Loop: Header=BB223_49 Depth=1
	s_or_b64 exec, exec, s[2:3]
	s_and_saveexec_b64 s[2:3], s[0:1]
	s_cbranch_execz .LBB223_78
.LBB223_77:                             ;   in Loop: Header=BB223_49 Depth=1
	v_bfe_u32 v38, v17, 16, 3
	v_ffbh_u32_e32 v36, v38
	v_min_u32_e32 v40, 32, v36
	v_subrev_u32_e32 v36, 28, v40
	v_bfe_u32 v39, v17, 19, 4
	v_lshlrev_b64 v[36:37], v36, v[6:7]
	v_sub_u32_e32 v37, 29, v40
	v_cmp_eq_u32_e64 s[0:1], 0, v39
	v_and_b32_e32 v36, 7, v36
	v_lshlrev_b32_e32 v6, 8, v6
	v_cndmask_b32_e64 v37, v39, v37, s[0:1]
	v_lshl_add_u32 v37, v37, 10, v27
	v_cndmask_b32_e64 v36, v38, v36, s[0:1]
	v_and_or_b32 v6, v6, s42, v37
	v_lshl_or_b32 v6, v36, 7, v6
	v_cvt_f32_f16_e32 v36, v6
.LBB223_78:                             ;   in Loop: Header=BB223_49 Depth=1
	s_or_b64 exec, exec, s[2:3]
	v_lshrrev_b32_e32 v6, 24, v17
	v_cmp_lt_i16_e64 s[0:1], s34, v6
	s_mov_b64 s[2:3], 0
                                        ; implicit-def: $sgpr22
	s_and_saveexec_b64 s[18:19], s[0:1]
	s_xor_b64 s[18:19], exec, s[18:19]
	s_cbranch_execnz .LBB223_147
; %bb.79:                               ;   in Loop: Header=BB223_49 Depth=1
	s_or_saveexec_b64 s[18:19], s[18:19]
	v_mov_b32_e32 v37, s22
	s_xor_b64 exec, exec, s[18:19]
	s_cbranch_execnz .LBB223_150
.LBB223_80:                             ;   in Loop: Header=BB223_49 Depth=1
	s_or_b64 exec, exec, s[18:19]
	s_and_saveexec_b64 s[18:19], s[2:3]
	s_cbranch_execz .LBB223_82
.LBB223_81:                             ;   in Loop: Header=BB223_49 Depth=1
	v_bfe_u32 v37, v17, 24, 3
	v_ffbh_u32_e32 v38, v37
	v_min_u32_e32 v40, 32, v38
	v_subrev_u32_e32 v38, 28, v40
	v_bfe_u32 v17, v17, 27, 4
	v_lshlrev_b64 v[38:39], v38, v[6:7]
	v_sub_u32_e32 v39, 29, v40
	v_cmp_eq_u32_e64 s[0:1], 0, v17
	v_and_b32_e32 v38, 7, v38
	v_lshlrev_b32_e32 v6, 8, v6
	v_cndmask_b32_e64 v17, v17, v39, s[0:1]
	v_lshl_add_u32 v17, v17, 10, v27
	v_cndmask_b32_e64 v37, v37, v38, s[0:1]
	v_and_or_b32 v6, v6, s42, v17
	v_lshl_or_b32 v6, v37, 7, v6
	v_cvt_f32_f16_e32 v37, v6
.LBB223_82:                             ;   in Loop: Header=BB223_49 Depth=1
	s_or_b64 exec, exec, s[18:19]
	s_waitcnt vmcnt(0)
	v_pk_mul_f32 v[20:21], v[14:15], v[20:21] op_sel_hi:[0,1]
	v_pk_mul_f32 v[18:19], v[14:15], v[18:19] op_sel_hi:[0,1]
	v_cvt_f16_f32_e32 v6, v21
	v_cvt_f16_f32_e32 v17, v20
	;; [unrolled: 1-line block ×4, first 2 shown]
	v_fma_mixlo_f16 v16, v14, v16, 0
	v_pack_b32_f16 v17, v17, v6
	v_cmp_eq_u32_e64 s[2:3], s36, v1
	v_pack_b32_f16 v18, v18, v19
	v_perm_b32 v6, v18, v17, s47
	v_perm_b32 v17, v18, v17, s48
	v_fma_mixlo_f16 v18, v14, v31, 0
	v_lshlrev_b32_e32 v18, 16, v18
	v_or_b32_sdwa v16, v18, v16 dst_sel:DWORD dst_unused:UNUSED_PAD src0_sel:DWORD src1_sel:WORD_0
	v_fma_mixlo_f16 v18, v14, v36, 0
	v_fma_mixlo_f16 v14, v14, v37, 0
	v_lshlrev_b32_e32 v14, 16, v14
	v_or_b32_sdwa v14, v14, v18 dst_sel:DWORD dst_unused:UNUSED_PAD src0_sel:DWORD src1_sel:WORD_0
	s_and_saveexec_b64 s[18:19], s[2:3]
	s_cbranch_execz .LBB223_84
; %bb.83:                               ;   in Loop: Header=BB223_49 Depth=1
	v_add_u32_e32 v19, 1, v3
	v_lshrrev_b32_e32 v20, 16, v17
	v_cmp_gt_i32_e64 s[0:1], s41, v19
	v_lshrrev_b32_e32 v21, 16, v6
	v_lshrrev_b32_e32 v14, 16, v14
	v_cndmask_b32_e64 v19, 0, v20, s[0:1]
	v_cmp_gt_i32_e64 s[0:1], s25, v3
	v_or_b32_e32 v20, 2, v3
	s_nop 0
	v_cndmask_b32_e64 v17, 0, v17, s[0:1]
	v_perm_b32 v17, v19, v17, s49
	v_or_b32_e32 v19, 3, v3
	v_cmp_gt_i32_e64 s[0:1], s41, v19
	s_nop 1
	v_cndmask_b32_e64 v19, 0, v21, s[0:1]
	v_cmp_gt_i32_e64 s[0:1], s25, v20
	v_or_b32_e32 v20, 4, v3
	v_lshrrev_b32_e32 v21, 16, v16
	v_cndmask_b32_e64 v6, 0, v6, s[0:1]
	v_perm_b32 v6, v19, v6, s49
	v_or_b32_e32 v19, 5, v3
	v_cmp_gt_i32_e64 s[0:1], s41, v19
	s_nop 1
	v_cndmask_b32_e64 v19, 0, v21, s[0:1]
	v_cmp_gt_i32_e64 s[0:1], s25, v20
	v_or_b32_e32 v20, 6, v3
	s_nop 0
	v_cndmask_b32_e64 v16, 0, v16, s[0:1]
	v_perm_b32 v16, v19, v16, s49
	v_or_b32_e32 v19, 7, v3
	v_cmp_gt_i32_e64 s[0:1], s41, v19
	s_nop 1
	v_cndmask_b32_e64 v14, 0, v14, s[0:1]
	v_cmp_gt_i32_e64 s[0:1], s25, v20
	s_nop 1
	v_cndmask_b32_e64 v18, 0, v18, s[0:1]
	v_perm_b32 v14, v14, v18, s49
.LBB223_84:                             ;   in Loop: Header=BB223_49 Depth=1
	s_or_b64 exec, exec, s[18:19]
	v_and_b32_e32 v15, 0xffff, v15
	v_lshl_or_b32 v31, v28, 16, v15
	v_and_b32_e32 v15, 0xffff, v29
	v_lshl_or_b32 v30, v30, 16, v15
	;; [unrolled: 2-line block ×4, first 2 shown]
	;;#ASMSTART
	v_pk_mul_f16 v15, v31, v17;

	;;#ASMEND
	;;#ASMSTART
	v_pk_mul_f16 v6, v30, v6;

	;;#ASMEND
	;; [unrolled: 4-line block ×4, first 2 shown]
	s_nop 0
	;;#ASMSTART
	v_pk_add_f16 v6, v15, v6;

	;;#ASMEND
	s_nop 0
	;;#ASMSTART
	v_pk_add_f16 v6, v6, v16;

	;;#ASMEND
	;; [unrolled: 5-line block ×3, first 2 shown]
	s_nop 0
	v_lshrrev_b32_e32 v14, 16, v6
	v_and_b32_e32 v6, 0xffff, v6
	;;#ASMSTART
	v_cvt_f32_f16 v20, v6;
	;;#ASMEND
	;;#ASMSTART
	v_cvt_f32_f16 v21, v14;
	;;#ASMEND
	s_and_saveexec_b64 s[18:19], vcc
	s_cbranch_execz .LBB223_47
; %bb.85:                               ;   in Loop: Header=BB223_49 Depth=1
	v_lshl_add_u64 v[16:17], v[12:13], 0, v[8:9]
	global_load_dwordx2 v[14:15], v[16:17], off
	global_load_dword v12, v7, s[14:15]
	s_mov_b64 s[0:1], 0
                                        ; implicit-def: $sgpr30
	s_waitcnt vmcnt(1)
	v_cmp_gt_i16_sdwa s[20:21], v14, s34 src0_sel:BYTE_0 src1_sel:DWORD
	s_and_saveexec_b64 s[22:23], s[20:21]
	s_xor_b64 s[20:21], exec, s[22:23]
	s_cbranch_execnz .LBB223_151
; %bb.86:                               ;   in Loop: Header=BB223_49 Depth=1
	s_or_saveexec_b64 s[20:21], s[20:21]
	v_mov_b32_e32 v16, s30
	s_xor_b64 exec, exec, s[20:21]
	s_cbranch_execnz .LBB223_154
.LBB223_87:                             ;   in Loop: Header=BB223_49 Depth=1
	s_or_b64 exec, exec, s[20:21]
	s_and_saveexec_b64 s[20:21], s[0:1]
	s_cbranch_execz .LBB223_89
.LBB223_88:                             ;   in Loop: Header=BB223_49 Depth=1
	v_and_b32_e32 v6, 7, v14
	v_ffbh_u32_e32 v6, v6
	v_bfe_u32 v13, v14, 3, 4
	v_min_u32_e32 v6, 32, v6
	v_subrev_u32_e32 v16, 28, v6
	v_sub_u32_e32 v6, 29, v6
	v_cmp_eq_u32_e64 s[0:1], 0, v13
	s_nop 1
	v_cndmask_b32_e64 v6, v13, v6, s[0:1]
	v_cndmask_b32_e64 v13, 0, v16, s[0:1]
	v_lshlrev_b64 v[16:17], v13, v[14:15]
	v_lshlrev_b32_e32 v13, 7, v16
	v_lshlrev_b32_e32 v16, 8, v14
	v_lshl_add_u32 v6, v6, 10, v27
	v_and_or_b32 v6, v16, s42, v6
	v_and_or_b32 v6, v13, s43, v6
	v_cvt_f32_f16_e32 v16, v6
.LBB223_89:                             ;   in Loop: Header=BB223_49 Depth=1
	s_or_b64 exec, exec, s[20:21]
	v_lshrrev_b16_e32 v6, 8, v14
	v_cmp_lt_i16_e64 s[0:1], s34, v6
	s_mov_b64 s[20:21], 0
                                        ; implicit-def: $sgpr50
	s_and_saveexec_b64 s[22:23], s[0:1]
	s_xor_b64 s[22:23], exec, s[22:23]
	s_cbranch_execnz .LBB223_155
; %bb.90:                               ;   in Loop: Header=BB223_49 Depth=1
	s_or_saveexec_b64 s[22:23], s[22:23]
	v_mov_b32_e32 v18, s50
	s_xor_b64 exec, exec, s[22:23]
	s_cbranch_execnz .LBB223_158
.LBB223_91:                             ;   in Loop: Header=BB223_49 Depth=1
	s_or_b64 exec, exec, s[22:23]
	s_and_saveexec_b64 s[22:23], s[20:21]
	s_cbranch_execz .LBB223_93
.LBB223_92:                             ;   in Loop: Header=BB223_49 Depth=1
	v_and_b32_e32 v13, 7, v6
	v_ffbh_u32_e32 v18, v13
	v_min_u32_e32 v32, 32, v18
	v_subrev_u32_e32 v18, 28, v32
	v_bfe_u32 v17, v6, 3, 4
	v_lshlrev_b64 v[18:19], v18, v[6:7]
	v_sub_u32_e32 v19, 29, v32
	v_cmp_eq_u32_e64 s[0:1], 0, v17
	v_and_b32_e32 v18, 7, v18
	v_lshlrev_b32_e32 v6, 8, v6
	v_cndmask_b32_e64 v17, v17, v19, s[0:1]
	v_lshl_add_u32 v17, v17, 10, v27
	v_cndmask_b32_e64 v13, v13, v18, s[0:1]
	v_and_or_b32 v6, v6, s42, v17
	v_lshl_or_b32 v6, v13, 7, v6
	v_cvt_f32_f16_e32 v18, v6
.LBB223_93:                             ;   in Loop: Header=BB223_49 Depth=1
	s_or_b64 exec, exec, s[22:23]
	v_lshrrev_b32_e32 v6, 16, v14
	v_cmp_gt_i16_sdwa s[20:21], v6, s34 src0_sel:BYTE_0 src1_sel:DWORD
	s_mov_b64 s[0:1], 0
                                        ; implicit-def: $sgpr30
	s_and_saveexec_b64 s[22:23], s[20:21]
	s_xor_b64 s[20:21], exec, s[22:23]
	s_cbranch_execnz .LBB223_159
; %bb.94:                               ;   in Loop: Header=BB223_49 Depth=1
	s_or_saveexec_b64 s[20:21], s[20:21]
	v_mov_b32_e32 v17, s30
	s_xor_b64 exec, exec, s[20:21]
	s_cbranch_execnz .LBB223_162
.LBB223_95:                             ;   in Loop: Header=BB223_49 Depth=1
	s_or_b64 exec, exec, s[20:21]
	s_and_saveexec_b64 s[20:21], s[0:1]
	s_cbranch_execz .LBB223_97
.LBB223_96:                             ;   in Loop: Header=BB223_49 Depth=1
	v_bfe_u32 v13, v14, 16, 3
	v_ffbh_u32_e32 v19, v13
	v_bfe_u32 v17, v14, 19, 4
	v_min_u32_e32 v19, 32, v19
	v_subrev_u32_e32 v32, 28, v19
	v_sub_u32_e32 v19, 29, v19
	v_cmp_eq_u32_e64 s[0:1], 0, v17
	v_lshlrev_b64 v[32:33], v32, v[6:7]
	v_and_b32_e32 v32, 7, v32
	v_cndmask_b32_e64 v17, v17, v19, s[0:1]
	v_lshlrev_b32_e32 v6, 8, v6
	v_lshl_add_u32 v17, v17, 10, v27
	v_cndmask_b32_e64 v13, v13, v32, s[0:1]
	v_and_or_b32 v6, v6, s42, v17
	v_lshl_or_b32 v6, v13, 7, v6
	v_cvt_f32_f16_e32 v17, v6
.LBB223_97:                             ;   in Loop: Header=BB223_49 Depth=1
	s_or_b64 exec, exec, s[20:21]
	v_lshrrev_b32_e32 v6, 24, v14
	v_cmp_lt_i16_e64 s[0:1], s34, v6
	s_mov_b64 s[20:21], 0
                                        ; implicit-def: $sgpr50
	s_and_saveexec_b64 s[22:23], s[0:1]
	s_xor_b64 s[22:23], exec, s[22:23]
	s_cbranch_execnz .LBB223_163
; %bb.98:                               ;   in Loop: Header=BB223_49 Depth=1
	s_or_saveexec_b64 s[22:23], s[22:23]
	v_mov_b32_e32 v19, s50
	s_xor_b64 exec, exec, s[22:23]
	s_cbranch_execnz .LBB223_166
.LBB223_99:                             ;   in Loop: Header=BB223_49 Depth=1
	s_or_b64 exec, exec, s[22:23]
	s_and_saveexec_b64 s[22:23], s[20:21]
	s_cbranch_execz .LBB223_101
.LBB223_100:                            ;   in Loop: Header=BB223_49 Depth=1
	v_bfe_u32 v13, v14, 24, 3
	v_ffbh_u32_e32 v19, v13
	v_bfe_u32 v14, v14, 27, 4
	v_min_u32_e32 v19, 32, v19
	v_subrev_u32_e32 v32, 28, v19
	v_sub_u32_e32 v19, 29, v19
	v_cmp_eq_u32_e64 s[0:1], 0, v14
	v_lshlrev_b64 v[32:33], v32, v[6:7]
	v_and_b32_e32 v32, 7, v32
	v_cndmask_b32_e64 v14, v14, v19, s[0:1]
	v_lshlrev_b32_e32 v6, 8, v6
	v_lshl_add_u32 v14, v14, 10, v27
	v_cndmask_b32_e64 v13, v13, v32, s[0:1]
	v_and_or_b32 v6, v6, s42, v14
	v_lshl_or_b32 v6, v13, 7, v6
	v_cvt_f32_f16_e32 v19, v6
.LBB223_101:                            ;   in Loop: Header=BB223_49 Depth=1
	s_or_b64 exec, exec, s[22:23]
	v_cmp_gt_i16_sdwa s[20:21], v15, s34 src0_sel:BYTE_0 src1_sel:DWORD
	s_mov_b64 s[0:1], 0
                                        ; implicit-def: $sgpr30
	s_and_saveexec_b64 s[22:23], s[20:21]
	s_xor_b64 s[20:21], exec, s[22:23]
	s_cbranch_execnz .LBB223_167
; %bb.102:                              ;   in Loop: Header=BB223_49 Depth=1
	s_or_saveexec_b64 s[20:21], s[20:21]
	v_mov_b32_e32 v13, s30
	s_xor_b64 exec, exec, s[20:21]
	s_cbranch_execnz .LBB223_170
.LBB223_103:                            ;   in Loop: Header=BB223_49 Depth=1
	s_or_b64 exec, exec, s[20:21]
	v_mov_b32_e32 v6, v15
	s_and_saveexec_b64 s[20:21], s[0:1]
	s_cbranch_execz .LBB223_105
.LBB223_104:                            ;   in Loop: Header=BB223_49 Depth=1
	v_and_b32_e32 v13, 7, v15
	v_ffbh_u32_e32 v13, v13
	v_bfe_u32 v14, v15, 3, 4
	v_min_u32_e32 v13, 32, v13
	v_subrev_u32_e32 v32, 28, v13
	v_sub_u32_e32 v13, 29, v13
	v_cmp_eq_u32_e64 s[0:1], 0, v14
	s_nop 1
	v_cndmask_b32_e64 v13, v14, v13, s[0:1]
	v_cndmask_b32_e64 v14, 0, v32, s[0:1]
	v_lshlrev_b64 v[32:33], v14, v[6:7]
	v_lshlrev_b32_e32 v14, 7, v32
	v_lshlrev_b32_e32 v32, 8, v15
	v_lshl_add_u32 v13, v13, 10, v27
	v_and_or_b32 v13, v32, s42, v13
	v_and_or_b32 v13, v14, s43, v13
	v_cvt_f32_f16_e32 v13, v13
.LBB223_105:                            ;   in Loop: Header=BB223_49 Depth=1
	s_or_b64 exec, exec, s[20:21]
	v_lshrrev_b16_e32 v6, 8, v6
	v_cmp_lt_i16_e64 s[0:1], s34, v6
	s_mov_b64 s[20:21], 0
                                        ; implicit-def: $sgpr50
	s_and_saveexec_b64 s[22:23], s[0:1]
	s_xor_b64 s[22:23], exec, s[22:23]
	s_cbranch_execnz .LBB223_171
; %bb.106:                              ;   in Loop: Header=BB223_49 Depth=1
	s_or_saveexec_b64 s[22:23], s[22:23]
	v_mov_b32_e32 v14, s50
	s_xor_b64 exec, exec, s[22:23]
	s_cbranch_execnz .LBB223_174
.LBB223_107:                            ;   in Loop: Header=BB223_49 Depth=1
	s_or_b64 exec, exec, s[22:23]
	s_and_saveexec_b64 s[22:23], s[20:21]
	s_cbranch_execz .LBB223_109
.LBB223_108:                            ;   in Loop: Header=BB223_49 Depth=1
	v_and_b32_e32 v14, 7, v6
	v_ffbh_u32_e32 v32, v14
	v_min_u32_e32 v35, 32, v32
	v_subrev_u32_e32 v32, 28, v35
	v_bfe_u32 v34, v6, 3, 4
	v_lshlrev_b64 v[32:33], v32, v[6:7]
	v_sub_u32_e32 v33, 29, v35
	v_cmp_eq_u32_e64 s[0:1], 0, v34
	v_and_b32_e32 v32, 7, v32
	v_lshlrev_b32_e32 v6, 8, v6
	v_cndmask_b32_e64 v33, v34, v33, s[0:1]
	v_cndmask_b32_e64 v14, v14, v32, s[0:1]
	v_lshl_add_u32 v32, v33, 10, v27
	v_and_or_b32 v6, v6, s42, v32
	v_lshl_or_b32 v6, v14, 7, v6
	v_cvt_f32_f16_e32 v14, v6
.LBB223_109:                            ;   in Loop: Header=BB223_49 Depth=1
	s_or_b64 exec, exec, s[22:23]
	v_lshrrev_b32_e32 v6, 16, v15
	v_cmp_gt_i16_sdwa s[20:21], v6, s34 src0_sel:BYTE_0 src1_sel:DWORD
	s_mov_b64 s[0:1], 0
                                        ; implicit-def: $sgpr30
	s_and_saveexec_b64 s[22:23], s[20:21]
	s_xor_b64 s[20:21], exec, s[22:23]
	s_cbranch_execnz .LBB223_175
; %bb.110:                              ;   in Loop: Header=BB223_49 Depth=1
	s_or_saveexec_b64 s[20:21], s[20:21]
	v_mov_b32_e32 v32, s30
	s_xor_b64 exec, exec, s[20:21]
	s_cbranch_execnz .LBB223_178
.LBB223_111:                            ;   in Loop: Header=BB223_49 Depth=1
	s_or_b64 exec, exec, s[20:21]
	s_and_saveexec_b64 s[20:21], s[0:1]
	s_cbranch_execz .LBB223_113
.LBB223_112:                            ;   in Loop: Header=BB223_49 Depth=1
	v_bfe_u32 v34, v15, 16, 3
	v_ffbh_u32_e32 v32, v34
	v_min_u32_e32 v36, 32, v32
	v_subrev_u32_e32 v32, 28, v36
	v_bfe_u32 v35, v15, 19, 4
	v_lshlrev_b64 v[32:33], v32, v[6:7]
	v_sub_u32_e32 v33, 29, v36
	v_cmp_eq_u32_e64 s[0:1], 0, v35
	v_and_b32_e32 v32, 7, v32
	v_lshlrev_b32_e32 v6, 8, v6
	v_cndmask_b32_e64 v33, v35, v33, s[0:1]
	v_lshl_add_u32 v33, v33, 10, v27
	v_cndmask_b32_e64 v32, v34, v32, s[0:1]
	v_and_or_b32 v6, v6, s42, v33
	v_lshl_or_b32 v6, v32, 7, v6
	v_cvt_f32_f16_e32 v32, v6
.LBB223_113:                            ;   in Loop: Header=BB223_49 Depth=1
	s_or_b64 exec, exec, s[20:21]
	v_lshrrev_b32_e32 v6, 24, v15
	v_cmp_lt_i16_e64 s[0:1], s34, v6
	s_mov_b64 s[20:21], 0
                                        ; implicit-def: $sgpr50
	s_and_saveexec_b64 s[22:23], s[0:1]
	s_xor_b64 s[22:23], exec, s[22:23]
	s_cbranch_execnz .LBB223_179
; %bb.114:                              ;   in Loop: Header=BB223_49 Depth=1
	s_or_saveexec_b64 s[22:23], s[22:23]
	v_mov_b32_e32 v33, s50
	s_xor_b64 exec, exec, s[22:23]
	s_cbranch_execnz .LBB223_182
.LBB223_115:                            ;   in Loop: Header=BB223_49 Depth=1
	s_or_b64 exec, exec, s[22:23]
	s_and_saveexec_b64 s[22:23], s[20:21]
	s_cbranch_execz .LBB223_117
.LBB223_116:                            ;   in Loop: Header=BB223_49 Depth=1
	v_bfe_u32 v33, v15, 24, 3
	v_ffbh_u32_e32 v34, v33
	v_min_u32_e32 v36, 32, v34
	v_subrev_u32_e32 v34, 28, v36
	v_bfe_u32 v15, v15, 27, 4
	v_lshlrev_b64 v[34:35], v34, v[6:7]
	v_sub_u32_e32 v35, 29, v36
	v_cmp_eq_u32_e64 s[0:1], 0, v15
	v_and_b32_e32 v34, 7, v34
	v_lshlrev_b32_e32 v6, 8, v6
	v_cndmask_b32_e64 v15, v15, v35, s[0:1]
	v_lshl_add_u32 v15, v15, 10, v27
	v_cndmask_b32_e64 v33, v33, v34, s[0:1]
	v_and_or_b32 v6, v6, s42, v15
	v_lshl_or_b32 v6, v33, 7, v6
	v_cvt_f32_f16_e32 v33, v6
.LBB223_117:                            ;   in Loop: Header=BB223_49 Depth=1
	s_or_b64 exec, exec, s[22:23]
	s_waitcnt vmcnt(0)
	v_pk_mul_f32 v[18:19], v[12:13], v[18:19] op_sel_hi:[0,1]
	v_pk_mul_f32 v[16:17], v[12:13], v[16:17] op_sel_hi:[0,1]
	v_cvt_f16_f32_e32 v6, v19
	v_cvt_f16_f32_e32 v15, v18
	;; [unrolled: 1-line block ×4, first 2 shown]
	v_fma_mixlo_f16 v14, v12, v14, 0
	v_lshlrev_b32_e32 v14, 16, v14
	v_fma_mixlo_f16 v13, v12, v13, 0
	v_or_b32_sdwa v13, v14, v13 dst_sel:DWORD dst_unused:UNUSED_PAD src0_sel:DWORD src1_sel:WORD_0
	v_fma_mixlo_f16 v14, v12, v32, 0
	v_fma_mixlo_f16 v12, v12, v33, 0
	v_pack_b32_f16 v15, v15, v6
	v_pack_b32_f16 v16, v16, v17
	v_lshlrev_b32_e32 v12, 16, v12
	v_perm_b32 v6, v16, v15, s47
	v_perm_b32 v15, v16, v15, s48
	v_or_b32_sdwa v12, v12, v14 dst_sel:DWORD dst_unused:UNUSED_PAD src0_sel:DWORD src1_sel:WORD_0
	s_and_saveexec_b64 s[20:21], s[2:3]
	s_cbranch_execz .LBB223_46
; %bb.118:                              ;   in Loop: Header=BB223_49 Depth=1
	v_add_u32_e32 v16, 1, v3
	v_lshrrev_b32_e32 v17, 16, v15
	v_cmp_gt_i32_e64 s[0:1], s41, v16
	v_lshrrev_b32_e32 v18, 16, v6
	v_lshrrev_b32_e32 v12, 16, v12
	v_cndmask_b32_e64 v16, 0, v17, s[0:1]
	v_cmp_gt_i32_e64 s[0:1], s25, v3
	v_or_b32_e32 v17, 2, v3
	s_nop 0
	v_cndmask_b32_e64 v15, 0, v15, s[0:1]
	v_perm_b32 v15, v16, v15, s49
	v_or_b32_e32 v16, 3, v3
	v_cmp_gt_i32_e64 s[0:1], s41, v16
	s_nop 1
	v_cndmask_b32_e64 v16, 0, v18, s[0:1]
	v_cmp_gt_i32_e64 s[0:1], s25, v17
	v_or_b32_e32 v17, 4, v3
	v_lshrrev_b32_e32 v18, 16, v13
	v_cndmask_b32_e64 v6, 0, v6, s[0:1]
	v_perm_b32 v6, v16, v6, s49
	v_or_b32_e32 v16, 5, v3
	v_cmp_gt_i32_e64 s[0:1], s41, v16
	s_nop 1
	v_cndmask_b32_e64 v16, 0, v18, s[0:1]
	v_cmp_gt_i32_e64 s[0:1], s25, v17
	v_or_b32_e32 v17, 6, v3
	s_nop 0
	v_cndmask_b32_e64 v13, 0, v13, s[0:1]
	v_perm_b32 v13, v16, v13, s49
	v_or_b32_e32 v16, 7, v3
	v_cmp_gt_i32_e64 s[0:1], s41, v16
	s_nop 1
	v_cndmask_b32_e64 v12, 0, v12, s[0:1]
	v_cmp_gt_i32_e64 s[0:1], s25, v17
	s_nop 1
	v_cndmask_b32_e64 v14, 0, v14, s[0:1]
	v_perm_b32 v12, v12, v14, s49
	s_branch .LBB223_46
.LBB223_119:                            ;   in Loop: Header=BB223_49 Depth=1
	v_cmp_eq_u16_sdwa s[22:23], v16, s35 src0_sel:BYTE_0 src1_sel:DWORD
	s_mov_b64 s[0:1], -1
                                        ; implicit-def: $sgpr20
	s_and_saveexec_b64 s[18:19], s[22:23]
; %bb.120:                              ;   in Loop: Header=BB223_49 Depth=1
	s_mov_b32 s20, 0x7fc02000
	s_xor_b64 s[0:1], exec, -1
; %bb.121:                              ;   in Loop: Header=BB223_49 Depth=1
	s_or_b64 exec, exec, s[18:19]
	s_and_b64 s[0:1], s[0:1], exec
	s_or_saveexec_b64 s[2:3], s[2:3]
	v_mov_b32_e32 v18, s20
	s_xor_b64 exec, exec, s[2:3]
	s_cbranch_execz .LBB223_52
.LBB223_122:                            ;   in Loop: Header=BB223_49 Depth=1
	v_cmp_ne_u16_sdwa s[18:19], v16, v7 src0_sel:BYTE_0 src1_sel:DWORD
	s_andn2_b64 s[0:1], s[0:1], exec
	s_and_b64 s[18:19], s[18:19], exec
	v_mov_b32_e32 v18, 0
	s_or_b64 s[0:1], s[0:1], s[18:19]
	s_or_b64 exec, exec, s[2:3]
	s_and_saveexec_b64 s[2:3], s[0:1]
	s_cbranch_execnz .LBB223_53
	s_branch .LBB223_54
.LBB223_123:                            ;   in Loop: Header=BB223_49 Depth=1
	v_cmp_eq_u16_e64 s[0:1], s35, v6
	s_mov_b64 s[2:3], -1
                                        ; implicit-def: $sgpr22
	s_and_saveexec_b64 s[20:21], s[0:1]
; %bb.124:                              ;   in Loop: Header=BB223_49 Depth=1
	s_mov_b32 s22, 0x7fc02000
	s_xor_b64 s[2:3], exec, -1
; %bb.125:                              ;   in Loop: Header=BB223_49 Depth=1
	s_or_b64 exec, exec, s[20:21]
	s_and_b64 s[2:3], s[2:3], exec
	s_or_saveexec_b64 s[18:19], s[18:19]
	v_mov_b32_e32 v20, s22
	s_xor_b64 exec, exec, s[18:19]
	s_cbranch_execz .LBB223_56
.LBB223_126:                            ;   in Loop: Header=BB223_49 Depth=1
	v_cmp_ne_u16_e64 s[0:1], 0, v6
	s_andn2_b64 s[2:3], s[2:3], exec
	s_and_b64 s[0:1], s[0:1], exec
	v_mov_b32_e32 v20, 0
	s_or_b64 s[2:3], s[2:3], s[0:1]
	s_or_b64 exec, exec, s[18:19]
	s_and_saveexec_b64 s[18:19], s[2:3]
	s_cbranch_execnz .LBB223_57
	s_branch .LBB223_58
.LBB223_127:                            ;   in Loop: Header=BB223_49 Depth=1
	v_cmp_eq_u16_sdwa s[22:23], v6, s35 src0_sel:BYTE_0 src1_sel:DWORD
	s_mov_b64 s[0:1], -1
                                        ; implicit-def: $sgpr20
	s_and_saveexec_b64 s[18:19], s[22:23]
; %bb.128:                              ;   in Loop: Header=BB223_49 Depth=1
	s_mov_b32 s20, 0x7fc02000
	s_xor_b64 s[0:1], exec, -1
; %bb.129:                              ;   in Loop: Header=BB223_49 Depth=1
	s_or_b64 exec, exec, s[18:19]
	s_and_b64 s[0:1], s[0:1], exec
	s_or_saveexec_b64 s[2:3], s[2:3]
	v_mov_b32_e32 v19, s20
	s_xor_b64 exec, exec, s[2:3]
	s_cbranch_execz .LBB223_60
.LBB223_130:                            ;   in Loop: Header=BB223_49 Depth=1
	v_cmp_ne_u16_sdwa s[18:19], v6, v7 src0_sel:BYTE_0 src1_sel:DWORD
	s_andn2_b64 s[0:1], s[0:1], exec
	s_and_b64 s[18:19], s[18:19], exec
	v_mov_b32_e32 v19, 0
	s_or_b64 s[0:1], s[0:1], s[18:19]
	s_or_b64 exec, exec, s[2:3]
	s_and_saveexec_b64 s[2:3], s[0:1]
	s_cbranch_execnz .LBB223_61
	s_branch .LBB223_62
.LBB223_131:                            ;   in Loop: Header=BB223_49 Depth=1
	v_cmp_eq_u16_e64 s[0:1], s35, v6
	s_mov_b64 s[2:3], -1
                                        ; implicit-def: $sgpr22
	s_and_saveexec_b64 s[20:21], s[0:1]
; %bb.132:                              ;   in Loop: Header=BB223_49 Depth=1
	s_mov_b32 s22, 0x7fc02000
	s_xor_b64 s[2:3], exec, -1
; %bb.133:                              ;   in Loop: Header=BB223_49 Depth=1
	s_or_b64 exec, exec, s[20:21]
	s_and_b64 s[2:3], s[2:3], exec
	s_or_saveexec_b64 s[18:19], s[18:19]
	v_mov_b32_e32 v21, s22
	s_xor_b64 exec, exec, s[18:19]
	s_cbranch_execz .LBB223_64
.LBB223_134:                            ;   in Loop: Header=BB223_49 Depth=1
	v_cmp_ne_u16_e64 s[0:1], 0, v6
	s_andn2_b64 s[2:3], s[2:3], exec
	s_and_b64 s[0:1], s[0:1], exec
	v_mov_b32_e32 v21, 0
	s_or_b64 s[2:3], s[2:3], s[0:1]
	s_or_b64 exec, exec, s[18:19]
	s_and_saveexec_b64 s[18:19], s[2:3]
	s_cbranch_execnz .LBB223_65
	s_branch .LBB223_66
.LBB223_135:                            ;   in Loop: Header=BB223_49 Depth=1
	v_cmp_eq_u16_sdwa s[22:23], v17, s35 src0_sel:BYTE_0 src1_sel:DWORD
	s_mov_b64 s[0:1], -1
                                        ; implicit-def: $sgpr20
	s_and_saveexec_b64 s[18:19], s[22:23]
; %bb.136:                              ;   in Loop: Header=BB223_49 Depth=1
	s_mov_b32 s20, 0x7fc02000
	s_xor_b64 s[0:1], exec, -1
; %bb.137:                              ;   in Loop: Header=BB223_49 Depth=1
	s_or_b64 exec, exec, s[18:19]
	s_and_b64 s[0:1], s[0:1], exec
	s_or_saveexec_b64 s[2:3], s[2:3]
	v_mov_b32_e32 v16, s20
	s_xor_b64 exec, exec, s[2:3]
	s_cbranch_execz .LBB223_68
.LBB223_138:                            ;   in Loop: Header=BB223_49 Depth=1
	v_cmp_ne_u16_sdwa s[18:19], v17, v7 src0_sel:BYTE_0 src1_sel:DWORD
	s_andn2_b64 s[0:1], s[0:1], exec
	s_and_b64 s[18:19], s[18:19], exec
	v_mov_b32_e32 v16, 0
	s_or_b64 s[0:1], s[0:1], s[18:19]
	s_or_b64 exec, exec, s[2:3]
	v_mov_b32_e32 v6, v17
	s_and_saveexec_b64 s[2:3], s[0:1]
	s_cbranch_execnz .LBB223_69
	s_branch .LBB223_70
.LBB223_139:                            ;   in Loop: Header=BB223_49 Depth=1
	v_cmp_eq_u16_e64 s[0:1], s35, v6
	s_mov_b64 s[2:3], -1
                                        ; implicit-def: $sgpr22
	s_and_saveexec_b64 s[20:21], s[0:1]
; %bb.140:                              ;   in Loop: Header=BB223_49 Depth=1
	s_mov_b32 s22, 0x7fc02000
	s_xor_b64 s[2:3], exec, -1
; %bb.141:                              ;   in Loop: Header=BB223_49 Depth=1
	s_or_b64 exec, exec, s[20:21]
	s_and_b64 s[2:3], s[2:3], exec
	s_or_saveexec_b64 s[18:19], s[18:19]
	v_mov_b32_e32 v31, s22
	s_xor_b64 exec, exec, s[18:19]
	s_cbranch_execz .LBB223_72
.LBB223_142:                            ;   in Loop: Header=BB223_49 Depth=1
	v_cmp_ne_u16_e64 s[0:1], 0, v6
	s_andn2_b64 s[2:3], s[2:3], exec
	s_and_b64 s[0:1], s[0:1], exec
	v_mov_b32_e32 v31, 0
	s_or_b64 s[2:3], s[2:3], s[0:1]
	s_or_b64 exec, exec, s[18:19]
	s_and_saveexec_b64 s[18:19], s[2:3]
	s_cbranch_execnz .LBB223_73
	s_branch .LBB223_74
.LBB223_143:                            ;   in Loop: Header=BB223_49 Depth=1
	v_cmp_eq_u16_sdwa s[22:23], v6, s35 src0_sel:BYTE_0 src1_sel:DWORD
	s_mov_b64 s[0:1], -1
                                        ; implicit-def: $sgpr20
	s_and_saveexec_b64 s[18:19], s[22:23]
; %bb.144:                              ;   in Loop: Header=BB223_49 Depth=1
	s_mov_b32 s20, 0x7fc02000
	s_xor_b64 s[0:1], exec, -1
; %bb.145:                              ;   in Loop: Header=BB223_49 Depth=1
	s_or_b64 exec, exec, s[18:19]
	s_and_b64 s[0:1], s[0:1], exec
	s_or_saveexec_b64 s[2:3], s[2:3]
	v_mov_b32_e32 v36, s20
	s_xor_b64 exec, exec, s[2:3]
	s_cbranch_execz .LBB223_76
.LBB223_146:                            ;   in Loop: Header=BB223_49 Depth=1
	v_cmp_ne_u16_sdwa s[18:19], v6, v7 src0_sel:BYTE_0 src1_sel:DWORD
	s_andn2_b64 s[0:1], s[0:1], exec
	s_and_b64 s[18:19], s[18:19], exec
	v_mov_b32_e32 v36, 0
	s_or_b64 s[0:1], s[0:1], s[18:19]
	s_or_b64 exec, exec, s[2:3]
	s_and_saveexec_b64 s[2:3], s[0:1]
	s_cbranch_execnz .LBB223_77
	s_branch .LBB223_78
.LBB223_147:                            ;   in Loop: Header=BB223_49 Depth=1
	v_cmp_eq_u16_e64 s[0:1], s35, v6
	s_mov_b64 s[2:3], -1
                                        ; implicit-def: $sgpr22
	s_and_saveexec_b64 s[20:21], s[0:1]
; %bb.148:                              ;   in Loop: Header=BB223_49 Depth=1
	s_mov_b32 s22, 0x7fc02000
	s_xor_b64 s[2:3], exec, -1
; %bb.149:                              ;   in Loop: Header=BB223_49 Depth=1
	s_or_b64 exec, exec, s[20:21]
	s_and_b64 s[2:3], s[2:3], exec
	s_or_saveexec_b64 s[18:19], s[18:19]
	v_mov_b32_e32 v37, s22
	s_xor_b64 exec, exec, s[18:19]
	s_cbranch_execz .LBB223_80
.LBB223_150:                            ;   in Loop: Header=BB223_49 Depth=1
	v_cmp_ne_u16_e64 s[0:1], 0, v6
	s_andn2_b64 s[2:3], s[2:3], exec
	s_and_b64 s[0:1], s[0:1], exec
	v_mov_b32_e32 v37, 0
	s_or_b64 s[2:3], s[2:3], s[0:1]
	s_or_b64 exec, exec, s[18:19]
	s_and_saveexec_b64 s[18:19], s[2:3]
	s_cbranch_execnz .LBB223_81
	s_branch .LBB223_82
.LBB223_151:                            ;   in Loop: Header=BB223_49 Depth=1
	v_cmp_eq_u16_sdwa s[50:51], v14, s35 src0_sel:BYTE_0 src1_sel:DWORD
	s_mov_b64 s[0:1], -1
                                        ; implicit-def: $sgpr30
	s_and_saveexec_b64 s[22:23], s[50:51]
; %bb.152:                              ;   in Loop: Header=BB223_49 Depth=1
	s_mov_b32 s30, 0x7fc02000
	s_xor_b64 s[0:1], exec, -1
; %bb.153:                              ;   in Loop: Header=BB223_49 Depth=1
	s_or_b64 exec, exec, s[22:23]
	s_and_b64 s[0:1], s[0:1], exec
	s_or_saveexec_b64 s[20:21], s[20:21]
	v_mov_b32_e32 v16, s30
	s_xor_b64 exec, exec, s[20:21]
	s_cbranch_execz .LBB223_87
.LBB223_154:                            ;   in Loop: Header=BB223_49 Depth=1
	v_cmp_ne_u16_sdwa s[22:23], v14, v7 src0_sel:BYTE_0 src1_sel:DWORD
	s_andn2_b64 s[0:1], s[0:1], exec
	s_and_b64 s[22:23], s[22:23], exec
	v_mov_b32_e32 v16, 0
	s_or_b64 s[0:1], s[0:1], s[22:23]
	s_or_b64 exec, exec, s[20:21]
	s_and_saveexec_b64 s[20:21], s[0:1]
	s_cbranch_execnz .LBB223_88
	s_branch .LBB223_89
.LBB223_155:                            ;   in Loop: Header=BB223_49 Depth=1
	v_cmp_eq_u16_e64 s[0:1], s35, v6
	s_mov_b64 s[20:21], -1
                                        ; implicit-def: $sgpr50
	s_and_saveexec_b64 s[30:31], s[0:1]
; %bb.156:                              ;   in Loop: Header=BB223_49 Depth=1
	s_mov_b32 s50, 0x7fc02000
	s_xor_b64 s[20:21], exec, -1
; %bb.157:                              ;   in Loop: Header=BB223_49 Depth=1
	s_or_b64 exec, exec, s[30:31]
	s_and_b64 s[20:21], s[20:21], exec
	s_or_saveexec_b64 s[22:23], s[22:23]
	v_mov_b32_e32 v18, s50
	s_xor_b64 exec, exec, s[22:23]
	s_cbranch_execz .LBB223_91
.LBB223_158:                            ;   in Loop: Header=BB223_49 Depth=1
	v_cmp_ne_u16_e64 s[0:1], 0, v6
	s_andn2_b64 s[20:21], s[20:21], exec
	s_and_b64 s[0:1], s[0:1], exec
	v_mov_b32_e32 v18, 0
	s_or_b64 s[20:21], s[20:21], s[0:1]
	s_or_b64 exec, exec, s[22:23]
	s_and_saveexec_b64 s[22:23], s[20:21]
	s_cbranch_execnz .LBB223_92
	s_branch .LBB223_93
.LBB223_159:                            ;   in Loop: Header=BB223_49 Depth=1
	v_cmp_eq_u16_sdwa s[50:51], v6, s35 src0_sel:BYTE_0 src1_sel:DWORD
	s_mov_b64 s[0:1], -1
                                        ; implicit-def: $sgpr30
	s_and_saveexec_b64 s[22:23], s[50:51]
; %bb.160:                              ;   in Loop: Header=BB223_49 Depth=1
	s_mov_b32 s30, 0x7fc02000
	s_xor_b64 s[0:1], exec, -1
; %bb.161:                              ;   in Loop: Header=BB223_49 Depth=1
	s_or_b64 exec, exec, s[22:23]
	s_and_b64 s[0:1], s[0:1], exec
	s_or_saveexec_b64 s[20:21], s[20:21]
	v_mov_b32_e32 v17, s30
	s_xor_b64 exec, exec, s[20:21]
	s_cbranch_execz .LBB223_95
.LBB223_162:                            ;   in Loop: Header=BB223_49 Depth=1
	v_cmp_ne_u16_sdwa s[22:23], v6, v7 src0_sel:BYTE_0 src1_sel:DWORD
	s_andn2_b64 s[0:1], s[0:1], exec
	s_and_b64 s[22:23], s[22:23], exec
	v_mov_b32_e32 v17, 0
	s_or_b64 s[0:1], s[0:1], s[22:23]
	s_or_b64 exec, exec, s[20:21]
	s_and_saveexec_b64 s[20:21], s[0:1]
	s_cbranch_execnz .LBB223_96
	s_branch .LBB223_97
.LBB223_163:                            ;   in Loop: Header=BB223_49 Depth=1
	v_cmp_eq_u16_e64 s[0:1], s35, v6
	s_mov_b64 s[20:21], -1
                                        ; implicit-def: $sgpr50
	s_and_saveexec_b64 s[30:31], s[0:1]
; %bb.164:                              ;   in Loop: Header=BB223_49 Depth=1
	s_mov_b32 s50, 0x7fc02000
	s_xor_b64 s[20:21], exec, -1
; %bb.165:                              ;   in Loop: Header=BB223_49 Depth=1
	s_or_b64 exec, exec, s[30:31]
	s_and_b64 s[20:21], s[20:21], exec
	s_or_saveexec_b64 s[22:23], s[22:23]
	v_mov_b32_e32 v19, s50
	s_xor_b64 exec, exec, s[22:23]
	s_cbranch_execz .LBB223_99
.LBB223_166:                            ;   in Loop: Header=BB223_49 Depth=1
	v_cmp_ne_u16_e64 s[0:1], 0, v6
	s_andn2_b64 s[20:21], s[20:21], exec
	s_and_b64 s[0:1], s[0:1], exec
	v_mov_b32_e32 v19, 0
	s_or_b64 s[20:21], s[20:21], s[0:1]
	s_or_b64 exec, exec, s[22:23]
	s_and_saveexec_b64 s[22:23], s[20:21]
	s_cbranch_execnz .LBB223_100
	s_branch .LBB223_101
.LBB223_167:                            ;   in Loop: Header=BB223_49 Depth=1
	v_cmp_eq_u16_sdwa s[50:51], v15, s35 src0_sel:BYTE_0 src1_sel:DWORD
	s_mov_b64 s[0:1], -1
                                        ; implicit-def: $sgpr30
	s_and_saveexec_b64 s[22:23], s[50:51]
; %bb.168:                              ;   in Loop: Header=BB223_49 Depth=1
	s_mov_b32 s30, 0x7fc02000
	s_xor_b64 s[0:1], exec, -1
; %bb.169:                              ;   in Loop: Header=BB223_49 Depth=1
	s_or_b64 exec, exec, s[22:23]
	s_and_b64 s[0:1], s[0:1], exec
	s_or_saveexec_b64 s[20:21], s[20:21]
	v_mov_b32_e32 v13, s30
	s_xor_b64 exec, exec, s[20:21]
	s_cbranch_execz .LBB223_103
.LBB223_170:                            ;   in Loop: Header=BB223_49 Depth=1
	v_cmp_ne_u16_sdwa s[22:23], v15, v7 src0_sel:BYTE_0 src1_sel:DWORD
	s_andn2_b64 s[0:1], s[0:1], exec
	s_and_b64 s[22:23], s[22:23], exec
	v_mov_b32_e32 v13, 0
	s_or_b64 s[0:1], s[0:1], s[22:23]
	s_or_b64 exec, exec, s[20:21]
	v_mov_b32_e32 v6, v15
	s_and_saveexec_b64 s[20:21], s[0:1]
	s_cbranch_execnz .LBB223_104
	s_branch .LBB223_105
.LBB223_171:                            ;   in Loop: Header=BB223_49 Depth=1
	v_cmp_eq_u16_e64 s[0:1], s35, v6
	s_mov_b64 s[20:21], -1
                                        ; implicit-def: $sgpr50
	s_and_saveexec_b64 s[30:31], s[0:1]
; %bb.172:                              ;   in Loop: Header=BB223_49 Depth=1
	s_mov_b32 s50, 0x7fc02000
	s_xor_b64 s[20:21], exec, -1
; %bb.173:                              ;   in Loop: Header=BB223_49 Depth=1
	s_or_b64 exec, exec, s[30:31]
	s_and_b64 s[20:21], s[20:21], exec
	s_or_saveexec_b64 s[22:23], s[22:23]
	v_mov_b32_e32 v14, s50
	s_xor_b64 exec, exec, s[22:23]
	s_cbranch_execz .LBB223_107
.LBB223_174:                            ;   in Loop: Header=BB223_49 Depth=1
	v_cmp_ne_u16_e64 s[0:1], 0, v6
	s_andn2_b64 s[20:21], s[20:21], exec
	s_and_b64 s[0:1], s[0:1], exec
	v_mov_b32_e32 v14, 0
	s_or_b64 s[20:21], s[20:21], s[0:1]
	s_or_b64 exec, exec, s[22:23]
	s_and_saveexec_b64 s[22:23], s[20:21]
	s_cbranch_execnz .LBB223_108
	s_branch .LBB223_109
.LBB223_175:                            ;   in Loop: Header=BB223_49 Depth=1
	v_cmp_eq_u16_sdwa s[50:51], v6, s35 src0_sel:BYTE_0 src1_sel:DWORD
	s_mov_b64 s[0:1], -1
                                        ; implicit-def: $sgpr30
	s_and_saveexec_b64 s[22:23], s[50:51]
; %bb.176:                              ;   in Loop: Header=BB223_49 Depth=1
	s_mov_b32 s30, 0x7fc02000
	s_xor_b64 s[0:1], exec, -1
; %bb.177:                              ;   in Loop: Header=BB223_49 Depth=1
	s_or_b64 exec, exec, s[22:23]
	s_and_b64 s[0:1], s[0:1], exec
	s_or_saveexec_b64 s[20:21], s[20:21]
	v_mov_b32_e32 v32, s30
	s_xor_b64 exec, exec, s[20:21]
	s_cbranch_execz .LBB223_111
.LBB223_178:                            ;   in Loop: Header=BB223_49 Depth=1
	v_cmp_ne_u16_sdwa s[22:23], v6, v7 src0_sel:BYTE_0 src1_sel:DWORD
	s_andn2_b64 s[0:1], s[0:1], exec
	s_and_b64 s[22:23], s[22:23], exec
	v_mov_b32_e32 v32, 0
	s_or_b64 s[0:1], s[0:1], s[22:23]
	s_or_b64 exec, exec, s[20:21]
	s_and_saveexec_b64 s[20:21], s[0:1]
	s_cbranch_execnz .LBB223_112
	s_branch .LBB223_113
.LBB223_179:                            ;   in Loop: Header=BB223_49 Depth=1
	v_cmp_eq_u16_e64 s[0:1], s35, v6
	s_mov_b64 s[20:21], -1
                                        ; implicit-def: $sgpr50
	s_and_saveexec_b64 s[30:31], s[0:1]
; %bb.180:                              ;   in Loop: Header=BB223_49 Depth=1
	s_mov_b32 s50, 0x7fc02000
	s_xor_b64 s[20:21], exec, -1
; %bb.181:                              ;   in Loop: Header=BB223_49 Depth=1
	s_or_b64 exec, exec, s[30:31]
	s_and_b64 s[20:21], s[20:21], exec
	s_or_saveexec_b64 s[22:23], s[22:23]
	v_mov_b32_e32 v33, s50
	s_xor_b64 exec, exec, s[22:23]
	s_cbranch_execz .LBB223_115
.LBB223_182:                            ;   in Loop: Header=BB223_49 Depth=1
	v_cmp_ne_u16_e64 s[0:1], 0, v6
	s_andn2_b64 s[20:21], s[20:21], exec
	s_and_b64 s[0:1], s[0:1], exec
	v_mov_b32_e32 v33, 0
	s_or_b64 s[20:21], s[20:21], s[0:1]
	s_or_b64 exec, exec, s[22:23]
	s_and_saveexec_b64 s[22:23], s[20:21]
	s_cbranch_execnz .LBB223_116
	s_branch .LBB223_117
.LBB223_183:
	s_or_b64 exec, exec, s[12:13]
.LBB223_184:
	s_or_b64 exec, exec, s[8:9]
	v_and_b32_e32 v1, 0x3c0, v0
	v_cmp_eq_u32_e32 vcc, 64, v1
	s_barrier
	s_and_saveexec_b64 s[0:1], vcc
	s_cbranch_execz .LBB223_187
; %bb.185:
	v_mov_b32_e32 v1, 0x100
	v_lshl_add_u32 v3, v22, 2, v1
	ds_write_b32 v3, v24
	s_and_b64 exec, exec, s[6:7]
	s_cbranch_execz .LBB223_187
; %bb.186:
	v_lshl_add_u32 v1, v0, 2, v1
	ds_write_b32 v1, v23
.LBB223_187:
	s_or_b64 exec, exec, s[0:1]
	v_cmp_gt_u32_e32 vcc, 64, v0
	v_or_b32_e32 v1, 64, v0
	s_waitcnt lgkmcnt(0)
	s_barrier
	s_and_saveexec_b64 s[2:3], vcc
	s_cbranch_execz .LBB223_191
; %bb.188:
	v_mov_b32_e32 v3, 0x100
	v_lshl_add_u32 v3, v0, 2, v3
	ds_read_b32 v0, v3
	s_movk_i32 s0, 0x78
	v_cmp_gt_u32_e64 s[0:1], s0, v1
	s_and_saveexec_b64 s[6:7], s[0:1]
	s_cbranch_execz .LBB223_190
; %bb.189:
	ds_read_b32 v3, v3 offset:256
	s_waitcnt lgkmcnt(0)
	v_add_f32_e32 v23, v23, v3
.LBB223_190:
	s_or_b64 exec, exec, s[6:7]
	s_waitcnt lgkmcnt(0)
	v_add_f32_e32 v24, v24, v0
.LBB223_191:
	s_or_b64 exec, exec, s[2:3]
	s_barrier
	s_and_saveexec_b64 s[0:1], vcc
	s_cbranch_execz .LBB223_194
; %bb.192:
	s_mul_i32 s0, s24, s27
	s_mul_i32 s0, s0, s5
	s_mulk_i32 s0, 0x78
	s_ashr_i32 s1, s0, 31
	s_lshl_b64 s[0:1], s[0:1], 1
	s_add_u32 s3, s28, s0
	s_mul_i32 s0, s27, s26
	s_addc_u32 s5, s29, s1
	s_ashr_i32 s1, s0, 31
	s_lshl_b64 s[0:1], s[0:1], 1
	s_add_u32 s3, s3, s0
	s_mul_i32 s0, s4, 0x78
	s_addc_u32 s5, s5, s1
	s_ashr_i32 s1, s0, 31
	s_lshl_b64 s[0:1], s[0:1], 1
	s_movk_i32 s2, 0x78
	s_add_u32 s0, s3, s0
	s_addc_u32 s1, s5, s1
	v_cmp_gt_u32_e32 vcc, s2, v1
	;;#ASMSTART
	v_cvt_f16_f32 v0, v24;

	;;#ASMEND
	global_store_short v2, v0, s[0:1]
	s_and_b64 exec, exec, vcc
	s_cbranch_execz .LBB223_194
; %bb.193:
	v_mov_b32_e32 v3, 0
	v_lshl_add_u64 v[0:1], s[0:1], 0, v[2:3]
	;;#ASMSTART
	v_cvt_f16_f32 v2, v23;

	;;#ASMEND
	global_store_short v[0:1], v2, off offset:128
.LBB223_194:
	s_endpgm
	.section	.rodata,"a",@progbits
	.p2align	6, 0x0
	.amdhsa_kernel _ZN4vllm25paged_attention_v1_kernelIthLi120ELi8ELi128ELNS_18Fp8KVCacheDataTypeE1ELb1EEEvPT_PKS2_PKT0_S8_ifPKiSA_iPKfiiiSC_SC_iiiii
		.amdhsa_group_segment_fixed_size 256
		.amdhsa_private_segment_fixed_size 0
		.amdhsa_kernarg_size 384
		.amdhsa_user_sgpr_count 2
		.amdhsa_user_sgpr_dispatch_ptr 0
		.amdhsa_user_sgpr_queue_ptr 0
		.amdhsa_user_sgpr_kernarg_segment_ptr 1
		.amdhsa_user_sgpr_dispatch_id 0
		.amdhsa_user_sgpr_kernarg_preload_length 0
		.amdhsa_user_sgpr_kernarg_preload_offset 0
		.amdhsa_user_sgpr_private_segment_size 0
		.amdhsa_uses_dynamic_stack 0
		.amdhsa_enable_private_segment 0
		.amdhsa_system_sgpr_workgroup_id_x 1
		.amdhsa_system_sgpr_workgroup_id_y 1
		.amdhsa_system_sgpr_workgroup_id_z 1
		.amdhsa_system_sgpr_workgroup_info 0
		.amdhsa_system_vgpr_workitem_id 0
		.amdhsa_next_free_vgpr 54
		.amdhsa_next_free_sgpr 52
		.amdhsa_accum_offset 56
		.amdhsa_reserve_vcc 1
		.amdhsa_float_round_mode_32 0
		.amdhsa_float_round_mode_16_64 0
		.amdhsa_float_denorm_mode_32 3
		.amdhsa_float_denorm_mode_16_64 3
		.amdhsa_dx10_clamp 1
		.amdhsa_ieee_mode 1
		.amdhsa_fp16_overflow 0
		.amdhsa_tg_split 0
		.amdhsa_exception_fp_ieee_invalid_op 0
		.amdhsa_exception_fp_denorm_src 0
		.amdhsa_exception_fp_ieee_div_zero 0
		.amdhsa_exception_fp_ieee_overflow 0
		.amdhsa_exception_fp_ieee_underflow 0
		.amdhsa_exception_fp_ieee_inexact 0
		.amdhsa_exception_int_div_zero 0
	.end_amdhsa_kernel
	.section	.text._ZN4vllm25paged_attention_v1_kernelIthLi120ELi8ELi128ELNS_18Fp8KVCacheDataTypeE1ELb1EEEvPT_PKS2_PKT0_S8_ifPKiSA_iPKfiiiSC_SC_iiiii,"axG",@progbits,_ZN4vllm25paged_attention_v1_kernelIthLi120ELi8ELi128ELNS_18Fp8KVCacheDataTypeE1ELb1EEEvPT_PKS2_PKT0_S8_ifPKiSA_iPKfiiiSC_SC_iiiii,comdat
.Lfunc_end223:
	.size	_ZN4vllm25paged_attention_v1_kernelIthLi120ELi8ELi128ELNS_18Fp8KVCacheDataTypeE1ELb1EEEvPT_PKS2_PKT0_S8_ifPKiSA_iPKfiiiSC_SC_iiiii, .Lfunc_end223-_ZN4vllm25paged_attention_v1_kernelIthLi120ELi8ELi128ELNS_18Fp8KVCacheDataTypeE1ELb1EEEvPT_PKS2_PKT0_S8_ifPKiSA_iPKfiiiSC_SC_iiiii
                                        ; -- End function
	.section	.AMDGPU.csdata,"",@progbits
; Kernel info:
; codeLenInByte = 9952
; NumSgprs: 58
; NumVgprs: 54
; NumAgprs: 0
; TotalNumVgprs: 54
; ScratchSize: 0
; MemoryBound: 0
; FloatMode: 240
; IeeeMode: 1
; LDSByteSize: 256 bytes/workgroup (compile time only)
; SGPRBlocks: 7
; VGPRBlocks: 6
; NumSGPRsForWavesPerEU: 58
; NumVGPRsForWavesPerEU: 54
; AccumOffset: 56
; Occupancy: 8
; WaveLimiterHint : 1
; COMPUTE_PGM_RSRC2:SCRATCH_EN: 0
; COMPUTE_PGM_RSRC2:USER_SGPR: 2
; COMPUTE_PGM_RSRC2:TRAP_HANDLER: 0
; COMPUTE_PGM_RSRC2:TGID_X_EN: 1
; COMPUTE_PGM_RSRC2:TGID_Y_EN: 1
; COMPUTE_PGM_RSRC2:TGID_Z_EN: 1
; COMPUTE_PGM_RSRC2:TIDIG_COMP_CNT: 0
; COMPUTE_PGM_RSRC3_GFX90A:ACCUM_OFFSET: 13
; COMPUTE_PGM_RSRC3_GFX90A:TG_SPLIT: 0
	.section	.text._ZN4vllm25paged_attention_v1_kernelIthLi128ELi8ELi128ELNS_18Fp8KVCacheDataTypeE1ELb1EEEvPT_PKS2_PKT0_S8_ifPKiSA_iPKfiiiSC_SC_iiiii,"axG",@progbits,_ZN4vllm25paged_attention_v1_kernelIthLi128ELi8ELi128ELNS_18Fp8KVCacheDataTypeE1ELb1EEEvPT_PKS2_PKT0_S8_ifPKiSA_iPKfiiiSC_SC_iiiii,comdat
	.protected	_ZN4vllm25paged_attention_v1_kernelIthLi128ELi8ELi128ELNS_18Fp8KVCacheDataTypeE1ELb1EEEvPT_PKS2_PKT0_S8_ifPKiSA_iPKfiiiSC_SC_iiiii ; -- Begin function _ZN4vllm25paged_attention_v1_kernelIthLi128ELi8ELi128ELNS_18Fp8KVCacheDataTypeE1ELb1EEEvPT_PKS2_PKT0_S8_ifPKiSA_iPKfiiiSC_SC_iiiii
	.globl	_ZN4vllm25paged_attention_v1_kernelIthLi128ELi8ELi128ELNS_18Fp8KVCacheDataTypeE1ELb1EEEvPT_PKS2_PKT0_S8_ifPKiSA_iPKfiiiSC_SC_iiiii
	.p2align	8
	.type	_ZN4vllm25paged_attention_v1_kernelIthLi128ELi8ELi128ELNS_18Fp8KVCacheDataTypeE1ELb1EEEvPT_PKS2_PKT0_S8_ifPKiSA_iPKfiiiSC_SC_iiiii,@function
_ZN4vllm25paged_attention_v1_kernelIthLi128ELi8ELi128ELNS_18Fp8KVCacheDataTypeE1ELb1EEEvPT_PKS2_PKT0_S8_ifPKiSA_iPKfiiiSC_SC_iiiii: ; @_ZN4vllm25paged_attention_v1_kernelIthLi128ELi8ELi128ELNS_18Fp8KVCacheDataTypeE1ELb1EEEvPT_PKS2_PKT0_S8_ifPKiSA_iPKfiiiSC_SC_iiiii
; %bb.0:
	s_load_dword s5, s[0:1], 0x80
	s_load_dwordx2 s[6:7], s[0:1], 0x30
	s_load_dwordx2 s[36:37], s[0:1], 0x20
	s_mov_b32 s10, s3
	s_ashr_i32 s11, s3, 31
	s_lshl_b64 s[8:9], s[10:11], 2
	s_waitcnt lgkmcnt(0)
	s_add_u32 s6, s6, s8
	s_addc_u32 s7, s7, s9
	s_abs_i32 s3, s36
	v_cvt_f32_u32_e32 v1, s3
	s_sub_i32 s11, 0, s3
	s_abs_i32 s9, s5
	s_xor_b32 s8, s5, s36
	v_rcp_iflag_f32_e32 v1, v1
	s_ashr_i32 s8, s8, 31
	s_mov_b32 s44, 0
	v_mul_f32_e32 v1, 0x4f7ffffe, v1
	v_cvt_u32_f32_e32 v1, v1
	s_nop 0
	v_readfirstlane_b32 s12, v1
	s_mul_i32 s11, s11, s12
	s_mul_hi_u32 s11, s12, s11
	s_add_i32 s12, s12, s11
	s_mul_hi_u32 s11, s9, s12
	s_mul_i32 s12, s11, s3
	s_sub_i32 s9, s9, s12
	s_add_i32 s12, s11, 1
	s_sub_i32 s13, s9, s3
	s_cmp_ge_u32 s9, s3
	s_cselect_b32 s11, s12, s11
	s_cselect_b32 s9, s13, s9
	s_add_i32 s12, s11, 1
	s_cmp_ge_u32 s9, s3
	s_cselect_b32 s3, s12, s11
	s_xor_b32 s3, s3, s8
	s_sub_i32 s15, s3, s8
	s_abs_i32 s12, s15
	v_cvt_f32_u32_e32 v1, s12
	s_load_dwordx2 s[8:9], s[0:1], 0x40
	s_sub_i32 s3, 0, s12
	s_abs_i32 s13, s2
	v_rcp_iflag_f32_e32 v1, v1
	s_nop 0
	v_mul_f32_e32 v1, 0x4f7ffffe, v1
	v_cvt_u32_f32_e32 v1, v1
	s_nop 0
	v_readfirstlane_b32 s11, v1
	s_mul_i32 s3, s3, s11
	s_mul_hi_u32 s3, s11, s3
	s_add_i32 s11, s11, s3
	s_waitcnt lgkmcnt(0)
	s_cmp_eq_u64 s[8:9], 0
	s_mul_hi_u32 s14, s13, s11
	s_cbranch_scc1 .LBB224_2
; %bb.1:
	s_ashr_i32 s3, s2, 31
	s_lshl_b64 s[16:17], s[2:3], 2
	s_add_u32 s8, s8, s16
	s_addc_u32 s9, s9, s17
	s_load_dword s44, s[8:9], 0x0
.LBB224_2:
	s_load_dword s11, s[6:7], 0x0
	s_load_dwordx4 s[16:19], s[0:1], 0x48
	s_movk_i32 s3, 0x80
	s_ashr_i32 s8, s2, 31
	s_ashr_i32 s9, s15, 31
	v_and_b32_e32 v2, 7, v0
	s_lshl_b32 s24, s2, 7
	v_cmp_gt_u32_e32 vcc, s3, v0
	v_lshlrev_b32_e32 v1, 1, v0
	s_and_saveexec_b64 s[6:7], vcc
	s_cbranch_execz .LBB224_4
; %bb.3:
	s_load_dwordx2 s[20:21], s[0:1], 0x8
	s_waitcnt lgkmcnt(0)
	s_mul_i32 s22, s10, s16
	s_ashr_i32 s23, s22, 31
	s_lshl_b64 s[22:23], s[22:23], 1
	v_lshrrev_b32_e32 v4, 2, v0
	s_add_u32 s3, s20, s22
	s_addc_u32 s15, s21, s23
	s_ashr_i32 s25, s24, 31
	s_lshl_b64 s[20:21], s[24:25], 1
	s_add_u32 s20, s3, s20
	s_addc_u32 s21, s15, s21
	global_load_ushort v3, v1, s[20:21]
	v_and_b32_e32 v4, 0xfe, v4
	v_lshl_add_u32 v4, v2, 5, v4
	s_waitcnt vmcnt(0)
	ds_write_b16 v4, v3
.LBB224_4:
	s_or_b64 exec, exec, s[6:7]
	s_mul_i32 s7, s14, s12
	s_sub_i32 s7, s13, s7
	s_xor_b32 s6, s8, s9
	s_add_i32 s8, s14, 1
	s_sub_i32 s9, s7, s12
	s_load_dwordx4 s[20:23], s[0:1], 0x68
	s_load_dword s3, s[0:1], 0x78
	s_cmp_ge_u32 s7, s12
	s_cselect_b32 s8, s8, s14
	s_cselect_b32 s7, s9, s7
	s_add_i32 s9, s8, 1
	s_cmp_ge_u32 s7, s12
	s_cselect_b32 s7, s9, s8
	s_waitcnt lgkmcnt(0)
	s_abs_i32 s25, s23
	v_cvt_f32_u32_e32 v3, s25
	s_xor_b32 s7, s7, s6
	s_sub_i32 s43, s7, s6
	s_sub_i32 s6, 0, s25
	v_rcp_iflag_f32_e32 v3, v3
	s_add_i32 s12, s11, -1
	s_abs_i32 s8, s12
	v_mul_f32_e32 v3, 0x4f7ffffe, v3
	v_cvt_u32_f32_e32 v3, v3
	s_barrier
	v_readfirstlane_b32 s33, v3
	s_mul_i32 s6, s6, s33
	s_mul_hi_u32 s6, s33, s6
	s_add_i32 s33, s33, s6
	s_cmp_lt_i32 s3, 0
	s_mul_hi_u32 s9, s8, s33
	s_cbranch_scc0 .LBB224_6
; %bb.5:
	s_mul_i32 s6, s20, s36
	s_add_i32 s6, s43, s6
	s_mul_i32 s6, s6, s3
	s_sub_i32 s36, 1, s6
	s_mov_b64 s[6:7], 0
	s_branch .LBB224_7
.LBB224_6:
	s_mov_b64 s[6:7], -1
                                        ; implicit-def: $sgpr36
.LBB224_7:
	s_load_dwordx2 s[28:29], s[0:1], 0x28
	s_ashr_i32 s16, s12, 31
	s_andn2_b64 vcc, exec, s[6:7]
	s_ashr_i32 s23, s23, 31
	s_cbranch_vccnz .LBB224_9
; %bb.8:
	s_mul_i32 s6, s5, s20
	s_add_i32 s2, s6, s2
	s_mul_i32 s2, s2, s3
	s_add_i32 s36, s2, 1
.LBB224_9:
	s_load_dword s2, s[0:1], 0x38
	s_load_dwordx2 s[26:27], s[0:1], 0x0
	s_load_dwordx2 s[34:35], s[0:1], 0x18
	s_load_dword s20, s[0:1], 0x88
	s_load_dwordx4 s[12:15], s[0:1], 0x58
	s_mul_i32 s3, s9, s25
	s_waitcnt lgkmcnt(0)
	s_mul_i32 s30, s10, s2
	s_sub_i32 s3, s8, s3
	s_ashr_i32 s31, s30, 31
	s_xor_b32 s2, s16, s23
	s_add_i32 s6, s9, 1
	s_sub_i32 s7, s3, s25
	s_cmp_ge_u32 s3, s25
	s_cselect_b32 s6, s6, s9
	s_cselect_b32 s3, s7, s3
	s_add_i32 s7, s6, 1
	s_cmp_ge_u32 s3, s25
	s_cselect_b32 s3, s7, s6
	s_xor_b32 s3, s3, s2
	s_sub_i32 s16, s3, s2
	s_add_i32 s2, s11, 7
	s_ashr_i32 s3, s2, 31
	s_lshr_b32 s3, s3, 29
	s_add_i32 s2, s2, s3
	s_ashr_i32 s42, s2, 3
	v_lshrrev_b32_e32 v13, 6, v0
	v_cmp_gt_i32_e64 s[6:7], s42, v13
	v_mov_b32_e32 v12, 0xff7fffff
	s_mul_i32 s43, s43, s18
	v_lshrrev_b32_e32 v8, 4, v0
	v_lshlrev_b32_e32 v20, 3, v13
	v_mbcnt_lo_u32_b32 v9, -1, 0
	s_and_saveexec_b64 s[18:19], s[6:7]
	s_cbranch_execz .LBB224_19
; %bb.10:
	s_load_dwordx2 s[0:1], s[0:1], 0x10
	s_sub_i32 s45, s16, s21
	s_ashr_i32 s2, s43, 31
	v_bfe_u32 v10, v0, 3, 3
	v_mov_b32_e32 v3, 0
	s_waitcnt lgkmcnt(0)
	s_add_u32 s0, s0, s43
	s_addc_u32 s1, s1, s2
	s_abs_i32 s46, s22
	v_cvt_f32_u32_e32 v4, s46
	v_lshlrev_b32_e32 v12, 2, v10
	v_lshl_or_b32 v12, v13, 5, v12
	v_add_u32_e32 v16, 0x110, v12
	v_rcp_iflag_f32_e32 v5, v4
	v_lshlrev_b32_e32 v4, 4, v10
	v_subrev_u32_e32 v12, s11, v10
	v_mbcnt_hi_u32_b32 v19, -1, v9
	v_mul_f32_e32 v5, 0x4f7ffffe, v5
	v_cvt_u32_f32_e32 v6, v5
	v_mov_b32_e32 v5, v3
	v_lshl_add_u64 v[4:5], s[0:1], 0, v[4:5]
	s_sub_i32 s0, 0, s46
	v_mul_lo_u32 v7, s0, v6
	s_lshl_b64 s[0:1], s[30:31], 2
	v_mul_hi_u32 v7, v6, v7
	s_add_u32 s0, s28, s0
	v_add_u32_e32 v14, v6, v7
	v_and_b32_e32 v6, 60, v8
	v_mov_b32_e32 v7, v3
	s_addc_u32 s1, s29, s1
	v_add_u32_e32 v17, 1, v12
	v_and_b32_e32 v12, 64, v19
	v_cmp_eq_u32_e32 vcc, 0, v2
	s_mov_b32 s47, s17
	v_lshlrev_b32_e32 v11, 5, v2
	v_cmp_neq_f32_e64 s[2:3], s44, 0
	v_lshl_add_u64 v[6:7], s[0:1], 0, v[6:7]
	v_lshlrev_b32_e32 v15, 3, v13
	s_mov_b64 s[38:39], 0
	v_mov_b32_e32 v18, 0xff7fffff
	v_add_u32_e32 v21, 64, v12
	v_xor_b32_e32 v22, 4, v19
	v_xor_b32_e32 v23, 2, v19
	v_xor_b32_e32 v24, 1, v19
	v_mov_b32_e32 v12, 0xff7fffff
	v_mov_b32_e32 v25, v13
	s_branch .LBB224_13
.LBB224_11:                             ;   in Loop: Header=BB224_13 Depth=1
	s_or_b64 exec, exec, s[40:41]
.LBB224_12:                             ;   in Loop: Header=BB224_13 Depth=1
	s_or_b64 exec, exec, s[8:9]
	v_add_u32_e32 v25, 2, v25
	v_cmp_le_i32_e64 s[0:1], s42, v25
	v_lshl_add_u64 v[6:7], v[6:7], 0, 8
	v_add_u32_e32 v15, 16, v15
	s_or_b64 s[38:39], s[0:1], s[38:39]
	v_add_u32_e32 v16, 64, v16
	s_andn2_b64 exec, exec, s[38:39]
	s_cbranch_execz .LBB224_18
.LBB224_13:                             ; =>This Inner Loop Header: Depth=1
	v_mul_hi_u32 v26, v15, s33
	s_waitcnt lgkmcnt(0)
	v_mul_lo_u32 v27, v26, s25
	v_sub_u32_e32 v27, v15, v27
	v_add_u32_e32 v28, 1, v26
	v_cmp_le_u32_e64 s[0:1], s25, v27
	s_nop 1
	v_cndmask_b32_e64 v26, v26, v28, s[0:1]
	v_subrev_u32_e32 v28, s25, v27
	v_cndmask_b32_e64 v27, v27, v28, s[0:1]
	v_add_u32_e32 v28, 1, v26
	v_cmp_le_u32_e64 s[0:1], s25, v27
	s_nop 1
	v_cndmask_b32_e64 v26, v26, v28, s[0:1]
	v_xor_b32_e32 v26, s23, v26
	v_subrev_u32_e32 v26, s23, v26
	v_add_u32_e32 v27, s36, v26
	v_sub_u32_e32 v29, 0, v27
	v_ashrrev_i32_e32 v28, 31, v27
	v_max_i32_e32 v27, v27, v29
	v_mul_hi_u32 v29, v27, v14
	v_mul_lo_u32 v29, v29, s46
	v_sub_u32_e32 v27, v27, v29
	v_subrev_u32_e32 v29, s46, v27
	v_cmp_le_u32_e64 s[0:1], s46, v27
	v_cmp_ge_i32_e64 s[8:9], s45, v26
	s_nop 0
	v_cndmask_b32_e64 v27, v27, v29, s[0:1]
	v_subrev_u32_e32 v29, s46, v27
	v_cmp_le_u32_e64 s[0:1], s46, v27
	s_nop 1
	v_cndmask_b32_e64 v27, v27, v29, s[0:1]
	v_xor_b32_e32 v27, v27, v28
	v_sub_u32_e32 v27, v27, v28
	v_cmp_ne_u32_e64 s[0:1], 0, v27
	s_and_b64 s[0:1], s[0:1], s[8:9]
	s_and_b64 s[40:41], vcc, s[0:1]
	s_and_saveexec_b64 s[8:9], s[40:41]
	s_cbranch_execz .LBB224_15
; %bb.14:                               ;   in Loop: Header=BB224_13 Depth=1
	ds_write_b32 v16, v18
.LBB224_15:                             ;   in Loop: Header=BB224_13 Depth=1
	s_or_b64 exec, exec, s[8:9]
	s_xor_b64 s[0:1], s[0:1], -1
	s_and_saveexec_b64 s[8:9], s[0:1]
	s_cbranch_execz .LBB224_12
; %bb.16:                               ;   in Loop: Header=BB224_13 Depth=1
	global_load_dword v26, v[6:7], off
	s_waitcnt vmcnt(0)
	v_mad_i64_i32 v[26:27], s[0:1], v26, s47, v[4:5]
	v_lshl_add_u64 v[26:27], v[26:27], 0, v[2:3]
	global_load_ubyte v28, v[26:27], off
	global_load_ubyte v29, v[26:27], off offset:8
	global_load_dword v30, v3, s[12:13]
	global_load_ubyte v31, v[26:27], off offset:128
	global_load_ubyte v32, v[26:27], off offset:136
	;; [unrolled: 1-line block ×14, first 2 shown]
	ds_read_u16 v26, v11
	s_waitcnt lgkmcnt(0)
	;;#ASMSTART
	v_cvt_f32_f16 v26, v26;
	;;#ASMEND
	v_cmp_lt_i32_e64 s[0:1], v22, v21
	s_waitcnt vmcnt(16)
	v_cvt_f32_fp8_sdwa v27, v28 src0_sel:BYTE_0
	s_waitcnt vmcnt(15)
	v_cvt_f32_fp8_sdwa v29, v29 src0_sel:BYTE_0
	v_cndmask_b32_e64 v28, v19, v22, s[0:1]
	s_waitcnt vmcnt(13)
	v_cvt_f32_fp8_sdwa v31, v31 src0_sel:BYTE_0
	v_fma_mixlo_f16 v27, v30, v27, 0
	v_and_b32_e32 v27, 0xffff, v27
	v_fma_mixlo_f16 v29, v30, v29, 0
	s_waitcnt vmcnt(12)
	v_cvt_f32_fp8_sdwa v32, v32 src0_sel:BYTE_0
	;;#ASMSTART
	v_cvt_f32_f16 v27, v27;
	;;#ASMEND
	ds_read_u16 v45, v11 offset:2
	v_and_b32_e32 v29, 0xffff, v29
	s_waitcnt vmcnt(11)
	v_cvt_f32_fp8_sdwa v33, v33 src0_sel:BYTE_0
	s_waitcnt lgkmcnt(0)
	;;#ASMSTART
	v_cvt_f32_f16 v45, v45;
	;;#ASMEND
	;;#ASMSTART
	v_cvt_f32_f16 v29, v29;
	;;#ASMEND
	s_waitcnt vmcnt(10)
	v_cvt_f32_fp8_sdwa v34, v34 src0_sel:BYTE_0
	v_fma_mixlo_f16 v31, v30, v31, 0
	s_waitcnt vmcnt(9)
	v_cvt_f32_fp8_sdwa v35, v35 src0_sel:BYTE_0
	v_mul_f32_e32 v29, v45, v29
	ds_read_u16 v46, v11 offset:4
	v_and_b32_e32 v31, 0xffff, v31
	v_fma_mixlo_f16 v32, v30, v32, 0
	s_waitcnt vmcnt(8)
	v_cvt_f32_fp8_sdwa v36, v36 src0_sel:BYTE_0
	v_fmac_f32_e32 v29, v26, v27
	s_waitcnt lgkmcnt(0)
	;;#ASMSTART
	v_cvt_f32_f16 v46, v46;
	;;#ASMEND
	;;#ASMSTART
	v_cvt_f32_f16 v31, v31;
	;;#ASMEND
	ds_read_u16 v47, v11 offset:6
	v_and_b32_e32 v32, 0xffff, v32
	s_waitcnt vmcnt(7)
	v_cvt_f32_fp8_sdwa v37, v37 src0_sel:BYTE_0
	v_fma_mixlo_f16 v33, v30, v33, 0
	v_fmac_f32_e32 v29, v46, v31
	s_waitcnt lgkmcnt(0)
	;;#ASMSTART
	v_cvt_f32_f16 v47, v47;
	;;#ASMEND
	;;#ASMSTART
	v_cvt_f32_f16 v32, v32;
	;;#ASMEND
	ds_read_u16 v48, v11 offset:8
	v_and_b32_e32 v33, 0xffff, v33
	s_waitcnt vmcnt(6)
	v_cvt_f32_fp8_sdwa v38, v38 src0_sel:BYTE_0
	v_fma_mixlo_f16 v34, v30, v34, 0
	v_fmac_f32_e32 v29, v47, v32
	s_waitcnt lgkmcnt(0)
	;;#ASMSTART
	v_cvt_f32_f16 v48, v48;
	;;#ASMEND
	;;#ASMSTART
	v_cvt_f32_f16 v33, v33;
	;;#ASMEND
	ds_read_u16 v49, v11 offset:10
	s_waitcnt vmcnt(5)
	v_cvt_f32_fp8_sdwa v39, v39 src0_sel:BYTE_0
	v_and_b32_e32 v34, 0xffff, v34
	v_fma_mixlo_f16 v35, v30, v35, 0
	v_fmac_f32_e32 v29, v48, v33
	s_waitcnt lgkmcnt(0)
	;;#ASMSTART
	v_cvt_f32_f16 v49, v49;
	;;#ASMEND
	;;#ASMSTART
	v_cvt_f32_f16 v34, v34;
	;;#ASMEND
	ds_read_u16 v50, v11 offset:12
	s_waitcnt vmcnt(4)
	v_cvt_f32_fp8_sdwa v40, v40 src0_sel:BYTE_0
	v_and_b32_e32 v35, 0xffff, v35
	v_fma_mixlo_f16 v36, v30, v36, 0
	v_fmac_f32_e32 v29, v49, v34
	s_waitcnt vmcnt(3)
	v_cvt_f32_fp8_sdwa v41, v41 src0_sel:BYTE_0
	s_waitcnt lgkmcnt(0)
	;;#ASMSTART
	v_cvt_f32_f16 v50, v50;
	;;#ASMEND
	;;#ASMSTART
	v_cvt_f32_f16 v35, v35;
	;;#ASMEND
	ds_read_u16 v51, v11 offset:14
	s_waitcnt vmcnt(2)
	v_cvt_f32_fp8_sdwa v42, v42 src0_sel:BYTE_0
	s_waitcnt vmcnt(1)
	v_cvt_f32_fp8_sdwa v43, v43 src0_sel:BYTE_0
	v_and_b32_e32 v36, 0xffff, v36
	s_waitcnt vmcnt(0)
	v_cvt_f32_fp8_sdwa v44, v44 src0_sel:BYTE_0
	v_fma_mixlo_f16 v37, v30, v37, 0
	v_fmac_f32_e32 v29, v50, v35
	s_waitcnt lgkmcnt(0)
	;;#ASMSTART
	v_cvt_f32_f16 v51, v51;
	;;#ASMEND
	;;#ASMSTART
	v_cvt_f32_f16 v36, v36;
	;;#ASMEND
	ds_read_u16 v52, v11 offset:16
	v_fma_mixlo_f16 v38, v30, v38, 0
	v_and_b32_e32 v37, 0xffff, v37
	v_fmac_f32_e32 v29, v51, v36
	s_waitcnt lgkmcnt(0)
	;;#ASMSTART
	v_cvt_f32_f16 v52, v52;
	;;#ASMEND
	;;#ASMSTART
	v_cvt_f32_f16 v37, v37;
	;;#ASMEND
	ds_read_u16 v53, v11 offset:18
	v_fma_mixlo_f16 v39, v30, v39, 0
	v_and_b32_e32 v38, 0xffff, v38
	v_fmac_f32_e32 v29, v52, v37
	v_fma_mixlo_f16 v40, v30, v40, 0
	s_waitcnt lgkmcnt(0)
	;;#ASMSTART
	v_cvt_f32_f16 v53, v53;
	;;#ASMEND
	;;#ASMSTART
	v_cvt_f32_f16 v38, v38;
	;;#ASMEND
	ds_read_u16 v54, v11 offset:20
	v_and_b32_e32 v39, 0xffff, v39
	v_fmac_f32_e32 v29, v53, v38
	v_fma_mixlo_f16 v41, v30, v41, 0
	v_fma_mixlo_f16 v42, v30, v42, 0
	;; [unrolled: 1-line block ×4, first 2 shown]
	s_waitcnt lgkmcnt(0)
	;;#ASMSTART
	v_cvt_f32_f16 v44, v54;
	;;#ASMEND
	;;#ASMSTART
	v_cvt_f32_f16 v39, v39;
	;;#ASMEND
	ds_read_u16 v54, v11 offset:22
	v_and_b32_e32 v40, 0xffff, v40
	v_fmac_f32_e32 v29, v44, v39
	s_waitcnt lgkmcnt(0)
	;;#ASMSTART
	v_cvt_f32_f16 v54, v54;
	;;#ASMEND
	;;#ASMSTART
	v_cvt_f32_f16 v40, v40;
	;;#ASMEND
	v_and_b32_e32 v41, 0xffff, v41
	v_fmac_f32_e32 v29, v54, v40
	ds_read_u16 v55, v11 offset:24
	s_waitcnt lgkmcnt(0)
	;;#ASMSTART
	v_cvt_f32_f16 v26, v55;
	;;#ASMEND
	;;#ASMSTART
	v_cvt_f32_f16 v27, v41;
	;;#ASMEND
	ds_read_u16 v31, v11 offset:26
	v_fmac_f32_e32 v29, v26, v27
	v_and_b32_e32 v42, 0xffff, v42
	s_waitcnt lgkmcnt(0)
	;;#ASMSTART
	v_cvt_f32_f16 v31, v31;
	;;#ASMEND
	;;#ASMSTART
	v_cvt_f32_f16 v32, v42;
	;;#ASMEND
	ds_read_u16 v33, v11 offset:28
	v_fmac_f32_e32 v29, v31, v32
	v_and_b32_e32 v43, 0xffff, v43
	s_waitcnt lgkmcnt(0)
	;;#ASMSTART
	v_cvt_f32_f16 v33, v33;
	;;#ASMEND
	;;#ASMSTART
	v_cvt_f32_f16 v34, v43;
	;;#ASMEND
	v_lshlrev_b32_e32 v28, 2, v28
	v_fmac_f32_e32 v29, v33, v34
	v_and_b32_e32 v30, 0xffff, v30
	ds_read_u16 v35, v11 offset:30
	s_waitcnt lgkmcnt(0)
	;;#ASMSTART
	v_cvt_f32_f16 v26, v35;
	;;#ASMEND
	;;#ASMSTART
	v_cvt_f32_f16 v27, v30;
	;;#ASMEND
	v_cmp_lt_i32_e64 s[0:1], v23, v21
	v_fmac_f32_e32 v29, v26, v27
	ds_bpermute_b32 v26, v28, v29
	v_cndmask_b32_e64 v27, v19, v23, s[0:1]
	v_lshlrev_b32_e32 v27, 2, v27
	v_cmp_lt_i32_e64 s[0:1], v24, v21
	s_waitcnt lgkmcnt(0)
	v_add_f32_e32 v26, v29, v26
	ds_bpermute_b32 v27, v27, v26
	v_cndmask_b32_e64 v28, v19, v24, s[0:1]
	s_waitcnt lgkmcnt(0)
	v_add_f32_e32 v26, v26, v27
	v_lshlrev_b32_e32 v27, 2, v28
	ds_bpermute_b32 v27, v27, v26
	s_and_saveexec_b64 s[40:41], vcc
	s_cbranch_execz .LBB224_11
; %bb.17:                               ;   in Loop: Header=BB224_13 Depth=1
	v_add_u32_e32 v28, v17, v15
	v_cvt_f32_i32_e32 v28, v28
	s_waitcnt lgkmcnt(0)
	v_add_f32_e32 v26, v26, v27
	v_add_u32_e32 v29, v10, v15
	v_cmp_gt_i32_e64 s[0:1], s11, v29
	v_mul_f32_e32 v27, s44, v28
	v_cndmask_b32_e64 v27, 0, v27, s[2:3]
	v_fmac_f32_e32 v27, s37, v26
	v_cndmask_b32_e64 v26, 0, v27, s[0:1]
	ds_write_b32 v16, v26
	v_max_f32_e32 v26, v12, v12
	v_max_f32_e32 v26, v26, v27
	v_cndmask_b32_e64 v12, v12, v26, s[0:1]
	s_branch .LBB224_11
.LBB224_18:
	s_or_b64 exec, exec, s[38:39]
.LBB224_19:
	s_or_b64 exec, exec, s[18:19]
	v_mbcnt_hi_u32_b32 v2, -1, v9
	v_and_b32_e32 v3, 64, v2
	v_add_u32_e32 v3, 64, v3
	v_xor_b32_e32 v4, 32, v2
	v_cmp_lt_i32_e32 vcc, v4, v3
	v_xor_b32_e32 v7, 16, v2
	v_max_f32_e32 v6, v12, v12
	v_cndmask_b32_e32 v4, v2, v4, vcc
	v_lshlrev_b32_e32 v5, 2, v4
	ds_bpermute_b32 v4, v5, v12
	v_cmp_lt_i32_e32 vcc, v7, v3
	v_xor_b32_e32 v9, 8, v2
	v_and_b32_e32 v21, 63, v0
	s_waitcnt lgkmcnt(0)
	v_max_f32_e32 v4, v4, v4
	v_max_f32_e32 v4, v6, v4
	v_cndmask_b32_e32 v6, v2, v7, vcc
	v_lshlrev_b32_e32 v7, 2, v6
	ds_bpermute_b32 v6, v7, v4
	v_cmp_lt_i32_e32 vcc, v9, v3
	s_waitcnt lgkmcnt(0)
	v_max_f32_e32 v6, v6, v6
	v_max_f32_e32 v6, v4, v6
	v_cndmask_b32_e32 v4, v2, v9, vcc
	v_lshlrev_b32_e32 v10, 2, v4
	ds_bpermute_b32 v9, v10, v6
	v_cmp_eq_u32_e32 vcc, 0, v21
	v_lshlrev_b32_e32 v4, 2, v13
	s_and_saveexec_b64 s[0:1], vcc
	s_cbranch_execz .LBB224_21
; %bb.20:
	s_waitcnt lgkmcnt(0)
	v_max_f32_e32 v9, v9, v9
	v_max_f32_e32 v6, v6, v6
	v_max_f32_e32 v6, v6, v9
	ds_write_b32 v4, v6 offset:256
.LBB224_21:
	s_or_b64 exec, exec, s[0:1]
	v_cmp_gt_u32_e64 s[0:1], 2, v21
	v_mov_b32_e32 v11, 0xff7fffff
	v_lshlrev_b32_e32 v6, 2, v21
	s_waitcnt lgkmcnt(0)
	s_barrier
	s_and_saveexec_b64 s[2:3], s[0:1]
	s_cbranch_execz .LBB224_23
; %bb.22:
	ds_read_b32 v11, v6 offset:256
.LBB224_23:
	s_or_b64 exec, exec, s[2:3]
	v_xor_b32_e32 v9, 1, v2
	v_cmp_lt_i32_e64 s[2:3], v9, v3
	v_lshlrev_b32_e32 v14, 2, v2
	s_nop 0
	v_cndmask_b32_e64 v9, v2, v9, s[2:3]
	v_lshlrev_b32_e32 v9, 2, v9
	s_waitcnt lgkmcnt(0)
	ds_bpermute_b32 v12, v9, v11
	v_max_f32_e32 v11, v11, v11
	s_lshl_b32 s2, s42, 3
	s_min_i32 s37, s2, s11
	v_cmp_gt_i32_e64 s[2:3], s37, v0
	s_waitcnt lgkmcnt(0)
	v_max_f32_e32 v12, v12, v12
	v_max_f32_e32 v12, v11, v12
	v_and_b32_e32 v11, 0x100, v14
	ds_bpermute_b32 v14, v11, v12
	v_mov_b32_e32 v12, 0
	s_and_saveexec_b64 s[12:13], s[2:3]
	s_cbranch_execz .LBB224_27
; %bb.24:
	v_mov_b32_e32 v12, 0x110
	v_lshl_add_u32 v15, v0, 2, v12
	s_mov_b64 s[18:19], 0
	v_mov_b32_e32 v12, 0
	v_mov_b32_e32 v16, v0
.LBB224_25:                             ; =>This Inner Loop Header: Depth=1
	ds_read_b32 v17, v15
	v_add_u32_e32 v16, 0x80, v16
	v_cmp_le_i32_e64 s[8:9], s37, v16
	s_or_b64 s[18:19], s[8:9], s[18:19]
	s_waitcnt lgkmcnt(0)
	v_sub_f32_e32 v17, v17, v14
	v_mul_f32_e32 v17, 0x3fb8aa3b, v17
	v_exp_f32_e32 v17, v17
	ds_write_b32 v15, v17
	v_add_f32_e32 v12, v12, v17
	v_add_u32_e32 v15, 0x200, v15
	s_andn2_b64 exec, exec, s[18:19]
	s_cbranch_execnz .LBB224_25
; %bb.26:
	s_or_b64 exec, exec, s[18:19]
.LBB224_27:
	s_or_b64 exec, exec, s[12:13]
	ds_bpermute_b32 v5, v5, v12
	s_waitcnt lgkmcnt(0)
	v_add_f32_e32 v5, v12, v5
	ds_bpermute_b32 v7, v7, v5
	s_waitcnt lgkmcnt(0)
	v_add_f32_e32 v5, v5, v7
	ds_bpermute_b32 v7, v10, v5
	v_xor_b32_e32 v10, 4, v2
	v_cmp_lt_i32_e64 s[8:9], v10, v3
	s_waitcnt lgkmcnt(0)
	v_add_f32_e32 v5, v5, v7
	v_cndmask_b32_e64 v10, v2, v10, s[8:9]
	v_lshlrev_b32_e32 v10, 2, v10
	ds_bpermute_b32 v7, v10, v5
	v_xor_b32_e32 v10, 2, v2
	v_cmp_lt_i32_e64 s[8:9], v10, v3
	s_waitcnt lgkmcnt(0)
	v_add_f32_e32 v3, v5, v7
	v_cndmask_b32_e64 v2, v2, v10, s[8:9]
	v_lshlrev_b32_e32 v2, 2, v2
	ds_bpermute_b32 v2, v2, v3
	s_waitcnt lgkmcnt(0)
	v_add_f32_e32 v2, v3, v2
	ds_bpermute_b32 v3, v9, v2
	s_waitcnt lgkmcnt(0)
	v_add_f32_e32 v2, v2, v3
	s_and_saveexec_b64 s[8:9], vcc
	s_cbranch_execz .LBB224_29
; %bb.28:
	ds_write_b32 v4, v2 offset:264
.LBB224_29:
	s_or_b64 exec, exec, s[8:9]
	s_waitcnt lgkmcnt(0)
	s_barrier
	s_and_saveexec_b64 s[8:9], s[0:1]
	s_cbranch_execz .LBB224_31
; %bb.30:
	ds_read_b32 v2, v6 offset:264
.LBB224_31:
	s_or_b64 exec, exec, s[8:9]
	s_waitcnt lgkmcnt(0)
	ds_bpermute_b32 v3, v9, v2
	s_waitcnt lgkmcnt(0)
	v_add_f32_e32 v2, v2, v3
	ds_bpermute_b32 v2, v11, v2
	s_and_saveexec_b64 s[0:1], s[2:3]
	s_cbranch_execz .LBB224_44
; %bb.32:
	s_waitcnt lgkmcnt(0)
	v_add_f32_e32 v2, 0x358637bd, v2
	v_div_scale_f32 v3, s[2:3], v2, v2, 1.0
	v_rcp_f32_e32 v4, v3
	v_div_scale_f32 v5, vcc, 1.0, v2, 1.0
	s_movk_i32 s2, 0x7f
	v_fma_f32 v6, -v3, v4, 1.0
	v_fmac_f32_e32 v4, v6, v4
	v_mul_f32_e32 v6, v5, v4
	v_fma_f32 v7, -v3, v6, v5
	v_fmac_f32_e32 v6, v7, v4
	v_fma_f32 v3, -v3, v6, v5
	v_div_fmas_f32 v3, v3, v4, v6
	v_xad_u32 v4, v0, -1, s37
	v_div_fixup_f32 v2, v3, v2, 1.0
	v_cmp_lt_u32_e32 vcc, s2, v4
	s_mov_b64 s[8:9], -1
	v_mov_b32_e32 v3, v0
	s_and_saveexec_b64 s[2:3], vcc
	s_cbranch_execz .LBB224_41
; %bb.33:
	v_lshrrev_b32_e32 v4, 7, v4
	v_add_u32_e32 v6, -1, v4
	v_lshrrev_b32_e32 v5, 1, v6
	v_mov_b32_e32 v3, v2
	v_add_u32_e32 v5, 1, v5
	v_cmp_lt_u32_e32 vcc, 13, v6
	v_mov_b32_e32 v9, 0
	s_and_saveexec_b64 s[8:9], vcc
	s_cbranch_execz .LBB224_37
; %bb.34:
	v_mov_b32_e32 v7, 0x110
	v_and_b32_e32 v6, -8, v5
	v_lshl_add_u32 v7, v0, 2, v7
	s_mov_b32 s18, 0
	s_mov_b64 s[12:13], 0
.LBB224_35:                             ; =>This Inner Loop Header: Depth=1
	ds_read2st64_b32 v[10:11], v7 offset1:2
	ds_read2st64_b32 v[14:15], v7 offset0:4 offset1:6
	ds_read2st64_b32 v[16:17], v7 offset0:8 offset1:10
	;; [unrolled: 1-line block ×3, first 2 shown]
	v_add_u32_e32 v6, -8, v6
	s_waitcnt lgkmcnt(3)
	v_pk_mul_f32 v[10:11], v[2:3], v[10:11]
	s_waitcnt lgkmcnt(2)
	v_pk_mul_f32 v[14:15], v[2:3], v[14:15]
	ds_write2st64_b32 v7, v10, v11 offset1:2
	ds_write2st64_b32 v7, v14, v15 offset0:4 offset1:6
	ds_read2st64_b32 v[14:15], v7 offset0:16 offset1:18
	s_waitcnt lgkmcnt(4)
	v_pk_mul_f32 v[10:11], v[2:3], v[16:17]
	ds_write2st64_b32 v7, v10, v11 offset0:8 offset1:10
	s_waitcnt lgkmcnt(4)
	v_pk_mul_f32 v[10:11], v[2:3], v[18:19]
	ds_write2st64_b32 v7, v10, v11 offset0:12 offset1:14
	ds_read2st64_b32 v[10:11], v7 offset0:20 offset1:22
	s_waitcnt lgkmcnt(3)
	v_pk_mul_f32 v[14:15], v[2:3], v[14:15]
	ds_read2st64_b32 v[16:17], v7 offset0:24 offset1:26
	ds_write2st64_b32 v7, v14, v15 offset0:16 offset1:18
	ds_read2st64_b32 v[14:15], v7 offset0:28 offset1:30
	s_waitcnt lgkmcnt(3)
	v_pk_mul_f32 v[10:11], v[2:3], v[10:11]
	ds_write2st64_b32 v7, v10, v11 offset0:20 offset1:22
	s_waitcnt lgkmcnt(3)
	v_pk_mul_f32 v[10:11], v[2:3], v[16:17]
	ds_write2st64_b32 v7, v10, v11 offset0:24 offset1:26
	s_waitcnt lgkmcnt(2)
	v_pk_mul_f32 v[10:11], v[2:3], v[14:15]
	s_add_i32 s18, s18, 16
	v_cmp_eq_u32_e32 vcc, 0, v6
	ds_write2st64_b32 v7, v10, v11 offset0:28 offset1:30
	v_add_u32_e32 v7, 0x2000, v7
	s_or_b64 s[12:13], vcc, s[12:13]
	v_mov_b32_e32 v9, s18
	s_andn2_b64 exec, exec, s[12:13]
	s_cbranch_execnz .LBB224_35
; %bb.36:
	s_or_b64 exec, exec, s[12:13]
.LBB224_37:
	s_or_b64 exec, exec, s[8:9]
	v_and_b32_e32 v5, 7, v5
	v_cmp_ne_u32_e32 vcc, 0, v5
	s_and_saveexec_b64 s[8:9], vcc
	s_cbranch_execz .LBB224_40
; %bb.38:
	v_lshlrev_b32_e32 v6, 9, v9
	v_lshlrev_b32_e32 v7, 2, v0
	s_movk_i32 s12, 0x110
	v_add3_u32 v6, v6, v7, s12
	s_mov_b64 s[12:13], 0
.LBB224_39:                             ; =>This Inner Loop Header: Depth=1
	ds_read2st64_b32 v[10:11], v6 offset1:2
	v_add_u32_e32 v5, -1, v5
	v_cmp_eq_u32_e32 vcc, 0, v5
	s_or_b64 s[12:13], vcc, s[12:13]
	s_waitcnt lgkmcnt(0)
	v_pk_mul_f32 v[10:11], v[2:3], v[10:11]
	ds_write2st64_b32 v6, v10, v11 offset1:2
	v_add_u32_e32 v6, 0x400, v6
	s_andn2_b64 exec, exec, s[12:13]
	s_cbranch_execnz .LBB224_39
.LBB224_40:
	s_or_b64 exec, exec, s[8:9]
	v_add_u32_e32 v4, 1, v4
	v_and_b32_e32 v5, 0x3fffffe, v4
	v_cmp_ne_u32_e32 vcc, v4, v5
	v_lshl_add_u32 v3, v5, 7, v0
	s_orn2_b64 s[8:9], vcc, exec
.LBB224_41:
	s_or_b64 exec, exec, s[2:3]
	s_and_b64 exec, exec, s[8:9]
	s_cbranch_execz .LBB224_44
; %bb.42:
	v_mov_b32_e32 v4, 0x110
	v_lshl_add_u32 v4, v3, 2, v4
	s_mov_b64 s[2:3], 0
.LBB224_43:                             ; =>This Inner Loop Header: Depth=1
	ds_read_b32 v5, v4
	v_add_u32_e32 v3, 0x80, v3
	v_cmp_le_i32_e32 vcc, s37, v3
	s_or_b64 s[2:3], vcc, s[2:3]
	s_waitcnt lgkmcnt(0)
	v_mul_f32_e32 v5, v2, v5
	ds_write_b32 v4, v5
	v_add_u32_e32 v4, 0x200, v4
	s_andn2_b64 exec, exec, s[2:3]
	s_cbranch_execnz .LBB224_43
.LBB224_44:
	s_or_b64 exec, exec, s[0:1]
	v_mov_b32_e32 v3, 0
	s_waitcnt lgkmcnt(0)
	v_mov_b32_e32 v2, 0
	s_barrier
	s_and_saveexec_b64 s[2:3], s[6:7]
	s_cbranch_execz .LBB224_182
; %bb.45:
	s_sub_i32 s21, s16, s21
	s_ashr_i32 s1, s43, 31
	s_add_u32 s0, s34, s43
	s_addc_u32 s1, s35, s1
	s_abs_i32 s22, s22
	v_cvt_f32_u32_e32 v2, s22
	v_lshlrev_b32_e32 v4, 3, v21
	v_mov_b32_e32 v5, 0
	s_sub_i32 s6, 0, s22
	v_rcp_iflag_f32_e32 v2, v2
	s_add_i32 s37, s42, -1
	v_lshl_add_u64 v[6:7], s[0:1], 0, v[4:5]
	s_lshl_b64 s[0:1], s[30:31], 2
	v_mul_f32_e32 v2, 0x4f7ffffe, v2
	v_cvt_u32_f32_e32 v2, v2
	s_add_u32 s0, s28, s0
	v_and_b32_e32 v4, 60, v8
	s_addc_u32 s1, s29, s1
	v_mul_lo_u32 v3, s6, v2
	v_mul_hi_u32 v3, v2, v3
	v_add_u32_e32 v22, v2, v3
	v_mov_b32_e32 v2, 0x110
	s_mov_b32 s34, s17
	s_mov_b32 s35, s11
	v_lshl_add_u64 v[8:9], s[0:1], 0, v[4:5]
	v_lshl_add_u32 v23, v13, 5, v2
	s_mov_b64 s[6:7], 0
	s_movk_i32 s28, 0x7f
	s_movk_i32 s29, 0x80
	s_mov_b32 s30, 0x8000
	s_movk_i32 s31, 0x380
	s_mov_b32 s38, 0x3020706
	s_mov_b32 s39, 0x1000504
	;; [unrolled: 1-line block ×3, first 2 shown]
	v_mov_b32_e32 v24, 0x1c00
	v_mov_b32_e32 v2, 0
	v_mov_b32_e32 v3, 0
	s_branch .LBB224_48
.LBB224_46:                             ;   in Loop: Header=BB224_48 Depth=1
	s_or_b64 exec, exec, s[0:1]
	;;#ASMSTART
	v_pk_mul_f16 v11, v33, v11;

	;;#ASMEND
	;;#ASMSTART
	v_pk_mul_f16 v4, v32, v4;

	;;#ASMEND
	;; [unrolled: 4-line block ×4, first 2 shown]
	v_add_f32_e32 v14, v34, v35
	;;#ASMSTART
	v_pk_add_f16 v4, v11, v4;

	;;#ASMEND
	v_add_f32_e32 v2, v2, v14
	;;#ASMSTART
	v_pk_add_f16 v4, v4, v10;

	;;#ASMEND
	s_nop 0
	;;#ASMSTART
	v_pk_add_f16 v4, v4, v12;

	;;#ASMEND
	s_nop 0
	v_lshrrev_b32_e32 v10, 16, v4
	v_and_b32_e32 v4, 0xffff, v4
	;;#ASMSTART
	v_cvt_f32_f16 v4, v4;
	;;#ASMEND
	;;#ASMSTART
	v_cvt_f32_f16 v10, v10;
	;;#ASMEND
	s_nop 0
	v_add_f32_e32 v4, v4, v10
	v_add_f32_e32 v3, v3, v4
.LBB224_47:                             ;   in Loop: Header=BB224_48 Depth=1
	s_or_b64 exec, exec, s[8:9]
	v_add_u32_e32 v13, 2, v13
	v_cmp_le_i32_e32 vcc, s42, v13
	v_lshl_add_u64 v[8:9], v[8:9], 0, 8
	v_add_u32_e32 v20, 16, v20
	s_or_b64 s[6:7], vcc, s[6:7]
	v_add_u32_e32 v23, 64, v23
	s_andn2_b64 exec, exec, s[6:7]
	s_cbranch_execz .LBB224_181
.LBB224_48:                             ; =>This Inner Loop Header: Depth=1
	v_mul_hi_u32 v4, v20, s33
	v_mul_lo_u32 v10, v4, s25
	v_sub_u32_e32 v10, v20, v10
	v_add_u32_e32 v11, 1, v4
	v_cmp_le_u32_e32 vcc, s25, v10
	s_nop 1
	v_cndmask_b32_e32 v4, v4, v11, vcc
	v_subrev_u32_e32 v11, s25, v10
	v_cndmask_b32_e32 v10, v10, v11, vcc
	v_add_u32_e32 v11, 1, v4
	v_cmp_le_u32_e32 vcc, s25, v10
	s_nop 1
	v_cndmask_b32_e32 v4, v4, v11, vcc
	v_xor_b32_e32 v4, s23, v4
	v_subrev_u32_e32 v4, s23, v4
	v_add_u32_e32 v10, s36, v4
	v_sub_u32_e32 v12, 0, v10
	v_ashrrev_i32_e32 v11, 31, v10
	v_max_i32_e32 v10, v10, v12
	v_mul_hi_u32 v12, v10, v22
	v_mul_lo_u32 v12, v12, s22
	v_sub_u32_e32 v10, v10, v12
	v_subrev_u32_e32 v12, s22, v10
	v_cmp_le_u32_e32 vcc, s22, v10
	v_cmp_lt_i32_e64 s[0:1], s21, v4
	s_nop 0
	v_cndmask_b32_e32 v10, v10, v12, vcc
	v_subrev_u32_e32 v12, s22, v10
	v_cmp_le_u32_e32 vcc, s22, v10
	s_nop 1
	v_cndmask_b32_e32 v10, v10, v12, vcc
	v_xor_b32_e32 v10, v10, v11
	v_sub_u32_e32 v10, v10, v11
	v_cmp_eq_u32_e32 vcc, 0, v10
	s_or_b64 s[0:1], vcc, s[0:1]
	s_and_saveexec_b64 s[8:9], s[0:1]
	s_cbranch_execz .LBB224_47
; %bb.49:                               ;   in Loop: Header=BB224_48 Depth=1
	ds_read2_b64 v[14:17], v23 offset1:1
	ds_read2_b64 v[26:29], v23 offset0:2 offset1:3
                                        ; implicit-def: $sgpr18
	s_waitcnt lgkmcnt(1)
	;;#ASMSTART
	v_cvt_f16_f32 v30, v14;

	;;#ASMEND
	;;#ASMSTART
	v_cvt_f16_f32 v31, v15;

	;;#ASMEND
	;; [unrolled: 4-line block ×4, first 2 shown]
	s_waitcnt lgkmcnt(0)
	;;#ASMSTART
	v_cvt_f16_f32 v35, v26;

	;;#ASMEND
	;;#ASMSTART
	v_cvt_f16_f32 v36, v27;

	;;#ASMEND
	;; [unrolled: 4-line block ×4, first 2 shown]
	global_load_dword v4, v[8:9], off
	s_waitcnt vmcnt(0)
	v_mad_i64_i32 v[10:11], s[0:1], v4, s34, v[6:7]
	global_load_dwordx2 v[14:15], v[10:11], off
	global_load_dword v12, v5, s[14:15]
	s_mov_b64 s[0:1], 0
	s_waitcnt vmcnt(1)
	v_cmp_gt_i16_sdwa s[12:13], v14, s28 src0_sel:BYTE_0 src1_sel:DWORD
	s_and_saveexec_b64 s[16:17], s[12:13]
	s_xor_b64 s[12:13], exec, s[16:17]
	s_cbranch_execnz .LBB224_117
; %bb.50:                               ;   in Loop: Header=BB224_48 Depth=1
	s_or_saveexec_b64 s[12:13], s[12:13]
	v_mov_b32_e32 v16, s18
	s_xor_b64 exec, exec, s[12:13]
	s_cbranch_execnz .LBB224_120
.LBB224_51:                             ;   in Loop: Header=BB224_48 Depth=1
	s_or_b64 exec, exec, s[12:13]
	s_and_saveexec_b64 s[12:13], s[0:1]
	s_cbranch_execz .LBB224_53
.LBB224_52:                             ;   in Loop: Header=BB224_48 Depth=1
	v_and_b32_e32 v4, 7, v14
	v_ffbh_u32_e32 v4, v4
	v_bfe_u32 v16, v14, 3, 4
	v_min_u32_e32 v4, 32, v4
	v_subrev_u32_e32 v17, 28, v4
	v_sub_u32_e32 v4, 29, v4
	v_cmp_eq_u32_e32 vcc, 0, v16
	s_nop 1
	v_cndmask_b32_e32 v4, v16, v4, vcc
	v_cndmask_b32_e32 v16, 0, v17, vcc
	v_lshlrev_b64 v[16:17], v16, v[14:15]
	v_lshlrev_b32_e32 v17, 8, v14
	v_lshl_add_u32 v4, v4, 10, v24
	v_lshlrev_b32_e32 v16, 7, v16
	v_and_or_b32 v4, v17, s30, v4
	v_and_or_b32 v4, v16, s31, v4
	v_cvt_f32_f16_e32 v16, v4
.LBB224_53:                             ;   in Loop: Header=BB224_48 Depth=1
	s_or_b64 exec, exec, s[12:13]
	v_lshrrev_b16_e32 v4, 8, v14
	v_cmp_lt_i16_e32 vcc, s28, v4
	s_mov_b64 s[0:1], 0
                                        ; implicit-def: $sgpr18
	s_and_saveexec_b64 s[12:13], vcc
	s_xor_b64 s[12:13], exec, s[12:13]
	s_cbranch_execnz .LBB224_121
; %bb.54:                               ;   in Loop: Header=BB224_48 Depth=1
	s_or_saveexec_b64 s[12:13], s[12:13]
	v_mov_b32_e32 v18, s18
	s_xor_b64 exec, exec, s[12:13]
	s_cbranch_execnz .LBB224_124
.LBB224_55:                             ;   in Loop: Header=BB224_48 Depth=1
	s_or_b64 exec, exec, s[12:13]
	s_and_saveexec_b64 s[12:13], s[0:1]
	s_cbranch_execz .LBB224_57
.LBB224_56:                             ;   in Loop: Header=BB224_48 Depth=1
	v_and_b32_e32 v17, 7, v4
	v_ffbh_u32_e32 v18, v17
	v_min_u32_e32 v26, 32, v18
	v_subrev_u32_e32 v18, 28, v26
	v_bfe_u32 v25, v4, 3, 4
	v_lshlrev_b64 v[18:19], v18, v[4:5]
	v_sub_u32_e32 v19, 29, v26
	v_cmp_eq_u32_e32 vcc, 0, v25
	v_and_b32_e32 v18, 7, v18
	v_lshlrev_b32_e32 v4, 8, v4
	v_cndmask_b32_e32 v19, v25, v19, vcc
	v_cndmask_b32_e32 v17, v17, v18, vcc
	v_lshl_add_u32 v18, v19, 10, v24
	v_and_or_b32 v4, v4, s30, v18
	v_lshl_or_b32 v4, v17, 7, v4
	v_cvt_f32_f16_e32 v18, v4
.LBB224_57:                             ;   in Loop: Header=BB224_48 Depth=1
	s_or_b64 exec, exec, s[12:13]
	v_lshrrev_b32_e32 v4, 16, v14
	v_cmp_gt_i16_sdwa s[12:13], v4, s28 src0_sel:BYTE_0 src1_sel:DWORD
	s_mov_b64 s[0:1], 0
                                        ; implicit-def: $sgpr18
	s_and_saveexec_b64 s[16:17], s[12:13]
	s_xor_b64 s[12:13], exec, s[16:17]
	s_cbranch_execnz .LBB224_125
; %bb.58:                               ;   in Loop: Header=BB224_48 Depth=1
	s_or_saveexec_b64 s[12:13], s[12:13]
	v_mov_b32_e32 v17, s18
	s_xor_b64 exec, exec, s[12:13]
	s_cbranch_execnz .LBB224_128
.LBB224_59:                             ;   in Loop: Header=BB224_48 Depth=1
	s_or_b64 exec, exec, s[12:13]
	s_and_saveexec_b64 s[12:13], s[0:1]
	s_cbranch_execz .LBB224_61
.LBB224_60:                             ;   in Loop: Header=BB224_48 Depth=1
	v_bfe_u32 v17, v14, 16, 3
	v_ffbh_u32_e32 v25, v17
	v_bfe_u32 v19, v14, 19, 4
	v_min_u32_e32 v25, 32, v25
	v_subrev_u32_e32 v26, 28, v25
	v_sub_u32_e32 v25, 29, v25
	v_cmp_eq_u32_e32 vcc, 0, v19
	v_lshlrev_b64 v[26:27], v26, v[4:5]
	v_and_b32_e32 v26, 7, v26
	v_cndmask_b32_e32 v19, v19, v25, vcc
	v_lshlrev_b32_e32 v4, 8, v4
	v_lshl_add_u32 v19, v19, 10, v24
	v_cndmask_b32_e32 v17, v17, v26, vcc
	v_and_or_b32 v4, v4, s30, v19
	v_lshl_or_b32 v4, v17, 7, v4
	v_cvt_f32_f16_e32 v17, v4
.LBB224_61:                             ;   in Loop: Header=BB224_48 Depth=1
	s_or_b64 exec, exec, s[12:13]
	v_lshrrev_b32_e32 v4, 24, v14
	v_cmp_lt_i16_e32 vcc, s28, v4
	s_mov_b64 s[0:1], 0
                                        ; implicit-def: $sgpr18
	s_and_saveexec_b64 s[12:13], vcc
	s_xor_b64 s[12:13], exec, s[12:13]
	s_cbranch_execnz .LBB224_129
; %bb.62:                               ;   in Loop: Header=BB224_48 Depth=1
	s_or_saveexec_b64 s[12:13], s[12:13]
	v_mov_b32_e32 v19, s18
	s_xor_b64 exec, exec, s[12:13]
	s_cbranch_execnz .LBB224_132
.LBB224_63:                             ;   in Loop: Header=BB224_48 Depth=1
	s_or_b64 exec, exec, s[12:13]
	s_and_saveexec_b64 s[12:13], s[0:1]
	s_cbranch_execz .LBB224_65
.LBB224_64:                             ;   in Loop: Header=BB224_48 Depth=1
	v_bfe_u32 v19, v14, 24, 3
	v_ffbh_u32_e32 v25, v19
	v_bfe_u32 v14, v14, 27, 4
	v_min_u32_e32 v25, 32, v25
	v_subrev_u32_e32 v26, 28, v25
	v_sub_u32_e32 v25, 29, v25
	v_cmp_eq_u32_e32 vcc, 0, v14
	v_lshlrev_b64 v[26:27], v26, v[4:5]
	v_and_b32_e32 v26, 7, v26
	v_cndmask_b32_e32 v14, v14, v25, vcc
	v_lshlrev_b32_e32 v4, 8, v4
	v_lshl_add_u32 v14, v14, 10, v24
	v_cndmask_b32_e32 v19, v19, v26, vcc
	v_and_or_b32 v4, v4, s30, v14
	v_lshl_or_b32 v4, v19, 7, v4
	v_cvt_f32_f16_e32 v19, v4
.LBB224_65:                             ;   in Loop: Header=BB224_48 Depth=1
	s_or_b64 exec, exec, s[12:13]
	v_cmp_gt_i16_sdwa s[12:13], v15, s28 src0_sel:BYTE_0 src1_sel:DWORD
	s_mov_b64 s[0:1], 0
                                        ; implicit-def: $sgpr18
	s_and_saveexec_b64 s[16:17], s[12:13]
	s_xor_b64 s[12:13], exec, s[16:17]
	s_cbranch_execnz .LBB224_133
; %bb.66:                               ;   in Loop: Header=BB224_48 Depth=1
	s_or_saveexec_b64 s[12:13], s[12:13]
	v_mov_b32_e32 v14, s18
	s_xor_b64 exec, exec, s[12:13]
	s_cbranch_execnz .LBB224_136
.LBB224_67:                             ;   in Loop: Header=BB224_48 Depth=1
	s_or_b64 exec, exec, s[12:13]
	v_mov_b32_e32 v4, v15
	s_and_saveexec_b64 s[12:13], s[0:1]
	s_cbranch_execz .LBB224_69
.LBB224_68:                             ;   in Loop: Header=BB224_48 Depth=1
	v_and_b32_e32 v14, 7, v15
	v_ffbh_u32_e32 v14, v14
	v_bfe_u32 v25, v15, 3, 4
	v_min_u32_e32 v14, 32, v14
	v_subrev_u32_e32 v26, 28, v14
	v_sub_u32_e32 v14, 29, v14
	v_cmp_eq_u32_e32 vcc, 0, v25
	s_nop 1
	v_cndmask_b32_e32 v14, v25, v14, vcc
	v_cndmask_b32_e32 v25, 0, v26, vcc
	v_lshlrev_b64 v[26:27], v25, v[4:5]
	v_lshlrev_b32_e32 v25, 7, v26
	v_lshlrev_b32_e32 v26, 8, v15
	v_lshl_add_u32 v14, v14, 10, v24
	v_and_or_b32 v14, v26, s30, v14
	v_and_or_b32 v14, v25, s31, v14
	v_cvt_f32_f16_e32 v14, v14
.LBB224_69:                             ;   in Loop: Header=BB224_48 Depth=1
	s_or_b64 exec, exec, s[12:13]
	v_lshrrev_b16_e32 v4, 8, v4
	v_cmp_lt_i16_e32 vcc, s28, v4
	s_mov_b64 s[0:1], 0
                                        ; implicit-def: $sgpr18
	s_and_saveexec_b64 s[12:13], vcc
	s_xor_b64 s[12:13], exec, s[12:13]
	s_cbranch_execnz .LBB224_137
; %bb.70:                               ;   in Loop: Header=BB224_48 Depth=1
	s_or_saveexec_b64 s[12:13], s[12:13]
	v_mov_b32_e32 v25, s18
	s_xor_b64 exec, exec, s[12:13]
	s_cbranch_execnz .LBB224_140
.LBB224_71:                             ;   in Loop: Header=BB224_48 Depth=1
	s_or_b64 exec, exec, s[12:13]
	s_and_saveexec_b64 s[12:13], s[0:1]
	s_cbranch_execz .LBB224_73
.LBB224_72:                             ;   in Loop: Header=BB224_48 Depth=1
	v_and_b32_e32 v25, 7, v4
	v_ffbh_u32_e32 v26, v25
	v_min_u32_e32 v29, 32, v26
	v_subrev_u32_e32 v26, 28, v29
	v_bfe_u32 v28, v4, 3, 4
	v_lshlrev_b64 v[26:27], v26, v[4:5]
	v_sub_u32_e32 v27, 29, v29
	v_cmp_eq_u32_e32 vcc, 0, v28
	v_and_b32_e32 v26, 7, v26
	v_lshlrev_b32_e32 v4, 8, v4
	v_cndmask_b32_e32 v27, v28, v27, vcc
	v_cndmask_b32_e32 v25, v25, v26, vcc
	v_lshl_add_u32 v26, v27, 10, v24
	v_and_or_b32 v4, v4, s30, v26
	v_lshl_or_b32 v4, v25, 7, v4
	v_cvt_f32_f16_e32 v25, v4
.LBB224_73:                             ;   in Loop: Header=BB224_48 Depth=1
	s_or_b64 exec, exec, s[12:13]
	v_lshrrev_b32_e32 v4, 16, v15
	v_cmp_gt_i16_sdwa s[12:13], v4, s28 src0_sel:BYTE_0 src1_sel:DWORD
	s_mov_b64 s[0:1], 0
                                        ; implicit-def: $sgpr18
	s_and_saveexec_b64 s[16:17], s[12:13]
	s_xor_b64 s[12:13], exec, s[16:17]
	s_cbranch_execnz .LBB224_141
; %bb.74:                               ;   in Loop: Header=BB224_48 Depth=1
	s_or_saveexec_b64 s[12:13], s[12:13]
	v_mov_b32_e32 v26, s18
	s_xor_b64 exec, exec, s[12:13]
	s_cbranch_execnz .LBB224_144
.LBB224_75:                             ;   in Loop: Header=BB224_48 Depth=1
	s_or_b64 exec, exec, s[12:13]
	s_and_saveexec_b64 s[12:13], s[0:1]
	s_cbranch_execz .LBB224_77
.LBB224_76:                             ;   in Loop: Header=BB224_48 Depth=1
	v_bfe_u32 v28, v15, 16, 3
	v_ffbh_u32_e32 v26, v28
	v_min_u32_e32 v33, 32, v26
	v_subrev_u32_e32 v26, 28, v33
	v_bfe_u32 v29, v15, 19, 4
	v_lshlrev_b64 v[26:27], v26, v[4:5]
	v_sub_u32_e32 v27, 29, v33
	v_cmp_eq_u32_e32 vcc, 0, v29
	v_and_b32_e32 v26, 7, v26
	v_lshlrev_b32_e32 v4, 8, v4
	v_cndmask_b32_e32 v27, v29, v27, vcc
	v_lshl_add_u32 v27, v27, 10, v24
	v_cndmask_b32_e32 v26, v28, v26, vcc
	v_and_or_b32 v4, v4, s30, v27
	v_lshl_or_b32 v4, v26, 7, v4
	v_cvt_f32_f16_e32 v26, v4
.LBB224_77:                             ;   in Loop: Header=BB224_48 Depth=1
	s_or_b64 exec, exec, s[12:13]
	v_lshrrev_b32_e32 v4, 24, v15
	v_cmp_lt_i16_e32 vcc, s28, v4
	s_mov_b64 s[0:1], 0
                                        ; implicit-def: $sgpr18
	s_and_saveexec_b64 s[12:13], vcc
	s_xor_b64 s[12:13], exec, s[12:13]
	s_cbranch_execnz .LBB224_145
; %bb.78:                               ;   in Loop: Header=BB224_48 Depth=1
	s_or_saveexec_b64 s[12:13], s[12:13]
	v_mov_b32_e32 v27, s18
	s_xor_b64 exec, exec, s[12:13]
	s_cbranch_execnz .LBB224_148
.LBB224_79:                             ;   in Loop: Header=BB224_48 Depth=1
	s_or_b64 exec, exec, s[12:13]
	s_and_saveexec_b64 s[12:13], s[0:1]
	s_cbranch_execz .LBB224_81
.LBB224_80:                             ;   in Loop: Header=BB224_48 Depth=1
	v_bfe_u32 v27, v15, 24, 3
	v_ffbh_u32_e32 v28, v27
	v_min_u32_e32 v33, 32, v28
	v_subrev_u32_e32 v28, 28, v33
	v_bfe_u32 v15, v15, 27, 4
	v_lshlrev_b64 v[28:29], v28, v[4:5]
	v_sub_u32_e32 v29, 29, v33
	v_cmp_eq_u32_e32 vcc, 0, v15
	v_and_b32_e32 v28, 7, v28
	v_lshlrev_b32_e32 v4, 8, v4
	v_cndmask_b32_e32 v15, v15, v29, vcc
	v_lshl_add_u32 v15, v15, 10, v24
	v_cndmask_b32_e32 v27, v27, v28, vcc
	v_and_or_b32 v4, v4, s30, v15
	v_lshl_or_b32 v4, v27, 7, v4
	v_cvt_f32_f16_e32 v27, v4
.LBB224_81:                             ;   in Loop: Header=BB224_48 Depth=1
	s_or_b64 exec, exec, s[12:13]
	s_waitcnt vmcnt(0)
	v_pk_mul_f32 v[18:19], v[12:13], v[18:19] op_sel_hi:[0,1]
	v_pk_mul_f32 v[16:17], v[12:13], v[16:17] op_sel_hi:[0,1]
	v_cvt_f16_f32_e32 v4, v19
	v_cvt_f16_f32_e32 v15, v18
	;; [unrolled: 1-line block ×4, first 2 shown]
	v_fma_mixlo_f16 v14, v12, v14, 0
	v_pack_b32_f16 v15, v15, v4
	v_cmp_eq_u32_e32 vcc, s37, v13
	v_pack_b32_f16 v16, v16, v17
	v_perm_b32 v4, v16, v15, s38
	v_perm_b32 v15, v16, v15, s39
	v_fma_mixlo_f16 v16, v12, v25, 0
	v_lshlrev_b32_e32 v16, 16, v16
	v_or_b32_sdwa v14, v16, v14 dst_sel:DWORD dst_unused:UNUSED_PAD src0_sel:DWORD src1_sel:WORD_0
	v_fma_mixlo_f16 v16, v12, v26, 0
	v_fma_mixlo_f16 v12, v12, v27, 0
	v_lshlrev_b32_e32 v12, 16, v12
	v_or_b32_sdwa v12, v12, v16 dst_sel:DWORD dst_unused:UNUSED_PAD src0_sel:DWORD src1_sel:WORD_0
	v_add_u32_e32 v29, 1, v20
	v_or_b32_e32 v28, 3, v20
	v_or_b32_e32 v27, 2, v20
	;; [unrolled: 1-line block ×6, first 2 shown]
	s_and_saveexec_b64 s[12:13], vcc
	s_cbranch_execz .LBB224_83
; %bb.82:                               ;   in Loop: Header=BB224_48 Depth=1
	v_lshrrev_b32_e32 v17, 16, v15
	v_cmp_gt_i32_e64 s[0:1], s35, v29
	v_lshrrev_b32_e32 v12, 16, v12
	s_nop 0
	v_cndmask_b32_e64 v17, 0, v17, s[0:1]
	v_cmp_gt_i32_e64 s[0:1], s11, v20
	s_nop 1
	v_cndmask_b32_e64 v15, 0, v15, s[0:1]
	v_perm_b32 v15, v17, v15, s40
	v_lshrrev_b32_e32 v17, 16, v4
	v_cmp_gt_i32_e64 s[0:1], s35, v28
	s_nop 1
	v_cndmask_b32_e64 v17, 0, v17, s[0:1]
	v_cmp_gt_i32_e64 s[0:1], s11, v27
	s_nop 1
	v_cndmask_b32_e64 v4, 0, v4, s[0:1]
	v_perm_b32 v4, v17, v4, s40
	v_lshrrev_b32_e32 v17, 16, v14
	v_cmp_gt_i32_e64 s[0:1], s35, v26
	s_nop 1
	v_cndmask_b32_e64 v17, 0, v17, s[0:1]
	v_cmp_gt_i32_e64 s[0:1], s11, v25
	s_nop 1
	v_cndmask_b32_e64 v14, 0, v14, s[0:1]
	v_cmp_gt_i32_e64 s[0:1], s35, v19
	v_perm_b32 v14, v17, v14, s40
	s_nop 0
	v_cndmask_b32_e64 v12, 0, v12, s[0:1]
	v_cmp_gt_i32_e64 s[0:1], s11, v18
	s_nop 1
	v_cndmask_b32_e64 v16, 0, v16, s[0:1]
	v_perm_b32 v12, v12, v16, s40
.LBB224_83:                             ;   in Loop: Header=BB224_48 Depth=1
	s_or_b64 exec, exec, s[12:13]
	v_and_b32_e32 v16, 0xffff, v30
	v_lshl_or_b32 v33, v31, 16, v16
	v_and_b32_e32 v16, 0xffff, v32
	v_lshl_or_b32 v32, v34, 16, v16
	;; [unrolled: 2-line block ×3, first 2 shown]
	v_and_b32_e32 v16, 0xffff, v37
	;;#ASMSTART
	v_pk_mul_f16 v15, v33, v15;

	;;#ASMEND
	;;#ASMSTART
	v_pk_mul_f16 v4, v32, v4;

	;;#ASMEND
	v_lshl_or_b32 v30, v38, 16, v16
	;;#ASMSTART
	v_pk_mul_f16 v14, v31, v14;

	;;#ASMEND
	;;#ASMSTART
	v_pk_mul_f16 v12, v30, v12;

	;;#ASMEND
	;;#ASMSTART
	v_pk_add_f16 v4, v15, v4;

	;;#ASMEND
	s_mov_b64 s[0:1], 0
	;;#ASMSTART
	v_pk_add_f16 v4, v4, v14;

	;;#ASMEND
                                        ; implicit-def: $sgpr18
	s_nop 0
	;;#ASMSTART
	v_pk_add_f16 v4, v4, v12;

	;;#ASMEND
	s_nop 0
	v_lshrrev_b32_e32 v12, 16, v4
	v_and_b32_e32 v4, 0xffff, v4
	;;#ASMSTART
	v_cvt_f32_f16 v34, v4;
	;;#ASMEND
	;;#ASMSTART
	v_cvt_f32_f16 v35, v12;
	;;#ASMEND
	global_load_dwordx2 v[14:15], v[10:11], off offset:512
	global_load_dword v12, v5, s[14:15]
	s_waitcnt vmcnt(1)
	v_cmp_gt_i16_sdwa s[12:13], v14, s28 src0_sel:BYTE_0 src1_sel:DWORD
	s_and_saveexec_b64 s[16:17], s[12:13]
	s_xor_b64 s[12:13], exec, s[16:17]
	s_cbranch_execnz .LBB224_149
; %bb.84:                               ;   in Loop: Header=BB224_48 Depth=1
	s_or_saveexec_b64 s[12:13], s[12:13]
	v_mov_b32_e32 v10, s18
	s_xor_b64 exec, exec, s[12:13]
	s_cbranch_execnz .LBB224_152
.LBB224_85:                             ;   in Loop: Header=BB224_48 Depth=1
	s_or_b64 exec, exec, s[12:13]
	s_and_saveexec_b64 s[12:13], s[0:1]
	s_cbranch_execz .LBB224_87
.LBB224_86:                             ;   in Loop: Header=BB224_48 Depth=1
	v_and_b32_e32 v4, 7, v14
	v_ffbh_u32_e32 v4, v4
	v_bfe_u32 v10, v14, 3, 4
	v_min_u32_e32 v4, 32, v4
	v_subrev_u32_e32 v11, 28, v4
	v_sub_u32_e32 v4, 29, v4
	v_cmp_eq_u32_e64 s[0:1], 0, v10
	s_nop 1
	v_cndmask_b32_e64 v4, v10, v4, s[0:1]
	v_cndmask_b32_e64 v10, 0, v11, s[0:1]
	v_lshlrev_b64 v[10:11], v10, v[14:15]
	v_lshlrev_b32_e32 v11, 8, v14
	v_lshl_add_u32 v4, v4, 10, v24
	v_lshlrev_b32_e32 v10, 7, v10
	v_and_or_b32 v4, v11, s30, v4
	v_and_or_b32 v4, v10, s31, v4
	v_cvt_f32_f16_e32 v10, v4
.LBB224_87:                             ;   in Loop: Header=BB224_48 Depth=1
	s_or_b64 exec, exec, s[12:13]
	v_lshrrev_b16_e32 v4, 8, v14
	v_cmp_lt_i16_e64 s[0:1], s28, v4
	s_mov_b64 s[12:13], 0
                                        ; implicit-def: $sgpr41
	s_and_saveexec_b64 s[16:17], s[0:1]
	s_xor_b64 s[16:17], exec, s[16:17]
	s_cbranch_execnz .LBB224_153
; %bb.88:                               ;   in Loop: Header=BB224_48 Depth=1
	s_or_saveexec_b64 s[16:17], s[16:17]
	v_mov_b32_e32 v16, s41
	s_xor_b64 exec, exec, s[16:17]
	s_cbranch_execnz .LBB224_156
.LBB224_89:                             ;   in Loop: Header=BB224_48 Depth=1
	s_or_b64 exec, exec, s[16:17]
	s_and_saveexec_b64 s[16:17], s[12:13]
	s_cbranch_execz .LBB224_91
.LBB224_90:                             ;   in Loop: Header=BB224_48 Depth=1
	v_and_b32_e32 v11, 7, v4
	v_ffbh_u32_e32 v16, v11
	v_min_u32_e32 v37, 32, v16
	v_subrev_u32_e32 v16, 28, v37
	v_bfe_u32 v36, v4, 3, 4
	v_lshlrev_b64 v[16:17], v16, v[4:5]
	v_sub_u32_e32 v17, 29, v37
	v_cmp_eq_u32_e64 s[0:1], 0, v36
	v_and_b32_e32 v16, 7, v16
	v_lshlrev_b32_e32 v4, 8, v4
	v_cndmask_b32_e64 v17, v36, v17, s[0:1]
	v_cndmask_b32_e64 v11, v11, v16, s[0:1]
	v_lshl_add_u32 v16, v17, 10, v24
	v_and_or_b32 v4, v4, s30, v16
	v_lshl_or_b32 v4, v11, 7, v4
	v_cvt_f32_f16_e32 v16, v4
.LBB224_91:                             ;   in Loop: Header=BB224_48 Depth=1
	s_or_b64 exec, exec, s[16:17]
	v_lshrrev_b32_e32 v4, 16, v14
	v_cmp_gt_i16_sdwa s[12:13], v4, s28 src0_sel:BYTE_0 src1_sel:DWORD
	s_mov_b64 s[0:1], 0
                                        ; implicit-def: $sgpr18
	s_and_saveexec_b64 s[16:17], s[12:13]
	s_xor_b64 s[12:13], exec, s[16:17]
	s_cbranch_execnz .LBB224_157
; %bb.92:                               ;   in Loop: Header=BB224_48 Depth=1
	s_or_saveexec_b64 s[12:13], s[12:13]
	v_mov_b32_e32 v11, s18
	s_xor_b64 exec, exec, s[12:13]
	s_cbranch_execnz .LBB224_160
.LBB224_93:                             ;   in Loop: Header=BB224_48 Depth=1
	s_or_b64 exec, exec, s[12:13]
	s_and_saveexec_b64 s[12:13], s[0:1]
	s_cbranch_execz .LBB224_95
.LBB224_94:                             ;   in Loop: Header=BB224_48 Depth=1
	v_bfe_u32 v11, v14, 16, 3
	v_ffbh_u32_e32 v36, v11
	v_min_u32_e32 v38, 32, v36
	v_subrev_u32_e32 v36, 28, v38
	v_bfe_u32 v17, v14, 19, 4
	v_lshlrev_b64 v[36:37], v36, v[4:5]
	v_sub_u32_e32 v37, 29, v38
	v_cmp_eq_u32_e64 s[0:1], 0, v17
	v_and_b32_e32 v36, 7, v36
	v_lshlrev_b32_e32 v4, 8, v4
	v_cndmask_b32_e64 v17, v17, v37, s[0:1]
	v_lshl_add_u32 v17, v17, 10, v24
	v_cndmask_b32_e64 v11, v11, v36, s[0:1]
	v_and_or_b32 v4, v4, s30, v17
	v_lshl_or_b32 v4, v11, 7, v4
	v_cvt_f32_f16_e32 v11, v4
.LBB224_95:                             ;   in Loop: Header=BB224_48 Depth=1
	s_or_b64 exec, exec, s[12:13]
	v_lshrrev_b32_e32 v4, 24, v14
	v_cmp_lt_i16_e64 s[0:1], s28, v4
	s_mov_b64 s[12:13], 0
                                        ; implicit-def: $sgpr41
	s_and_saveexec_b64 s[16:17], s[0:1]
	s_xor_b64 s[16:17], exec, s[16:17]
	s_cbranch_execnz .LBB224_161
; %bb.96:                               ;   in Loop: Header=BB224_48 Depth=1
	s_or_saveexec_b64 s[16:17], s[16:17]
	v_mov_b32_e32 v17, s41
	s_xor_b64 exec, exec, s[16:17]
	s_cbranch_execnz .LBB224_164
.LBB224_97:                             ;   in Loop: Header=BB224_48 Depth=1
	s_or_b64 exec, exec, s[16:17]
	s_and_saveexec_b64 s[16:17], s[12:13]
	s_cbranch_execz .LBB224_99
.LBB224_98:                             ;   in Loop: Header=BB224_48 Depth=1
	v_bfe_u32 v17, v14, 24, 3
	v_ffbh_u32_e32 v36, v17
	v_min_u32_e32 v38, 32, v36
	v_subrev_u32_e32 v36, 28, v38
	v_bfe_u32 v14, v14, 27, 4
	v_lshlrev_b64 v[36:37], v36, v[4:5]
	v_sub_u32_e32 v37, 29, v38
	v_cmp_eq_u32_e64 s[0:1], 0, v14
	v_and_b32_e32 v36, 7, v36
	v_lshlrev_b32_e32 v4, 8, v4
	v_cndmask_b32_e64 v14, v14, v37, s[0:1]
	v_lshl_add_u32 v14, v14, 10, v24
	v_cndmask_b32_e64 v17, v17, v36, s[0:1]
	v_and_or_b32 v4, v4, s30, v14
	v_lshl_or_b32 v4, v17, 7, v4
	v_cvt_f32_f16_e32 v17, v4
.LBB224_99:                             ;   in Loop: Header=BB224_48 Depth=1
	s_or_b64 exec, exec, s[16:17]
	v_cmp_gt_i16_sdwa s[12:13], v15, s28 src0_sel:BYTE_0 src1_sel:DWORD
	s_mov_b64 s[0:1], 0
                                        ; implicit-def: $sgpr18
	s_and_saveexec_b64 s[16:17], s[12:13]
	s_xor_b64 s[12:13], exec, s[16:17]
	s_cbranch_execnz .LBB224_165
; %bb.100:                              ;   in Loop: Header=BB224_48 Depth=1
	s_or_saveexec_b64 s[12:13], s[12:13]
	v_mov_b32_e32 v14, s18
	s_xor_b64 exec, exec, s[12:13]
	s_cbranch_execnz .LBB224_168
.LBB224_101:                            ;   in Loop: Header=BB224_48 Depth=1
	s_or_b64 exec, exec, s[12:13]
	v_mov_b32_e32 v4, v15
	s_and_saveexec_b64 s[12:13], s[0:1]
	s_cbranch_execz .LBB224_103
.LBB224_102:                            ;   in Loop: Header=BB224_48 Depth=1
	v_and_b32_e32 v14, 7, v15
	v_ffbh_u32_e32 v14, v14
	v_bfe_u32 v36, v15, 3, 4
	v_min_u32_e32 v14, 32, v14
	v_subrev_u32_e32 v37, 28, v14
	v_sub_u32_e32 v14, 29, v14
	v_cmp_eq_u32_e64 s[0:1], 0, v36
	s_nop 1
	v_cndmask_b32_e64 v14, v36, v14, s[0:1]
	v_cndmask_b32_e64 v36, 0, v37, s[0:1]
	v_lshlrev_b64 v[36:37], v36, v[4:5]
	v_lshlrev_b32_e32 v37, 8, v15
	v_lshl_add_u32 v14, v14, 10, v24
	v_lshlrev_b32_e32 v36, 7, v36
	v_and_or_b32 v14, v37, s30, v14
	v_and_or_b32 v14, v36, s31, v14
	v_cvt_f32_f16_e32 v14, v14
.LBB224_103:                            ;   in Loop: Header=BB224_48 Depth=1
	s_or_b64 exec, exec, s[12:13]
	v_lshrrev_b16_e32 v4, 8, v4
	v_cmp_lt_i16_e64 s[0:1], s28, v4
	s_mov_b64 s[12:13], 0
                                        ; implicit-def: $sgpr41
	s_and_saveexec_b64 s[16:17], s[0:1]
	s_xor_b64 s[16:17], exec, s[16:17]
	s_cbranch_execnz .LBB224_169
; %bb.104:                              ;   in Loop: Header=BB224_48 Depth=1
	s_or_saveexec_b64 s[16:17], s[16:17]
	v_mov_b32_e32 v36, s41
	s_xor_b64 exec, exec, s[16:17]
	s_cbranch_execnz .LBB224_172
.LBB224_105:                            ;   in Loop: Header=BB224_48 Depth=1
	s_or_b64 exec, exec, s[16:17]
	s_and_saveexec_b64 s[16:17], s[12:13]
	s_cbranch_execz .LBB224_107
.LBB224_106:                            ;   in Loop: Header=BB224_48 Depth=1
	v_and_b32_e32 v38, 7, v4
	v_ffbh_u32_e32 v36, v38
	v_min_u32_e32 v40, 32, v36
	v_subrev_u32_e32 v36, 28, v40
	v_bfe_u32 v39, v4, 3, 4
	v_lshlrev_b64 v[36:37], v36, v[4:5]
	v_sub_u32_e32 v37, 29, v40
	v_cmp_eq_u32_e64 s[0:1], 0, v39
	v_and_b32_e32 v36, 7, v36
	v_lshlrev_b32_e32 v4, 8, v4
	v_cndmask_b32_e64 v37, v39, v37, s[0:1]
	v_lshl_add_u32 v37, v37, 10, v24
	v_cndmask_b32_e64 v36, v38, v36, s[0:1]
	v_and_or_b32 v4, v4, s30, v37
	v_lshl_or_b32 v4, v36, 7, v4
	v_cvt_f32_f16_e32 v36, v4
.LBB224_107:                            ;   in Loop: Header=BB224_48 Depth=1
	s_or_b64 exec, exec, s[16:17]
	v_lshrrev_b32_e32 v4, 16, v15
	v_cmp_gt_i16_sdwa s[12:13], v4, s28 src0_sel:BYTE_0 src1_sel:DWORD
	s_mov_b64 s[0:1], 0
                                        ; implicit-def: $sgpr18
	s_and_saveexec_b64 s[16:17], s[12:13]
	s_xor_b64 s[12:13], exec, s[16:17]
	s_cbranch_execnz .LBB224_173
; %bb.108:                              ;   in Loop: Header=BB224_48 Depth=1
	s_or_saveexec_b64 s[12:13], s[12:13]
	v_mov_b32_e32 v37, s18
	s_xor_b64 exec, exec, s[12:13]
	s_cbranch_execnz .LBB224_176
.LBB224_109:                            ;   in Loop: Header=BB224_48 Depth=1
	s_or_b64 exec, exec, s[12:13]
	s_and_saveexec_b64 s[12:13], s[0:1]
	s_cbranch_execz .LBB224_111
.LBB224_110:                            ;   in Loop: Header=BB224_48 Depth=1
	v_bfe_u32 v37, v15, 16, 3
	v_ffbh_u32_e32 v38, v37
	v_min_u32_e32 v41, 32, v38
	v_subrev_u32_e32 v38, 28, v41
	v_bfe_u32 v40, v15, 19, 4
	v_lshlrev_b64 v[38:39], v38, v[4:5]
	v_sub_u32_e32 v39, 29, v41
	v_cmp_eq_u32_e64 s[0:1], 0, v40
	v_and_b32_e32 v38, 7, v38
	v_lshlrev_b32_e32 v4, 8, v4
	v_cndmask_b32_e64 v39, v40, v39, s[0:1]
	v_cndmask_b32_e64 v37, v37, v38, s[0:1]
	v_lshl_add_u32 v38, v39, 10, v24
	v_and_or_b32 v4, v4, s30, v38
	v_lshl_or_b32 v4, v37, 7, v4
	v_cvt_f32_f16_e32 v37, v4
.LBB224_111:                            ;   in Loop: Header=BB224_48 Depth=1
	s_or_b64 exec, exec, s[12:13]
	v_lshrrev_b32_e32 v4, 24, v15
	v_cmp_lt_i16_e64 s[0:1], s28, v4
	s_mov_b64 s[12:13], 0
                                        ; implicit-def: $sgpr41
	s_and_saveexec_b64 s[16:17], s[0:1]
	s_xor_b64 s[16:17], exec, s[16:17]
	s_cbranch_execnz .LBB224_177
; %bb.112:                              ;   in Loop: Header=BB224_48 Depth=1
	s_or_saveexec_b64 s[16:17], s[16:17]
	v_mov_b32_e32 v38, s41
	s_xor_b64 exec, exec, s[16:17]
	s_cbranch_execnz .LBB224_180
.LBB224_113:                            ;   in Loop: Header=BB224_48 Depth=1
	s_or_b64 exec, exec, s[16:17]
	s_and_saveexec_b64 s[16:17], s[12:13]
	s_cbranch_execz .LBB224_115
.LBB224_114:                            ;   in Loop: Header=BB224_48 Depth=1
	v_bfe_u32 v40, v15, 24, 3
	v_ffbh_u32_e32 v38, v40
	v_min_u32_e32 v41, 32, v38
	v_subrev_u32_e32 v38, 28, v41
	v_bfe_u32 v15, v15, 27, 4
	v_lshlrev_b64 v[38:39], v38, v[4:5]
	v_sub_u32_e32 v39, 29, v41
	v_cmp_eq_u32_e64 s[0:1], 0, v15
	v_and_b32_e32 v38, 7, v38
	v_lshlrev_b32_e32 v4, 8, v4
	v_cndmask_b32_e64 v15, v15, v39, s[0:1]
	v_lshl_add_u32 v15, v15, 10, v24
	v_cndmask_b32_e64 v38, v40, v38, s[0:1]
	v_and_or_b32 v4, v4, s30, v15
	v_lshl_or_b32 v4, v38, 7, v4
	v_cvt_f32_f16_e32 v38, v4
.LBB224_115:                            ;   in Loop: Header=BB224_48 Depth=1
	s_or_b64 exec, exec, s[16:17]
	s_waitcnt vmcnt(0)
	v_pk_mul_f32 v[16:17], v[12:13], v[16:17] op_sel_hi:[0,1]
	v_pk_mul_f32 v[10:11], v[12:13], v[10:11] op_sel_hi:[0,1]
	v_cvt_f16_f32_e32 v4, v17
	v_cvt_f16_f32_e32 v15, v16
	;; [unrolled: 1-line block ×4, first 2 shown]
	v_fma_mixlo_f16 v14, v12, v14, 0
	v_pack_b32_f16 v15, v15, v4
	v_pack_b32_f16 v10, v10, v11
	v_perm_b32 v4, v10, v15, s38
	v_perm_b32 v11, v10, v15, s39
	v_fma_mixlo_f16 v10, v12, v36, 0
	v_lshlrev_b32_e32 v10, 16, v10
	v_or_b32_sdwa v10, v10, v14 dst_sel:DWORD dst_unused:UNUSED_PAD src0_sel:DWORD src1_sel:WORD_0
	v_fma_mixlo_f16 v14, v12, v37, 0
	v_fma_mixlo_f16 v12, v12, v38, 0
	v_lshlrev_b32_e32 v12, 16, v12
	v_or_b32_sdwa v12, v12, v14 dst_sel:DWORD dst_unused:UNUSED_PAD src0_sel:DWORD src1_sel:WORD_0
	s_and_saveexec_b64 s[0:1], vcc
	s_cbranch_execz .LBB224_46
; %bb.116:                              ;   in Loop: Header=BB224_48 Depth=1
	v_lshrrev_b32_e32 v15, 16, v11
	v_cmp_gt_i32_e32 vcc, s35, v29
	v_lshrrev_b32_e32 v12, 16, v12
	s_nop 0
	v_cndmask_b32_e32 v15, 0, v15, vcc
	v_cmp_gt_i32_e32 vcc, s11, v20
	s_nop 1
	v_cndmask_b32_e32 v11, 0, v11, vcc
	v_perm_b32 v11, v15, v11, s40
	v_lshrrev_b32_e32 v15, 16, v4
	v_cmp_gt_i32_e32 vcc, s35, v28
	s_nop 1
	v_cndmask_b32_e32 v15, 0, v15, vcc
	v_cmp_gt_i32_e32 vcc, s11, v27
	s_nop 1
	v_cndmask_b32_e32 v4, 0, v4, vcc
	v_perm_b32 v4, v15, v4, s40
	v_lshrrev_b32_e32 v15, 16, v10
	v_cmp_gt_i32_e32 vcc, s35, v26
	s_nop 1
	v_cndmask_b32_e32 v15, 0, v15, vcc
	v_cmp_gt_i32_e32 vcc, s11, v25
	s_nop 1
	v_cndmask_b32_e32 v10, 0, v10, vcc
	v_cmp_gt_i32_e32 vcc, s35, v19
	v_perm_b32 v10, v15, v10, s40
	s_nop 0
	v_cndmask_b32_e32 v12, 0, v12, vcc
	v_cmp_gt_i32_e32 vcc, s11, v18
	s_nop 1
	v_cndmask_b32_e32 v14, 0, v14, vcc
	v_perm_b32 v12, v12, v14, s40
	s_branch .LBB224_46
.LBB224_117:                            ;   in Loop: Header=BB224_48 Depth=1
	v_cmp_eq_u16_sdwa s[44:45], v14, s29 src0_sel:BYTE_0 src1_sel:DWORD
	s_mov_b64 s[0:1], -1
                                        ; implicit-def: $sgpr18
	s_and_saveexec_b64 s[16:17], s[44:45]
; %bb.118:                              ;   in Loop: Header=BB224_48 Depth=1
	s_mov_b32 s18, 0x7fc02000
	s_xor_b64 s[0:1], exec, -1
; %bb.119:                              ;   in Loop: Header=BB224_48 Depth=1
	s_or_b64 exec, exec, s[16:17]
	s_and_b64 s[0:1], s[0:1], exec
	s_or_saveexec_b64 s[12:13], s[12:13]
	v_mov_b32_e32 v16, s18
	s_xor_b64 exec, exec, s[12:13]
	s_cbranch_execz .LBB224_51
.LBB224_120:                            ;   in Loop: Header=BB224_48 Depth=1
	v_cmp_ne_u16_sdwa s[16:17], v14, v5 src0_sel:BYTE_0 src1_sel:DWORD
	s_andn2_b64 s[0:1], s[0:1], exec
	s_and_b64 s[16:17], s[16:17], exec
	v_mov_b32_e32 v16, 0
	s_or_b64 s[0:1], s[0:1], s[16:17]
	s_or_b64 exec, exec, s[12:13]
	s_and_saveexec_b64 s[12:13], s[0:1]
	s_cbranch_execnz .LBB224_52
	s_branch .LBB224_53
.LBB224_121:                            ;   in Loop: Header=BB224_48 Depth=1
	v_cmp_eq_u16_e32 vcc, s29, v4
	s_mov_b64 s[0:1], -1
                                        ; implicit-def: $sgpr18
	s_and_saveexec_b64 s[16:17], vcc
; %bb.122:                              ;   in Loop: Header=BB224_48 Depth=1
	s_mov_b32 s18, 0x7fc02000
	s_xor_b64 s[0:1], exec, -1
; %bb.123:                              ;   in Loop: Header=BB224_48 Depth=1
	s_or_b64 exec, exec, s[16:17]
	s_and_b64 s[0:1], s[0:1], exec
	s_or_saveexec_b64 s[12:13], s[12:13]
	v_mov_b32_e32 v18, s18
	s_xor_b64 exec, exec, s[12:13]
	s_cbranch_execz .LBB224_55
.LBB224_124:                            ;   in Loop: Header=BB224_48 Depth=1
	v_cmp_ne_u16_e32 vcc, 0, v4
	s_andn2_b64 s[0:1], s[0:1], exec
	s_and_b64 s[16:17], vcc, exec
	v_mov_b32_e32 v18, 0
	s_or_b64 s[0:1], s[0:1], s[16:17]
	s_or_b64 exec, exec, s[12:13]
	s_and_saveexec_b64 s[12:13], s[0:1]
	s_cbranch_execnz .LBB224_56
	s_branch .LBB224_57
.LBB224_125:                            ;   in Loop: Header=BB224_48 Depth=1
	v_cmp_eq_u16_sdwa s[44:45], v4, s29 src0_sel:BYTE_0 src1_sel:DWORD
	s_mov_b64 s[0:1], -1
                                        ; implicit-def: $sgpr18
	s_and_saveexec_b64 s[16:17], s[44:45]
; %bb.126:                              ;   in Loop: Header=BB224_48 Depth=1
	s_mov_b32 s18, 0x7fc02000
	s_xor_b64 s[0:1], exec, -1
; %bb.127:                              ;   in Loop: Header=BB224_48 Depth=1
	s_or_b64 exec, exec, s[16:17]
	s_and_b64 s[0:1], s[0:1], exec
	s_or_saveexec_b64 s[12:13], s[12:13]
	v_mov_b32_e32 v17, s18
	s_xor_b64 exec, exec, s[12:13]
	s_cbranch_execz .LBB224_59
.LBB224_128:                            ;   in Loop: Header=BB224_48 Depth=1
	v_cmp_ne_u16_sdwa s[16:17], v4, v5 src0_sel:BYTE_0 src1_sel:DWORD
	s_andn2_b64 s[0:1], s[0:1], exec
	s_and_b64 s[16:17], s[16:17], exec
	v_mov_b32_e32 v17, 0
	s_or_b64 s[0:1], s[0:1], s[16:17]
	s_or_b64 exec, exec, s[12:13]
	s_and_saveexec_b64 s[12:13], s[0:1]
	s_cbranch_execnz .LBB224_60
	s_branch .LBB224_61
.LBB224_129:                            ;   in Loop: Header=BB224_48 Depth=1
	v_cmp_eq_u16_e32 vcc, s29, v4
	s_mov_b64 s[0:1], -1
                                        ; implicit-def: $sgpr18
	s_and_saveexec_b64 s[16:17], vcc
; %bb.130:                              ;   in Loop: Header=BB224_48 Depth=1
	s_mov_b32 s18, 0x7fc02000
	s_xor_b64 s[0:1], exec, -1
; %bb.131:                              ;   in Loop: Header=BB224_48 Depth=1
	s_or_b64 exec, exec, s[16:17]
	s_and_b64 s[0:1], s[0:1], exec
	s_or_saveexec_b64 s[12:13], s[12:13]
	v_mov_b32_e32 v19, s18
	s_xor_b64 exec, exec, s[12:13]
	s_cbranch_execz .LBB224_63
.LBB224_132:                            ;   in Loop: Header=BB224_48 Depth=1
	v_cmp_ne_u16_e32 vcc, 0, v4
	s_andn2_b64 s[0:1], s[0:1], exec
	s_and_b64 s[16:17], vcc, exec
	v_mov_b32_e32 v19, 0
	s_or_b64 s[0:1], s[0:1], s[16:17]
	s_or_b64 exec, exec, s[12:13]
	s_and_saveexec_b64 s[12:13], s[0:1]
	s_cbranch_execnz .LBB224_64
	s_branch .LBB224_65
.LBB224_133:                            ;   in Loop: Header=BB224_48 Depth=1
	v_cmp_eq_u16_sdwa s[44:45], v15, s29 src0_sel:BYTE_0 src1_sel:DWORD
	s_mov_b64 s[0:1], -1
                                        ; implicit-def: $sgpr18
	s_and_saveexec_b64 s[16:17], s[44:45]
; %bb.134:                              ;   in Loop: Header=BB224_48 Depth=1
	s_mov_b32 s18, 0x7fc02000
	s_xor_b64 s[0:1], exec, -1
; %bb.135:                              ;   in Loop: Header=BB224_48 Depth=1
	s_or_b64 exec, exec, s[16:17]
	s_and_b64 s[0:1], s[0:1], exec
	s_or_saveexec_b64 s[12:13], s[12:13]
	v_mov_b32_e32 v14, s18
	s_xor_b64 exec, exec, s[12:13]
	s_cbranch_execz .LBB224_67
.LBB224_136:                            ;   in Loop: Header=BB224_48 Depth=1
	v_cmp_ne_u16_sdwa s[16:17], v15, v5 src0_sel:BYTE_0 src1_sel:DWORD
	s_andn2_b64 s[0:1], s[0:1], exec
	s_and_b64 s[16:17], s[16:17], exec
	v_mov_b32_e32 v14, 0
	s_or_b64 s[0:1], s[0:1], s[16:17]
	s_or_b64 exec, exec, s[12:13]
	v_mov_b32_e32 v4, v15
	s_and_saveexec_b64 s[12:13], s[0:1]
	s_cbranch_execnz .LBB224_68
	s_branch .LBB224_69
.LBB224_137:                            ;   in Loop: Header=BB224_48 Depth=1
	v_cmp_eq_u16_e32 vcc, s29, v4
	s_mov_b64 s[0:1], -1
                                        ; implicit-def: $sgpr18
	s_and_saveexec_b64 s[16:17], vcc
; %bb.138:                              ;   in Loop: Header=BB224_48 Depth=1
	s_mov_b32 s18, 0x7fc02000
	s_xor_b64 s[0:1], exec, -1
; %bb.139:                              ;   in Loop: Header=BB224_48 Depth=1
	s_or_b64 exec, exec, s[16:17]
	s_and_b64 s[0:1], s[0:1], exec
	s_or_saveexec_b64 s[12:13], s[12:13]
	v_mov_b32_e32 v25, s18
	s_xor_b64 exec, exec, s[12:13]
	s_cbranch_execz .LBB224_71
.LBB224_140:                            ;   in Loop: Header=BB224_48 Depth=1
	v_cmp_ne_u16_e32 vcc, 0, v4
	s_andn2_b64 s[0:1], s[0:1], exec
	s_and_b64 s[16:17], vcc, exec
	v_mov_b32_e32 v25, 0
	s_or_b64 s[0:1], s[0:1], s[16:17]
	s_or_b64 exec, exec, s[12:13]
	s_and_saveexec_b64 s[12:13], s[0:1]
	s_cbranch_execnz .LBB224_72
	s_branch .LBB224_73
.LBB224_141:                            ;   in Loop: Header=BB224_48 Depth=1
	v_cmp_eq_u16_sdwa s[44:45], v4, s29 src0_sel:BYTE_0 src1_sel:DWORD
	s_mov_b64 s[0:1], -1
                                        ; implicit-def: $sgpr18
	s_and_saveexec_b64 s[16:17], s[44:45]
; %bb.142:                              ;   in Loop: Header=BB224_48 Depth=1
	s_mov_b32 s18, 0x7fc02000
	s_xor_b64 s[0:1], exec, -1
; %bb.143:                              ;   in Loop: Header=BB224_48 Depth=1
	s_or_b64 exec, exec, s[16:17]
	s_and_b64 s[0:1], s[0:1], exec
	s_or_saveexec_b64 s[12:13], s[12:13]
	v_mov_b32_e32 v26, s18
	s_xor_b64 exec, exec, s[12:13]
	s_cbranch_execz .LBB224_75
.LBB224_144:                            ;   in Loop: Header=BB224_48 Depth=1
	v_cmp_ne_u16_sdwa s[16:17], v4, v5 src0_sel:BYTE_0 src1_sel:DWORD
	s_andn2_b64 s[0:1], s[0:1], exec
	s_and_b64 s[16:17], s[16:17], exec
	v_mov_b32_e32 v26, 0
	s_or_b64 s[0:1], s[0:1], s[16:17]
	s_or_b64 exec, exec, s[12:13]
	s_and_saveexec_b64 s[12:13], s[0:1]
	s_cbranch_execnz .LBB224_76
	s_branch .LBB224_77
.LBB224_145:                            ;   in Loop: Header=BB224_48 Depth=1
	v_cmp_eq_u16_e32 vcc, s29, v4
	s_mov_b64 s[0:1], -1
                                        ; implicit-def: $sgpr18
	s_and_saveexec_b64 s[16:17], vcc
; %bb.146:                              ;   in Loop: Header=BB224_48 Depth=1
	s_mov_b32 s18, 0x7fc02000
	s_xor_b64 s[0:1], exec, -1
; %bb.147:                              ;   in Loop: Header=BB224_48 Depth=1
	s_or_b64 exec, exec, s[16:17]
	s_and_b64 s[0:1], s[0:1], exec
	s_or_saveexec_b64 s[12:13], s[12:13]
	v_mov_b32_e32 v27, s18
	s_xor_b64 exec, exec, s[12:13]
	s_cbranch_execz .LBB224_79
.LBB224_148:                            ;   in Loop: Header=BB224_48 Depth=1
	v_cmp_ne_u16_e32 vcc, 0, v4
	s_andn2_b64 s[0:1], s[0:1], exec
	s_and_b64 s[16:17], vcc, exec
	v_mov_b32_e32 v27, 0
	s_or_b64 s[0:1], s[0:1], s[16:17]
	s_or_b64 exec, exec, s[12:13]
	s_and_saveexec_b64 s[12:13], s[0:1]
	s_cbranch_execnz .LBB224_80
	s_branch .LBB224_81
.LBB224_149:                            ;   in Loop: Header=BB224_48 Depth=1
	v_cmp_eq_u16_sdwa s[44:45], v14, s29 src0_sel:BYTE_0 src1_sel:DWORD
	s_mov_b64 s[0:1], -1
                                        ; implicit-def: $sgpr18
	s_and_saveexec_b64 s[16:17], s[44:45]
; %bb.150:                              ;   in Loop: Header=BB224_48 Depth=1
	s_mov_b32 s18, 0x7fc02000
	s_xor_b64 s[0:1], exec, -1
; %bb.151:                              ;   in Loop: Header=BB224_48 Depth=1
	s_or_b64 exec, exec, s[16:17]
	s_and_b64 s[0:1], s[0:1], exec
	s_or_saveexec_b64 s[12:13], s[12:13]
	v_mov_b32_e32 v10, s18
	s_xor_b64 exec, exec, s[12:13]
	s_cbranch_execz .LBB224_85
.LBB224_152:                            ;   in Loop: Header=BB224_48 Depth=1
	v_cmp_ne_u16_sdwa s[16:17], v14, v5 src0_sel:BYTE_0 src1_sel:DWORD
	s_andn2_b64 s[0:1], s[0:1], exec
	s_and_b64 s[16:17], s[16:17], exec
	v_mov_b32_e32 v10, 0
	s_or_b64 s[0:1], s[0:1], s[16:17]
	s_or_b64 exec, exec, s[12:13]
	s_and_saveexec_b64 s[12:13], s[0:1]
	s_cbranch_execnz .LBB224_86
	s_branch .LBB224_87
.LBB224_153:                            ;   in Loop: Header=BB224_48 Depth=1
	v_cmp_eq_u16_e64 s[0:1], s29, v4
	s_mov_b64 s[12:13], -1
                                        ; implicit-def: $sgpr41
	s_and_saveexec_b64 s[18:19], s[0:1]
; %bb.154:                              ;   in Loop: Header=BB224_48 Depth=1
	s_mov_b32 s41, 0x7fc02000
	s_xor_b64 s[12:13], exec, -1
; %bb.155:                              ;   in Loop: Header=BB224_48 Depth=1
	s_or_b64 exec, exec, s[18:19]
	s_and_b64 s[12:13], s[12:13], exec
	s_or_saveexec_b64 s[16:17], s[16:17]
	v_mov_b32_e32 v16, s41
	s_xor_b64 exec, exec, s[16:17]
	s_cbranch_execz .LBB224_89
.LBB224_156:                            ;   in Loop: Header=BB224_48 Depth=1
	v_cmp_ne_u16_e64 s[0:1], 0, v4
	s_andn2_b64 s[12:13], s[12:13], exec
	s_and_b64 s[0:1], s[0:1], exec
	v_mov_b32_e32 v16, 0
	s_or_b64 s[12:13], s[12:13], s[0:1]
	s_or_b64 exec, exec, s[16:17]
	s_and_saveexec_b64 s[16:17], s[12:13]
	s_cbranch_execnz .LBB224_90
	s_branch .LBB224_91
.LBB224_157:                            ;   in Loop: Header=BB224_48 Depth=1
	v_cmp_eq_u16_sdwa s[44:45], v4, s29 src0_sel:BYTE_0 src1_sel:DWORD
	s_mov_b64 s[0:1], -1
                                        ; implicit-def: $sgpr18
	s_and_saveexec_b64 s[16:17], s[44:45]
; %bb.158:                              ;   in Loop: Header=BB224_48 Depth=1
	s_mov_b32 s18, 0x7fc02000
	s_xor_b64 s[0:1], exec, -1
; %bb.159:                              ;   in Loop: Header=BB224_48 Depth=1
	s_or_b64 exec, exec, s[16:17]
	s_and_b64 s[0:1], s[0:1], exec
	s_or_saveexec_b64 s[12:13], s[12:13]
	v_mov_b32_e32 v11, s18
	s_xor_b64 exec, exec, s[12:13]
	s_cbranch_execz .LBB224_93
.LBB224_160:                            ;   in Loop: Header=BB224_48 Depth=1
	v_cmp_ne_u16_sdwa s[16:17], v4, v5 src0_sel:BYTE_0 src1_sel:DWORD
	s_andn2_b64 s[0:1], s[0:1], exec
	s_and_b64 s[16:17], s[16:17], exec
	v_mov_b32_e32 v11, 0
	s_or_b64 s[0:1], s[0:1], s[16:17]
	s_or_b64 exec, exec, s[12:13]
	s_and_saveexec_b64 s[12:13], s[0:1]
	s_cbranch_execnz .LBB224_94
	s_branch .LBB224_95
.LBB224_161:                            ;   in Loop: Header=BB224_48 Depth=1
	v_cmp_eq_u16_e64 s[0:1], s29, v4
	s_mov_b64 s[12:13], -1
                                        ; implicit-def: $sgpr41
	s_and_saveexec_b64 s[18:19], s[0:1]
; %bb.162:                              ;   in Loop: Header=BB224_48 Depth=1
	s_mov_b32 s41, 0x7fc02000
	s_xor_b64 s[12:13], exec, -1
; %bb.163:                              ;   in Loop: Header=BB224_48 Depth=1
	s_or_b64 exec, exec, s[18:19]
	s_and_b64 s[12:13], s[12:13], exec
	s_or_saveexec_b64 s[16:17], s[16:17]
	v_mov_b32_e32 v17, s41
	s_xor_b64 exec, exec, s[16:17]
	s_cbranch_execz .LBB224_97
.LBB224_164:                            ;   in Loop: Header=BB224_48 Depth=1
	v_cmp_ne_u16_e64 s[0:1], 0, v4
	s_andn2_b64 s[12:13], s[12:13], exec
	s_and_b64 s[0:1], s[0:1], exec
	v_mov_b32_e32 v17, 0
	s_or_b64 s[12:13], s[12:13], s[0:1]
	s_or_b64 exec, exec, s[16:17]
	s_and_saveexec_b64 s[16:17], s[12:13]
	s_cbranch_execnz .LBB224_98
	s_branch .LBB224_99
.LBB224_165:                            ;   in Loop: Header=BB224_48 Depth=1
	v_cmp_eq_u16_sdwa s[44:45], v15, s29 src0_sel:BYTE_0 src1_sel:DWORD
	s_mov_b64 s[0:1], -1
                                        ; implicit-def: $sgpr18
	s_and_saveexec_b64 s[16:17], s[44:45]
; %bb.166:                              ;   in Loop: Header=BB224_48 Depth=1
	s_mov_b32 s18, 0x7fc02000
	s_xor_b64 s[0:1], exec, -1
; %bb.167:                              ;   in Loop: Header=BB224_48 Depth=1
	s_or_b64 exec, exec, s[16:17]
	s_and_b64 s[0:1], s[0:1], exec
	s_or_saveexec_b64 s[12:13], s[12:13]
	v_mov_b32_e32 v14, s18
	s_xor_b64 exec, exec, s[12:13]
	s_cbranch_execz .LBB224_101
.LBB224_168:                            ;   in Loop: Header=BB224_48 Depth=1
	v_cmp_ne_u16_sdwa s[16:17], v15, v5 src0_sel:BYTE_0 src1_sel:DWORD
	s_andn2_b64 s[0:1], s[0:1], exec
	s_and_b64 s[16:17], s[16:17], exec
	v_mov_b32_e32 v14, 0
	s_or_b64 s[0:1], s[0:1], s[16:17]
	s_or_b64 exec, exec, s[12:13]
	v_mov_b32_e32 v4, v15
	s_and_saveexec_b64 s[12:13], s[0:1]
	s_cbranch_execnz .LBB224_102
	s_branch .LBB224_103
.LBB224_169:                            ;   in Loop: Header=BB224_48 Depth=1
	v_cmp_eq_u16_e64 s[0:1], s29, v4
	s_mov_b64 s[12:13], -1
                                        ; implicit-def: $sgpr41
	s_and_saveexec_b64 s[18:19], s[0:1]
; %bb.170:                              ;   in Loop: Header=BB224_48 Depth=1
	s_mov_b32 s41, 0x7fc02000
	s_xor_b64 s[12:13], exec, -1
; %bb.171:                              ;   in Loop: Header=BB224_48 Depth=1
	s_or_b64 exec, exec, s[18:19]
	s_and_b64 s[12:13], s[12:13], exec
	s_or_saveexec_b64 s[16:17], s[16:17]
	v_mov_b32_e32 v36, s41
	s_xor_b64 exec, exec, s[16:17]
	s_cbranch_execz .LBB224_105
.LBB224_172:                            ;   in Loop: Header=BB224_48 Depth=1
	v_cmp_ne_u16_e64 s[0:1], 0, v4
	s_andn2_b64 s[12:13], s[12:13], exec
	s_and_b64 s[0:1], s[0:1], exec
	v_mov_b32_e32 v36, 0
	s_or_b64 s[12:13], s[12:13], s[0:1]
	s_or_b64 exec, exec, s[16:17]
	s_and_saveexec_b64 s[16:17], s[12:13]
	s_cbranch_execnz .LBB224_106
	s_branch .LBB224_107
.LBB224_173:                            ;   in Loop: Header=BB224_48 Depth=1
	v_cmp_eq_u16_sdwa s[44:45], v4, s29 src0_sel:BYTE_0 src1_sel:DWORD
	s_mov_b64 s[0:1], -1
                                        ; implicit-def: $sgpr18
	s_and_saveexec_b64 s[16:17], s[44:45]
; %bb.174:                              ;   in Loop: Header=BB224_48 Depth=1
	s_mov_b32 s18, 0x7fc02000
	s_xor_b64 s[0:1], exec, -1
; %bb.175:                              ;   in Loop: Header=BB224_48 Depth=1
	s_or_b64 exec, exec, s[16:17]
	s_and_b64 s[0:1], s[0:1], exec
	s_or_saveexec_b64 s[12:13], s[12:13]
	v_mov_b32_e32 v37, s18
	s_xor_b64 exec, exec, s[12:13]
	s_cbranch_execz .LBB224_109
.LBB224_176:                            ;   in Loop: Header=BB224_48 Depth=1
	v_cmp_ne_u16_sdwa s[16:17], v4, v5 src0_sel:BYTE_0 src1_sel:DWORD
	s_andn2_b64 s[0:1], s[0:1], exec
	s_and_b64 s[16:17], s[16:17], exec
	v_mov_b32_e32 v37, 0
	s_or_b64 s[0:1], s[0:1], s[16:17]
	s_or_b64 exec, exec, s[12:13]
	s_and_saveexec_b64 s[12:13], s[0:1]
	s_cbranch_execnz .LBB224_110
	s_branch .LBB224_111
.LBB224_177:                            ;   in Loop: Header=BB224_48 Depth=1
	v_cmp_eq_u16_e64 s[0:1], s29, v4
	s_mov_b64 s[12:13], -1
                                        ; implicit-def: $sgpr41
	s_and_saveexec_b64 s[18:19], s[0:1]
; %bb.178:                              ;   in Loop: Header=BB224_48 Depth=1
	s_mov_b32 s41, 0x7fc02000
	s_xor_b64 s[12:13], exec, -1
; %bb.179:                              ;   in Loop: Header=BB224_48 Depth=1
	s_or_b64 exec, exec, s[18:19]
	s_and_b64 s[12:13], s[12:13], exec
	s_or_saveexec_b64 s[16:17], s[16:17]
	v_mov_b32_e32 v38, s41
	s_xor_b64 exec, exec, s[16:17]
	s_cbranch_execz .LBB224_113
.LBB224_180:                            ;   in Loop: Header=BB224_48 Depth=1
	v_cmp_ne_u16_e64 s[0:1], 0, v4
	s_andn2_b64 s[12:13], s[12:13], exec
	s_and_b64 s[0:1], s[0:1], exec
	v_mov_b32_e32 v38, 0
	s_or_b64 s[12:13], s[12:13], s[0:1]
	s_or_b64 exec, exec, s[16:17]
	s_and_saveexec_b64 s[16:17], s[12:13]
	s_cbranch_execnz .LBB224_114
	s_branch .LBB224_115
.LBB224_181:
	s_or_b64 exec, exec, s[6:7]
.LBB224_182:
	s_or_b64 exec, exec, s[2:3]
	v_and_b32_e32 v4, 0x3c0, v0
	v_cmp_eq_u32_e32 vcc, 64, v4
	s_barrier
	s_and_saveexec_b64 s[0:1], vcc
	s_cbranch_execz .LBB224_184
; %bb.183:
	v_mov_b32_e32 v4, 0x110
	v_lshl_add_u32 v5, v0, 2, v4
	v_lshl_add_u32 v4, v21, 2, v4
	ds_write_b32 v4, v2
	ds_write_b32 v5, v3
.LBB224_184:
	s_or_b64 exec, exec, s[0:1]
	v_cmp_gt_u32_e32 vcc, 64, v0
	s_waitcnt lgkmcnt(0)
	s_barrier
	s_and_saveexec_b64 s[0:1], vcc
	s_cbranch_execz .LBB224_186
; %bb.185:
	v_mov_b32_e32 v4, 0x110
	v_lshl_add_u32 v0, v0, 2, v4
	ds_read2st64_b32 v[4:5], v0 offset1:1
	s_waitcnt lgkmcnt(0)
	v_pk_add_f32 v[2:3], v[2:3], v[4:5]
.LBB224_186:
	s_or_b64 exec, exec, s[0:1]
	s_barrier
	s_and_saveexec_b64 s[0:1], vcc
	s_cbranch_execz .LBB224_188
; %bb.187:
	s_mul_i32 s0, s10, s20
	s_mul_i32 s0, s0, s5
	s_lshl_b32 s0, s0, 7
	s_ashr_i32 s1, s0, 31
	s_lshl_b64 s[0:1], s[0:1], 1
	s_add_u32 s2, s26, s0
	s_mul_i32 s0, s20, s24
	s_addc_u32 s3, s27, s1
	s_ashr_i32 s1, s0, 31
	s_lshl_b64 s[0:1], s[0:1], 1
	s_add_u32 s2, s2, s0
	s_addc_u32 s3, s3, s1
	s_lshl_b32 s0, s4, 7
	s_ashr_i32 s1, s0, 31
	s_lshl_b64 s[0:1], s[0:1], 1
	s_add_u32 s0, s2, s0
	s_addc_u32 s1, s3, s1
	;;#ASMSTART
	v_cvt_f16_f32 v0, v2;

	;;#ASMEND
	global_store_short v1, v0, s[0:1]
	;;#ASMSTART
	v_cvt_f16_f32 v0, v3;

	;;#ASMEND
	global_store_short v1, v0, s[0:1] offset:128
.LBB224_188:
	s_endpgm
	.section	.rodata,"a",@progbits
	.p2align	6, 0x0
	.amdhsa_kernel _ZN4vllm25paged_attention_v1_kernelIthLi128ELi8ELi128ELNS_18Fp8KVCacheDataTypeE1ELb1EEEvPT_PKS2_PKT0_S8_ifPKiSA_iPKfiiiSC_SC_iiiii
		.amdhsa_group_segment_fixed_size 272
		.amdhsa_private_segment_fixed_size 0
		.amdhsa_kernarg_size 384
		.amdhsa_user_sgpr_count 2
		.amdhsa_user_sgpr_dispatch_ptr 0
		.amdhsa_user_sgpr_queue_ptr 0
		.amdhsa_user_sgpr_kernarg_segment_ptr 1
		.amdhsa_user_sgpr_dispatch_id 0
		.amdhsa_user_sgpr_kernarg_preload_length 0
		.amdhsa_user_sgpr_kernarg_preload_offset 0
		.amdhsa_user_sgpr_private_segment_size 0
		.amdhsa_uses_dynamic_stack 0
		.amdhsa_enable_private_segment 0
		.amdhsa_system_sgpr_workgroup_id_x 1
		.amdhsa_system_sgpr_workgroup_id_y 1
		.amdhsa_system_sgpr_workgroup_id_z 1
		.amdhsa_system_sgpr_workgroup_info 0
		.amdhsa_system_vgpr_workitem_id 0
		.amdhsa_next_free_vgpr 56
		.amdhsa_next_free_sgpr 48
		.amdhsa_accum_offset 56
		.amdhsa_reserve_vcc 1
		.amdhsa_float_round_mode_32 0
		.amdhsa_float_round_mode_16_64 0
		.amdhsa_float_denorm_mode_32 3
		.amdhsa_float_denorm_mode_16_64 3
		.amdhsa_dx10_clamp 1
		.amdhsa_ieee_mode 1
		.amdhsa_fp16_overflow 0
		.amdhsa_tg_split 0
		.amdhsa_exception_fp_ieee_invalid_op 0
		.amdhsa_exception_fp_denorm_src 0
		.amdhsa_exception_fp_ieee_div_zero 0
		.amdhsa_exception_fp_ieee_overflow 0
		.amdhsa_exception_fp_ieee_underflow 0
		.amdhsa_exception_fp_ieee_inexact 0
		.amdhsa_exception_int_div_zero 0
	.end_amdhsa_kernel
	.section	.text._ZN4vllm25paged_attention_v1_kernelIthLi128ELi8ELi128ELNS_18Fp8KVCacheDataTypeE1ELb1EEEvPT_PKS2_PKT0_S8_ifPKiSA_iPKfiiiSC_SC_iiiii,"axG",@progbits,_ZN4vllm25paged_attention_v1_kernelIthLi128ELi8ELi128ELNS_18Fp8KVCacheDataTypeE1ELb1EEEvPT_PKS2_PKT0_S8_ifPKiSA_iPKfiiiSC_SC_iiiii,comdat
.Lfunc_end224:
	.size	_ZN4vllm25paged_attention_v1_kernelIthLi128ELi8ELi128ELNS_18Fp8KVCacheDataTypeE1ELb1EEEvPT_PKS2_PKT0_S8_ifPKiSA_iPKfiiiSC_SC_iiiii, .Lfunc_end224-_ZN4vllm25paged_attention_v1_kernelIthLi128ELi8ELi128ELNS_18Fp8KVCacheDataTypeE1ELb1EEEvPT_PKS2_PKT0_S8_ifPKiSA_iPKfiiiSC_SC_iiiii
                                        ; -- End function
	.section	.AMDGPU.csdata,"",@progbits
; Kernel info:
; codeLenInByte = 9596
; NumSgprs: 54
; NumVgprs: 56
; NumAgprs: 0
; TotalNumVgprs: 56
; ScratchSize: 0
; MemoryBound: 0
; FloatMode: 240
; IeeeMode: 1
; LDSByteSize: 272 bytes/workgroup (compile time only)
; SGPRBlocks: 6
; VGPRBlocks: 6
; NumSGPRsForWavesPerEU: 54
; NumVGPRsForWavesPerEU: 56
; AccumOffset: 56
; Occupancy: 8
; WaveLimiterHint : 1
; COMPUTE_PGM_RSRC2:SCRATCH_EN: 0
; COMPUTE_PGM_RSRC2:USER_SGPR: 2
; COMPUTE_PGM_RSRC2:TRAP_HANDLER: 0
; COMPUTE_PGM_RSRC2:TGID_X_EN: 1
; COMPUTE_PGM_RSRC2:TGID_Y_EN: 1
; COMPUTE_PGM_RSRC2:TGID_Z_EN: 1
; COMPUTE_PGM_RSRC2:TIDIG_COMP_CNT: 0
; COMPUTE_PGM_RSRC3_GFX90A:ACCUM_OFFSET: 13
; COMPUTE_PGM_RSRC3_GFX90A:TG_SPLIT: 0
	.section	.text._ZN4vllm25paged_attention_v1_kernelIthLi192ELi8ELi128ELNS_18Fp8KVCacheDataTypeE1ELb1EEEvPT_PKS2_PKT0_S8_ifPKiSA_iPKfiiiSC_SC_iiiii,"axG",@progbits,_ZN4vllm25paged_attention_v1_kernelIthLi192ELi8ELi128ELNS_18Fp8KVCacheDataTypeE1ELb1EEEvPT_PKS2_PKT0_S8_ifPKiSA_iPKfiiiSC_SC_iiiii,comdat
	.protected	_ZN4vllm25paged_attention_v1_kernelIthLi192ELi8ELi128ELNS_18Fp8KVCacheDataTypeE1ELb1EEEvPT_PKS2_PKT0_S8_ifPKiSA_iPKfiiiSC_SC_iiiii ; -- Begin function _ZN4vllm25paged_attention_v1_kernelIthLi192ELi8ELi128ELNS_18Fp8KVCacheDataTypeE1ELb1EEEvPT_PKS2_PKT0_S8_ifPKiSA_iPKfiiiSC_SC_iiiii
	.globl	_ZN4vllm25paged_attention_v1_kernelIthLi192ELi8ELi128ELNS_18Fp8KVCacheDataTypeE1ELb1EEEvPT_PKS2_PKT0_S8_ifPKiSA_iPKfiiiSC_SC_iiiii
	.p2align	8
	.type	_ZN4vllm25paged_attention_v1_kernelIthLi192ELi8ELi128ELNS_18Fp8KVCacheDataTypeE1ELb1EEEvPT_PKS2_PKT0_S8_ifPKiSA_iPKfiiiSC_SC_iiiii,@function
_ZN4vllm25paged_attention_v1_kernelIthLi192ELi8ELi128ELNS_18Fp8KVCacheDataTypeE1ELb1EEEvPT_PKS2_PKT0_S8_ifPKiSA_iPKfiiiSC_SC_iiiii: ; @_ZN4vllm25paged_attention_v1_kernelIthLi192ELi8ELi128ELNS_18Fp8KVCacheDataTypeE1ELb1EEEvPT_PKS2_PKT0_S8_ifPKiSA_iPKfiiiSC_SC_iiiii
; %bb.0:
	s_load_dword s5, s[0:1], 0x80
	s_load_dwordx2 s[6:7], s[0:1], 0x30
	s_load_dwordx2 s[36:37], s[0:1], 0x20
	s_mov_b32 s24, s3
	s_ashr_i32 s25, s3, 31
	s_lshl_b64 s[8:9], s[24:25], 2
	s_waitcnt lgkmcnt(0)
	s_add_u32 s6, s6, s8
	s_addc_u32 s7, s7, s9
	s_abs_i32 s3, s36
	v_cvt_f32_u32_e32 v1, s3
	s_sub_i32 s10, 0, s3
	s_abs_i32 s9, s5
	s_xor_b32 s8, s5, s36
	v_rcp_iflag_f32_e32 v1, v1
	s_ashr_i32 s8, s8, 31
	s_mov_b32 s44, 0
	v_mul_f32_e32 v1, 0x4f7ffffe, v1
	v_cvt_u32_f32_e32 v1, v1
	s_nop 0
	v_readfirstlane_b32 s11, v1
	s_mul_i32 s10, s10, s11
	s_mul_hi_u32 s10, s11, s10
	s_add_i32 s11, s11, s10
	s_mul_hi_u32 s10, s9, s11
	s_mul_i32 s11, s10, s3
	s_sub_i32 s9, s9, s11
	s_add_i32 s11, s10, 1
	s_sub_i32 s12, s9, s3
	s_cmp_ge_u32 s9, s3
	s_cselect_b32 s10, s11, s10
	s_cselect_b32 s9, s12, s9
	s_add_i32 s11, s10, 1
	s_cmp_ge_u32 s9, s3
	s_cselect_b32 s3, s11, s10
	s_xor_b32 s3, s3, s8
	s_sub_i32 s20, s3, s8
	s_abs_i32 s34, s20
	v_cvt_f32_u32_e32 v1, s34
	s_load_dwordx2 s[8:9], s[0:1], 0x40
	s_sub_i32 s3, 0, s34
	s_abs_i32 s35, s2
	v_rcp_iflag_f32_e32 v1, v1
	s_nop 0
	v_mul_f32_e32 v1, 0x4f7ffffe, v1
	v_cvt_u32_f32_e32 v1, v1
	s_nop 0
	v_readfirstlane_b32 s12, v1
	s_mul_i32 s3, s3, s12
	s_mul_hi_u32 s3, s12, s3
	s_add_i32 s12, s12, s3
	s_waitcnt lgkmcnt(0)
	s_cmp_eq_u64 s[8:9], 0
	s_cbranch_scc1 .LBB225_2
; %bb.1:
	s_ashr_i32 s3, s2, 31
	s_lshl_b64 s[10:11], s[2:3], 2
	s_add_u32 s8, s8, s10
	s_addc_u32 s9, s9, s11
	s_load_dword s44, s[8:9], 0x0
.LBB225_2:
	s_load_dwordx2 s[26:27], s[0:1], 0x0
	s_nop 0
	s_load_dwordx4 s[8:11], s[0:1], 0x10
	s_load_dword s25, s[0:1], 0x88
	s_load_dword s33, s[6:7], 0x0
	s_load_dwordx2 s[30:31], s[0:1], 0x28
	s_load_dwordx4 s[16:19], s[0:1], 0x48
	s_movk_i32 s6, 0xc0
	s_mul_i32 s28, s2, 0xc0
	s_mul_hi_u32 s3, s35, s12
	v_and_b32_e32 v2, 7, v0
	s_ashr_i32 s29, s28, 31
	v_cmp_gt_u32_e32 vcc, s6, v0
	s_and_saveexec_b64 s[6:7], vcc
	s_cbranch_execz .LBB225_5
; %bb.3:
	s_load_dwordx2 s[12:13], s[0:1], 0x8
	s_waitcnt lgkmcnt(0)
	s_mul_i32 s14, s24, s16
	s_ashr_i32 s15, s14, 31
	s_lshl_b64 s[14:15], s[14:15], 1
	s_lshl_b64 s[22:23], s[28:29], 1
	s_add_u32 s14, s14, s22
	s_addc_u32 s15, s15, s23
	v_lshrrev_b32_e32 v4, 3, v0
	v_lshlrev_b32_e32 v5, 1, v2
	s_add_u32 s12, s12, s14
	v_add_u32_e32 v1, -16, v4
	v_lshlrev_b32_e32 v3, 1, v4
	v_lshl_or_b32 v4, v4, 4, v5
	v_mov_b32_e32 v5, 0
	s_addc_u32 s13, s13, s15
	v_mad_u32_u24 v3, v2, 48, v3
	v_lshl_add_u64 v[4:5], s[12:13], 0, v[4:5]
	s_mov_b64 s[12:13], 0
	s_mov_b64 s[14:15], 0x100
.LBB225_4:                              ; =>This Inner Loop Header: Depth=1
	global_load_ushort v6, v[4:5], off
	v_add_u32_e32 v1, 16, v1
	v_cmp_lt_u32_e32 vcc, 7, v1
	v_lshl_add_u64 v[4:5], v[4:5], 0, s[14:15]
	s_or_b64 s[12:13], vcc, s[12:13]
	s_waitcnt vmcnt(0)
	ds_write_b16 v3, v6
	v_add_u32_e32 v3, 32, v3
	s_andn2_b64 exec, exec, s[12:13]
	s_cbranch_execnz .LBB225_4
.LBB225_5:
	s_or_b64 exec, exec, s[6:7]
	s_ashr_i32 s6, s2, 31
	s_ashr_i32 s7, s20, 31
	s_xor_b32 s6, s6, s7
	s_mul_i32 s7, s3, s34
	s_sub_i32 s7, s35, s7
	s_add_i32 s13, s3, 1
	s_sub_i32 s14, s7, s34
	s_load_dwordx4 s[20:23], s[0:1], 0x68
	s_load_dword s12, s[0:1], 0x78
	s_cmp_ge_u32 s7, s34
	s_cselect_b32 s3, s13, s3
	s_cselect_b32 s7, s14, s7
	s_add_i32 s13, s3, 1
	s_cmp_ge_u32 s7, s34
	s_cselect_b32 s3, s13, s3
	s_waitcnt lgkmcnt(0)
	s_abs_i32 s29, s23
	v_cvt_f32_u32_e32 v1, s29
	s_xor_b32 s3, s3, s6
	s_sub_i32 s43, s3, s6
	s_sub_i32 s6, 0, s29
	v_rcp_iflag_f32_e32 v1, v1
	s_add_i32 s13, s33, -1
	s_abs_i32 s3, s13
	v_mul_f32_e32 v1, 0x4f7ffffe, v1
	v_cvt_u32_f32_e32 v1, v1
	s_barrier
	v_readfirstlane_b32 s42, v1
	s_mul_i32 s6, s6, s42
	s_mul_hi_u32 s6, s42, s6
	s_add_i32 s42, s42, s6
	s_cmp_lt_i32 s12, 0
	s_mul_hi_u32 s16, s3, s42
	s_cbranch_scc0 .LBB225_7
; %bb.6:
	s_mul_i32 s6, s20, s36
	s_add_i32 s6, s43, s6
	s_mul_i32 s6, s6, s12
	s_sub_i32 s36, 1, s6
	s_ashr_i32 s19, s13, 31
	s_ashr_i32 s23, s23, 31
	s_cbranch_execz .LBB225_8
	s_branch .LBB225_9
.LBB225_7:
                                        ; implicit-def: $sgpr36
	s_ashr_i32 s19, s13, 31
	s_ashr_i32 s23, s23, 31
.LBB225_8:
	s_mul_i32 s6, s5, s20
	s_add_i32 s2, s6, s2
	s_mul_i32 s2, s2, s12
	s_add_i32 s36, s2, 1
.LBB225_9:
	s_load_dword s2, s[0:1], 0x38
	s_load_dwordx4 s[12:15], s[0:1], 0x58
	s_mul_i32 s1, s16, s29
	s_sub_i32 s1, s3, s1
	s_xor_b32 s0, s19, s23
	s_waitcnt lgkmcnt(0)
	s_mul_i32 s34, s24, s2
	s_ashr_i32 s35, s34, 31
	s_add_i32 s2, s16, 1
	s_sub_i32 s3, s1, s29
	s_cmp_ge_u32 s1, s29
	s_cselect_b32 s2, s2, s16
	s_cselect_b32 s1, s3, s1
	s_add_i32 s3, s2, 1
	s_cmp_ge_u32 s1, s29
	s_cselect_b32 s1, s3, s2
	s_xor_b32 s1, s1, s0
	s_sub_i32 s16, s1, s0
	s_add_i32 s0, s33, 7
	s_ashr_i32 s1, s0, 31
	s_lshr_b32 s1, s1, 29
	s_add_i32 s0, s0, s1
	s_ashr_i32 s20, s0, 3
	v_lshrrev_b32_e32 v1, 6, v0
	v_cmp_gt_i32_e64 s[0:1], s20, v1
	v_mov_b32_e32 v15, 0xff7fffff
	s_mul_i32 s43, s43, s18
	v_lshrrev_b32_e32 v10, 4, v0
	v_lshlrev_b32_e32 v13, 3, v1
	v_mbcnt_lo_u32_b32 v11, -1, 0
	s_and_saveexec_b64 s[18:19], s[0:1]
	s_cbranch_execz .LBB225_19
; %bb.10:
	s_sub_i32 s45, s16, s21
	s_ashr_i32 s3, s43, 31
	s_add_u32 s2, s8, s43
	s_addc_u32 s3, s9, s3
	s_abs_i32 s46, s22
	v_cvt_f32_u32_e32 v3, s46
	v_bfe_u32 v12, v0, 3, 3
	s_sub_i32 s6, 0, s46
	v_lshlrev_b32_e32 v8, 2, v12
	v_rcp_iflag_f32_e32 v6, v3
	v_lshl_or_b32 v8, v1, 5, v8
	v_mov_b32_e32 v3, 0
	v_add_u32_e32 v18, 0x190, v8
	v_mul_f32_e32 v6, 0x4f7ffffe, v6
	v_cvt_u32_f32_e32 v6, v6
	v_subrev_u32_e32 v8, s33, v12
	v_mbcnt_hi_u32_b32 v21, -1, v11
	v_lshlrev_b32_e32 v4, 4, v12
	v_mul_lo_u32 v7, s6, v6
	s_lshl_b64 s[6:7], s[34:35], 2
	v_mul_hi_u32 v7, v6, v7
	s_add_u32 s6, s30, s6
	v_mov_b32_e32 v5, v3
	v_add_u32_e32 v16, v6, v7
	v_and_b32_e32 v6, 60, v10
	v_mov_b32_e32 v7, v3
	s_addc_u32 s7, s31, s7
	v_add_u32_e32 v19, 1, v8
	v_and_b32_e32 v8, 64, v21
	v_cmp_eq_u32_e32 vcc, 0, v2
	s_mov_b32 s47, s17
	v_lshl_add_u64 v[4:5], s[2:3], 0, v[4:5]
	v_mul_u32_u24_e32 v14, 48, v2
	v_cmp_neq_f32_e64 s[2:3], s44, 0
	v_lshl_add_u64 v[6:7], s[6:7], 0, v[6:7]
	v_lshlrev_b32_e32 v17, 3, v1
	s_mov_b64 s[38:39], 0
	v_mov_b32_e32 v20, 0xff7fffff
	v_add_u32_e32 v22, 64, v8
	v_xor_b32_e32 v23, 4, v21
	v_xor_b32_e32 v24, 2, v21
	;; [unrolled: 1-line block ×3, first 2 shown]
	v_mov_b32_e32 v15, 0xff7fffff
	v_mov_b32_e32 v26, v1
	s_branch .LBB225_13
.LBB225_11:                             ;   in Loop: Header=BB225_13 Depth=1
	s_or_b64 exec, exec, s[40:41]
.LBB225_12:                             ;   in Loop: Header=BB225_13 Depth=1
	s_or_b64 exec, exec, s[8:9]
	v_add_u32_e32 v26, 2, v26
	v_cmp_le_i32_e64 s[6:7], s20, v26
	v_lshl_add_u64 v[6:7], v[6:7], 0, 8
	v_add_u32_e32 v17, 16, v17
	s_or_b64 s[38:39], s[6:7], s[38:39]
	v_add_u32_e32 v18, 64, v18
	s_andn2_b64 exec, exec, s[38:39]
	s_cbranch_execz .LBB225_18
.LBB225_13:                             ; =>This Inner Loop Header: Depth=1
	v_mul_hi_u32 v8, v17, s42
	s_waitcnt lgkmcnt(0)
	v_mul_lo_u32 v9, v8, s29
	v_sub_u32_e32 v9, v17, v9
	v_add_u32_e32 v27, 1, v8
	v_cmp_le_u32_e64 s[6:7], s29, v9
	s_nop 1
	v_cndmask_b32_e64 v8, v8, v27, s[6:7]
	v_subrev_u32_e32 v27, s29, v9
	v_cndmask_b32_e64 v9, v9, v27, s[6:7]
	v_add_u32_e32 v27, 1, v8
	v_cmp_le_u32_e64 s[6:7], s29, v9
	s_nop 1
	v_cndmask_b32_e64 v8, v8, v27, s[6:7]
	v_xor_b32_e32 v8, s23, v8
	v_subrev_u32_e32 v8, s23, v8
	v_add_u32_e32 v9, s36, v8
	v_sub_u32_e32 v28, 0, v9
	v_ashrrev_i32_e32 v27, 31, v9
	v_max_i32_e32 v9, v9, v28
	v_mul_hi_u32 v28, v9, v16
	v_mul_lo_u32 v28, v28, s46
	v_sub_u32_e32 v9, v9, v28
	v_subrev_u32_e32 v28, s46, v9
	v_cmp_le_u32_e64 s[6:7], s46, v9
	v_cmp_ge_i32_e64 s[8:9], s45, v8
	s_nop 0
	v_cndmask_b32_e64 v9, v9, v28, s[6:7]
	v_subrev_u32_e32 v28, s46, v9
	v_cmp_le_u32_e64 s[6:7], s46, v9
	s_nop 1
	v_cndmask_b32_e64 v9, v9, v28, s[6:7]
	v_xor_b32_e32 v9, v9, v27
	v_sub_u32_e32 v9, v9, v27
	v_cmp_ne_u32_e64 s[6:7], 0, v9
	s_and_b64 s[6:7], s[6:7], s[8:9]
	s_and_b64 s[40:41], vcc, s[6:7]
	s_and_saveexec_b64 s[8:9], s[40:41]
	s_cbranch_execz .LBB225_15
; %bb.14:                               ;   in Loop: Header=BB225_13 Depth=1
	ds_write_b32 v18, v20
.LBB225_15:                             ;   in Loop: Header=BB225_13 Depth=1
	s_or_b64 exec, exec, s[8:9]
	s_xor_b64 s[6:7], s[6:7], -1
	s_and_saveexec_b64 s[8:9], s[6:7]
	s_cbranch_execz .LBB225_12
; %bb.16:                               ;   in Loop: Header=BB225_13 Depth=1
	global_load_dword v8, v[6:7], off
	s_waitcnt vmcnt(0)
	v_mad_i64_i32 v[8:9], s[6:7], v8, s47, v[4:5]
	v_lshl_add_u64 v[8:9], v[8:9], 0, v[2:3]
	global_load_ubyte v28, v[8:9], off
	global_load_ubyte v29, v[8:9], off offset:8
	global_load_dword v27, v3, s[12:13]
	global_load_ubyte v30, v[8:9], off offset:128
	global_load_ubyte v31, v[8:9], off offset:136
	;; [unrolled: 1-line block ×19, first 2 shown]
	ds_read_u16 v49, v14
	global_load_ubyte v51, v[8:9], off offset:1288
	global_load_ubyte v52, v[8:9], off offset:1408
	v_cmp_lt_i32_e64 s[6:7], v23, v22
	global_load_ubyte v8, v[8:9], off offset:1416
	s_waitcnt lgkmcnt(0)
	;;#ASMSTART
	v_cvt_f32_f16 v9, v49;
	;;#ASMEND
	s_waitcnt vmcnt(24)
	v_cvt_f32_fp8_sdwa v28, v28 src0_sel:BYTE_0
	s_waitcnt vmcnt(23)
	v_cvt_f32_fp8_sdwa v29, v29 src0_sel:BYTE_0
	v_cndmask_b32_e64 v50, v21, v23, s[6:7]
	s_waitcnt vmcnt(21)
	v_cvt_f32_fp8_sdwa v30, v30 src0_sel:BYTE_0
	v_fma_mixlo_f16 v28, v27, v28, 0
	v_and_b32_e32 v28, 0xffff, v28
	v_fma_mixlo_f16 v29, v27, v29, 0
	s_waitcnt vmcnt(20)
	v_cvt_f32_fp8_sdwa v31, v31 src0_sel:BYTE_0
	;;#ASMSTART
	v_cvt_f32_f16 v28, v28;
	;;#ASMEND
	ds_read_u16 v49, v14 offset:2
	v_and_b32_e32 v29, 0xffff, v29
	s_waitcnt vmcnt(19)
	v_cvt_f32_fp8_sdwa v32, v32 src0_sel:BYTE_0
	s_waitcnt lgkmcnt(0)
	;;#ASMSTART
	v_cvt_f32_f16 v49, v49;
	;;#ASMEND
	;;#ASMSTART
	v_cvt_f32_f16 v29, v29;
	;;#ASMEND
	s_waitcnt vmcnt(18)
	v_cvt_f32_fp8_sdwa v33, v33 src0_sel:BYTE_0
	v_fma_mixlo_f16 v30, v27, v30, 0
	s_waitcnt vmcnt(17)
	v_cvt_f32_fp8_sdwa v34, v34 src0_sel:BYTE_0
	v_mul_f32_e32 v29, v49, v29
	ds_read_u16 v53, v14 offset:4
	v_and_b32_e32 v30, 0xffff, v30
	v_fma_mixlo_f16 v31, v27, v31, 0
	s_waitcnt vmcnt(16)
	v_cvt_f32_fp8_sdwa v35, v35 src0_sel:BYTE_0
	v_fmac_f32_e32 v29, v9, v28
	s_waitcnt lgkmcnt(0)
	;;#ASMSTART
	v_cvt_f32_f16 v53, v53;
	;;#ASMEND
	;;#ASMSTART
	v_cvt_f32_f16 v30, v30;
	;;#ASMEND
	ds_read_u16 v54, v14 offset:6
	v_and_b32_e32 v31, 0xffff, v31
	s_waitcnt vmcnt(15)
	v_cvt_f32_fp8_sdwa v36, v36 src0_sel:BYTE_0
	v_fma_mixlo_f16 v32, v27, v32, 0
	v_fmac_f32_e32 v29, v53, v30
	s_waitcnt lgkmcnt(0)
	;;#ASMSTART
	v_cvt_f32_f16 v54, v54;
	;;#ASMEND
	;;#ASMSTART
	v_cvt_f32_f16 v31, v31;
	;;#ASMEND
	ds_read_u16 v55, v14 offset:8
	v_and_b32_e32 v32, 0xffff, v32
	s_waitcnt vmcnt(14)
	v_cvt_f32_fp8_sdwa v37, v37 src0_sel:BYTE_0
	v_fma_mixlo_f16 v33, v27, v33, 0
	v_fmac_f32_e32 v29, v54, v31
	s_waitcnt lgkmcnt(0)
	;;#ASMSTART
	v_cvt_f32_f16 v55, v55;
	;;#ASMEND
	;;#ASMSTART
	v_cvt_f32_f16 v32, v32;
	;;#ASMEND
	ds_read_u16 v56, v14 offset:10
	s_waitcnt vmcnt(13)
	v_cvt_f32_fp8_sdwa v38, v38 src0_sel:BYTE_0
	v_and_b32_e32 v33, 0xffff, v33
	v_fma_mixlo_f16 v34, v27, v34, 0
	v_fmac_f32_e32 v29, v55, v32
	s_waitcnt lgkmcnt(0)
	;;#ASMSTART
	v_cvt_f32_f16 v56, v56;
	;;#ASMEND
	;;#ASMSTART
	v_cvt_f32_f16 v33, v33;
	;;#ASMEND
	ds_read_u16 v57, v14 offset:12
	s_waitcnt vmcnt(12)
	v_cvt_f32_fp8_sdwa v39, v39 src0_sel:BYTE_0
	v_and_b32_e32 v34, 0xffff, v34
	v_fma_mixlo_f16 v35, v27, v35, 0
	v_fmac_f32_e32 v29, v56, v33
	s_waitcnt vmcnt(11)
	v_cvt_f32_fp8_sdwa v40, v40 src0_sel:BYTE_0
	s_waitcnt lgkmcnt(0)
	;;#ASMSTART
	v_cvt_f32_f16 v57, v57;
	;;#ASMEND
	;;#ASMSTART
	v_cvt_f32_f16 v34, v34;
	;;#ASMEND
	ds_read_u16 v58, v14 offset:14
	v_and_b32_e32 v35, 0xffff, v35
	v_fma_mixlo_f16 v36, v27, v36, 0
	v_fmac_f32_e32 v29, v57, v34
	s_waitcnt vmcnt(10)
	v_cvt_f32_fp8_sdwa v41, v41 src0_sel:BYTE_0
	s_waitcnt lgkmcnt(0)
	;;#ASMSTART
	v_cvt_f32_f16 v58, v58;
	;;#ASMEND
	;;#ASMSTART
	v_cvt_f32_f16 v35, v35;
	;;#ASMEND
	ds_read_u16 v59, v14 offset:16
	;; [unrolled: 13-line block ×5, first 2 shown]
	v_and_b32_e32 v39, 0xffff, v39
	v_fma_mixlo_f16 v40, v27, v40, 0
	v_fmac_f32_e32 v29, v61, v38
	s_waitcnt vmcnt(6)
	v_cvt_f32_fp8_sdwa v45, v45 src0_sel:BYTE_0
	s_waitcnt vmcnt(5)
	v_cvt_f32_fp8_sdwa v46, v46 src0_sel:BYTE_0
	;; [unrolled: 2-line block ×6, first 2 shown]
	s_waitcnt lgkmcnt(0)
	;;#ASMSTART
	v_cvt_f32_f16 v62, v62;
	;;#ASMEND
	;;#ASMSTART
	v_cvt_f32_f16 v39, v39;
	;;#ASMEND
	ds_read_u16 v63, v14 offset:24
	s_waitcnt vmcnt(0)
	v_cvt_f32_fp8_sdwa v8, v8 src0_sel:BYTE_0
	v_fma_mixlo_f16 v41, v27, v41, 0
	v_and_b32_e32 v40, 0xffff, v40
	v_fmac_f32_e32 v29, v62, v39
	s_waitcnt lgkmcnt(0)
	;;#ASMSTART
	v_cvt_f32_f16 v63, v63;
	;;#ASMEND
	;;#ASMSTART
	v_cvt_f32_f16 v40, v40;
	;;#ASMEND
	ds_read_u16 v64, v14 offset:26
	v_fma_mixlo_f16 v42, v27, v42, 0
	v_and_b32_e32 v41, 0xffff, v41
	v_fmac_f32_e32 v29, v63, v40
	v_fma_mixlo_f16 v43, v27, v43, 0
	s_waitcnt lgkmcnt(0)
	;;#ASMSTART
	v_cvt_f32_f16 v64, v64;
	;;#ASMEND
	;;#ASMSTART
	v_cvt_f32_f16 v41, v41;
	;;#ASMEND
	ds_read_u16 v65, v14 offset:28
	v_and_b32_e32 v42, 0xffff, v42
	v_fmac_f32_e32 v29, v64, v41
	v_fma_mixlo_f16 v44, v27, v44, 0
	s_waitcnt lgkmcnt(0)
	;;#ASMSTART
	v_cvt_f32_f16 v65, v65;
	;;#ASMEND
	;;#ASMSTART
	v_cvt_f32_f16 v42, v42;
	;;#ASMEND
	ds_read_u16 v66, v14 offset:30
	v_and_b32_e32 v43, 0xffff, v43
	v_fmac_f32_e32 v29, v65, v42
	v_fma_mixlo_f16 v45, v27, v45, 0
	v_fma_mixlo_f16 v46, v27, v46, 0
	;; [unrolled: 1-line block ×6, first 2 shown]
	s_waitcnt lgkmcnt(0)
	;;#ASMSTART
	v_cvt_f32_f16 v66, v66;
	;;#ASMEND
	;;#ASMSTART
	v_cvt_f32_f16 v43, v43;
	;;#ASMEND
	ds_read_u16 v67, v14 offset:32
	v_fma_mixlo_f16 v8, v27, v8, 0
	v_and_b32_e32 v27, 0xffff, v44
	v_fmac_f32_e32 v29, v66, v43
	v_and_b32_e32 v44, 0xffff, v45
	v_and_b32_e32 v45, 0xffff, v46
	s_waitcnt lgkmcnt(0)
	;;#ASMSTART
	v_cvt_f32_f16 v46, v67;
	;;#ASMEND
	;;#ASMSTART
	v_cvt_f32_f16 v27, v27;
	;;#ASMEND
	ds_read_u16 v67, v14 offset:34
	v_fmac_f32_e32 v29, v46, v27
	s_waitcnt lgkmcnt(0)
	;;#ASMSTART
	v_cvt_f32_f16 v67, v67;
	;;#ASMEND
	;;#ASMSTART
	v_cvt_f32_f16 v44, v44;
	;;#ASMEND
	ds_read_u16 v68, v14 offset:36
	v_fmac_f32_e32 v29, v67, v44
	;; [unrolled: 9-line block ×3, first 2 shown]
	v_and_b32_e32 v47, 0xffff, v47
	s_waitcnt lgkmcnt(0)
	;;#ASMSTART
	v_cvt_f32_f16 v30, v30;
	;;#ASMEND
	;;#ASMSTART
	v_cvt_f32_f16 v31, v47;
	;;#ASMEND
	ds_read_u16 v32, v14 offset:40
	v_fmac_f32_e32 v29, v30, v31
	v_and_b32_e32 v48, 0xffff, v48
	s_waitcnt lgkmcnt(0)
	;;#ASMSTART
	v_cvt_f32_f16 v32, v32;
	;;#ASMEND
	;;#ASMSTART
	v_cvt_f32_f16 v33, v48;
	;;#ASMEND
	ds_read_u16 v34, v14 offset:42
	v_fmac_f32_e32 v29, v32, v33
	v_and_b32_e32 v51, 0xffff, v51
	s_waitcnt lgkmcnt(0)
	;;#ASMSTART
	v_cvt_f32_f16 v34, v34;
	;;#ASMEND
	;;#ASMSTART
	v_cvt_f32_f16 v35, v51;
	;;#ASMEND
	v_and_b32_e32 v52, 0xffff, v52
	v_fmac_f32_e32 v29, v34, v35
	v_and_b32_e32 v8, 0xffff, v8
	ds_read_u16 v36, v14 offset:44
	s_waitcnt lgkmcnt(0)
	;;#ASMSTART
	v_cvt_f32_f16 v9, v36;
	;;#ASMEND
	;;#ASMSTART
	v_cvt_f32_f16 v27, v52;
	;;#ASMEND
	v_lshlrev_b32_e32 v50, 2, v50
	v_fmac_f32_e32 v29, v9, v27
	ds_read_u16 v28, v14 offset:46
	s_waitcnt lgkmcnt(0)
	;;#ASMSTART
	v_cvt_f32_f16 v9, v28;
	;;#ASMEND
	;;#ASMSTART
	v_cvt_f32_f16 v8, v8;
	;;#ASMEND
	v_cmp_lt_i32_e64 s[6:7], v24, v22
	v_fmac_f32_e32 v29, v9, v8
	ds_bpermute_b32 v8, v50, v29
	v_cndmask_b32_e64 v9, v21, v24, s[6:7]
	v_lshlrev_b32_e32 v9, 2, v9
	v_cmp_lt_i32_e64 s[6:7], v25, v22
	s_waitcnt lgkmcnt(0)
	v_add_f32_e32 v8, v29, v8
	ds_bpermute_b32 v9, v9, v8
	v_cndmask_b32_e64 v27, v21, v25, s[6:7]
	s_waitcnt lgkmcnt(0)
	v_add_f32_e32 v8, v8, v9
	v_lshlrev_b32_e32 v9, 2, v27
	ds_bpermute_b32 v9, v9, v8
	s_and_saveexec_b64 s[40:41], vcc
	s_cbranch_execz .LBB225_11
; %bb.17:                               ;   in Loop: Header=BB225_13 Depth=1
	v_add_u32_e32 v27, v19, v17
	v_cvt_f32_i32_e32 v27, v27
	s_waitcnt lgkmcnt(0)
	v_add_f32_e32 v8, v8, v9
	v_add_u32_e32 v28, v12, v17
	v_cmp_gt_i32_e64 s[6:7], s33, v28
	v_mul_f32_e32 v9, s44, v27
	v_cndmask_b32_e64 v9, 0, v9, s[2:3]
	v_fmac_f32_e32 v9, s37, v8
	v_cndmask_b32_e64 v8, 0, v9, s[6:7]
	ds_write_b32 v18, v8
	v_max_f32_e32 v8, v15, v15
	v_max_f32_e32 v8, v8, v9
	v_cndmask_b32_e64 v15, v15, v8, s[6:7]
	s_branch .LBB225_11
.LBB225_18:
	s_or_b64 exec, exec, s[38:39]
.LBB225_19:
	s_or_b64 exec, exec, s[18:19]
	v_mbcnt_hi_u32_b32 v2, -1, v11
	v_and_b32_e32 v3, 64, v2
	v_add_u32_e32 v3, 64, v3
	v_xor_b32_e32 v4, 32, v2
	v_cmp_lt_i32_e32 vcc, v4, v3
	v_xor_b32_e32 v7, 16, v2
	v_max_f32_e32 v6, v15, v15
	v_cndmask_b32_e32 v4, v2, v4, vcc
	v_lshlrev_b32_e32 v5, 2, v4
	ds_bpermute_b32 v4, v5, v15
	v_cmp_lt_i32_e32 vcc, v7, v3
	v_xor_b32_e32 v8, 8, v2
	v_and_b32_e32 v20, 63, v0
	s_waitcnt lgkmcnt(0)
	v_max_f32_e32 v4, v4, v4
	v_max_f32_e32 v4, v6, v4
	v_cndmask_b32_e32 v6, v2, v7, vcc
	v_lshlrev_b32_e32 v7, 2, v6
	ds_bpermute_b32 v6, v7, v4
	v_cmp_lt_i32_e32 vcc, v8, v3
	s_waitcnt lgkmcnt(0)
	v_max_f32_e32 v6, v6, v6
	v_max_f32_e32 v6, v4, v6
	v_cndmask_b32_e32 v4, v2, v8, vcc
	v_lshlrev_b32_e32 v9, 2, v4
	ds_bpermute_b32 v8, v9, v6
	v_cmp_eq_u32_e32 vcc, 0, v20
	v_lshlrev_b32_e32 v4, 2, v1
	s_and_saveexec_b64 s[2:3], vcc
	s_cbranch_execz .LBB225_21
; %bb.20:
	s_waitcnt lgkmcnt(0)
	v_max_f32_e32 v8, v8, v8
	v_max_f32_e32 v6, v6, v6
	;; [unrolled: 1-line block ×3, first 2 shown]
	ds_write_b32 v4, v6 offset:384
.LBB225_21:
	s_or_b64 exec, exec, s[2:3]
	v_cmp_gt_u32_e64 s[2:3], 2, v20
	v_mov_b32_e32 v11, 0xff7fffff
	v_lshlrev_b32_e32 v6, 2, v20
	s_waitcnt lgkmcnt(0)
	s_barrier
	s_and_saveexec_b64 s[6:7], s[2:3]
	s_cbranch_execz .LBB225_23
; %bb.22:
	ds_read_b32 v11, v6 offset:384
.LBB225_23:
	s_or_b64 exec, exec, s[6:7]
	v_xor_b32_e32 v8, 1, v2
	v_cmp_lt_i32_e64 s[6:7], v8, v3
	v_lshlrev_b32_e32 v14, 2, v2
	s_nop 0
	v_cndmask_b32_e64 v8, v2, v8, s[6:7]
	v_lshlrev_b32_e32 v8, 2, v8
	s_waitcnt lgkmcnt(0)
	ds_bpermute_b32 v12, v8, v11
	v_max_f32_e32 v11, v11, v11
	s_lshl_b32 s6, s20, 3
	s_min_i32 s37, s6, s33
	v_cmp_gt_i32_e64 s[6:7], s37, v0
	s_waitcnt lgkmcnt(0)
	v_max_f32_e32 v12, v12, v12
	v_max_f32_e32 v12, v11, v12
	v_and_b32_e32 v11, 0x100, v14
	ds_bpermute_b32 v14, v11, v12
	v_mov_b32_e32 v12, 0
	s_and_saveexec_b64 s[12:13], s[6:7]
	s_cbranch_execz .LBB225_27
; %bb.24:
	v_mov_b32_e32 v12, 0x190
	v_lshl_add_u32 v15, v0, 2, v12
	s_mov_b64 s[18:19], 0
	v_mov_b32_e32 v12, 0
	v_mov_b32_e32 v16, v0
.LBB225_25:                             ; =>This Inner Loop Header: Depth=1
	ds_read_b32 v17, v15
	v_add_u32_e32 v16, 0x80, v16
	v_cmp_le_i32_e64 s[8:9], s37, v16
	s_or_b64 s[18:19], s[8:9], s[18:19]
	s_waitcnt lgkmcnt(0)
	v_sub_f32_e32 v17, v17, v14
	v_mul_f32_e32 v17, 0x3fb8aa3b, v17
	v_exp_f32_e32 v17, v17
	ds_write_b32 v15, v17
	v_add_f32_e32 v12, v12, v17
	v_add_u32_e32 v15, 0x200, v15
	s_andn2_b64 exec, exec, s[18:19]
	s_cbranch_execnz .LBB225_25
; %bb.26:
	s_or_b64 exec, exec, s[18:19]
.LBB225_27:
	s_or_b64 exec, exec, s[12:13]
	ds_bpermute_b32 v5, v5, v12
	s_waitcnt lgkmcnt(0)
	v_add_f32_e32 v5, v12, v5
	ds_bpermute_b32 v7, v7, v5
	s_waitcnt lgkmcnt(0)
	v_add_f32_e32 v5, v5, v7
	ds_bpermute_b32 v7, v9, v5
	v_xor_b32_e32 v9, 4, v2
	v_cmp_lt_i32_e64 s[8:9], v9, v3
	s_waitcnt lgkmcnt(0)
	v_add_f32_e32 v5, v5, v7
	v_cndmask_b32_e64 v9, v2, v9, s[8:9]
	v_lshlrev_b32_e32 v9, 2, v9
	ds_bpermute_b32 v7, v9, v5
	v_xor_b32_e32 v9, 2, v2
	v_cmp_lt_i32_e64 s[8:9], v9, v3
	s_waitcnt lgkmcnt(0)
	v_add_f32_e32 v3, v5, v7
	v_cndmask_b32_e64 v2, v2, v9, s[8:9]
	v_lshlrev_b32_e32 v2, 2, v2
	ds_bpermute_b32 v2, v2, v3
	s_waitcnt lgkmcnt(0)
	v_add_f32_e32 v2, v3, v2
	ds_bpermute_b32 v3, v8, v2
	s_waitcnt lgkmcnt(0)
	v_add_f32_e32 v2, v2, v3
	s_and_saveexec_b64 s[8:9], vcc
	s_cbranch_execz .LBB225_29
; %bb.28:
	ds_write_b32 v4, v2 offset:392
.LBB225_29:
	s_or_b64 exec, exec, s[8:9]
	s_waitcnt lgkmcnt(0)
	s_barrier
	s_and_saveexec_b64 s[8:9], s[2:3]
	s_cbranch_execz .LBB225_31
; %bb.30:
	ds_read_b32 v2, v6 offset:392
.LBB225_31:
	s_or_b64 exec, exec, s[8:9]
	s_waitcnt lgkmcnt(0)
	ds_bpermute_b32 v3, v8, v2
	s_waitcnt lgkmcnt(0)
	v_add_f32_e32 v2, v2, v3
	ds_bpermute_b32 v2, v11, v2
	s_and_saveexec_b64 s[2:3], s[6:7]
	s_cbranch_execz .LBB225_44
; %bb.32:
	s_waitcnt lgkmcnt(0)
	v_add_f32_e32 v2, 0x358637bd, v2
	v_div_scale_f32 v3, s[6:7], v2, v2, 1.0
	v_rcp_f32_e32 v4, v3
	v_div_scale_f32 v5, vcc, 1.0, v2, 1.0
	s_movk_i32 s6, 0x7f
	v_fma_f32 v6, -v3, v4, 1.0
	v_fmac_f32_e32 v4, v6, v4
	v_mul_f32_e32 v6, v5, v4
	v_fma_f32 v7, -v3, v6, v5
	v_fmac_f32_e32 v6, v7, v4
	v_fma_f32 v3, -v3, v6, v5
	v_div_fmas_f32 v3, v3, v4, v6
	v_xad_u32 v4, v0, -1, s37
	v_div_fixup_f32 v2, v3, v2, 1.0
	v_cmp_lt_u32_e32 vcc, s6, v4
	s_mov_b64 s[8:9], -1
	v_mov_b32_e32 v3, v0
	s_and_saveexec_b64 s[6:7], vcc
	s_cbranch_execz .LBB225_41
; %bb.33:
	v_lshrrev_b32_e32 v4, 7, v4
	v_add_u32_e32 v6, -1, v4
	v_lshrrev_b32_e32 v5, 1, v6
	v_mov_b32_e32 v3, v2
	v_add_u32_e32 v5, 1, v5
	v_cmp_lt_u32_e32 vcc, 13, v6
	v_mov_b32_e32 v8, 0
	s_and_saveexec_b64 s[8:9], vcc
	s_cbranch_execz .LBB225_37
; %bb.34:
	v_mov_b32_e32 v7, 0x190
	v_and_b32_e32 v6, -8, v5
	v_lshl_add_u32 v7, v0, 2, v7
	s_mov_b32 s18, 0
	s_mov_b64 s[12:13], 0
.LBB225_35:                             ; =>This Inner Loop Header: Depth=1
	ds_read2st64_b32 v[8:9], v7 offset1:2
	ds_read2st64_b32 v[14:15], v7 offset0:4 offset1:6
	ds_read2st64_b32 v[16:17], v7 offset0:8 offset1:10
	;; [unrolled: 1-line block ×3, first 2 shown]
	v_add_u32_e32 v6, -8, v6
	s_waitcnt lgkmcnt(3)
	v_pk_mul_f32 v[8:9], v[2:3], v[8:9]
	s_waitcnt lgkmcnt(2)
	v_pk_mul_f32 v[14:15], v[2:3], v[14:15]
	ds_write2st64_b32 v7, v8, v9 offset1:2
	ds_write2st64_b32 v7, v14, v15 offset0:4 offset1:6
	ds_read2st64_b32 v[14:15], v7 offset0:16 offset1:18
	s_waitcnt lgkmcnt(4)
	v_pk_mul_f32 v[8:9], v[2:3], v[16:17]
	ds_write2st64_b32 v7, v8, v9 offset0:8 offset1:10
	s_waitcnt lgkmcnt(4)
	v_pk_mul_f32 v[8:9], v[2:3], v[18:19]
	ds_write2st64_b32 v7, v8, v9 offset0:12 offset1:14
	ds_read2st64_b32 v[8:9], v7 offset0:20 offset1:22
	s_waitcnt lgkmcnt(3)
	v_pk_mul_f32 v[14:15], v[2:3], v[14:15]
	ds_read2st64_b32 v[16:17], v7 offset0:24 offset1:26
	ds_write2st64_b32 v7, v14, v15 offset0:16 offset1:18
	ds_read2st64_b32 v[14:15], v7 offset0:28 offset1:30
	s_waitcnt lgkmcnt(3)
	v_pk_mul_f32 v[8:9], v[2:3], v[8:9]
	ds_write2st64_b32 v7, v8, v9 offset0:20 offset1:22
	s_waitcnt lgkmcnt(3)
	v_pk_mul_f32 v[8:9], v[2:3], v[16:17]
	ds_write2st64_b32 v7, v8, v9 offset0:24 offset1:26
	s_waitcnt lgkmcnt(2)
	v_pk_mul_f32 v[8:9], v[2:3], v[14:15]
	s_add_i32 s18, s18, 16
	v_cmp_eq_u32_e32 vcc, 0, v6
	ds_write2st64_b32 v7, v8, v9 offset0:28 offset1:30
	v_add_u32_e32 v7, 0x2000, v7
	s_or_b64 s[12:13], vcc, s[12:13]
	v_mov_b32_e32 v8, s18
	s_andn2_b64 exec, exec, s[12:13]
	s_cbranch_execnz .LBB225_35
; %bb.36:
	s_or_b64 exec, exec, s[12:13]
.LBB225_37:
	s_or_b64 exec, exec, s[8:9]
	v_and_b32_e32 v5, 7, v5
	v_cmp_ne_u32_e32 vcc, 0, v5
	s_and_saveexec_b64 s[8:9], vcc
	s_cbranch_execz .LBB225_40
; %bb.38:
	v_lshlrev_b32_e32 v6, 9, v8
	v_lshlrev_b32_e32 v7, 2, v0
	s_movk_i32 s12, 0x190
	v_add3_u32 v6, v6, v7, s12
	s_mov_b64 s[12:13], 0
.LBB225_39:                             ; =>This Inner Loop Header: Depth=1
	ds_read2st64_b32 v[8:9], v6 offset1:2
	v_add_u32_e32 v5, -1, v5
	v_cmp_eq_u32_e32 vcc, 0, v5
	s_or_b64 s[12:13], vcc, s[12:13]
	s_waitcnt lgkmcnt(0)
	v_pk_mul_f32 v[8:9], v[2:3], v[8:9]
	ds_write2st64_b32 v6, v8, v9 offset1:2
	v_add_u32_e32 v6, 0x400, v6
	s_andn2_b64 exec, exec, s[12:13]
	s_cbranch_execnz .LBB225_39
.LBB225_40:
	s_or_b64 exec, exec, s[8:9]
	v_add_u32_e32 v4, 1, v4
	v_and_b32_e32 v5, 0x3fffffe, v4
	v_cmp_ne_u32_e32 vcc, v4, v5
	v_lshl_add_u32 v3, v5, 7, v0
	s_orn2_b64 s[8:9], vcc, exec
.LBB225_41:
	s_or_b64 exec, exec, s[6:7]
	s_and_b64 exec, exec, s[8:9]
	s_cbranch_execz .LBB225_44
; %bb.42:
	v_mov_b32_e32 v4, 0x190
	v_lshl_add_u32 v4, v3, 2, v4
	s_mov_b64 s[6:7], 0
.LBB225_43:                             ; =>This Inner Loop Header: Depth=1
	ds_read_b32 v5, v4
	v_add_u32_e32 v3, 0x80, v3
	v_cmp_le_i32_e32 vcc, s37, v3
	s_or_b64 s[6:7], vcc, s[6:7]
	s_waitcnt lgkmcnt(0)
	v_mul_f32_e32 v5, v2, v5
	ds_write_b32 v4, v5
	v_add_u32_e32 v4, 0x200, v4
	s_andn2_b64 exec, exec, s[6:7]
	s_cbranch_execnz .LBB225_43
.LBB225_44:
	s_or_b64 exec, exec, s[2:3]
	v_mov_b32_e32 v21, 0
	v_mov_b32_e32 v3, 0
	s_waitcnt lgkmcnt(0)
	v_mov_b32_e32 v2, 0
	s_barrier
	s_and_saveexec_b64 s[2:3], s[0:1]
	s_cbranch_execz .LBB225_248
; %bb.45:
	s_sub_i32 s18, s16, s21
	s_ashr_i32 s1, s43, 31
	s_add_u32 s0, s10, s43
	s_addc_u32 s1, s11, s1
	s_abs_i32 s19, s22
	v_cvt_f32_u32_e32 v2, s19
	v_lshlrev_b32_e32 v4, 3, v20
	v_mov_b32_e32 v5, 0
	s_sub_i32 s6, 0, s19
	v_rcp_iflag_f32_e32 v2, v2
	s_add_i32 s37, s20, -1
	v_lshl_add_u64 v[6:7], s[0:1], 0, v[4:5]
	s_lshl_b64 s[0:1], s[34:35], 2
	v_mul_f32_e32 v2, 0x4f7ffffe, v2
	v_cvt_u32_f32_e32 v2, v2
	s_add_u32 s0, s30, s0
	v_and_b32_e32 v4, 60, v10
	s_addc_u32 s1, s31, s1
	v_mul_lo_u32 v3, s6, v2
	v_mul_hi_u32 v3, v2, v3
	v_add_u32_e32 v22, v2, v3
	v_mov_b32_e32 v2, 0x190
	s_mov_b32 s21, s17
	s_mov_b32 s22, s33
	v_lshl_add_u64 v[8:9], s[0:1], 0, v[4:5]
	v_lshl_add_u32 v23, v1, 5, v2
	s_mov_b64 s[6:7], 0
	s_movk_i32 s30, 0x7f
	s_movk_i32 s31, 0x80
	s_mov_b32 s34, 0x8000
	s_movk_i32 s35, 0x380
	s_mov_b32 s38, 0x3020706
	s_mov_b32 s39, 0x1000504
	;; [unrolled: 1-line block ×3, first 2 shown]
	v_mov_b32_e32 v24, 0x1c00
	v_mov_b32_e32 v2, 0
	;; [unrolled: 1-line block ×4, first 2 shown]
	s_branch .LBB225_48
.LBB225_46:                             ;   in Loop: Header=BB225_48 Depth=1
	s_or_b64 exec, exec, s[0:1]
	;;#ASMSTART
	v_pk_mul_f16 v11, v35, v11;

	;;#ASMEND
	;;#ASMSTART
	v_pk_mul_f16 v4, v34, v4;

	;;#ASMEND
	;; [unrolled: 4-line block ×4, first 2 shown]
	v_add_f32_e32 v14, v18, v19
	;;#ASMSTART
	v_pk_add_f16 v4, v11, v4;

	;;#ASMEND
	v_add_f32_e32 v3, v3, v14
	;;#ASMSTART
	v_pk_add_f16 v4, v4, v10;

	;;#ASMEND
	;; [unrolled: 5-line block ×3, first 2 shown]
	v_add_f32_e32 v2, v2, v14
	v_lshrrev_b32_e32 v10, 16, v4
	v_and_b32_e32 v4, 0xffff, v4
	;;#ASMSTART
	v_cvt_f32_f16 v4, v4;
	;;#ASMEND
	;;#ASMSTART
	v_cvt_f32_f16 v10, v10;
	;;#ASMEND
	s_nop 0
	v_add_f32_e32 v4, v4, v10
	v_add_f32_e32 v21, v21, v4
.LBB225_47:                             ;   in Loop: Header=BB225_48 Depth=1
	s_or_b64 exec, exec, s[8:9]
	v_add_u32_e32 v1, 2, v1
	v_cmp_le_i32_e32 vcc, s20, v1
	v_lshl_add_u64 v[8:9], v[8:9], 0, 8
	v_add_u32_e32 v13, 16, v13
	s_or_b64 s[6:7], vcc, s[6:7]
	v_add_u32_e32 v23, 64, v23
	s_andn2_b64 exec, exec, s[6:7]
	s_cbranch_execz .LBB225_247
.LBB225_48:                             ; =>This Inner Loop Header: Depth=1
	v_mul_hi_u32 v4, v13, s42
	v_mul_lo_u32 v10, v4, s29
	v_sub_u32_e32 v10, v13, v10
	v_add_u32_e32 v11, 1, v4
	v_cmp_le_u32_e32 vcc, s29, v10
	s_nop 1
	v_cndmask_b32_e32 v4, v4, v11, vcc
	v_subrev_u32_e32 v11, s29, v10
	v_cndmask_b32_e32 v10, v10, v11, vcc
	v_add_u32_e32 v11, 1, v4
	v_cmp_le_u32_e32 vcc, s29, v10
	s_nop 1
	v_cndmask_b32_e32 v4, v4, v11, vcc
	v_xor_b32_e32 v4, s23, v4
	v_subrev_u32_e32 v4, s23, v4
	v_add_u32_e32 v10, s36, v4
	v_sub_u32_e32 v12, 0, v10
	v_ashrrev_i32_e32 v11, 31, v10
	v_max_i32_e32 v10, v10, v12
	v_mul_hi_u32 v12, v10, v22
	v_mul_lo_u32 v12, v12, s19
	v_sub_u32_e32 v10, v10, v12
	v_subrev_u32_e32 v12, s19, v10
	v_cmp_le_u32_e32 vcc, s19, v10
	v_cmp_lt_i32_e64 s[0:1], s18, v4
	s_nop 0
	v_cndmask_b32_e32 v10, v10, v12, vcc
	v_subrev_u32_e32 v12, s19, v10
	v_cmp_le_u32_e32 vcc, s19, v10
	s_nop 1
	v_cndmask_b32_e32 v10, v10, v12, vcc
	v_xor_b32_e32 v10, v10, v11
	v_sub_u32_e32 v10, v10, v11
	v_cmp_eq_u32_e32 vcc, 0, v10
	s_or_b64 s[0:1], vcc, s[0:1]
	s_and_saveexec_b64 s[8:9], s[0:1]
	s_cbranch_execz .LBB225_47
; %bb.49:                               ;   in Loop: Header=BB225_48 Depth=1
	ds_read2_b64 v[14:17], v23 offset1:1
	ds_read2_b64 v[26:29], v23 offset0:2 offset1:3
                                        ; implicit-def: $sgpr16
	s_waitcnt lgkmcnt(1)
	;;#ASMSTART
	v_cvt_f16_f32 v32, v14;

	;;#ASMEND
	;;#ASMSTART
	v_cvt_f16_f32 v33, v15;

	;;#ASMEND
	;; [unrolled: 4-line block ×4, first 2 shown]
	s_waitcnt lgkmcnt(0)
	;;#ASMSTART
	v_cvt_f16_f32 v37, v26;

	;;#ASMEND
	;;#ASMSTART
	v_cvt_f16_f32 v38, v27;

	;;#ASMEND
	;; [unrolled: 4-line block ×4, first 2 shown]
	global_load_dword v4, v[8:9], off
	s_waitcnt vmcnt(0)
	v_mad_i64_i32 v[10:11], s[0:1], v4, s21, v[6:7]
	global_load_dwordx2 v[14:15], v[10:11], off
	global_load_dword v12, v5, s[14:15]
	s_mov_b64 s[0:1], 0
	s_waitcnt vmcnt(1)
	v_cmp_gt_i16_sdwa s[10:11], v14, s30 src0_sel:BYTE_0 src1_sel:DWORD
	s_and_saveexec_b64 s[12:13], s[10:11]
	s_xor_b64 s[10:11], exec, s[12:13]
	s_cbranch_execnz .LBB225_151
; %bb.50:                               ;   in Loop: Header=BB225_48 Depth=1
	s_or_saveexec_b64 s[10:11], s[10:11]
	v_mov_b32_e32 v16, s16
	s_xor_b64 exec, exec, s[10:11]
	s_cbranch_execnz .LBB225_154
.LBB225_51:                             ;   in Loop: Header=BB225_48 Depth=1
	s_or_b64 exec, exec, s[10:11]
	s_and_saveexec_b64 s[10:11], s[0:1]
	s_cbranch_execz .LBB225_53
.LBB225_52:                             ;   in Loop: Header=BB225_48 Depth=1
	v_and_b32_e32 v4, 7, v14
	v_ffbh_u32_e32 v4, v4
	v_bfe_u32 v16, v14, 3, 4
	v_min_u32_e32 v4, 32, v4
	v_subrev_u32_e32 v17, 28, v4
	v_sub_u32_e32 v4, 29, v4
	v_cmp_eq_u32_e32 vcc, 0, v16
	s_nop 1
	v_cndmask_b32_e32 v4, v16, v4, vcc
	v_cndmask_b32_e32 v16, 0, v17, vcc
	v_lshlrev_b64 v[16:17], v16, v[14:15]
	v_lshlrev_b32_e32 v17, 8, v14
	v_lshl_add_u32 v4, v4, 10, v24
	v_lshlrev_b32_e32 v16, 7, v16
	v_and_or_b32 v4, v17, s34, v4
	v_and_or_b32 v4, v16, s35, v4
	v_cvt_f32_f16_e32 v16, v4
.LBB225_53:                             ;   in Loop: Header=BB225_48 Depth=1
	s_or_b64 exec, exec, s[10:11]
	v_lshrrev_b16_e32 v4, 8, v14
	v_cmp_lt_i16_e32 vcc, s30, v4
	s_mov_b64 s[0:1], 0
                                        ; implicit-def: $sgpr16
	s_and_saveexec_b64 s[10:11], vcc
	s_xor_b64 s[10:11], exec, s[10:11]
	s_cbranch_execnz .LBB225_155
; %bb.54:                               ;   in Loop: Header=BB225_48 Depth=1
	s_or_saveexec_b64 s[10:11], s[10:11]
	v_mov_b32_e32 v18, s16
	s_xor_b64 exec, exec, s[10:11]
	s_cbranch_execnz .LBB225_158
.LBB225_55:                             ;   in Loop: Header=BB225_48 Depth=1
	s_or_b64 exec, exec, s[10:11]
	s_and_saveexec_b64 s[10:11], s[0:1]
	s_cbranch_execz .LBB225_57
.LBB225_56:                             ;   in Loop: Header=BB225_48 Depth=1
	v_and_b32_e32 v17, 7, v4
	v_ffbh_u32_e32 v18, v17
	v_min_u32_e32 v26, 32, v18
	v_subrev_u32_e32 v18, 28, v26
	v_bfe_u32 v25, v4, 3, 4
	v_lshlrev_b64 v[18:19], v18, v[4:5]
	v_sub_u32_e32 v19, 29, v26
	v_cmp_eq_u32_e32 vcc, 0, v25
	v_and_b32_e32 v18, 7, v18
	v_lshlrev_b32_e32 v4, 8, v4
	v_cndmask_b32_e32 v19, v25, v19, vcc
	v_cndmask_b32_e32 v17, v17, v18, vcc
	v_lshl_add_u32 v18, v19, 10, v24
	v_and_or_b32 v4, v4, s34, v18
	v_lshl_or_b32 v4, v17, 7, v4
	v_cvt_f32_f16_e32 v18, v4
.LBB225_57:                             ;   in Loop: Header=BB225_48 Depth=1
	s_or_b64 exec, exec, s[10:11]
	v_lshrrev_b32_e32 v4, 16, v14
	v_cmp_gt_i16_sdwa s[10:11], v4, s30 src0_sel:BYTE_0 src1_sel:DWORD
	s_mov_b64 s[0:1], 0
                                        ; implicit-def: $sgpr16
	s_and_saveexec_b64 s[12:13], s[10:11]
	s_xor_b64 s[10:11], exec, s[12:13]
	s_cbranch_execnz .LBB225_159
; %bb.58:                               ;   in Loop: Header=BB225_48 Depth=1
	s_or_saveexec_b64 s[10:11], s[10:11]
	v_mov_b32_e32 v17, s16
	s_xor_b64 exec, exec, s[10:11]
	s_cbranch_execnz .LBB225_162
.LBB225_59:                             ;   in Loop: Header=BB225_48 Depth=1
	s_or_b64 exec, exec, s[10:11]
	s_and_saveexec_b64 s[10:11], s[0:1]
	s_cbranch_execz .LBB225_61
.LBB225_60:                             ;   in Loop: Header=BB225_48 Depth=1
	v_bfe_u32 v17, v14, 16, 3
	v_ffbh_u32_e32 v25, v17
	v_bfe_u32 v19, v14, 19, 4
	v_min_u32_e32 v25, 32, v25
	v_subrev_u32_e32 v26, 28, v25
	v_sub_u32_e32 v25, 29, v25
	v_cmp_eq_u32_e32 vcc, 0, v19
	v_lshlrev_b64 v[26:27], v26, v[4:5]
	v_and_b32_e32 v26, 7, v26
	v_cndmask_b32_e32 v19, v19, v25, vcc
	v_lshlrev_b32_e32 v4, 8, v4
	v_lshl_add_u32 v19, v19, 10, v24
	v_cndmask_b32_e32 v17, v17, v26, vcc
	v_and_or_b32 v4, v4, s34, v19
	v_lshl_or_b32 v4, v17, 7, v4
	v_cvt_f32_f16_e32 v17, v4
.LBB225_61:                             ;   in Loop: Header=BB225_48 Depth=1
	s_or_b64 exec, exec, s[10:11]
	v_lshrrev_b32_e32 v4, 24, v14
	v_cmp_lt_i16_e32 vcc, s30, v4
	s_mov_b64 s[0:1], 0
                                        ; implicit-def: $sgpr16
	s_and_saveexec_b64 s[10:11], vcc
	s_xor_b64 s[10:11], exec, s[10:11]
	s_cbranch_execnz .LBB225_163
; %bb.62:                               ;   in Loop: Header=BB225_48 Depth=1
	s_or_saveexec_b64 s[10:11], s[10:11]
	v_mov_b32_e32 v19, s16
	s_xor_b64 exec, exec, s[10:11]
	s_cbranch_execnz .LBB225_166
.LBB225_63:                             ;   in Loop: Header=BB225_48 Depth=1
	s_or_b64 exec, exec, s[10:11]
	s_and_saveexec_b64 s[10:11], s[0:1]
	s_cbranch_execz .LBB225_65
.LBB225_64:                             ;   in Loop: Header=BB225_48 Depth=1
	v_bfe_u32 v19, v14, 24, 3
	v_ffbh_u32_e32 v25, v19
	v_bfe_u32 v14, v14, 27, 4
	v_min_u32_e32 v25, 32, v25
	v_subrev_u32_e32 v26, 28, v25
	v_sub_u32_e32 v25, 29, v25
	v_cmp_eq_u32_e32 vcc, 0, v14
	v_lshlrev_b64 v[26:27], v26, v[4:5]
	v_and_b32_e32 v26, 7, v26
	v_cndmask_b32_e32 v14, v14, v25, vcc
	v_lshlrev_b32_e32 v4, 8, v4
	v_lshl_add_u32 v14, v14, 10, v24
	v_cndmask_b32_e32 v19, v19, v26, vcc
	v_and_or_b32 v4, v4, s34, v14
	v_lshl_or_b32 v4, v19, 7, v4
	v_cvt_f32_f16_e32 v19, v4
.LBB225_65:                             ;   in Loop: Header=BB225_48 Depth=1
	s_or_b64 exec, exec, s[10:11]
	v_cmp_gt_i16_sdwa s[10:11], v15, s30 src0_sel:BYTE_0 src1_sel:DWORD
	s_mov_b64 s[0:1], 0
                                        ; implicit-def: $sgpr16
	s_and_saveexec_b64 s[12:13], s[10:11]
	s_xor_b64 s[10:11], exec, s[12:13]
	s_cbranch_execnz .LBB225_167
; %bb.66:                               ;   in Loop: Header=BB225_48 Depth=1
	s_or_saveexec_b64 s[10:11], s[10:11]
	v_mov_b32_e32 v14, s16
	s_xor_b64 exec, exec, s[10:11]
	s_cbranch_execnz .LBB225_170
.LBB225_67:                             ;   in Loop: Header=BB225_48 Depth=1
	s_or_b64 exec, exec, s[10:11]
	v_mov_b32_e32 v4, v15
	s_and_saveexec_b64 s[10:11], s[0:1]
	s_cbranch_execz .LBB225_69
.LBB225_68:                             ;   in Loop: Header=BB225_48 Depth=1
	v_and_b32_e32 v14, 7, v15
	v_ffbh_u32_e32 v14, v14
	v_bfe_u32 v25, v15, 3, 4
	v_min_u32_e32 v14, 32, v14
	v_subrev_u32_e32 v26, 28, v14
	v_sub_u32_e32 v14, 29, v14
	v_cmp_eq_u32_e32 vcc, 0, v25
	s_nop 1
	v_cndmask_b32_e32 v14, v25, v14, vcc
	v_cndmask_b32_e32 v25, 0, v26, vcc
	v_lshlrev_b64 v[26:27], v25, v[4:5]
	v_lshlrev_b32_e32 v25, 7, v26
	v_lshlrev_b32_e32 v26, 8, v15
	v_lshl_add_u32 v14, v14, 10, v24
	v_and_or_b32 v14, v26, s34, v14
	v_and_or_b32 v14, v25, s35, v14
	v_cvt_f32_f16_e32 v14, v14
.LBB225_69:                             ;   in Loop: Header=BB225_48 Depth=1
	s_or_b64 exec, exec, s[10:11]
	v_lshrrev_b16_e32 v4, 8, v4
	v_cmp_lt_i16_e32 vcc, s30, v4
	s_mov_b64 s[0:1], 0
                                        ; implicit-def: $sgpr16
	s_and_saveexec_b64 s[10:11], vcc
	s_xor_b64 s[10:11], exec, s[10:11]
	s_cbranch_execnz .LBB225_171
; %bb.70:                               ;   in Loop: Header=BB225_48 Depth=1
	s_or_saveexec_b64 s[10:11], s[10:11]
	v_mov_b32_e32 v25, s16
	s_xor_b64 exec, exec, s[10:11]
	s_cbranch_execnz .LBB225_174
.LBB225_71:                             ;   in Loop: Header=BB225_48 Depth=1
	s_or_b64 exec, exec, s[10:11]
	s_and_saveexec_b64 s[10:11], s[0:1]
	s_cbranch_execz .LBB225_73
.LBB225_72:                             ;   in Loop: Header=BB225_48 Depth=1
	v_and_b32_e32 v25, 7, v4
	v_ffbh_u32_e32 v26, v25
	v_min_u32_e32 v29, 32, v26
	v_subrev_u32_e32 v26, 28, v29
	v_bfe_u32 v28, v4, 3, 4
	v_lshlrev_b64 v[26:27], v26, v[4:5]
	v_sub_u32_e32 v27, 29, v29
	v_cmp_eq_u32_e32 vcc, 0, v28
	v_and_b32_e32 v26, 7, v26
	v_lshlrev_b32_e32 v4, 8, v4
	v_cndmask_b32_e32 v27, v28, v27, vcc
	v_cndmask_b32_e32 v25, v25, v26, vcc
	v_lshl_add_u32 v26, v27, 10, v24
	v_and_or_b32 v4, v4, s34, v26
	v_lshl_or_b32 v4, v25, 7, v4
	v_cvt_f32_f16_e32 v25, v4
.LBB225_73:                             ;   in Loop: Header=BB225_48 Depth=1
	s_or_b64 exec, exec, s[10:11]
	v_lshrrev_b32_e32 v4, 16, v15
	v_cmp_gt_i16_sdwa s[10:11], v4, s30 src0_sel:BYTE_0 src1_sel:DWORD
	s_mov_b64 s[0:1], 0
                                        ; implicit-def: $sgpr16
	s_and_saveexec_b64 s[12:13], s[10:11]
	s_xor_b64 s[10:11], exec, s[12:13]
	s_cbranch_execnz .LBB225_175
; %bb.74:                               ;   in Loop: Header=BB225_48 Depth=1
	s_or_saveexec_b64 s[10:11], s[10:11]
	v_mov_b32_e32 v26, s16
	s_xor_b64 exec, exec, s[10:11]
	s_cbranch_execnz .LBB225_178
.LBB225_75:                             ;   in Loop: Header=BB225_48 Depth=1
	s_or_b64 exec, exec, s[10:11]
	s_and_saveexec_b64 s[10:11], s[0:1]
	s_cbranch_execz .LBB225_77
.LBB225_76:                             ;   in Loop: Header=BB225_48 Depth=1
	v_bfe_u32 v28, v15, 16, 3
	v_ffbh_u32_e32 v26, v28
	v_min_u32_e32 v30, 32, v26
	v_subrev_u32_e32 v26, 28, v30
	v_bfe_u32 v29, v15, 19, 4
	v_lshlrev_b64 v[26:27], v26, v[4:5]
	v_sub_u32_e32 v27, 29, v30
	v_cmp_eq_u32_e32 vcc, 0, v29
	v_and_b32_e32 v26, 7, v26
	v_lshlrev_b32_e32 v4, 8, v4
	v_cndmask_b32_e32 v27, v29, v27, vcc
	v_lshl_add_u32 v27, v27, 10, v24
	v_cndmask_b32_e32 v26, v28, v26, vcc
	v_and_or_b32 v4, v4, s34, v27
	v_lshl_or_b32 v4, v26, 7, v4
	v_cvt_f32_f16_e32 v26, v4
.LBB225_77:                             ;   in Loop: Header=BB225_48 Depth=1
	s_or_b64 exec, exec, s[10:11]
	v_lshrrev_b32_e32 v4, 24, v15
	v_cmp_lt_i16_e32 vcc, s30, v4
	s_mov_b64 s[0:1], 0
                                        ; implicit-def: $sgpr16
	s_and_saveexec_b64 s[10:11], vcc
	s_xor_b64 s[10:11], exec, s[10:11]
	s_cbranch_execnz .LBB225_179
; %bb.78:                               ;   in Loop: Header=BB225_48 Depth=1
	s_or_saveexec_b64 s[10:11], s[10:11]
	v_mov_b32_e32 v27, s16
	s_xor_b64 exec, exec, s[10:11]
	s_cbranch_execnz .LBB225_182
.LBB225_79:                             ;   in Loop: Header=BB225_48 Depth=1
	s_or_b64 exec, exec, s[10:11]
	s_and_saveexec_b64 s[10:11], s[0:1]
	s_cbranch_execz .LBB225_81
.LBB225_80:                             ;   in Loop: Header=BB225_48 Depth=1
	v_bfe_u32 v27, v15, 24, 3
	v_ffbh_u32_e32 v28, v27
	v_min_u32_e32 v30, 32, v28
	v_subrev_u32_e32 v28, 28, v30
	v_bfe_u32 v15, v15, 27, 4
	v_lshlrev_b64 v[28:29], v28, v[4:5]
	v_sub_u32_e32 v29, 29, v30
	v_cmp_eq_u32_e32 vcc, 0, v15
	v_and_b32_e32 v28, 7, v28
	v_lshlrev_b32_e32 v4, 8, v4
	v_cndmask_b32_e32 v15, v15, v29, vcc
	v_lshl_add_u32 v15, v15, 10, v24
	v_cndmask_b32_e32 v27, v27, v28, vcc
	v_and_or_b32 v4, v4, s34, v15
	v_lshl_or_b32 v4, v27, 7, v4
	v_cvt_f32_f16_e32 v27, v4
.LBB225_81:                             ;   in Loop: Header=BB225_48 Depth=1
	s_or_b64 exec, exec, s[10:11]
	s_waitcnt vmcnt(0)
	v_pk_mul_f32 v[18:19], v[12:13], v[18:19] op_sel_hi:[0,1]
	v_pk_mul_f32 v[16:17], v[12:13], v[16:17] op_sel_hi:[0,1]
	v_cvt_f16_f32_e32 v4, v19
	v_cvt_f16_f32_e32 v15, v18
	;; [unrolled: 1-line block ×4, first 2 shown]
	v_fma_mixlo_f16 v14, v12, v14, 0
	v_pack_b32_f16 v15, v15, v4
	v_cmp_eq_u32_e32 vcc, s37, v1
	v_pack_b32_f16 v16, v16, v17
	v_perm_b32 v4, v16, v15, s38
	v_perm_b32 v15, v16, v15, s39
	v_fma_mixlo_f16 v16, v12, v25, 0
	v_lshlrev_b32_e32 v16, 16, v16
	v_or_b32_sdwa v14, v16, v14 dst_sel:DWORD dst_unused:UNUSED_PAD src0_sel:DWORD src1_sel:WORD_0
	v_fma_mixlo_f16 v16, v12, v26, 0
	v_fma_mixlo_f16 v12, v12, v27, 0
	v_lshlrev_b32_e32 v12, 16, v12
	v_or_b32_sdwa v12, v12, v16 dst_sel:DWORD dst_unused:UNUSED_PAD src0_sel:DWORD src1_sel:WORD_0
	v_add_u32_e32 v31, 1, v13
	v_or_b32_e32 v30, 3, v13
	v_or_b32_e32 v29, 2, v13
	;; [unrolled: 1-line block ×6, first 2 shown]
	s_and_saveexec_b64 s[10:11], vcc
	s_cbranch_execz .LBB225_83
; %bb.82:                               ;   in Loop: Header=BB225_48 Depth=1
	v_lshrrev_b32_e32 v17, 16, v15
	v_cmp_gt_i32_e64 s[0:1], s22, v31
	v_lshrrev_b32_e32 v12, 16, v12
	s_nop 0
	v_cndmask_b32_e64 v17, 0, v17, s[0:1]
	v_cmp_gt_i32_e64 s[0:1], s33, v13
	s_nop 1
	v_cndmask_b32_e64 v15, 0, v15, s[0:1]
	v_perm_b32 v15, v17, v15, s40
	v_lshrrev_b32_e32 v17, 16, v4
	v_cmp_gt_i32_e64 s[0:1], s22, v30
	s_nop 1
	v_cndmask_b32_e64 v17, 0, v17, s[0:1]
	v_cmp_gt_i32_e64 s[0:1], s33, v29
	s_nop 1
	v_cndmask_b32_e64 v4, 0, v4, s[0:1]
	v_perm_b32 v4, v17, v4, s40
	v_lshrrev_b32_e32 v17, 16, v14
	v_cmp_gt_i32_e64 s[0:1], s22, v28
	s_nop 1
	v_cndmask_b32_e64 v17, 0, v17, s[0:1]
	v_cmp_gt_i32_e64 s[0:1], s33, v27
	s_nop 1
	v_cndmask_b32_e64 v14, 0, v14, s[0:1]
	v_cmp_gt_i32_e64 s[0:1], s22, v26
	v_perm_b32 v14, v17, v14, s40
	s_nop 0
	v_cndmask_b32_e64 v12, 0, v12, s[0:1]
	v_cmp_gt_i32_e64 s[0:1], s33, v25
	s_nop 1
	v_cndmask_b32_e64 v16, 0, v16, s[0:1]
	v_perm_b32 v12, v12, v16, s40
.LBB225_83:                             ;   in Loop: Header=BB225_48 Depth=1
	s_or_b64 exec, exec, s[10:11]
	v_and_b32_e32 v16, 0xffff, v32
	v_lshl_or_b32 v35, v33, 16, v16
	v_and_b32_e32 v16, 0xffff, v34
	v_lshl_or_b32 v34, v36, 16, v16
	;; [unrolled: 2-line block ×3, first 2 shown]
	v_and_b32_e32 v16, 0xffff, v39
	;;#ASMSTART
	v_pk_mul_f16 v15, v35, v15;

	;;#ASMEND
	;;#ASMSTART
	v_pk_mul_f16 v4, v34, v4;

	;;#ASMEND
	v_lshl_or_b32 v32, v40, 16, v16
	;;#ASMSTART
	v_pk_mul_f16 v14, v33, v14;

	;;#ASMEND
	;;#ASMSTART
	v_pk_mul_f16 v12, v32, v12;

	;;#ASMEND
	;;#ASMSTART
	v_pk_add_f16 v4, v15, v4;

	;;#ASMEND
	s_mov_b64 s[0:1], 0
	;;#ASMSTART
	v_pk_add_f16 v4, v4, v14;

	;;#ASMEND
                                        ; implicit-def: $sgpr16
	s_nop 0
	;;#ASMSTART
	v_pk_add_f16 v4, v4, v12;

	;;#ASMEND
	s_nop 0
	v_lshrrev_b32_e32 v12, 16, v4
	v_and_b32_e32 v4, 0xffff, v4
	;;#ASMSTART
	v_cvt_f32_f16 v36, v4;
	;;#ASMEND
	;;#ASMSTART
	v_cvt_f32_f16 v37, v12;
	;;#ASMEND
	global_load_dwordx2 v[14:15], v[10:11], off offset:512
	global_load_dword v12, v5, s[14:15]
	s_waitcnt vmcnt(1)
	v_cmp_gt_i16_sdwa s[10:11], v14, s30 src0_sel:BYTE_0 src1_sel:DWORD
	s_and_saveexec_b64 s[12:13], s[10:11]
	s_xor_b64 s[10:11], exec, s[12:13]
	s_cbranch_execnz .LBB225_183
; %bb.84:                               ;   in Loop: Header=BB225_48 Depth=1
	s_or_saveexec_b64 s[10:11], s[10:11]
	v_mov_b32_e32 v16, s16
	s_xor_b64 exec, exec, s[10:11]
	s_cbranch_execnz .LBB225_186
.LBB225_85:                             ;   in Loop: Header=BB225_48 Depth=1
	s_or_b64 exec, exec, s[10:11]
	s_and_saveexec_b64 s[10:11], s[0:1]
	s_cbranch_execz .LBB225_87
.LBB225_86:                             ;   in Loop: Header=BB225_48 Depth=1
	v_and_b32_e32 v4, 7, v14
	v_ffbh_u32_e32 v4, v4
	v_bfe_u32 v16, v14, 3, 4
	v_min_u32_e32 v4, 32, v4
	v_subrev_u32_e32 v17, 28, v4
	v_sub_u32_e32 v4, 29, v4
	v_cmp_eq_u32_e64 s[0:1], 0, v16
	s_nop 1
	v_cndmask_b32_e64 v4, v16, v4, s[0:1]
	v_cndmask_b32_e64 v16, 0, v17, s[0:1]
	v_lshlrev_b64 v[16:17], v16, v[14:15]
	v_lshlrev_b32_e32 v17, 8, v14
	v_lshl_add_u32 v4, v4, 10, v24
	v_lshlrev_b32_e32 v16, 7, v16
	v_and_or_b32 v4, v17, s34, v4
	v_and_or_b32 v4, v16, s35, v4
	v_cvt_f32_f16_e32 v16, v4
.LBB225_87:                             ;   in Loop: Header=BB225_48 Depth=1
	s_or_b64 exec, exec, s[10:11]
	v_lshrrev_b16_e32 v4, 8, v14
	v_cmp_lt_i16_e64 s[0:1], s30, v4
	s_mov_b64 s[10:11], 0
                                        ; implicit-def: $sgpr41
	s_and_saveexec_b64 s[12:13], s[0:1]
	s_xor_b64 s[12:13], exec, s[12:13]
	s_cbranch_execnz .LBB225_187
; %bb.88:                               ;   in Loop: Header=BB225_48 Depth=1
	s_or_saveexec_b64 s[12:13], s[12:13]
	v_mov_b32_e32 v18, s41
	s_xor_b64 exec, exec, s[12:13]
	s_cbranch_execnz .LBB225_190
.LBB225_89:                             ;   in Loop: Header=BB225_48 Depth=1
	s_or_b64 exec, exec, s[12:13]
	s_and_saveexec_b64 s[12:13], s[10:11]
	s_cbranch_execz .LBB225_91
.LBB225_90:                             ;   in Loop: Header=BB225_48 Depth=1
	v_and_b32_e32 v17, 7, v4
	v_ffbh_u32_e32 v18, v17
	v_min_u32_e32 v39, 32, v18
	v_subrev_u32_e32 v18, 28, v39
	v_bfe_u32 v38, v4, 3, 4
	v_lshlrev_b64 v[18:19], v18, v[4:5]
	v_sub_u32_e32 v19, 29, v39
	v_cmp_eq_u32_e64 s[0:1], 0, v38
	v_and_b32_e32 v18, 7, v18
	v_lshlrev_b32_e32 v4, 8, v4
	v_cndmask_b32_e64 v19, v38, v19, s[0:1]
	v_cndmask_b32_e64 v17, v17, v18, s[0:1]
	v_lshl_add_u32 v18, v19, 10, v24
	v_and_or_b32 v4, v4, s34, v18
	v_lshl_or_b32 v4, v17, 7, v4
	v_cvt_f32_f16_e32 v18, v4
.LBB225_91:                             ;   in Loop: Header=BB225_48 Depth=1
	s_or_b64 exec, exec, s[12:13]
	v_lshrrev_b32_e32 v4, 16, v14
	v_cmp_gt_i16_sdwa s[10:11], v4, s30 src0_sel:BYTE_0 src1_sel:DWORD
	s_mov_b64 s[0:1], 0
                                        ; implicit-def: $sgpr16
	s_and_saveexec_b64 s[12:13], s[10:11]
	s_xor_b64 s[10:11], exec, s[12:13]
	s_cbranch_execnz .LBB225_191
; %bb.92:                               ;   in Loop: Header=BB225_48 Depth=1
	s_or_saveexec_b64 s[10:11], s[10:11]
	v_mov_b32_e32 v17, s16
	s_xor_b64 exec, exec, s[10:11]
	s_cbranch_execnz .LBB225_194
.LBB225_93:                             ;   in Loop: Header=BB225_48 Depth=1
	s_or_b64 exec, exec, s[10:11]
	s_and_saveexec_b64 s[10:11], s[0:1]
	s_cbranch_execz .LBB225_95
.LBB225_94:                             ;   in Loop: Header=BB225_48 Depth=1
	v_bfe_u32 v17, v14, 16, 3
	v_ffbh_u32_e32 v38, v17
	v_min_u32_e32 v40, 32, v38
	v_subrev_u32_e32 v38, 28, v40
	v_bfe_u32 v19, v14, 19, 4
	v_lshlrev_b64 v[38:39], v38, v[4:5]
	v_sub_u32_e32 v39, 29, v40
	v_cmp_eq_u32_e64 s[0:1], 0, v19
	v_and_b32_e32 v38, 7, v38
	v_lshlrev_b32_e32 v4, 8, v4
	v_cndmask_b32_e64 v19, v19, v39, s[0:1]
	v_lshl_add_u32 v19, v19, 10, v24
	v_cndmask_b32_e64 v17, v17, v38, s[0:1]
	v_and_or_b32 v4, v4, s34, v19
	v_lshl_or_b32 v4, v17, 7, v4
	v_cvt_f32_f16_e32 v17, v4
.LBB225_95:                             ;   in Loop: Header=BB225_48 Depth=1
	s_or_b64 exec, exec, s[10:11]
	v_lshrrev_b32_e32 v4, 24, v14
	v_cmp_lt_i16_e64 s[0:1], s30, v4
	s_mov_b64 s[10:11], 0
                                        ; implicit-def: $sgpr41
	s_and_saveexec_b64 s[12:13], s[0:1]
	s_xor_b64 s[12:13], exec, s[12:13]
	s_cbranch_execnz .LBB225_195
; %bb.96:                               ;   in Loop: Header=BB225_48 Depth=1
	s_or_saveexec_b64 s[12:13], s[12:13]
	v_mov_b32_e32 v19, s41
	s_xor_b64 exec, exec, s[12:13]
	s_cbranch_execnz .LBB225_198
.LBB225_97:                             ;   in Loop: Header=BB225_48 Depth=1
	s_or_b64 exec, exec, s[12:13]
	s_and_saveexec_b64 s[12:13], s[10:11]
	s_cbranch_execz .LBB225_99
.LBB225_98:                             ;   in Loop: Header=BB225_48 Depth=1
	v_bfe_u32 v19, v14, 24, 3
	v_ffbh_u32_e32 v38, v19
	v_min_u32_e32 v40, 32, v38
	v_subrev_u32_e32 v38, 28, v40
	v_bfe_u32 v14, v14, 27, 4
	v_lshlrev_b64 v[38:39], v38, v[4:5]
	v_sub_u32_e32 v39, 29, v40
	v_cmp_eq_u32_e64 s[0:1], 0, v14
	v_and_b32_e32 v38, 7, v38
	v_lshlrev_b32_e32 v4, 8, v4
	v_cndmask_b32_e64 v14, v14, v39, s[0:1]
	v_lshl_add_u32 v14, v14, 10, v24
	v_cndmask_b32_e64 v19, v19, v38, s[0:1]
	v_and_or_b32 v4, v4, s34, v14
	v_lshl_or_b32 v4, v19, 7, v4
	v_cvt_f32_f16_e32 v19, v4
.LBB225_99:                             ;   in Loop: Header=BB225_48 Depth=1
	s_or_b64 exec, exec, s[12:13]
	v_cmp_gt_i16_sdwa s[10:11], v15, s30 src0_sel:BYTE_0 src1_sel:DWORD
	s_mov_b64 s[0:1], 0
                                        ; implicit-def: $sgpr16
	s_and_saveexec_b64 s[12:13], s[10:11]
	s_xor_b64 s[10:11], exec, s[12:13]
	s_cbranch_execnz .LBB225_199
; %bb.100:                              ;   in Loop: Header=BB225_48 Depth=1
	s_or_saveexec_b64 s[10:11], s[10:11]
	v_mov_b32_e32 v14, s16
	s_xor_b64 exec, exec, s[10:11]
	s_cbranch_execnz .LBB225_202
.LBB225_101:                            ;   in Loop: Header=BB225_48 Depth=1
	s_or_b64 exec, exec, s[10:11]
	v_mov_b32_e32 v4, v15
	s_and_saveexec_b64 s[10:11], s[0:1]
	s_cbranch_execz .LBB225_103
.LBB225_102:                            ;   in Loop: Header=BB225_48 Depth=1
	v_and_b32_e32 v14, 7, v15
	v_ffbh_u32_e32 v14, v14
	v_bfe_u32 v38, v15, 3, 4
	v_min_u32_e32 v14, 32, v14
	v_subrev_u32_e32 v39, 28, v14
	v_sub_u32_e32 v14, 29, v14
	v_cmp_eq_u32_e64 s[0:1], 0, v38
	s_nop 1
	v_cndmask_b32_e64 v14, v38, v14, s[0:1]
	v_cndmask_b32_e64 v38, 0, v39, s[0:1]
	v_lshlrev_b64 v[38:39], v38, v[4:5]
	v_lshlrev_b32_e32 v39, 8, v15
	v_lshl_add_u32 v14, v14, 10, v24
	v_lshlrev_b32_e32 v38, 7, v38
	v_and_or_b32 v14, v39, s34, v14
	v_and_or_b32 v14, v38, s35, v14
	v_cvt_f32_f16_e32 v14, v14
.LBB225_103:                            ;   in Loop: Header=BB225_48 Depth=1
	s_or_b64 exec, exec, s[10:11]
	v_lshrrev_b16_e32 v4, 8, v4
	v_cmp_lt_i16_e64 s[0:1], s30, v4
	s_mov_b64 s[10:11], 0
                                        ; implicit-def: $sgpr41
	s_and_saveexec_b64 s[12:13], s[0:1]
	s_xor_b64 s[12:13], exec, s[12:13]
	s_cbranch_execnz .LBB225_203
; %bb.104:                              ;   in Loop: Header=BB225_48 Depth=1
	s_or_saveexec_b64 s[12:13], s[12:13]
	v_mov_b32_e32 v38, s41
	s_xor_b64 exec, exec, s[12:13]
	s_cbranch_execnz .LBB225_206
.LBB225_105:                            ;   in Loop: Header=BB225_48 Depth=1
	s_or_b64 exec, exec, s[12:13]
	s_and_saveexec_b64 s[12:13], s[10:11]
	s_cbranch_execz .LBB225_107
.LBB225_106:                            ;   in Loop: Header=BB225_48 Depth=1
	v_and_b32_e32 v40, 7, v4
	v_ffbh_u32_e32 v38, v40
	v_min_u32_e32 v42, 32, v38
	v_subrev_u32_e32 v38, 28, v42
	v_bfe_u32 v41, v4, 3, 4
	v_lshlrev_b64 v[38:39], v38, v[4:5]
	v_sub_u32_e32 v39, 29, v42
	v_cmp_eq_u32_e64 s[0:1], 0, v41
	v_and_b32_e32 v38, 7, v38
	v_lshlrev_b32_e32 v4, 8, v4
	v_cndmask_b32_e64 v39, v41, v39, s[0:1]
	v_lshl_add_u32 v39, v39, 10, v24
	v_cndmask_b32_e64 v38, v40, v38, s[0:1]
	v_and_or_b32 v4, v4, s34, v39
	v_lshl_or_b32 v4, v38, 7, v4
	v_cvt_f32_f16_e32 v38, v4
.LBB225_107:                            ;   in Loop: Header=BB225_48 Depth=1
	s_or_b64 exec, exec, s[12:13]
	v_lshrrev_b32_e32 v4, 16, v15
	v_cmp_gt_i16_sdwa s[10:11], v4, s30 src0_sel:BYTE_0 src1_sel:DWORD
	s_mov_b64 s[0:1], 0
                                        ; implicit-def: $sgpr16
	s_and_saveexec_b64 s[12:13], s[10:11]
	s_xor_b64 s[10:11], exec, s[12:13]
	s_cbranch_execnz .LBB225_207
; %bb.108:                              ;   in Loop: Header=BB225_48 Depth=1
	s_or_saveexec_b64 s[10:11], s[10:11]
	v_mov_b32_e32 v39, s16
	s_xor_b64 exec, exec, s[10:11]
	s_cbranch_execnz .LBB225_210
.LBB225_109:                            ;   in Loop: Header=BB225_48 Depth=1
	s_or_b64 exec, exec, s[10:11]
	s_and_saveexec_b64 s[10:11], s[0:1]
	s_cbranch_execz .LBB225_111
.LBB225_110:                            ;   in Loop: Header=BB225_48 Depth=1
	v_bfe_u32 v39, v15, 16, 3
	v_ffbh_u32_e32 v40, v39
	v_min_u32_e32 v43, 32, v40
	v_subrev_u32_e32 v40, 28, v43
	v_bfe_u32 v42, v15, 19, 4
	v_lshlrev_b64 v[40:41], v40, v[4:5]
	v_sub_u32_e32 v41, 29, v43
	v_cmp_eq_u32_e64 s[0:1], 0, v42
	v_and_b32_e32 v40, 7, v40
	v_lshlrev_b32_e32 v4, 8, v4
	v_cndmask_b32_e64 v41, v42, v41, s[0:1]
	v_cndmask_b32_e64 v39, v39, v40, s[0:1]
	v_lshl_add_u32 v40, v41, 10, v24
	v_and_or_b32 v4, v4, s34, v40
	v_lshl_or_b32 v4, v39, 7, v4
	v_cvt_f32_f16_e32 v39, v4
.LBB225_111:                            ;   in Loop: Header=BB225_48 Depth=1
	s_or_b64 exec, exec, s[10:11]
	v_lshrrev_b32_e32 v4, 24, v15
	v_cmp_lt_i16_e64 s[0:1], s30, v4
	s_mov_b64 s[10:11], 0
                                        ; implicit-def: $sgpr41
	s_and_saveexec_b64 s[12:13], s[0:1]
	s_xor_b64 s[12:13], exec, s[12:13]
	s_cbranch_execnz .LBB225_211
; %bb.112:                              ;   in Loop: Header=BB225_48 Depth=1
	s_or_saveexec_b64 s[12:13], s[12:13]
	v_mov_b32_e32 v40, s41
	s_xor_b64 exec, exec, s[12:13]
	s_cbranch_execnz .LBB225_214
.LBB225_113:                            ;   in Loop: Header=BB225_48 Depth=1
	s_or_b64 exec, exec, s[12:13]
	s_and_saveexec_b64 s[12:13], s[10:11]
	s_cbranch_execz .LBB225_115
.LBB225_114:                            ;   in Loop: Header=BB225_48 Depth=1
	v_bfe_u32 v42, v15, 24, 3
	v_ffbh_u32_e32 v40, v42
	v_min_u32_e32 v43, 32, v40
	v_subrev_u32_e32 v40, 28, v43
	v_bfe_u32 v15, v15, 27, 4
	v_lshlrev_b64 v[40:41], v40, v[4:5]
	v_sub_u32_e32 v41, 29, v43
	v_cmp_eq_u32_e64 s[0:1], 0, v15
	v_and_b32_e32 v40, 7, v40
	v_lshlrev_b32_e32 v4, 8, v4
	v_cndmask_b32_e64 v15, v15, v41, s[0:1]
	v_lshl_add_u32 v15, v15, 10, v24
	v_cndmask_b32_e64 v40, v42, v40, s[0:1]
	v_and_or_b32 v4, v4, s34, v15
	v_lshl_or_b32 v4, v40, 7, v4
	v_cvt_f32_f16_e32 v40, v4
.LBB225_115:                            ;   in Loop: Header=BB225_48 Depth=1
	s_or_b64 exec, exec, s[12:13]
	s_waitcnt vmcnt(0)
	v_pk_mul_f32 v[18:19], v[12:13], v[18:19] op_sel_hi:[0,1]
	v_pk_mul_f32 v[16:17], v[12:13], v[16:17] op_sel_hi:[0,1]
	v_cvt_f16_f32_e32 v4, v19
	v_cvt_f16_f32_e32 v15, v18
	;; [unrolled: 1-line block ×4, first 2 shown]
	v_fma_mixlo_f16 v14, v12, v14, 0
	v_pack_b32_f16 v15, v15, v4
	v_pack_b32_f16 v16, v16, v17
	v_perm_b32 v4, v16, v15, s38
	v_perm_b32 v15, v16, v15, s39
	v_fma_mixlo_f16 v16, v12, v38, 0
	v_lshlrev_b32_e32 v16, 16, v16
	v_or_b32_sdwa v14, v16, v14 dst_sel:DWORD dst_unused:UNUSED_PAD src0_sel:DWORD src1_sel:WORD_0
	v_fma_mixlo_f16 v16, v12, v39, 0
	v_fma_mixlo_f16 v12, v12, v40, 0
	v_lshlrev_b32_e32 v12, 16, v12
	v_or_b32_sdwa v12, v12, v16 dst_sel:DWORD dst_unused:UNUSED_PAD src0_sel:DWORD src1_sel:WORD_0
	s_and_saveexec_b64 s[10:11], vcc
	s_cbranch_execz .LBB225_117
; %bb.116:                              ;   in Loop: Header=BB225_48 Depth=1
	v_lshrrev_b32_e32 v17, 16, v15
	v_cmp_gt_i32_e64 s[0:1], s22, v31
	v_lshrrev_b32_e32 v12, 16, v12
	s_nop 0
	v_cndmask_b32_e64 v17, 0, v17, s[0:1]
	v_cmp_gt_i32_e64 s[0:1], s33, v13
	s_nop 1
	v_cndmask_b32_e64 v15, 0, v15, s[0:1]
	v_perm_b32 v15, v17, v15, s40
	v_lshrrev_b32_e32 v17, 16, v4
	v_cmp_gt_i32_e64 s[0:1], s22, v30
	s_nop 1
	v_cndmask_b32_e64 v17, 0, v17, s[0:1]
	v_cmp_gt_i32_e64 s[0:1], s33, v29
	s_nop 1
	v_cndmask_b32_e64 v4, 0, v4, s[0:1]
	v_perm_b32 v4, v17, v4, s40
	v_lshrrev_b32_e32 v17, 16, v14
	v_cmp_gt_i32_e64 s[0:1], s22, v28
	s_nop 1
	v_cndmask_b32_e64 v17, 0, v17, s[0:1]
	v_cmp_gt_i32_e64 s[0:1], s33, v27
	s_nop 1
	v_cndmask_b32_e64 v14, 0, v14, s[0:1]
	v_cmp_gt_i32_e64 s[0:1], s22, v26
	v_perm_b32 v14, v17, v14, s40
	s_nop 0
	v_cndmask_b32_e64 v12, 0, v12, s[0:1]
	v_cmp_gt_i32_e64 s[0:1], s33, v25
	s_nop 1
	v_cndmask_b32_e64 v16, 0, v16, s[0:1]
	v_perm_b32 v12, v12, v16, s40
.LBB225_117:                            ;   in Loop: Header=BB225_48 Depth=1
	s_or_b64 exec, exec, s[10:11]
	;;#ASMSTART
	v_pk_mul_f16 v15, v35, v15;

	;;#ASMEND
	;;#ASMSTART
	v_pk_mul_f16 v4, v34, v4;

	;;#ASMEND
	;; [unrolled: 4-line block ×4, first 2 shown]
	s_mov_b64 s[0:1], 0
	;;#ASMSTART
	v_pk_add_f16 v4, v15, v4;

	;;#ASMEND
                                        ; implicit-def: $sgpr16
	s_nop 0
	;;#ASMSTART
	v_pk_add_f16 v4, v4, v14;

	;;#ASMEND
	s_nop 0
	;;#ASMSTART
	v_pk_add_f16 v4, v4, v12;

	;;#ASMEND
	s_nop 0
	v_lshrrev_b32_e32 v12, 16, v4
	v_and_b32_e32 v4, 0xffff, v4
	;;#ASMSTART
	v_cvt_f32_f16 v18, v4;
	;;#ASMEND
	;;#ASMSTART
	v_cvt_f32_f16 v19, v12;
	;;#ASMEND
	global_load_dwordx2 v[14:15], v[10:11], off offset:1024
	global_load_dword v12, v5, s[14:15]
	s_waitcnt vmcnt(1)
	v_cmp_gt_i16_sdwa s[10:11], v14, s30 src0_sel:BYTE_0 src1_sel:DWORD
	s_and_saveexec_b64 s[12:13], s[10:11]
	s_xor_b64 s[10:11], exec, s[12:13]
	s_cbranch_execnz .LBB225_215
; %bb.118:                              ;   in Loop: Header=BB225_48 Depth=1
	s_or_saveexec_b64 s[10:11], s[10:11]
	v_mov_b32_e32 v10, s16
	s_xor_b64 exec, exec, s[10:11]
	s_cbranch_execnz .LBB225_218
.LBB225_119:                            ;   in Loop: Header=BB225_48 Depth=1
	s_or_b64 exec, exec, s[10:11]
	s_and_saveexec_b64 s[10:11], s[0:1]
	s_cbranch_execz .LBB225_121
.LBB225_120:                            ;   in Loop: Header=BB225_48 Depth=1
	v_and_b32_e32 v4, 7, v14
	v_ffbh_u32_e32 v4, v4
	v_bfe_u32 v10, v14, 3, 4
	v_min_u32_e32 v4, 32, v4
	v_subrev_u32_e32 v11, 28, v4
	v_sub_u32_e32 v4, 29, v4
	v_cmp_eq_u32_e64 s[0:1], 0, v10
	s_nop 1
	v_cndmask_b32_e64 v4, v10, v4, s[0:1]
	v_cndmask_b32_e64 v10, 0, v11, s[0:1]
	v_lshlrev_b64 v[10:11], v10, v[14:15]
	v_lshlrev_b32_e32 v11, 8, v14
	v_lshl_add_u32 v4, v4, 10, v24
	v_lshlrev_b32_e32 v10, 7, v10
	v_and_or_b32 v4, v11, s34, v4
	v_and_or_b32 v4, v10, s35, v4
	v_cvt_f32_f16_e32 v10, v4
.LBB225_121:                            ;   in Loop: Header=BB225_48 Depth=1
	s_or_b64 exec, exec, s[10:11]
	v_lshrrev_b16_e32 v4, 8, v14
	v_cmp_lt_i16_e64 s[0:1], s30, v4
	s_mov_b64 s[10:11], 0
                                        ; implicit-def: $sgpr41
	s_and_saveexec_b64 s[12:13], s[0:1]
	s_xor_b64 s[12:13], exec, s[12:13]
	s_cbranch_execnz .LBB225_219
; %bb.122:                              ;   in Loop: Header=BB225_48 Depth=1
	s_or_saveexec_b64 s[12:13], s[12:13]
	v_mov_b32_e32 v16, s41
	s_xor_b64 exec, exec, s[12:13]
	s_cbranch_execnz .LBB225_222
.LBB225_123:                            ;   in Loop: Header=BB225_48 Depth=1
	s_or_b64 exec, exec, s[12:13]
	s_and_saveexec_b64 s[12:13], s[10:11]
	s_cbranch_execz .LBB225_125
.LBB225_124:                            ;   in Loop: Header=BB225_48 Depth=1
	v_and_b32_e32 v11, 7, v4
	v_ffbh_u32_e32 v16, v11
	v_min_u32_e32 v39, 32, v16
	v_subrev_u32_e32 v16, 28, v39
	v_bfe_u32 v38, v4, 3, 4
	v_lshlrev_b64 v[16:17], v16, v[4:5]
	v_sub_u32_e32 v17, 29, v39
	v_cmp_eq_u32_e64 s[0:1], 0, v38
	v_and_b32_e32 v16, 7, v16
	v_lshlrev_b32_e32 v4, 8, v4
	v_cndmask_b32_e64 v17, v38, v17, s[0:1]
	v_cndmask_b32_e64 v11, v11, v16, s[0:1]
	v_lshl_add_u32 v16, v17, 10, v24
	v_and_or_b32 v4, v4, s34, v16
	v_lshl_or_b32 v4, v11, 7, v4
	v_cvt_f32_f16_e32 v16, v4
.LBB225_125:                            ;   in Loop: Header=BB225_48 Depth=1
	s_or_b64 exec, exec, s[12:13]
	v_lshrrev_b32_e32 v4, 16, v14
	v_cmp_gt_i16_sdwa s[10:11], v4, s30 src0_sel:BYTE_0 src1_sel:DWORD
	s_mov_b64 s[0:1], 0
                                        ; implicit-def: $sgpr16
	s_and_saveexec_b64 s[12:13], s[10:11]
	s_xor_b64 s[10:11], exec, s[12:13]
	s_cbranch_execnz .LBB225_223
; %bb.126:                              ;   in Loop: Header=BB225_48 Depth=1
	s_or_saveexec_b64 s[10:11], s[10:11]
	v_mov_b32_e32 v11, s16
	s_xor_b64 exec, exec, s[10:11]
	s_cbranch_execnz .LBB225_226
.LBB225_127:                            ;   in Loop: Header=BB225_48 Depth=1
	s_or_b64 exec, exec, s[10:11]
	s_and_saveexec_b64 s[10:11], s[0:1]
	s_cbranch_execz .LBB225_129
.LBB225_128:                            ;   in Loop: Header=BB225_48 Depth=1
	v_bfe_u32 v11, v14, 16, 3
	v_ffbh_u32_e32 v38, v11
	v_min_u32_e32 v40, 32, v38
	v_subrev_u32_e32 v38, 28, v40
	v_bfe_u32 v17, v14, 19, 4
	v_lshlrev_b64 v[38:39], v38, v[4:5]
	v_sub_u32_e32 v39, 29, v40
	v_cmp_eq_u32_e64 s[0:1], 0, v17
	v_and_b32_e32 v38, 7, v38
	v_lshlrev_b32_e32 v4, 8, v4
	v_cndmask_b32_e64 v17, v17, v39, s[0:1]
	v_lshl_add_u32 v17, v17, 10, v24
	v_cndmask_b32_e64 v11, v11, v38, s[0:1]
	v_and_or_b32 v4, v4, s34, v17
	v_lshl_or_b32 v4, v11, 7, v4
	v_cvt_f32_f16_e32 v11, v4
.LBB225_129:                            ;   in Loop: Header=BB225_48 Depth=1
	s_or_b64 exec, exec, s[10:11]
	v_lshrrev_b32_e32 v4, 24, v14
	v_cmp_lt_i16_e64 s[0:1], s30, v4
	s_mov_b64 s[10:11], 0
                                        ; implicit-def: $sgpr41
	s_and_saveexec_b64 s[12:13], s[0:1]
	s_xor_b64 s[12:13], exec, s[12:13]
	s_cbranch_execnz .LBB225_227
; %bb.130:                              ;   in Loop: Header=BB225_48 Depth=1
	s_or_saveexec_b64 s[12:13], s[12:13]
	v_mov_b32_e32 v17, s41
	s_xor_b64 exec, exec, s[12:13]
	s_cbranch_execnz .LBB225_230
.LBB225_131:                            ;   in Loop: Header=BB225_48 Depth=1
	s_or_b64 exec, exec, s[12:13]
	s_and_saveexec_b64 s[12:13], s[10:11]
	s_cbranch_execz .LBB225_133
.LBB225_132:                            ;   in Loop: Header=BB225_48 Depth=1
	v_bfe_u32 v17, v14, 24, 3
	v_ffbh_u32_e32 v38, v17
	v_min_u32_e32 v40, 32, v38
	v_subrev_u32_e32 v38, 28, v40
	v_bfe_u32 v14, v14, 27, 4
	v_lshlrev_b64 v[38:39], v38, v[4:5]
	v_sub_u32_e32 v39, 29, v40
	v_cmp_eq_u32_e64 s[0:1], 0, v14
	v_and_b32_e32 v38, 7, v38
	v_lshlrev_b32_e32 v4, 8, v4
	v_cndmask_b32_e64 v14, v14, v39, s[0:1]
	v_lshl_add_u32 v14, v14, 10, v24
	v_cndmask_b32_e64 v17, v17, v38, s[0:1]
	v_and_or_b32 v4, v4, s34, v14
	v_lshl_or_b32 v4, v17, 7, v4
	v_cvt_f32_f16_e32 v17, v4
.LBB225_133:                            ;   in Loop: Header=BB225_48 Depth=1
	s_or_b64 exec, exec, s[12:13]
	v_cmp_gt_i16_sdwa s[10:11], v15, s30 src0_sel:BYTE_0 src1_sel:DWORD
	s_mov_b64 s[0:1], 0
                                        ; implicit-def: $sgpr16
	s_and_saveexec_b64 s[12:13], s[10:11]
	s_xor_b64 s[10:11], exec, s[12:13]
	s_cbranch_execnz .LBB225_231
; %bb.134:                              ;   in Loop: Header=BB225_48 Depth=1
	s_or_saveexec_b64 s[10:11], s[10:11]
	v_mov_b32_e32 v14, s16
	s_xor_b64 exec, exec, s[10:11]
	s_cbranch_execnz .LBB225_234
.LBB225_135:                            ;   in Loop: Header=BB225_48 Depth=1
	s_or_b64 exec, exec, s[10:11]
	v_mov_b32_e32 v4, v15
	s_and_saveexec_b64 s[10:11], s[0:1]
	s_cbranch_execz .LBB225_137
.LBB225_136:                            ;   in Loop: Header=BB225_48 Depth=1
	v_and_b32_e32 v14, 7, v15
	v_ffbh_u32_e32 v14, v14
	v_bfe_u32 v38, v15, 3, 4
	v_min_u32_e32 v14, 32, v14
	v_subrev_u32_e32 v39, 28, v14
	v_sub_u32_e32 v14, 29, v14
	v_cmp_eq_u32_e64 s[0:1], 0, v38
	s_nop 1
	v_cndmask_b32_e64 v14, v38, v14, s[0:1]
	v_cndmask_b32_e64 v38, 0, v39, s[0:1]
	v_lshlrev_b64 v[38:39], v38, v[4:5]
	v_lshlrev_b32_e32 v39, 8, v15
	v_lshl_add_u32 v14, v14, 10, v24
	v_lshlrev_b32_e32 v38, 7, v38
	v_and_or_b32 v14, v39, s34, v14
	v_and_or_b32 v14, v38, s35, v14
	v_cvt_f32_f16_e32 v14, v14
.LBB225_137:                            ;   in Loop: Header=BB225_48 Depth=1
	s_or_b64 exec, exec, s[10:11]
	v_lshrrev_b16_e32 v4, 8, v4
	v_cmp_lt_i16_e64 s[0:1], s30, v4
	s_mov_b64 s[10:11], 0
                                        ; implicit-def: $sgpr41
	s_and_saveexec_b64 s[12:13], s[0:1]
	s_xor_b64 s[12:13], exec, s[12:13]
	s_cbranch_execnz .LBB225_235
; %bb.138:                              ;   in Loop: Header=BB225_48 Depth=1
	s_or_saveexec_b64 s[12:13], s[12:13]
	v_mov_b32_e32 v38, s41
	s_xor_b64 exec, exec, s[12:13]
	s_cbranch_execnz .LBB225_238
.LBB225_139:                            ;   in Loop: Header=BB225_48 Depth=1
	s_or_b64 exec, exec, s[12:13]
	s_and_saveexec_b64 s[12:13], s[10:11]
	s_cbranch_execz .LBB225_141
.LBB225_140:                            ;   in Loop: Header=BB225_48 Depth=1
	v_and_b32_e32 v40, 7, v4
	v_ffbh_u32_e32 v38, v40
	v_min_u32_e32 v42, 32, v38
	v_subrev_u32_e32 v38, 28, v42
	v_bfe_u32 v41, v4, 3, 4
	v_lshlrev_b64 v[38:39], v38, v[4:5]
	v_sub_u32_e32 v39, 29, v42
	v_cmp_eq_u32_e64 s[0:1], 0, v41
	v_and_b32_e32 v38, 7, v38
	v_lshlrev_b32_e32 v4, 8, v4
	v_cndmask_b32_e64 v39, v41, v39, s[0:1]
	v_lshl_add_u32 v39, v39, 10, v24
	v_cndmask_b32_e64 v38, v40, v38, s[0:1]
	v_and_or_b32 v4, v4, s34, v39
	v_lshl_or_b32 v4, v38, 7, v4
	v_cvt_f32_f16_e32 v38, v4
.LBB225_141:                            ;   in Loop: Header=BB225_48 Depth=1
	s_or_b64 exec, exec, s[12:13]
	v_lshrrev_b32_e32 v4, 16, v15
	v_cmp_gt_i16_sdwa s[10:11], v4, s30 src0_sel:BYTE_0 src1_sel:DWORD
	s_mov_b64 s[0:1], 0
                                        ; implicit-def: $sgpr16
	s_and_saveexec_b64 s[12:13], s[10:11]
	s_xor_b64 s[10:11], exec, s[12:13]
	s_cbranch_execnz .LBB225_239
; %bb.142:                              ;   in Loop: Header=BB225_48 Depth=1
	s_or_saveexec_b64 s[10:11], s[10:11]
	v_mov_b32_e32 v39, s16
	s_xor_b64 exec, exec, s[10:11]
	s_cbranch_execnz .LBB225_242
.LBB225_143:                            ;   in Loop: Header=BB225_48 Depth=1
	s_or_b64 exec, exec, s[10:11]
	s_and_saveexec_b64 s[10:11], s[0:1]
	s_cbranch_execz .LBB225_145
.LBB225_144:                            ;   in Loop: Header=BB225_48 Depth=1
	v_bfe_u32 v39, v15, 16, 3
	v_ffbh_u32_e32 v40, v39
	v_min_u32_e32 v43, 32, v40
	v_subrev_u32_e32 v40, 28, v43
	v_bfe_u32 v42, v15, 19, 4
	v_lshlrev_b64 v[40:41], v40, v[4:5]
	v_sub_u32_e32 v41, 29, v43
	v_cmp_eq_u32_e64 s[0:1], 0, v42
	v_and_b32_e32 v40, 7, v40
	v_lshlrev_b32_e32 v4, 8, v4
	v_cndmask_b32_e64 v41, v42, v41, s[0:1]
	v_cndmask_b32_e64 v39, v39, v40, s[0:1]
	v_lshl_add_u32 v40, v41, 10, v24
	v_and_or_b32 v4, v4, s34, v40
	v_lshl_or_b32 v4, v39, 7, v4
	v_cvt_f32_f16_e32 v39, v4
.LBB225_145:                            ;   in Loop: Header=BB225_48 Depth=1
	s_or_b64 exec, exec, s[10:11]
	v_lshrrev_b32_e32 v4, 24, v15
	v_cmp_lt_i16_e64 s[0:1], s30, v4
	s_mov_b64 s[10:11], 0
                                        ; implicit-def: $sgpr41
	s_and_saveexec_b64 s[12:13], s[0:1]
	s_xor_b64 s[12:13], exec, s[12:13]
	s_cbranch_execnz .LBB225_243
; %bb.146:                              ;   in Loop: Header=BB225_48 Depth=1
	s_or_saveexec_b64 s[12:13], s[12:13]
	v_mov_b32_e32 v40, s41
	s_xor_b64 exec, exec, s[12:13]
	s_cbranch_execnz .LBB225_246
.LBB225_147:                            ;   in Loop: Header=BB225_48 Depth=1
	s_or_b64 exec, exec, s[12:13]
	s_and_saveexec_b64 s[12:13], s[10:11]
	s_cbranch_execz .LBB225_149
.LBB225_148:                            ;   in Loop: Header=BB225_48 Depth=1
	v_bfe_u32 v42, v15, 24, 3
	v_ffbh_u32_e32 v40, v42
	v_min_u32_e32 v43, 32, v40
	v_subrev_u32_e32 v40, 28, v43
	v_bfe_u32 v15, v15, 27, 4
	v_lshlrev_b64 v[40:41], v40, v[4:5]
	v_sub_u32_e32 v41, 29, v43
	v_cmp_eq_u32_e64 s[0:1], 0, v15
	v_and_b32_e32 v40, 7, v40
	v_lshlrev_b32_e32 v4, 8, v4
	v_cndmask_b32_e64 v15, v15, v41, s[0:1]
	v_lshl_add_u32 v15, v15, 10, v24
	v_cndmask_b32_e64 v40, v42, v40, s[0:1]
	v_and_or_b32 v4, v4, s34, v15
	v_lshl_or_b32 v4, v40, 7, v4
	v_cvt_f32_f16_e32 v40, v4
.LBB225_149:                            ;   in Loop: Header=BB225_48 Depth=1
	s_or_b64 exec, exec, s[12:13]
	s_waitcnt vmcnt(0)
	v_pk_mul_f32 v[16:17], v[12:13], v[16:17] op_sel_hi:[0,1]
	v_pk_mul_f32 v[10:11], v[12:13], v[10:11] op_sel_hi:[0,1]
	v_cvt_f16_f32_e32 v4, v17
	v_cvt_f16_f32_e32 v15, v16
	;; [unrolled: 1-line block ×4, first 2 shown]
	v_fma_mixlo_f16 v14, v12, v14, 0
	v_pack_b32_f16 v15, v15, v4
	v_pack_b32_f16 v10, v10, v11
	v_perm_b32 v4, v10, v15, s38
	v_perm_b32 v11, v10, v15, s39
	v_fma_mixlo_f16 v10, v12, v38, 0
	v_lshlrev_b32_e32 v10, 16, v10
	v_or_b32_sdwa v10, v10, v14 dst_sel:DWORD dst_unused:UNUSED_PAD src0_sel:DWORD src1_sel:WORD_0
	v_fma_mixlo_f16 v14, v12, v39, 0
	v_fma_mixlo_f16 v12, v12, v40, 0
	v_lshlrev_b32_e32 v12, 16, v12
	v_or_b32_sdwa v12, v12, v14 dst_sel:DWORD dst_unused:UNUSED_PAD src0_sel:DWORD src1_sel:WORD_0
	s_and_saveexec_b64 s[0:1], vcc
	s_cbranch_execz .LBB225_46
; %bb.150:                              ;   in Loop: Header=BB225_48 Depth=1
	v_lshrrev_b32_e32 v15, 16, v11
	v_cmp_gt_i32_e32 vcc, s22, v31
	v_lshrrev_b32_e32 v12, 16, v12
	s_nop 0
	v_cndmask_b32_e32 v15, 0, v15, vcc
	v_cmp_gt_i32_e32 vcc, s33, v13
	s_nop 1
	v_cndmask_b32_e32 v11, 0, v11, vcc
	v_perm_b32 v11, v15, v11, s40
	v_lshrrev_b32_e32 v15, 16, v4
	v_cmp_gt_i32_e32 vcc, s22, v30
	s_nop 1
	v_cndmask_b32_e32 v15, 0, v15, vcc
	v_cmp_gt_i32_e32 vcc, s33, v29
	s_nop 1
	v_cndmask_b32_e32 v4, 0, v4, vcc
	v_perm_b32 v4, v15, v4, s40
	v_lshrrev_b32_e32 v15, 16, v10
	v_cmp_gt_i32_e32 vcc, s22, v28
	s_nop 1
	v_cndmask_b32_e32 v15, 0, v15, vcc
	v_cmp_gt_i32_e32 vcc, s33, v27
	s_nop 1
	v_cndmask_b32_e32 v10, 0, v10, vcc
	v_cmp_gt_i32_e32 vcc, s22, v26
	v_perm_b32 v10, v15, v10, s40
	s_nop 0
	v_cndmask_b32_e32 v12, 0, v12, vcc
	v_cmp_gt_i32_e32 vcc, s33, v25
	s_nop 1
	v_cndmask_b32_e32 v14, 0, v14, vcc
	v_perm_b32 v12, v12, v14, s40
	s_branch .LBB225_46
.LBB225_151:                            ;   in Loop: Header=BB225_48 Depth=1
	v_cmp_eq_u16_sdwa s[44:45], v14, s31 src0_sel:BYTE_0 src1_sel:DWORD
	s_mov_b64 s[0:1], -1
                                        ; implicit-def: $sgpr16
	s_and_saveexec_b64 s[12:13], s[44:45]
; %bb.152:                              ;   in Loop: Header=BB225_48 Depth=1
	s_mov_b32 s16, 0x7fc02000
	s_xor_b64 s[0:1], exec, -1
; %bb.153:                              ;   in Loop: Header=BB225_48 Depth=1
	s_or_b64 exec, exec, s[12:13]
	s_and_b64 s[0:1], s[0:1], exec
	s_or_saveexec_b64 s[10:11], s[10:11]
	v_mov_b32_e32 v16, s16
	s_xor_b64 exec, exec, s[10:11]
	s_cbranch_execz .LBB225_51
.LBB225_154:                            ;   in Loop: Header=BB225_48 Depth=1
	v_cmp_ne_u16_sdwa s[12:13], v14, v5 src0_sel:BYTE_0 src1_sel:DWORD
	s_andn2_b64 s[0:1], s[0:1], exec
	s_and_b64 s[12:13], s[12:13], exec
	v_mov_b32_e32 v16, 0
	s_or_b64 s[0:1], s[0:1], s[12:13]
	s_or_b64 exec, exec, s[10:11]
	s_and_saveexec_b64 s[10:11], s[0:1]
	s_cbranch_execnz .LBB225_52
	s_branch .LBB225_53
.LBB225_155:                            ;   in Loop: Header=BB225_48 Depth=1
	v_cmp_eq_u16_e32 vcc, s31, v4
	s_mov_b64 s[0:1], -1
                                        ; implicit-def: $sgpr16
	s_and_saveexec_b64 s[12:13], vcc
; %bb.156:                              ;   in Loop: Header=BB225_48 Depth=1
	s_mov_b32 s16, 0x7fc02000
	s_xor_b64 s[0:1], exec, -1
; %bb.157:                              ;   in Loop: Header=BB225_48 Depth=1
	s_or_b64 exec, exec, s[12:13]
	s_and_b64 s[0:1], s[0:1], exec
	s_or_saveexec_b64 s[10:11], s[10:11]
	v_mov_b32_e32 v18, s16
	s_xor_b64 exec, exec, s[10:11]
	s_cbranch_execz .LBB225_55
.LBB225_158:                            ;   in Loop: Header=BB225_48 Depth=1
	v_cmp_ne_u16_e32 vcc, 0, v4
	s_andn2_b64 s[0:1], s[0:1], exec
	s_and_b64 s[12:13], vcc, exec
	v_mov_b32_e32 v18, 0
	s_or_b64 s[0:1], s[0:1], s[12:13]
	s_or_b64 exec, exec, s[10:11]
	s_and_saveexec_b64 s[10:11], s[0:1]
	s_cbranch_execnz .LBB225_56
	s_branch .LBB225_57
.LBB225_159:                            ;   in Loop: Header=BB225_48 Depth=1
	v_cmp_eq_u16_sdwa s[44:45], v4, s31 src0_sel:BYTE_0 src1_sel:DWORD
	s_mov_b64 s[0:1], -1
                                        ; implicit-def: $sgpr16
	s_and_saveexec_b64 s[12:13], s[44:45]
; %bb.160:                              ;   in Loop: Header=BB225_48 Depth=1
	s_mov_b32 s16, 0x7fc02000
	s_xor_b64 s[0:1], exec, -1
; %bb.161:                              ;   in Loop: Header=BB225_48 Depth=1
	s_or_b64 exec, exec, s[12:13]
	s_and_b64 s[0:1], s[0:1], exec
	s_or_saveexec_b64 s[10:11], s[10:11]
	v_mov_b32_e32 v17, s16
	s_xor_b64 exec, exec, s[10:11]
	s_cbranch_execz .LBB225_59
.LBB225_162:                            ;   in Loop: Header=BB225_48 Depth=1
	v_cmp_ne_u16_sdwa s[12:13], v4, v5 src0_sel:BYTE_0 src1_sel:DWORD
	s_andn2_b64 s[0:1], s[0:1], exec
	s_and_b64 s[12:13], s[12:13], exec
	v_mov_b32_e32 v17, 0
	s_or_b64 s[0:1], s[0:1], s[12:13]
	s_or_b64 exec, exec, s[10:11]
	s_and_saveexec_b64 s[10:11], s[0:1]
	s_cbranch_execnz .LBB225_60
	s_branch .LBB225_61
.LBB225_163:                            ;   in Loop: Header=BB225_48 Depth=1
	v_cmp_eq_u16_e32 vcc, s31, v4
	s_mov_b64 s[0:1], -1
                                        ; implicit-def: $sgpr16
	s_and_saveexec_b64 s[12:13], vcc
; %bb.164:                              ;   in Loop: Header=BB225_48 Depth=1
	s_mov_b32 s16, 0x7fc02000
	s_xor_b64 s[0:1], exec, -1
; %bb.165:                              ;   in Loop: Header=BB225_48 Depth=1
	s_or_b64 exec, exec, s[12:13]
	s_and_b64 s[0:1], s[0:1], exec
	s_or_saveexec_b64 s[10:11], s[10:11]
	v_mov_b32_e32 v19, s16
	s_xor_b64 exec, exec, s[10:11]
	s_cbranch_execz .LBB225_63
.LBB225_166:                            ;   in Loop: Header=BB225_48 Depth=1
	v_cmp_ne_u16_e32 vcc, 0, v4
	s_andn2_b64 s[0:1], s[0:1], exec
	s_and_b64 s[12:13], vcc, exec
	v_mov_b32_e32 v19, 0
	s_or_b64 s[0:1], s[0:1], s[12:13]
	s_or_b64 exec, exec, s[10:11]
	s_and_saveexec_b64 s[10:11], s[0:1]
	s_cbranch_execnz .LBB225_64
	s_branch .LBB225_65
.LBB225_167:                            ;   in Loop: Header=BB225_48 Depth=1
	v_cmp_eq_u16_sdwa s[44:45], v15, s31 src0_sel:BYTE_0 src1_sel:DWORD
	s_mov_b64 s[0:1], -1
                                        ; implicit-def: $sgpr16
	s_and_saveexec_b64 s[12:13], s[44:45]
; %bb.168:                              ;   in Loop: Header=BB225_48 Depth=1
	s_mov_b32 s16, 0x7fc02000
	s_xor_b64 s[0:1], exec, -1
; %bb.169:                              ;   in Loop: Header=BB225_48 Depth=1
	s_or_b64 exec, exec, s[12:13]
	s_and_b64 s[0:1], s[0:1], exec
	s_or_saveexec_b64 s[10:11], s[10:11]
	v_mov_b32_e32 v14, s16
	s_xor_b64 exec, exec, s[10:11]
	s_cbranch_execz .LBB225_67
.LBB225_170:                            ;   in Loop: Header=BB225_48 Depth=1
	v_cmp_ne_u16_sdwa s[12:13], v15, v5 src0_sel:BYTE_0 src1_sel:DWORD
	s_andn2_b64 s[0:1], s[0:1], exec
	s_and_b64 s[12:13], s[12:13], exec
	v_mov_b32_e32 v14, 0
	s_or_b64 s[0:1], s[0:1], s[12:13]
	s_or_b64 exec, exec, s[10:11]
	v_mov_b32_e32 v4, v15
	s_and_saveexec_b64 s[10:11], s[0:1]
	s_cbranch_execnz .LBB225_68
	s_branch .LBB225_69
.LBB225_171:                            ;   in Loop: Header=BB225_48 Depth=1
	v_cmp_eq_u16_e32 vcc, s31, v4
	s_mov_b64 s[0:1], -1
                                        ; implicit-def: $sgpr16
	s_and_saveexec_b64 s[12:13], vcc
; %bb.172:                              ;   in Loop: Header=BB225_48 Depth=1
	s_mov_b32 s16, 0x7fc02000
	s_xor_b64 s[0:1], exec, -1
; %bb.173:                              ;   in Loop: Header=BB225_48 Depth=1
	s_or_b64 exec, exec, s[12:13]
	s_and_b64 s[0:1], s[0:1], exec
	s_or_saveexec_b64 s[10:11], s[10:11]
	v_mov_b32_e32 v25, s16
	s_xor_b64 exec, exec, s[10:11]
	s_cbranch_execz .LBB225_71
.LBB225_174:                            ;   in Loop: Header=BB225_48 Depth=1
	v_cmp_ne_u16_e32 vcc, 0, v4
	s_andn2_b64 s[0:1], s[0:1], exec
	s_and_b64 s[12:13], vcc, exec
	v_mov_b32_e32 v25, 0
	s_or_b64 s[0:1], s[0:1], s[12:13]
	s_or_b64 exec, exec, s[10:11]
	s_and_saveexec_b64 s[10:11], s[0:1]
	s_cbranch_execnz .LBB225_72
	s_branch .LBB225_73
.LBB225_175:                            ;   in Loop: Header=BB225_48 Depth=1
	v_cmp_eq_u16_sdwa s[44:45], v4, s31 src0_sel:BYTE_0 src1_sel:DWORD
	s_mov_b64 s[0:1], -1
                                        ; implicit-def: $sgpr16
	s_and_saveexec_b64 s[12:13], s[44:45]
; %bb.176:                              ;   in Loop: Header=BB225_48 Depth=1
	s_mov_b32 s16, 0x7fc02000
	s_xor_b64 s[0:1], exec, -1
; %bb.177:                              ;   in Loop: Header=BB225_48 Depth=1
	s_or_b64 exec, exec, s[12:13]
	s_and_b64 s[0:1], s[0:1], exec
	s_or_saveexec_b64 s[10:11], s[10:11]
	v_mov_b32_e32 v26, s16
	s_xor_b64 exec, exec, s[10:11]
	s_cbranch_execz .LBB225_75
.LBB225_178:                            ;   in Loop: Header=BB225_48 Depth=1
	v_cmp_ne_u16_sdwa s[12:13], v4, v5 src0_sel:BYTE_0 src1_sel:DWORD
	s_andn2_b64 s[0:1], s[0:1], exec
	s_and_b64 s[12:13], s[12:13], exec
	v_mov_b32_e32 v26, 0
	s_or_b64 s[0:1], s[0:1], s[12:13]
	s_or_b64 exec, exec, s[10:11]
	s_and_saveexec_b64 s[10:11], s[0:1]
	s_cbranch_execnz .LBB225_76
	s_branch .LBB225_77
.LBB225_179:                            ;   in Loop: Header=BB225_48 Depth=1
	v_cmp_eq_u16_e32 vcc, s31, v4
	s_mov_b64 s[0:1], -1
                                        ; implicit-def: $sgpr16
	s_and_saveexec_b64 s[12:13], vcc
; %bb.180:                              ;   in Loop: Header=BB225_48 Depth=1
	s_mov_b32 s16, 0x7fc02000
	s_xor_b64 s[0:1], exec, -1
; %bb.181:                              ;   in Loop: Header=BB225_48 Depth=1
	s_or_b64 exec, exec, s[12:13]
	s_and_b64 s[0:1], s[0:1], exec
	s_or_saveexec_b64 s[10:11], s[10:11]
	v_mov_b32_e32 v27, s16
	s_xor_b64 exec, exec, s[10:11]
	s_cbranch_execz .LBB225_79
.LBB225_182:                            ;   in Loop: Header=BB225_48 Depth=1
	v_cmp_ne_u16_e32 vcc, 0, v4
	s_andn2_b64 s[0:1], s[0:1], exec
	s_and_b64 s[12:13], vcc, exec
	v_mov_b32_e32 v27, 0
	s_or_b64 s[0:1], s[0:1], s[12:13]
	s_or_b64 exec, exec, s[10:11]
	s_and_saveexec_b64 s[10:11], s[0:1]
	s_cbranch_execnz .LBB225_80
	s_branch .LBB225_81
.LBB225_183:                            ;   in Loop: Header=BB225_48 Depth=1
	v_cmp_eq_u16_sdwa s[44:45], v14, s31 src0_sel:BYTE_0 src1_sel:DWORD
	s_mov_b64 s[0:1], -1
                                        ; implicit-def: $sgpr16
	s_and_saveexec_b64 s[12:13], s[44:45]
; %bb.184:                              ;   in Loop: Header=BB225_48 Depth=1
	s_mov_b32 s16, 0x7fc02000
	s_xor_b64 s[0:1], exec, -1
; %bb.185:                              ;   in Loop: Header=BB225_48 Depth=1
	s_or_b64 exec, exec, s[12:13]
	s_and_b64 s[0:1], s[0:1], exec
	s_or_saveexec_b64 s[10:11], s[10:11]
	v_mov_b32_e32 v16, s16
	s_xor_b64 exec, exec, s[10:11]
	s_cbranch_execz .LBB225_85
.LBB225_186:                            ;   in Loop: Header=BB225_48 Depth=1
	v_cmp_ne_u16_sdwa s[12:13], v14, v5 src0_sel:BYTE_0 src1_sel:DWORD
	s_andn2_b64 s[0:1], s[0:1], exec
	s_and_b64 s[12:13], s[12:13], exec
	v_mov_b32_e32 v16, 0
	s_or_b64 s[0:1], s[0:1], s[12:13]
	s_or_b64 exec, exec, s[10:11]
	s_and_saveexec_b64 s[10:11], s[0:1]
	s_cbranch_execnz .LBB225_86
	s_branch .LBB225_87
.LBB225_187:                            ;   in Loop: Header=BB225_48 Depth=1
	v_cmp_eq_u16_e64 s[0:1], s31, v4
	s_mov_b64 s[10:11], -1
                                        ; implicit-def: $sgpr41
	s_and_saveexec_b64 s[16:17], s[0:1]
; %bb.188:                              ;   in Loop: Header=BB225_48 Depth=1
	s_mov_b32 s41, 0x7fc02000
	s_xor_b64 s[10:11], exec, -1
; %bb.189:                              ;   in Loop: Header=BB225_48 Depth=1
	s_or_b64 exec, exec, s[16:17]
	s_and_b64 s[10:11], s[10:11], exec
	s_or_saveexec_b64 s[12:13], s[12:13]
	v_mov_b32_e32 v18, s41
	s_xor_b64 exec, exec, s[12:13]
	s_cbranch_execz .LBB225_89
.LBB225_190:                            ;   in Loop: Header=BB225_48 Depth=1
	v_cmp_ne_u16_e64 s[0:1], 0, v4
	s_andn2_b64 s[10:11], s[10:11], exec
	s_and_b64 s[0:1], s[0:1], exec
	v_mov_b32_e32 v18, 0
	s_or_b64 s[10:11], s[10:11], s[0:1]
	s_or_b64 exec, exec, s[12:13]
	s_and_saveexec_b64 s[12:13], s[10:11]
	s_cbranch_execnz .LBB225_90
	s_branch .LBB225_91
.LBB225_191:                            ;   in Loop: Header=BB225_48 Depth=1
	v_cmp_eq_u16_sdwa s[44:45], v4, s31 src0_sel:BYTE_0 src1_sel:DWORD
	s_mov_b64 s[0:1], -1
                                        ; implicit-def: $sgpr16
	s_and_saveexec_b64 s[12:13], s[44:45]
; %bb.192:                              ;   in Loop: Header=BB225_48 Depth=1
	s_mov_b32 s16, 0x7fc02000
	s_xor_b64 s[0:1], exec, -1
; %bb.193:                              ;   in Loop: Header=BB225_48 Depth=1
	s_or_b64 exec, exec, s[12:13]
	s_and_b64 s[0:1], s[0:1], exec
	s_or_saveexec_b64 s[10:11], s[10:11]
	v_mov_b32_e32 v17, s16
	s_xor_b64 exec, exec, s[10:11]
	s_cbranch_execz .LBB225_93
.LBB225_194:                            ;   in Loop: Header=BB225_48 Depth=1
	v_cmp_ne_u16_sdwa s[12:13], v4, v5 src0_sel:BYTE_0 src1_sel:DWORD
	s_andn2_b64 s[0:1], s[0:1], exec
	s_and_b64 s[12:13], s[12:13], exec
	v_mov_b32_e32 v17, 0
	s_or_b64 s[0:1], s[0:1], s[12:13]
	s_or_b64 exec, exec, s[10:11]
	s_and_saveexec_b64 s[10:11], s[0:1]
	s_cbranch_execnz .LBB225_94
	s_branch .LBB225_95
.LBB225_195:                            ;   in Loop: Header=BB225_48 Depth=1
	v_cmp_eq_u16_e64 s[0:1], s31, v4
	s_mov_b64 s[10:11], -1
                                        ; implicit-def: $sgpr41
	s_and_saveexec_b64 s[16:17], s[0:1]
; %bb.196:                              ;   in Loop: Header=BB225_48 Depth=1
	s_mov_b32 s41, 0x7fc02000
	s_xor_b64 s[10:11], exec, -1
; %bb.197:                              ;   in Loop: Header=BB225_48 Depth=1
	s_or_b64 exec, exec, s[16:17]
	s_and_b64 s[10:11], s[10:11], exec
	s_or_saveexec_b64 s[12:13], s[12:13]
	v_mov_b32_e32 v19, s41
	s_xor_b64 exec, exec, s[12:13]
	s_cbranch_execz .LBB225_97
.LBB225_198:                            ;   in Loop: Header=BB225_48 Depth=1
	v_cmp_ne_u16_e64 s[0:1], 0, v4
	s_andn2_b64 s[10:11], s[10:11], exec
	s_and_b64 s[0:1], s[0:1], exec
	v_mov_b32_e32 v19, 0
	s_or_b64 s[10:11], s[10:11], s[0:1]
	s_or_b64 exec, exec, s[12:13]
	s_and_saveexec_b64 s[12:13], s[10:11]
	s_cbranch_execnz .LBB225_98
	s_branch .LBB225_99
.LBB225_199:                            ;   in Loop: Header=BB225_48 Depth=1
	v_cmp_eq_u16_sdwa s[44:45], v15, s31 src0_sel:BYTE_0 src1_sel:DWORD
	s_mov_b64 s[0:1], -1
                                        ; implicit-def: $sgpr16
	s_and_saveexec_b64 s[12:13], s[44:45]
; %bb.200:                              ;   in Loop: Header=BB225_48 Depth=1
	s_mov_b32 s16, 0x7fc02000
	s_xor_b64 s[0:1], exec, -1
; %bb.201:                              ;   in Loop: Header=BB225_48 Depth=1
	s_or_b64 exec, exec, s[12:13]
	s_and_b64 s[0:1], s[0:1], exec
	s_or_saveexec_b64 s[10:11], s[10:11]
	v_mov_b32_e32 v14, s16
	s_xor_b64 exec, exec, s[10:11]
	s_cbranch_execz .LBB225_101
.LBB225_202:                            ;   in Loop: Header=BB225_48 Depth=1
	v_cmp_ne_u16_sdwa s[12:13], v15, v5 src0_sel:BYTE_0 src1_sel:DWORD
	s_andn2_b64 s[0:1], s[0:1], exec
	s_and_b64 s[12:13], s[12:13], exec
	v_mov_b32_e32 v14, 0
	s_or_b64 s[0:1], s[0:1], s[12:13]
	s_or_b64 exec, exec, s[10:11]
	v_mov_b32_e32 v4, v15
	s_and_saveexec_b64 s[10:11], s[0:1]
	s_cbranch_execnz .LBB225_102
	s_branch .LBB225_103
.LBB225_203:                            ;   in Loop: Header=BB225_48 Depth=1
	v_cmp_eq_u16_e64 s[0:1], s31, v4
	s_mov_b64 s[10:11], -1
                                        ; implicit-def: $sgpr41
	s_and_saveexec_b64 s[16:17], s[0:1]
; %bb.204:                              ;   in Loop: Header=BB225_48 Depth=1
	s_mov_b32 s41, 0x7fc02000
	s_xor_b64 s[10:11], exec, -1
; %bb.205:                              ;   in Loop: Header=BB225_48 Depth=1
	s_or_b64 exec, exec, s[16:17]
	s_and_b64 s[10:11], s[10:11], exec
	s_or_saveexec_b64 s[12:13], s[12:13]
	v_mov_b32_e32 v38, s41
	s_xor_b64 exec, exec, s[12:13]
	s_cbranch_execz .LBB225_105
.LBB225_206:                            ;   in Loop: Header=BB225_48 Depth=1
	v_cmp_ne_u16_e64 s[0:1], 0, v4
	s_andn2_b64 s[10:11], s[10:11], exec
	s_and_b64 s[0:1], s[0:1], exec
	v_mov_b32_e32 v38, 0
	s_or_b64 s[10:11], s[10:11], s[0:1]
	s_or_b64 exec, exec, s[12:13]
	s_and_saveexec_b64 s[12:13], s[10:11]
	s_cbranch_execnz .LBB225_106
	s_branch .LBB225_107
.LBB225_207:                            ;   in Loop: Header=BB225_48 Depth=1
	v_cmp_eq_u16_sdwa s[44:45], v4, s31 src0_sel:BYTE_0 src1_sel:DWORD
	s_mov_b64 s[0:1], -1
                                        ; implicit-def: $sgpr16
	s_and_saveexec_b64 s[12:13], s[44:45]
; %bb.208:                              ;   in Loop: Header=BB225_48 Depth=1
	s_mov_b32 s16, 0x7fc02000
	s_xor_b64 s[0:1], exec, -1
; %bb.209:                              ;   in Loop: Header=BB225_48 Depth=1
	s_or_b64 exec, exec, s[12:13]
	s_and_b64 s[0:1], s[0:1], exec
	s_or_saveexec_b64 s[10:11], s[10:11]
	v_mov_b32_e32 v39, s16
	s_xor_b64 exec, exec, s[10:11]
	s_cbranch_execz .LBB225_109
.LBB225_210:                            ;   in Loop: Header=BB225_48 Depth=1
	v_cmp_ne_u16_sdwa s[12:13], v4, v5 src0_sel:BYTE_0 src1_sel:DWORD
	s_andn2_b64 s[0:1], s[0:1], exec
	s_and_b64 s[12:13], s[12:13], exec
	v_mov_b32_e32 v39, 0
	s_or_b64 s[0:1], s[0:1], s[12:13]
	s_or_b64 exec, exec, s[10:11]
	s_and_saveexec_b64 s[10:11], s[0:1]
	s_cbranch_execnz .LBB225_110
	s_branch .LBB225_111
.LBB225_211:                            ;   in Loop: Header=BB225_48 Depth=1
	v_cmp_eq_u16_e64 s[0:1], s31, v4
	s_mov_b64 s[10:11], -1
                                        ; implicit-def: $sgpr41
	s_and_saveexec_b64 s[16:17], s[0:1]
; %bb.212:                              ;   in Loop: Header=BB225_48 Depth=1
	s_mov_b32 s41, 0x7fc02000
	s_xor_b64 s[10:11], exec, -1
; %bb.213:                              ;   in Loop: Header=BB225_48 Depth=1
	s_or_b64 exec, exec, s[16:17]
	s_and_b64 s[10:11], s[10:11], exec
	s_or_saveexec_b64 s[12:13], s[12:13]
	v_mov_b32_e32 v40, s41
	s_xor_b64 exec, exec, s[12:13]
	s_cbranch_execz .LBB225_113
.LBB225_214:                            ;   in Loop: Header=BB225_48 Depth=1
	v_cmp_ne_u16_e64 s[0:1], 0, v4
	s_andn2_b64 s[10:11], s[10:11], exec
	s_and_b64 s[0:1], s[0:1], exec
	v_mov_b32_e32 v40, 0
	s_or_b64 s[10:11], s[10:11], s[0:1]
	s_or_b64 exec, exec, s[12:13]
	s_and_saveexec_b64 s[12:13], s[10:11]
	s_cbranch_execnz .LBB225_114
	s_branch .LBB225_115
.LBB225_215:                            ;   in Loop: Header=BB225_48 Depth=1
	v_cmp_eq_u16_sdwa s[44:45], v14, s31 src0_sel:BYTE_0 src1_sel:DWORD
	s_mov_b64 s[0:1], -1
                                        ; implicit-def: $sgpr16
	s_and_saveexec_b64 s[12:13], s[44:45]
; %bb.216:                              ;   in Loop: Header=BB225_48 Depth=1
	s_mov_b32 s16, 0x7fc02000
	s_xor_b64 s[0:1], exec, -1
; %bb.217:                              ;   in Loop: Header=BB225_48 Depth=1
	s_or_b64 exec, exec, s[12:13]
	s_and_b64 s[0:1], s[0:1], exec
	s_or_saveexec_b64 s[10:11], s[10:11]
	v_mov_b32_e32 v10, s16
	s_xor_b64 exec, exec, s[10:11]
	s_cbranch_execz .LBB225_119
.LBB225_218:                            ;   in Loop: Header=BB225_48 Depth=1
	v_cmp_ne_u16_sdwa s[12:13], v14, v5 src0_sel:BYTE_0 src1_sel:DWORD
	s_andn2_b64 s[0:1], s[0:1], exec
	s_and_b64 s[12:13], s[12:13], exec
	v_mov_b32_e32 v10, 0
	s_or_b64 s[0:1], s[0:1], s[12:13]
	s_or_b64 exec, exec, s[10:11]
	s_and_saveexec_b64 s[10:11], s[0:1]
	s_cbranch_execnz .LBB225_120
	s_branch .LBB225_121
.LBB225_219:                            ;   in Loop: Header=BB225_48 Depth=1
	v_cmp_eq_u16_e64 s[0:1], s31, v4
	s_mov_b64 s[10:11], -1
                                        ; implicit-def: $sgpr41
	s_and_saveexec_b64 s[16:17], s[0:1]
; %bb.220:                              ;   in Loop: Header=BB225_48 Depth=1
	s_mov_b32 s41, 0x7fc02000
	s_xor_b64 s[10:11], exec, -1
; %bb.221:                              ;   in Loop: Header=BB225_48 Depth=1
	s_or_b64 exec, exec, s[16:17]
	s_and_b64 s[10:11], s[10:11], exec
	s_or_saveexec_b64 s[12:13], s[12:13]
	v_mov_b32_e32 v16, s41
	s_xor_b64 exec, exec, s[12:13]
	s_cbranch_execz .LBB225_123
.LBB225_222:                            ;   in Loop: Header=BB225_48 Depth=1
	v_cmp_ne_u16_e64 s[0:1], 0, v4
	s_andn2_b64 s[10:11], s[10:11], exec
	s_and_b64 s[0:1], s[0:1], exec
	v_mov_b32_e32 v16, 0
	s_or_b64 s[10:11], s[10:11], s[0:1]
	s_or_b64 exec, exec, s[12:13]
	s_and_saveexec_b64 s[12:13], s[10:11]
	s_cbranch_execnz .LBB225_124
	s_branch .LBB225_125
.LBB225_223:                            ;   in Loop: Header=BB225_48 Depth=1
	v_cmp_eq_u16_sdwa s[44:45], v4, s31 src0_sel:BYTE_0 src1_sel:DWORD
	s_mov_b64 s[0:1], -1
                                        ; implicit-def: $sgpr16
	s_and_saveexec_b64 s[12:13], s[44:45]
; %bb.224:                              ;   in Loop: Header=BB225_48 Depth=1
	s_mov_b32 s16, 0x7fc02000
	s_xor_b64 s[0:1], exec, -1
; %bb.225:                              ;   in Loop: Header=BB225_48 Depth=1
	s_or_b64 exec, exec, s[12:13]
	s_and_b64 s[0:1], s[0:1], exec
	s_or_saveexec_b64 s[10:11], s[10:11]
	v_mov_b32_e32 v11, s16
	s_xor_b64 exec, exec, s[10:11]
	s_cbranch_execz .LBB225_127
.LBB225_226:                            ;   in Loop: Header=BB225_48 Depth=1
	v_cmp_ne_u16_sdwa s[12:13], v4, v5 src0_sel:BYTE_0 src1_sel:DWORD
	s_andn2_b64 s[0:1], s[0:1], exec
	s_and_b64 s[12:13], s[12:13], exec
	v_mov_b32_e32 v11, 0
	s_or_b64 s[0:1], s[0:1], s[12:13]
	s_or_b64 exec, exec, s[10:11]
	s_and_saveexec_b64 s[10:11], s[0:1]
	s_cbranch_execnz .LBB225_128
	s_branch .LBB225_129
.LBB225_227:                            ;   in Loop: Header=BB225_48 Depth=1
	v_cmp_eq_u16_e64 s[0:1], s31, v4
	s_mov_b64 s[10:11], -1
                                        ; implicit-def: $sgpr41
	s_and_saveexec_b64 s[16:17], s[0:1]
; %bb.228:                              ;   in Loop: Header=BB225_48 Depth=1
	s_mov_b32 s41, 0x7fc02000
	s_xor_b64 s[10:11], exec, -1
; %bb.229:                              ;   in Loop: Header=BB225_48 Depth=1
	s_or_b64 exec, exec, s[16:17]
	s_and_b64 s[10:11], s[10:11], exec
	s_or_saveexec_b64 s[12:13], s[12:13]
	v_mov_b32_e32 v17, s41
	s_xor_b64 exec, exec, s[12:13]
	s_cbranch_execz .LBB225_131
.LBB225_230:                            ;   in Loop: Header=BB225_48 Depth=1
	v_cmp_ne_u16_e64 s[0:1], 0, v4
	s_andn2_b64 s[10:11], s[10:11], exec
	s_and_b64 s[0:1], s[0:1], exec
	v_mov_b32_e32 v17, 0
	s_or_b64 s[10:11], s[10:11], s[0:1]
	s_or_b64 exec, exec, s[12:13]
	s_and_saveexec_b64 s[12:13], s[10:11]
	s_cbranch_execnz .LBB225_132
	s_branch .LBB225_133
.LBB225_231:                            ;   in Loop: Header=BB225_48 Depth=1
	v_cmp_eq_u16_sdwa s[44:45], v15, s31 src0_sel:BYTE_0 src1_sel:DWORD
	s_mov_b64 s[0:1], -1
                                        ; implicit-def: $sgpr16
	s_and_saveexec_b64 s[12:13], s[44:45]
; %bb.232:                              ;   in Loop: Header=BB225_48 Depth=1
	s_mov_b32 s16, 0x7fc02000
	s_xor_b64 s[0:1], exec, -1
; %bb.233:                              ;   in Loop: Header=BB225_48 Depth=1
	s_or_b64 exec, exec, s[12:13]
	s_and_b64 s[0:1], s[0:1], exec
	s_or_saveexec_b64 s[10:11], s[10:11]
	v_mov_b32_e32 v14, s16
	s_xor_b64 exec, exec, s[10:11]
	s_cbranch_execz .LBB225_135
.LBB225_234:                            ;   in Loop: Header=BB225_48 Depth=1
	v_cmp_ne_u16_sdwa s[12:13], v15, v5 src0_sel:BYTE_0 src1_sel:DWORD
	s_andn2_b64 s[0:1], s[0:1], exec
	s_and_b64 s[12:13], s[12:13], exec
	v_mov_b32_e32 v14, 0
	s_or_b64 s[0:1], s[0:1], s[12:13]
	s_or_b64 exec, exec, s[10:11]
	v_mov_b32_e32 v4, v15
	s_and_saveexec_b64 s[10:11], s[0:1]
	s_cbranch_execnz .LBB225_136
	s_branch .LBB225_137
.LBB225_235:                            ;   in Loop: Header=BB225_48 Depth=1
	v_cmp_eq_u16_e64 s[0:1], s31, v4
	s_mov_b64 s[10:11], -1
                                        ; implicit-def: $sgpr41
	s_and_saveexec_b64 s[16:17], s[0:1]
; %bb.236:                              ;   in Loop: Header=BB225_48 Depth=1
	s_mov_b32 s41, 0x7fc02000
	s_xor_b64 s[10:11], exec, -1
; %bb.237:                              ;   in Loop: Header=BB225_48 Depth=1
	s_or_b64 exec, exec, s[16:17]
	s_and_b64 s[10:11], s[10:11], exec
	s_or_saveexec_b64 s[12:13], s[12:13]
	v_mov_b32_e32 v38, s41
	s_xor_b64 exec, exec, s[12:13]
	s_cbranch_execz .LBB225_139
.LBB225_238:                            ;   in Loop: Header=BB225_48 Depth=1
	v_cmp_ne_u16_e64 s[0:1], 0, v4
	s_andn2_b64 s[10:11], s[10:11], exec
	s_and_b64 s[0:1], s[0:1], exec
	v_mov_b32_e32 v38, 0
	s_or_b64 s[10:11], s[10:11], s[0:1]
	s_or_b64 exec, exec, s[12:13]
	s_and_saveexec_b64 s[12:13], s[10:11]
	s_cbranch_execnz .LBB225_140
	s_branch .LBB225_141
.LBB225_239:                            ;   in Loop: Header=BB225_48 Depth=1
	v_cmp_eq_u16_sdwa s[44:45], v4, s31 src0_sel:BYTE_0 src1_sel:DWORD
	s_mov_b64 s[0:1], -1
                                        ; implicit-def: $sgpr16
	s_and_saveexec_b64 s[12:13], s[44:45]
; %bb.240:                              ;   in Loop: Header=BB225_48 Depth=1
	s_mov_b32 s16, 0x7fc02000
	s_xor_b64 s[0:1], exec, -1
; %bb.241:                              ;   in Loop: Header=BB225_48 Depth=1
	s_or_b64 exec, exec, s[12:13]
	s_and_b64 s[0:1], s[0:1], exec
	s_or_saveexec_b64 s[10:11], s[10:11]
	v_mov_b32_e32 v39, s16
	s_xor_b64 exec, exec, s[10:11]
	s_cbranch_execz .LBB225_143
.LBB225_242:                            ;   in Loop: Header=BB225_48 Depth=1
	v_cmp_ne_u16_sdwa s[12:13], v4, v5 src0_sel:BYTE_0 src1_sel:DWORD
	s_andn2_b64 s[0:1], s[0:1], exec
	s_and_b64 s[12:13], s[12:13], exec
	v_mov_b32_e32 v39, 0
	s_or_b64 s[0:1], s[0:1], s[12:13]
	s_or_b64 exec, exec, s[10:11]
	s_and_saveexec_b64 s[10:11], s[0:1]
	s_cbranch_execnz .LBB225_144
	s_branch .LBB225_145
.LBB225_243:                            ;   in Loop: Header=BB225_48 Depth=1
	v_cmp_eq_u16_e64 s[0:1], s31, v4
	s_mov_b64 s[10:11], -1
                                        ; implicit-def: $sgpr41
	s_and_saveexec_b64 s[16:17], s[0:1]
; %bb.244:                              ;   in Loop: Header=BB225_48 Depth=1
	s_mov_b32 s41, 0x7fc02000
	s_xor_b64 s[10:11], exec, -1
; %bb.245:                              ;   in Loop: Header=BB225_48 Depth=1
	s_or_b64 exec, exec, s[16:17]
	s_and_b64 s[10:11], s[10:11], exec
	s_or_saveexec_b64 s[12:13], s[12:13]
	v_mov_b32_e32 v40, s41
	s_xor_b64 exec, exec, s[12:13]
	s_cbranch_execz .LBB225_147
.LBB225_246:                            ;   in Loop: Header=BB225_48 Depth=1
	v_cmp_ne_u16_e64 s[0:1], 0, v4
	s_andn2_b64 s[10:11], s[10:11], exec
	s_and_b64 s[0:1], s[0:1], exec
	v_mov_b32_e32 v40, 0
	s_or_b64 s[10:11], s[10:11], s[0:1]
	s_or_b64 exec, exec, s[12:13]
	s_and_saveexec_b64 s[12:13], s[10:11]
	s_cbranch_execnz .LBB225_148
	s_branch .LBB225_149
.LBB225_247:
	s_or_b64 exec, exec, s[6:7]
.LBB225_248:
	s_or_b64 exec, exec, s[2:3]
	v_and_b32_e32 v1, 0x3c0, v0
	v_cmp_eq_u32_e32 vcc, 64, v1
	s_barrier
	s_and_saveexec_b64 s[0:1], vcc
	s_cbranch_execz .LBB225_250
; %bb.249:
	v_mov_b32_e32 v1, 0x190
	v_lshl_add_u32 v4, v20, 2, v1
	v_lshl_add_u32 v1, v0, 2, v1
	ds_write_b32 v4, v2
	ds_write_b32 v1, v3
	ds_write_b32 v4, v21 offset:512
.LBB225_250:
	s_or_b64 exec, exec, s[0:1]
	v_cmp_gt_u32_e32 vcc, 64, v0
	s_waitcnt lgkmcnt(0)
	s_barrier
	s_and_saveexec_b64 s[0:1], vcc
	s_cbranch_execz .LBB225_252
; %bb.251:
	v_mov_b32_e32 v1, 0x190
	v_lshl_add_u32 v1, v0, 2, v1
	ds_read2st64_b32 v[4:5], v1 offset1:1
	ds_read_b32 v1, v1 offset:512
	s_waitcnt lgkmcnt(1)
	v_pk_add_f32 v[2:3], v[2:3], v[4:5]
	s_waitcnt lgkmcnt(0)
	v_add_f32_e32 v21, v21, v1
.LBB225_252:
	s_or_b64 exec, exec, s[0:1]
	s_barrier
	s_and_saveexec_b64 s[0:1], vcc
	s_cbranch_execz .LBB225_254
; %bb.253:
	s_mul_i32 s0, s24, s25
	s_mul_i32 s0, s0, s5
	s_mulk_i32 s0, 0xc0
	s_ashr_i32 s1, s0, 31
	s_lshl_b64 s[0:1], s[0:1], 1
	s_add_u32 s2, s26, s0
	s_mul_i32 s0, s25, s28
	s_addc_u32 s3, s27, s1
	s_ashr_i32 s1, s0, 31
	s_lshl_b64 s[0:1], s[0:1], 1
	s_add_u32 s2, s2, s0
	s_mul_i32 s0, s4, 0xc0
	s_addc_u32 s3, s3, s1
	s_ashr_i32 s1, s0, 31
	s_lshl_b64 s[0:1], s[0:1], 1
	s_add_u32 s0, s2, s0
	s_addc_u32 s1, s3, s1
	v_lshlrev_b32_e32 v0, 1, v0
	;;#ASMSTART
	v_cvt_f16_f32 v1, v2;

	;;#ASMEND
	global_store_short v0, v1, s[0:1]
	;;#ASMSTART
	v_cvt_f16_f32 v1, v3;

	;;#ASMEND
	global_store_short v0, v1, s[0:1] offset:128
	;;#ASMSTART
	v_cvt_f16_f32 v1, v21;

	;;#ASMEND
	global_store_short v0, v1, s[0:1] offset:256
.LBB225_254:
	s_endpgm
	.section	.rodata,"a",@progbits
	.p2align	6, 0x0
	.amdhsa_kernel _ZN4vllm25paged_attention_v1_kernelIthLi192ELi8ELi128ELNS_18Fp8KVCacheDataTypeE1ELb1EEEvPT_PKS2_PKT0_S8_ifPKiSA_iPKfiiiSC_SC_iiiii
		.amdhsa_group_segment_fixed_size 400
		.amdhsa_private_segment_fixed_size 0
		.amdhsa_kernarg_size 384
		.amdhsa_user_sgpr_count 2
		.amdhsa_user_sgpr_dispatch_ptr 0
		.amdhsa_user_sgpr_queue_ptr 0
		.amdhsa_user_sgpr_kernarg_segment_ptr 1
		.amdhsa_user_sgpr_dispatch_id 0
		.amdhsa_user_sgpr_kernarg_preload_length 0
		.amdhsa_user_sgpr_kernarg_preload_offset 0
		.amdhsa_user_sgpr_private_segment_size 0
		.amdhsa_uses_dynamic_stack 0
		.amdhsa_enable_private_segment 0
		.amdhsa_system_sgpr_workgroup_id_x 1
		.amdhsa_system_sgpr_workgroup_id_y 1
		.amdhsa_system_sgpr_workgroup_id_z 1
		.amdhsa_system_sgpr_workgroup_info 0
		.amdhsa_system_vgpr_workitem_id 0
		.amdhsa_next_free_vgpr 69
		.amdhsa_next_free_sgpr 48
		.amdhsa_accum_offset 72
		.amdhsa_reserve_vcc 1
		.amdhsa_float_round_mode_32 0
		.amdhsa_float_round_mode_16_64 0
		.amdhsa_float_denorm_mode_32 3
		.amdhsa_float_denorm_mode_16_64 3
		.amdhsa_dx10_clamp 1
		.amdhsa_ieee_mode 1
		.amdhsa_fp16_overflow 0
		.amdhsa_tg_split 0
		.amdhsa_exception_fp_ieee_invalid_op 0
		.amdhsa_exception_fp_denorm_src 0
		.amdhsa_exception_fp_ieee_div_zero 0
		.amdhsa_exception_fp_ieee_overflow 0
		.amdhsa_exception_fp_ieee_underflow 0
		.amdhsa_exception_fp_ieee_inexact 0
		.amdhsa_exception_int_div_zero 0
	.end_amdhsa_kernel
	.section	.text._ZN4vllm25paged_attention_v1_kernelIthLi192ELi8ELi128ELNS_18Fp8KVCacheDataTypeE1ELb1EEEvPT_PKS2_PKT0_S8_ifPKiSA_iPKfiiiSC_SC_iiiii,"axG",@progbits,_ZN4vllm25paged_attention_v1_kernelIthLi192ELi8ELi128ELNS_18Fp8KVCacheDataTypeE1ELb1EEEvPT_PKS2_PKT0_S8_ifPKiSA_iPKfiiiSC_SC_iiiii,comdat
.Lfunc_end225:
	.size	_ZN4vllm25paged_attention_v1_kernelIthLi192ELi8ELi128ELNS_18Fp8KVCacheDataTypeE1ELb1EEEvPT_PKS2_PKT0_S8_ifPKiSA_iPKfiiiSC_SC_iiiii, .Lfunc_end225-_ZN4vllm25paged_attention_v1_kernelIthLi192ELi8ELi128ELNS_18Fp8KVCacheDataTypeE1ELb1EEEvPT_PKS2_PKT0_S8_ifPKiSA_iPKfiiiSC_SC_iiiii
                                        ; -- End function
	.section	.AMDGPU.csdata,"",@progbits
; Kernel info:
; codeLenInByte = 12720
; NumSgprs: 54
; NumVgprs: 69
; NumAgprs: 0
; TotalNumVgprs: 69
; ScratchSize: 0
; MemoryBound: 0
; FloatMode: 240
; IeeeMode: 1
; LDSByteSize: 400 bytes/workgroup (compile time only)
; SGPRBlocks: 6
; VGPRBlocks: 8
; NumSGPRsForWavesPerEU: 54
; NumVGPRsForWavesPerEU: 69
; AccumOffset: 72
; Occupancy: 7
; WaveLimiterHint : 1
; COMPUTE_PGM_RSRC2:SCRATCH_EN: 0
; COMPUTE_PGM_RSRC2:USER_SGPR: 2
; COMPUTE_PGM_RSRC2:TRAP_HANDLER: 0
; COMPUTE_PGM_RSRC2:TGID_X_EN: 1
; COMPUTE_PGM_RSRC2:TGID_Y_EN: 1
; COMPUTE_PGM_RSRC2:TGID_Z_EN: 1
; COMPUTE_PGM_RSRC2:TIDIG_COMP_CNT: 0
; COMPUTE_PGM_RSRC3_GFX90A:ACCUM_OFFSET: 17
; COMPUTE_PGM_RSRC3_GFX90A:TG_SPLIT: 0
	.section	.text._ZN4vllm25paged_attention_v1_kernelIthLi256ELi8ELi128ELNS_18Fp8KVCacheDataTypeE1ELb1EEEvPT_PKS2_PKT0_S8_ifPKiSA_iPKfiiiSC_SC_iiiii,"axG",@progbits,_ZN4vllm25paged_attention_v1_kernelIthLi256ELi8ELi128ELNS_18Fp8KVCacheDataTypeE1ELb1EEEvPT_PKS2_PKT0_S8_ifPKiSA_iPKfiiiSC_SC_iiiii,comdat
	.protected	_ZN4vllm25paged_attention_v1_kernelIthLi256ELi8ELi128ELNS_18Fp8KVCacheDataTypeE1ELb1EEEvPT_PKS2_PKT0_S8_ifPKiSA_iPKfiiiSC_SC_iiiii ; -- Begin function _ZN4vllm25paged_attention_v1_kernelIthLi256ELi8ELi128ELNS_18Fp8KVCacheDataTypeE1ELb1EEEvPT_PKS2_PKT0_S8_ifPKiSA_iPKfiiiSC_SC_iiiii
	.globl	_ZN4vllm25paged_attention_v1_kernelIthLi256ELi8ELi128ELNS_18Fp8KVCacheDataTypeE1ELb1EEEvPT_PKS2_PKT0_S8_ifPKiSA_iPKfiiiSC_SC_iiiii
	.p2align	8
	.type	_ZN4vllm25paged_attention_v1_kernelIthLi256ELi8ELi128ELNS_18Fp8KVCacheDataTypeE1ELb1EEEvPT_PKS2_PKT0_S8_ifPKiSA_iPKfiiiSC_SC_iiiii,@function
_ZN4vllm25paged_attention_v1_kernelIthLi256ELi8ELi128ELNS_18Fp8KVCacheDataTypeE1ELb1EEEvPT_PKS2_PKT0_S8_ifPKiSA_iPKfiiiSC_SC_iiiii: ; @_ZN4vllm25paged_attention_v1_kernelIthLi256ELi8ELi128ELNS_18Fp8KVCacheDataTypeE1ELb1EEEvPT_PKS2_PKT0_S8_ifPKiSA_iPKfiiiSC_SC_iiiii
; %bb.0:
	s_load_dword s5, s[0:1], 0x80
	s_load_dwordx2 s[6:7], s[0:1], 0x30
	s_load_dwordx2 s[24:25], s[0:1], 0x20
	s_mov_b32 s28, s3
	s_ashr_i32 s29, s3, 31
	s_lshl_b64 s[8:9], s[28:29], 2
	s_waitcnt lgkmcnt(0)
	s_add_u32 s6, s6, s8
	s_addc_u32 s7, s7, s9
	s_abs_i32 s3, s24
	v_cvt_f32_u32_e32 v1, s3
	s_sub_i32 s10, 0, s3
	s_abs_i32 s9, s5
	s_xor_b32 s8, s5, s24
	v_rcp_iflag_f32_e32 v1, v1
	s_ashr_i32 s8, s8, 31
	s_mov_b32 s45, 0
	v_mul_f32_e32 v1, 0x4f7ffffe, v1
	v_cvt_u32_f32_e32 v1, v1
	s_nop 0
	v_readfirstlane_b32 s11, v1
	s_mul_i32 s10, s10, s11
	s_mul_hi_u32 s10, s11, s10
	s_add_i32 s11, s11, s10
	s_mul_hi_u32 s10, s9, s11
	s_mul_i32 s11, s10, s3
	s_sub_i32 s9, s9, s11
	s_add_i32 s11, s10, 1
	s_sub_i32 s12, s9, s3
	s_cmp_ge_u32 s9, s3
	s_cselect_b32 s10, s11, s10
	s_cselect_b32 s9, s12, s9
	s_add_i32 s11, s10, 1
	s_cmp_ge_u32 s9, s3
	s_cselect_b32 s3, s11, s10
	s_xor_b32 s3, s3, s8
	s_sub_i32 s20, s3, s8
	s_abs_i32 s26, s20
	v_cvt_f32_u32_e32 v1, s26
	s_load_dwordx2 s[8:9], s[0:1], 0x40
	s_sub_i32 s3, 0, s26
	s_abs_i32 s27, s2
	v_rcp_iflag_f32_e32 v1, v1
	s_nop 0
	v_mul_f32_e32 v1, 0x4f7ffffe, v1
	v_cvt_u32_f32_e32 v1, v1
	s_nop 0
	v_readfirstlane_b32 s12, v1
	s_mul_i32 s3, s3, s12
	s_mul_hi_u32 s3, s12, s3
	s_add_i32 s12, s12, s3
	s_waitcnt lgkmcnt(0)
	s_cmp_eq_u64 s[8:9], 0
	s_cbranch_scc1 .LBB226_2
; %bb.1:
	s_ashr_i32 s3, s2, 31
	s_lshl_b64 s[10:11], s[2:3], 2
	s_add_u32 s8, s8, s10
	s_addc_u32 s9, s9, s11
	s_load_dword s45, s[8:9], 0x0
.LBB226_2:
	s_load_dwordx2 s[30:31], s[0:1], 0x0
	s_nop 0
	s_load_dwordx4 s[8:11], s[0:1], 0x10
	s_load_dword s29, s[0:1], 0x88
	s_load_dword s33, s[6:7], 0x0
	s_load_dwordx2 s[36:37], s[0:1], 0x28
	s_load_dwordx4 s[16:19], s[0:1], 0x48
	s_lshl_b32 s34, s2, 8
	s_movk_i32 s6, 0x100
	s_mul_hi_u32 s3, s27, s12
	v_and_b32_e32 v2, 7, v0
	s_ashr_i32 s35, s34, 31
	v_cmp_gt_u32_e32 vcc, s6, v0
	s_and_saveexec_b64 s[6:7], vcc
	s_cbranch_execz .LBB226_5
; %bb.3:
	s_load_dwordx2 s[12:13], s[0:1], 0x8
	s_waitcnt lgkmcnt(0)
	s_mul_i32 s14, s28, s16
	s_ashr_i32 s15, s14, 31
	s_lshl_b64 s[14:15], s[14:15], 1
	s_lshl_b64 s[22:23], s[34:35], 1
	s_add_u32 s14, s14, s22
	s_addc_u32 s15, s15, s23
	v_lshrrev_b32_e32 v4, 3, v0
	v_lshlrev_b32_e32 v5, 1, v2
	s_add_u32 s12, s12, s14
	v_add_u32_e32 v1, -16, v4
	v_lshlrev_b32_e32 v3, 1, v4
	v_lshl_or_b32 v4, v4, 4, v5
	v_mov_b32_e32 v5, 0
	s_addc_u32 s13, s13, s15
	v_lshl_add_u32 v3, v2, 6, v3
	v_lshl_add_u64 v[4:5], s[12:13], 0, v[4:5]
	s_mov_b64 s[12:13], 0
	s_mov_b64 s[14:15], 0x100
.LBB226_4:                              ; =>This Inner Loop Header: Depth=1
	global_load_ushort v6, v[4:5], off
	v_add_co_u32_e32 v1, vcc, 16, v1
	s_xor_b64 s[22:23], vcc, -1
	s_and_b64 s[22:23], exec, s[22:23]
	v_lshl_add_u64 v[4:5], v[4:5], 0, s[14:15]
	s_or_b64 s[12:13], s[22:23], s[12:13]
	s_waitcnt vmcnt(0)
	ds_write_b16 v3, v6
	v_add_u32_e32 v3, 32, v3
	s_andn2_b64 exec, exec, s[12:13]
	s_cbranch_execnz .LBB226_4
.LBB226_5:
	s_or_b64 exec, exec, s[6:7]
	s_ashr_i32 s6, s2, 31
	s_ashr_i32 s7, s20, 31
	s_xor_b32 s6, s6, s7
	s_mul_i32 s7, s3, s26
	s_sub_i32 s7, s27, s7
	s_add_i32 s13, s3, 1
	s_sub_i32 s14, s7, s26
	s_load_dwordx4 s[20:23], s[0:1], 0x68
	s_load_dword s12, s[0:1], 0x78
	s_cmp_ge_u32 s7, s26
	s_cselect_b32 s3, s13, s3
	s_cselect_b32 s7, s14, s7
	s_add_i32 s13, s3, 1
	s_cmp_ge_u32 s7, s26
	s_cselect_b32 s3, s13, s3
	s_waitcnt lgkmcnt(0)
	s_abs_i32 s35, s23
	v_cvt_f32_u32_e32 v1, s35
	s_xor_b32 s3, s3, s6
	s_sub_i32 s44, s3, s6
	s_sub_i32 s6, 0, s35
	v_rcp_iflag_f32_e32 v1, v1
	s_add_i32 s13, s33, -1
	s_abs_i32 s3, s13
	v_mul_f32_e32 v1, 0x4f7ffffe, v1
	v_cvt_u32_f32_e32 v1, v1
	s_barrier
	v_readfirstlane_b32 s42, v1
	s_mul_i32 s6, s6, s42
	s_mul_hi_u32 s6, s42, s6
	s_add_i32 s42, s42, s6
	s_cmp_lt_i32 s12, 0
	s_mul_hi_u32 s16, s3, s42
	s_cbranch_scc0 .LBB226_7
; %bb.6:
	s_mul_i32 s6, s20, s24
	s_add_i32 s6, s44, s6
	s_mul_i32 s6, s6, s12
	s_sub_i32 s43, 1, s6
	s_ashr_i32 s19, s13, 31
	s_ashr_i32 s23, s23, 31
	s_cbranch_execz .LBB226_8
	s_branch .LBB226_9
.LBB226_7:
                                        ; implicit-def: $sgpr43
	s_ashr_i32 s19, s13, 31
	s_ashr_i32 s23, s23, 31
.LBB226_8:
	s_mul_i32 s6, s5, s20
	s_add_i32 s2, s6, s2
	s_mul_i32 s2, s2, s12
	s_add_i32 s43, s2, 1
.LBB226_9:
	s_load_dword s2, s[0:1], 0x38
	s_load_dwordx4 s[12:15], s[0:1], 0x58
	s_mul_i32 s1, s16, s35
	s_sub_i32 s1, s3, s1
	s_xor_b32 s0, s19, s23
	s_waitcnt lgkmcnt(0)
	s_mul_i32 s38, s28, s2
	s_ashr_i32 s39, s38, 31
	s_add_i32 s2, s16, 1
	s_sub_i32 s3, s1, s35
	s_cmp_ge_u32 s1, s35
	s_cselect_b32 s2, s2, s16
	s_cselect_b32 s1, s3, s1
	s_add_i32 s3, s2, 1
	s_cmp_ge_u32 s1, s35
	s_cselect_b32 s1, s3, s2
	s_xor_b32 s1, s1, s0
	s_sub_i32 s16, s1, s0
	s_add_i32 s0, s33, 7
	s_ashr_i32 s1, s0, 31
	s_lshr_b32 s1, s1, 29
	s_add_i32 s0, s0, s1
	s_ashr_i32 s20, s0, 3
	v_lshrrev_b32_e32 v1, 6, v0
	v_cmp_gt_i32_e64 s[0:1], s20, v1
	v_mov_b32_e32 v14, 0xff7fffff
	s_mul_i32 s44, s44, s18
	v_lshrrev_b32_e32 v10, 4, v0
	v_lshlrev_b32_e32 v15, 3, v1
	v_mbcnt_lo_u32_b32 v11, -1, 0
	s_and_saveexec_b64 s[18:19], s[0:1]
	s_cbranch_execz .LBB226_19
; %bb.10:
	s_sub_i32 s24, s16, s21
	s_ashr_i32 s3, s44, 31
	s_add_u32 s2, s8, s44
	s_addc_u32 s3, s9, s3
	s_abs_i32 s46, s22
	v_cvt_f32_u32_e32 v3, s46
	v_bfe_u32 v12, v0, 3, 3
	s_sub_i32 s6, 0, s46
	v_lshlrev_b32_e32 v8, 2, v12
	v_rcp_iflag_f32_e32 v6, v3
	v_lshl_or_b32 v8, v1, 5, v8
	v_mov_b32_e32 v3, 0
	v_add_u32_e32 v18, 0x210, v8
	v_mul_f32_e32 v6, 0x4f7ffffe, v6
	v_cvt_u32_f32_e32 v6, v6
	v_subrev_u32_e32 v8, s33, v12
	v_mbcnt_hi_u32_b32 v21, -1, v11
	v_lshlrev_b32_e32 v4, 4, v12
	v_mul_lo_u32 v7, s6, v6
	s_lshl_b64 s[6:7], s[38:39], 2
	v_mul_hi_u32 v7, v6, v7
	s_add_u32 s6, s36, s6
	v_mov_b32_e32 v5, v3
	v_add_u32_e32 v16, v6, v7
	v_and_b32_e32 v6, 60, v10
	v_mov_b32_e32 v7, v3
	s_addc_u32 s7, s37, s7
	v_add_u32_e32 v19, 1, v8
	v_and_b32_e32 v8, 64, v21
	v_cmp_eq_u32_e32 vcc, 0, v2
	s_mov_b32 s47, s17
	v_lshl_add_u64 v[4:5], s[2:3], 0, v[4:5]
	v_lshlrev_b32_e32 v13, 6, v2
	v_cmp_neq_f32_e64 s[2:3], s45, 0
	v_lshl_add_u64 v[6:7], s[6:7], 0, v[6:7]
	v_lshlrev_b32_e32 v17, 3, v1
	s_mov_b64 s[26:27], 0
	v_mov_b32_e32 v20, 0xff7fffff
	v_add_u32_e32 v22, 64, v8
	v_xor_b32_e32 v23, 4, v21
	v_xor_b32_e32 v24, 2, v21
	;; [unrolled: 1-line block ×3, first 2 shown]
	v_mov_b32_e32 v14, 0xff7fffff
	v_mov_b32_e32 v26, v1
	s_branch .LBB226_13
.LBB226_11:                             ;   in Loop: Header=BB226_13 Depth=1
	s_or_b64 exec, exec, s[40:41]
.LBB226_12:                             ;   in Loop: Header=BB226_13 Depth=1
	s_or_b64 exec, exec, s[8:9]
	v_add_u32_e32 v26, 2, v26
	v_cmp_le_i32_e64 s[6:7], s20, v26
	v_lshl_add_u64 v[6:7], v[6:7], 0, 8
	v_add_u32_e32 v17, 16, v17
	s_or_b64 s[26:27], s[6:7], s[26:27]
	v_add_u32_e32 v18, 64, v18
	s_andn2_b64 exec, exec, s[26:27]
	s_cbranch_execz .LBB226_18
.LBB226_13:                             ; =>This Inner Loop Header: Depth=1
	v_mul_hi_u32 v8, v17, s42
	s_waitcnt lgkmcnt(0)
	v_mul_lo_u32 v9, v8, s35
	v_sub_u32_e32 v9, v17, v9
	v_add_u32_e32 v27, 1, v8
	v_cmp_le_u32_e64 s[6:7], s35, v9
	s_nop 1
	v_cndmask_b32_e64 v8, v8, v27, s[6:7]
	v_subrev_u32_e32 v27, s35, v9
	v_cndmask_b32_e64 v9, v9, v27, s[6:7]
	v_add_u32_e32 v27, 1, v8
	v_cmp_le_u32_e64 s[6:7], s35, v9
	s_nop 1
	v_cndmask_b32_e64 v8, v8, v27, s[6:7]
	v_xor_b32_e32 v8, s23, v8
	v_subrev_u32_e32 v8, s23, v8
	v_add_u32_e32 v9, s43, v8
	v_sub_u32_e32 v28, 0, v9
	v_ashrrev_i32_e32 v27, 31, v9
	v_max_i32_e32 v9, v9, v28
	v_mul_hi_u32 v28, v9, v16
	v_mul_lo_u32 v28, v28, s46
	v_sub_u32_e32 v9, v9, v28
	v_subrev_u32_e32 v28, s46, v9
	v_cmp_le_u32_e64 s[6:7], s46, v9
	v_cmp_ge_i32_e64 s[8:9], s24, v8
	s_nop 0
	v_cndmask_b32_e64 v9, v9, v28, s[6:7]
	v_subrev_u32_e32 v28, s46, v9
	v_cmp_le_u32_e64 s[6:7], s46, v9
	s_nop 1
	v_cndmask_b32_e64 v9, v9, v28, s[6:7]
	v_xor_b32_e32 v9, v9, v27
	v_sub_u32_e32 v9, v9, v27
	v_cmp_ne_u32_e64 s[6:7], 0, v9
	s_and_b64 s[6:7], s[6:7], s[8:9]
	s_and_b64 s[40:41], vcc, s[6:7]
	s_and_saveexec_b64 s[8:9], s[40:41]
	s_cbranch_execz .LBB226_15
; %bb.14:                               ;   in Loop: Header=BB226_13 Depth=1
	ds_write_b32 v18, v20
.LBB226_15:                             ;   in Loop: Header=BB226_13 Depth=1
	s_or_b64 exec, exec, s[8:9]
	s_xor_b64 s[6:7], s[6:7], -1
	s_and_saveexec_b64 s[8:9], s[6:7]
	s_cbranch_execz .LBB226_12
; %bb.16:                               ;   in Loop: Header=BB226_13 Depth=1
	global_load_dword v8, v[6:7], off
	s_waitcnt vmcnt(0)
	v_mad_i64_i32 v[8:9], s[6:7], v8, s47, v[4:5]
	v_lshl_add_u64 v[8:9], v[8:9], 0, v[2:3]
	global_load_ubyte v46, v[8:9], off
	global_load_ubyte v45, v[8:9], off offset:8
	global_load_dword v27, v3, s[12:13]
	global_load_ubyte v42, v[8:9], off offset:128
	global_load_ubyte v38, v[8:9], off offset:136
	global_load_ubyte v41, v[8:9], off offset:256
	global_load_ubyte v36, v[8:9], off offset:264
	global_load_ubyte v40, v[8:9], off offset:384
	global_load_ubyte v34, v[8:9], off offset:392
	global_load_ubyte v39, v[8:9], off offset:512
	global_load_ubyte v32, v[8:9], off offset:520
	global_load_ubyte v37, v[8:9], off offset:640
	global_load_ubyte v30, v[8:9], off offset:648
	global_load_ubyte v35, v[8:9], off offset:768
	global_load_ubyte v29, v[8:9], off offset:776
	global_load_ubyte v33, v[8:9], off offset:896
	global_load_ubyte v28, v[8:9], off offset:904
	global_load_ubyte v31, v[8:9], off offset:1024
	ds_read_u16 v51, v13
	global_load_ubyte v43, v[8:9], off offset:1032
	global_load_ubyte v44, v[8:9], off offset:1152
	;; [unrolled: 1-line block ×7, first 2 shown]
	v_cmp_lt_i32_e64 s[6:7], v23, v22
	s_waitcnt vmcnt(24)
	v_cvt_f32_fp8_sdwa v58, v46 src0_sel:BYTE_0
	global_load_ubyte v59, v[8:9], off offset:1536
	global_load_ubyte v60, v[8:9], off offset:1544
	global_load_ubyte v61, v[8:9], off offset:1664
	global_load_ubyte v50, v[8:9], off offset:1672
	global_load_ubyte v49, v[8:9], off offset:1792
	global_load_ubyte v47, v[8:9], off offset:1800
	global_load_ubyte v48, v[8:9], off offset:1920
	global_load_ubyte v46, v[8:9], off offset:1928
	s_waitcnt lgkmcnt(0)
	;;#ASMSTART
	v_cvt_f32_f16 v8, v51;
	;;#ASMEND
	s_waitcnt vmcnt(31)
	v_cvt_f32_fp8_sdwa v51, v45 src0_sel:BYTE_0
	s_waitcnt vmcnt(29)
	v_cvt_f32_fp8_sdwa v42, v42 src0_sel:BYTE_0
	v_fma_mixlo_f16 v9, v27, v58, 0
	s_waitcnt vmcnt(28)
	v_cvt_f32_fp8_sdwa v38, v38 src0_sel:BYTE_0
	v_fma_mixlo_f16 v51, v27, v51, 0
	v_cndmask_b32_e64 v52, v21, v23, s[6:7]
	v_and_b32_e32 v9, 0xffff, v9
	v_and_b32_e32 v51, 0xffff, v51
	s_waitcnt vmcnt(27)
	v_cvt_f32_fp8_sdwa v41, v41 src0_sel:BYTE_0
	;;#ASMSTART
	v_cvt_f32_f16 v9, v9;
	;;#ASMEND
	ds_read_u16 v58, v13 offset:2
	v_lshlrev_b32_e32 v45, 2, v52
	s_waitcnt lgkmcnt(0)
	;;#ASMSTART
	v_cvt_f32_f16 v52, v58;
	;;#ASMEND
	;;#ASMSTART
	v_cvt_f32_f16 v51, v51;
	;;#ASMEND
	s_waitcnt vmcnt(26)
	v_cvt_f32_fp8_sdwa v36, v36 src0_sel:BYTE_0
	v_fma_mixlo_f16 v42, v27, v42, 0
	s_waitcnt vmcnt(25)
	v_cvt_f32_fp8_sdwa v40, v40 src0_sel:BYTE_0
	v_mul_f32_e32 v51, v52, v51
	ds_read_u16 v58, v13 offset:4
	v_and_b32_e32 v42, 0xffff, v42
	v_fma_mixlo_f16 v38, v27, v38, 0
	s_waitcnt vmcnt(24)
	v_cvt_f32_fp8_sdwa v34, v34 src0_sel:BYTE_0
	v_fmac_f32_e32 v51, v8, v9
	s_waitcnt lgkmcnt(0)
	;;#ASMSTART
	v_cvt_f32_f16 v58, v58;
	;;#ASMEND
	;;#ASMSTART
	v_cvt_f32_f16 v42, v42;
	;;#ASMEND
	ds_read_u16 v62, v13 offset:6
	v_and_b32_e32 v38, 0xffff, v38
	s_waitcnt vmcnt(23)
	v_cvt_f32_fp8_sdwa v39, v39 src0_sel:BYTE_0
	v_fma_mixlo_f16 v41, v27, v41, 0
	v_fmac_f32_e32 v51, v58, v42
	s_waitcnt lgkmcnt(0)
	;;#ASMSTART
	v_cvt_f32_f16 v62, v62;
	;;#ASMEND
	;;#ASMSTART
	v_cvt_f32_f16 v38, v38;
	;;#ASMEND
	ds_read_u16 v63, v13 offset:8
	v_and_b32_e32 v41, 0xffff, v41
	s_waitcnt vmcnt(22)
	v_cvt_f32_fp8_sdwa v32, v32 src0_sel:BYTE_0
	v_fma_mixlo_f16 v36, v27, v36, 0
	v_fmac_f32_e32 v51, v62, v38
	s_waitcnt lgkmcnt(0)
	;;#ASMSTART
	v_cvt_f32_f16 v63, v63;
	;;#ASMEND
	;;#ASMSTART
	v_cvt_f32_f16 v41, v41;
	;;#ASMEND
	ds_read_u16 v64, v13 offset:10
	s_waitcnt vmcnt(21)
	v_cvt_f32_fp8_sdwa v37, v37 src0_sel:BYTE_0
	v_and_b32_e32 v36, 0xffff, v36
	v_fma_mixlo_f16 v40, v27, v40, 0
	v_fmac_f32_e32 v51, v63, v41
	s_waitcnt lgkmcnt(0)
	;;#ASMSTART
	v_cvt_f32_f16 v64, v64;
	;;#ASMEND
	;;#ASMSTART
	v_cvt_f32_f16 v36, v36;
	;;#ASMEND
	ds_read_u16 v65, v13 offset:12
	s_waitcnt vmcnt(20)
	v_cvt_f32_fp8_sdwa v30, v30 src0_sel:BYTE_0
	v_and_b32_e32 v40, 0xffff, v40
	v_fma_mixlo_f16 v34, v27, v34, 0
	v_fmac_f32_e32 v51, v64, v36
	s_waitcnt vmcnt(19)
	v_cvt_f32_fp8_sdwa v35, v35 src0_sel:BYTE_0
	s_waitcnt lgkmcnt(0)
	;;#ASMSTART
	v_cvt_f32_f16 v65, v65;
	;;#ASMEND
	;;#ASMSTART
	v_cvt_f32_f16 v40, v40;
	;;#ASMEND
	ds_read_u16 v66, v13 offset:14
	v_and_b32_e32 v34, 0xffff, v34
	v_fma_mixlo_f16 v39, v27, v39, 0
	v_fmac_f32_e32 v51, v65, v40
	s_waitcnt vmcnt(18)
	v_cvt_f32_fp8_sdwa v29, v29 src0_sel:BYTE_0
	s_waitcnt lgkmcnt(0)
	;;#ASMSTART
	v_cvt_f32_f16 v66, v66;
	;;#ASMEND
	;;#ASMSTART
	v_cvt_f32_f16 v34, v34;
	;;#ASMEND
	ds_read_u16 v67, v13 offset:16
	;; [unrolled: 13-line block ×10, first 2 shown]
	v_fma_mixlo_f16 v43, v27, v43, 0
	v_and_b32_e32 v31, 0xffff, v31
	v_fmac_f32_e32 v51, v74, v28
	s_waitcnt vmcnt(9)
	v_cvt_f32_fp8_sdwa v56, v56 src0_sel:BYTE_0
	s_waitcnt vmcnt(8)
	v_cvt_f32_fp8_sdwa v57, v57 src0_sel:BYTE_0
	;; [unrolled: 2-line block ×10, first 2 shown]
	s_waitcnt lgkmcnt(0)
	;;#ASMSTART
	v_cvt_f32_f16 v75, v75;
	;;#ASMEND
	;;#ASMSTART
	v_cvt_f32_f16 v31, v31;
	;;#ASMEND
	ds_read_u16 v76, v13 offset:34
	v_fma_mixlo_f16 v44, v27, v44, 0
	v_and_b32_e32 v43, 0xffff, v43
	v_fmac_f32_e32 v51, v75, v31
	v_fma_mixlo_f16 v53, v27, v53, 0
	s_waitcnt lgkmcnt(0)
	;;#ASMSTART
	v_cvt_f32_f16 v76, v76;
	;;#ASMEND
	;;#ASMSTART
	v_cvt_f32_f16 v43, v43;
	;;#ASMEND
	ds_read_u16 v77, v13 offset:36
	v_and_b32_e32 v44, 0xffff, v44
	v_fmac_f32_e32 v51, v76, v43
	v_fma_mixlo_f16 v54, v27, v54, 0
	s_waitcnt lgkmcnt(0)
	;;#ASMSTART
	v_cvt_f32_f16 v77, v77;
	;;#ASMEND
	;;#ASMSTART
	v_cvt_f32_f16 v44, v44;
	;;#ASMEND
	ds_read_u16 v78, v13 offset:38
	;; [unrolled: 11-line block ×3, first 2 shown]
	v_and_b32_e32 v54, 0xffff, v54
	v_fmac_f32_e32 v51, v78, v53
	v_fma_mixlo_f16 v56, v27, v56, 0
	v_fma_mixlo_f16 v57, v27, v57, 0
	;; [unrolled: 1-line block ×8, first 2 shown]
	s_waitcnt lgkmcnt(0)
	;;#ASMSTART
	v_cvt_f32_f16 v79, v79;
	;;#ASMEND
	;;#ASMSTART
	v_cvt_f32_f16 v54, v54;
	;;#ASMEND
	ds_read_u16 v80, v13 offset:42
	v_fma_mixlo_f16 v48, v27, v48, 0
	v_fma_mixlo_f16 v27, v27, v46, 0
	v_and_b32_e32 v46, 0xffff, v55
	v_fmac_f32_e32 v51, v79, v54
	v_and_b32_e32 v55, 0xffff, v56
	s_waitcnt lgkmcnt(0)
	;;#ASMSTART
	v_cvt_f32_f16 v56, v80;
	;;#ASMEND
	;;#ASMSTART
	v_cvt_f32_f16 v46, v46;
	;;#ASMEND
	ds_read_u16 v80, v13 offset:44
	v_fmac_f32_e32 v51, v56, v46
	v_and_b32_e32 v57, 0xffff, v57
	s_waitcnt lgkmcnt(0)
	;;#ASMSTART
	v_cvt_f32_f16 v80, v80;
	;;#ASMEND
	;;#ASMSTART
	v_cvt_f32_f16 v55, v55;
	;;#ASMEND
	ds_read_u16 v81, v13 offset:46
	v_fmac_f32_e32 v51, v80, v55
	s_waitcnt lgkmcnt(0)
	;;#ASMSTART
	v_cvt_f32_f16 v81, v81;
	;;#ASMEND
	;;#ASMSTART
	v_cvt_f32_f16 v57, v57;
	;;#ASMEND
	v_and_b32_e32 v59, 0xffff, v59
	v_fmac_f32_e32 v51, v81, v57
	ds_read_u16 v82, v13 offset:48
	s_waitcnt lgkmcnt(0)
	;;#ASMSTART
	v_cvt_f32_f16 v8, v82;
	;;#ASMEND
	;;#ASMSTART
	v_cvt_f32_f16 v9, v59;
	;;#ASMEND
	v_and_b32_e32 v60, 0xffff, v60
	v_fmac_f32_e32 v51, v8, v9
	ds_read_u16 v42, v13 offset:50
	;; [unrolled: 10-line block ×4, first 2 shown]
	s_waitcnt lgkmcnt(0)
	;;#ASMSTART
	v_cvt_f32_f16 v29, v37;
	;;#ASMEND
	;;#ASMSTART
	v_cvt_f32_f16 v30, v50;
	;;#ASMEND
	ds_read_u16 v33, v13 offset:56
	v_fmac_f32_e32 v51, v29, v30
	v_and_b32_e32 v49, 0xffff, v49
	s_waitcnt lgkmcnt(0)
	;;#ASMSTART
	v_cvt_f32_f16 v28, v33;
	;;#ASMEND
	;;#ASMSTART
	v_cvt_f32_f16 v31, v49;
	;;#ASMEND
	ds_read_u16 v33, v13 offset:58
	v_fmac_f32_e32 v51, v28, v31
	v_and_b32_e32 v47, 0xffff, v47
	s_waitcnt lgkmcnt(0)
	;;#ASMSTART
	v_cvt_f32_f16 v33, v33;
	;;#ASMEND
	;;#ASMSTART
	v_cvt_f32_f16 v35, v47;
	;;#ASMEND
	v_and_b32_e32 v48, 0xffff, v48
	v_fmac_f32_e32 v51, v33, v35
	ds_read_u16 v37, v13 offset:60
	s_waitcnt lgkmcnt(0)
	;;#ASMSTART
	v_cvt_f32_f16 v8, v37;
	;;#ASMEND
	;;#ASMSTART
	v_cvt_f32_f16 v9, v48;
	;;#ASMEND
	v_and_b32_e32 v27, 0xffff, v27
	v_fmac_f32_e32 v51, v8, v9
	ds_read_u16 v32, v13 offset:62
	s_waitcnt lgkmcnt(0)
	;;#ASMSTART
	v_cvt_f32_f16 v8, v32;
	;;#ASMEND
	;;#ASMSTART
	v_cvt_f32_f16 v9, v27;
	;;#ASMEND
	v_cmp_lt_i32_e64 s[6:7], v24, v22
	v_fmac_f32_e32 v51, v8, v9
	ds_bpermute_b32 v8, v45, v51
	v_cndmask_b32_e64 v9, v21, v24, s[6:7]
	v_lshlrev_b32_e32 v9, 2, v9
	v_cmp_lt_i32_e64 s[6:7], v25, v22
	s_waitcnt lgkmcnt(0)
	v_add_f32_e32 v8, v51, v8
	ds_bpermute_b32 v9, v9, v8
	v_cndmask_b32_e64 v27, v21, v25, s[6:7]
	s_waitcnt lgkmcnt(0)
	v_add_f32_e32 v8, v8, v9
	v_lshlrev_b32_e32 v9, 2, v27
	ds_bpermute_b32 v9, v9, v8
	s_and_saveexec_b64 s[40:41], vcc
	s_cbranch_execz .LBB226_11
; %bb.17:                               ;   in Loop: Header=BB226_13 Depth=1
	v_add_u32_e32 v27, v19, v17
	v_cvt_f32_i32_e32 v27, v27
	s_waitcnt lgkmcnt(0)
	v_add_f32_e32 v8, v8, v9
	v_add_u32_e32 v28, v12, v17
	v_cmp_gt_i32_e64 s[6:7], s33, v28
	v_mul_f32_e32 v9, s45, v27
	v_cndmask_b32_e64 v9, 0, v9, s[2:3]
	v_fmac_f32_e32 v9, s25, v8
	v_cndmask_b32_e64 v8, 0, v9, s[6:7]
	ds_write_b32 v18, v8
	v_max_f32_e32 v8, v14, v14
	v_max_f32_e32 v8, v8, v9
	v_cndmask_b32_e64 v14, v14, v8, s[6:7]
	s_branch .LBB226_11
.LBB226_18:
	s_or_b64 exec, exec, s[26:27]
.LBB226_19:
	s_or_b64 exec, exec, s[18:19]
	v_mbcnt_hi_u32_b32 v2, -1, v11
	v_and_b32_e32 v3, 64, v2
	v_add_u32_e32 v3, 64, v3
	v_xor_b32_e32 v4, 32, v2
	v_cmp_lt_i32_e32 vcc, v4, v3
	v_xor_b32_e32 v7, 16, v2
	v_max_f32_e32 v6, v14, v14
	v_cndmask_b32_e32 v4, v2, v4, vcc
	v_lshlrev_b32_e32 v5, 2, v4
	ds_bpermute_b32 v4, v5, v14
	v_cmp_lt_i32_e32 vcc, v7, v3
	v_xor_b32_e32 v8, 8, v2
	v_and_b32_e32 v22, 63, v0
	s_waitcnt lgkmcnt(0)
	v_max_f32_e32 v4, v4, v4
	v_max_f32_e32 v4, v6, v4
	v_cndmask_b32_e32 v6, v2, v7, vcc
	v_lshlrev_b32_e32 v7, 2, v6
	ds_bpermute_b32 v6, v7, v4
	v_cmp_lt_i32_e32 vcc, v8, v3
	s_waitcnt lgkmcnt(0)
	v_max_f32_e32 v6, v6, v6
	v_max_f32_e32 v6, v4, v6
	v_cndmask_b32_e32 v4, v2, v8, vcc
	v_lshlrev_b32_e32 v9, 2, v4
	ds_bpermute_b32 v8, v9, v6
	v_cmp_eq_u32_e32 vcc, 0, v22
	v_lshlrev_b32_e32 v4, 2, v1
	s_and_saveexec_b64 s[2:3], vcc
	s_cbranch_execz .LBB226_21
; %bb.20:
	s_waitcnt lgkmcnt(0)
	v_max_f32_e32 v8, v8, v8
	v_max_f32_e32 v6, v6, v6
	;; [unrolled: 1-line block ×3, first 2 shown]
	ds_write_b32 v4, v6 offset:512
.LBB226_21:
	s_or_b64 exec, exec, s[2:3]
	v_cmp_gt_u32_e64 s[2:3], 2, v22
	v_mov_b32_e32 v11, 0xff7fffff
	v_lshlrev_b32_e32 v6, 2, v22
	s_waitcnt lgkmcnt(0)
	s_barrier
	s_and_saveexec_b64 s[6:7], s[2:3]
	s_cbranch_execz .LBB226_23
; %bb.22:
	ds_read_b32 v11, v6 offset:512
.LBB226_23:
	s_or_b64 exec, exec, s[6:7]
	v_xor_b32_e32 v8, 1, v2
	v_cmp_lt_i32_e64 s[6:7], v8, v3
	v_lshlrev_b32_e32 v13, 2, v2
	s_nop 0
	v_cndmask_b32_e64 v8, v2, v8, s[6:7]
	v_lshlrev_b32_e32 v8, 2, v8
	s_waitcnt lgkmcnt(0)
	ds_bpermute_b32 v12, v8, v11
	v_max_f32_e32 v11, v11, v11
	s_lshl_b32 s6, s20, 3
	s_min_i32 s24, s6, s33
	v_cmp_gt_i32_e64 s[6:7], s24, v0
	s_waitcnt lgkmcnt(0)
	v_max_f32_e32 v12, v12, v12
	v_max_f32_e32 v12, v11, v12
	v_and_b32_e32 v11, 0x100, v13
	ds_bpermute_b32 v13, v11, v12
	v_mov_b32_e32 v12, 0
	s_and_saveexec_b64 s[12:13], s[6:7]
	s_cbranch_execz .LBB226_27
; %bb.24:
	v_mov_b32_e32 v12, 0x210
	v_lshl_add_u32 v14, v0, 2, v12
	s_mov_b64 s[18:19], 0
	v_mov_b32_e32 v12, 0
	v_mov_b32_e32 v16, v0
.LBB226_25:                             ; =>This Inner Loop Header: Depth=1
	ds_read_b32 v17, v14
	v_add_u32_e32 v16, 0x80, v16
	v_cmp_le_i32_e64 s[8:9], s24, v16
	s_or_b64 s[18:19], s[8:9], s[18:19]
	s_waitcnt lgkmcnt(0)
	v_sub_f32_e32 v17, v17, v13
	v_mul_f32_e32 v17, 0x3fb8aa3b, v17
	v_exp_f32_e32 v17, v17
	ds_write_b32 v14, v17
	v_add_f32_e32 v12, v12, v17
	v_add_u32_e32 v14, 0x200, v14
	s_andn2_b64 exec, exec, s[18:19]
	s_cbranch_execnz .LBB226_25
; %bb.26:
	s_or_b64 exec, exec, s[18:19]
.LBB226_27:
	s_or_b64 exec, exec, s[12:13]
	ds_bpermute_b32 v5, v5, v12
	s_waitcnt lgkmcnt(0)
	v_add_f32_e32 v5, v12, v5
	ds_bpermute_b32 v7, v7, v5
	s_waitcnt lgkmcnt(0)
	v_add_f32_e32 v5, v5, v7
	ds_bpermute_b32 v7, v9, v5
	v_xor_b32_e32 v9, 4, v2
	v_cmp_lt_i32_e64 s[8:9], v9, v3
	s_waitcnt lgkmcnt(0)
	v_add_f32_e32 v5, v5, v7
	v_cndmask_b32_e64 v9, v2, v9, s[8:9]
	v_lshlrev_b32_e32 v9, 2, v9
	ds_bpermute_b32 v7, v9, v5
	v_xor_b32_e32 v9, 2, v2
	v_cmp_lt_i32_e64 s[8:9], v9, v3
	s_waitcnt lgkmcnt(0)
	v_add_f32_e32 v3, v5, v7
	v_cndmask_b32_e64 v2, v2, v9, s[8:9]
	v_lshlrev_b32_e32 v2, 2, v2
	ds_bpermute_b32 v2, v2, v3
	s_waitcnt lgkmcnt(0)
	v_add_f32_e32 v2, v3, v2
	ds_bpermute_b32 v3, v8, v2
	s_waitcnt lgkmcnt(0)
	v_add_f32_e32 v2, v2, v3
	s_and_saveexec_b64 s[8:9], vcc
	s_cbranch_execz .LBB226_29
; %bb.28:
	ds_write_b32 v4, v2 offset:520
.LBB226_29:
	s_or_b64 exec, exec, s[8:9]
	s_waitcnt lgkmcnt(0)
	s_barrier
	s_and_saveexec_b64 s[8:9], s[2:3]
	s_cbranch_execz .LBB226_31
; %bb.30:
	ds_read_b32 v2, v6 offset:520
.LBB226_31:
	s_or_b64 exec, exec, s[8:9]
	s_waitcnt lgkmcnt(0)
	ds_bpermute_b32 v3, v8, v2
	s_waitcnt lgkmcnt(0)
	v_add_f32_e32 v2, v2, v3
	ds_bpermute_b32 v2, v11, v2
	s_and_saveexec_b64 s[2:3], s[6:7]
	s_cbranch_execz .LBB226_44
; %bb.32:
	s_waitcnt lgkmcnt(0)
	v_add_f32_e32 v2, 0x358637bd, v2
	v_div_scale_f32 v3, s[6:7], v2, v2, 1.0
	v_rcp_f32_e32 v4, v3
	v_div_scale_f32 v5, vcc, 1.0, v2, 1.0
	s_movk_i32 s6, 0x7f
	v_fma_f32 v6, -v3, v4, 1.0
	v_fmac_f32_e32 v4, v6, v4
	v_mul_f32_e32 v6, v5, v4
	v_fma_f32 v7, -v3, v6, v5
	v_fmac_f32_e32 v6, v7, v4
	v_fma_f32 v3, -v3, v6, v5
	v_div_fmas_f32 v3, v3, v4, v6
	v_xad_u32 v4, v0, -1, s24
	v_div_fixup_f32 v2, v3, v2, 1.0
	v_cmp_lt_u32_e32 vcc, s6, v4
	s_mov_b64 s[8:9], -1
	v_mov_b32_e32 v3, v0
	s_and_saveexec_b64 s[6:7], vcc
	s_cbranch_execz .LBB226_41
; %bb.33:
	v_lshrrev_b32_e32 v4, 7, v4
	v_add_u32_e32 v6, -1, v4
	v_lshrrev_b32_e32 v5, 1, v6
	v_mov_b32_e32 v3, v2
	v_add_u32_e32 v5, 1, v5
	v_cmp_lt_u32_e32 vcc, 13, v6
	v_mov_b32_e32 v8, 0
	s_and_saveexec_b64 s[8:9], vcc
	s_cbranch_execz .LBB226_37
; %bb.34:
	v_mov_b32_e32 v7, 0x210
	v_and_b32_e32 v6, -8, v5
	v_lshl_add_u32 v7, v0, 2, v7
	s_mov_b32 s18, 0
	s_mov_b64 s[12:13], 0
.LBB226_35:                             ; =>This Inner Loop Header: Depth=1
	ds_read2st64_b32 v[8:9], v7 offset1:2
	ds_read2st64_b32 v[12:13], v7 offset0:4 offset1:6
	ds_read2st64_b32 v[16:17], v7 offset0:8 offset1:10
	;; [unrolled: 1-line block ×3, first 2 shown]
	v_add_u32_e32 v6, -8, v6
	s_waitcnt lgkmcnt(3)
	v_pk_mul_f32 v[8:9], v[2:3], v[8:9]
	s_waitcnt lgkmcnt(2)
	v_pk_mul_f32 v[12:13], v[2:3], v[12:13]
	ds_write2st64_b32 v7, v8, v9 offset1:2
	ds_write2st64_b32 v7, v12, v13 offset0:4 offset1:6
	ds_read2st64_b32 v[12:13], v7 offset0:16 offset1:18
	s_waitcnt lgkmcnt(4)
	v_pk_mul_f32 v[8:9], v[2:3], v[16:17]
	ds_write2st64_b32 v7, v8, v9 offset0:8 offset1:10
	s_waitcnt lgkmcnt(4)
	v_pk_mul_f32 v[8:9], v[2:3], v[18:19]
	ds_write2st64_b32 v7, v8, v9 offset0:12 offset1:14
	ds_read2st64_b32 v[8:9], v7 offset0:20 offset1:22
	s_waitcnt lgkmcnt(3)
	v_pk_mul_f32 v[12:13], v[2:3], v[12:13]
	ds_read2st64_b32 v[16:17], v7 offset0:24 offset1:26
	ds_write2st64_b32 v7, v12, v13 offset0:16 offset1:18
	ds_read2st64_b32 v[12:13], v7 offset0:28 offset1:30
	s_waitcnt lgkmcnt(3)
	v_pk_mul_f32 v[8:9], v[2:3], v[8:9]
	ds_write2st64_b32 v7, v8, v9 offset0:20 offset1:22
	s_waitcnt lgkmcnt(3)
	v_pk_mul_f32 v[8:9], v[2:3], v[16:17]
	ds_write2st64_b32 v7, v8, v9 offset0:24 offset1:26
	s_waitcnt lgkmcnt(2)
	v_pk_mul_f32 v[8:9], v[2:3], v[12:13]
	s_add_i32 s18, s18, 16
	v_cmp_eq_u32_e32 vcc, 0, v6
	ds_write2st64_b32 v7, v8, v9 offset0:28 offset1:30
	v_add_u32_e32 v7, 0x2000, v7
	s_or_b64 s[12:13], vcc, s[12:13]
	v_mov_b32_e32 v8, s18
	s_andn2_b64 exec, exec, s[12:13]
	s_cbranch_execnz .LBB226_35
; %bb.36:
	s_or_b64 exec, exec, s[12:13]
.LBB226_37:
	s_or_b64 exec, exec, s[8:9]
	v_and_b32_e32 v5, 7, v5
	v_cmp_ne_u32_e32 vcc, 0, v5
	s_and_saveexec_b64 s[8:9], vcc
	s_cbranch_execz .LBB226_40
; %bb.38:
	v_lshlrev_b32_e32 v6, 9, v8
	v_lshlrev_b32_e32 v7, 2, v0
	s_movk_i32 s12, 0x210
	v_add3_u32 v6, v6, v7, s12
	s_mov_b64 s[12:13], 0
.LBB226_39:                             ; =>This Inner Loop Header: Depth=1
	ds_read2st64_b32 v[8:9], v6 offset1:2
	v_add_u32_e32 v5, -1, v5
	v_cmp_eq_u32_e32 vcc, 0, v5
	s_or_b64 s[12:13], vcc, s[12:13]
	s_waitcnt lgkmcnt(0)
	v_pk_mul_f32 v[8:9], v[2:3], v[8:9]
	ds_write2st64_b32 v6, v8, v9 offset1:2
	v_add_u32_e32 v6, 0x400, v6
	s_andn2_b64 exec, exec, s[12:13]
	s_cbranch_execnz .LBB226_39
.LBB226_40:
	s_or_b64 exec, exec, s[8:9]
	v_add_u32_e32 v4, 1, v4
	v_and_b32_e32 v5, 0x3fffffe, v4
	v_cmp_ne_u32_e32 vcc, v4, v5
	v_lshl_add_u32 v3, v5, 7, v0
	s_orn2_b64 s[8:9], vcc, exec
.LBB226_41:
	s_or_b64 exec, exec, s[6:7]
	s_and_b64 exec, exec, s[8:9]
	s_cbranch_execz .LBB226_44
; %bb.42:
	v_mov_b32_e32 v4, 0x210
	v_lshl_add_u32 v4, v3, 2, v4
	s_mov_b64 s[6:7], 0
.LBB226_43:                             ; =>This Inner Loop Header: Depth=1
	ds_read_b32 v5, v4
	v_add_u32_e32 v3, 0x80, v3
	v_cmp_le_i32_e32 vcc, s24, v3
	s_or_b64 s[6:7], vcc, s[6:7]
	s_waitcnt lgkmcnt(0)
	v_mul_f32_e32 v5, v2, v5
	ds_write_b32 v4, v5
	v_add_u32_e32 v4, 0x200, v4
	s_andn2_b64 exec, exec, s[6:7]
	s_cbranch_execnz .LBB226_43
.LBB226_44:
	s_or_b64 exec, exec, s[2:3]
	s_mov_b32 s24, 0
	s_mov_b32 s25, s24
	s_mov_b32 s26, s24
	s_mov_b32 s27, s24
	s_waitcnt lgkmcnt(0)
	v_mov_b64_e32 v[2:3], s[24:25]
	v_mov_b64_e32 v[4:5], s[26:27]
	s_barrier
	s_and_saveexec_b64 s[2:3], s[0:1]
	s_cbranch_execz .LBB226_314
; %bb.45:
	s_sub_i32 s18, s16, s21
	s_ashr_i32 s1, s44, 31
	s_add_u32 s0, s10, s44
	s_addc_u32 s1, s11, s1
	s_abs_i32 s19, s22
	v_cvt_f32_u32_e32 v2, s19
	s_sub_i32 s6, 0, s19
	v_lshlrev_b32_e32 v6, 3, v22
	v_mov_b32_e32 v7, 0
	v_rcp_iflag_f32_e32 v2, v2
	s_add_i32 s40, s20, -1
	v_lshl_add_u64 v[8:9], s[0:1], 0, v[6:7]
	s_lshl_b64 s[0:1], s[38:39], 2
	v_mul_f32_e32 v2, 0x4f7ffffe, v2
	v_cvt_u32_f32_e32 v2, v2
	s_add_u32 s0, s36, s0
	v_and_b32_e32 v6, 60, v10
	s_addc_u32 s1, s37, s1
	v_mul_lo_u32 v3, s6, v2
	v_mul_hi_u32 v3, v2, v3
	v_add_u32_e32 v23, v2, v3
	v_mov_b32_e32 v2, 0x210
	v_lshl_add_u32 v24, v1, 5, v2
	v_mov_b64_e32 v[2:3], s[24:25]
	s_mov_b32 s21, s17
	s_mov_b32 s22, s33
	v_lshl_add_u64 v[10:11], s[0:1], 0, v[6:7]
	s_mov_b64 s[6:7], 0
	v_mov_b64_e32 v[4:5], s[26:27]
	s_movk_i32 s24, 0x7f
	s_movk_i32 s25, 0x80
	s_mov_b32 s26, 0x8000
	s_movk_i32 s27, 0x380
	s_mov_b32 s36, 0x3020706
	s_mov_b32 s37, 0x1000504
	s_mov_b32 s38, 0x5040100
	v_mov_b32_e32 v25, 0x1c00
	s_branch .LBB226_48
.LBB226_46:                             ;   in Loop: Header=BB226_48 Depth=1
	s_or_b64 exec, exec, s[0:1]
	;;#ASMSTART
	v_pk_mul_f16 v13, v36, v13;

	;;#ASMEND
	;;#ASMSTART
	v_pk_mul_f16 v6, v35, v6;

	;;#ASMEND
	;; [unrolled: 4-line block ×4, first 2 shown]
	v_add_f32_e32 v16, v37, v38
	;;#ASMSTART
	v_pk_add_f16 v6, v13, v6;

	;;#ASMEND
	v_add_f32_e32 v2, v2, v16
	;;#ASMSTART
	v_pk_add_f16 v6, v6, v12;

	;;#ASMEND
	;; [unrolled: 5-line block ×3, first 2 shown]
	v_add_f32_e32 v3, v3, v16
	v_lshrrev_b32_e32 v12, 16, v6
	v_and_b32_e32 v6, 0xffff, v6
	;;#ASMSTART
	v_cvt_f32_f16 v6, v6;
	;;#ASMEND
	v_add_f32_e32 v16, v20, v21
	;;#ASMSTART
	v_cvt_f32_f16 v12, v12;
	;;#ASMEND
	v_add_f32_e32 v4, v4, v16
	v_add_f32_e32 v6, v6, v12
	;; [unrolled: 1-line block ×3, first 2 shown]
.LBB226_47:                             ;   in Loop: Header=BB226_48 Depth=1
	s_or_b64 exec, exec, s[8:9]
	v_add_u32_e32 v1, 2, v1
	v_cmp_le_i32_e32 vcc, s20, v1
	v_lshl_add_u64 v[10:11], v[10:11], 0, 8
	v_add_u32_e32 v15, 16, v15
	s_or_b64 s[6:7], vcc, s[6:7]
	v_add_u32_e32 v24, 64, v24
	s_andn2_b64 exec, exec, s[6:7]
	s_cbranch_execz .LBB226_313
.LBB226_48:                             ; =>This Inner Loop Header: Depth=1
	v_mul_hi_u32 v6, v15, s42
	v_mul_lo_u32 v12, v6, s35
	v_sub_u32_e32 v12, v15, v12
	v_add_u32_e32 v13, 1, v6
	v_cmp_le_u32_e32 vcc, s35, v12
	s_nop 1
	v_cndmask_b32_e32 v6, v6, v13, vcc
	v_subrev_u32_e32 v13, s35, v12
	v_cndmask_b32_e32 v12, v12, v13, vcc
	v_add_u32_e32 v13, 1, v6
	v_cmp_le_u32_e32 vcc, s35, v12
	s_nop 1
	v_cndmask_b32_e32 v6, v6, v13, vcc
	v_xor_b32_e32 v6, s23, v6
	v_subrev_u32_e32 v6, s23, v6
	v_add_u32_e32 v12, s43, v6
	v_sub_u32_e32 v14, 0, v12
	v_ashrrev_i32_e32 v13, 31, v12
	v_max_i32_e32 v12, v12, v14
	v_mul_hi_u32 v14, v12, v23
	v_mul_lo_u32 v14, v14, s19
	v_sub_u32_e32 v12, v12, v14
	v_subrev_u32_e32 v14, s19, v12
	v_cmp_le_u32_e32 vcc, s19, v12
	v_cmp_lt_i32_e64 s[0:1], s18, v6
	s_nop 0
	v_cndmask_b32_e32 v12, v12, v14, vcc
	v_subrev_u32_e32 v14, s19, v12
	v_cmp_le_u32_e32 vcc, s19, v12
	s_nop 1
	v_cndmask_b32_e32 v12, v12, v14, vcc
	v_xor_b32_e32 v12, v12, v13
	v_sub_u32_e32 v12, v12, v13
	v_cmp_eq_u32_e32 vcc, 0, v12
	s_or_b64 s[0:1], vcc, s[0:1]
	s_and_saveexec_b64 s[8:9], s[0:1]
	s_cbranch_execz .LBB226_47
; %bb.49:                               ;   in Loop: Header=BB226_48 Depth=1
	ds_read2_b64 v[16:19], v24 offset1:1
	ds_read2_b64 v[26:29], v24 offset0:2 offset1:3
                                        ; implicit-def: $sgpr16
	s_waitcnt lgkmcnt(1)
	;;#ASMSTART
	v_cvt_f16_f32 v33, v16;

	;;#ASMEND
	;;#ASMSTART
	v_cvt_f16_f32 v34, v17;

	;;#ASMEND
	;; [unrolled: 4-line block ×4, first 2 shown]
	s_waitcnt lgkmcnt(0)
	;;#ASMSTART
	v_cvt_f16_f32 v38, v26;

	;;#ASMEND
	;;#ASMSTART
	v_cvt_f16_f32 v39, v27;

	;;#ASMEND
	;; [unrolled: 4-line block ×4, first 2 shown]
	global_load_dword v6, v[10:11], off
	s_waitcnt vmcnt(0)
	v_mad_i64_i32 v[12:13], s[0:1], v6, s21, v[8:9]
	global_load_dwordx2 v[16:17], v[12:13], off
	global_load_dword v14, v7, s[14:15]
	s_mov_b64 s[0:1], 0
	s_waitcnt vmcnt(1)
	v_cmp_gt_i16_sdwa s[10:11], v16, s24 src0_sel:BYTE_0 src1_sel:DWORD
	s_and_saveexec_b64 s[12:13], s[10:11]
	s_xor_b64 s[10:11], exec, s[12:13]
	s_cbranch_execnz .LBB226_185
; %bb.50:                               ;   in Loop: Header=BB226_48 Depth=1
	s_or_saveexec_b64 s[10:11], s[10:11]
	v_mov_b32_e32 v18, s16
	s_xor_b64 exec, exec, s[10:11]
	s_cbranch_execnz .LBB226_188
.LBB226_51:                             ;   in Loop: Header=BB226_48 Depth=1
	s_or_b64 exec, exec, s[10:11]
	s_and_saveexec_b64 s[10:11], s[0:1]
	s_cbranch_execz .LBB226_53
.LBB226_52:                             ;   in Loop: Header=BB226_48 Depth=1
	v_and_b32_e32 v6, 7, v16
	v_ffbh_u32_e32 v6, v6
	v_bfe_u32 v18, v16, 3, 4
	v_min_u32_e32 v6, 32, v6
	v_subrev_u32_e32 v19, 28, v6
	v_sub_u32_e32 v6, 29, v6
	v_cmp_eq_u32_e32 vcc, 0, v18
	s_nop 1
	v_cndmask_b32_e32 v6, v18, v6, vcc
	v_cndmask_b32_e32 v18, 0, v19, vcc
	v_lshlrev_b64 v[18:19], v18, v[16:17]
	v_lshlrev_b32_e32 v19, 8, v16
	v_lshl_add_u32 v6, v6, 10, v25
	v_lshlrev_b32_e32 v18, 7, v18
	v_and_or_b32 v6, v19, s26, v6
	v_and_or_b32 v6, v18, s27, v6
	v_cvt_f32_f16_e32 v18, v6
.LBB226_53:                             ;   in Loop: Header=BB226_48 Depth=1
	s_or_b64 exec, exec, s[10:11]
	v_lshrrev_b16_e32 v6, 8, v16
	v_cmp_lt_i16_e32 vcc, s24, v6
	s_mov_b64 s[0:1], 0
                                        ; implicit-def: $sgpr16
	s_and_saveexec_b64 s[10:11], vcc
	s_xor_b64 s[10:11], exec, s[10:11]
	s_cbranch_execnz .LBB226_189
; %bb.54:                               ;   in Loop: Header=BB226_48 Depth=1
	s_or_saveexec_b64 s[10:11], s[10:11]
	v_mov_b32_e32 v20, s16
	s_xor_b64 exec, exec, s[10:11]
	s_cbranch_execnz .LBB226_192
.LBB226_55:                             ;   in Loop: Header=BB226_48 Depth=1
	s_or_b64 exec, exec, s[10:11]
	s_and_saveexec_b64 s[10:11], s[0:1]
	s_cbranch_execz .LBB226_57
.LBB226_56:                             ;   in Loop: Header=BB226_48 Depth=1
	v_and_b32_e32 v19, 7, v6
	v_ffbh_u32_e32 v20, v19
	v_min_u32_e32 v27, 32, v20
	v_subrev_u32_e32 v20, 28, v27
	v_bfe_u32 v26, v6, 3, 4
	v_lshlrev_b64 v[20:21], v20, v[6:7]
	v_sub_u32_e32 v21, 29, v27
	v_cmp_eq_u32_e32 vcc, 0, v26
	v_and_b32_e32 v20, 7, v20
	v_lshlrev_b32_e32 v6, 8, v6
	v_cndmask_b32_e32 v21, v26, v21, vcc
	v_cndmask_b32_e32 v19, v19, v20, vcc
	v_lshl_add_u32 v20, v21, 10, v25
	v_and_or_b32 v6, v6, s26, v20
	v_lshl_or_b32 v6, v19, 7, v6
	v_cvt_f32_f16_e32 v20, v6
.LBB226_57:                             ;   in Loop: Header=BB226_48 Depth=1
	s_or_b64 exec, exec, s[10:11]
	v_lshrrev_b32_e32 v6, 16, v16
	v_cmp_gt_i16_sdwa s[10:11], v6, s24 src0_sel:BYTE_0 src1_sel:DWORD
	s_mov_b64 s[0:1], 0
                                        ; implicit-def: $sgpr16
	s_and_saveexec_b64 s[12:13], s[10:11]
	s_xor_b64 s[10:11], exec, s[12:13]
	s_cbranch_execnz .LBB226_193
; %bb.58:                               ;   in Loop: Header=BB226_48 Depth=1
	s_or_saveexec_b64 s[10:11], s[10:11]
	v_mov_b32_e32 v19, s16
	s_xor_b64 exec, exec, s[10:11]
	s_cbranch_execnz .LBB226_196
.LBB226_59:                             ;   in Loop: Header=BB226_48 Depth=1
	s_or_b64 exec, exec, s[10:11]
	s_and_saveexec_b64 s[10:11], s[0:1]
	s_cbranch_execz .LBB226_61
.LBB226_60:                             ;   in Loop: Header=BB226_48 Depth=1
	v_bfe_u32 v19, v16, 16, 3
	v_ffbh_u32_e32 v26, v19
	v_min_u32_e32 v28, 32, v26
	v_subrev_u32_e32 v26, 28, v28
	v_bfe_u32 v21, v16, 19, 4
	v_lshlrev_b64 v[26:27], v26, v[6:7]
	v_sub_u32_e32 v27, 29, v28
	v_cmp_eq_u32_e32 vcc, 0, v21
	v_and_b32_e32 v26, 7, v26
	v_lshlrev_b32_e32 v6, 8, v6
	v_cndmask_b32_e32 v21, v21, v27, vcc
	v_lshl_add_u32 v21, v21, 10, v25
	v_cndmask_b32_e32 v19, v19, v26, vcc
	v_and_or_b32 v6, v6, s26, v21
	v_lshl_or_b32 v6, v19, 7, v6
	v_cvt_f32_f16_e32 v19, v6
.LBB226_61:                             ;   in Loop: Header=BB226_48 Depth=1
	s_or_b64 exec, exec, s[10:11]
	v_lshrrev_b32_e32 v6, 24, v16
	v_cmp_lt_i16_e32 vcc, s24, v6
	s_mov_b64 s[0:1], 0
                                        ; implicit-def: $sgpr16
	s_and_saveexec_b64 s[10:11], vcc
	s_xor_b64 s[10:11], exec, s[10:11]
	s_cbranch_execnz .LBB226_197
; %bb.62:                               ;   in Loop: Header=BB226_48 Depth=1
	s_or_saveexec_b64 s[10:11], s[10:11]
	v_mov_b32_e32 v21, s16
	s_xor_b64 exec, exec, s[10:11]
	s_cbranch_execnz .LBB226_200
.LBB226_63:                             ;   in Loop: Header=BB226_48 Depth=1
	s_or_b64 exec, exec, s[10:11]
	s_and_saveexec_b64 s[10:11], s[0:1]
	s_cbranch_execz .LBB226_65
.LBB226_64:                             ;   in Loop: Header=BB226_48 Depth=1
	v_bfe_u32 v21, v16, 24, 3
	v_ffbh_u32_e32 v26, v21
	v_min_u32_e32 v28, 32, v26
	v_subrev_u32_e32 v26, 28, v28
	v_bfe_u32 v16, v16, 27, 4
	v_lshlrev_b64 v[26:27], v26, v[6:7]
	v_sub_u32_e32 v27, 29, v28
	v_cmp_eq_u32_e32 vcc, 0, v16
	v_and_b32_e32 v26, 7, v26
	v_lshlrev_b32_e32 v6, 8, v6
	v_cndmask_b32_e32 v16, v16, v27, vcc
	v_lshl_add_u32 v16, v16, 10, v25
	v_cndmask_b32_e32 v21, v21, v26, vcc
	v_and_or_b32 v6, v6, s26, v16
	v_lshl_or_b32 v6, v21, 7, v6
	v_cvt_f32_f16_e32 v21, v6
.LBB226_65:                             ;   in Loop: Header=BB226_48 Depth=1
	s_or_b64 exec, exec, s[10:11]
	v_cmp_gt_i16_sdwa s[10:11], v17, s24 src0_sel:BYTE_0 src1_sel:DWORD
	s_mov_b64 s[0:1], 0
                                        ; implicit-def: $sgpr16
	s_and_saveexec_b64 s[12:13], s[10:11]
	s_xor_b64 s[10:11], exec, s[12:13]
	s_cbranch_execnz .LBB226_201
; %bb.66:                               ;   in Loop: Header=BB226_48 Depth=1
	s_or_saveexec_b64 s[10:11], s[10:11]
	v_mov_b32_e32 v16, s16
	s_xor_b64 exec, exec, s[10:11]
	s_cbranch_execnz .LBB226_204
.LBB226_67:                             ;   in Loop: Header=BB226_48 Depth=1
	s_or_b64 exec, exec, s[10:11]
	v_mov_b32_e32 v6, v17
	s_and_saveexec_b64 s[10:11], s[0:1]
	s_cbranch_execz .LBB226_69
.LBB226_68:                             ;   in Loop: Header=BB226_48 Depth=1
	v_and_b32_e32 v16, 7, v17
	v_ffbh_u32_e32 v16, v16
	v_bfe_u32 v26, v17, 3, 4
	v_min_u32_e32 v16, 32, v16
	v_subrev_u32_e32 v27, 28, v16
	v_sub_u32_e32 v16, 29, v16
	v_cmp_eq_u32_e32 vcc, 0, v26
	s_nop 1
	v_cndmask_b32_e32 v16, v26, v16, vcc
	v_cndmask_b32_e32 v26, 0, v27, vcc
	v_lshlrev_b64 v[26:27], v26, v[6:7]
	v_lshlrev_b32_e32 v27, 8, v17
	v_lshl_add_u32 v16, v16, 10, v25
	v_lshlrev_b32_e32 v26, 7, v26
	v_and_or_b32 v16, v27, s26, v16
	v_and_or_b32 v16, v26, s27, v16
	v_cvt_f32_f16_e32 v16, v16
.LBB226_69:                             ;   in Loop: Header=BB226_48 Depth=1
	s_or_b64 exec, exec, s[10:11]
	v_lshrrev_b16_e32 v6, 8, v6
	v_cmp_lt_i16_e32 vcc, s24, v6
	s_mov_b64 s[0:1], 0
                                        ; implicit-def: $sgpr16
	s_and_saveexec_b64 s[10:11], vcc
	s_xor_b64 s[10:11], exec, s[10:11]
	s_cbranch_execnz .LBB226_205
; %bb.70:                               ;   in Loop: Header=BB226_48 Depth=1
	s_or_saveexec_b64 s[10:11], s[10:11]
	v_mov_b32_e32 v26, s16
	s_xor_b64 exec, exec, s[10:11]
	s_cbranch_execnz .LBB226_208
.LBB226_71:                             ;   in Loop: Header=BB226_48 Depth=1
	s_or_b64 exec, exec, s[10:11]
	s_and_saveexec_b64 s[10:11], s[0:1]
	s_cbranch_execz .LBB226_73
.LBB226_72:                             ;   in Loop: Header=BB226_48 Depth=1
	v_and_b32_e32 v28, 7, v6
	v_ffbh_u32_e32 v26, v28
	v_min_u32_e32 v30, 32, v26
	v_subrev_u32_e32 v26, 28, v30
	v_bfe_u32 v29, v6, 3, 4
	v_lshlrev_b64 v[26:27], v26, v[6:7]
	v_sub_u32_e32 v27, 29, v30
	v_cmp_eq_u32_e32 vcc, 0, v29
	v_and_b32_e32 v26, 7, v26
	v_lshlrev_b32_e32 v6, 8, v6
	v_cndmask_b32_e32 v27, v29, v27, vcc
	v_lshl_add_u32 v27, v27, 10, v25
	v_cndmask_b32_e32 v26, v28, v26, vcc
	v_and_or_b32 v6, v6, s26, v27
	v_lshl_or_b32 v6, v26, 7, v6
	v_cvt_f32_f16_e32 v26, v6
.LBB226_73:                             ;   in Loop: Header=BB226_48 Depth=1
	s_or_b64 exec, exec, s[10:11]
	v_lshrrev_b32_e32 v6, 16, v17
	v_cmp_gt_i16_sdwa s[10:11], v6, s24 src0_sel:BYTE_0 src1_sel:DWORD
	s_mov_b64 s[0:1], 0
                                        ; implicit-def: $sgpr16
	s_and_saveexec_b64 s[12:13], s[10:11]
	s_xor_b64 s[10:11], exec, s[12:13]
	s_cbranch_execnz .LBB226_209
; %bb.74:                               ;   in Loop: Header=BB226_48 Depth=1
	s_or_saveexec_b64 s[10:11], s[10:11]
	v_mov_b32_e32 v27, s16
	s_xor_b64 exec, exec, s[10:11]
	s_cbranch_execnz .LBB226_212
.LBB226_75:                             ;   in Loop: Header=BB226_48 Depth=1
	s_or_b64 exec, exec, s[10:11]
	s_and_saveexec_b64 s[10:11], s[0:1]
	s_cbranch_execz .LBB226_77
.LBB226_76:                             ;   in Loop: Header=BB226_48 Depth=1
	v_bfe_u32 v27, v17, 16, 3
	v_ffbh_u32_e32 v28, v27
	v_min_u32_e32 v31, 32, v28
	v_subrev_u32_e32 v28, 28, v31
	v_bfe_u32 v30, v17, 19, 4
	v_lshlrev_b64 v[28:29], v28, v[6:7]
	v_sub_u32_e32 v29, 29, v31
	v_cmp_eq_u32_e32 vcc, 0, v30
	v_and_b32_e32 v28, 7, v28
	v_lshlrev_b32_e32 v6, 8, v6
	v_cndmask_b32_e32 v29, v30, v29, vcc
	v_cndmask_b32_e32 v27, v27, v28, vcc
	v_lshl_add_u32 v28, v29, 10, v25
	v_and_or_b32 v6, v6, s26, v28
	v_lshl_or_b32 v6, v27, 7, v6
	v_cvt_f32_f16_e32 v27, v6
.LBB226_77:                             ;   in Loop: Header=BB226_48 Depth=1
	s_or_b64 exec, exec, s[10:11]
	v_lshrrev_b32_e32 v6, 24, v17
	v_cmp_lt_i16_e32 vcc, s24, v6
	s_mov_b64 s[0:1], 0
                                        ; implicit-def: $sgpr16
	s_and_saveexec_b64 s[10:11], vcc
	s_xor_b64 s[10:11], exec, s[10:11]
	s_cbranch_execnz .LBB226_213
; %bb.78:                               ;   in Loop: Header=BB226_48 Depth=1
	s_or_saveexec_b64 s[10:11], s[10:11]
	v_mov_b32_e32 v28, s16
	s_xor_b64 exec, exec, s[10:11]
	s_cbranch_execnz .LBB226_216
.LBB226_79:                             ;   in Loop: Header=BB226_48 Depth=1
	s_or_b64 exec, exec, s[10:11]
	s_and_saveexec_b64 s[10:11], s[0:1]
	s_cbranch_execz .LBB226_81
.LBB226_80:                             ;   in Loop: Header=BB226_48 Depth=1
	v_bfe_u32 v30, v17, 24, 3
	v_ffbh_u32_e32 v28, v30
	v_min_u32_e32 v31, 32, v28
	v_subrev_u32_e32 v28, 28, v31
	v_bfe_u32 v17, v17, 27, 4
	v_lshlrev_b64 v[28:29], v28, v[6:7]
	v_sub_u32_e32 v29, 29, v31
	v_cmp_eq_u32_e32 vcc, 0, v17
	v_and_b32_e32 v28, 7, v28
	v_lshlrev_b32_e32 v6, 8, v6
	v_cndmask_b32_e32 v17, v17, v29, vcc
	v_lshl_add_u32 v17, v17, 10, v25
	v_cndmask_b32_e32 v28, v30, v28, vcc
	v_and_or_b32 v6, v6, s26, v17
	v_lshl_or_b32 v6, v28, 7, v6
	v_cvt_f32_f16_e32 v28, v6
.LBB226_81:                             ;   in Loop: Header=BB226_48 Depth=1
	s_or_b64 exec, exec, s[10:11]
	s_waitcnt vmcnt(0)
	v_pk_mul_f32 v[20:21], v[14:15], v[20:21] op_sel_hi:[0,1]
	v_pk_mul_f32 v[18:19], v[14:15], v[18:19] op_sel_hi:[0,1]
	v_cvt_f16_f32_e32 v6, v21
	v_cvt_f16_f32_e32 v17, v20
	;; [unrolled: 1-line block ×4, first 2 shown]
	v_fma_mixlo_f16 v16, v14, v16, 0
	v_pack_b32_f16 v17, v17, v6
	v_cmp_eq_u32_e32 vcc, s40, v1
	v_pack_b32_f16 v18, v18, v19
	v_perm_b32 v6, v18, v17, s36
	v_perm_b32 v17, v18, v17, s37
	v_fma_mixlo_f16 v18, v14, v26, 0
	v_lshlrev_b32_e32 v18, 16, v18
	v_or_b32_sdwa v16, v18, v16 dst_sel:DWORD dst_unused:UNUSED_PAD src0_sel:DWORD src1_sel:WORD_0
	v_fma_mixlo_f16 v18, v14, v27, 0
	v_fma_mixlo_f16 v14, v14, v28, 0
	v_lshlrev_b32_e32 v14, 16, v14
	v_or_b32_sdwa v14, v14, v18 dst_sel:DWORD dst_unused:UNUSED_PAD src0_sel:DWORD src1_sel:WORD_0
	v_add_u32_e32 v32, 1, v15
	v_or_b32_e32 v31, 3, v15
	v_or_b32_e32 v30, 2, v15
	;; [unrolled: 1-line block ×6, first 2 shown]
	s_and_saveexec_b64 s[10:11], vcc
	s_cbranch_execz .LBB226_83
; %bb.82:                               ;   in Loop: Header=BB226_48 Depth=1
	v_lshrrev_b32_e32 v19, 16, v17
	v_cmp_gt_i32_e64 s[0:1], s22, v32
	v_lshrrev_b32_e32 v14, 16, v14
	s_nop 0
	v_cndmask_b32_e64 v19, 0, v19, s[0:1]
	v_cmp_gt_i32_e64 s[0:1], s33, v15
	s_nop 1
	v_cndmask_b32_e64 v17, 0, v17, s[0:1]
	v_perm_b32 v17, v19, v17, s38
	v_lshrrev_b32_e32 v19, 16, v6
	v_cmp_gt_i32_e64 s[0:1], s22, v31
	s_nop 1
	v_cndmask_b32_e64 v19, 0, v19, s[0:1]
	v_cmp_gt_i32_e64 s[0:1], s33, v30
	s_nop 1
	v_cndmask_b32_e64 v6, 0, v6, s[0:1]
	v_perm_b32 v6, v19, v6, s38
	v_lshrrev_b32_e32 v19, 16, v16
	v_cmp_gt_i32_e64 s[0:1], s22, v29
	s_nop 1
	v_cndmask_b32_e64 v19, 0, v19, s[0:1]
	v_cmp_gt_i32_e64 s[0:1], s33, v28
	s_nop 1
	v_cndmask_b32_e64 v16, 0, v16, s[0:1]
	v_cmp_gt_i32_e64 s[0:1], s22, v27
	v_perm_b32 v16, v19, v16, s38
	s_nop 0
	v_cndmask_b32_e64 v14, 0, v14, s[0:1]
	v_cmp_gt_i32_e64 s[0:1], s33, v26
	s_nop 1
	v_cndmask_b32_e64 v18, 0, v18, s[0:1]
	v_perm_b32 v14, v14, v18, s38
.LBB226_83:                             ;   in Loop: Header=BB226_48 Depth=1
	s_or_b64 exec, exec, s[10:11]
	v_and_b32_e32 v18, 0xffff, v33
	v_lshl_or_b32 v36, v34, 16, v18
	v_and_b32_e32 v18, 0xffff, v35
	v_lshl_or_b32 v35, v37, 16, v18
	;; [unrolled: 2-line block ×3, first 2 shown]
	v_and_b32_e32 v18, 0xffff, v40
	;;#ASMSTART
	v_pk_mul_f16 v17, v36, v17;

	;;#ASMEND
	;;#ASMSTART
	v_pk_mul_f16 v6, v35, v6;

	;;#ASMEND
	v_lshl_or_b32 v33, v41, 16, v18
	;;#ASMSTART
	v_pk_mul_f16 v16, v34, v16;

	;;#ASMEND
	;;#ASMSTART
	v_pk_mul_f16 v14, v33, v14;

	;;#ASMEND
	;;#ASMSTART
	v_pk_add_f16 v6, v17, v6;

	;;#ASMEND
	s_mov_b64 s[0:1], 0
	;;#ASMSTART
	v_pk_add_f16 v6, v6, v16;

	;;#ASMEND
                                        ; implicit-def: $sgpr16
	s_nop 0
	;;#ASMSTART
	v_pk_add_f16 v6, v6, v14;

	;;#ASMEND
	s_nop 0
	v_lshrrev_b32_e32 v14, 16, v6
	v_and_b32_e32 v6, 0xffff, v6
	;;#ASMSTART
	v_cvt_f32_f16 v37, v6;
	;;#ASMEND
	;;#ASMSTART
	v_cvt_f32_f16 v38, v14;
	;;#ASMEND
	global_load_dwordx2 v[16:17], v[12:13], off offset:512
	global_load_dword v14, v7, s[14:15]
	s_waitcnt vmcnt(1)
	v_cmp_gt_i16_sdwa s[10:11], v16, s24 src0_sel:BYTE_0 src1_sel:DWORD
	s_and_saveexec_b64 s[12:13], s[10:11]
	s_xor_b64 s[10:11], exec, s[12:13]
	s_cbranch_execnz .LBB226_217
; %bb.84:                               ;   in Loop: Header=BB226_48 Depth=1
	s_or_saveexec_b64 s[10:11], s[10:11]
	v_mov_b32_e32 v18, s16
	s_xor_b64 exec, exec, s[10:11]
	s_cbranch_execnz .LBB226_220
.LBB226_85:                             ;   in Loop: Header=BB226_48 Depth=1
	s_or_b64 exec, exec, s[10:11]
	s_and_saveexec_b64 s[10:11], s[0:1]
	s_cbranch_execz .LBB226_87
.LBB226_86:                             ;   in Loop: Header=BB226_48 Depth=1
	v_and_b32_e32 v6, 7, v16
	v_ffbh_u32_e32 v6, v6
	v_bfe_u32 v18, v16, 3, 4
	v_min_u32_e32 v6, 32, v6
	v_subrev_u32_e32 v19, 28, v6
	v_sub_u32_e32 v6, 29, v6
	v_cmp_eq_u32_e64 s[0:1], 0, v18
	s_nop 1
	v_cndmask_b32_e64 v6, v18, v6, s[0:1]
	v_cndmask_b32_e64 v18, 0, v19, s[0:1]
	v_lshlrev_b64 v[18:19], v18, v[16:17]
	v_lshlrev_b32_e32 v19, 8, v16
	v_lshl_add_u32 v6, v6, 10, v25
	v_lshlrev_b32_e32 v18, 7, v18
	v_and_or_b32 v6, v19, s26, v6
	v_and_or_b32 v6, v18, s27, v6
	v_cvt_f32_f16_e32 v18, v6
.LBB226_87:                             ;   in Loop: Header=BB226_48 Depth=1
	s_or_b64 exec, exec, s[10:11]
	v_lshrrev_b16_e32 v6, 8, v16
	v_cmp_lt_i16_e64 s[0:1], s24, v6
	s_mov_b64 s[10:11], 0
                                        ; implicit-def: $sgpr39
	s_and_saveexec_b64 s[12:13], s[0:1]
	s_xor_b64 s[12:13], exec, s[12:13]
	s_cbranch_execnz .LBB226_221
; %bb.88:                               ;   in Loop: Header=BB226_48 Depth=1
	s_or_saveexec_b64 s[12:13], s[12:13]
	v_mov_b32_e32 v20, s39
	s_xor_b64 exec, exec, s[12:13]
	s_cbranch_execnz .LBB226_224
.LBB226_89:                             ;   in Loop: Header=BB226_48 Depth=1
	s_or_b64 exec, exec, s[12:13]
	s_and_saveexec_b64 s[12:13], s[10:11]
	s_cbranch_execz .LBB226_91
.LBB226_90:                             ;   in Loop: Header=BB226_48 Depth=1
	v_and_b32_e32 v19, 7, v6
	v_ffbh_u32_e32 v20, v19
	v_min_u32_e32 v40, 32, v20
	v_subrev_u32_e32 v20, 28, v40
	v_bfe_u32 v39, v6, 3, 4
	v_lshlrev_b64 v[20:21], v20, v[6:7]
	v_sub_u32_e32 v21, 29, v40
	v_cmp_eq_u32_e64 s[0:1], 0, v39
	v_and_b32_e32 v20, 7, v20
	v_lshlrev_b32_e32 v6, 8, v6
	v_cndmask_b32_e64 v21, v39, v21, s[0:1]
	v_cndmask_b32_e64 v19, v19, v20, s[0:1]
	v_lshl_add_u32 v20, v21, 10, v25
	v_and_or_b32 v6, v6, s26, v20
	v_lshl_or_b32 v6, v19, 7, v6
	v_cvt_f32_f16_e32 v20, v6
.LBB226_91:                             ;   in Loop: Header=BB226_48 Depth=1
	s_or_b64 exec, exec, s[12:13]
	v_lshrrev_b32_e32 v6, 16, v16
	v_cmp_gt_i16_sdwa s[10:11], v6, s24 src0_sel:BYTE_0 src1_sel:DWORD
	s_mov_b64 s[0:1], 0
                                        ; implicit-def: $sgpr16
	s_and_saveexec_b64 s[12:13], s[10:11]
	s_xor_b64 s[10:11], exec, s[12:13]
	s_cbranch_execnz .LBB226_225
; %bb.92:                               ;   in Loop: Header=BB226_48 Depth=1
	s_or_saveexec_b64 s[10:11], s[10:11]
	v_mov_b32_e32 v19, s16
	s_xor_b64 exec, exec, s[10:11]
	s_cbranch_execnz .LBB226_228
.LBB226_93:                             ;   in Loop: Header=BB226_48 Depth=1
	s_or_b64 exec, exec, s[10:11]
	s_and_saveexec_b64 s[10:11], s[0:1]
	s_cbranch_execz .LBB226_95
.LBB226_94:                             ;   in Loop: Header=BB226_48 Depth=1
	v_bfe_u32 v19, v16, 16, 3
	v_ffbh_u32_e32 v39, v19
	v_bfe_u32 v21, v16, 19, 4
	v_min_u32_e32 v39, 32, v39
	v_subrev_u32_e32 v40, 28, v39
	v_sub_u32_e32 v39, 29, v39
	v_cmp_eq_u32_e64 s[0:1], 0, v21
	v_lshlrev_b64 v[40:41], v40, v[6:7]
	v_and_b32_e32 v40, 7, v40
	v_cndmask_b32_e64 v21, v21, v39, s[0:1]
	v_lshlrev_b32_e32 v6, 8, v6
	v_lshl_add_u32 v21, v21, 10, v25
	v_cndmask_b32_e64 v19, v19, v40, s[0:1]
	v_and_or_b32 v6, v6, s26, v21
	v_lshl_or_b32 v6, v19, 7, v6
	v_cvt_f32_f16_e32 v19, v6
.LBB226_95:                             ;   in Loop: Header=BB226_48 Depth=1
	s_or_b64 exec, exec, s[10:11]
	v_lshrrev_b32_e32 v6, 24, v16
	v_cmp_lt_i16_e64 s[0:1], s24, v6
	s_mov_b64 s[10:11], 0
                                        ; implicit-def: $sgpr39
	s_and_saveexec_b64 s[12:13], s[0:1]
	s_xor_b64 s[12:13], exec, s[12:13]
	s_cbranch_execnz .LBB226_229
; %bb.96:                               ;   in Loop: Header=BB226_48 Depth=1
	s_or_saveexec_b64 s[12:13], s[12:13]
	v_mov_b32_e32 v21, s39
	s_xor_b64 exec, exec, s[12:13]
	s_cbranch_execnz .LBB226_232
.LBB226_97:                             ;   in Loop: Header=BB226_48 Depth=1
	s_or_b64 exec, exec, s[12:13]
	s_and_saveexec_b64 s[12:13], s[10:11]
	s_cbranch_execz .LBB226_99
.LBB226_98:                             ;   in Loop: Header=BB226_48 Depth=1
	v_bfe_u32 v21, v16, 24, 3
	v_ffbh_u32_e32 v39, v21
	v_bfe_u32 v16, v16, 27, 4
	v_min_u32_e32 v39, 32, v39
	v_subrev_u32_e32 v40, 28, v39
	v_sub_u32_e32 v39, 29, v39
	v_cmp_eq_u32_e64 s[0:1], 0, v16
	v_lshlrev_b64 v[40:41], v40, v[6:7]
	v_and_b32_e32 v40, 7, v40
	v_cndmask_b32_e64 v16, v16, v39, s[0:1]
	v_lshlrev_b32_e32 v6, 8, v6
	v_lshl_add_u32 v16, v16, 10, v25
	v_cndmask_b32_e64 v21, v21, v40, s[0:1]
	v_and_or_b32 v6, v6, s26, v16
	v_lshl_or_b32 v6, v21, 7, v6
	v_cvt_f32_f16_e32 v21, v6
.LBB226_99:                             ;   in Loop: Header=BB226_48 Depth=1
	s_or_b64 exec, exec, s[12:13]
	v_cmp_gt_i16_sdwa s[10:11], v17, s24 src0_sel:BYTE_0 src1_sel:DWORD
	s_mov_b64 s[0:1], 0
                                        ; implicit-def: $sgpr16
	s_and_saveexec_b64 s[12:13], s[10:11]
	s_xor_b64 s[10:11], exec, s[12:13]
	s_cbranch_execnz .LBB226_233
; %bb.100:                              ;   in Loop: Header=BB226_48 Depth=1
	s_or_saveexec_b64 s[10:11], s[10:11]
	v_mov_b32_e32 v16, s16
	s_xor_b64 exec, exec, s[10:11]
	s_cbranch_execnz .LBB226_236
.LBB226_101:                            ;   in Loop: Header=BB226_48 Depth=1
	s_or_b64 exec, exec, s[10:11]
	v_mov_b32_e32 v6, v17
	s_and_saveexec_b64 s[10:11], s[0:1]
	s_cbranch_execz .LBB226_103
.LBB226_102:                            ;   in Loop: Header=BB226_48 Depth=1
	v_and_b32_e32 v16, 7, v17
	v_ffbh_u32_e32 v16, v16
	v_bfe_u32 v39, v17, 3, 4
	v_min_u32_e32 v16, 32, v16
	v_subrev_u32_e32 v40, 28, v16
	v_sub_u32_e32 v16, 29, v16
	v_cmp_eq_u32_e64 s[0:1], 0, v39
	s_nop 1
	v_cndmask_b32_e64 v16, v39, v16, s[0:1]
	v_cndmask_b32_e64 v39, 0, v40, s[0:1]
	v_lshlrev_b64 v[40:41], v39, v[6:7]
	v_lshlrev_b32_e32 v39, 7, v40
	v_lshlrev_b32_e32 v40, 8, v17
	v_lshl_add_u32 v16, v16, 10, v25
	v_and_or_b32 v16, v40, s26, v16
	v_and_or_b32 v16, v39, s27, v16
	v_cvt_f32_f16_e32 v16, v16
.LBB226_103:                            ;   in Loop: Header=BB226_48 Depth=1
	s_or_b64 exec, exec, s[10:11]
	v_lshrrev_b16_e32 v6, 8, v6
	v_cmp_lt_i16_e64 s[0:1], s24, v6
	s_mov_b64 s[10:11], 0
                                        ; implicit-def: $sgpr39
	s_and_saveexec_b64 s[12:13], s[0:1]
	s_xor_b64 s[12:13], exec, s[12:13]
	s_cbranch_execnz .LBB226_237
; %bb.104:                              ;   in Loop: Header=BB226_48 Depth=1
	s_or_saveexec_b64 s[12:13], s[12:13]
	v_mov_b32_e32 v39, s39
	s_xor_b64 exec, exec, s[12:13]
	s_cbranch_execnz .LBB226_240
.LBB226_105:                            ;   in Loop: Header=BB226_48 Depth=1
	s_or_b64 exec, exec, s[12:13]
	s_and_saveexec_b64 s[12:13], s[10:11]
	s_cbranch_execz .LBB226_107
.LBB226_106:                            ;   in Loop: Header=BB226_48 Depth=1
	v_and_b32_e32 v39, 7, v6
	v_ffbh_u32_e32 v40, v39
	v_min_u32_e32 v43, 32, v40
	v_subrev_u32_e32 v40, 28, v43
	v_bfe_u32 v42, v6, 3, 4
	v_lshlrev_b64 v[40:41], v40, v[6:7]
	v_sub_u32_e32 v41, 29, v43
	v_cmp_eq_u32_e64 s[0:1], 0, v42
	v_and_b32_e32 v40, 7, v40
	v_lshlrev_b32_e32 v6, 8, v6
	v_cndmask_b32_e64 v41, v42, v41, s[0:1]
	v_cndmask_b32_e64 v39, v39, v40, s[0:1]
	v_lshl_add_u32 v40, v41, 10, v25
	v_and_or_b32 v6, v6, s26, v40
	v_lshl_or_b32 v6, v39, 7, v6
	v_cvt_f32_f16_e32 v39, v6
.LBB226_107:                            ;   in Loop: Header=BB226_48 Depth=1
	s_or_b64 exec, exec, s[12:13]
	v_lshrrev_b32_e32 v6, 16, v17
	v_cmp_gt_i16_sdwa s[10:11], v6, s24 src0_sel:BYTE_0 src1_sel:DWORD
	s_mov_b64 s[0:1], 0
                                        ; implicit-def: $sgpr16
	s_and_saveexec_b64 s[12:13], s[10:11]
	s_xor_b64 s[10:11], exec, s[12:13]
	s_cbranch_execnz .LBB226_241
; %bb.108:                              ;   in Loop: Header=BB226_48 Depth=1
	s_or_saveexec_b64 s[10:11], s[10:11]
	v_mov_b32_e32 v40, s16
	s_xor_b64 exec, exec, s[10:11]
	s_cbranch_execnz .LBB226_244
.LBB226_109:                            ;   in Loop: Header=BB226_48 Depth=1
	s_or_b64 exec, exec, s[10:11]
	s_and_saveexec_b64 s[10:11], s[0:1]
	s_cbranch_execz .LBB226_111
.LBB226_110:                            ;   in Loop: Header=BB226_48 Depth=1
	v_bfe_u32 v42, v17, 16, 3
	v_ffbh_u32_e32 v40, v42
	v_min_u32_e32 v44, 32, v40
	v_subrev_u32_e32 v40, 28, v44
	v_bfe_u32 v43, v17, 19, 4
	v_lshlrev_b64 v[40:41], v40, v[6:7]
	v_sub_u32_e32 v41, 29, v44
	v_cmp_eq_u32_e64 s[0:1], 0, v43
	v_and_b32_e32 v40, 7, v40
	v_lshlrev_b32_e32 v6, 8, v6
	v_cndmask_b32_e64 v41, v43, v41, s[0:1]
	v_lshl_add_u32 v41, v41, 10, v25
	v_cndmask_b32_e64 v40, v42, v40, s[0:1]
	v_and_or_b32 v6, v6, s26, v41
	v_lshl_or_b32 v6, v40, 7, v6
	v_cvt_f32_f16_e32 v40, v6
.LBB226_111:                            ;   in Loop: Header=BB226_48 Depth=1
	s_or_b64 exec, exec, s[10:11]
	v_lshrrev_b32_e32 v6, 24, v17
	v_cmp_lt_i16_e64 s[0:1], s24, v6
	s_mov_b64 s[10:11], 0
                                        ; implicit-def: $sgpr39
	s_and_saveexec_b64 s[12:13], s[0:1]
	s_xor_b64 s[12:13], exec, s[12:13]
	s_cbranch_execnz .LBB226_245
; %bb.112:                              ;   in Loop: Header=BB226_48 Depth=1
	s_or_saveexec_b64 s[12:13], s[12:13]
	v_mov_b32_e32 v41, s39
	s_xor_b64 exec, exec, s[12:13]
	s_cbranch_execnz .LBB226_248
.LBB226_113:                            ;   in Loop: Header=BB226_48 Depth=1
	s_or_b64 exec, exec, s[12:13]
	s_and_saveexec_b64 s[12:13], s[10:11]
	s_cbranch_execz .LBB226_115
.LBB226_114:                            ;   in Loop: Header=BB226_48 Depth=1
	v_bfe_u32 v41, v17, 24, 3
	v_ffbh_u32_e32 v42, v41
	v_min_u32_e32 v44, 32, v42
	v_subrev_u32_e32 v42, 28, v44
	v_bfe_u32 v17, v17, 27, 4
	v_lshlrev_b64 v[42:43], v42, v[6:7]
	v_sub_u32_e32 v43, 29, v44
	v_cmp_eq_u32_e64 s[0:1], 0, v17
	v_and_b32_e32 v42, 7, v42
	v_lshlrev_b32_e32 v6, 8, v6
	v_cndmask_b32_e64 v17, v17, v43, s[0:1]
	v_lshl_add_u32 v17, v17, 10, v25
	v_cndmask_b32_e64 v41, v41, v42, s[0:1]
	v_and_or_b32 v6, v6, s26, v17
	v_lshl_or_b32 v6, v41, 7, v6
	v_cvt_f32_f16_e32 v41, v6
.LBB226_115:                            ;   in Loop: Header=BB226_48 Depth=1
	s_or_b64 exec, exec, s[12:13]
	s_waitcnt vmcnt(0)
	v_pk_mul_f32 v[20:21], v[14:15], v[20:21] op_sel_hi:[0,1]
	v_pk_mul_f32 v[18:19], v[14:15], v[18:19] op_sel_hi:[0,1]
	v_cvt_f16_f32_e32 v6, v21
	v_cvt_f16_f32_e32 v17, v20
	;; [unrolled: 1-line block ×4, first 2 shown]
	v_fma_mixlo_f16 v16, v14, v16, 0
	v_pack_b32_f16 v17, v17, v6
	v_pack_b32_f16 v18, v18, v19
	v_perm_b32 v6, v18, v17, s36
	v_perm_b32 v17, v18, v17, s37
	v_fma_mixlo_f16 v18, v14, v39, 0
	v_lshlrev_b32_e32 v18, 16, v18
	v_or_b32_sdwa v16, v18, v16 dst_sel:DWORD dst_unused:UNUSED_PAD src0_sel:DWORD src1_sel:WORD_0
	v_fma_mixlo_f16 v18, v14, v40, 0
	v_fma_mixlo_f16 v14, v14, v41, 0
	v_lshlrev_b32_e32 v14, 16, v14
	v_or_b32_sdwa v14, v14, v18 dst_sel:DWORD dst_unused:UNUSED_PAD src0_sel:DWORD src1_sel:WORD_0
	s_and_saveexec_b64 s[10:11], vcc
	s_cbranch_execz .LBB226_117
; %bb.116:                              ;   in Loop: Header=BB226_48 Depth=1
	v_lshrrev_b32_e32 v19, 16, v17
	v_cmp_gt_i32_e64 s[0:1], s22, v32
	v_lshrrev_b32_e32 v14, 16, v14
	s_nop 0
	v_cndmask_b32_e64 v19, 0, v19, s[0:1]
	v_cmp_gt_i32_e64 s[0:1], s33, v15
	s_nop 1
	v_cndmask_b32_e64 v17, 0, v17, s[0:1]
	v_perm_b32 v17, v19, v17, s38
	v_lshrrev_b32_e32 v19, 16, v6
	v_cmp_gt_i32_e64 s[0:1], s22, v31
	s_nop 1
	v_cndmask_b32_e64 v19, 0, v19, s[0:1]
	v_cmp_gt_i32_e64 s[0:1], s33, v30
	s_nop 1
	v_cndmask_b32_e64 v6, 0, v6, s[0:1]
	v_perm_b32 v6, v19, v6, s38
	v_lshrrev_b32_e32 v19, 16, v16
	v_cmp_gt_i32_e64 s[0:1], s22, v29
	s_nop 1
	v_cndmask_b32_e64 v19, 0, v19, s[0:1]
	v_cmp_gt_i32_e64 s[0:1], s33, v28
	s_nop 1
	v_cndmask_b32_e64 v16, 0, v16, s[0:1]
	v_cmp_gt_i32_e64 s[0:1], s22, v27
	v_perm_b32 v16, v19, v16, s38
	s_nop 0
	v_cndmask_b32_e64 v14, 0, v14, s[0:1]
	v_cmp_gt_i32_e64 s[0:1], s33, v26
	s_nop 1
	v_cndmask_b32_e64 v18, 0, v18, s[0:1]
	v_perm_b32 v14, v14, v18, s38
.LBB226_117:                            ;   in Loop: Header=BB226_48 Depth=1
	s_or_b64 exec, exec, s[10:11]
	;;#ASMSTART
	v_pk_mul_f16 v17, v36, v17;

	;;#ASMEND
	;;#ASMSTART
	v_pk_mul_f16 v6, v35, v6;

	;;#ASMEND
	;; [unrolled: 4-line block ×4, first 2 shown]
	s_mov_b64 s[0:1], 0
	;;#ASMSTART
	v_pk_add_f16 v6, v17, v6;

	;;#ASMEND
                                        ; implicit-def: $sgpr16
	s_nop 0
	;;#ASMSTART
	v_pk_add_f16 v6, v6, v16;

	;;#ASMEND
	s_nop 0
	;;#ASMSTART
	v_pk_add_f16 v6, v6, v14;

	;;#ASMEND
	s_nop 0
	v_lshrrev_b32_e32 v14, 16, v6
	v_and_b32_e32 v6, 0xffff, v6
	;;#ASMSTART
	v_cvt_f32_f16 v39, v6;
	;;#ASMEND
	;;#ASMSTART
	v_cvt_f32_f16 v40, v14;
	;;#ASMEND
	global_load_dwordx2 v[16:17], v[12:13], off offset:1024
	global_load_dword v14, v7, s[14:15]
	s_waitcnt vmcnt(1)
	v_cmp_gt_i16_sdwa s[10:11], v16, s24 src0_sel:BYTE_0 src1_sel:DWORD
	s_and_saveexec_b64 s[12:13], s[10:11]
	s_xor_b64 s[10:11], exec, s[12:13]
	s_cbranch_execnz .LBB226_249
; %bb.118:                              ;   in Loop: Header=BB226_48 Depth=1
	s_or_saveexec_b64 s[10:11], s[10:11]
	v_mov_b32_e32 v18, s16
	s_xor_b64 exec, exec, s[10:11]
	s_cbranch_execnz .LBB226_252
.LBB226_119:                            ;   in Loop: Header=BB226_48 Depth=1
	s_or_b64 exec, exec, s[10:11]
	s_and_saveexec_b64 s[10:11], s[0:1]
	s_cbranch_execz .LBB226_121
.LBB226_120:                            ;   in Loop: Header=BB226_48 Depth=1
	v_and_b32_e32 v6, 7, v16
	v_ffbh_u32_e32 v6, v6
	v_bfe_u32 v18, v16, 3, 4
	v_min_u32_e32 v6, 32, v6
	v_subrev_u32_e32 v19, 28, v6
	v_sub_u32_e32 v6, 29, v6
	v_cmp_eq_u32_e64 s[0:1], 0, v18
	s_nop 1
	v_cndmask_b32_e64 v6, v18, v6, s[0:1]
	v_cndmask_b32_e64 v18, 0, v19, s[0:1]
	v_lshlrev_b64 v[18:19], v18, v[16:17]
	v_lshlrev_b32_e32 v19, 8, v16
	v_lshl_add_u32 v6, v6, 10, v25
	v_lshlrev_b32_e32 v18, 7, v18
	v_and_or_b32 v6, v19, s26, v6
	v_and_or_b32 v6, v18, s27, v6
	v_cvt_f32_f16_e32 v18, v6
.LBB226_121:                            ;   in Loop: Header=BB226_48 Depth=1
	s_or_b64 exec, exec, s[10:11]
	v_lshrrev_b16_e32 v6, 8, v16
	v_cmp_lt_i16_e64 s[0:1], s24, v6
	s_mov_b64 s[10:11], 0
                                        ; implicit-def: $sgpr39
	s_and_saveexec_b64 s[12:13], s[0:1]
	s_xor_b64 s[12:13], exec, s[12:13]
	s_cbranch_execnz .LBB226_253
; %bb.122:                              ;   in Loop: Header=BB226_48 Depth=1
	s_or_saveexec_b64 s[12:13], s[12:13]
	v_mov_b32_e32 v20, s39
	s_xor_b64 exec, exec, s[12:13]
	s_cbranch_execnz .LBB226_256
.LBB226_123:                            ;   in Loop: Header=BB226_48 Depth=1
	s_or_b64 exec, exec, s[12:13]
	s_and_saveexec_b64 s[12:13], s[10:11]
	s_cbranch_execz .LBB226_125
.LBB226_124:                            ;   in Loop: Header=BB226_48 Depth=1
	v_and_b32_e32 v19, 7, v6
	v_ffbh_u32_e32 v20, v19
	v_min_u32_e32 v42, 32, v20
	v_subrev_u32_e32 v20, 28, v42
	v_bfe_u32 v41, v6, 3, 4
	v_lshlrev_b64 v[20:21], v20, v[6:7]
	v_sub_u32_e32 v21, 29, v42
	v_cmp_eq_u32_e64 s[0:1], 0, v41
	v_and_b32_e32 v20, 7, v20
	v_lshlrev_b32_e32 v6, 8, v6
	v_cndmask_b32_e64 v21, v41, v21, s[0:1]
	v_cndmask_b32_e64 v19, v19, v20, s[0:1]
	v_lshl_add_u32 v20, v21, 10, v25
	v_and_or_b32 v6, v6, s26, v20
	v_lshl_or_b32 v6, v19, 7, v6
	v_cvt_f32_f16_e32 v20, v6
.LBB226_125:                            ;   in Loop: Header=BB226_48 Depth=1
	s_or_b64 exec, exec, s[12:13]
	v_lshrrev_b32_e32 v6, 16, v16
	v_cmp_gt_i16_sdwa s[10:11], v6, s24 src0_sel:BYTE_0 src1_sel:DWORD
	s_mov_b64 s[0:1], 0
                                        ; implicit-def: $sgpr16
	s_and_saveexec_b64 s[12:13], s[10:11]
	s_xor_b64 s[10:11], exec, s[12:13]
	s_cbranch_execnz .LBB226_257
; %bb.126:                              ;   in Loop: Header=BB226_48 Depth=1
	s_or_saveexec_b64 s[10:11], s[10:11]
	v_mov_b32_e32 v19, s16
	s_xor_b64 exec, exec, s[10:11]
	s_cbranch_execnz .LBB226_260
.LBB226_127:                            ;   in Loop: Header=BB226_48 Depth=1
	s_or_b64 exec, exec, s[10:11]
	s_and_saveexec_b64 s[10:11], s[0:1]
	s_cbranch_execz .LBB226_129
.LBB226_128:                            ;   in Loop: Header=BB226_48 Depth=1
	v_bfe_u32 v19, v16, 16, 3
	v_ffbh_u32_e32 v41, v19
	v_bfe_u32 v21, v16, 19, 4
	v_min_u32_e32 v41, 32, v41
	v_subrev_u32_e32 v42, 28, v41
	v_sub_u32_e32 v41, 29, v41
	v_cmp_eq_u32_e64 s[0:1], 0, v21
	v_lshlrev_b64 v[42:43], v42, v[6:7]
	v_and_b32_e32 v42, 7, v42
	v_cndmask_b32_e64 v21, v21, v41, s[0:1]
	v_lshlrev_b32_e32 v6, 8, v6
	v_lshl_add_u32 v21, v21, 10, v25
	v_cndmask_b32_e64 v19, v19, v42, s[0:1]
	v_and_or_b32 v6, v6, s26, v21
	v_lshl_or_b32 v6, v19, 7, v6
	v_cvt_f32_f16_e32 v19, v6
.LBB226_129:                            ;   in Loop: Header=BB226_48 Depth=1
	s_or_b64 exec, exec, s[10:11]
	v_lshrrev_b32_e32 v6, 24, v16
	v_cmp_lt_i16_e64 s[0:1], s24, v6
	s_mov_b64 s[10:11], 0
                                        ; implicit-def: $sgpr39
	s_and_saveexec_b64 s[12:13], s[0:1]
	s_xor_b64 s[12:13], exec, s[12:13]
	s_cbranch_execnz .LBB226_261
; %bb.130:                              ;   in Loop: Header=BB226_48 Depth=1
	s_or_saveexec_b64 s[12:13], s[12:13]
	v_mov_b32_e32 v21, s39
	s_xor_b64 exec, exec, s[12:13]
	s_cbranch_execnz .LBB226_264
.LBB226_131:                            ;   in Loop: Header=BB226_48 Depth=1
	s_or_b64 exec, exec, s[12:13]
	s_and_saveexec_b64 s[12:13], s[10:11]
	s_cbranch_execz .LBB226_133
.LBB226_132:                            ;   in Loop: Header=BB226_48 Depth=1
	v_bfe_u32 v21, v16, 24, 3
	v_ffbh_u32_e32 v41, v21
	v_bfe_u32 v16, v16, 27, 4
	v_min_u32_e32 v41, 32, v41
	v_subrev_u32_e32 v42, 28, v41
	v_sub_u32_e32 v41, 29, v41
	v_cmp_eq_u32_e64 s[0:1], 0, v16
	v_lshlrev_b64 v[42:43], v42, v[6:7]
	v_and_b32_e32 v42, 7, v42
	v_cndmask_b32_e64 v16, v16, v41, s[0:1]
	v_lshlrev_b32_e32 v6, 8, v6
	v_lshl_add_u32 v16, v16, 10, v25
	v_cndmask_b32_e64 v21, v21, v42, s[0:1]
	v_and_or_b32 v6, v6, s26, v16
	v_lshl_or_b32 v6, v21, 7, v6
	v_cvt_f32_f16_e32 v21, v6
.LBB226_133:                            ;   in Loop: Header=BB226_48 Depth=1
	s_or_b64 exec, exec, s[12:13]
	v_cmp_gt_i16_sdwa s[10:11], v17, s24 src0_sel:BYTE_0 src1_sel:DWORD
	s_mov_b64 s[0:1], 0
                                        ; implicit-def: $sgpr16
	s_and_saveexec_b64 s[12:13], s[10:11]
	s_xor_b64 s[10:11], exec, s[12:13]
	s_cbranch_execnz .LBB226_265
; %bb.134:                              ;   in Loop: Header=BB226_48 Depth=1
	s_or_saveexec_b64 s[10:11], s[10:11]
	v_mov_b32_e32 v16, s16
	s_xor_b64 exec, exec, s[10:11]
	s_cbranch_execnz .LBB226_268
.LBB226_135:                            ;   in Loop: Header=BB226_48 Depth=1
	s_or_b64 exec, exec, s[10:11]
	v_mov_b32_e32 v6, v17
	s_and_saveexec_b64 s[10:11], s[0:1]
	s_cbranch_execz .LBB226_137
.LBB226_136:                            ;   in Loop: Header=BB226_48 Depth=1
	v_and_b32_e32 v16, 7, v17
	v_ffbh_u32_e32 v16, v16
	v_bfe_u32 v41, v17, 3, 4
	v_min_u32_e32 v16, 32, v16
	v_subrev_u32_e32 v42, 28, v16
	v_sub_u32_e32 v16, 29, v16
	v_cmp_eq_u32_e64 s[0:1], 0, v41
	s_nop 1
	v_cndmask_b32_e64 v16, v41, v16, s[0:1]
	v_cndmask_b32_e64 v41, 0, v42, s[0:1]
	v_lshlrev_b64 v[42:43], v41, v[6:7]
	v_lshlrev_b32_e32 v41, 7, v42
	v_lshlrev_b32_e32 v42, 8, v17
	v_lshl_add_u32 v16, v16, 10, v25
	v_and_or_b32 v16, v42, s26, v16
	v_and_or_b32 v16, v41, s27, v16
	v_cvt_f32_f16_e32 v16, v16
.LBB226_137:                            ;   in Loop: Header=BB226_48 Depth=1
	s_or_b64 exec, exec, s[10:11]
	v_lshrrev_b16_e32 v6, 8, v6
	v_cmp_lt_i16_e64 s[0:1], s24, v6
	s_mov_b64 s[10:11], 0
                                        ; implicit-def: $sgpr39
	s_and_saveexec_b64 s[12:13], s[0:1]
	s_xor_b64 s[12:13], exec, s[12:13]
	s_cbranch_execnz .LBB226_269
; %bb.138:                              ;   in Loop: Header=BB226_48 Depth=1
	s_or_saveexec_b64 s[12:13], s[12:13]
	v_mov_b32_e32 v41, s39
	s_xor_b64 exec, exec, s[12:13]
	s_cbranch_execnz .LBB226_272
.LBB226_139:                            ;   in Loop: Header=BB226_48 Depth=1
	s_or_b64 exec, exec, s[12:13]
	s_and_saveexec_b64 s[12:13], s[10:11]
	s_cbranch_execz .LBB226_141
.LBB226_140:                            ;   in Loop: Header=BB226_48 Depth=1
	v_and_b32_e32 v41, 7, v6
	v_ffbh_u32_e32 v42, v41
	v_min_u32_e32 v45, 32, v42
	v_subrev_u32_e32 v42, 28, v45
	v_bfe_u32 v44, v6, 3, 4
	v_lshlrev_b64 v[42:43], v42, v[6:7]
	v_sub_u32_e32 v43, 29, v45
	v_cmp_eq_u32_e64 s[0:1], 0, v44
	v_and_b32_e32 v42, 7, v42
	v_lshlrev_b32_e32 v6, 8, v6
	v_cndmask_b32_e64 v43, v44, v43, s[0:1]
	v_cndmask_b32_e64 v41, v41, v42, s[0:1]
	v_lshl_add_u32 v42, v43, 10, v25
	v_and_or_b32 v6, v6, s26, v42
	v_lshl_or_b32 v6, v41, 7, v6
	v_cvt_f32_f16_e32 v41, v6
.LBB226_141:                            ;   in Loop: Header=BB226_48 Depth=1
	s_or_b64 exec, exec, s[12:13]
	v_lshrrev_b32_e32 v6, 16, v17
	v_cmp_gt_i16_sdwa s[10:11], v6, s24 src0_sel:BYTE_0 src1_sel:DWORD
	s_mov_b64 s[0:1], 0
                                        ; implicit-def: $sgpr16
	s_and_saveexec_b64 s[12:13], s[10:11]
	s_xor_b64 s[10:11], exec, s[12:13]
	s_cbranch_execnz .LBB226_273
; %bb.142:                              ;   in Loop: Header=BB226_48 Depth=1
	s_or_saveexec_b64 s[10:11], s[10:11]
	v_mov_b32_e32 v42, s16
	s_xor_b64 exec, exec, s[10:11]
	s_cbranch_execnz .LBB226_276
.LBB226_143:                            ;   in Loop: Header=BB226_48 Depth=1
	s_or_b64 exec, exec, s[10:11]
	s_and_saveexec_b64 s[10:11], s[0:1]
	s_cbranch_execz .LBB226_145
.LBB226_144:                            ;   in Loop: Header=BB226_48 Depth=1
	v_bfe_u32 v44, v17, 16, 3
	v_ffbh_u32_e32 v42, v44
	v_min_u32_e32 v46, 32, v42
	v_subrev_u32_e32 v42, 28, v46
	v_bfe_u32 v45, v17, 19, 4
	v_lshlrev_b64 v[42:43], v42, v[6:7]
	v_sub_u32_e32 v43, 29, v46
	v_cmp_eq_u32_e64 s[0:1], 0, v45
	v_and_b32_e32 v42, 7, v42
	v_lshlrev_b32_e32 v6, 8, v6
	v_cndmask_b32_e64 v43, v45, v43, s[0:1]
	v_lshl_add_u32 v43, v43, 10, v25
	v_cndmask_b32_e64 v42, v44, v42, s[0:1]
	v_and_or_b32 v6, v6, s26, v43
	v_lshl_or_b32 v6, v42, 7, v6
	v_cvt_f32_f16_e32 v42, v6
.LBB226_145:                            ;   in Loop: Header=BB226_48 Depth=1
	s_or_b64 exec, exec, s[10:11]
	v_lshrrev_b32_e32 v6, 24, v17
	v_cmp_lt_i16_e64 s[0:1], s24, v6
	s_mov_b64 s[10:11], 0
                                        ; implicit-def: $sgpr39
	s_and_saveexec_b64 s[12:13], s[0:1]
	s_xor_b64 s[12:13], exec, s[12:13]
	s_cbranch_execnz .LBB226_277
; %bb.146:                              ;   in Loop: Header=BB226_48 Depth=1
	s_or_saveexec_b64 s[12:13], s[12:13]
	v_mov_b32_e32 v43, s39
	s_xor_b64 exec, exec, s[12:13]
	s_cbranch_execnz .LBB226_280
.LBB226_147:                            ;   in Loop: Header=BB226_48 Depth=1
	s_or_b64 exec, exec, s[12:13]
	s_and_saveexec_b64 s[12:13], s[10:11]
	s_cbranch_execz .LBB226_149
.LBB226_148:                            ;   in Loop: Header=BB226_48 Depth=1
	v_bfe_u32 v43, v17, 24, 3
	v_ffbh_u32_e32 v44, v43
	v_min_u32_e32 v46, 32, v44
	v_subrev_u32_e32 v44, 28, v46
	v_bfe_u32 v17, v17, 27, 4
	v_lshlrev_b64 v[44:45], v44, v[6:7]
	v_sub_u32_e32 v45, 29, v46
	v_cmp_eq_u32_e64 s[0:1], 0, v17
	v_and_b32_e32 v44, 7, v44
	v_lshlrev_b32_e32 v6, 8, v6
	v_cndmask_b32_e64 v17, v17, v45, s[0:1]
	v_lshl_add_u32 v17, v17, 10, v25
	v_cndmask_b32_e64 v43, v43, v44, s[0:1]
	v_and_or_b32 v6, v6, s26, v17
	v_lshl_or_b32 v6, v43, 7, v6
	v_cvt_f32_f16_e32 v43, v6
.LBB226_149:                            ;   in Loop: Header=BB226_48 Depth=1
	s_or_b64 exec, exec, s[12:13]
	s_waitcnt vmcnt(0)
	v_pk_mul_f32 v[20:21], v[14:15], v[20:21] op_sel_hi:[0,1]
	v_pk_mul_f32 v[18:19], v[14:15], v[18:19] op_sel_hi:[0,1]
	v_cvt_f16_f32_e32 v6, v21
	v_cvt_f16_f32_e32 v17, v20
	;; [unrolled: 1-line block ×4, first 2 shown]
	v_fma_mixlo_f16 v16, v14, v16, 0
	v_pack_b32_f16 v17, v17, v6
	v_pack_b32_f16 v18, v18, v19
	v_perm_b32 v6, v18, v17, s36
	v_perm_b32 v17, v18, v17, s37
	v_fma_mixlo_f16 v18, v14, v41, 0
	v_lshlrev_b32_e32 v18, 16, v18
	v_or_b32_sdwa v16, v18, v16 dst_sel:DWORD dst_unused:UNUSED_PAD src0_sel:DWORD src1_sel:WORD_0
	v_fma_mixlo_f16 v18, v14, v42, 0
	v_fma_mixlo_f16 v14, v14, v43, 0
	v_lshlrev_b32_e32 v14, 16, v14
	v_or_b32_sdwa v14, v14, v18 dst_sel:DWORD dst_unused:UNUSED_PAD src0_sel:DWORD src1_sel:WORD_0
	s_and_saveexec_b64 s[10:11], vcc
	s_cbranch_execz .LBB226_151
; %bb.150:                              ;   in Loop: Header=BB226_48 Depth=1
	v_lshrrev_b32_e32 v19, 16, v17
	v_cmp_gt_i32_e64 s[0:1], s22, v32
	v_lshrrev_b32_e32 v14, 16, v14
	s_nop 0
	v_cndmask_b32_e64 v19, 0, v19, s[0:1]
	v_cmp_gt_i32_e64 s[0:1], s33, v15
	s_nop 1
	v_cndmask_b32_e64 v17, 0, v17, s[0:1]
	v_perm_b32 v17, v19, v17, s38
	v_lshrrev_b32_e32 v19, 16, v6
	v_cmp_gt_i32_e64 s[0:1], s22, v31
	s_nop 1
	v_cndmask_b32_e64 v19, 0, v19, s[0:1]
	v_cmp_gt_i32_e64 s[0:1], s33, v30
	s_nop 1
	v_cndmask_b32_e64 v6, 0, v6, s[0:1]
	v_perm_b32 v6, v19, v6, s38
	v_lshrrev_b32_e32 v19, 16, v16
	v_cmp_gt_i32_e64 s[0:1], s22, v29
	s_nop 1
	v_cndmask_b32_e64 v19, 0, v19, s[0:1]
	v_cmp_gt_i32_e64 s[0:1], s33, v28
	s_nop 1
	v_cndmask_b32_e64 v16, 0, v16, s[0:1]
	v_cmp_gt_i32_e64 s[0:1], s22, v27
	v_perm_b32 v16, v19, v16, s38
	s_nop 0
	v_cndmask_b32_e64 v14, 0, v14, s[0:1]
	v_cmp_gt_i32_e64 s[0:1], s33, v26
	s_nop 1
	v_cndmask_b32_e64 v18, 0, v18, s[0:1]
	v_perm_b32 v14, v14, v18, s38
.LBB226_151:                            ;   in Loop: Header=BB226_48 Depth=1
	s_or_b64 exec, exec, s[10:11]
	;;#ASMSTART
	v_pk_mul_f16 v17, v36, v17;

	;;#ASMEND
	;;#ASMSTART
	v_pk_mul_f16 v6, v35, v6;

	;;#ASMEND
	;; [unrolled: 4-line block ×4, first 2 shown]
	s_mov_b64 s[0:1], 0
	;;#ASMSTART
	v_pk_add_f16 v6, v17, v6;

	;;#ASMEND
                                        ; implicit-def: $sgpr16
	s_nop 0
	;;#ASMSTART
	v_pk_add_f16 v6, v6, v16;

	;;#ASMEND
	s_nop 0
	;;#ASMSTART
	v_pk_add_f16 v6, v6, v14;

	;;#ASMEND
	s_nop 0
	v_lshrrev_b32_e32 v14, 16, v6
	v_and_b32_e32 v6, 0xffff, v6
	;;#ASMSTART
	v_cvt_f32_f16 v20, v6;
	;;#ASMEND
	;;#ASMSTART
	v_cvt_f32_f16 v21, v14;
	;;#ASMEND
	global_load_dwordx2 v[16:17], v[12:13], off offset:1536
	global_load_dword v14, v7, s[14:15]
	s_waitcnt vmcnt(1)
	v_cmp_gt_i16_sdwa s[10:11], v16, s24 src0_sel:BYTE_0 src1_sel:DWORD
	s_and_saveexec_b64 s[12:13], s[10:11]
	s_xor_b64 s[10:11], exec, s[12:13]
	s_cbranch_execnz .LBB226_281
; %bb.152:                              ;   in Loop: Header=BB226_48 Depth=1
	s_or_saveexec_b64 s[10:11], s[10:11]
	v_mov_b32_e32 v12, s16
	s_xor_b64 exec, exec, s[10:11]
	s_cbranch_execnz .LBB226_284
.LBB226_153:                            ;   in Loop: Header=BB226_48 Depth=1
	s_or_b64 exec, exec, s[10:11]
	s_and_saveexec_b64 s[10:11], s[0:1]
	s_cbranch_execz .LBB226_155
.LBB226_154:                            ;   in Loop: Header=BB226_48 Depth=1
	v_and_b32_e32 v6, 7, v16
	v_ffbh_u32_e32 v6, v6
	v_bfe_u32 v12, v16, 3, 4
	v_min_u32_e32 v6, 32, v6
	v_subrev_u32_e32 v13, 28, v6
	v_sub_u32_e32 v6, 29, v6
	v_cmp_eq_u32_e64 s[0:1], 0, v12
	s_nop 1
	v_cndmask_b32_e64 v6, v12, v6, s[0:1]
	v_cndmask_b32_e64 v12, 0, v13, s[0:1]
	v_lshlrev_b64 v[12:13], v12, v[16:17]
	v_lshlrev_b32_e32 v13, 8, v16
	v_lshl_add_u32 v6, v6, 10, v25
	v_lshlrev_b32_e32 v12, 7, v12
	v_and_or_b32 v6, v13, s26, v6
	v_and_or_b32 v6, v12, s27, v6
	v_cvt_f32_f16_e32 v12, v6
.LBB226_155:                            ;   in Loop: Header=BB226_48 Depth=1
	s_or_b64 exec, exec, s[10:11]
	v_lshrrev_b16_e32 v6, 8, v16
	v_cmp_lt_i16_e64 s[0:1], s24, v6
	s_mov_b64 s[10:11], 0
                                        ; implicit-def: $sgpr39
	s_and_saveexec_b64 s[12:13], s[0:1]
	s_xor_b64 s[12:13], exec, s[12:13]
	s_cbranch_execnz .LBB226_285
; %bb.156:                              ;   in Loop: Header=BB226_48 Depth=1
	s_or_saveexec_b64 s[12:13], s[12:13]
	v_mov_b32_e32 v18, s39
	s_xor_b64 exec, exec, s[12:13]
	s_cbranch_execnz .LBB226_288
.LBB226_157:                            ;   in Loop: Header=BB226_48 Depth=1
	s_or_b64 exec, exec, s[12:13]
	s_and_saveexec_b64 s[12:13], s[10:11]
	s_cbranch_execz .LBB226_159
.LBB226_158:                            ;   in Loop: Header=BB226_48 Depth=1
	v_and_b32_e32 v13, 7, v6
	v_ffbh_u32_e32 v18, v13
	v_min_u32_e32 v42, 32, v18
	v_subrev_u32_e32 v18, 28, v42
	v_bfe_u32 v41, v6, 3, 4
	v_lshlrev_b64 v[18:19], v18, v[6:7]
	v_sub_u32_e32 v19, 29, v42
	v_cmp_eq_u32_e64 s[0:1], 0, v41
	v_and_b32_e32 v18, 7, v18
	v_lshlrev_b32_e32 v6, 8, v6
	v_cndmask_b32_e64 v19, v41, v19, s[0:1]
	v_cndmask_b32_e64 v13, v13, v18, s[0:1]
	v_lshl_add_u32 v18, v19, 10, v25
	v_and_or_b32 v6, v6, s26, v18
	v_lshl_or_b32 v6, v13, 7, v6
	v_cvt_f32_f16_e32 v18, v6
.LBB226_159:                            ;   in Loop: Header=BB226_48 Depth=1
	s_or_b64 exec, exec, s[12:13]
	v_lshrrev_b32_e32 v6, 16, v16
	v_cmp_gt_i16_sdwa s[10:11], v6, s24 src0_sel:BYTE_0 src1_sel:DWORD
	s_mov_b64 s[0:1], 0
                                        ; implicit-def: $sgpr16
	s_and_saveexec_b64 s[12:13], s[10:11]
	s_xor_b64 s[10:11], exec, s[12:13]
	s_cbranch_execnz .LBB226_289
; %bb.160:                              ;   in Loop: Header=BB226_48 Depth=1
	s_or_saveexec_b64 s[10:11], s[10:11]
	v_mov_b32_e32 v13, s16
	s_xor_b64 exec, exec, s[10:11]
	s_cbranch_execnz .LBB226_292
.LBB226_161:                            ;   in Loop: Header=BB226_48 Depth=1
	s_or_b64 exec, exec, s[10:11]
	s_and_saveexec_b64 s[10:11], s[0:1]
	s_cbranch_execz .LBB226_163
.LBB226_162:                            ;   in Loop: Header=BB226_48 Depth=1
	v_bfe_u32 v13, v16, 16, 3
	v_ffbh_u32_e32 v41, v13
	v_bfe_u32 v19, v16, 19, 4
	v_min_u32_e32 v41, 32, v41
	v_subrev_u32_e32 v42, 28, v41
	v_sub_u32_e32 v41, 29, v41
	v_cmp_eq_u32_e64 s[0:1], 0, v19
	v_lshlrev_b64 v[42:43], v42, v[6:7]
	v_and_b32_e32 v42, 7, v42
	v_cndmask_b32_e64 v19, v19, v41, s[0:1]
	v_lshlrev_b32_e32 v6, 8, v6
	v_lshl_add_u32 v19, v19, 10, v25
	v_cndmask_b32_e64 v13, v13, v42, s[0:1]
	v_and_or_b32 v6, v6, s26, v19
	v_lshl_or_b32 v6, v13, 7, v6
	v_cvt_f32_f16_e32 v13, v6
.LBB226_163:                            ;   in Loop: Header=BB226_48 Depth=1
	s_or_b64 exec, exec, s[10:11]
	v_lshrrev_b32_e32 v6, 24, v16
	v_cmp_lt_i16_e64 s[0:1], s24, v6
	s_mov_b64 s[10:11], 0
                                        ; implicit-def: $sgpr39
	s_and_saveexec_b64 s[12:13], s[0:1]
	s_xor_b64 s[12:13], exec, s[12:13]
	s_cbranch_execnz .LBB226_293
; %bb.164:                              ;   in Loop: Header=BB226_48 Depth=1
	s_or_saveexec_b64 s[12:13], s[12:13]
	v_mov_b32_e32 v19, s39
	s_xor_b64 exec, exec, s[12:13]
	s_cbranch_execnz .LBB226_296
.LBB226_165:                            ;   in Loop: Header=BB226_48 Depth=1
	s_or_b64 exec, exec, s[12:13]
	s_and_saveexec_b64 s[12:13], s[10:11]
	s_cbranch_execz .LBB226_167
.LBB226_166:                            ;   in Loop: Header=BB226_48 Depth=1
	v_bfe_u32 v19, v16, 24, 3
	v_ffbh_u32_e32 v41, v19
	v_bfe_u32 v16, v16, 27, 4
	v_min_u32_e32 v41, 32, v41
	v_subrev_u32_e32 v42, 28, v41
	v_sub_u32_e32 v41, 29, v41
	v_cmp_eq_u32_e64 s[0:1], 0, v16
	v_lshlrev_b64 v[42:43], v42, v[6:7]
	v_and_b32_e32 v42, 7, v42
	v_cndmask_b32_e64 v16, v16, v41, s[0:1]
	v_lshlrev_b32_e32 v6, 8, v6
	v_lshl_add_u32 v16, v16, 10, v25
	v_cndmask_b32_e64 v19, v19, v42, s[0:1]
	v_and_or_b32 v6, v6, s26, v16
	v_lshl_or_b32 v6, v19, 7, v6
	v_cvt_f32_f16_e32 v19, v6
.LBB226_167:                            ;   in Loop: Header=BB226_48 Depth=1
	s_or_b64 exec, exec, s[12:13]
	v_cmp_gt_i16_sdwa s[10:11], v17, s24 src0_sel:BYTE_0 src1_sel:DWORD
	s_mov_b64 s[0:1], 0
                                        ; implicit-def: $sgpr16
	s_and_saveexec_b64 s[12:13], s[10:11]
	s_xor_b64 s[10:11], exec, s[12:13]
	s_cbranch_execnz .LBB226_297
; %bb.168:                              ;   in Loop: Header=BB226_48 Depth=1
	s_or_saveexec_b64 s[10:11], s[10:11]
	v_mov_b32_e32 v16, s16
	s_xor_b64 exec, exec, s[10:11]
	s_cbranch_execnz .LBB226_300
.LBB226_169:                            ;   in Loop: Header=BB226_48 Depth=1
	s_or_b64 exec, exec, s[10:11]
	v_mov_b32_e32 v6, v17
	s_and_saveexec_b64 s[10:11], s[0:1]
	s_cbranch_execz .LBB226_171
.LBB226_170:                            ;   in Loop: Header=BB226_48 Depth=1
	v_and_b32_e32 v16, 7, v17
	v_ffbh_u32_e32 v16, v16
	v_bfe_u32 v41, v17, 3, 4
	v_min_u32_e32 v16, 32, v16
	v_subrev_u32_e32 v42, 28, v16
	v_sub_u32_e32 v16, 29, v16
	v_cmp_eq_u32_e64 s[0:1], 0, v41
	s_nop 1
	v_cndmask_b32_e64 v16, v41, v16, s[0:1]
	v_cndmask_b32_e64 v41, 0, v42, s[0:1]
	v_lshlrev_b64 v[42:43], v41, v[6:7]
	v_lshlrev_b32_e32 v41, 7, v42
	v_lshlrev_b32_e32 v42, 8, v17
	v_lshl_add_u32 v16, v16, 10, v25
	v_and_or_b32 v16, v42, s26, v16
	v_and_or_b32 v16, v41, s27, v16
	v_cvt_f32_f16_e32 v16, v16
.LBB226_171:                            ;   in Loop: Header=BB226_48 Depth=1
	s_or_b64 exec, exec, s[10:11]
	v_lshrrev_b16_e32 v6, 8, v6
	v_cmp_lt_i16_e64 s[0:1], s24, v6
	s_mov_b64 s[10:11], 0
                                        ; implicit-def: $sgpr39
	s_and_saveexec_b64 s[12:13], s[0:1]
	s_xor_b64 s[12:13], exec, s[12:13]
	s_cbranch_execnz .LBB226_301
; %bb.172:                              ;   in Loop: Header=BB226_48 Depth=1
	s_or_saveexec_b64 s[12:13], s[12:13]
	v_mov_b32_e32 v41, s39
	s_xor_b64 exec, exec, s[12:13]
	s_cbranch_execnz .LBB226_304
.LBB226_173:                            ;   in Loop: Header=BB226_48 Depth=1
	s_or_b64 exec, exec, s[12:13]
	s_and_saveexec_b64 s[12:13], s[10:11]
	s_cbranch_execz .LBB226_175
.LBB226_174:                            ;   in Loop: Header=BB226_48 Depth=1
	v_and_b32_e32 v41, 7, v6
	v_ffbh_u32_e32 v42, v41
	v_min_u32_e32 v45, 32, v42
	v_subrev_u32_e32 v42, 28, v45
	v_bfe_u32 v44, v6, 3, 4
	v_lshlrev_b64 v[42:43], v42, v[6:7]
	v_sub_u32_e32 v43, 29, v45
	v_cmp_eq_u32_e64 s[0:1], 0, v44
	v_and_b32_e32 v42, 7, v42
	v_lshlrev_b32_e32 v6, 8, v6
	v_cndmask_b32_e64 v43, v44, v43, s[0:1]
	v_cndmask_b32_e64 v41, v41, v42, s[0:1]
	v_lshl_add_u32 v42, v43, 10, v25
	v_and_or_b32 v6, v6, s26, v42
	v_lshl_or_b32 v6, v41, 7, v6
	v_cvt_f32_f16_e32 v41, v6
.LBB226_175:                            ;   in Loop: Header=BB226_48 Depth=1
	s_or_b64 exec, exec, s[12:13]
	v_lshrrev_b32_e32 v6, 16, v17
	v_cmp_gt_i16_sdwa s[10:11], v6, s24 src0_sel:BYTE_0 src1_sel:DWORD
	s_mov_b64 s[0:1], 0
                                        ; implicit-def: $sgpr16
	s_and_saveexec_b64 s[12:13], s[10:11]
	s_xor_b64 s[10:11], exec, s[12:13]
	s_cbranch_execnz .LBB226_305
; %bb.176:                              ;   in Loop: Header=BB226_48 Depth=1
	s_or_saveexec_b64 s[10:11], s[10:11]
	v_mov_b32_e32 v42, s16
	s_xor_b64 exec, exec, s[10:11]
	s_cbranch_execnz .LBB226_308
.LBB226_177:                            ;   in Loop: Header=BB226_48 Depth=1
	s_or_b64 exec, exec, s[10:11]
	s_and_saveexec_b64 s[10:11], s[0:1]
	s_cbranch_execz .LBB226_179
.LBB226_178:                            ;   in Loop: Header=BB226_48 Depth=1
	v_bfe_u32 v44, v17, 16, 3
	v_ffbh_u32_e32 v42, v44
	v_min_u32_e32 v46, 32, v42
	v_subrev_u32_e32 v42, 28, v46
	v_bfe_u32 v45, v17, 19, 4
	v_lshlrev_b64 v[42:43], v42, v[6:7]
	v_sub_u32_e32 v43, 29, v46
	v_cmp_eq_u32_e64 s[0:1], 0, v45
	v_and_b32_e32 v42, 7, v42
	v_lshlrev_b32_e32 v6, 8, v6
	v_cndmask_b32_e64 v43, v45, v43, s[0:1]
	v_lshl_add_u32 v43, v43, 10, v25
	v_cndmask_b32_e64 v42, v44, v42, s[0:1]
	v_and_or_b32 v6, v6, s26, v43
	v_lshl_or_b32 v6, v42, 7, v6
	v_cvt_f32_f16_e32 v42, v6
.LBB226_179:                            ;   in Loop: Header=BB226_48 Depth=1
	s_or_b64 exec, exec, s[10:11]
	v_lshrrev_b32_e32 v6, 24, v17
	v_cmp_lt_i16_e64 s[0:1], s24, v6
	s_mov_b64 s[10:11], 0
                                        ; implicit-def: $sgpr39
	s_and_saveexec_b64 s[12:13], s[0:1]
	s_xor_b64 s[12:13], exec, s[12:13]
	s_cbranch_execnz .LBB226_309
; %bb.180:                              ;   in Loop: Header=BB226_48 Depth=1
	s_or_saveexec_b64 s[12:13], s[12:13]
	v_mov_b32_e32 v43, s39
	s_xor_b64 exec, exec, s[12:13]
	s_cbranch_execnz .LBB226_312
.LBB226_181:                            ;   in Loop: Header=BB226_48 Depth=1
	s_or_b64 exec, exec, s[12:13]
	s_and_saveexec_b64 s[12:13], s[10:11]
	s_cbranch_execz .LBB226_183
.LBB226_182:                            ;   in Loop: Header=BB226_48 Depth=1
	v_bfe_u32 v43, v17, 24, 3
	v_ffbh_u32_e32 v44, v43
	v_min_u32_e32 v46, 32, v44
	v_subrev_u32_e32 v44, 28, v46
	v_bfe_u32 v17, v17, 27, 4
	v_lshlrev_b64 v[44:45], v44, v[6:7]
	v_sub_u32_e32 v45, 29, v46
	v_cmp_eq_u32_e64 s[0:1], 0, v17
	v_and_b32_e32 v44, 7, v44
	v_lshlrev_b32_e32 v6, 8, v6
	v_cndmask_b32_e64 v17, v17, v45, s[0:1]
	v_lshl_add_u32 v17, v17, 10, v25
	v_cndmask_b32_e64 v43, v43, v44, s[0:1]
	v_and_or_b32 v6, v6, s26, v17
	v_lshl_or_b32 v6, v43, 7, v6
	v_cvt_f32_f16_e32 v43, v6
.LBB226_183:                            ;   in Loop: Header=BB226_48 Depth=1
	s_or_b64 exec, exec, s[12:13]
	s_waitcnt vmcnt(0)
	v_pk_mul_f32 v[18:19], v[14:15], v[18:19] op_sel_hi:[0,1]
	v_pk_mul_f32 v[12:13], v[14:15], v[12:13] op_sel_hi:[0,1]
	v_cvt_f16_f32_e32 v6, v19
	v_cvt_f16_f32_e32 v17, v18
	;; [unrolled: 1-line block ×4, first 2 shown]
	v_fma_mixlo_f16 v16, v14, v16, 0
	v_pack_b32_f16 v17, v17, v6
	v_pack_b32_f16 v12, v12, v13
	v_perm_b32 v6, v12, v17, s36
	v_perm_b32 v13, v12, v17, s37
	v_fma_mixlo_f16 v12, v14, v41, 0
	v_lshlrev_b32_e32 v12, 16, v12
	v_or_b32_sdwa v12, v12, v16 dst_sel:DWORD dst_unused:UNUSED_PAD src0_sel:DWORD src1_sel:WORD_0
	v_fma_mixlo_f16 v16, v14, v42, 0
	v_fma_mixlo_f16 v14, v14, v43, 0
	v_lshlrev_b32_e32 v14, 16, v14
	v_or_b32_sdwa v14, v14, v16 dst_sel:DWORD dst_unused:UNUSED_PAD src0_sel:DWORD src1_sel:WORD_0
	s_and_saveexec_b64 s[0:1], vcc
	s_cbranch_execz .LBB226_46
; %bb.184:                              ;   in Loop: Header=BB226_48 Depth=1
	v_lshrrev_b32_e32 v17, 16, v13
	v_cmp_gt_i32_e32 vcc, s22, v32
	v_lshrrev_b32_e32 v14, 16, v14
	s_nop 0
	v_cndmask_b32_e32 v17, 0, v17, vcc
	v_cmp_gt_i32_e32 vcc, s33, v15
	s_nop 1
	v_cndmask_b32_e32 v13, 0, v13, vcc
	v_perm_b32 v13, v17, v13, s38
	v_lshrrev_b32_e32 v17, 16, v6
	v_cmp_gt_i32_e32 vcc, s22, v31
	s_nop 1
	v_cndmask_b32_e32 v17, 0, v17, vcc
	v_cmp_gt_i32_e32 vcc, s33, v30
	s_nop 1
	v_cndmask_b32_e32 v6, 0, v6, vcc
	v_perm_b32 v6, v17, v6, s38
	v_lshrrev_b32_e32 v17, 16, v12
	v_cmp_gt_i32_e32 vcc, s22, v29
	s_nop 1
	v_cndmask_b32_e32 v17, 0, v17, vcc
	v_cmp_gt_i32_e32 vcc, s33, v28
	s_nop 1
	v_cndmask_b32_e32 v12, 0, v12, vcc
	v_cmp_gt_i32_e32 vcc, s22, v27
	v_perm_b32 v12, v17, v12, s38
	s_nop 0
	v_cndmask_b32_e32 v14, 0, v14, vcc
	v_cmp_gt_i32_e32 vcc, s33, v26
	s_nop 1
	v_cndmask_b32_e32 v16, 0, v16, vcc
	v_perm_b32 v14, v14, v16, s38
	s_branch .LBB226_46
.LBB226_185:                            ;   in Loop: Header=BB226_48 Depth=1
	v_cmp_eq_u16_sdwa s[44:45], v16, s25 src0_sel:BYTE_0 src1_sel:DWORD
	s_mov_b64 s[0:1], -1
                                        ; implicit-def: $sgpr16
	s_and_saveexec_b64 s[12:13], s[44:45]
; %bb.186:                              ;   in Loop: Header=BB226_48 Depth=1
	s_mov_b32 s16, 0x7fc02000
	s_xor_b64 s[0:1], exec, -1
; %bb.187:                              ;   in Loop: Header=BB226_48 Depth=1
	s_or_b64 exec, exec, s[12:13]
	s_and_b64 s[0:1], s[0:1], exec
	s_or_saveexec_b64 s[10:11], s[10:11]
	v_mov_b32_e32 v18, s16
	s_xor_b64 exec, exec, s[10:11]
	s_cbranch_execz .LBB226_51
.LBB226_188:                            ;   in Loop: Header=BB226_48 Depth=1
	v_cmp_ne_u16_sdwa s[12:13], v16, v7 src0_sel:BYTE_0 src1_sel:DWORD
	s_andn2_b64 s[0:1], s[0:1], exec
	s_and_b64 s[12:13], s[12:13], exec
	v_mov_b32_e32 v18, 0
	s_or_b64 s[0:1], s[0:1], s[12:13]
	s_or_b64 exec, exec, s[10:11]
	s_and_saveexec_b64 s[10:11], s[0:1]
	s_cbranch_execnz .LBB226_52
	s_branch .LBB226_53
.LBB226_189:                            ;   in Loop: Header=BB226_48 Depth=1
	v_cmp_eq_u16_e32 vcc, s25, v6
	s_mov_b64 s[0:1], -1
                                        ; implicit-def: $sgpr16
	s_and_saveexec_b64 s[12:13], vcc
; %bb.190:                              ;   in Loop: Header=BB226_48 Depth=1
	s_mov_b32 s16, 0x7fc02000
	s_xor_b64 s[0:1], exec, -1
; %bb.191:                              ;   in Loop: Header=BB226_48 Depth=1
	s_or_b64 exec, exec, s[12:13]
	s_and_b64 s[0:1], s[0:1], exec
	s_or_saveexec_b64 s[10:11], s[10:11]
	v_mov_b32_e32 v20, s16
	s_xor_b64 exec, exec, s[10:11]
	s_cbranch_execz .LBB226_55
.LBB226_192:                            ;   in Loop: Header=BB226_48 Depth=1
	v_cmp_ne_u16_e32 vcc, 0, v6
	s_andn2_b64 s[0:1], s[0:1], exec
	s_and_b64 s[12:13], vcc, exec
	v_mov_b32_e32 v20, 0
	s_or_b64 s[0:1], s[0:1], s[12:13]
	s_or_b64 exec, exec, s[10:11]
	s_and_saveexec_b64 s[10:11], s[0:1]
	s_cbranch_execnz .LBB226_56
	s_branch .LBB226_57
.LBB226_193:                            ;   in Loop: Header=BB226_48 Depth=1
	v_cmp_eq_u16_sdwa s[44:45], v6, s25 src0_sel:BYTE_0 src1_sel:DWORD
	s_mov_b64 s[0:1], -1
                                        ; implicit-def: $sgpr16
	s_and_saveexec_b64 s[12:13], s[44:45]
; %bb.194:                              ;   in Loop: Header=BB226_48 Depth=1
	s_mov_b32 s16, 0x7fc02000
	s_xor_b64 s[0:1], exec, -1
; %bb.195:                              ;   in Loop: Header=BB226_48 Depth=1
	s_or_b64 exec, exec, s[12:13]
	s_and_b64 s[0:1], s[0:1], exec
	s_or_saveexec_b64 s[10:11], s[10:11]
	v_mov_b32_e32 v19, s16
	s_xor_b64 exec, exec, s[10:11]
	s_cbranch_execz .LBB226_59
.LBB226_196:                            ;   in Loop: Header=BB226_48 Depth=1
	v_cmp_ne_u16_sdwa s[12:13], v6, v7 src0_sel:BYTE_0 src1_sel:DWORD
	s_andn2_b64 s[0:1], s[0:1], exec
	s_and_b64 s[12:13], s[12:13], exec
	v_mov_b32_e32 v19, 0
	s_or_b64 s[0:1], s[0:1], s[12:13]
	s_or_b64 exec, exec, s[10:11]
	s_and_saveexec_b64 s[10:11], s[0:1]
	s_cbranch_execnz .LBB226_60
	s_branch .LBB226_61
.LBB226_197:                            ;   in Loop: Header=BB226_48 Depth=1
	v_cmp_eq_u16_e32 vcc, s25, v6
	s_mov_b64 s[0:1], -1
                                        ; implicit-def: $sgpr16
	s_and_saveexec_b64 s[12:13], vcc
; %bb.198:                              ;   in Loop: Header=BB226_48 Depth=1
	s_mov_b32 s16, 0x7fc02000
	s_xor_b64 s[0:1], exec, -1
; %bb.199:                              ;   in Loop: Header=BB226_48 Depth=1
	s_or_b64 exec, exec, s[12:13]
	s_and_b64 s[0:1], s[0:1], exec
	s_or_saveexec_b64 s[10:11], s[10:11]
	v_mov_b32_e32 v21, s16
	s_xor_b64 exec, exec, s[10:11]
	s_cbranch_execz .LBB226_63
.LBB226_200:                            ;   in Loop: Header=BB226_48 Depth=1
	v_cmp_ne_u16_e32 vcc, 0, v6
	s_andn2_b64 s[0:1], s[0:1], exec
	s_and_b64 s[12:13], vcc, exec
	v_mov_b32_e32 v21, 0
	s_or_b64 s[0:1], s[0:1], s[12:13]
	s_or_b64 exec, exec, s[10:11]
	s_and_saveexec_b64 s[10:11], s[0:1]
	s_cbranch_execnz .LBB226_64
	s_branch .LBB226_65
.LBB226_201:                            ;   in Loop: Header=BB226_48 Depth=1
	v_cmp_eq_u16_sdwa s[44:45], v17, s25 src0_sel:BYTE_0 src1_sel:DWORD
	s_mov_b64 s[0:1], -1
                                        ; implicit-def: $sgpr16
	s_and_saveexec_b64 s[12:13], s[44:45]
; %bb.202:                              ;   in Loop: Header=BB226_48 Depth=1
	s_mov_b32 s16, 0x7fc02000
	s_xor_b64 s[0:1], exec, -1
; %bb.203:                              ;   in Loop: Header=BB226_48 Depth=1
	s_or_b64 exec, exec, s[12:13]
	s_and_b64 s[0:1], s[0:1], exec
	s_or_saveexec_b64 s[10:11], s[10:11]
	v_mov_b32_e32 v16, s16
	s_xor_b64 exec, exec, s[10:11]
	s_cbranch_execz .LBB226_67
.LBB226_204:                            ;   in Loop: Header=BB226_48 Depth=1
	v_cmp_ne_u16_sdwa s[12:13], v17, v7 src0_sel:BYTE_0 src1_sel:DWORD
	s_andn2_b64 s[0:1], s[0:1], exec
	s_and_b64 s[12:13], s[12:13], exec
	v_mov_b32_e32 v16, 0
	s_or_b64 s[0:1], s[0:1], s[12:13]
	s_or_b64 exec, exec, s[10:11]
	v_mov_b32_e32 v6, v17
	s_and_saveexec_b64 s[10:11], s[0:1]
	s_cbranch_execnz .LBB226_68
	s_branch .LBB226_69
.LBB226_205:                            ;   in Loop: Header=BB226_48 Depth=1
	v_cmp_eq_u16_e32 vcc, s25, v6
	s_mov_b64 s[0:1], -1
                                        ; implicit-def: $sgpr16
	s_and_saveexec_b64 s[12:13], vcc
; %bb.206:                              ;   in Loop: Header=BB226_48 Depth=1
	s_mov_b32 s16, 0x7fc02000
	s_xor_b64 s[0:1], exec, -1
; %bb.207:                              ;   in Loop: Header=BB226_48 Depth=1
	s_or_b64 exec, exec, s[12:13]
	s_and_b64 s[0:1], s[0:1], exec
	s_or_saveexec_b64 s[10:11], s[10:11]
	v_mov_b32_e32 v26, s16
	s_xor_b64 exec, exec, s[10:11]
	s_cbranch_execz .LBB226_71
.LBB226_208:                            ;   in Loop: Header=BB226_48 Depth=1
	v_cmp_ne_u16_e32 vcc, 0, v6
	s_andn2_b64 s[0:1], s[0:1], exec
	s_and_b64 s[12:13], vcc, exec
	v_mov_b32_e32 v26, 0
	s_or_b64 s[0:1], s[0:1], s[12:13]
	s_or_b64 exec, exec, s[10:11]
	s_and_saveexec_b64 s[10:11], s[0:1]
	s_cbranch_execnz .LBB226_72
	s_branch .LBB226_73
.LBB226_209:                            ;   in Loop: Header=BB226_48 Depth=1
	v_cmp_eq_u16_sdwa s[44:45], v6, s25 src0_sel:BYTE_0 src1_sel:DWORD
	s_mov_b64 s[0:1], -1
                                        ; implicit-def: $sgpr16
	s_and_saveexec_b64 s[12:13], s[44:45]
; %bb.210:                              ;   in Loop: Header=BB226_48 Depth=1
	s_mov_b32 s16, 0x7fc02000
	s_xor_b64 s[0:1], exec, -1
; %bb.211:                              ;   in Loop: Header=BB226_48 Depth=1
	s_or_b64 exec, exec, s[12:13]
	s_and_b64 s[0:1], s[0:1], exec
	s_or_saveexec_b64 s[10:11], s[10:11]
	v_mov_b32_e32 v27, s16
	s_xor_b64 exec, exec, s[10:11]
	s_cbranch_execz .LBB226_75
.LBB226_212:                            ;   in Loop: Header=BB226_48 Depth=1
	v_cmp_ne_u16_sdwa s[12:13], v6, v7 src0_sel:BYTE_0 src1_sel:DWORD
	s_andn2_b64 s[0:1], s[0:1], exec
	s_and_b64 s[12:13], s[12:13], exec
	v_mov_b32_e32 v27, 0
	s_or_b64 s[0:1], s[0:1], s[12:13]
	s_or_b64 exec, exec, s[10:11]
	s_and_saveexec_b64 s[10:11], s[0:1]
	s_cbranch_execnz .LBB226_76
	s_branch .LBB226_77
.LBB226_213:                            ;   in Loop: Header=BB226_48 Depth=1
	v_cmp_eq_u16_e32 vcc, s25, v6
	s_mov_b64 s[0:1], -1
                                        ; implicit-def: $sgpr16
	s_and_saveexec_b64 s[12:13], vcc
; %bb.214:                              ;   in Loop: Header=BB226_48 Depth=1
	s_mov_b32 s16, 0x7fc02000
	s_xor_b64 s[0:1], exec, -1
; %bb.215:                              ;   in Loop: Header=BB226_48 Depth=1
	s_or_b64 exec, exec, s[12:13]
	s_and_b64 s[0:1], s[0:1], exec
	s_or_saveexec_b64 s[10:11], s[10:11]
	v_mov_b32_e32 v28, s16
	s_xor_b64 exec, exec, s[10:11]
	s_cbranch_execz .LBB226_79
.LBB226_216:                            ;   in Loop: Header=BB226_48 Depth=1
	v_cmp_ne_u16_e32 vcc, 0, v6
	s_andn2_b64 s[0:1], s[0:1], exec
	s_and_b64 s[12:13], vcc, exec
	v_mov_b32_e32 v28, 0
	s_or_b64 s[0:1], s[0:1], s[12:13]
	s_or_b64 exec, exec, s[10:11]
	s_and_saveexec_b64 s[10:11], s[0:1]
	s_cbranch_execnz .LBB226_80
	s_branch .LBB226_81
.LBB226_217:                            ;   in Loop: Header=BB226_48 Depth=1
	v_cmp_eq_u16_sdwa s[44:45], v16, s25 src0_sel:BYTE_0 src1_sel:DWORD
	s_mov_b64 s[0:1], -1
                                        ; implicit-def: $sgpr16
	s_and_saveexec_b64 s[12:13], s[44:45]
; %bb.218:                              ;   in Loop: Header=BB226_48 Depth=1
	s_mov_b32 s16, 0x7fc02000
	s_xor_b64 s[0:1], exec, -1
; %bb.219:                              ;   in Loop: Header=BB226_48 Depth=1
	s_or_b64 exec, exec, s[12:13]
	s_and_b64 s[0:1], s[0:1], exec
	s_or_saveexec_b64 s[10:11], s[10:11]
	v_mov_b32_e32 v18, s16
	s_xor_b64 exec, exec, s[10:11]
	s_cbranch_execz .LBB226_85
.LBB226_220:                            ;   in Loop: Header=BB226_48 Depth=1
	v_cmp_ne_u16_sdwa s[12:13], v16, v7 src0_sel:BYTE_0 src1_sel:DWORD
	s_andn2_b64 s[0:1], s[0:1], exec
	s_and_b64 s[12:13], s[12:13], exec
	v_mov_b32_e32 v18, 0
	s_or_b64 s[0:1], s[0:1], s[12:13]
	s_or_b64 exec, exec, s[10:11]
	s_and_saveexec_b64 s[10:11], s[0:1]
	s_cbranch_execnz .LBB226_86
	s_branch .LBB226_87
.LBB226_221:                            ;   in Loop: Header=BB226_48 Depth=1
	v_cmp_eq_u16_e64 s[0:1], s25, v6
	s_mov_b64 s[10:11], -1
                                        ; implicit-def: $sgpr39
	s_and_saveexec_b64 s[16:17], s[0:1]
; %bb.222:                              ;   in Loop: Header=BB226_48 Depth=1
	s_mov_b32 s39, 0x7fc02000
	s_xor_b64 s[10:11], exec, -1
; %bb.223:                              ;   in Loop: Header=BB226_48 Depth=1
	s_or_b64 exec, exec, s[16:17]
	s_and_b64 s[10:11], s[10:11], exec
	s_or_saveexec_b64 s[12:13], s[12:13]
	v_mov_b32_e32 v20, s39
	s_xor_b64 exec, exec, s[12:13]
	s_cbranch_execz .LBB226_89
.LBB226_224:                            ;   in Loop: Header=BB226_48 Depth=1
	v_cmp_ne_u16_e64 s[0:1], 0, v6
	s_andn2_b64 s[10:11], s[10:11], exec
	s_and_b64 s[0:1], s[0:1], exec
	v_mov_b32_e32 v20, 0
	s_or_b64 s[10:11], s[10:11], s[0:1]
	s_or_b64 exec, exec, s[12:13]
	s_and_saveexec_b64 s[12:13], s[10:11]
	s_cbranch_execnz .LBB226_90
	s_branch .LBB226_91
.LBB226_225:                            ;   in Loop: Header=BB226_48 Depth=1
	v_cmp_eq_u16_sdwa s[44:45], v6, s25 src0_sel:BYTE_0 src1_sel:DWORD
	s_mov_b64 s[0:1], -1
                                        ; implicit-def: $sgpr16
	s_and_saveexec_b64 s[12:13], s[44:45]
; %bb.226:                              ;   in Loop: Header=BB226_48 Depth=1
	s_mov_b32 s16, 0x7fc02000
	s_xor_b64 s[0:1], exec, -1
; %bb.227:                              ;   in Loop: Header=BB226_48 Depth=1
	s_or_b64 exec, exec, s[12:13]
	s_and_b64 s[0:1], s[0:1], exec
	s_or_saveexec_b64 s[10:11], s[10:11]
	v_mov_b32_e32 v19, s16
	s_xor_b64 exec, exec, s[10:11]
	s_cbranch_execz .LBB226_93
.LBB226_228:                            ;   in Loop: Header=BB226_48 Depth=1
	v_cmp_ne_u16_sdwa s[12:13], v6, v7 src0_sel:BYTE_0 src1_sel:DWORD
	s_andn2_b64 s[0:1], s[0:1], exec
	s_and_b64 s[12:13], s[12:13], exec
	v_mov_b32_e32 v19, 0
	s_or_b64 s[0:1], s[0:1], s[12:13]
	s_or_b64 exec, exec, s[10:11]
	s_and_saveexec_b64 s[10:11], s[0:1]
	s_cbranch_execnz .LBB226_94
	s_branch .LBB226_95
.LBB226_229:                            ;   in Loop: Header=BB226_48 Depth=1
	v_cmp_eq_u16_e64 s[0:1], s25, v6
	s_mov_b64 s[10:11], -1
                                        ; implicit-def: $sgpr39
	s_and_saveexec_b64 s[16:17], s[0:1]
; %bb.230:                              ;   in Loop: Header=BB226_48 Depth=1
	s_mov_b32 s39, 0x7fc02000
	s_xor_b64 s[10:11], exec, -1
; %bb.231:                              ;   in Loop: Header=BB226_48 Depth=1
	s_or_b64 exec, exec, s[16:17]
	s_and_b64 s[10:11], s[10:11], exec
	s_or_saveexec_b64 s[12:13], s[12:13]
	v_mov_b32_e32 v21, s39
	s_xor_b64 exec, exec, s[12:13]
	s_cbranch_execz .LBB226_97
.LBB226_232:                            ;   in Loop: Header=BB226_48 Depth=1
	v_cmp_ne_u16_e64 s[0:1], 0, v6
	s_andn2_b64 s[10:11], s[10:11], exec
	s_and_b64 s[0:1], s[0:1], exec
	v_mov_b32_e32 v21, 0
	s_or_b64 s[10:11], s[10:11], s[0:1]
	s_or_b64 exec, exec, s[12:13]
	s_and_saveexec_b64 s[12:13], s[10:11]
	s_cbranch_execnz .LBB226_98
	s_branch .LBB226_99
.LBB226_233:                            ;   in Loop: Header=BB226_48 Depth=1
	v_cmp_eq_u16_sdwa s[44:45], v17, s25 src0_sel:BYTE_0 src1_sel:DWORD
	s_mov_b64 s[0:1], -1
                                        ; implicit-def: $sgpr16
	s_and_saveexec_b64 s[12:13], s[44:45]
; %bb.234:                              ;   in Loop: Header=BB226_48 Depth=1
	s_mov_b32 s16, 0x7fc02000
	s_xor_b64 s[0:1], exec, -1
; %bb.235:                              ;   in Loop: Header=BB226_48 Depth=1
	s_or_b64 exec, exec, s[12:13]
	s_and_b64 s[0:1], s[0:1], exec
	s_or_saveexec_b64 s[10:11], s[10:11]
	v_mov_b32_e32 v16, s16
	s_xor_b64 exec, exec, s[10:11]
	s_cbranch_execz .LBB226_101
.LBB226_236:                            ;   in Loop: Header=BB226_48 Depth=1
	v_cmp_ne_u16_sdwa s[12:13], v17, v7 src0_sel:BYTE_0 src1_sel:DWORD
	s_andn2_b64 s[0:1], s[0:1], exec
	s_and_b64 s[12:13], s[12:13], exec
	v_mov_b32_e32 v16, 0
	s_or_b64 s[0:1], s[0:1], s[12:13]
	s_or_b64 exec, exec, s[10:11]
	v_mov_b32_e32 v6, v17
	s_and_saveexec_b64 s[10:11], s[0:1]
	s_cbranch_execnz .LBB226_102
	s_branch .LBB226_103
.LBB226_237:                            ;   in Loop: Header=BB226_48 Depth=1
	v_cmp_eq_u16_e64 s[0:1], s25, v6
	s_mov_b64 s[10:11], -1
                                        ; implicit-def: $sgpr39
	s_and_saveexec_b64 s[16:17], s[0:1]
; %bb.238:                              ;   in Loop: Header=BB226_48 Depth=1
	s_mov_b32 s39, 0x7fc02000
	s_xor_b64 s[10:11], exec, -1
; %bb.239:                              ;   in Loop: Header=BB226_48 Depth=1
	s_or_b64 exec, exec, s[16:17]
	s_and_b64 s[10:11], s[10:11], exec
	s_or_saveexec_b64 s[12:13], s[12:13]
	v_mov_b32_e32 v39, s39
	s_xor_b64 exec, exec, s[12:13]
	s_cbranch_execz .LBB226_105
.LBB226_240:                            ;   in Loop: Header=BB226_48 Depth=1
	v_cmp_ne_u16_e64 s[0:1], 0, v6
	s_andn2_b64 s[10:11], s[10:11], exec
	s_and_b64 s[0:1], s[0:1], exec
	v_mov_b32_e32 v39, 0
	s_or_b64 s[10:11], s[10:11], s[0:1]
	s_or_b64 exec, exec, s[12:13]
	s_and_saveexec_b64 s[12:13], s[10:11]
	s_cbranch_execnz .LBB226_106
	s_branch .LBB226_107
.LBB226_241:                            ;   in Loop: Header=BB226_48 Depth=1
	v_cmp_eq_u16_sdwa s[44:45], v6, s25 src0_sel:BYTE_0 src1_sel:DWORD
	s_mov_b64 s[0:1], -1
                                        ; implicit-def: $sgpr16
	s_and_saveexec_b64 s[12:13], s[44:45]
; %bb.242:                              ;   in Loop: Header=BB226_48 Depth=1
	s_mov_b32 s16, 0x7fc02000
	s_xor_b64 s[0:1], exec, -1
; %bb.243:                              ;   in Loop: Header=BB226_48 Depth=1
	s_or_b64 exec, exec, s[12:13]
	s_and_b64 s[0:1], s[0:1], exec
	s_or_saveexec_b64 s[10:11], s[10:11]
	v_mov_b32_e32 v40, s16
	s_xor_b64 exec, exec, s[10:11]
	s_cbranch_execz .LBB226_109
.LBB226_244:                            ;   in Loop: Header=BB226_48 Depth=1
	v_cmp_ne_u16_sdwa s[12:13], v6, v7 src0_sel:BYTE_0 src1_sel:DWORD
	s_andn2_b64 s[0:1], s[0:1], exec
	s_and_b64 s[12:13], s[12:13], exec
	v_mov_b32_e32 v40, 0
	s_or_b64 s[0:1], s[0:1], s[12:13]
	s_or_b64 exec, exec, s[10:11]
	s_and_saveexec_b64 s[10:11], s[0:1]
	s_cbranch_execnz .LBB226_110
	s_branch .LBB226_111
.LBB226_245:                            ;   in Loop: Header=BB226_48 Depth=1
	v_cmp_eq_u16_e64 s[0:1], s25, v6
	s_mov_b64 s[10:11], -1
                                        ; implicit-def: $sgpr39
	s_and_saveexec_b64 s[16:17], s[0:1]
; %bb.246:                              ;   in Loop: Header=BB226_48 Depth=1
	s_mov_b32 s39, 0x7fc02000
	s_xor_b64 s[10:11], exec, -1
; %bb.247:                              ;   in Loop: Header=BB226_48 Depth=1
	s_or_b64 exec, exec, s[16:17]
	s_and_b64 s[10:11], s[10:11], exec
	s_or_saveexec_b64 s[12:13], s[12:13]
	v_mov_b32_e32 v41, s39
	s_xor_b64 exec, exec, s[12:13]
	s_cbranch_execz .LBB226_113
.LBB226_248:                            ;   in Loop: Header=BB226_48 Depth=1
	v_cmp_ne_u16_e64 s[0:1], 0, v6
	s_andn2_b64 s[10:11], s[10:11], exec
	s_and_b64 s[0:1], s[0:1], exec
	v_mov_b32_e32 v41, 0
	s_or_b64 s[10:11], s[10:11], s[0:1]
	s_or_b64 exec, exec, s[12:13]
	s_and_saveexec_b64 s[12:13], s[10:11]
	s_cbranch_execnz .LBB226_114
	s_branch .LBB226_115
.LBB226_249:                            ;   in Loop: Header=BB226_48 Depth=1
	v_cmp_eq_u16_sdwa s[44:45], v16, s25 src0_sel:BYTE_0 src1_sel:DWORD
	s_mov_b64 s[0:1], -1
                                        ; implicit-def: $sgpr16
	s_and_saveexec_b64 s[12:13], s[44:45]
; %bb.250:                              ;   in Loop: Header=BB226_48 Depth=1
	s_mov_b32 s16, 0x7fc02000
	s_xor_b64 s[0:1], exec, -1
; %bb.251:                              ;   in Loop: Header=BB226_48 Depth=1
	s_or_b64 exec, exec, s[12:13]
	s_and_b64 s[0:1], s[0:1], exec
	s_or_saveexec_b64 s[10:11], s[10:11]
	v_mov_b32_e32 v18, s16
	s_xor_b64 exec, exec, s[10:11]
	s_cbranch_execz .LBB226_119
.LBB226_252:                            ;   in Loop: Header=BB226_48 Depth=1
	v_cmp_ne_u16_sdwa s[12:13], v16, v7 src0_sel:BYTE_0 src1_sel:DWORD
	s_andn2_b64 s[0:1], s[0:1], exec
	s_and_b64 s[12:13], s[12:13], exec
	v_mov_b32_e32 v18, 0
	s_or_b64 s[0:1], s[0:1], s[12:13]
	s_or_b64 exec, exec, s[10:11]
	s_and_saveexec_b64 s[10:11], s[0:1]
	s_cbranch_execnz .LBB226_120
	s_branch .LBB226_121
.LBB226_253:                            ;   in Loop: Header=BB226_48 Depth=1
	v_cmp_eq_u16_e64 s[0:1], s25, v6
	s_mov_b64 s[10:11], -1
                                        ; implicit-def: $sgpr39
	s_and_saveexec_b64 s[16:17], s[0:1]
; %bb.254:                              ;   in Loop: Header=BB226_48 Depth=1
	s_mov_b32 s39, 0x7fc02000
	s_xor_b64 s[10:11], exec, -1
; %bb.255:                              ;   in Loop: Header=BB226_48 Depth=1
	s_or_b64 exec, exec, s[16:17]
	s_and_b64 s[10:11], s[10:11], exec
	s_or_saveexec_b64 s[12:13], s[12:13]
	v_mov_b32_e32 v20, s39
	s_xor_b64 exec, exec, s[12:13]
	s_cbranch_execz .LBB226_123
.LBB226_256:                            ;   in Loop: Header=BB226_48 Depth=1
	v_cmp_ne_u16_e64 s[0:1], 0, v6
	s_andn2_b64 s[10:11], s[10:11], exec
	s_and_b64 s[0:1], s[0:1], exec
	v_mov_b32_e32 v20, 0
	s_or_b64 s[10:11], s[10:11], s[0:1]
	s_or_b64 exec, exec, s[12:13]
	s_and_saveexec_b64 s[12:13], s[10:11]
	s_cbranch_execnz .LBB226_124
	s_branch .LBB226_125
.LBB226_257:                            ;   in Loop: Header=BB226_48 Depth=1
	v_cmp_eq_u16_sdwa s[44:45], v6, s25 src0_sel:BYTE_0 src1_sel:DWORD
	s_mov_b64 s[0:1], -1
                                        ; implicit-def: $sgpr16
	s_and_saveexec_b64 s[12:13], s[44:45]
; %bb.258:                              ;   in Loop: Header=BB226_48 Depth=1
	s_mov_b32 s16, 0x7fc02000
	s_xor_b64 s[0:1], exec, -1
; %bb.259:                              ;   in Loop: Header=BB226_48 Depth=1
	s_or_b64 exec, exec, s[12:13]
	s_and_b64 s[0:1], s[0:1], exec
	s_or_saveexec_b64 s[10:11], s[10:11]
	v_mov_b32_e32 v19, s16
	s_xor_b64 exec, exec, s[10:11]
	s_cbranch_execz .LBB226_127
.LBB226_260:                            ;   in Loop: Header=BB226_48 Depth=1
	v_cmp_ne_u16_sdwa s[12:13], v6, v7 src0_sel:BYTE_0 src1_sel:DWORD
	s_andn2_b64 s[0:1], s[0:1], exec
	s_and_b64 s[12:13], s[12:13], exec
	v_mov_b32_e32 v19, 0
	s_or_b64 s[0:1], s[0:1], s[12:13]
	s_or_b64 exec, exec, s[10:11]
	s_and_saveexec_b64 s[10:11], s[0:1]
	s_cbranch_execnz .LBB226_128
	s_branch .LBB226_129
.LBB226_261:                            ;   in Loop: Header=BB226_48 Depth=1
	v_cmp_eq_u16_e64 s[0:1], s25, v6
	s_mov_b64 s[10:11], -1
                                        ; implicit-def: $sgpr39
	s_and_saveexec_b64 s[16:17], s[0:1]
; %bb.262:                              ;   in Loop: Header=BB226_48 Depth=1
	s_mov_b32 s39, 0x7fc02000
	s_xor_b64 s[10:11], exec, -1
; %bb.263:                              ;   in Loop: Header=BB226_48 Depth=1
	s_or_b64 exec, exec, s[16:17]
	s_and_b64 s[10:11], s[10:11], exec
	s_or_saveexec_b64 s[12:13], s[12:13]
	v_mov_b32_e32 v21, s39
	s_xor_b64 exec, exec, s[12:13]
	s_cbranch_execz .LBB226_131
.LBB226_264:                            ;   in Loop: Header=BB226_48 Depth=1
	v_cmp_ne_u16_e64 s[0:1], 0, v6
	s_andn2_b64 s[10:11], s[10:11], exec
	s_and_b64 s[0:1], s[0:1], exec
	v_mov_b32_e32 v21, 0
	s_or_b64 s[10:11], s[10:11], s[0:1]
	s_or_b64 exec, exec, s[12:13]
	s_and_saveexec_b64 s[12:13], s[10:11]
	s_cbranch_execnz .LBB226_132
	s_branch .LBB226_133
.LBB226_265:                            ;   in Loop: Header=BB226_48 Depth=1
	v_cmp_eq_u16_sdwa s[44:45], v17, s25 src0_sel:BYTE_0 src1_sel:DWORD
	s_mov_b64 s[0:1], -1
                                        ; implicit-def: $sgpr16
	s_and_saveexec_b64 s[12:13], s[44:45]
; %bb.266:                              ;   in Loop: Header=BB226_48 Depth=1
	s_mov_b32 s16, 0x7fc02000
	s_xor_b64 s[0:1], exec, -1
; %bb.267:                              ;   in Loop: Header=BB226_48 Depth=1
	s_or_b64 exec, exec, s[12:13]
	s_and_b64 s[0:1], s[0:1], exec
	s_or_saveexec_b64 s[10:11], s[10:11]
	v_mov_b32_e32 v16, s16
	s_xor_b64 exec, exec, s[10:11]
	s_cbranch_execz .LBB226_135
.LBB226_268:                            ;   in Loop: Header=BB226_48 Depth=1
	v_cmp_ne_u16_sdwa s[12:13], v17, v7 src0_sel:BYTE_0 src1_sel:DWORD
	s_andn2_b64 s[0:1], s[0:1], exec
	s_and_b64 s[12:13], s[12:13], exec
	v_mov_b32_e32 v16, 0
	s_or_b64 s[0:1], s[0:1], s[12:13]
	s_or_b64 exec, exec, s[10:11]
	v_mov_b32_e32 v6, v17
	s_and_saveexec_b64 s[10:11], s[0:1]
	s_cbranch_execnz .LBB226_136
	s_branch .LBB226_137
.LBB226_269:                            ;   in Loop: Header=BB226_48 Depth=1
	v_cmp_eq_u16_e64 s[0:1], s25, v6
	s_mov_b64 s[10:11], -1
                                        ; implicit-def: $sgpr39
	s_and_saveexec_b64 s[16:17], s[0:1]
; %bb.270:                              ;   in Loop: Header=BB226_48 Depth=1
	s_mov_b32 s39, 0x7fc02000
	s_xor_b64 s[10:11], exec, -1
; %bb.271:                              ;   in Loop: Header=BB226_48 Depth=1
	s_or_b64 exec, exec, s[16:17]
	s_and_b64 s[10:11], s[10:11], exec
	s_or_saveexec_b64 s[12:13], s[12:13]
	v_mov_b32_e32 v41, s39
	s_xor_b64 exec, exec, s[12:13]
	s_cbranch_execz .LBB226_139
.LBB226_272:                            ;   in Loop: Header=BB226_48 Depth=1
	v_cmp_ne_u16_e64 s[0:1], 0, v6
	s_andn2_b64 s[10:11], s[10:11], exec
	s_and_b64 s[0:1], s[0:1], exec
	v_mov_b32_e32 v41, 0
	s_or_b64 s[10:11], s[10:11], s[0:1]
	s_or_b64 exec, exec, s[12:13]
	s_and_saveexec_b64 s[12:13], s[10:11]
	s_cbranch_execnz .LBB226_140
	s_branch .LBB226_141
.LBB226_273:                            ;   in Loop: Header=BB226_48 Depth=1
	v_cmp_eq_u16_sdwa s[44:45], v6, s25 src0_sel:BYTE_0 src1_sel:DWORD
	s_mov_b64 s[0:1], -1
                                        ; implicit-def: $sgpr16
	s_and_saveexec_b64 s[12:13], s[44:45]
; %bb.274:                              ;   in Loop: Header=BB226_48 Depth=1
	s_mov_b32 s16, 0x7fc02000
	s_xor_b64 s[0:1], exec, -1
; %bb.275:                              ;   in Loop: Header=BB226_48 Depth=1
	s_or_b64 exec, exec, s[12:13]
	s_and_b64 s[0:1], s[0:1], exec
	s_or_saveexec_b64 s[10:11], s[10:11]
	v_mov_b32_e32 v42, s16
	s_xor_b64 exec, exec, s[10:11]
	s_cbranch_execz .LBB226_143
.LBB226_276:                            ;   in Loop: Header=BB226_48 Depth=1
	v_cmp_ne_u16_sdwa s[12:13], v6, v7 src0_sel:BYTE_0 src1_sel:DWORD
	s_andn2_b64 s[0:1], s[0:1], exec
	s_and_b64 s[12:13], s[12:13], exec
	v_mov_b32_e32 v42, 0
	s_or_b64 s[0:1], s[0:1], s[12:13]
	s_or_b64 exec, exec, s[10:11]
	s_and_saveexec_b64 s[10:11], s[0:1]
	s_cbranch_execnz .LBB226_144
	s_branch .LBB226_145
.LBB226_277:                            ;   in Loop: Header=BB226_48 Depth=1
	v_cmp_eq_u16_e64 s[0:1], s25, v6
	s_mov_b64 s[10:11], -1
                                        ; implicit-def: $sgpr39
	s_and_saveexec_b64 s[16:17], s[0:1]
; %bb.278:                              ;   in Loop: Header=BB226_48 Depth=1
	s_mov_b32 s39, 0x7fc02000
	s_xor_b64 s[10:11], exec, -1
; %bb.279:                              ;   in Loop: Header=BB226_48 Depth=1
	s_or_b64 exec, exec, s[16:17]
	s_and_b64 s[10:11], s[10:11], exec
	s_or_saveexec_b64 s[12:13], s[12:13]
	v_mov_b32_e32 v43, s39
	s_xor_b64 exec, exec, s[12:13]
	s_cbranch_execz .LBB226_147
.LBB226_280:                            ;   in Loop: Header=BB226_48 Depth=1
	v_cmp_ne_u16_e64 s[0:1], 0, v6
	s_andn2_b64 s[10:11], s[10:11], exec
	s_and_b64 s[0:1], s[0:1], exec
	v_mov_b32_e32 v43, 0
	s_or_b64 s[10:11], s[10:11], s[0:1]
	s_or_b64 exec, exec, s[12:13]
	s_and_saveexec_b64 s[12:13], s[10:11]
	s_cbranch_execnz .LBB226_148
	s_branch .LBB226_149
.LBB226_281:                            ;   in Loop: Header=BB226_48 Depth=1
	v_cmp_eq_u16_sdwa s[44:45], v16, s25 src0_sel:BYTE_0 src1_sel:DWORD
	s_mov_b64 s[0:1], -1
                                        ; implicit-def: $sgpr16
	s_and_saveexec_b64 s[12:13], s[44:45]
; %bb.282:                              ;   in Loop: Header=BB226_48 Depth=1
	s_mov_b32 s16, 0x7fc02000
	s_xor_b64 s[0:1], exec, -1
; %bb.283:                              ;   in Loop: Header=BB226_48 Depth=1
	s_or_b64 exec, exec, s[12:13]
	s_and_b64 s[0:1], s[0:1], exec
	s_or_saveexec_b64 s[10:11], s[10:11]
	v_mov_b32_e32 v12, s16
	s_xor_b64 exec, exec, s[10:11]
	s_cbranch_execz .LBB226_153
.LBB226_284:                            ;   in Loop: Header=BB226_48 Depth=1
	v_cmp_ne_u16_sdwa s[12:13], v16, v7 src0_sel:BYTE_0 src1_sel:DWORD
	s_andn2_b64 s[0:1], s[0:1], exec
	s_and_b64 s[12:13], s[12:13], exec
	v_mov_b32_e32 v12, 0
	s_or_b64 s[0:1], s[0:1], s[12:13]
	s_or_b64 exec, exec, s[10:11]
	s_and_saveexec_b64 s[10:11], s[0:1]
	s_cbranch_execnz .LBB226_154
	s_branch .LBB226_155
.LBB226_285:                            ;   in Loop: Header=BB226_48 Depth=1
	v_cmp_eq_u16_e64 s[0:1], s25, v6
	s_mov_b64 s[10:11], -1
                                        ; implicit-def: $sgpr39
	s_and_saveexec_b64 s[16:17], s[0:1]
; %bb.286:                              ;   in Loop: Header=BB226_48 Depth=1
	s_mov_b32 s39, 0x7fc02000
	s_xor_b64 s[10:11], exec, -1
; %bb.287:                              ;   in Loop: Header=BB226_48 Depth=1
	s_or_b64 exec, exec, s[16:17]
	s_and_b64 s[10:11], s[10:11], exec
	s_or_saveexec_b64 s[12:13], s[12:13]
	v_mov_b32_e32 v18, s39
	s_xor_b64 exec, exec, s[12:13]
	s_cbranch_execz .LBB226_157
.LBB226_288:                            ;   in Loop: Header=BB226_48 Depth=1
	v_cmp_ne_u16_e64 s[0:1], 0, v6
	s_andn2_b64 s[10:11], s[10:11], exec
	s_and_b64 s[0:1], s[0:1], exec
	v_mov_b32_e32 v18, 0
	s_or_b64 s[10:11], s[10:11], s[0:1]
	s_or_b64 exec, exec, s[12:13]
	s_and_saveexec_b64 s[12:13], s[10:11]
	s_cbranch_execnz .LBB226_158
	s_branch .LBB226_159
.LBB226_289:                            ;   in Loop: Header=BB226_48 Depth=1
	v_cmp_eq_u16_sdwa s[44:45], v6, s25 src0_sel:BYTE_0 src1_sel:DWORD
	s_mov_b64 s[0:1], -1
                                        ; implicit-def: $sgpr16
	s_and_saveexec_b64 s[12:13], s[44:45]
; %bb.290:                              ;   in Loop: Header=BB226_48 Depth=1
	s_mov_b32 s16, 0x7fc02000
	s_xor_b64 s[0:1], exec, -1
; %bb.291:                              ;   in Loop: Header=BB226_48 Depth=1
	s_or_b64 exec, exec, s[12:13]
	s_and_b64 s[0:1], s[0:1], exec
	s_or_saveexec_b64 s[10:11], s[10:11]
	v_mov_b32_e32 v13, s16
	s_xor_b64 exec, exec, s[10:11]
	s_cbranch_execz .LBB226_161
.LBB226_292:                            ;   in Loop: Header=BB226_48 Depth=1
	v_cmp_ne_u16_sdwa s[12:13], v6, v7 src0_sel:BYTE_0 src1_sel:DWORD
	s_andn2_b64 s[0:1], s[0:1], exec
	s_and_b64 s[12:13], s[12:13], exec
	v_mov_b32_e32 v13, 0
	s_or_b64 s[0:1], s[0:1], s[12:13]
	s_or_b64 exec, exec, s[10:11]
	s_and_saveexec_b64 s[10:11], s[0:1]
	s_cbranch_execnz .LBB226_162
	s_branch .LBB226_163
.LBB226_293:                            ;   in Loop: Header=BB226_48 Depth=1
	v_cmp_eq_u16_e64 s[0:1], s25, v6
	s_mov_b64 s[10:11], -1
                                        ; implicit-def: $sgpr39
	s_and_saveexec_b64 s[16:17], s[0:1]
; %bb.294:                              ;   in Loop: Header=BB226_48 Depth=1
	s_mov_b32 s39, 0x7fc02000
	s_xor_b64 s[10:11], exec, -1
; %bb.295:                              ;   in Loop: Header=BB226_48 Depth=1
	s_or_b64 exec, exec, s[16:17]
	s_and_b64 s[10:11], s[10:11], exec
	s_or_saveexec_b64 s[12:13], s[12:13]
	v_mov_b32_e32 v19, s39
	s_xor_b64 exec, exec, s[12:13]
	s_cbranch_execz .LBB226_165
.LBB226_296:                            ;   in Loop: Header=BB226_48 Depth=1
	v_cmp_ne_u16_e64 s[0:1], 0, v6
	s_andn2_b64 s[10:11], s[10:11], exec
	s_and_b64 s[0:1], s[0:1], exec
	v_mov_b32_e32 v19, 0
	s_or_b64 s[10:11], s[10:11], s[0:1]
	s_or_b64 exec, exec, s[12:13]
	s_and_saveexec_b64 s[12:13], s[10:11]
	s_cbranch_execnz .LBB226_166
	s_branch .LBB226_167
.LBB226_297:                            ;   in Loop: Header=BB226_48 Depth=1
	v_cmp_eq_u16_sdwa s[44:45], v17, s25 src0_sel:BYTE_0 src1_sel:DWORD
	s_mov_b64 s[0:1], -1
                                        ; implicit-def: $sgpr16
	s_and_saveexec_b64 s[12:13], s[44:45]
; %bb.298:                              ;   in Loop: Header=BB226_48 Depth=1
	s_mov_b32 s16, 0x7fc02000
	s_xor_b64 s[0:1], exec, -1
; %bb.299:                              ;   in Loop: Header=BB226_48 Depth=1
	s_or_b64 exec, exec, s[12:13]
	s_and_b64 s[0:1], s[0:1], exec
	s_or_saveexec_b64 s[10:11], s[10:11]
	v_mov_b32_e32 v16, s16
	s_xor_b64 exec, exec, s[10:11]
	s_cbranch_execz .LBB226_169
.LBB226_300:                            ;   in Loop: Header=BB226_48 Depth=1
	v_cmp_ne_u16_sdwa s[12:13], v17, v7 src0_sel:BYTE_0 src1_sel:DWORD
	s_andn2_b64 s[0:1], s[0:1], exec
	s_and_b64 s[12:13], s[12:13], exec
	v_mov_b32_e32 v16, 0
	s_or_b64 s[0:1], s[0:1], s[12:13]
	s_or_b64 exec, exec, s[10:11]
	v_mov_b32_e32 v6, v17
	s_and_saveexec_b64 s[10:11], s[0:1]
	s_cbranch_execnz .LBB226_170
	s_branch .LBB226_171
.LBB226_301:                            ;   in Loop: Header=BB226_48 Depth=1
	v_cmp_eq_u16_e64 s[0:1], s25, v6
	s_mov_b64 s[10:11], -1
                                        ; implicit-def: $sgpr39
	s_and_saveexec_b64 s[16:17], s[0:1]
; %bb.302:                              ;   in Loop: Header=BB226_48 Depth=1
	s_mov_b32 s39, 0x7fc02000
	s_xor_b64 s[10:11], exec, -1
; %bb.303:                              ;   in Loop: Header=BB226_48 Depth=1
	s_or_b64 exec, exec, s[16:17]
	s_and_b64 s[10:11], s[10:11], exec
	s_or_saveexec_b64 s[12:13], s[12:13]
	v_mov_b32_e32 v41, s39
	s_xor_b64 exec, exec, s[12:13]
	s_cbranch_execz .LBB226_173
.LBB226_304:                            ;   in Loop: Header=BB226_48 Depth=1
	v_cmp_ne_u16_e64 s[0:1], 0, v6
	s_andn2_b64 s[10:11], s[10:11], exec
	s_and_b64 s[0:1], s[0:1], exec
	v_mov_b32_e32 v41, 0
	s_or_b64 s[10:11], s[10:11], s[0:1]
	s_or_b64 exec, exec, s[12:13]
	s_and_saveexec_b64 s[12:13], s[10:11]
	s_cbranch_execnz .LBB226_174
	s_branch .LBB226_175
.LBB226_305:                            ;   in Loop: Header=BB226_48 Depth=1
	v_cmp_eq_u16_sdwa s[44:45], v6, s25 src0_sel:BYTE_0 src1_sel:DWORD
	s_mov_b64 s[0:1], -1
                                        ; implicit-def: $sgpr16
	s_and_saveexec_b64 s[12:13], s[44:45]
; %bb.306:                              ;   in Loop: Header=BB226_48 Depth=1
	s_mov_b32 s16, 0x7fc02000
	s_xor_b64 s[0:1], exec, -1
; %bb.307:                              ;   in Loop: Header=BB226_48 Depth=1
	s_or_b64 exec, exec, s[12:13]
	s_and_b64 s[0:1], s[0:1], exec
	s_or_saveexec_b64 s[10:11], s[10:11]
	v_mov_b32_e32 v42, s16
	s_xor_b64 exec, exec, s[10:11]
	s_cbranch_execz .LBB226_177
.LBB226_308:                            ;   in Loop: Header=BB226_48 Depth=1
	v_cmp_ne_u16_sdwa s[12:13], v6, v7 src0_sel:BYTE_0 src1_sel:DWORD
	s_andn2_b64 s[0:1], s[0:1], exec
	s_and_b64 s[12:13], s[12:13], exec
	v_mov_b32_e32 v42, 0
	s_or_b64 s[0:1], s[0:1], s[12:13]
	s_or_b64 exec, exec, s[10:11]
	s_and_saveexec_b64 s[10:11], s[0:1]
	s_cbranch_execnz .LBB226_178
	s_branch .LBB226_179
.LBB226_309:                            ;   in Loop: Header=BB226_48 Depth=1
	v_cmp_eq_u16_e64 s[0:1], s25, v6
	s_mov_b64 s[10:11], -1
                                        ; implicit-def: $sgpr39
	s_and_saveexec_b64 s[16:17], s[0:1]
; %bb.310:                              ;   in Loop: Header=BB226_48 Depth=1
	s_mov_b32 s39, 0x7fc02000
	s_xor_b64 s[10:11], exec, -1
; %bb.311:                              ;   in Loop: Header=BB226_48 Depth=1
	s_or_b64 exec, exec, s[16:17]
	s_and_b64 s[10:11], s[10:11], exec
	s_or_saveexec_b64 s[12:13], s[12:13]
	v_mov_b32_e32 v43, s39
	s_xor_b64 exec, exec, s[12:13]
	s_cbranch_execz .LBB226_181
.LBB226_312:                            ;   in Loop: Header=BB226_48 Depth=1
	v_cmp_ne_u16_e64 s[0:1], 0, v6
	s_andn2_b64 s[10:11], s[10:11], exec
	s_and_b64 s[0:1], s[0:1], exec
	v_mov_b32_e32 v43, 0
	s_or_b64 s[10:11], s[10:11], s[0:1]
	s_or_b64 exec, exec, s[12:13]
	s_and_saveexec_b64 s[12:13], s[10:11]
	s_cbranch_execnz .LBB226_182
	s_branch .LBB226_183
.LBB226_313:
	s_or_b64 exec, exec, s[6:7]
.LBB226_314:
	s_or_b64 exec, exec, s[2:3]
	v_and_b32_e32 v1, 0x3c0, v0
	v_cmp_eq_u32_e32 vcc, 64, v1
	s_barrier
	s_and_saveexec_b64 s[0:1], vcc
	s_cbranch_execz .LBB226_316
; %bb.315:
	v_lshlrev_b32_e32 v1, 2, v0
	v_mov_b32_e32 v7, 0x210
	v_or_b32_e32 v6, 0x300, v1
	v_lshl_add_u32 v7, v22, 2, v7
	v_add_u32_e32 v6, 0x210, v6
	v_add_u32_e32 v1, 0x210, v1
	ds_write_b32 v7, v2
	ds_write_b32 v1, v3
	ds_write_b32 v7, v4 offset:512
	ds_write_b32 v6, v5
.LBB226_316:
	s_or_b64 exec, exec, s[0:1]
	v_cmp_gt_u32_e32 vcc, 64, v0
	s_waitcnt lgkmcnt(0)
	s_barrier
	s_and_saveexec_b64 s[0:1], vcc
	s_cbranch_execz .LBB226_318
; %bb.317:
	v_mov_b32_e32 v1, 0x210
	v_lshl_add_u32 v1, v0, 2, v1
	ds_read2st64_b32 v[6:7], v1 offset0:2 offset1:3
	ds_read2st64_b32 v[8:9], v1 offset1:1
	s_waitcnt lgkmcnt(1)
	v_pk_add_f32 v[4:5], v[4:5], v[6:7]
	s_waitcnt lgkmcnt(0)
	v_pk_add_f32 v[2:3], v[2:3], v[8:9]
.LBB226_318:
	s_or_b64 exec, exec, s[0:1]
	s_barrier
	s_and_saveexec_b64 s[0:1], vcc
	s_cbranch_execz .LBB226_320
; %bb.319:
	s_mul_i32 s0, s28, s29
	s_mul_i32 s0, s0, s5
	s_lshl_b32 s0, s0, 8
	s_ashr_i32 s1, s0, 31
	s_lshl_b64 s[0:1], s[0:1], 1
	s_add_u32 s2, s30, s0
	s_mul_i32 s0, s29, s34
	s_addc_u32 s3, s31, s1
	s_ashr_i32 s1, s0, 31
	s_lshl_b64 s[0:1], s[0:1], 1
	s_add_u32 s2, s2, s0
	s_addc_u32 s3, s3, s1
	s_lshl_b32 s0, s4, 8
	s_ashr_i32 s1, s0, 31
	s_lshl_b64 s[0:1], s[0:1], 1
	s_add_u32 s0, s2, s0
	s_addc_u32 s1, s3, s1
	v_lshlrev_b32_e32 v0, 1, v0
	;;#ASMSTART
	v_cvt_f16_f32 v1, v2;

	;;#ASMEND
	global_store_short v0, v1, s[0:1]
	;;#ASMSTART
	v_cvt_f16_f32 v1, v3;

	;;#ASMEND
	global_store_short v0, v1, s[0:1] offset:128
	;;#ASMSTART
	v_cvt_f16_f32 v1, v4;

	;;#ASMEND
	global_store_short v0, v1, s[0:1] offset:256
	;; [unrolled: 5-line block ×3, first 2 shown]
.LBB226_320:
	s_endpgm
	.section	.rodata,"a",@progbits
	.p2align	6, 0x0
	.amdhsa_kernel _ZN4vllm25paged_attention_v1_kernelIthLi256ELi8ELi128ELNS_18Fp8KVCacheDataTypeE1ELb1EEEvPT_PKS2_PKT0_S8_ifPKiSA_iPKfiiiSC_SC_iiiii
		.amdhsa_group_segment_fixed_size 528
		.amdhsa_private_segment_fixed_size 0
		.amdhsa_kernarg_size 384
		.amdhsa_user_sgpr_count 2
		.amdhsa_user_sgpr_dispatch_ptr 0
		.amdhsa_user_sgpr_queue_ptr 0
		.amdhsa_user_sgpr_kernarg_segment_ptr 1
		.amdhsa_user_sgpr_dispatch_id 0
		.amdhsa_user_sgpr_kernarg_preload_length 0
		.amdhsa_user_sgpr_kernarg_preload_offset 0
		.amdhsa_user_sgpr_private_segment_size 0
		.amdhsa_uses_dynamic_stack 0
		.amdhsa_enable_private_segment 0
		.amdhsa_system_sgpr_workgroup_id_x 1
		.amdhsa_system_sgpr_workgroup_id_y 1
		.amdhsa_system_sgpr_workgroup_id_z 1
		.amdhsa_system_sgpr_workgroup_info 0
		.amdhsa_system_vgpr_workitem_id 0
		.amdhsa_next_free_vgpr 83
		.amdhsa_next_free_sgpr 48
		.amdhsa_accum_offset 84
		.amdhsa_reserve_vcc 1
		.amdhsa_float_round_mode_32 0
		.amdhsa_float_round_mode_16_64 0
		.amdhsa_float_denorm_mode_32 3
		.amdhsa_float_denorm_mode_16_64 3
		.amdhsa_dx10_clamp 1
		.amdhsa_ieee_mode 1
		.amdhsa_fp16_overflow 0
		.amdhsa_tg_split 0
		.amdhsa_exception_fp_ieee_invalid_op 0
		.amdhsa_exception_fp_denorm_src 0
		.amdhsa_exception_fp_ieee_div_zero 0
		.amdhsa_exception_fp_ieee_overflow 0
		.amdhsa_exception_fp_ieee_underflow 0
		.amdhsa_exception_fp_ieee_inexact 0
		.amdhsa_exception_int_div_zero 0
	.end_amdhsa_kernel
	.section	.text._ZN4vllm25paged_attention_v1_kernelIthLi256ELi8ELi128ELNS_18Fp8KVCacheDataTypeE1ELb1EEEvPT_PKS2_PKT0_S8_ifPKiSA_iPKfiiiSC_SC_iiiii,"axG",@progbits,_ZN4vllm25paged_attention_v1_kernelIthLi256ELi8ELi128ELNS_18Fp8KVCacheDataTypeE1ELb1EEEvPT_PKS2_PKT0_S8_ifPKiSA_iPKfiiiSC_SC_iiiii,comdat
.Lfunc_end226:
	.size	_ZN4vllm25paged_attention_v1_kernelIthLi256ELi8ELi128ELNS_18Fp8KVCacheDataTypeE1ELb1EEEvPT_PKS2_PKT0_S8_ifPKiSA_iPKfiiiSC_SC_iiiii, .Lfunc_end226-_ZN4vllm25paged_attention_v1_kernelIthLi256ELi8ELi128ELNS_18Fp8KVCacheDataTypeE1ELb1EEEvPT_PKS2_PKT0_S8_ifPKiSA_iPKfiiiSC_SC_iiiii
                                        ; -- End function
	.section	.AMDGPU.csdata,"",@progbits
; Kernel info:
; codeLenInByte = 15788
; NumSgprs: 54
; NumVgprs: 83
; NumAgprs: 0
; TotalNumVgprs: 83
; ScratchSize: 0
; MemoryBound: 0
; FloatMode: 240
; IeeeMode: 1
; LDSByteSize: 528 bytes/workgroup (compile time only)
; SGPRBlocks: 6
; VGPRBlocks: 10
; NumSGPRsForWavesPerEU: 54
; NumVGPRsForWavesPerEU: 83
; AccumOffset: 84
; Occupancy: 5
; WaveLimiterHint : 1
; COMPUTE_PGM_RSRC2:SCRATCH_EN: 0
; COMPUTE_PGM_RSRC2:USER_SGPR: 2
; COMPUTE_PGM_RSRC2:TRAP_HANDLER: 0
; COMPUTE_PGM_RSRC2:TGID_X_EN: 1
; COMPUTE_PGM_RSRC2:TGID_Y_EN: 1
; COMPUTE_PGM_RSRC2:TGID_Z_EN: 1
; COMPUTE_PGM_RSRC2:TIDIG_COMP_CNT: 0
; COMPUTE_PGM_RSRC3_GFX90A:ACCUM_OFFSET: 20
; COMPUTE_PGM_RSRC3_GFX90A:TG_SPLIT: 0
	.section	.text._ZN4vllm25paged_attention_v1_kernelIthLi32ELi8ELi128ELNS_18Fp8KVCacheDataTypeE1ELb0EEEvPT_PKS2_PKT0_S8_ifPKiSA_iPKfiiiSC_SC_iiiii,"axG",@progbits,_ZN4vllm25paged_attention_v1_kernelIthLi32ELi8ELi128ELNS_18Fp8KVCacheDataTypeE1ELb0EEEvPT_PKS2_PKT0_S8_ifPKiSA_iPKfiiiSC_SC_iiiii,comdat
	.protected	_ZN4vllm25paged_attention_v1_kernelIthLi32ELi8ELi128ELNS_18Fp8KVCacheDataTypeE1ELb0EEEvPT_PKS2_PKT0_S8_ifPKiSA_iPKfiiiSC_SC_iiiii ; -- Begin function _ZN4vllm25paged_attention_v1_kernelIthLi32ELi8ELi128ELNS_18Fp8KVCacheDataTypeE1ELb0EEEvPT_PKS2_PKT0_S8_ifPKiSA_iPKfiiiSC_SC_iiiii
	.globl	_ZN4vllm25paged_attention_v1_kernelIthLi32ELi8ELi128ELNS_18Fp8KVCacheDataTypeE1ELb0EEEvPT_PKS2_PKT0_S8_ifPKiSA_iPKfiiiSC_SC_iiiii
	.p2align	8
	.type	_ZN4vllm25paged_attention_v1_kernelIthLi32ELi8ELi128ELNS_18Fp8KVCacheDataTypeE1ELb0EEEvPT_PKS2_PKT0_S8_ifPKiSA_iPKfiiiSC_SC_iiiii,@function
_ZN4vllm25paged_attention_v1_kernelIthLi32ELi8ELi128ELNS_18Fp8KVCacheDataTypeE1ELb0EEEvPT_PKS2_PKT0_S8_ifPKiSA_iPKfiiiSC_SC_iiiii: ; @_ZN4vllm25paged_attention_v1_kernelIthLi32ELi8ELi128ELNS_18Fp8KVCacheDataTypeE1ELb0EEEvPT_PKS2_PKT0_S8_ifPKiSA_iPKfiiiSC_SC_iiiii
; %bb.0:
	s_load_dword s5, s[0:1], 0x80
	s_load_dwordx2 s[6:7], s[0:1], 0x30
	s_load_dwordx2 s[28:29], s[0:1], 0x20
	s_mov_b32 s16, s3
	s_ashr_i32 s17, s3, 31
	s_lshl_b64 s[8:9], s[16:17], 2
	s_waitcnt lgkmcnt(0)
	s_add_u32 s6, s6, s8
	s_addc_u32 s7, s7, s9
	s_abs_i32 s3, s28
	v_cvt_f32_u32_e32 v1, s3
	s_sub_i32 s10, 0, s3
	s_abs_i32 s9, s5
	s_xor_b32 s8, s5, s28
	v_rcp_iflag_f32_e32 v1, v1
	s_ashr_i32 s8, s8, 31
	s_mov_b32 s28, 0
	v_mul_f32_e32 v1, 0x4f7ffffe, v1
	v_cvt_u32_f32_e32 v1, v1
	s_nop 0
	v_readfirstlane_b32 s11, v1
	s_mul_i32 s10, s10, s11
	s_mul_hi_u32 s10, s11, s10
	s_add_i32 s11, s11, s10
	s_mul_hi_u32 s10, s9, s11
	s_mul_i32 s11, s10, s3
	s_sub_i32 s9, s9, s11
	s_add_i32 s11, s10, 1
	s_sub_i32 s12, s9, s3
	s_cmp_ge_u32 s9, s3
	s_cselect_b32 s10, s11, s10
	s_cselect_b32 s9, s12, s9
	s_add_i32 s11, s10, 1
	s_cmp_ge_u32 s9, s3
	s_cselect_b32 s3, s11, s10
	s_xor_b32 s3, s3, s8
	s_sub_i32 s18, s3, s8
	s_abs_i32 s10, s18
	v_cvt_f32_u32_e32 v1, s10
	s_load_dwordx2 s[8:9], s[0:1], 0x40
	s_sub_i32 s3, 0, s10
	s_abs_i32 s11, s2
	v_rcp_iflag_f32_e32 v1, v1
	s_nop 0
	v_mul_f32_e32 v1, 0x4f7ffffe, v1
	v_cvt_u32_f32_e32 v1, v1
	s_nop 0
	v_readfirstlane_b32 s12, v1
	s_mul_i32 s3, s3, s12
	s_mul_hi_u32 s3, s12, s3
	s_add_i32 s12, s12, s3
	s_waitcnt lgkmcnt(0)
	s_cmp_eq_u64 s[8:9], 0
	s_mul_hi_u32 s20, s11, s12
	s_cbranch_scc1 .LBB227_2
; %bb.1:
	s_ashr_i32 s3, s2, 31
	s_lshl_b64 s[12:13], s[2:3], 2
	s_add_u32 s8, s8, s12
	s_addc_u32 s9, s9, s13
	s_load_dword s28, s[8:9], 0x0
.LBB227_2:
	s_load_dword s17, s[6:7], 0x0
	s_load_dwordx4 s[12:15], s[0:1], 0x48
	s_ashr_i32 s6, s2, 31
	s_ashr_i32 s7, s18, 31
	v_and_b32_e32 v2, 7, v0
	s_lshl_b32 s18, s2, 5
	v_cmp_gt_u32_e32 vcc, 32, v0
	s_and_saveexec_b64 s[2:3], vcc
	s_cbranch_execz .LBB227_4
; %bb.3:
	s_load_dwordx2 s[8:9], s[0:1], 0x8
	s_waitcnt lgkmcnt(0)
	s_mul_i32 s22, s16, s12
	s_ashr_i32 s23, s22, 31
	s_lshl_b64 s[22:23], s[22:23], 1
	v_lshlrev_b32_e32 v1, 1, v0
	s_add_u32 s12, s8, s22
	s_addc_u32 s15, s9, s23
	s_ashr_i32 s19, s18, 31
	s_lshl_b64 s[8:9], s[18:19], 1
	s_add_u32 s8, s12, s8
	s_addc_u32 s9, s15, s9
	global_load_ushort v1, v1, s[8:9]
	v_lshrrev_b32_e32 v3, 2, v0
	v_and_b32_e32 v3, 0xfe, v3
	v_lshl_add_u32 v3, v2, 3, v3
	s_waitcnt vmcnt(0)
	ds_write_b16 v3, v1
.LBB227_4:
	s_or_b64 exec, exec, s[2:3]
	s_waitcnt lgkmcnt(0)
	s_add_i32 s3, s17, 7
	s_ashr_i32 s8, s3, 31
	s_lshr_b32 s8, s8, 29
	s_add_i32 s3, s3, s8
	s_ashr_i32 s33, s3, 3
	s_xor_b32 s3, s6, s7
	s_mul_i32 s6, s20, s10
	s_sub_i32 s6, s11, s6
	s_add_i32 s7, s20, 1
	s_sub_i32 s8, s6, s10
	s_load_dwordx2 s[22:23], s[0:1], 0x28
	s_load_dword s2, s[0:1], 0x38
	s_cmp_ge_u32 s6, s10
	s_cselect_b32 s7, s7, s20
	s_cselect_b32 s6, s8, s6
	s_add_i32 s8, s7, 1
	s_cmp_ge_u32 s6, s10
	s_cselect_b32 s6, s8, s7
	v_lshrrev_b32_e32 v1, 6, v0
	s_xor_b32 s6, s6, s3
	s_waitcnt lgkmcnt(0)
	s_mul_i32 s24, s16, s2
	s_sub_i32 s12, s6, s3
	s_ashr_i32 s25, s24, 31
	v_cmp_gt_i32_e64 s[2:3], s33, v1
	v_cmp_le_i32_e32 vcc, s33, v1
	v_mbcnt_lo_u32_b32 v15, -1, 0
	s_barrier
	s_waitcnt lgkmcnt(0)
                                        ; implicit-def: $sgpr15
                                        ; implicit-def: $vgpr10
                                        ; implicit-def: $vgpr11
	s_and_saveexec_b64 s[6:7], vcc
	s_xor_b64 s[6:7], exec, s[6:7]
; %bb.5:
	v_mbcnt_hi_u32_b32 v10, -1, v15
	v_and_b32_e32 v2, 64, v10
	v_add_u32_e32 v11, 64, v2
	s_mov_b32 s15, 0xff7fffff
                                        ; implicit-def: $vgpr2
                                        ; implicit-def: $vgpr15
; %bb.6:
	s_or_saveexec_b64 s[30:31], s[6:7]
	s_load_dwordx2 s[20:21], s[0:1], 0x0
	s_load_dwordx2 s[26:27], s[0:1], 0x18
	s_load_dword s19, s[0:1], 0x88
	s_load_dwordx4 s[8:11], s[0:1], 0x58
	v_mov_b32_e32 v9, s15
	s_mul_i32 s12, s12, s14
	v_lshrrev_b32_e32 v8, 4, v0
	s_xor_b64 exec, exec, s[30:31]
	s_cbranch_execz .LBB227_12
; %bb.7:
	s_load_dwordx2 s[0:1], s[0:1], 0x10
	s_ashr_i32 s6, s12, 31
	v_bfe_u32 v6, v0, 3, 3
	v_lshlrev_b32_e32 v4, 4, v6
	v_lshl_or_b32 v13, v1, 3, v6
	s_waitcnt lgkmcnt(0)
	s_add_u32 s0, s0, s12
	s_addc_u32 s1, s1, s6
	s_sub_i32 s37, 1, s17
	v_lshlrev_b32_e32 v6, 2, v6
	s_lshl_b64 s[6:7], s[24:25], 2
	v_mov_b32_e32 v3, 0
	v_lshl_or_b32 v6, v1, 5, v6
	s_add_u32 s6, s22, s6
	v_mbcnt_hi_u32_b32 v10, -1, v15
	v_mov_b32_e32 v5, v3
	v_add_u32_e32 v14, 0x50, v6
	v_and_b32_e32 v6, 60, v8
	v_mov_b32_e32 v7, v3
	s_addc_u32 s7, s23, s7
	v_and_b32_e32 v11, 64, v10
	s_mov_b32 s36, s13
	v_lshl_add_u64 v[4:5], s[0:1], 0, v[4:5]
	v_lshlrev_b32_e32 v12, 3, v2
	v_cmp_eq_u32_e32 vcc, 0, v2
	v_cmp_neq_f32_e64 s[0:1], s28, 0
	v_lshl_add_u64 v[6:7], s[6:7], 0, v[6:7]
	s_mov_b64 s[14:15], 0
	v_mov_b32_e32 v9, 0xff7fffff
	v_add_u32_e32 v11, 64, v11
	v_xor_b32_e32 v15, 4, v10
	v_xor_b32_e32 v16, 2, v10
	;; [unrolled: 1-line block ×3, first 2 shown]
	v_mov_b32_e32 v18, v1
	s_branch .LBB227_9
.LBB227_8:                              ;   in Loop: Header=BB227_9 Depth=1
	s_or_b64 exec, exec, s[34:35]
	v_add_u32_e32 v18, 2, v18
	v_cmp_le_i32_e64 s[6:7], s33, v18
	v_add_u32_e32 v13, 16, v13
	v_add_u32_e32 v14, 64, v14
	s_or_b64 s[14:15], s[6:7], s[14:15]
	v_lshl_add_u64 v[6:7], v[6:7], 0, 8
	s_andn2_b64 exec, exec, s[14:15]
	s_cbranch_execz .LBB227_11
.LBB227_9:                              ; =>This Inner Loop Header: Depth=1
	global_load_dword v19, v[6:7], off
	s_waitcnt vmcnt(0) lgkmcnt(0)
	v_mad_i64_i32 v[20:21], s[6:7], v19, s36, v[4:5]
	v_lshl_add_u64 v[20:21], v[20:21], 0, v[2:3]
	global_load_ubyte v19, v[20:21], off
	global_load_ubyte v22, v[20:21], off offset:8
	global_load_dword v23, v3, s[8:9]
	global_load_ubyte v24, v[20:21], off offset:128
	global_load_ubyte v25, v[20:21], off offset:136
	ds_read_u16 v20, v12
	s_waitcnt lgkmcnt(0)
	;;#ASMSTART
	v_cvt_f32_f16 v20, v20;
	;;#ASMEND
	v_cmp_lt_i32_e64 s[6:7], v15, v11
	s_waitcnt vmcnt(4)
	v_cvt_f32_fp8_sdwa v19, v19 src0_sel:BYTE_0
	s_waitcnt vmcnt(3)
	v_cvt_f32_fp8_sdwa v22, v22 src0_sel:BYTE_0
	v_cndmask_b32_e64 v21, v10, v15, s[6:7]
	s_waitcnt vmcnt(1)
	v_cvt_f32_fp8_sdwa v24, v24 src0_sel:BYTE_0
	v_fma_mixlo_f16 v19, v23, v19, 0
	v_and_b32_e32 v19, 0xffff, v19
	v_fma_mixlo_f16 v22, v23, v22, 0
	;;#ASMSTART
	v_cvt_f32_f16 v19, v19;
	;;#ASMEND
	ds_read_u16 v26, v12 offset:2
	s_waitcnt vmcnt(0)
	v_cvt_f32_fp8_sdwa v25, v25 src0_sel:BYTE_0
	v_and_b32_e32 v22, 0xffff, v22
	s_waitcnt lgkmcnt(0)
	;;#ASMSTART
	v_cvt_f32_f16 v26, v26;
	;;#ASMEND
	;;#ASMSTART
	v_cvt_f32_f16 v22, v22;
	;;#ASMEND
	v_fma_mixlo_f16 v24, v23, v24, 0
	v_mul_f32_e32 v22, v26, v22
	v_and_b32_e32 v24, 0xffff, v24
	v_fmac_f32_e32 v22, v20, v19
	ds_read_u16 v27, v12 offset:4
	v_fma_mixlo_f16 v23, v23, v25, 0
	s_waitcnt lgkmcnt(0)
	;;#ASMSTART
	v_cvt_f32_f16 v25, v27;
	;;#ASMEND
	;;#ASMSTART
	v_cvt_f32_f16 v24, v24;
	;;#ASMEND
	v_lshlrev_b32_e32 v21, 2, v21
	v_fmac_f32_e32 v22, v25, v24
	ds_read_u16 v27, v12 offset:6
	v_and_b32_e32 v23, 0xffff, v23
	s_waitcnt lgkmcnt(0)
	;;#ASMSTART
	v_cvt_f32_f16 v19, v27;
	;;#ASMEND
	;;#ASMSTART
	v_cvt_f32_f16 v20, v23;
	;;#ASMEND
	v_cmp_lt_i32_e64 s[6:7], v16, v11
	v_fmac_f32_e32 v22, v19, v20
	ds_bpermute_b32 v19, v21, v22
	v_cndmask_b32_e64 v20, v10, v16, s[6:7]
	v_lshlrev_b32_e32 v20, 2, v20
	v_cmp_lt_i32_e64 s[6:7], v17, v11
	s_waitcnt lgkmcnt(0)
	v_add_f32_e32 v19, v22, v19
	ds_bpermute_b32 v20, v20, v19
	v_cndmask_b32_e64 v21, v10, v17, s[6:7]
	s_waitcnt lgkmcnt(0)
	v_add_f32_e32 v19, v19, v20
	v_lshlrev_b32_e32 v20, 2, v21
	ds_bpermute_b32 v20, v20, v19
	s_and_saveexec_b64 s[34:35], vcc
	s_cbranch_execz .LBB227_8
; %bb.10:                               ;   in Loop: Header=BB227_9 Depth=1
	v_add_u32_e32 v21, s37, v13
	v_cvt_f32_i32_e32 v21, v21
	s_waitcnt lgkmcnt(0)
	v_add_f32_e32 v19, v19, v20
	v_cmp_gt_i32_e64 s[6:7], s17, v13
	v_max_f32_e32 v20, v9, v9
	v_mul_f32_e32 v21, s28, v21
	v_cndmask_b32_e64 v21, 0, v21, s[0:1]
	v_fmac_f32_e32 v21, s29, v19
	v_cndmask_b32_e64 v19, 0, v21, s[6:7]
	ds_write_b32 v14, v19
	v_max_f32_e32 v19, v20, v21
	v_cndmask_b32_e64 v9, v9, v19, s[6:7]
	s_branch .LBB227_8
.LBB227_11:
	s_or_b64 exec, exec, s[14:15]
.LBB227_12:
	s_or_b64 exec, exec, s[30:31]
	v_xor_b32_e32 v2, 32, v10
	v_cmp_lt_i32_e32 vcc, v2, v11
	v_xor_b32_e32 v5, 16, v10
	v_max_f32_e32 v4, v9, v9
	v_cndmask_b32_e32 v2, v10, v2, vcc
	v_lshlrev_b32_e32 v3, 2, v2
	ds_bpermute_b32 v2, v3, v9
	v_cmp_lt_i32_e32 vcc, v5, v11
	v_xor_b32_e32 v6, 8, v10
	v_and_b32_e32 v9, 63, v0
	s_waitcnt lgkmcnt(0)
	v_max_f32_e32 v2, v2, v2
	v_max_f32_e32 v2, v4, v2
	v_cndmask_b32_e32 v4, v10, v5, vcc
	v_lshlrev_b32_e32 v5, 2, v4
	ds_bpermute_b32 v4, v5, v2
	v_cmp_lt_i32_e32 vcc, v6, v11
	s_waitcnt lgkmcnt(0)
	v_max_f32_e32 v4, v4, v4
	v_max_f32_e32 v4, v2, v4
	v_cndmask_b32_e32 v2, v10, v6, vcc
	v_lshlrev_b32_e32 v7, 2, v2
	ds_bpermute_b32 v6, v7, v4
	v_cmp_eq_u32_e32 vcc, 0, v9
	v_lshlrev_b32_e32 v2, 2, v1
	s_and_saveexec_b64 s[0:1], vcc
	s_cbranch_execz .LBB227_14
; %bb.13:
	s_waitcnt lgkmcnt(0)
	v_max_f32_e32 v6, v6, v6
	v_max_f32_e32 v4, v4, v4
	;; [unrolled: 1-line block ×3, first 2 shown]
	ds_write_b32 v2, v4 offset:64
.LBB227_14:
	s_or_b64 exec, exec, s[0:1]
	v_cmp_gt_u32_e64 s[0:1], 2, v9
	v_mov_b32_e32 v12, 0xff7fffff
	v_lshlrev_b32_e32 v4, 2, v9
	s_waitcnt lgkmcnt(0)
	s_barrier
	s_and_saveexec_b64 s[6:7], s[0:1]
	s_cbranch_execz .LBB227_16
; %bb.15:
	ds_read_b32 v12, v4 offset:64
.LBB227_16:
	s_or_b64 exec, exec, s[6:7]
	v_xor_b32_e32 v6, 1, v10
	v_cmp_lt_i32_e64 s[6:7], v6, v11
	v_lshlrev_b32_e32 v14, 2, v10
	s_nop 0
	v_cndmask_b32_e64 v6, v10, v6, s[6:7]
	v_lshlrev_b32_e32 v6, 2, v6
	s_waitcnt lgkmcnt(0)
	ds_bpermute_b32 v13, v6, v12
	v_max_f32_e32 v12, v12, v12
	s_lshl_b32 s6, s33, 3
	s_min_i32 s30, s6, s17
	v_cmp_gt_i32_e64 s[6:7], s30, v0
	s_waitcnt lgkmcnt(0)
	v_max_f32_e32 v13, v13, v13
	v_max_f32_e32 v13, v12, v13
	v_and_b32_e32 v12, 0xffffff00, v14
	ds_bpermute_b32 v14, v12, v13
	v_mov_b32_e32 v13, 0
	s_and_saveexec_b64 s[14:15], s[6:7]
	s_cbranch_execz .LBB227_20
; %bb.17:
	v_mov_b32_e32 v13, 0x50
	v_lshl_add_u32 v15, v0, 2, v13
	s_mov_b64 s[28:29], 0
	v_mov_b32_e32 v13, 0
	v_mov_b32_e32 v16, v0
.LBB227_18:                             ; =>This Inner Loop Header: Depth=1
	ds_read_b32 v17, v15
	v_add_u32_e32 v16, 0x80, v16
	v_cmp_le_i32_e64 s[8:9], s30, v16
	s_or_b64 s[28:29], s[8:9], s[28:29]
	s_waitcnt lgkmcnt(0)
	v_sub_f32_e32 v17, v17, v14
	v_mul_f32_e32 v17, 0x3fb8aa3b, v17
	v_exp_f32_e32 v17, v17
	ds_write_b32 v15, v17
	v_add_f32_e32 v13, v13, v17
	v_add_u32_e32 v15, 0x200, v15
	s_andn2_b64 exec, exec, s[28:29]
	s_cbranch_execnz .LBB227_18
; %bb.19:
	s_or_b64 exec, exec, s[28:29]
.LBB227_20:
	s_or_b64 exec, exec, s[14:15]
	ds_bpermute_b32 v3, v3, v13
	s_waitcnt lgkmcnt(0)
	v_add_f32_e32 v3, v13, v3
	ds_bpermute_b32 v5, v5, v3
	s_waitcnt lgkmcnt(0)
	v_add_f32_e32 v3, v3, v5
	ds_bpermute_b32 v5, v7, v3
	v_xor_b32_e32 v7, 4, v10
	v_cmp_lt_i32_e64 s[8:9], v7, v11
	s_waitcnt lgkmcnt(0)
	v_add_f32_e32 v3, v3, v5
	v_cndmask_b32_e64 v7, v10, v7, s[8:9]
	v_lshlrev_b32_e32 v7, 2, v7
	ds_bpermute_b32 v5, v7, v3
	v_xor_b32_e32 v7, 2, v10
	v_cmp_lt_i32_e64 s[8:9], v7, v11
	s_waitcnt lgkmcnt(0)
	v_add_f32_e32 v3, v3, v5
	v_cndmask_b32_e64 v7, v10, v7, s[8:9]
	v_lshlrev_b32_e32 v5, 2, v7
	ds_bpermute_b32 v5, v5, v3
	s_waitcnt lgkmcnt(0)
	v_add_f32_e32 v3, v3, v5
	ds_bpermute_b32 v5, v6, v3
	s_waitcnt lgkmcnt(0)
	v_add_f32_e32 v3, v3, v5
	s_and_saveexec_b64 s[8:9], vcc
	s_cbranch_execz .LBB227_22
; %bb.21:
	ds_write_b32 v2, v3 offset:72
.LBB227_22:
	s_or_b64 exec, exec, s[8:9]
	s_waitcnt lgkmcnt(0)
	s_barrier
	s_and_saveexec_b64 s[8:9], s[0:1]
	s_cbranch_execz .LBB227_24
; %bb.23:
	ds_read_b32 v3, v4 offset:72
.LBB227_24:
	s_or_b64 exec, exec, s[8:9]
	s_waitcnt lgkmcnt(0)
	ds_bpermute_b32 v2, v6, v3
	s_waitcnt lgkmcnt(0)
	v_add_f32_e32 v2, v3, v2
	ds_bpermute_b32 v2, v12, v2
	s_and_saveexec_b64 s[0:1], s[6:7]
	s_cbranch_execz .LBB227_37
; %bb.25:
	s_waitcnt lgkmcnt(0)
	v_add_f32_e32 v2, 0x358637bd, v2
	v_div_scale_f32 v3, s[6:7], v2, v2, 1.0
	v_rcp_f32_e32 v4, v3
	v_div_scale_f32 v5, vcc, 1.0, v2, 1.0
	s_movk_i32 s6, 0x7f
	v_fma_f32 v6, -v3, v4, 1.0
	v_fmac_f32_e32 v4, v6, v4
	v_mul_f32_e32 v6, v5, v4
	v_fma_f32 v7, -v3, v6, v5
	v_fmac_f32_e32 v6, v7, v4
	v_fma_f32 v3, -v3, v6, v5
	v_div_fmas_f32 v3, v3, v4, v6
	v_xad_u32 v4, v0, -1, s30
	v_div_fixup_f32 v2, v3, v2, 1.0
	v_cmp_lt_u32_e32 vcc, s6, v4
	s_mov_b64 s[8:9], -1
	v_mov_b32_e32 v3, v0
	s_and_saveexec_b64 s[6:7], vcc
	s_cbranch_execz .LBB227_34
; %bb.26:
	v_lshrrev_b32_e32 v4, 7, v4
	v_add_u32_e32 v6, -1, v4
	v_lshrrev_b32_e32 v5, 1, v6
	v_mov_b32_e32 v3, v2
	v_add_u32_e32 v5, 1, v5
	v_cmp_lt_u32_e32 vcc, 13, v6
	v_mov_b32_e32 v10, 0
	s_and_saveexec_b64 s[8:9], vcc
	s_cbranch_execz .LBB227_30
; %bb.27:
	v_mov_b32_e32 v7, 0x50
	v_and_b32_e32 v6, -8, v5
	v_lshl_add_u32 v7, v0, 2, v7
	s_mov_b32 s28, 0
	s_mov_b64 s[14:15], 0
.LBB227_28:                             ; =>This Inner Loop Header: Depth=1
	ds_read2st64_b32 v[10:11], v7 offset1:2
	ds_read2st64_b32 v[12:13], v7 offset0:4 offset1:6
	ds_read2st64_b32 v[14:15], v7 offset0:8 offset1:10
	;; [unrolled: 1-line block ×3, first 2 shown]
	v_add_u32_e32 v6, -8, v6
	s_waitcnt lgkmcnt(3)
	v_pk_mul_f32 v[10:11], v[2:3], v[10:11]
	s_waitcnt lgkmcnt(2)
	v_pk_mul_f32 v[12:13], v[2:3], v[12:13]
	ds_write2st64_b32 v7, v10, v11 offset1:2
	ds_write2st64_b32 v7, v12, v13 offset0:4 offset1:6
	ds_read2st64_b32 v[12:13], v7 offset0:16 offset1:18
	s_waitcnt lgkmcnt(4)
	v_pk_mul_f32 v[10:11], v[2:3], v[14:15]
	ds_write2st64_b32 v7, v10, v11 offset0:8 offset1:10
	s_waitcnt lgkmcnt(4)
	v_pk_mul_f32 v[10:11], v[2:3], v[16:17]
	ds_write2st64_b32 v7, v10, v11 offset0:12 offset1:14
	ds_read2st64_b32 v[10:11], v7 offset0:20 offset1:22
	s_waitcnt lgkmcnt(3)
	v_pk_mul_f32 v[12:13], v[2:3], v[12:13]
	ds_read2st64_b32 v[14:15], v7 offset0:24 offset1:26
	ds_write2st64_b32 v7, v12, v13 offset0:16 offset1:18
	ds_read2st64_b32 v[12:13], v7 offset0:28 offset1:30
	s_waitcnt lgkmcnt(3)
	v_pk_mul_f32 v[10:11], v[2:3], v[10:11]
	ds_write2st64_b32 v7, v10, v11 offset0:20 offset1:22
	s_waitcnt lgkmcnt(3)
	v_pk_mul_f32 v[10:11], v[2:3], v[14:15]
	ds_write2st64_b32 v7, v10, v11 offset0:24 offset1:26
	s_waitcnt lgkmcnt(2)
	v_pk_mul_f32 v[10:11], v[2:3], v[12:13]
	s_add_i32 s28, s28, 16
	v_cmp_eq_u32_e32 vcc, 0, v6
	ds_write2st64_b32 v7, v10, v11 offset0:28 offset1:30
	v_add_u32_e32 v7, 0x2000, v7
	s_or_b64 s[14:15], vcc, s[14:15]
	v_mov_b32_e32 v10, s28
	s_andn2_b64 exec, exec, s[14:15]
	s_cbranch_execnz .LBB227_28
; %bb.29:
	s_or_b64 exec, exec, s[14:15]
.LBB227_30:
	s_or_b64 exec, exec, s[8:9]
	v_and_b32_e32 v5, 7, v5
	v_cmp_ne_u32_e32 vcc, 0, v5
	s_and_saveexec_b64 s[8:9], vcc
	s_cbranch_execz .LBB227_33
; %bb.31:
	v_lshlrev_b32_e32 v6, 9, v10
	v_lshlrev_b32_e32 v7, 2, v0
	s_movk_i32 s14, 0x50
	v_add3_u32 v6, v6, v7, s14
	s_mov_b64 s[14:15], 0
.LBB227_32:                             ; =>This Inner Loop Header: Depth=1
	ds_read2st64_b32 v[10:11], v6 offset1:2
	v_add_u32_e32 v5, -1, v5
	v_cmp_eq_u32_e32 vcc, 0, v5
	s_or_b64 s[14:15], vcc, s[14:15]
	s_waitcnt lgkmcnt(0)
	v_pk_mul_f32 v[10:11], v[2:3], v[10:11]
	ds_write2st64_b32 v6, v10, v11 offset1:2
	v_add_u32_e32 v6, 0x400, v6
	s_andn2_b64 exec, exec, s[14:15]
	s_cbranch_execnz .LBB227_32
.LBB227_33:
	s_or_b64 exec, exec, s[8:9]
	v_add_u32_e32 v4, 1, v4
	v_and_b32_e32 v5, 0x3fffffe, v4
	v_cmp_ne_u32_e32 vcc, v4, v5
	v_lshl_add_u32 v3, v5, 7, v0
	s_orn2_b64 s[8:9], vcc, exec
.LBB227_34:
	s_or_b64 exec, exec, s[6:7]
	s_and_b64 exec, exec, s[8:9]
	s_cbranch_execz .LBB227_37
; %bb.35:
	v_mov_b32_e32 v4, 0x50
	v_lshl_add_u32 v4, v3, 2, v4
	s_mov_b64 s[6:7], 0
.LBB227_36:                             ; =>This Inner Loop Header: Depth=1
	ds_read_b32 v5, v4
	v_add_u32_e32 v3, 0x80, v3
	v_cmp_le_i32_e32 vcc, s30, v3
	s_or_b64 s[6:7], vcc, s[6:7]
	s_waitcnt lgkmcnt(0)
	v_mul_f32_e32 v5, v2, v5
	ds_write_b32 v4, v5
	v_add_u32_e32 v4, 0x200, v4
	s_andn2_b64 exec, exec, s[6:7]
	s_cbranch_execnz .LBB227_36
.LBB227_37:
	s_or_b64 exec, exec, s[0:1]
	v_mov_b32_e32 v16, 0
	s_waitcnt lgkmcnt(0)
	s_barrier
	s_and_saveexec_b64 s[6:7], s[2:3]
	s_cbranch_execz .LBB227_109
; %bb.38:
	s_ashr_i32 s1, s12, 31
	s_add_u32 s0, s26, s12
	s_addc_u32 s1, s27, s1
	v_lshlrev_b32_e32 v2, 3, v9
	v_mov_b32_e32 v3, 0
	v_lshl_add_u64 v[4:5], s[0:1], 0, v[2:3]
	s_add_i32 s26, s33, -1
	s_lshl_b64 s[0:1], s[24:25], 2
	v_mov_b32_e32 v2, 0x50
	s_add_u32 s0, s22, s0
	v_lshl_add_u32 v18, v1, 5, v2
	v_and_b32_e32 v2, 60, v8
	s_addc_u32 s1, s23, s1
	v_cmp_gt_u32_e32 vcc, 32, v9
	s_mov_b32 s28, s13
	s_mov_b32 s27, s17
	v_lshlrev_b32_e32 v17, 3, v1
	v_lshl_add_u64 v[6:7], s[0:1], 0, v[2:3]
	s_mov_b64 s[2:3], 0
	s_movk_i32 s24, 0x7f
	s_movk_i32 s25, 0x80
	s_mov_b32 s29, 0x8000
	s_movk_i32 s30, 0x380
	s_mov_b32 s31, 0x3020706
	s_mov_b32 s34, 0x1000504
	;; [unrolled: 1-line block ×3, first 2 shown]
	v_mov_b32_e32 v19, 0x1c00
	v_mov_b32_e32 v16, 0
	s_branch .LBB227_41
.LBB227_39:                             ;   in Loop: Header=BB227_41 Depth=1
	s_or_b64 exec, exec, s[12:13]
	v_and_b32_e32 v12, 0xffff, v20
	v_and_b32_e32 v13, 0xffff, v22
	v_lshl_or_b32 v12, v21, 16, v12
	v_lshl_or_b32 v13, v23, 16, v13
	v_and_b32_e32 v14, 0xffff, v24
	v_and_b32_e32 v15, 0xffff, v26
	;;#ASMSTART
	v_pk_mul_f16 v11, v12, v11;

	;;#ASMEND
	;;#ASMSTART
	v_pk_mul_f16 v2, v13, v2;

	;;#ASMEND
	v_lshl_or_b32 v14, v25, 16, v14
	v_lshl_or_b32 v15, v27, 16, v15
	;;#ASMSTART
	v_pk_mul_f16 v10, v14, v10;

	;;#ASMEND
	;;#ASMSTART
	v_pk_mul_f16 v8, v15, v8;

	;;#ASMEND
	;;#ASMSTART
	v_pk_add_f16 v2, v11, v2;

	;;#ASMEND
	s_nop 0
	;;#ASMSTART
	v_pk_add_f16 v2, v2, v10;

	;;#ASMEND
	s_nop 0
	;; [unrolled: 5-line block ×3, first 2 shown]
	v_lshrrev_b32_e32 v8, 16, v2
	v_and_b32_e32 v2, 0xffff, v2
	;;#ASMSTART
	v_cvt_f32_f16 v2, v2;
	;;#ASMEND
	;;#ASMSTART
	v_cvt_f32_f16 v8, v8;
	;;#ASMEND
	s_nop 0
	v_add_f32_e32 v2, v2, v8
	v_add_f32_e32 v16, v16, v2
.LBB227_40:                             ;   in Loop: Header=BB227_41 Depth=1
	s_or_b64 exec, exec, s[8:9]
	v_add_u32_e32 v1, 2, v1
	v_cmp_le_i32_e64 s[0:1], s33, v1
	v_add_u32_e32 v17, 16, v17
	v_add_u32_e32 v18, 64, v18
	s_or_b64 s[2:3], s[0:1], s[2:3]
	v_lshl_add_u64 v[6:7], v[6:7], 0, 8
	s_andn2_b64 exec, exec, s[2:3]
	s_cbranch_execz .LBB227_108
.LBB227_41:                             ; =>This Inner Loop Header: Depth=1
	ds_read2_b64 v[10:13], v18 offset1:1
	ds_read2_b64 v[24:27], v18 offset0:2 offset1:3
	s_waitcnt lgkmcnt(1)
	;;#ASMSTART
	v_cvt_f16_f32 v20, v10;

	;;#ASMEND
	;;#ASMSTART
	v_cvt_f16_f32 v21, v11;

	;;#ASMEND
	;;#ASMSTART
	v_cvt_f16_f32 v22, v12;

	;;#ASMEND
	;;#ASMSTART
	v_cvt_f16_f32 v23, v13;

	;;#ASMEND
	s_waitcnt lgkmcnt(0)
	;;#ASMSTART
	v_cvt_f16_f32 v24, v24;

	;;#ASMEND
	;;#ASMSTART
	v_cvt_f16_f32 v25, v25;

	;;#ASMEND
	;; [unrolled: 4-line block ×4, first 2 shown]
	s_and_saveexec_b64 s[8:9], vcc
	s_cbranch_execz .LBB227_40
; %bb.42:                               ;   in Loop: Header=BB227_41 Depth=1
	global_load_dword v2, v[6:7], off
                                        ; implicit-def: $sgpr22
	s_waitcnt vmcnt(0)
	v_mad_i64_i32 v[12:13], s[0:1], v2, s28, v[4:5]
	global_load_dwordx2 v[10:11], v[12:13], off
	global_load_dword v8, v3, s[10:11]
	s_mov_b64 s[0:1], 0
	s_waitcnt vmcnt(1)
	v_cmp_gt_i16_sdwa s[12:13], v10, s24 src0_sel:BYTE_0 src1_sel:DWORD
	s_and_saveexec_b64 s[14:15], s[12:13]
	s_xor_b64 s[12:13], exec, s[14:15]
	s_cbranch_execnz .LBB227_76
; %bb.43:                               ;   in Loop: Header=BB227_41 Depth=1
	s_or_saveexec_b64 s[12:13], s[12:13]
	v_mov_b32_e32 v12, s22
	s_xor_b64 exec, exec, s[12:13]
	s_cbranch_execnz .LBB227_79
.LBB227_44:                             ;   in Loop: Header=BB227_41 Depth=1
	s_or_b64 exec, exec, s[12:13]
	s_and_saveexec_b64 s[12:13], s[0:1]
	s_cbranch_execz .LBB227_46
.LBB227_45:                             ;   in Loop: Header=BB227_41 Depth=1
	v_and_b32_e32 v2, 7, v10
	v_ffbh_u32_e32 v2, v2
	v_bfe_u32 v12, v10, 3, 4
	v_min_u32_e32 v2, 32, v2
	v_subrev_u32_e32 v13, 28, v2
	v_sub_u32_e32 v2, 29, v2
	v_cmp_eq_u32_e64 s[0:1], 0, v12
	s_nop 1
	v_cndmask_b32_e64 v2, v12, v2, s[0:1]
	v_cndmask_b32_e64 v12, 0, v13, s[0:1]
	v_lshlrev_b64 v[12:13], v12, v[10:11]
	v_lshlrev_b32_e32 v13, 8, v10
	v_lshl_add_u32 v2, v2, 10, v19
	v_lshlrev_b32_e32 v12, 7, v12
	v_and_or_b32 v2, v13, s29, v2
	v_and_or_b32 v2, v12, s30, v2
	v_cvt_f32_f16_e32 v12, v2
.LBB227_46:                             ;   in Loop: Header=BB227_41 Depth=1
	s_or_b64 exec, exec, s[12:13]
	v_lshrrev_b16_e32 v2, 8, v10
	v_cmp_lt_i16_e64 s[0:1], s24, v2
	s_mov_b64 s[12:13], 0
                                        ; implicit-def: $sgpr36
	s_and_saveexec_b64 s[14:15], s[0:1]
	s_xor_b64 s[14:15], exec, s[14:15]
	s_cbranch_execnz .LBB227_80
; %bb.47:                               ;   in Loop: Header=BB227_41 Depth=1
	s_or_saveexec_b64 s[14:15], s[14:15]
	v_mov_b32_e32 v14, s36
	s_xor_b64 exec, exec, s[14:15]
	s_cbranch_execnz .LBB227_83
.LBB227_48:                             ;   in Loop: Header=BB227_41 Depth=1
	s_or_b64 exec, exec, s[14:15]
	s_and_saveexec_b64 s[14:15], s[12:13]
	s_cbranch_execz .LBB227_50
.LBB227_49:                             ;   in Loop: Header=BB227_41 Depth=1
	v_and_b32_e32 v13, 7, v2
	v_ffbh_u32_e32 v14, v13
	v_min_u32_e32 v29, 32, v14
	v_subrev_u32_e32 v14, 28, v29
	v_bfe_u32 v28, v2, 3, 4
	v_lshlrev_b64 v[14:15], v14, v[2:3]
	v_sub_u32_e32 v15, 29, v29
	v_cmp_eq_u32_e64 s[0:1], 0, v28
	v_and_b32_e32 v14, 7, v14
	v_lshlrev_b32_e32 v2, 8, v2
	v_cndmask_b32_e64 v15, v28, v15, s[0:1]
	v_cndmask_b32_e64 v13, v13, v14, s[0:1]
	v_lshl_add_u32 v14, v15, 10, v19
	v_and_or_b32 v2, v2, s29, v14
	v_lshl_or_b32 v2, v13, 7, v2
	v_cvt_f32_f16_e32 v14, v2
.LBB227_50:                             ;   in Loop: Header=BB227_41 Depth=1
	s_or_b64 exec, exec, s[14:15]
	v_lshrrev_b32_e32 v2, 16, v10
	v_cmp_gt_i16_sdwa s[12:13], v2, s24 src0_sel:BYTE_0 src1_sel:DWORD
	s_mov_b64 s[0:1], 0
                                        ; implicit-def: $sgpr22
	s_and_saveexec_b64 s[14:15], s[12:13]
	s_xor_b64 s[12:13], exec, s[14:15]
	s_cbranch_execnz .LBB227_84
; %bb.51:                               ;   in Loop: Header=BB227_41 Depth=1
	s_or_saveexec_b64 s[12:13], s[12:13]
	v_mov_b32_e32 v13, s22
	s_xor_b64 exec, exec, s[12:13]
	s_cbranch_execnz .LBB227_87
.LBB227_52:                             ;   in Loop: Header=BB227_41 Depth=1
	s_or_b64 exec, exec, s[12:13]
	s_and_saveexec_b64 s[12:13], s[0:1]
	s_cbranch_execz .LBB227_54
.LBB227_53:                             ;   in Loop: Header=BB227_41 Depth=1
	v_bfe_u32 v13, v10, 16, 3
	v_ffbh_u32_e32 v28, v13
	v_min_u32_e32 v30, 32, v28
	v_subrev_u32_e32 v28, 28, v30
	v_bfe_u32 v15, v10, 19, 4
	v_lshlrev_b64 v[28:29], v28, v[2:3]
	v_sub_u32_e32 v29, 29, v30
	v_cmp_eq_u32_e64 s[0:1], 0, v15
	v_and_b32_e32 v28, 7, v28
	v_lshlrev_b32_e32 v2, 8, v2
	v_cndmask_b32_e64 v15, v15, v29, s[0:1]
	v_lshl_add_u32 v15, v15, 10, v19
	v_cndmask_b32_e64 v13, v13, v28, s[0:1]
	v_and_or_b32 v2, v2, s29, v15
	v_lshl_or_b32 v2, v13, 7, v2
	v_cvt_f32_f16_e32 v13, v2
.LBB227_54:                             ;   in Loop: Header=BB227_41 Depth=1
	s_or_b64 exec, exec, s[12:13]
	v_lshrrev_b32_e32 v2, 24, v10
	v_cmp_lt_i16_e64 s[0:1], s24, v2
	s_mov_b64 s[12:13], 0
                                        ; implicit-def: $sgpr36
	s_and_saveexec_b64 s[14:15], s[0:1]
	s_xor_b64 s[14:15], exec, s[14:15]
	s_cbranch_execnz .LBB227_88
; %bb.55:                               ;   in Loop: Header=BB227_41 Depth=1
	s_or_saveexec_b64 s[14:15], s[14:15]
	v_mov_b32_e32 v15, s36
	s_xor_b64 exec, exec, s[14:15]
	s_cbranch_execnz .LBB227_91
.LBB227_56:                             ;   in Loop: Header=BB227_41 Depth=1
	s_or_b64 exec, exec, s[14:15]
	s_and_saveexec_b64 s[14:15], s[12:13]
	s_cbranch_execz .LBB227_58
.LBB227_57:                             ;   in Loop: Header=BB227_41 Depth=1
	v_bfe_u32 v15, v10, 24, 3
	v_ffbh_u32_e32 v28, v15
	v_min_u32_e32 v30, 32, v28
	v_subrev_u32_e32 v28, 28, v30
	v_bfe_u32 v10, v10, 27, 4
	v_lshlrev_b64 v[28:29], v28, v[2:3]
	v_sub_u32_e32 v29, 29, v30
	v_cmp_eq_u32_e64 s[0:1], 0, v10
	v_and_b32_e32 v28, 7, v28
	v_lshlrev_b32_e32 v2, 8, v2
	v_cndmask_b32_e64 v10, v10, v29, s[0:1]
	v_lshl_add_u32 v10, v10, 10, v19
	v_cndmask_b32_e64 v15, v15, v28, s[0:1]
	v_and_or_b32 v2, v2, s29, v10
	v_lshl_or_b32 v2, v15, 7, v2
	v_cvt_f32_f16_e32 v15, v2
.LBB227_58:                             ;   in Loop: Header=BB227_41 Depth=1
	s_or_b64 exec, exec, s[14:15]
	v_cmp_gt_i16_sdwa s[12:13], v11, s24 src0_sel:BYTE_0 src1_sel:DWORD
	s_mov_b64 s[0:1], 0
                                        ; implicit-def: $sgpr22
	s_and_saveexec_b64 s[14:15], s[12:13]
	s_xor_b64 s[12:13], exec, s[14:15]
	s_cbranch_execnz .LBB227_92
; %bb.59:                               ;   in Loop: Header=BB227_41 Depth=1
	s_or_saveexec_b64 s[12:13], s[12:13]
	v_mov_b32_e32 v10, s22
	s_xor_b64 exec, exec, s[12:13]
	s_cbranch_execnz .LBB227_95
.LBB227_60:                             ;   in Loop: Header=BB227_41 Depth=1
	s_or_b64 exec, exec, s[12:13]
	v_mov_b32_e32 v2, v11
	s_and_saveexec_b64 s[12:13], s[0:1]
	s_cbranch_execz .LBB227_62
.LBB227_61:                             ;   in Loop: Header=BB227_41 Depth=1
	v_and_b32_e32 v10, 7, v11
	v_ffbh_u32_e32 v10, v10
	v_bfe_u32 v28, v11, 3, 4
	v_min_u32_e32 v10, 32, v10
	v_subrev_u32_e32 v29, 28, v10
	v_sub_u32_e32 v10, 29, v10
	v_cmp_eq_u32_e64 s[0:1], 0, v28
	s_nop 1
	v_cndmask_b32_e64 v10, v28, v10, s[0:1]
	v_cndmask_b32_e64 v28, 0, v29, s[0:1]
	v_lshlrev_b64 v[28:29], v28, v[2:3]
	v_lshlrev_b32_e32 v29, 8, v11
	v_lshl_add_u32 v10, v10, 10, v19
	v_lshlrev_b32_e32 v28, 7, v28
	v_and_or_b32 v10, v29, s29, v10
	v_and_or_b32 v10, v28, s30, v10
	v_cvt_f32_f16_e32 v10, v10
.LBB227_62:                             ;   in Loop: Header=BB227_41 Depth=1
	s_or_b64 exec, exec, s[12:13]
	v_lshrrev_b16_e32 v2, 8, v2
	v_cmp_lt_i16_e64 s[0:1], s24, v2
	s_mov_b64 s[12:13], 0
                                        ; implicit-def: $sgpr36
	s_and_saveexec_b64 s[14:15], s[0:1]
	s_xor_b64 s[14:15], exec, s[14:15]
	s_cbranch_execnz .LBB227_96
; %bb.63:                               ;   in Loop: Header=BB227_41 Depth=1
	s_or_saveexec_b64 s[14:15], s[14:15]
	v_mov_b32_e32 v28, s36
	s_xor_b64 exec, exec, s[14:15]
	s_cbranch_execnz .LBB227_99
.LBB227_64:                             ;   in Loop: Header=BB227_41 Depth=1
	s_or_b64 exec, exec, s[14:15]
	s_and_saveexec_b64 s[14:15], s[12:13]
	s_cbranch_execz .LBB227_66
.LBB227_65:                             ;   in Loop: Header=BB227_41 Depth=1
	v_and_b32_e32 v30, 7, v2
	v_ffbh_u32_e32 v28, v30
	v_min_u32_e32 v32, 32, v28
	v_subrev_u32_e32 v28, 28, v32
	v_bfe_u32 v31, v2, 3, 4
	v_lshlrev_b64 v[28:29], v28, v[2:3]
	v_sub_u32_e32 v29, 29, v32
	v_cmp_eq_u32_e64 s[0:1], 0, v31
	v_and_b32_e32 v28, 7, v28
	v_lshlrev_b32_e32 v2, 8, v2
	v_cndmask_b32_e64 v29, v31, v29, s[0:1]
	v_lshl_add_u32 v29, v29, 10, v19
	v_cndmask_b32_e64 v28, v30, v28, s[0:1]
	v_and_or_b32 v2, v2, s29, v29
	v_lshl_or_b32 v2, v28, 7, v2
	v_cvt_f32_f16_e32 v28, v2
.LBB227_66:                             ;   in Loop: Header=BB227_41 Depth=1
	s_or_b64 exec, exec, s[14:15]
	v_lshrrev_b32_e32 v2, 16, v11
	v_cmp_gt_i16_sdwa s[12:13], v2, s24 src0_sel:BYTE_0 src1_sel:DWORD
	s_mov_b64 s[0:1], 0
                                        ; implicit-def: $sgpr22
	s_and_saveexec_b64 s[14:15], s[12:13]
	s_xor_b64 s[12:13], exec, s[14:15]
	s_cbranch_execnz .LBB227_100
; %bb.67:                               ;   in Loop: Header=BB227_41 Depth=1
	s_or_saveexec_b64 s[12:13], s[12:13]
	v_mov_b32_e32 v29, s22
	s_xor_b64 exec, exec, s[12:13]
	s_cbranch_execnz .LBB227_103
.LBB227_68:                             ;   in Loop: Header=BB227_41 Depth=1
	s_or_b64 exec, exec, s[12:13]
	s_and_saveexec_b64 s[12:13], s[0:1]
	s_cbranch_execz .LBB227_70
.LBB227_69:                             ;   in Loop: Header=BB227_41 Depth=1
	v_bfe_u32 v29, v11, 16, 3
	v_ffbh_u32_e32 v30, v29
	v_min_u32_e32 v33, 32, v30
	v_subrev_u32_e32 v30, 28, v33
	v_bfe_u32 v32, v11, 19, 4
	v_lshlrev_b64 v[30:31], v30, v[2:3]
	v_sub_u32_e32 v31, 29, v33
	v_cmp_eq_u32_e64 s[0:1], 0, v32
	v_and_b32_e32 v30, 7, v30
	v_lshlrev_b32_e32 v2, 8, v2
	v_cndmask_b32_e64 v31, v32, v31, s[0:1]
	v_cndmask_b32_e64 v29, v29, v30, s[0:1]
	v_lshl_add_u32 v30, v31, 10, v19
	v_and_or_b32 v2, v2, s29, v30
	v_lshl_or_b32 v2, v29, 7, v2
	v_cvt_f32_f16_e32 v29, v2
.LBB227_70:                             ;   in Loop: Header=BB227_41 Depth=1
	s_or_b64 exec, exec, s[12:13]
	v_lshrrev_b32_e32 v2, 24, v11
	v_cmp_lt_i16_e64 s[0:1], s24, v2
	s_mov_b64 s[12:13], 0
                                        ; implicit-def: $sgpr36
	s_and_saveexec_b64 s[14:15], s[0:1]
	s_xor_b64 s[14:15], exec, s[14:15]
	s_cbranch_execnz .LBB227_104
; %bb.71:                               ;   in Loop: Header=BB227_41 Depth=1
	s_or_saveexec_b64 s[14:15], s[14:15]
	v_mov_b32_e32 v30, s36
	s_xor_b64 exec, exec, s[14:15]
	s_cbranch_execnz .LBB227_107
.LBB227_72:                             ;   in Loop: Header=BB227_41 Depth=1
	s_or_b64 exec, exec, s[14:15]
	s_and_saveexec_b64 s[14:15], s[12:13]
	s_cbranch_execz .LBB227_74
.LBB227_73:                             ;   in Loop: Header=BB227_41 Depth=1
	v_bfe_u32 v32, v11, 24, 3
	v_ffbh_u32_e32 v30, v32
	v_min_u32_e32 v33, 32, v30
	v_subrev_u32_e32 v30, 28, v33
	v_bfe_u32 v11, v11, 27, 4
	v_lshlrev_b64 v[30:31], v30, v[2:3]
	v_sub_u32_e32 v31, 29, v33
	v_cmp_eq_u32_e64 s[0:1], 0, v11
	v_and_b32_e32 v30, 7, v30
	v_lshlrev_b32_e32 v2, 8, v2
	v_cndmask_b32_e64 v11, v11, v31, s[0:1]
	v_lshl_add_u32 v11, v11, 10, v19
	v_cndmask_b32_e64 v30, v32, v30, s[0:1]
	v_and_or_b32 v2, v2, s29, v11
	v_lshl_or_b32 v2, v30, 7, v2
	v_cvt_f32_f16_e32 v30, v2
.LBB227_74:                             ;   in Loop: Header=BB227_41 Depth=1
	s_or_b64 exec, exec, s[14:15]
	s_waitcnt vmcnt(0)
	v_pk_mul_f32 v[14:15], v[8:9], v[14:15] op_sel_hi:[0,1]
	v_pk_mul_f32 v[12:13], v[8:9], v[12:13] op_sel_hi:[0,1]
	v_cvt_f16_f32_e32 v2, v15
	v_cvt_f16_f32_e32 v11, v14
	;; [unrolled: 1-line block ×4, first 2 shown]
	v_fma_mixlo_f16 v10, v8, v10, 0
	v_pack_b32_f16 v11, v11, v2
	v_cmp_eq_u32_e64 s[0:1], s26, v1
	v_pack_b32_f16 v12, v12, v13
	v_perm_b32 v2, v12, v11, s31
	v_perm_b32 v11, v12, v11, s34
	v_fma_mixlo_f16 v12, v8, v28, 0
	v_lshlrev_b32_e32 v12, 16, v12
	v_or_b32_sdwa v10, v12, v10 dst_sel:DWORD dst_unused:UNUSED_PAD src0_sel:DWORD src1_sel:WORD_0
	v_fma_mixlo_f16 v12, v8, v29, 0
	v_fma_mixlo_f16 v8, v8, v30, 0
	v_lshlrev_b32_e32 v8, 16, v8
	v_or_b32_sdwa v8, v8, v12 dst_sel:DWORD dst_unused:UNUSED_PAD src0_sel:DWORD src1_sel:WORD_0
	s_and_saveexec_b64 s[12:13], s[0:1]
	s_cbranch_execz .LBB227_39
; %bb.75:                               ;   in Loop: Header=BB227_41 Depth=1
	v_add_u32_e32 v13, 1, v17
	v_lshrrev_b32_e32 v14, 16, v11
	v_cmp_gt_i32_e64 s[0:1], s27, v13
	v_lshrrev_b32_e32 v15, 16, v2
	v_lshrrev_b32_e32 v8, 16, v8
	v_cndmask_b32_e64 v13, 0, v14, s[0:1]
	v_cmp_gt_i32_e64 s[0:1], s17, v17
	v_or_b32_e32 v14, 2, v17
	s_nop 0
	v_cndmask_b32_e64 v11, 0, v11, s[0:1]
	v_perm_b32 v11, v13, v11, s35
	v_or_b32_e32 v13, 3, v17
	v_cmp_gt_i32_e64 s[0:1], s27, v13
	s_nop 1
	v_cndmask_b32_e64 v13, 0, v15, s[0:1]
	v_cmp_gt_i32_e64 s[0:1], s17, v14
	v_or_b32_e32 v14, 4, v17
	v_lshrrev_b32_e32 v15, 16, v10
	v_cndmask_b32_e64 v2, 0, v2, s[0:1]
	v_perm_b32 v2, v13, v2, s35
	v_or_b32_e32 v13, 5, v17
	v_cmp_gt_i32_e64 s[0:1], s27, v13
	s_nop 1
	v_cndmask_b32_e64 v13, 0, v15, s[0:1]
	v_cmp_gt_i32_e64 s[0:1], s17, v14
	v_or_b32_e32 v14, 6, v17
	s_nop 0
	v_cndmask_b32_e64 v10, 0, v10, s[0:1]
	v_perm_b32 v10, v13, v10, s35
	v_or_b32_e32 v13, 7, v17
	v_cmp_gt_i32_e64 s[0:1], s27, v13
	s_nop 1
	v_cndmask_b32_e64 v8, 0, v8, s[0:1]
	v_cmp_gt_i32_e64 s[0:1], s17, v14
	s_nop 1
	v_cndmask_b32_e64 v12, 0, v12, s[0:1]
	v_perm_b32 v8, v8, v12, s35
	s_branch .LBB227_39
.LBB227_76:                             ;   in Loop: Header=BB227_41 Depth=1
	v_cmp_eq_u16_sdwa s[36:37], v10, s25 src0_sel:BYTE_0 src1_sel:DWORD
	s_mov_b64 s[0:1], -1
                                        ; implicit-def: $sgpr22
	s_and_saveexec_b64 s[14:15], s[36:37]
; %bb.77:                               ;   in Loop: Header=BB227_41 Depth=1
	s_mov_b32 s22, 0x7fc02000
	s_xor_b64 s[0:1], exec, -1
; %bb.78:                               ;   in Loop: Header=BB227_41 Depth=1
	s_or_b64 exec, exec, s[14:15]
	s_and_b64 s[0:1], s[0:1], exec
	s_or_saveexec_b64 s[12:13], s[12:13]
	v_mov_b32_e32 v12, s22
	s_xor_b64 exec, exec, s[12:13]
	s_cbranch_execz .LBB227_44
.LBB227_79:                             ;   in Loop: Header=BB227_41 Depth=1
	v_cmp_ne_u16_sdwa s[14:15], v10, v3 src0_sel:BYTE_0 src1_sel:DWORD
	s_andn2_b64 s[0:1], s[0:1], exec
	s_and_b64 s[14:15], s[14:15], exec
	v_mov_b32_e32 v12, 0
	s_or_b64 s[0:1], s[0:1], s[14:15]
	s_or_b64 exec, exec, s[12:13]
	s_and_saveexec_b64 s[12:13], s[0:1]
	s_cbranch_execnz .LBB227_45
	s_branch .LBB227_46
.LBB227_80:                             ;   in Loop: Header=BB227_41 Depth=1
	v_cmp_eq_u16_e64 s[0:1], s25, v2
	s_mov_b64 s[12:13], -1
                                        ; implicit-def: $sgpr36
	s_and_saveexec_b64 s[22:23], s[0:1]
; %bb.81:                               ;   in Loop: Header=BB227_41 Depth=1
	s_mov_b32 s36, 0x7fc02000
	s_xor_b64 s[12:13], exec, -1
; %bb.82:                               ;   in Loop: Header=BB227_41 Depth=1
	s_or_b64 exec, exec, s[22:23]
	s_and_b64 s[12:13], s[12:13], exec
	s_or_saveexec_b64 s[14:15], s[14:15]
	v_mov_b32_e32 v14, s36
	s_xor_b64 exec, exec, s[14:15]
	s_cbranch_execz .LBB227_48
.LBB227_83:                             ;   in Loop: Header=BB227_41 Depth=1
	v_cmp_ne_u16_e64 s[0:1], 0, v2
	s_andn2_b64 s[12:13], s[12:13], exec
	s_and_b64 s[0:1], s[0:1], exec
	v_mov_b32_e32 v14, 0
	s_or_b64 s[12:13], s[12:13], s[0:1]
	s_or_b64 exec, exec, s[14:15]
	s_and_saveexec_b64 s[14:15], s[12:13]
	s_cbranch_execnz .LBB227_49
	s_branch .LBB227_50
.LBB227_84:                             ;   in Loop: Header=BB227_41 Depth=1
	v_cmp_eq_u16_sdwa s[36:37], v2, s25 src0_sel:BYTE_0 src1_sel:DWORD
	s_mov_b64 s[0:1], -1
                                        ; implicit-def: $sgpr22
	s_and_saveexec_b64 s[14:15], s[36:37]
; %bb.85:                               ;   in Loop: Header=BB227_41 Depth=1
	s_mov_b32 s22, 0x7fc02000
	s_xor_b64 s[0:1], exec, -1
; %bb.86:                               ;   in Loop: Header=BB227_41 Depth=1
	s_or_b64 exec, exec, s[14:15]
	s_and_b64 s[0:1], s[0:1], exec
	s_or_saveexec_b64 s[12:13], s[12:13]
	v_mov_b32_e32 v13, s22
	s_xor_b64 exec, exec, s[12:13]
	s_cbranch_execz .LBB227_52
.LBB227_87:                             ;   in Loop: Header=BB227_41 Depth=1
	v_cmp_ne_u16_sdwa s[14:15], v2, v3 src0_sel:BYTE_0 src1_sel:DWORD
	s_andn2_b64 s[0:1], s[0:1], exec
	s_and_b64 s[14:15], s[14:15], exec
	v_mov_b32_e32 v13, 0
	s_or_b64 s[0:1], s[0:1], s[14:15]
	s_or_b64 exec, exec, s[12:13]
	s_and_saveexec_b64 s[12:13], s[0:1]
	s_cbranch_execnz .LBB227_53
	s_branch .LBB227_54
.LBB227_88:                             ;   in Loop: Header=BB227_41 Depth=1
	v_cmp_eq_u16_e64 s[0:1], s25, v2
	s_mov_b64 s[12:13], -1
                                        ; implicit-def: $sgpr36
	s_and_saveexec_b64 s[22:23], s[0:1]
; %bb.89:                               ;   in Loop: Header=BB227_41 Depth=1
	s_mov_b32 s36, 0x7fc02000
	s_xor_b64 s[12:13], exec, -1
; %bb.90:                               ;   in Loop: Header=BB227_41 Depth=1
	s_or_b64 exec, exec, s[22:23]
	s_and_b64 s[12:13], s[12:13], exec
	s_or_saveexec_b64 s[14:15], s[14:15]
	v_mov_b32_e32 v15, s36
	s_xor_b64 exec, exec, s[14:15]
	s_cbranch_execz .LBB227_56
.LBB227_91:                             ;   in Loop: Header=BB227_41 Depth=1
	v_cmp_ne_u16_e64 s[0:1], 0, v2
	s_andn2_b64 s[12:13], s[12:13], exec
	s_and_b64 s[0:1], s[0:1], exec
	v_mov_b32_e32 v15, 0
	s_or_b64 s[12:13], s[12:13], s[0:1]
	s_or_b64 exec, exec, s[14:15]
	s_and_saveexec_b64 s[14:15], s[12:13]
	s_cbranch_execnz .LBB227_57
	s_branch .LBB227_58
.LBB227_92:                             ;   in Loop: Header=BB227_41 Depth=1
	v_cmp_eq_u16_sdwa s[36:37], v11, s25 src0_sel:BYTE_0 src1_sel:DWORD
	s_mov_b64 s[0:1], -1
                                        ; implicit-def: $sgpr22
	s_and_saveexec_b64 s[14:15], s[36:37]
; %bb.93:                               ;   in Loop: Header=BB227_41 Depth=1
	s_mov_b32 s22, 0x7fc02000
	s_xor_b64 s[0:1], exec, -1
; %bb.94:                               ;   in Loop: Header=BB227_41 Depth=1
	s_or_b64 exec, exec, s[14:15]
	s_and_b64 s[0:1], s[0:1], exec
	s_or_saveexec_b64 s[12:13], s[12:13]
	v_mov_b32_e32 v10, s22
	s_xor_b64 exec, exec, s[12:13]
	s_cbranch_execz .LBB227_60
.LBB227_95:                             ;   in Loop: Header=BB227_41 Depth=1
	v_cmp_ne_u16_sdwa s[14:15], v11, v3 src0_sel:BYTE_0 src1_sel:DWORD
	s_andn2_b64 s[0:1], s[0:1], exec
	s_and_b64 s[14:15], s[14:15], exec
	v_mov_b32_e32 v10, 0
	s_or_b64 s[0:1], s[0:1], s[14:15]
	s_or_b64 exec, exec, s[12:13]
	v_mov_b32_e32 v2, v11
	s_and_saveexec_b64 s[12:13], s[0:1]
	s_cbranch_execnz .LBB227_61
	s_branch .LBB227_62
.LBB227_96:                             ;   in Loop: Header=BB227_41 Depth=1
	v_cmp_eq_u16_e64 s[0:1], s25, v2
	s_mov_b64 s[12:13], -1
                                        ; implicit-def: $sgpr36
	s_and_saveexec_b64 s[22:23], s[0:1]
; %bb.97:                               ;   in Loop: Header=BB227_41 Depth=1
	s_mov_b32 s36, 0x7fc02000
	s_xor_b64 s[12:13], exec, -1
; %bb.98:                               ;   in Loop: Header=BB227_41 Depth=1
	s_or_b64 exec, exec, s[22:23]
	s_and_b64 s[12:13], s[12:13], exec
	s_or_saveexec_b64 s[14:15], s[14:15]
	v_mov_b32_e32 v28, s36
	s_xor_b64 exec, exec, s[14:15]
	s_cbranch_execz .LBB227_64
.LBB227_99:                             ;   in Loop: Header=BB227_41 Depth=1
	v_cmp_ne_u16_e64 s[0:1], 0, v2
	s_andn2_b64 s[12:13], s[12:13], exec
	s_and_b64 s[0:1], s[0:1], exec
	v_mov_b32_e32 v28, 0
	s_or_b64 s[12:13], s[12:13], s[0:1]
	s_or_b64 exec, exec, s[14:15]
	s_and_saveexec_b64 s[14:15], s[12:13]
	s_cbranch_execnz .LBB227_65
	s_branch .LBB227_66
.LBB227_100:                            ;   in Loop: Header=BB227_41 Depth=1
	v_cmp_eq_u16_sdwa s[36:37], v2, s25 src0_sel:BYTE_0 src1_sel:DWORD
	s_mov_b64 s[0:1], -1
                                        ; implicit-def: $sgpr22
	s_and_saveexec_b64 s[14:15], s[36:37]
; %bb.101:                              ;   in Loop: Header=BB227_41 Depth=1
	s_mov_b32 s22, 0x7fc02000
	s_xor_b64 s[0:1], exec, -1
; %bb.102:                              ;   in Loop: Header=BB227_41 Depth=1
	s_or_b64 exec, exec, s[14:15]
	s_and_b64 s[0:1], s[0:1], exec
	s_or_saveexec_b64 s[12:13], s[12:13]
	v_mov_b32_e32 v29, s22
	s_xor_b64 exec, exec, s[12:13]
	s_cbranch_execz .LBB227_68
.LBB227_103:                            ;   in Loop: Header=BB227_41 Depth=1
	v_cmp_ne_u16_sdwa s[14:15], v2, v3 src0_sel:BYTE_0 src1_sel:DWORD
	s_andn2_b64 s[0:1], s[0:1], exec
	s_and_b64 s[14:15], s[14:15], exec
	v_mov_b32_e32 v29, 0
	s_or_b64 s[0:1], s[0:1], s[14:15]
	s_or_b64 exec, exec, s[12:13]
	s_and_saveexec_b64 s[12:13], s[0:1]
	s_cbranch_execnz .LBB227_69
	s_branch .LBB227_70
.LBB227_104:                            ;   in Loop: Header=BB227_41 Depth=1
	v_cmp_eq_u16_e64 s[0:1], s25, v2
	s_mov_b64 s[12:13], -1
                                        ; implicit-def: $sgpr36
	s_and_saveexec_b64 s[22:23], s[0:1]
; %bb.105:                              ;   in Loop: Header=BB227_41 Depth=1
	s_mov_b32 s36, 0x7fc02000
	s_xor_b64 s[12:13], exec, -1
; %bb.106:                              ;   in Loop: Header=BB227_41 Depth=1
	s_or_b64 exec, exec, s[22:23]
	s_and_b64 s[12:13], s[12:13], exec
	s_or_saveexec_b64 s[14:15], s[14:15]
	v_mov_b32_e32 v30, s36
	s_xor_b64 exec, exec, s[14:15]
	s_cbranch_execz .LBB227_72
.LBB227_107:                            ;   in Loop: Header=BB227_41 Depth=1
	v_cmp_ne_u16_e64 s[0:1], 0, v2
	s_andn2_b64 s[12:13], s[12:13], exec
	s_and_b64 s[0:1], s[0:1], exec
	v_mov_b32_e32 v30, 0
	s_or_b64 s[12:13], s[12:13], s[0:1]
	s_or_b64 exec, exec, s[14:15]
	s_and_saveexec_b64 s[14:15], s[12:13]
	s_cbranch_execnz .LBB227_73
	s_branch .LBB227_74
.LBB227_108:
	s_or_b64 exec, exec, s[2:3]
.LBB227_109:
	s_or_b64 exec, exec, s[6:7]
	v_and_b32_e32 v1, 0x3c0, v0
	v_cmp_eq_u32_e64 s[0:1], 64, v1
	v_cmp_gt_u32_e32 vcc, 32, v9
	s_and_b64 s[2:3], s[0:1], vcc
	s_barrier
	s_and_saveexec_b64 s[0:1], s[2:3]
	s_cbranch_execz .LBB227_111
; %bb.110:
	v_mov_b32_e32 v1, 0x50
	v_lshl_add_u32 v1, v9, 2, v1
	ds_write_b32 v1, v16
.LBB227_111:
	s_or_b64 exec, exec, s[0:1]
	v_cmp_gt_u32_e64 s[0:1], 64, v0
	s_and_b64 s[0:1], s[0:1], vcc
	s_waitcnt lgkmcnt(0)
	s_barrier
	s_and_saveexec_b64 s[2:3], s[0:1]
	s_cbranch_execz .LBB227_113
; %bb.112:
	v_mov_b32_e32 v0, 0x50
	v_lshl_add_u32 v0, v9, 2, v0
	ds_read_b32 v0, v0
	s_waitcnt lgkmcnt(0)
	v_add_f32_e32 v16, v16, v0
.LBB227_113:
	s_or_b64 exec, exec, s[2:3]
	s_barrier
	s_and_saveexec_b64 s[2:3], s[0:1]
	s_cbranch_execz .LBB227_115
; %bb.114:
	s_mul_i32 s0, s16, s19
	s_mul_i32 s0, s0, s5
	s_lshl_b32 s0, s0, 5
	s_ashr_i32 s1, s0, 31
	s_lshl_b64 s[0:1], s[0:1], 1
	s_add_u32 s2, s20, s0
	s_mul_i32 s0, s19, s18
	s_addc_u32 s3, s21, s1
	s_ashr_i32 s1, s0, 31
	s_lshl_b64 s[0:1], s[0:1], 1
	s_add_u32 s2, s2, s0
	s_addc_u32 s3, s3, s1
	s_lshl_b32 s0, s4, 5
	s_ashr_i32 s1, s0, 31
	s_lshl_b64 s[0:1], s[0:1], 1
	s_add_u32 s0, s2, s0
	s_addc_u32 s1, s3, s1
	v_lshlrev_b32_e32 v0, 1, v9
	;;#ASMSTART
	v_cvt_f16_f32 v1, v16;

	;;#ASMEND
	global_store_short v0, v1, s[0:1]
.LBB227_115:
	s_endpgm
	.section	.rodata,"a",@progbits
	.p2align	6, 0x0
	.amdhsa_kernel _ZN4vllm25paged_attention_v1_kernelIthLi32ELi8ELi128ELNS_18Fp8KVCacheDataTypeE1ELb0EEEvPT_PKS2_PKT0_S8_ifPKiSA_iPKfiiiSC_SC_iiiii
		.amdhsa_group_segment_fixed_size 80
		.amdhsa_private_segment_fixed_size 0
		.amdhsa_kernarg_size 384
		.amdhsa_user_sgpr_count 2
		.amdhsa_user_sgpr_dispatch_ptr 0
		.amdhsa_user_sgpr_queue_ptr 0
		.amdhsa_user_sgpr_kernarg_segment_ptr 1
		.amdhsa_user_sgpr_dispatch_id 0
		.amdhsa_user_sgpr_kernarg_preload_length 0
		.amdhsa_user_sgpr_kernarg_preload_offset 0
		.amdhsa_user_sgpr_private_segment_size 0
		.amdhsa_uses_dynamic_stack 0
		.amdhsa_enable_private_segment 0
		.amdhsa_system_sgpr_workgroup_id_x 1
		.amdhsa_system_sgpr_workgroup_id_y 1
		.amdhsa_system_sgpr_workgroup_id_z 1
		.amdhsa_system_sgpr_workgroup_info 0
		.amdhsa_system_vgpr_workitem_id 0
		.amdhsa_next_free_vgpr 34
		.amdhsa_next_free_sgpr 38
		.amdhsa_accum_offset 36
		.amdhsa_reserve_vcc 1
		.amdhsa_float_round_mode_32 0
		.amdhsa_float_round_mode_16_64 0
		.amdhsa_float_denorm_mode_32 3
		.amdhsa_float_denorm_mode_16_64 3
		.amdhsa_dx10_clamp 1
		.amdhsa_ieee_mode 1
		.amdhsa_fp16_overflow 0
		.amdhsa_tg_split 0
		.amdhsa_exception_fp_ieee_invalid_op 0
		.amdhsa_exception_fp_denorm_src 0
		.amdhsa_exception_fp_ieee_div_zero 0
		.amdhsa_exception_fp_ieee_overflow 0
		.amdhsa_exception_fp_ieee_underflow 0
		.amdhsa_exception_fp_ieee_inexact 0
		.amdhsa_exception_int_div_zero 0
	.end_amdhsa_kernel
	.section	.text._ZN4vllm25paged_attention_v1_kernelIthLi32ELi8ELi128ELNS_18Fp8KVCacheDataTypeE1ELb0EEEvPT_PKS2_PKT0_S8_ifPKiSA_iPKfiiiSC_SC_iiiii,"axG",@progbits,_ZN4vllm25paged_attention_v1_kernelIthLi32ELi8ELi128ELNS_18Fp8KVCacheDataTypeE1ELb0EEEvPT_PKS2_PKT0_S8_ifPKiSA_iPKfiiiSC_SC_iiiii,comdat
.Lfunc_end227:
	.size	_ZN4vllm25paged_attention_v1_kernelIthLi32ELi8ELi128ELNS_18Fp8KVCacheDataTypeE1ELb0EEEvPT_PKS2_PKT0_S8_ifPKiSA_iPKfiiiSC_SC_iiiii, .Lfunc_end227-_ZN4vllm25paged_attention_v1_kernelIthLi32ELi8ELi128ELNS_18Fp8KVCacheDataTypeE1ELb0EEEvPT_PKS2_PKT0_S8_ifPKiSA_iPKfiiiSC_SC_iiiii
                                        ; -- End function
	.section	.AMDGPU.csdata,"",@progbits
; Kernel info:
; codeLenInByte = 5812
; NumSgprs: 44
; NumVgprs: 34
; NumAgprs: 0
; TotalNumVgprs: 34
; ScratchSize: 0
; MemoryBound: 0
; FloatMode: 240
; IeeeMode: 1
; LDSByteSize: 80 bytes/workgroup (compile time only)
; SGPRBlocks: 5
; VGPRBlocks: 4
; NumSGPRsForWavesPerEU: 44
; NumVGPRsForWavesPerEU: 34
; AccumOffset: 36
; Occupancy: 8
; WaveLimiterHint : 1
; COMPUTE_PGM_RSRC2:SCRATCH_EN: 0
; COMPUTE_PGM_RSRC2:USER_SGPR: 2
; COMPUTE_PGM_RSRC2:TRAP_HANDLER: 0
; COMPUTE_PGM_RSRC2:TGID_X_EN: 1
; COMPUTE_PGM_RSRC2:TGID_Y_EN: 1
; COMPUTE_PGM_RSRC2:TGID_Z_EN: 1
; COMPUTE_PGM_RSRC2:TIDIG_COMP_CNT: 0
; COMPUTE_PGM_RSRC3_GFX90A:ACCUM_OFFSET: 8
; COMPUTE_PGM_RSRC3_GFX90A:TG_SPLIT: 0
	.section	.text._ZN4vllm25paged_attention_v1_kernelIthLi64ELi8ELi128ELNS_18Fp8KVCacheDataTypeE1ELb0EEEvPT_PKS2_PKT0_S8_ifPKiSA_iPKfiiiSC_SC_iiiii,"axG",@progbits,_ZN4vllm25paged_attention_v1_kernelIthLi64ELi8ELi128ELNS_18Fp8KVCacheDataTypeE1ELb0EEEvPT_PKS2_PKT0_S8_ifPKiSA_iPKfiiiSC_SC_iiiii,comdat
	.protected	_ZN4vllm25paged_attention_v1_kernelIthLi64ELi8ELi128ELNS_18Fp8KVCacheDataTypeE1ELb0EEEvPT_PKS2_PKT0_S8_ifPKiSA_iPKfiiiSC_SC_iiiii ; -- Begin function _ZN4vllm25paged_attention_v1_kernelIthLi64ELi8ELi128ELNS_18Fp8KVCacheDataTypeE1ELb0EEEvPT_PKS2_PKT0_S8_ifPKiSA_iPKfiiiSC_SC_iiiii
	.globl	_ZN4vllm25paged_attention_v1_kernelIthLi64ELi8ELi128ELNS_18Fp8KVCacheDataTypeE1ELb0EEEvPT_PKS2_PKT0_S8_ifPKiSA_iPKfiiiSC_SC_iiiii
	.p2align	8
	.type	_ZN4vllm25paged_attention_v1_kernelIthLi64ELi8ELi128ELNS_18Fp8KVCacheDataTypeE1ELb0EEEvPT_PKS2_PKT0_S8_ifPKiSA_iPKfiiiSC_SC_iiiii,@function
_ZN4vllm25paged_attention_v1_kernelIthLi64ELi8ELi128ELNS_18Fp8KVCacheDataTypeE1ELb0EEEvPT_PKS2_PKT0_S8_ifPKiSA_iPKfiiiSC_SC_iiiii: ; @_ZN4vllm25paged_attention_v1_kernelIthLi64ELi8ELi128ELNS_18Fp8KVCacheDataTypeE1ELb0EEEvPT_PKS2_PKT0_S8_ifPKiSA_iPKfiiiSC_SC_iiiii
; %bb.0:
	s_load_dword s5, s[0:1], 0x80
	s_load_dwordx2 s[6:7], s[0:1], 0x30
	s_load_dwordx2 s[10:11], s[0:1], 0x20
	s_mov_b32 s20, s3
	s_ashr_i32 s21, s3, 31
	s_lshl_b64 s[8:9], s[20:21], 2
	s_waitcnt lgkmcnt(0)
	s_add_u32 s6, s6, s8
	s_addc_u32 s7, s7, s9
	s_abs_i32 s3, s10
	v_cvt_f32_u32_e32 v1, s3
	s_xor_b32 s8, s5, s10
	s_sub_i32 s10, 0, s3
	s_abs_i32 s9, s5
	v_rcp_iflag_f32_e32 v1, v1
	s_ashr_i32 s8, s8, 31
	v_mul_f32_e32 v1, 0x4f7ffffe, v1
	v_cvt_u32_f32_e32 v1, v1
	s_nop 0
	v_readfirstlane_b32 s12, v1
	s_mul_i32 s10, s10, s12
	s_mul_hi_u32 s10, s12, s10
	s_add_i32 s12, s12, s10
	s_mul_hi_u32 s10, s9, s12
	s_mul_i32 s12, s10, s3
	s_sub_i32 s9, s9, s12
	s_add_i32 s12, s10, 1
	s_sub_i32 s13, s9, s3
	s_cmp_ge_u32 s9, s3
	s_cselect_b32 s10, s12, s10
	s_cselect_b32 s9, s13, s9
	s_add_i32 s12, s10, 1
	s_cmp_ge_u32 s9, s3
	s_cselect_b32 s3, s12, s10
	s_xor_b32 s3, s3, s8
	s_sub_i32 s15, s3, s8
	s_abs_i32 s12, s15
	v_cvt_f32_u32_e32 v1, s12
	s_load_dwordx2 s[8:9], s[0:1], 0x40
	s_sub_i32 s3, 0, s12
	s_abs_i32 s13, s2
	v_rcp_iflag_f32_e32 v1, v1
	s_mov_b32 s10, 0
	v_mul_f32_e32 v1, 0x4f7ffffe, v1
	v_cvt_u32_f32_e32 v1, v1
	s_nop 0
	v_readfirstlane_b32 s14, v1
	s_mul_i32 s3, s3, s14
	s_mul_hi_u32 s3, s14, s3
	s_add_i32 s14, s14, s3
	s_waitcnt lgkmcnt(0)
	s_cmp_eq_u64 s[8:9], 0
	s_mul_hi_u32 s14, s13, s14
	s_cbranch_scc1 .LBB228_2
; %bb.1:
	s_ashr_i32 s3, s2, 31
	s_lshl_b64 s[16:17], s[2:3], 2
	s_add_u32 s8, s8, s16
	s_addc_u32 s9, s9, s17
	s_load_dword s10, s[8:9], 0x0
.LBB228_2:
	s_load_dword s21, s[6:7], 0x0
	s_load_dwordx4 s[16:19], s[0:1], 0x48
	s_ashr_i32 s8, s2, 31
	s_ashr_i32 s9, s15, 31
	v_and_b32_e32 v2, 7, v0
	s_lshl_b32 s22, s2, 6
	v_cmp_gt_u32_e64 s[6:7], 64, v0
	s_and_saveexec_b64 s[2:3], s[6:7]
	s_cbranch_execz .LBB228_4
; %bb.3:
	s_load_dwordx2 s[24:25], s[0:1], 0x8
	s_waitcnt lgkmcnt(0)
	s_mul_i32 s26, s20, s16
	s_ashr_i32 s27, s26, 31
	s_lshl_b64 s[26:27], s[26:27], 1
	v_lshlrev_b32_e32 v1, 1, v0
	s_add_u32 s15, s24, s26
	s_addc_u32 s16, s25, s27
	s_ashr_i32 s23, s22, 31
	s_lshl_b64 s[24:25], s[22:23], 1
	s_add_u32 s24, s15, s24
	s_addc_u32 s25, s16, s25
	global_load_ushort v1, v1, s[24:25]
	v_lshrrev_b32_e32 v3, 2, v0
	v_and_b32_e32 v3, 0xfe, v3
	v_lshl_add_u32 v3, v2, 4, v3
	s_waitcnt vmcnt(0)
	ds_write_b16 v3, v1
.LBB228_4:
	s_or_b64 exec, exec, s[2:3]
	s_waitcnt lgkmcnt(0)
	s_add_i32 s3, s21, 7
	s_ashr_i32 s15, s3, 31
	s_lshr_b32 s15, s15, 29
	s_add_i32 s3, s3, s15
	s_ashr_i32 s23, s3, 3
	s_xor_b32 s3, s8, s9
	s_mul_i32 s8, s14, s12
	s_sub_i32 s8, s13, s8
	s_add_i32 s9, s14, 1
	s_sub_i32 s13, s8, s12
	s_load_dwordx2 s[26:27], s[0:1], 0x28
	s_load_dword s2, s[0:1], 0x38
	s_cmp_ge_u32 s8, s12
	s_cselect_b32 s9, s9, s14
	s_cselect_b32 s8, s13, s8
	s_add_i32 s13, s9, 1
	s_cmp_ge_u32 s8, s12
	s_cselect_b32 s8, s13, s9
	v_lshrrev_b32_e32 v1, 6, v0
	s_xor_b32 s8, s8, s3
	s_waitcnt lgkmcnt(0)
	s_mul_i32 s28, s20, s2
	s_sub_i32 s33, s8, s3
	s_ashr_i32 s29, s28, 31
	v_cmp_gt_i32_e64 s[2:3], s23, v1
	v_cmp_le_i32_e32 vcc, s23, v1
	v_mbcnt_lo_u32_b32 v15, -1, 0
	s_barrier
	s_waitcnt lgkmcnt(0)
                                        ; implicit-def: $sgpr19
                                        ; implicit-def: $vgpr10
                                        ; implicit-def: $vgpr11
	s_and_saveexec_b64 s[8:9], vcc
	s_xor_b64 s[8:9], exec, s[8:9]
; %bb.5:
	v_mbcnt_hi_u32_b32 v10, -1, v15
	v_and_b32_e32 v2, 64, v10
	v_add_u32_e32 v11, 64, v2
	s_mov_b32 s19, 0xff7fffff
                                        ; implicit-def: $vgpr2
                                        ; implicit-def: $vgpr15
; %bb.6:
	s_or_saveexec_b64 s[34:35], s[8:9]
	s_load_dwordx2 s[24:25], s[0:1], 0x0
	s_load_dwordx2 s[30:31], s[0:1], 0x18
	s_load_dword s16, s[0:1], 0x88
	s_load_dwordx4 s[12:15], s[0:1], 0x58
	v_mov_b32_e32 v9, s19
	s_mul_i32 s33, s33, s18
	v_lshrrev_b32_e32 v8, 4, v0
	s_xor_b64 exec, exec, s[34:35]
	s_cbranch_execz .LBB228_12
; %bb.7:
	s_load_dwordx2 s[0:1], s[0:1], 0x10
	s_ashr_i32 s8, s33, 31
	v_bfe_u32 v6, v0, 3, 3
	v_lshlrev_b32_e32 v4, 4, v6
	v_lshl_or_b32 v13, v1, 3, v6
	s_waitcnt lgkmcnt(0)
	s_add_u32 s0, s0, s33
	s_addc_u32 s1, s1, s8
	s_sub_i32 s39, 1, s21
	v_lshlrev_b32_e32 v6, 2, v6
	s_lshl_b64 s[8:9], s[28:29], 2
	v_mov_b32_e32 v3, 0
	v_lshl_or_b32 v6, v1, 5, v6
	s_add_u32 s8, s26, s8
	v_mbcnt_hi_u32_b32 v10, -1, v15
	v_mov_b32_e32 v5, v3
	v_add_u32_e32 v14, 0x90, v6
	v_and_b32_e32 v6, 60, v8
	v_mov_b32_e32 v7, v3
	s_addc_u32 s9, s27, s9
	v_and_b32_e32 v11, 64, v10
	s_mov_b32 s38, s17
	v_lshl_add_u64 v[4:5], s[0:1], 0, v[4:5]
	v_lshlrev_b32_e32 v12, 4, v2
	v_cmp_eq_u32_e32 vcc, 0, v2
	v_cmp_neq_f32_e64 s[0:1], s10, 0
	v_lshl_add_u64 v[6:7], s[8:9], 0, v[6:7]
	s_mov_b64 s[18:19], 0
	v_mov_b32_e32 v9, 0xff7fffff
	v_add_u32_e32 v11, 64, v11
	v_xor_b32_e32 v15, 4, v10
	v_xor_b32_e32 v16, 2, v10
	;; [unrolled: 1-line block ×3, first 2 shown]
	v_mov_b32_e32 v18, v1
	s_branch .LBB228_9
.LBB228_8:                              ;   in Loop: Header=BB228_9 Depth=1
	s_or_b64 exec, exec, s[36:37]
	v_add_u32_e32 v18, 2, v18
	v_cmp_le_i32_e64 s[8:9], s23, v18
	v_add_u32_e32 v13, 16, v13
	v_add_u32_e32 v14, 64, v14
	s_or_b64 s[18:19], s[8:9], s[18:19]
	v_lshl_add_u64 v[6:7], v[6:7], 0, 8
	s_andn2_b64 exec, exec, s[18:19]
	s_cbranch_execz .LBB228_11
.LBB228_9:                              ; =>This Inner Loop Header: Depth=1
	global_load_dword v19, v[6:7], off
	s_waitcnt vmcnt(0) lgkmcnt(0)
	v_mad_i64_i32 v[20:21], s[8:9], v19, s38, v[4:5]
	v_lshl_add_u64 v[20:21], v[20:21], 0, v[2:3]
	global_load_ubyte v19, v[20:21], off
	global_load_ubyte v22, v[20:21], off offset:8
	global_load_dword v23, v3, s[12:13]
	global_load_ubyte v24, v[20:21], off offset:128
	global_load_ubyte v25, v[20:21], off offset:136
	;; [unrolled: 1-line block ×6, first 2 shown]
	ds_read_u16 v20, v12
	s_waitcnt lgkmcnt(0)
	;;#ASMSTART
	v_cvt_f32_f16 v20, v20;
	;;#ASMEND
	v_cmp_lt_i32_e64 s[8:9], v15, v11
	s_waitcnt vmcnt(8)
	v_cvt_f32_fp8_sdwa v19, v19 src0_sel:BYTE_0
	s_waitcnt vmcnt(7)
	v_cvt_f32_fp8_sdwa v22, v22 src0_sel:BYTE_0
	v_cndmask_b32_e64 v21, v10, v15, s[8:9]
	s_waitcnt vmcnt(5)
	v_cvt_f32_fp8_sdwa v24, v24 src0_sel:BYTE_0
	v_fma_mixlo_f16 v19, v23, v19, 0
	v_and_b32_e32 v19, 0xffff, v19
	v_fma_mixlo_f16 v22, v23, v22, 0
	s_waitcnt vmcnt(4)
	v_cvt_f32_fp8_sdwa v25, v25 src0_sel:BYTE_0
	;;#ASMSTART
	v_cvt_f32_f16 v19, v19;
	;;#ASMEND
	ds_read_u16 v30, v12 offset:2
	v_and_b32_e32 v22, 0xffff, v22
	s_waitcnt vmcnt(3)
	v_cvt_f32_fp8_sdwa v26, v26 src0_sel:BYTE_0
	s_waitcnt lgkmcnt(0)
	;;#ASMSTART
	v_cvt_f32_f16 v30, v30;
	;;#ASMEND
	;;#ASMSTART
	v_cvt_f32_f16 v22, v22;
	;;#ASMEND
	s_waitcnt vmcnt(2)
	v_cvt_f32_fp8_sdwa v27, v27 src0_sel:BYTE_0
	v_fma_mixlo_f16 v24, v23, v24, 0
	v_mul_f32_e32 v22, v30, v22
	ds_read_u16 v31, v12 offset:4
	v_and_b32_e32 v24, 0xffff, v24
	s_waitcnt vmcnt(1)
	v_cvt_f32_fp8_sdwa v28, v28 src0_sel:BYTE_0
	v_fma_mixlo_f16 v25, v23, v25, 0
	s_waitcnt vmcnt(0)
	v_cvt_f32_fp8_sdwa v29, v29 src0_sel:BYTE_0
	v_fmac_f32_e32 v22, v20, v19
	s_waitcnt lgkmcnt(0)
	;;#ASMSTART
	v_cvt_f32_f16 v31, v31;
	;;#ASMEND
	;;#ASMSTART
	v_cvt_f32_f16 v24, v24;
	;;#ASMEND
	ds_read_u16 v32, v12 offset:6
	v_and_b32_e32 v25, 0xffff, v25
	v_fma_mixlo_f16 v26, v23, v26, 0
	v_fmac_f32_e32 v22, v31, v24
	s_waitcnt lgkmcnt(0)
	;;#ASMSTART
	v_cvt_f32_f16 v32, v32;
	;;#ASMEND
	;;#ASMSTART
	v_cvt_f32_f16 v25, v25;
	;;#ASMEND
	ds_read_u16 v33, v12 offset:8
	v_fma_mixlo_f16 v27, v23, v27, 0
	v_and_b32_e32 v26, 0xffff, v26
	v_fmac_f32_e32 v22, v32, v25
	s_waitcnt lgkmcnt(0)
	;;#ASMSTART
	v_cvt_f32_f16 v33, v33;
	;;#ASMEND
	;;#ASMSTART
	v_cvt_f32_f16 v26, v26;
	;;#ASMEND
	v_and_b32_e32 v27, 0xffff, v27
	v_fmac_f32_e32 v22, v33, v26
	ds_read_u16 v34, v12 offset:10
	v_fma_mixlo_f16 v28, v23, v28, 0
	v_fma_mixlo_f16 v23, v23, v29, 0
	s_waitcnt lgkmcnt(0)
	;;#ASMSTART
	v_cvt_f32_f16 v29, v34;
	;;#ASMEND
	;;#ASMSTART
	v_cvt_f32_f16 v27, v27;
	;;#ASMEND
	v_and_b32_e32 v28, 0xffff, v28
	v_fmac_f32_e32 v22, v29, v27
	ds_read_u16 v34, v12 offset:12
	s_waitcnt lgkmcnt(0)
	;;#ASMSTART
	v_cvt_f32_f16 v19, v34;
	;;#ASMEND
	;;#ASMSTART
	v_cvt_f32_f16 v20, v28;
	;;#ASMEND
	v_lshlrev_b32_e32 v21, 2, v21
	v_fmac_f32_e32 v22, v19, v20
	v_and_b32_e32 v23, 0xffff, v23
	ds_read_u16 v24, v12 offset:14
	s_waitcnt lgkmcnt(0)
	;;#ASMSTART
	v_cvt_f32_f16 v19, v24;
	;;#ASMEND
	;;#ASMSTART
	v_cvt_f32_f16 v20, v23;
	;;#ASMEND
	v_cmp_lt_i32_e64 s[8:9], v16, v11
	v_fmac_f32_e32 v22, v19, v20
	ds_bpermute_b32 v19, v21, v22
	v_cndmask_b32_e64 v20, v10, v16, s[8:9]
	v_lshlrev_b32_e32 v20, 2, v20
	v_cmp_lt_i32_e64 s[8:9], v17, v11
	s_waitcnt lgkmcnt(0)
	v_add_f32_e32 v19, v22, v19
	ds_bpermute_b32 v20, v20, v19
	v_cndmask_b32_e64 v21, v10, v17, s[8:9]
	s_waitcnt lgkmcnt(0)
	v_add_f32_e32 v19, v19, v20
	v_lshlrev_b32_e32 v20, 2, v21
	ds_bpermute_b32 v20, v20, v19
	s_and_saveexec_b64 s[36:37], vcc
	s_cbranch_execz .LBB228_8
; %bb.10:                               ;   in Loop: Header=BB228_9 Depth=1
	v_add_u32_e32 v21, s39, v13
	v_cvt_f32_i32_e32 v21, v21
	s_waitcnt lgkmcnt(0)
	v_add_f32_e32 v19, v19, v20
	v_cmp_gt_i32_e64 s[8:9], s21, v13
	v_max_f32_e32 v20, v9, v9
	v_mul_f32_e32 v21, s10, v21
	v_cndmask_b32_e64 v21, 0, v21, s[0:1]
	v_fmac_f32_e32 v21, s11, v19
	v_cndmask_b32_e64 v19, 0, v21, s[8:9]
	ds_write_b32 v14, v19
	v_max_f32_e32 v19, v20, v21
	v_cndmask_b32_e64 v9, v9, v19, s[8:9]
	s_branch .LBB228_8
.LBB228_11:
	s_or_b64 exec, exec, s[18:19]
.LBB228_12:
	s_or_b64 exec, exec, s[34:35]
	v_xor_b32_e32 v2, 32, v10
	v_cmp_lt_i32_e32 vcc, v2, v11
	v_xor_b32_e32 v5, 16, v10
	v_max_f32_e32 v4, v9, v9
	v_cndmask_b32_e32 v2, v10, v2, vcc
	v_lshlrev_b32_e32 v3, 2, v2
	ds_bpermute_b32 v2, v3, v9
	v_cmp_lt_i32_e32 vcc, v5, v11
	v_xor_b32_e32 v6, 8, v10
	v_and_b32_e32 v9, 63, v0
	s_waitcnt lgkmcnt(0)
	v_max_f32_e32 v2, v2, v2
	v_max_f32_e32 v2, v4, v2
	v_cndmask_b32_e32 v4, v10, v5, vcc
	v_lshlrev_b32_e32 v5, 2, v4
	ds_bpermute_b32 v4, v5, v2
	v_cmp_lt_i32_e32 vcc, v6, v11
	s_waitcnt lgkmcnt(0)
	v_max_f32_e32 v4, v4, v4
	v_max_f32_e32 v4, v2, v4
	v_cndmask_b32_e32 v2, v10, v6, vcc
	v_lshlrev_b32_e32 v7, 2, v2
	ds_bpermute_b32 v6, v7, v4
	v_cmp_eq_u32_e32 vcc, 0, v9
	v_lshlrev_b32_e32 v2, 2, v1
	s_and_saveexec_b64 s[0:1], vcc
	s_cbranch_execz .LBB228_14
; %bb.13:
	s_waitcnt lgkmcnt(0)
	v_max_f32_e32 v6, v6, v6
	v_max_f32_e32 v4, v4, v4
	;; [unrolled: 1-line block ×3, first 2 shown]
	ds_write_b32 v2, v4 offset:128
.LBB228_14:
	s_or_b64 exec, exec, s[0:1]
	v_cmp_gt_u32_e64 s[0:1], 2, v9
	v_mov_b32_e32 v12, 0xff7fffff
	v_lshlrev_b32_e32 v4, 2, v9
	s_waitcnt lgkmcnt(0)
	s_barrier
	s_and_saveexec_b64 s[8:9], s[0:1]
	s_cbranch_execz .LBB228_16
; %bb.15:
	ds_read_b32 v12, v4 offset:128
.LBB228_16:
	s_or_b64 exec, exec, s[8:9]
	v_xor_b32_e32 v6, 1, v10
	v_cmp_lt_i32_e64 s[8:9], v6, v11
	v_lshlrev_b32_e32 v14, 2, v10
	s_nop 0
	v_cndmask_b32_e64 v6, v10, v6, s[8:9]
	v_lshlrev_b32_e32 v6, 2, v6
	s_waitcnt lgkmcnt(0)
	ds_bpermute_b32 v13, v6, v12
	v_max_f32_e32 v12, v12, v12
	s_lshl_b32 s8, s23, 3
	s_min_i32 s34, s8, s21
	v_cmp_gt_i32_e64 s[8:9], s34, v0
	s_waitcnt lgkmcnt(0)
	v_max_f32_e32 v13, v13, v13
	v_max_f32_e32 v13, v12, v13
	v_and_b32_e32 v12, 0xffffff00, v14
	ds_bpermute_b32 v14, v12, v13
	v_mov_b32_e32 v13, 0
	s_and_saveexec_b64 s[12:13], s[8:9]
	s_cbranch_execz .LBB228_20
; %bb.17:
	v_mov_b32_e32 v13, 0x90
	v_lshl_add_u32 v15, v0, 2, v13
	s_mov_b64 s[18:19], 0
	v_mov_b32_e32 v13, 0
	v_mov_b32_e32 v16, v0
.LBB228_18:                             ; =>This Inner Loop Header: Depth=1
	ds_read_b32 v17, v15
	v_add_u32_e32 v16, 0x80, v16
	v_cmp_le_i32_e64 s[10:11], s34, v16
	s_or_b64 s[18:19], s[10:11], s[18:19]
	s_waitcnt lgkmcnt(0)
	v_sub_f32_e32 v17, v17, v14
	v_mul_f32_e32 v17, 0x3fb8aa3b, v17
	v_exp_f32_e32 v17, v17
	ds_write_b32 v15, v17
	v_add_f32_e32 v13, v13, v17
	v_add_u32_e32 v15, 0x200, v15
	s_andn2_b64 exec, exec, s[18:19]
	s_cbranch_execnz .LBB228_18
; %bb.19:
	s_or_b64 exec, exec, s[18:19]
.LBB228_20:
	s_or_b64 exec, exec, s[12:13]
	ds_bpermute_b32 v3, v3, v13
	s_waitcnt lgkmcnt(0)
	v_add_f32_e32 v3, v13, v3
	ds_bpermute_b32 v5, v5, v3
	s_waitcnt lgkmcnt(0)
	v_add_f32_e32 v3, v3, v5
	ds_bpermute_b32 v5, v7, v3
	v_xor_b32_e32 v7, 4, v10
	v_cmp_lt_i32_e64 s[10:11], v7, v11
	s_waitcnt lgkmcnt(0)
	v_add_f32_e32 v3, v3, v5
	v_cndmask_b32_e64 v7, v10, v7, s[10:11]
	v_lshlrev_b32_e32 v7, 2, v7
	ds_bpermute_b32 v5, v7, v3
	v_xor_b32_e32 v7, 2, v10
	v_cmp_lt_i32_e64 s[10:11], v7, v11
	s_waitcnt lgkmcnt(0)
	v_add_f32_e32 v3, v3, v5
	v_cndmask_b32_e64 v7, v10, v7, s[10:11]
	v_lshlrev_b32_e32 v5, 2, v7
	ds_bpermute_b32 v5, v5, v3
	s_waitcnt lgkmcnt(0)
	v_add_f32_e32 v3, v3, v5
	ds_bpermute_b32 v5, v6, v3
	s_waitcnt lgkmcnt(0)
	v_add_f32_e32 v3, v3, v5
	s_and_saveexec_b64 s[10:11], vcc
	s_cbranch_execz .LBB228_22
; %bb.21:
	ds_write_b32 v2, v3 offset:136
.LBB228_22:
	s_or_b64 exec, exec, s[10:11]
	s_waitcnt lgkmcnt(0)
	s_barrier
	s_and_saveexec_b64 s[10:11], s[0:1]
	s_cbranch_execz .LBB228_24
; %bb.23:
	ds_read_b32 v3, v4 offset:136
.LBB228_24:
	s_or_b64 exec, exec, s[10:11]
	s_waitcnt lgkmcnt(0)
	ds_bpermute_b32 v2, v6, v3
	s_waitcnt lgkmcnt(0)
	v_add_f32_e32 v2, v3, v2
	ds_bpermute_b32 v2, v12, v2
	s_and_saveexec_b64 s[0:1], s[8:9]
	s_cbranch_execz .LBB228_37
; %bb.25:
	s_waitcnt lgkmcnt(0)
	v_add_f32_e32 v2, 0x358637bd, v2
	v_div_scale_f32 v3, s[8:9], v2, v2, 1.0
	v_rcp_f32_e32 v4, v3
	v_div_scale_f32 v5, vcc, 1.0, v2, 1.0
	s_movk_i32 s8, 0x7f
	v_fma_f32 v6, -v3, v4, 1.0
	v_fmac_f32_e32 v4, v6, v4
	v_mul_f32_e32 v6, v5, v4
	v_fma_f32 v7, -v3, v6, v5
	v_fmac_f32_e32 v6, v7, v4
	v_fma_f32 v3, -v3, v6, v5
	v_div_fmas_f32 v3, v3, v4, v6
	v_xad_u32 v4, v0, -1, s34
	v_div_fixup_f32 v2, v3, v2, 1.0
	v_cmp_lt_u32_e32 vcc, s8, v4
	s_mov_b64 s[10:11], -1
	v_mov_b32_e32 v3, v0
	s_and_saveexec_b64 s[8:9], vcc
	s_cbranch_execz .LBB228_34
; %bb.26:
	v_lshrrev_b32_e32 v4, 7, v4
	v_add_u32_e32 v6, -1, v4
	v_lshrrev_b32_e32 v5, 1, v6
	v_mov_b32_e32 v3, v2
	v_add_u32_e32 v5, 1, v5
	v_cmp_lt_u32_e32 vcc, 13, v6
	v_mov_b32_e32 v10, 0
	s_and_saveexec_b64 s[10:11], vcc
	s_cbranch_execz .LBB228_30
; %bb.27:
	v_mov_b32_e32 v7, 0x90
	v_and_b32_e32 v6, -8, v5
	v_lshl_add_u32 v7, v0, 2, v7
	s_mov_b32 s18, 0
	s_mov_b64 s[12:13], 0
.LBB228_28:                             ; =>This Inner Loop Header: Depth=1
	ds_read2st64_b32 v[10:11], v7 offset1:2
	ds_read2st64_b32 v[12:13], v7 offset0:4 offset1:6
	ds_read2st64_b32 v[14:15], v7 offset0:8 offset1:10
	;; [unrolled: 1-line block ×3, first 2 shown]
	v_add_u32_e32 v6, -8, v6
	s_waitcnt lgkmcnt(3)
	v_pk_mul_f32 v[10:11], v[2:3], v[10:11]
	s_waitcnt lgkmcnt(2)
	v_pk_mul_f32 v[12:13], v[2:3], v[12:13]
	ds_write2st64_b32 v7, v10, v11 offset1:2
	ds_write2st64_b32 v7, v12, v13 offset0:4 offset1:6
	ds_read2st64_b32 v[12:13], v7 offset0:16 offset1:18
	s_waitcnt lgkmcnt(4)
	v_pk_mul_f32 v[10:11], v[2:3], v[14:15]
	ds_write2st64_b32 v7, v10, v11 offset0:8 offset1:10
	s_waitcnt lgkmcnt(4)
	v_pk_mul_f32 v[10:11], v[2:3], v[16:17]
	ds_write2st64_b32 v7, v10, v11 offset0:12 offset1:14
	ds_read2st64_b32 v[10:11], v7 offset0:20 offset1:22
	s_waitcnt lgkmcnt(3)
	v_pk_mul_f32 v[12:13], v[2:3], v[12:13]
	ds_read2st64_b32 v[14:15], v7 offset0:24 offset1:26
	ds_write2st64_b32 v7, v12, v13 offset0:16 offset1:18
	ds_read2st64_b32 v[12:13], v7 offset0:28 offset1:30
	s_waitcnt lgkmcnt(3)
	v_pk_mul_f32 v[10:11], v[2:3], v[10:11]
	ds_write2st64_b32 v7, v10, v11 offset0:20 offset1:22
	s_waitcnt lgkmcnt(3)
	v_pk_mul_f32 v[10:11], v[2:3], v[14:15]
	ds_write2st64_b32 v7, v10, v11 offset0:24 offset1:26
	s_waitcnt lgkmcnt(2)
	v_pk_mul_f32 v[10:11], v[2:3], v[12:13]
	s_add_i32 s18, s18, 16
	v_cmp_eq_u32_e32 vcc, 0, v6
	ds_write2st64_b32 v7, v10, v11 offset0:28 offset1:30
	v_add_u32_e32 v7, 0x2000, v7
	s_or_b64 s[12:13], vcc, s[12:13]
	v_mov_b32_e32 v10, s18
	s_andn2_b64 exec, exec, s[12:13]
	s_cbranch_execnz .LBB228_28
; %bb.29:
	s_or_b64 exec, exec, s[12:13]
.LBB228_30:
	s_or_b64 exec, exec, s[10:11]
	v_and_b32_e32 v5, 7, v5
	v_cmp_ne_u32_e32 vcc, 0, v5
	s_and_saveexec_b64 s[10:11], vcc
	s_cbranch_execz .LBB228_33
; %bb.31:
	v_lshlrev_b32_e32 v6, 9, v10
	v_lshlrev_b32_e32 v7, 2, v0
	s_movk_i32 s12, 0x90
	v_add3_u32 v6, v6, v7, s12
	s_mov_b64 s[12:13], 0
.LBB228_32:                             ; =>This Inner Loop Header: Depth=1
	ds_read2st64_b32 v[10:11], v6 offset1:2
	v_add_u32_e32 v5, -1, v5
	v_cmp_eq_u32_e32 vcc, 0, v5
	s_or_b64 s[12:13], vcc, s[12:13]
	s_waitcnt lgkmcnt(0)
	v_pk_mul_f32 v[10:11], v[2:3], v[10:11]
	ds_write2st64_b32 v6, v10, v11 offset1:2
	v_add_u32_e32 v6, 0x400, v6
	s_andn2_b64 exec, exec, s[12:13]
	s_cbranch_execnz .LBB228_32
.LBB228_33:
	s_or_b64 exec, exec, s[10:11]
	v_add_u32_e32 v4, 1, v4
	v_and_b32_e32 v5, 0x3fffffe, v4
	v_cmp_ne_u32_e32 vcc, v4, v5
	v_lshl_add_u32 v3, v5, 7, v0
	s_orn2_b64 s[10:11], vcc, exec
.LBB228_34:
	s_or_b64 exec, exec, s[8:9]
	s_and_b64 exec, exec, s[10:11]
	s_cbranch_execz .LBB228_37
; %bb.35:
	v_mov_b32_e32 v4, 0x90
	v_lshl_add_u32 v4, v3, 2, v4
	s_mov_b64 s[8:9], 0
.LBB228_36:                             ; =>This Inner Loop Header: Depth=1
	ds_read_b32 v5, v4
	v_add_u32_e32 v3, 0x80, v3
	v_cmp_le_i32_e32 vcc, s34, v3
	s_or_b64 s[8:9], vcc, s[8:9]
	s_waitcnt lgkmcnt(0)
	v_mul_f32_e32 v5, v2, v5
	ds_write_b32 v4, v5
	v_add_u32_e32 v4, 0x200, v4
	s_andn2_b64 exec, exec, s[8:9]
	s_cbranch_execnz .LBB228_36
.LBB228_37:
	s_or_b64 exec, exec, s[0:1]
	v_mov_b32_e32 v16, 0
	s_waitcnt lgkmcnt(0)
	s_barrier
	s_and_saveexec_b64 s[0:1], s[2:3]
	s_cbranch_execz .LBB228_107
; %bb.38:
	s_ashr_i32 s3, s33, 31
	s_add_u32 s2, s30, s33
	s_addc_u32 s3, s31, s3
	v_lshlrev_b32_e32 v2, 3, v9
	v_mov_b32_e32 v3, 0
	v_lshl_add_u64 v[4:5], s[2:3], 0, v[2:3]
	s_add_i32 s18, s23, -1
	s_lshl_b64 s[2:3], s[28:29], 2
	v_mov_b32_e32 v2, 0x90
	s_add_u32 s2, s26, s2
	v_lshl_add_u32 v18, v1, 5, v2
	v_and_b32_e32 v2, 60, v8
	s_addc_u32 s3, s27, s3
	s_mov_b32 s19, s21
	v_lshlrev_b32_e32 v17, 3, v1
	v_lshl_add_u64 v[6:7], s[2:3], 0, v[2:3]
	s_mov_b64 s[2:3], 0
	s_movk_i32 s26, 0x7f
	s_movk_i32 s27, 0x80
	s_mov_b32 s28, 0x8000
	s_movk_i32 s29, 0x380
	s_mov_b32 s30, 0x3020706
	s_mov_b32 s31, 0x1000504
	;; [unrolled: 1-line block ×3, first 2 shown]
	v_mov_b32_e32 v19, 0x1c00
	v_mov_b32_e32 v16, 0
	s_branch .LBB228_40
.LBB228_39:                             ;   in Loop: Header=BB228_40 Depth=1
	s_or_b64 exec, exec, s[8:9]
	v_and_b32_e32 v12, 0xffff, v20
	v_and_b32_e32 v13, 0xffff, v22
	v_lshl_or_b32 v12, v21, 16, v12
	v_lshl_or_b32 v13, v23, 16, v13
	v_and_b32_e32 v14, 0xffff, v24
	v_and_b32_e32 v15, 0xffff, v26
	;;#ASMSTART
	v_pk_mul_f16 v11, v12, v11;

	;;#ASMEND
	;;#ASMSTART
	v_pk_mul_f16 v2, v13, v2;

	;;#ASMEND
	v_lshl_or_b32 v14, v25, 16, v14
	v_lshl_or_b32 v15, v27, 16, v15
	;;#ASMSTART
	v_pk_mul_f16 v10, v14, v10;

	;;#ASMEND
	;;#ASMSTART
	v_pk_mul_f16 v8, v15, v8;

	;;#ASMEND
	;;#ASMSTART
	v_pk_add_f16 v2, v11, v2;

	;;#ASMEND
	v_add_u32_e32 v1, 2, v1
	;;#ASMSTART
	v_pk_add_f16 v2, v2, v10;

	;;#ASMEND
	v_cmp_le_i32_e32 vcc, s23, v1
	;;#ASMSTART
	v_pk_add_f16 v2, v2, v8;

	;;#ASMEND
	v_add_u32_e32 v17, 16, v17
	v_lshrrev_b32_e32 v8, 16, v2
	v_and_b32_e32 v2, 0xffff, v2
	;;#ASMSTART
	v_cvt_f32_f16 v2, v2;
	;;#ASMEND
	;;#ASMSTART
	v_cvt_f32_f16 v8, v8;
	;;#ASMEND
	v_add_u32_e32 v18, 64, v18
	v_add_f32_e32 v2, v2, v8
	v_add_f32_e32 v16, v16, v2
	s_or_b64 s[2:3], vcc, s[2:3]
	v_lshl_add_u64 v[6:7], v[6:7], 0, 8
	s_andn2_b64 exec, exec, s[2:3]
	s_cbranch_execz .LBB228_106
.LBB228_40:                             ; =>This Inner Loop Header: Depth=1
	ds_read2_b64 v[10:13], v18 offset1:1
	ds_read2_b64 v[24:27], v18 offset0:2 offset1:3
                                        ; implicit-def: $sgpr34
	s_waitcnt lgkmcnt(1)
	;;#ASMSTART
	v_cvt_f16_f32 v20, v10;

	;;#ASMEND
	;;#ASMSTART
	v_cvt_f16_f32 v21, v11;

	;;#ASMEND
	;; [unrolled: 4-line block ×4, first 2 shown]
	s_waitcnt lgkmcnt(0)
	;;#ASMSTART
	v_cvt_f16_f32 v24, v24;

	;;#ASMEND
	;;#ASMSTART
	v_cvt_f16_f32 v25, v25;

	;;#ASMEND
	;; [unrolled: 4-line block ×4, first 2 shown]
	global_load_dword v2, v[6:7], off
	s_waitcnt vmcnt(0)
	v_mad_i64_i32 v[12:13], s[8:9], v2, s17, v[4:5]
	global_load_dwordx2 v[10:11], v[12:13], off
	global_load_dword v8, v3, s[14:15]
	s_mov_b64 s[8:9], 0
	s_waitcnt vmcnt(1)
	v_cmp_gt_i16_sdwa s[10:11], v10, s26 src0_sel:BYTE_0 src1_sel:DWORD
	s_and_saveexec_b64 s[12:13], s[10:11]
	s_xor_b64 s[10:11], exec, s[12:13]
	s_cbranch_execnz .LBB228_74
; %bb.41:                               ;   in Loop: Header=BB228_40 Depth=1
	s_or_saveexec_b64 s[10:11], s[10:11]
	v_mov_b32_e32 v12, s34
	s_xor_b64 exec, exec, s[10:11]
	s_cbranch_execnz .LBB228_77
.LBB228_42:                             ;   in Loop: Header=BB228_40 Depth=1
	s_or_b64 exec, exec, s[10:11]
	s_and_saveexec_b64 s[10:11], s[8:9]
	s_cbranch_execz .LBB228_44
.LBB228_43:                             ;   in Loop: Header=BB228_40 Depth=1
	v_and_b32_e32 v2, 7, v10
	v_ffbh_u32_e32 v2, v2
	v_bfe_u32 v12, v10, 3, 4
	v_min_u32_e32 v2, 32, v2
	v_subrev_u32_e32 v13, 28, v2
	v_sub_u32_e32 v2, 29, v2
	v_cmp_eq_u32_e32 vcc, 0, v12
	s_nop 1
	v_cndmask_b32_e32 v2, v12, v2, vcc
	v_cndmask_b32_e32 v12, 0, v13, vcc
	v_lshlrev_b64 v[12:13], v12, v[10:11]
	v_lshlrev_b32_e32 v13, 8, v10
	v_lshl_add_u32 v2, v2, 10, v19
	v_lshlrev_b32_e32 v12, 7, v12
	v_and_or_b32 v2, v13, s28, v2
	v_and_or_b32 v2, v12, s29, v2
	v_cvt_f32_f16_e32 v12, v2
.LBB228_44:                             ;   in Loop: Header=BB228_40 Depth=1
	s_or_b64 exec, exec, s[10:11]
	v_lshrrev_b16_e32 v2, 8, v10
	v_cmp_lt_i16_e32 vcc, s26, v2
	s_mov_b64 s[8:9], 0
                                        ; implicit-def: $sgpr34
	s_and_saveexec_b64 s[10:11], vcc
	s_xor_b64 s[10:11], exec, s[10:11]
	s_cbranch_execnz .LBB228_78
; %bb.45:                               ;   in Loop: Header=BB228_40 Depth=1
	s_or_saveexec_b64 s[10:11], s[10:11]
	v_mov_b32_e32 v14, s34
	s_xor_b64 exec, exec, s[10:11]
	s_cbranch_execnz .LBB228_81
.LBB228_46:                             ;   in Loop: Header=BB228_40 Depth=1
	s_or_b64 exec, exec, s[10:11]
	s_and_saveexec_b64 s[10:11], s[8:9]
	s_cbranch_execz .LBB228_48
.LBB228_47:                             ;   in Loop: Header=BB228_40 Depth=1
	v_and_b32_e32 v13, 7, v2
	v_ffbh_u32_e32 v14, v13
	v_min_u32_e32 v29, 32, v14
	v_subrev_u32_e32 v14, 28, v29
	v_bfe_u32 v28, v2, 3, 4
	v_lshlrev_b64 v[14:15], v14, v[2:3]
	v_sub_u32_e32 v15, 29, v29
	v_cmp_eq_u32_e32 vcc, 0, v28
	v_and_b32_e32 v14, 7, v14
	v_lshlrev_b32_e32 v2, 8, v2
	v_cndmask_b32_e32 v15, v28, v15, vcc
	v_cndmask_b32_e32 v13, v13, v14, vcc
	v_lshl_add_u32 v14, v15, 10, v19
	v_and_or_b32 v2, v2, s28, v14
	v_lshl_or_b32 v2, v13, 7, v2
	v_cvt_f32_f16_e32 v14, v2
.LBB228_48:                             ;   in Loop: Header=BB228_40 Depth=1
	s_or_b64 exec, exec, s[10:11]
	v_lshrrev_b32_e32 v2, 16, v10
	v_cmp_gt_i16_sdwa s[10:11], v2, s26 src0_sel:BYTE_0 src1_sel:DWORD
	s_mov_b64 s[8:9], 0
                                        ; implicit-def: $sgpr34
	s_and_saveexec_b64 s[12:13], s[10:11]
	s_xor_b64 s[10:11], exec, s[12:13]
	s_cbranch_execnz .LBB228_82
; %bb.49:                               ;   in Loop: Header=BB228_40 Depth=1
	s_or_saveexec_b64 s[10:11], s[10:11]
	v_mov_b32_e32 v13, s34
	s_xor_b64 exec, exec, s[10:11]
	s_cbranch_execnz .LBB228_85
.LBB228_50:                             ;   in Loop: Header=BB228_40 Depth=1
	s_or_b64 exec, exec, s[10:11]
	s_and_saveexec_b64 s[10:11], s[8:9]
	s_cbranch_execz .LBB228_52
.LBB228_51:                             ;   in Loop: Header=BB228_40 Depth=1
	v_bfe_u32 v13, v10, 16, 3
	v_ffbh_u32_e32 v28, v13
	v_min_u32_e32 v30, 32, v28
	v_subrev_u32_e32 v28, 28, v30
	v_bfe_u32 v15, v10, 19, 4
	v_lshlrev_b64 v[28:29], v28, v[2:3]
	v_sub_u32_e32 v29, 29, v30
	v_cmp_eq_u32_e32 vcc, 0, v15
	v_and_b32_e32 v28, 7, v28
	v_lshlrev_b32_e32 v2, 8, v2
	v_cndmask_b32_e32 v15, v15, v29, vcc
	v_lshl_add_u32 v15, v15, 10, v19
	v_cndmask_b32_e32 v13, v13, v28, vcc
	v_and_or_b32 v2, v2, s28, v15
	v_lshl_or_b32 v2, v13, 7, v2
	v_cvt_f32_f16_e32 v13, v2
.LBB228_52:                             ;   in Loop: Header=BB228_40 Depth=1
	s_or_b64 exec, exec, s[10:11]
	v_lshrrev_b32_e32 v2, 24, v10
	v_cmp_lt_i16_e32 vcc, s26, v2
	s_mov_b64 s[8:9], 0
                                        ; implicit-def: $sgpr34
	s_and_saveexec_b64 s[10:11], vcc
	s_xor_b64 s[10:11], exec, s[10:11]
	s_cbranch_execnz .LBB228_86
; %bb.53:                               ;   in Loop: Header=BB228_40 Depth=1
	s_or_saveexec_b64 s[10:11], s[10:11]
	v_mov_b32_e32 v15, s34
	s_xor_b64 exec, exec, s[10:11]
	s_cbranch_execnz .LBB228_89
.LBB228_54:                             ;   in Loop: Header=BB228_40 Depth=1
	s_or_b64 exec, exec, s[10:11]
	s_and_saveexec_b64 s[10:11], s[8:9]
	s_cbranch_execz .LBB228_56
.LBB228_55:                             ;   in Loop: Header=BB228_40 Depth=1
	v_bfe_u32 v15, v10, 24, 3
	v_ffbh_u32_e32 v28, v15
	v_min_u32_e32 v30, 32, v28
	v_subrev_u32_e32 v28, 28, v30
	v_bfe_u32 v10, v10, 27, 4
	v_lshlrev_b64 v[28:29], v28, v[2:3]
	v_sub_u32_e32 v29, 29, v30
	v_cmp_eq_u32_e32 vcc, 0, v10
	v_and_b32_e32 v28, 7, v28
	v_lshlrev_b32_e32 v2, 8, v2
	v_cndmask_b32_e32 v10, v10, v29, vcc
	v_lshl_add_u32 v10, v10, 10, v19
	v_cndmask_b32_e32 v15, v15, v28, vcc
	v_and_or_b32 v2, v2, s28, v10
	v_lshl_or_b32 v2, v15, 7, v2
	v_cvt_f32_f16_e32 v15, v2
.LBB228_56:                             ;   in Loop: Header=BB228_40 Depth=1
	s_or_b64 exec, exec, s[10:11]
	v_cmp_gt_i16_sdwa s[10:11], v11, s26 src0_sel:BYTE_0 src1_sel:DWORD
	s_mov_b64 s[8:9], 0
                                        ; implicit-def: $sgpr34
	s_and_saveexec_b64 s[12:13], s[10:11]
	s_xor_b64 s[10:11], exec, s[12:13]
	s_cbranch_execnz .LBB228_90
; %bb.57:                               ;   in Loop: Header=BB228_40 Depth=1
	s_or_saveexec_b64 s[10:11], s[10:11]
	v_mov_b32_e32 v10, s34
	s_xor_b64 exec, exec, s[10:11]
	s_cbranch_execnz .LBB228_93
.LBB228_58:                             ;   in Loop: Header=BB228_40 Depth=1
	s_or_b64 exec, exec, s[10:11]
	v_mov_b32_e32 v2, v11
	s_and_saveexec_b64 s[10:11], s[8:9]
	s_cbranch_execz .LBB228_60
.LBB228_59:                             ;   in Loop: Header=BB228_40 Depth=1
	v_and_b32_e32 v10, 7, v11
	v_ffbh_u32_e32 v10, v10
	v_bfe_u32 v28, v11, 3, 4
	v_min_u32_e32 v10, 32, v10
	v_subrev_u32_e32 v29, 28, v10
	v_sub_u32_e32 v10, 29, v10
	v_cmp_eq_u32_e32 vcc, 0, v28
	s_nop 1
	v_cndmask_b32_e32 v10, v28, v10, vcc
	v_cndmask_b32_e32 v28, 0, v29, vcc
	v_lshlrev_b64 v[28:29], v28, v[2:3]
	v_lshlrev_b32_e32 v29, 8, v11
	v_lshl_add_u32 v10, v10, 10, v19
	v_lshlrev_b32_e32 v28, 7, v28
	v_and_or_b32 v10, v29, s28, v10
	v_and_or_b32 v10, v28, s29, v10
	v_cvt_f32_f16_e32 v10, v10
.LBB228_60:                             ;   in Loop: Header=BB228_40 Depth=1
	s_or_b64 exec, exec, s[10:11]
	v_lshrrev_b16_e32 v2, 8, v2
	v_cmp_lt_i16_e32 vcc, s26, v2
	s_mov_b64 s[8:9], 0
                                        ; implicit-def: $sgpr34
	s_and_saveexec_b64 s[10:11], vcc
	s_xor_b64 s[10:11], exec, s[10:11]
	s_cbranch_execnz .LBB228_94
; %bb.61:                               ;   in Loop: Header=BB228_40 Depth=1
	s_or_saveexec_b64 s[10:11], s[10:11]
	v_mov_b32_e32 v28, s34
	s_xor_b64 exec, exec, s[10:11]
	s_cbranch_execnz .LBB228_97
.LBB228_62:                             ;   in Loop: Header=BB228_40 Depth=1
	s_or_b64 exec, exec, s[10:11]
	s_and_saveexec_b64 s[10:11], s[8:9]
	s_cbranch_execz .LBB228_64
.LBB228_63:                             ;   in Loop: Header=BB228_40 Depth=1
	v_and_b32_e32 v30, 7, v2
	v_ffbh_u32_e32 v28, v30
	v_min_u32_e32 v32, 32, v28
	v_subrev_u32_e32 v28, 28, v32
	v_bfe_u32 v31, v2, 3, 4
	v_lshlrev_b64 v[28:29], v28, v[2:3]
	v_sub_u32_e32 v29, 29, v32
	v_cmp_eq_u32_e32 vcc, 0, v31
	v_and_b32_e32 v28, 7, v28
	v_lshlrev_b32_e32 v2, 8, v2
	v_cndmask_b32_e32 v29, v31, v29, vcc
	v_lshl_add_u32 v29, v29, 10, v19
	v_cndmask_b32_e32 v28, v30, v28, vcc
	v_and_or_b32 v2, v2, s28, v29
	v_lshl_or_b32 v2, v28, 7, v2
	v_cvt_f32_f16_e32 v28, v2
.LBB228_64:                             ;   in Loop: Header=BB228_40 Depth=1
	s_or_b64 exec, exec, s[10:11]
	v_lshrrev_b32_e32 v2, 16, v11
	v_cmp_gt_i16_sdwa s[10:11], v2, s26 src0_sel:BYTE_0 src1_sel:DWORD
	s_mov_b64 s[8:9], 0
                                        ; implicit-def: $sgpr34
	s_and_saveexec_b64 s[12:13], s[10:11]
	s_xor_b64 s[10:11], exec, s[12:13]
	s_cbranch_execnz .LBB228_98
; %bb.65:                               ;   in Loop: Header=BB228_40 Depth=1
	s_or_saveexec_b64 s[10:11], s[10:11]
	v_mov_b32_e32 v29, s34
	s_xor_b64 exec, exec, s[10:11]
	s_cbranch_execnz .LBB228_101
.LBB228_66:                             ;   in Loop: Header=BB228_40 Depth=1
	s_or_b64 exec, exec, s[10:11]
	s_and_saveexec_b64 s[10:11], s[8:9]
	s_cbranch_execz .LBB228_68
.LBB228_67:                             ;   in Loop: Header=BB228_40 Depth=1
	v_bfe_u32 v29, v11, 16, 3
	v_ffbh_u32_e32 v30, v29
	v_min_u32_e32 v33, 32, v30
	v_subrev_u32_e32 v30, 28, v33
	v_bfe_u32 v32, v11, 19, 4
	v_lshlrev_b64 v[30:31], v30, v[2:3]
	v_sub_u32_e32 v31, 29, v33
	v_cmp_eq_u32_e32 vcc, 0, v32
	v_and_b32_e32 v30, 7, v30
	v_lshlrev_b32_e32 v2, 8, v2
	v_cndmask_b32_e32 v31, v32, v31, vcc
	v_cndmask_b32_e32 v29, v29, v30, vcc
	v_lshl_add_u32 v30, v31, 10, v19
	v_and_or_b32 v2, v2, s28, v30
	v_lshl_or_b32 v2, v29, 7, v2
	v_cvt_f32_f16_e32 v29, v2
.LBB228_68:                             ;   in Loop: Header=BB228_40 Depth=1
	s_or_b64 exec, exec, s[10:11]
	v_lshrrev_b32_e32 v2, 24, v11
	v_cmp_lt_i16_e32 vcc, s26, v2
	s_mov_b64 s[8:9], 0
                                        ; implicit-def: $sgpr34
	s_and_saveexec_b64 s[10:11], vcc
	s_xor_b64 s[10:11], exec, s[10:11]
	s_cbranch_execnz .LBB228_102
; %bb.69:                               ;   in Loop: Header=BB228_40 Depth=1
	s_or_saveexec_b64 s[10:11], s[10:11]
	v_mov_b32_e32 v30, s34
	s_xor_b64 exec, exec, s[10:11]
	s_cbranch_execnz .LBB228_105
.LBB228_70:                             ;   in Loop: Header=BB228_40 Depth=1
	s_or_b64 exec, exec, s[10:11]
	s_and_saveexec_b64 s[10:11], s[8:9]
	s_cbranch_execz .LBB228_72
.LBB228_71:                             ;   in Loop: Header=BB228_40 Depth=1
	v_bfe_u32 v32, v11, 24, 3
	v_ffbh_u32_e32 v30, v32
	v_min_u32_e32 v33, 32, v30
	v_subrev_u32_e32 v30, 28, v33
	v_bfe_u32 v11, v11, 27, 4
	v_lshlrev_b64 v[30:31], v30, v[2:3]
	v_sub_u32_e32 v31, 29, v33
	v_cmp_eq_u32_e32 vcc, 0, v11
	v_and_b32_e32 v30, 7, v30
	v_lshlrev_b32_e32 v2, 8, v2
	v_cndmask_b32_e32 v11, v11, v31, vcc
	v_lshl_add_u32 v11, v11, 10, v19
	v_cndmask_b32_e32 v30, v32, v30, vcc
	v_and_or_b32 v2, v2, s28, v11
	v_lshl_or_b32 v2, v30, 7, v2
	v_cvt_f32_f16_e32 v30, v2
.LBB228_72:                             ;   in Loop: Header=BB228_40 Depth=1
	s_or_b64 exec, exec, s[10:11]
	s_waitcnt vmcnt(0)
	v_pk_mul_f32 v[14:15], v[8:9], v[14:15] op_sel_hi:[0,1]
	v_pk_mul_f32 v[12:13], v[8:9], v[12:13] op_sel_hi:[0,1]
	v_cvt_f16_f32_e32 v2, v15
	v_cvt_f16_f32_e32 v11, v14
	;; [unrolled: 1-line block ×4, first 2 shown]
	v_fma_mixlo_f16 v10, v8, v10, 0
	v_pack_b32_f16 v11, v11, v2
	v_cmp_eq_u32_e32 vcc, s18, v1
	v_pack_b32_f16 v12, v12, v13
	v_perm_b32 v2, v12, v11, s30
	v_perm_b32 v11, v12, v11, s31
	v_fma_mixlo_f16 v12, v8, v28, 0
	v_lshlrev_b32_e32 v12, 16, v12
	v_or_b32_sdwa v10, v12, v10 dst_sel:DWORD dst_unused:UNUSED_PAD src0_sel:DWORD src1_sel:WORD_0
	v_fma_mixlo_f16 v12, v8, v29, 0
	v_fma_mixlo_f16 v8, v8, v30, 0
	v_lshlrev_b32_e32 v8, 16, v8
	v_or_b32_sdwa v8, v8, v12 dst_sel:DWORD dst_unused:UNUSED_PAD src0_sel:DWORD src1_sel:WORD_0
	s_and_saveexec_b64 s[8:9], vcc
	s_cbranch_execz .LBB228_39
; %bb.73:                               ;   in Loop: Header=BB228_40 Depth=1
	v_add_u32_e32 v13, 1, v17
	v_lshrrev_b32_e32 v14, 16, v11
	v_cmp_gt_i32_e32 vcc, s19, v13
	v_lshrrev_b32_e32 v15, 16, v2
	v_lshrrev_b32_e32 v8, 16, v8
	v_cndmask_b32_e32 v13, 0, v14, vcc
	v_cmp_gt_i32_e32 vcc, s21, v17
	v_or_b32_e32 v14, 2, v17
	s_nop 0
	v_cndmask_b32_e32 v11, 0, v11, vcc
	v_perm_b32 v11, v13, v11, s33
	v_or_b32_e32 v13, 3, v17
	v_cmp_gt_i32_e32 vcc, s19, v13
	s_nop 1
	v_cndmask_b32_e32 v13, 0, v15, vcc
	v_cmp_gt_i32_e32 vcc, s21, v14
	v_or_b32_e32 v14, 4, v17
	v_lshrrev_b32_e32 v15, 16, v10
	v_cndmask_b32_e32 v2, 0, v2, vcc
	v_perm_b32 v2, v13, v2, s33
	v_or_b32_e32 v13, 5, v17
	v_cmp_gt_i32_e32 vcc, s19, v13
	s_nop 1
	v_cndmask_b32_e32 v13, 0, v15, vcc
	v_cmp_gt_i32_e32 vcc, s21, v14
	v_or_b32_e32 v14, 6, v17
	s_nop 0
	v_cndmask_b32_e32 v10, 0, v10, vcc
	v_perm_b32 v10, v13, v10, s33
	v_or_b32_e32 v13, 7, v17
	v_cmp_gt_i32_e32 vcc, s19, v13
	s_nop 1
	v_cndmask_b32_e32 v8, 0, v8, vcc
	v_cmp_gt_i32_e32 vcc, s21, v14
	s_nop 1
	v_cndmask_b32_e32 v12, 0, v12, vcc
	v_perm_b32 v8, v8, v12, s33
	s_branch .LBB228_39
.LBB228_74:                             ;   in Loop: Header=BB228_40 Depth=1
	v_cmp_eq_u16_sdwa s[36:37], v10, s27 src0_sel:BYTE_0 src1_sel:DWORD
	s_mov_b64 s[8:9], -1
                                        ; implicit-def: $sgpr34
	s_and_saveexec_b64 s[12:13], s[36:37]
; %bb.75:                               ;   in Loop: Header=BB228_40 Depth=1
	s_mov_b32 s34, 0x7fc02000
	s_xor_b64 s[8:9], exec, -1
; %bb.76:                               ;   in Loop: Header=BB228_40 Depth=1
	s_or_b64 exec, exec, s[12:13]
	s_and_b64 s[8:9], s[8:9], exec
	s_or_saveexec_b64 s[10:11], s[10:11]
	v_mov_b32_e32 v12, s34
	s_xor_b64 exec, exec, s[10:11]
	s_cbranch_execz .LBB228_42
.LBB228_77:                             ;   in Loop: Header=BB228_40 Depth=1
	v_cmp_ne_u16_sdwa s[12:13], v10, v3 src0_sel:BYTE_0 src1_sel:DWORD
	s_andn2_b64 s[8:9], s[8:9], exec
	s_and_b64 s[12:13], s[12:13], exec
	v_mov_b32_e32 v12, 0
	s_or_b64 s[8:9], s[8:9], s[12:13]
	s_or_b64 exec, exec, s[10:11]
	s_and_saveexec_b64 s[10:11], s[8:9]
	s_cbranch_execnz .LBB228_43
	s_branch .LBB228_44
.LBB228_78:                             ;   in Loop: Header=BB228_40 Depth=1
	v_cmp_eq_u16_e32 vcc, s27, v2
	s_mov_b64 s[8:9], -1
                                        ; implicit-def: $sgpr34
	s_and_saveexec_b64 s[12:13], vcc
; %bb.79:                               ;   in Loop: Header=BB228_40 Depth=1
	s_mov_b32 s34, 0x7fc02000
	s_xor_b64 s[8:9], exec, -1
; %bb.80:                               ;   in Loop: Header=BB228_40 Depth=1
	s_or_b64 exec, exec, s[12:13]
	s_and_b64 s[8:9], s[8:9], exec
	s_or_saveexec_b64 s[10:11], s[10:11]
	v_mov_b32_e32 v14, s34
	s_xor_b64 exec, exec, s[10:11]
	s_cbranch_execz .LBB228_46
.LBB228_81:                             ;   in Loop: Header=BB228_40 Depth=1
	v_cmp_ne_u16_e32 vcc, 0, v2
	s_andn2_b64 s[8:9], s[8:9], exec
	s_and_b64 s[12:13], vcc, exec
	v_mov_b32_e32 v14, 0
	s_or_b64 s[8:9], s[8:9], s[12:13]
	s_or_b64 exec, exec, s[10:11]
	s_and_saveexec_b64 s[10:11], s[8:9]
	s_cbranch_execnz .LBB228_47
	s_branch .LBB228_48
.LBB228_82:                             ;   in Loop: Header=BB228_40 Depth=1
	v_cmp_eq_u16_sdwa s[36:37], v2, s27 src0_sel:BYTE_0 src1_sel:DWORD
	s_mov_b64 s[8:9], -1
                                        ; implicit-def: $sgpr34
	s_and_saveexec_b64 s[12:13], s[36:37]
; %bb.83:                               ;   in Loop: Header=BB228_40 Depth=1
	s_mov_b32 s34, 0x7fc02000
	s_xor_b64 s[8:9], exec, -1
; %bb.84:                               ;   in Loop: Header=BB228_40 Depth=1
	s_or_b64 exec, exec, s[12:13]
	s_and_b64 s[8:9], s[8:9], exec
	s_or_saveexec_b64 s[10:11], s[10:11]
	v_mov_b32_e32 v13, s34
	s_xor_b64 exec, exec, s[10:11]
	s_cbranch_execz .LBB228_50
.LBB228_85:                             ;   in Loop: Header=BB228_40 Depth=1
	v_cmp_ne_u16_sdwa s[12:13], v2, v3 src0_sel:BYTE_0 src1_sel:DWORD
	s_andn2_b64 s[8:9], s[8:9], exec
	s_and_b64 s[12:13], s[12:13], exec
	v_mov_b32_e32 v13, 0
	s_or_b64 s[8:9], s[8:9], s[12:13]
	s_or_b64 exec, exec, s[10:11]
	s_and_saveexec_b64 s[10:11], s[8:9]
	s_cbranch_execnz .LBB228_51
	s_branch .LBB228_52
.LBB228_86:                             ;   in Loop: Header=BB228_40 Depth=1
	v_cmp_eq_u16_e32 vcc, s27, v2
	s_mov_b64 s[8:9], -1
                                        ; implicit-def: $sgpr34
	s_and_saveexec_b64 s[12:13], vcc
; %bb.87:                               ;   in Loop: Header=BB228_40 Depth=1
	s_mov_b32 s34, 0x7fc02000
	s_xor_b64 s[8:9], exec, -1
; %bb.88:                               ;   in Loop: Header=BB228_40 Depth=1
	s_or_b64 exec, exec, s[12:13]
	s_and_b64 s[8:9], s[8:9], exec
	s_or_saveexec_b64 s[10:11], s[10:11]
	v_mov_b32_e32 v15, s34
	s_xor_b64 exec, exec, s[10:11]
	s_cbranch_execz .LBB228_54
.LBB228_89:                             ;   in Loop: Header=BB228_40 Depth=1
	v_cmp_ne_u16_e32 vcc, 0, v2
	s_andn2_b64 s[8:9], s[8:9], exec
	s_and_b64 s[12:13], vcc, exec
	v_mov_b32_e32 v15, 0
	s_or_b64 s[8:9], s[8:9], s[12:13]
	s_or_b64 exec, exec, s[10:11]
	s_and_saveexec_b64 s[10:11], s[8:9]
	s_cbranch_execnz .LBB228_55
	s_branch .LBB228_56
.LBB228_90:                             ;   in Loop: Header=BB228_40 Depth=1
	v_cmp_eq_u16_sdwa s[36:37], v11, s27 src0_sel:BYTE_0 src1_sel:DWORD
	s_mov_b64 s[8:9], -1
                                        ; implicit-def: $sgpr34
	s_and_saveexec_b64 s[12:13], s[36:37]
; %bb.91:                               ;   in Loop: Header=BB228_40 Depth=1
	s_mov_b32 s34, 0x7fc02000
	s_xor_b64 s[8:9], exec, -1
; %bb.92:                               ;   in Loop: Header=BB228_40 Depth=1
	s_or_b64 exec, exec, s[12:13]
	s_and_b64 s[8:9], s[8:9], exec
	s_or_saveexec_b64 s[10:11], s[10:11]
	v_mov_b32_e32 v10, s34
	s_xor_b64 exec, exec, s[10:11]
	s_cbranch_execz .LBB228_58
.LBB228_93:                             ;   in Loop: Header=BB228_40 Depth=1
	v_cmp_ne_u16_sdwa s[12:13], v11, v3 src0_sel:BYTE_0 src1_sel:DWORD
	s_andn2_b64 s[8:9], s[8:9], exec
	s_and_b64 s[12:13], s[12:13], exec
	v_mov_b32_e32 v10, 0
	s_or_b64 s[8:9], s[8:9], s[12:13]
	s_or_b64 exec, exec, s[10:11]
	v_mov_b32_e32 v2, v11
	s_and_saveexec_b64 s[10:11], s[8:9]
	s_cbranch_execnz .LBB228_59
	s_branch .LBB228_60
.LBB228_94:                             ;   in Loop: Header=BB228_40 Depth=1
	v_cmp_eq_u16_e32 vcc, s27, v2
	s_mov_b64 s[8:9], -1
                                        ; implicit-def: $sgpr34
	s_and_saveexec_b64 s[12:13], vcc
; %bb.95:                               ;   in Loop: Header=BB228_40 Depth=1
	s_mov_b32 s34, 0x7fc02000
	s_xor_b64 s[8:9], exec, -1
; %bb.96:                               ;   in Loop: Header=BB228_40 Depth=1
	s_or_b64 exec, exec, s[12:13]
	s_and_b64 s[8:9], s[8:9], exec
	s_or_saveexec_b64 s[10:11], s[10:11]
	v_mov_b32_e32 v28, s34
	s_xor_b64 exec, exec, s[10:11]
	s_cbranch_execz .LBB228_62
.LBB228_97:                             ;   in Loop: Header=BB228_40 Depth=1
	v_cmp_ne_u16_e32 vcc, 0, v2
	s_andn2_b64 s[8:9], s[8:9], exec
	s_and_b64 s[12:13], vcc, exec
	v_mov_b32_e32 v28, 0
	s_or_b64 s[8:9], s[8:9], s[12:13]
	s_or_b64 exec, exec, s[10:11]
	s_and_saveexec_b64 s[10:11], s[8:9]
	s_cbranch_execnz .LBB228_63
	s_branch .LBB228_64
.LBB228_98:                             ;   in Loop: Header=BB228_40 Depth=1
	v_cmp_eq_u16_sdwa s[36:37], v2, s27 src0_sel:BYTE_0 src1_sel:DWORD
	s_mov_b64 s[8:9], -1
                                        ; implicit-def: $sgpr34
	s_and_saveexec_b64 s[12:13], s[36:37]
; %bb.99:                               ;   in Loop: Header=BB228_40 Depth=1
	s_mov_b32 s34, 0x7fc02000
	s_xor_b64 s[8:9], exec, -1
; %bb.100:                              ;   in Loop: Header=BB228_40 Depth=1
	s_or_b64 exec, exec, s[12:13]
	s_and_b64 s[8:9], s[8:9], exec
	s_or_saveexec_b64 s[10:11], s[10:11]
	v_mov_b32_e32 v29, s34
	s_xor_b64 exec, exec, s[10:11]
	s_cbranch_execz .LBB228_66
.LBB228_101:                            ;   in Loop: Header=BB228_40 Depth=1
	v_cmp_ne_u16_sdwa s[12:13], v2, v3 src0_sel:BYTE_0 src1_sel:DWORD
	s_andn2_b64 s[8:9], s[8:9], exec
	s_and_b64 s[12:13], s[12:13], exec
	v_mov_b32_e32 v29, 0
	s_or_b64 s[8:9], s[8:9], s[12:13]
	s_or_b64 exec, exec, s[10:11]
	s_and_saveexec_b64 s[10:11], s[8:9]
	s_cbranch_execnz .LBB228_67
	s_branch .LBB228_68
.LBB228_102:                            ;   in Loop: Header=BB228_40 Depth=1
	v_cmp_eq_u16_e32 vcc, s27, v2
	s_mov_b64 s[8:9], -1
                                        ; implicit-def: $sgpr34
	s_and_saveexec_b64 s[12:13], vcc
; %bb.103:                              ;   in Loop: Header=BB228_40 Depth=1
	s_mov_b32 s34, 0x7fc02000
	s_xor_b64 s[8:9], exec, -1
; %bb.104:                              ;   in Loop: Header=BB228_40 Depth=1
	s_or_b64 exec, exec, s[12:13]
	s_and_b64 s[8:9], s[8:9], exec
	s_or_saveexec_b64 s[10:11], s[10:11]
	v_mov_b32_e32 v30, s34
	s_xor_b64 exec, exec, s[10:11]
	s_cbranch_execz .LBB228_70
.LBB228_105:                            ;   in Loop: Header=BB228_40 Depth=1
	v_cmp_ne_u16_e32 vcc, 0, v2
	s_andn2_b64 s[8:9], s[8:9], exec
	s_and_b64 s[12:13], vcc, exec
	v_mov_b32_e32 v30, 0
	s_or_b64 s[8:9], s[8:9], s[12:13]
	s_or_b64 exec, exec, s[10:11]
	s_and_saveexec_b64 s[10:11], s[8:9]
	s_cbranch_execnz .LBB228_71
	s_branch .LBB228_72
.LBB228_106:
	s_or_b64 exec, exec, s[2:3]
.LBB228_107:
	s_or_b64 exec, exec, s[0:1]
	v_and_b32_e32 v0, 0x3c0, v0
	v_cmp_eq_u32_e32 vcc, 64, v0
	s_barrier
	s_and_saveexec_b64 s[0:1], vcc
	s_cbranch_execz .LBB228_109
; %bb.108:
	v_mov_b32_e32 v0, 0x90
	v_lshl_add_u32 v0, v9, 2, v0
	ds_write_b32 v0, v16
.LBB228_109:
	s_or_b64 exec, exec, s[0:1]
	s_waitcnt lgkmcnt(0)
	s_barrier
	s_and_saveexec_b64 s[0:1], s[6:7]
	s_cbranch_execz .LBB228_111
; %bb.110:
	v_mov_b32_e32 v0, 0x90
	v_lshl_add_u32 v0, v9, 2, v0
	ds_read_b32 v0, v0
	s_waitcnt lgkmcnt(0)
	v_add_f32_e32 v16, v16, v0
.LBB228_111:
	s_or_b64 exec, exec, s[0:1]
	s_barrier
	s_and_saveexec_b64 s[0:1], s[6:7]
	s_cbranch_execz .LBB228_113
; %bb.112:
	s_mul_i32 s0, s20, s16
	s_mul_i32 s0, s0, s5
	s_lshl_b32 s0, s0, 6
	s_ashr_i32 s1, s0, 31
	s_lshl_b64 s[0:1], s[0:1], 1
	s_add_u32 s2, s24, s0
	s_mul_i32 s0, s16, s22
	s_addc_u32 s3, s25, s1
	s_ashr_i32 s1, s0, 31
	s_lshl_b64 s[0:1], s[0:1], 1
	s_add_u32 s2, s2, s0
	s_addc_u32 s3, s3, s1
	s_lshl_b32 s0, s4, 6
	s_ashr_i32 s1, s0, 31
	s_lshl_b64 s[0:1], s[0:1], 1
	s_add_u32 s0, s2, s0
	s_addc_u32 s1, s3, s1
	v_lshlrev_b32_e32 v0, 1, v9
	;;#ASMSTART
	v_cvt_f16_f32 v1, v16;

	;;#ASMEND
	global_store_short v0, v1, s[0:1]
.LBB228_113:
	s_endpgm
	.section	.rodata,"a",@progbits
	.p2align	6, 0x0
	.amdhsa_kernel _ZN4vllm25paged_attention_v1_kernelIthLi64ELi8ELi128ELNS_18Fp8KVCacheDataTypeE1ELb0EEEvPT_PKS2_PKT0_S8_ifPKiSA_iPKfiiiSC_SC_iiiii
		.amdhsa_group_segment_fixed_size 144
		.amdhsa_private_segment_fixed_size 0
		.amdhsa_kernarg_size 384
		.amdhsa_user_sgpr_count 2
		.amdhsa_user_sgpr_dispatch_ptr 0
		.amdhsa_user_sgpr_queue_ptr 0
		.amdhsa_user_sgpr_kernarg_segment_ptr 1
		.amdhsa_user_sgpr_dispatch_id 0
		.amdhsa_user_sgpr_kernarg_preload_length 0
		.amdhsa_user_sgpr_kernarg_preload_offset 0
		.amdhsa_user_sgpr_private_segment_size 0
		.amdhsa_uses_dynamic_stack 0
		.amdhsa_enable_private_segment 0
		.amdhsa_system_sgpr_workgroup_id_x 1
		.amdhsa_system_sgpr_workgroup_id_y 1
		.amdhsa_system_sgpr_workgroup_id_z 1
		.amdhsa_system_sgpr_workgroup_info 0
		.amdhsa_system_vgpr_workitem_id 0
		.amdhsa_next_free_vgpr 35
		.amdhsa_next_free_sgpr 40
		.amdhsa_accum_offset 36
		.amdhsa_reserve_vcc 1
		.amdhsa_float_round_mode_32 0
		.amdhsa_float_round_mode_16_64 0
		.amdhsa_float_denorm_mode_32 3
		.amdhsa_float_denorm_mode_16_64 3
		.amdhsa_dx10_clamp 1
		.amdhsa_ieee_mode 1
		.amdhsa_fp16_overflow 0
		.amdhsa_tg_split 0
		.amdhsa_exception_fp_ieee_invalid_op 0
		.amdhsa_exception_fp_denorm_src 0
		.amdhsa_exception_fp_ieee_div_zero 0
		.amdhsa_exception_fp_ieee_overflow 0
		.amdhsa_exception_fp_ieee_underflow 0
		.amdhsa_exception_fp_ieee_inexact 0
		.amdhsa_exception_int_div_zero 0
	.end_amdhsa_kernel
	.section	.text._ZN4vllm25paged_attention_v1_kernelIthLi64ELi8ELi128ELNS_18Fp8KVCacheDataTypeE1ELb0EEEvPT_PKS2_PKT0_S8_ifPKiSA_iPKfiiiSC_SC_iiiii,"axG",@progbits,_ZN4vllm25paged_attention_v1_kernelIthLi64ELi8ELi128ELNS_18Fp8KVCacheDataTypeE1ELb0EEEvPT_PKS2_PKT0_S8_ifPKiSA_iPKfiiiSC_SC_iiiii,comdat
.Lfunc_end228:
	.size	_ZN4vllm25paged_attention_v1_kernelIthLi64ELi8ELi128ELNS_18Fp8KVCacheDataTypeE1ELb0EEEvPT_PKS2_PKT0_S8_ifPKiSA_iPKfiiiSC_SC_iiiii, .Lfunc_end228-_ZN4vllm25paged_attention_v1_kernelIthLi64ELi8ELi128ELNS_18Fp8KVCacheDataTypeE1ELb0EEEvPT_PKS2_PKT0_S8_ifPKiSA_iPKfiiiSC_SC_iiiii
                                        ; -- End function
	.section	.AMDGPU.csdata,"",@progbits
; Kernel info:
; codeLenInByte = 5808
; NumSgprs: 46
; NumVgprs: 35
; NumAgprs: 0
; TotalNumVgprs: 35
; ScratchSize: 0
; MemoryBound: 0
; FloatMode: 240
; IeeeMode: 1
; LDSByteSize: 144 bytes/workgroup (compile time only)
; SGPRBlocks: 5
; VGPRBlocks: 4
; NumSGPRsForWavesPerEU: 46
; NumVGPRsForWavesPerEU: 35
; AccumOffset: 36
; Occupancy: 8
; WaveLimiterHint : 1
; COMPUTE_PGM_RSRC2:SCRATCH_EN: 0
; COMPUTE_PGM_RSRC2:USER_SGPR: 2
; COMPUTE_PGM_RSRC2:TRAP_HANDLER: 0
; COMPUTE_PGM_RSRC2:TGID_X_EN: 1
; COMPUTE_PGM_RSRC2:TGID_Y_EN: 1
; COMPUTE_PGM_RSRC2:TGID_Z_EN: 1
; COMPUTE_PGM_RSRC2:TIDIG_COMP_CNT: 0
; COMPUTE_PGM_RSRC3_GFX90A:ACCUM_OFFSET: 8
; COMPUTE_PGM_RSRC3_GFX90A:TG_SPLIT: 0
	.section	.text._ZN4vllm25paged_attention_v1_kernelIthLi80ELi8ELi128ELNS_18Fp8KVCacheDataTypeE1ELb0EEEvPT_PKS2_PKT0_S8_ifPKiSA_iPKfiiiSC_SC_iiiii,"axG",@progbits,_ZN4vllm25paged_attention_v1_kernelIthLi80ELi8ELi128ELNS_18Fp8KVCacheDataTypeE1ELb0EEEvPT_PKS2_PKT0_S8_ifPKiSA_iPKfiiiSC_SC_iiiii,comdat
	.protected	_ZN4vllm25paged_attention_v1_kernelIthLi80ELi8ELi128ELNS_18Fp8KVCacheDataTypeE1ELb0EEEvPT_PKS2_PKT0_S8_ifPKiSA_iPKfiiiSC_SC_iiiii ; -- Begin function _ZN4vllm25paged_attention_v1_kernelIthLi80ELi8ELi128ELNS_18Fp8KVCacheDataTypeE1ELb0EEEvPT_PKS2_PKT0_S8_ifPKiSA_iPKfiiiSC_SC_iiiii
	.globl	_ZN4vllm25paged_attention_v1_kernelIthLi80ELi8ELi128ELNS_18Fp8KVCacheDataTypeE1ELb0EEEvPT_PKS2_PKT0_S8_ifPKiSA_iPKfiiiSC_SC_iiiii
	.p2align	8
	.type	_ZN4vllm25paged_attention_v1_kernelIthLi80ELi8ELi128ELNS_18Fp8KVCacheDataTypeE1ELb0EEEvPT_PKS2_PKT0_S8_ifPKiSA_iPKfiiiSC_SC_iiiii,@function
_ZN4vllm25paged_attention_v1_kernelIthLi80ELi8ELi128ELNS_18Fp8KVCacheDataTypeE1ELb0EEEvPT_PKS2_PKT0_S8_ifPKiSA_iPKfiiiSC_SC_iiiii: ; @_ZN4vllm25paged_attention_v1_kernelIthLi80ELi8ELi128ELNS_18Fp8KVCacheDataTypeE1ELb0EEEvPT_PKS2_PKT0_S8_ifPKiSA_iPKfiiiSC_SC_iiiii
; %bb.0:
	s_load_dword s5, s[0:1], 0x80
	s_load_dwordx2 s[6:7], s[0:1], 0x30
	s_load_dwordx2 s[10:11], s[0:1], 0x20
	s_mov_b32 s20, s3
	s_ashr_i32 s21, s3, 31
	s_lshl_b64 s[8:9], s[20:21], 2
	s_waitcnt lgkmcnt(0)
	s_add_u32 s6, s6, s8
	s_addc_u32 s7, s7, s9
	s_abs_i32 s3, s10
	v_cvt_f32_u32_e32 v1, s3
	s_xor_b32 s8, s5, s10
	s_sub_i32 s10, 0, s3
	s_abs_i32 s9, s5
	v_rcp_iflag_f32_e32 v1, v1
	s_ashr_i32 s8, s8, 31
	v_mul_f32_e32 v1, 0x4f7ffffe, v1
	v_cvt_u32_f32_e32 v1, v1
	s_nop 0
	v_readfirstlane_b32 s12, v1
	s_mul_i32 s10, s10, s12
	s_mul_hi_u32 s10, s12, s10
	s_add_i32 s12, s12, s10
	s_mul_hi_u32 s10, s9, s12
	s_mul_i32 s12, s10, s3
	s_sub_i32 s9, s9, s12
	s_add_i32 s12, s10, 1
	s_sub_i32 s13, s9, s3
	s_cmp_ge_u32 s9, s3
	s_cselect_b32 s10, s12, s10
	s_cselect_b32 s9, s13, s9
	s_add_i32 s12, s10, 1
	s_cmp_ge_u32 s9, s3
	s_cselect_b32 s3, s12, s10
	s_xor_b32 s3, s3, s8
	s_sub_i32 s15, s3, s8
	s_abs_i32 s12, s15
	v_cvt_f32_u32_e32 v1, s12
	s_load_dwordx2 s[8:9], s[0:1], 0x40
	s_sub_i32 s3, 0, s12
	s_abs_i32 s13, s2
	v_rcp_iflag_f32_e32 v1, v1
	s_mov_b32 s10, 0
	v_mul_f32_e32 v1, 0x4f7ffffe, v1
	v_cvt_u32_f32_e32 v1, v1
	s_nop 0
	v_readfirstlane_b32 s14, v1
	s_mul_i32 s3, s3, s14
	s_mul_hi_u32 s3, s14, s3
	s_add_i32 s14, s14, s3
	s_waitcnt lgkmcnt(0)
	s_cmp_eq_u64 s[8:9], 0
	s_mul_hi_u32 s14, s13, s14
	s_cbranch_scc1 .LBB229_2
; %bb.1:
	s_ashr_i32 s3, s2, 31
	s_lshl_b64 s[16:17], s[2:3], 2
	s_add_u32 s8, s8, s16
	s_addc_u32 s9, s9, s17
	s_load_dword s10, s[8:9], 0x0
.LBB229_2:
	s_load_dword s21, s[6:7], 0x0
	s_load_dwordx4 s[16:19], s[0:1], 0x48
	s_movk_i32 s3, 0x50
	s_ashr_i32 s8, s2, 31
	s_ashr_i32 s9, s15, 31
	v_and_b32_e32 v4, 7, v0
	s_mul_i32 s22, s2, 0x50
	v_cmp_gt_u32_e64 s[6:7], s3, v0
	v_lshlrev_b32_e32 v2, 1, v0
	s_and_saveexec_b64 s[2:3], s[6:7]
	s_cbranch_execz .LBB229_4
; %bb.3:
	s_load_dwordx2 s[24:25], s[0:1], 0x8
	s_waitcnt lgkmcnt(0)
	s_mul_i32 s26, s20, s16
	s_ashr_i32 s27, s26, 31
	s_lshl_b64 s[26:27], s[26:27], 1
	v_lshrrev_b32_e32 v3, 2, v0
	s_add_u32 s15, s24, s26
	s_addc_u32 s16, s25, s27
	s_ashr_i32 s23, s22, 31
	s_lshl_b64 s[24:25], s[22:23], 1
	s_add_u32 s24, s15, s24
	s_addc_u32 s25, s16, s25
	global_load_ushort v1, v2, s[24:25]
	v_and_b32_e32 v3, 0xfe, v3
	v_mad_u32_u24 v3, v4, 20, v3
	s_waitcnt vmcnt(0)
	ds_write_b16 v3, v1
.LBB229_4:
	s_or_b64 exec, exec, s[2:3]
	s_waitcnt lgkmcnt(0)
	s_add_i32 s3, s21, 7
	s_ashr_i32 s15, s3, 31
	s_lshr_b32 s15, s15, 29
	s_add_i32 s3, s3, s15
	s_ashr_i32 s33, s3, 3
	s_xor_b32 s3, s8, s9
	s_mul_i32 s8, s14, s12
	s_sub_i32 s8, s13, s8
	s_add_i32 s9, s14, 1
	s_sub_i32 s13, s8, s12
	s_load_dwordx2 s[26:27], s[0:1], 0x28
	s_load_dword s2, s[0:1], 0x38
	s_cmp_ge_u32 s8, s12
	s_cselect_b32 s9, s9, s14
	s_cselect_b32 s8, s13, s8
	s_add_i32 s13, s9, 1
	s_cmp_ge_u32 s8, s12
	s_cselect_b32 s8, s13, s9
	v_lshrrev_b32_e32 v1, 6, v0
	s_xor_b32 s8, s8, s3
	s_waitcnt lgkmcnt(0)
	s_mul_i32 s28, s20, s2
	s_sub_i32 s16, s8, s3
	s_ashr_i32 s29, s28, 31
	v_cmp_gt_i32_e64 s[2:3], s33, v1
	v_cmp_le_i32_e32 vcc, s33, v1
	v_mbcnt_lo_u32_b32 v16, -1, 0
	s_barrier
	s_waitcnt lgkmcnt(0)
                                        ; implicit-def: $sgpr19
                                        ; implicit-def: $vgpr10
                                        ; implicit-def: $vgpr11
	s_and_saveexec_b64 s[8:9], vcc
	s_xor_b64 s[8:9], exec, s[8:9]
; %bb.5:
	v_mbcnt_hi_u32_b32 v10, -1, v16
	v_and_b32_e32 v3, 64, v10
	v_add_u32_e32 v11, 64, v3
	s_mov_b32 s19, 0xff7fffff
                                        ; implicit-def: $vgpr4
                                        ; implicit-def: $vgpr16
; %bb.6:
	s_or_saveexec_b64 s[34:35], s[8:9]
	s_load_dwordx2 s[24:25], s[0:1], 0x0
	s_load_dwordx2 s[30:31], s[0:1], 0x18
	s_load_dword s23, s[0:1], 0x88
	s_load_dwordx4 s[12:15], s[0:1], 0x58
	v_mov_b32_e32 v3, s19
	s_mul_i32 s16, s16, s18
	v_lshrrev_b32_e32 v12, 4, v0
	s_xor_b64 exec, exec, s[34:35]
	s_cbranch_execz .LBB229_12
; %bb.7:
	s_load_dwordx2 s[0:1], s[0:1], 0x10
	s_ashr_i32 s8, s16, 31
	v_bfe_u32 v3, v0, 3, 3
	v_lshlrev_b32_e32 v6, 4, v3
	v_mov_b32_e32 v5, 0
	s_waitcnt lgkmcnt(0)
	s_add_u32 s0, s0, s16
	s_addc_u32 s1, s1, s8
	s_sub_i32 s39, 1, s21
	s_lshl_b64 s[8:9], s[28:29], 2
	v_lshl_or_b32 v14, v1, 3, v3
	v_lshlrev_b32_e32 v3, 2, v3
	s_add_u32 s8, s26, s8
	v_mbcnt_hi_u32_b32 v10, -1, v16
	v_mov_b32_e32 v7, v5
	v_lshl_or_b32 v3, v1, 5, v3
	v_and_b32_e32 v8, 60, v12
	v_mov_b32_e32 v9, v5
	s_addc_u32 s9, s27, s9
	v_and_b32_e32 v11, 64, v10
	s_mov_b32 s38, s17
	v_lshl_add_u64 v[6:7], s[0:1], 0, v[6:7]
	v_mul_u32_u24_e32 v13, 20, v4
	v_cmp_eq_u32_e32 vcc, 0, v4
	v_cmp_neq_f32_e64 s[0:1], s10, 0
	v_add_u32_e32 v15, 0xb0, v3
	v_lshl_add_u64 v[8:9], s[8:9], 0, v[8:9]
	s_mov_b64 s[18:19], 0
	v_mov_b32_e32 v3, 0xff7fffff
	v_add_u32_e32 v11, 64, v11
	v_xor_b32_e32 v16, 4, v10
	v_xor_b32_e32 v17, 2, v10
	;; [unrolled: 1-line block ×3, first 2 shown]
	v_mov_b32_e32 v19, v1
	s_branch .LBB229_9
.LBB229_8:                              ;   in Loop: Header=BB229_9 Depth=1
	s_or_b64 exec, exec, s[36:37]
	v_add_u32_e32 v19, 2, v19
	v_cmp_le_i32_e64 s[8:9], s33, v19
	v_add_u32_e32 v14, 16, v14
	v_add_u32_e32 v15, 64, v15
	s_or_b64 s[18:19], s[8:9], s[18:19]
	v_lshl_add_u64 v[8:9], v[8:9], 0, 8
	s_andn2_b64 exec, exec, s[18:19]
	s_cbranch_execz .LBB229_11
.LBB229_9:                              ; =>This Inner Loop Header: Depth=1
	global_load_dword v20, v[8:9], off
	s_waitcnt vmcnt(0) lgkmcnt(0)
	v_mad_i64_i32 v[20:21], s[8:9], v20, s38, v[6:7]
	v_lshl_add_u64 v[20:21], v[20:21], 0, v[4:5]
	global_load_ubyte v22, v[20:21], off
	global_load_ubyte v23, v[20:21], off offset:8
	global_load_dword v24, v5, s[12:13]
	global_load_ubyte v25, v[20:21], off offset:128
	global_load_ubyte v26, v[20:21], off offset:136
	;; [unrolled: 1-line block ×8, first 2 shown]
	ds_read_u16 v20, v13
	s_waitcnt lgkmcnt(0)
	;;#ASMSTART
	v_cvt_f32_f16 v20, v20;
	;;#ASMEND
	v_cmp_lt_i32_e64 s[8:9], v16, v11
	s_waitcnt vmcnt(10)
	v_cvt_f32_fp8_sdwa v21, v22 src0_sel:BYTE_0
	s_waitcnt vmcnt(9)
	v_cvt_f32_fp8_sdwa v23, v23 src0_sel:BYTE_0
	v_cndmask_b32_e64 v22, v10, v16, s[8:9]
	s_waitcnt vmcnt(7)
	v_cvt_f32_fp8_sdwa v25, v25 src0_sel:BYTE_0
	v_fma_mixlo_f16 v21, v24, v21, 0
	v_and_b32_e32 v21, 0xffff, v21
	v_fma_mixlo_f16 v23, v24, v23, 0
	s_waitcnt vmcnt(6)
	v_cvt_f32_fp8_sdwa v26, v26 src0_sel:BYTE_0
	;;#ASMSTART
	v_cvt_f32_f16 v21, v21;
	;;#ASMEND
	ds_read_u16 v33, v13 offset:2
	v_and_b32_e32 v23, 0xffff, v23
	s_waitcnt vmcnt(5)
	v_cvt_f32_fp8_sdwa v27, v27 src0_sel:BYTE_0
	s_waitcnt lgkmcnt(0)
	;;#ASMSTART
	v_cvt_f32_f16 v33, v33;
	;;#ASMEND
	;;#ASMSTART
	v_cvt_f32_f16 v23, v23;
	;;#ASMEND
	s_waitcnt vmcnt(4)
	v_cvt_f32_fp8_sdwa v28, v28 src0_sel:BYTE_0
	v_fma_mixlo_f16 v25, v24, v25, 0
	s_waitcnt vmcnt(3)
	v_cvt_f32_fp8_sdwa v29, v29 src0_sel:BYTE_0
	v_mul_f32_e32 v23, v33, v23
	ds_read_u16 v34, v13 offset:4
	v_and_b32_e32 v25, 0xffff, v25
	v_fma_mixlo_f16 v26, v24, v26, 0
	s_waitcnt vmcnt(2)
	v_cvt_f32_fp8_sdwa v30, v30 src0_sel:BYTE_0
	v_fmac_f32_e32 v23, v20, v21
	s_waitcnt lgkmcnt(0)
	;;#ASMSTART
	v_cvt_f32_f16 v34, v34;
	;;#ASMEND
	;;#ASMSTART
	v_cvt_f32_f16 v25, v25;
	;;#ASMEND
	ds_read_u16 v35, v13 offset:6
	v_and_b32_e32 v26, 0xffff, v26
	s_waitcnt vmcnt(1)
	v_cvt_f32_fp8_sdwa v31, v31 src0_sel:BYTE_0
	v_fma_mixlo_f16 v27, v24, v27, 0
	s_waitcnt vmcnt(0)
	v_cvt_f32_fp8_sdwa v32, v32 src0_sel:BYTE_0
	v_fmac_f32_e32 v23, v34, v25
	s_waitcnt lgkmcnt(0)
	;;#ASMSTART
	v_cvt_f32_f16 v35, v35;
	;;#ASMEND
	;;#ASMSTART
	v_cvt_f32_f16 v26, v26;
	;;#ASMEND
	ds_read_u16 v36, v13 offset:8
	v_and_b32_e32 v27, 0xffff, v27
	v_fma_mixlo_f16 v28, v24, v28, 0
	v_fmac_f32_e32 v23, v35, v26
	s_waitcnt lgkmcnt(0)
	;;#ASMSTART
	v_cvt_f32_f16 v36, v36;
	;;#ASMEND
	;;#ASMSTART
	v_cvt_f32_f16 v27, v27;
	;;#ASMEND
	ds_read_u16 v37, v13 offset:10
	v_fma_mixlo_f16 v29, v24, v29, 0
	v_and_b32_e32 v28, 0xffff, v28
	v_fmac_f32_e32 v23, v36, v27
	s_waitcnt lgkmcnt(0)
	;;#ASMSTART
	v_cvt_f32_f16 v37, v37;
	;;#ASMEND
	;;#ASMSTART
	v_cvt_f32_f16 v28, v28;
	;;#ASMEND
	v_fma_mixlo_f16 v30, v24, v30, 0
	v_and_b32_e32 v29, 0xffff, v29
	v_fmac_f32_e32 v23, v37, v28
	ds_read_u16 v38, v13 offset:12
	v_fma_mixlo_f16 v31, v24, v31, 0
	v_fma_mixlo_f16 v24, v24, v32, 0
	s_waitcnt lgkmcnt(0)
	;;#ASMSTART
	v_cvt_f32_f16 v32, v38;
	;;#ASMEND
	;;#ASMSTART
	v_cvt_f32_f16 v29, v29;
	;;#ASMEND
	v_and_b32_e32 v30, 0xffff, v30
	v_fmac_f32_e32 v23, v32, v29
	ds_read_u16 v38, v13 offset:14
	s_waitcnt lgkmcnt(0)
	;;#ASMSTART
	v_cvt_f32_f16 v33, v38;
	;;#ASMEND
	;;#ASMSTART
	v_cvt_f32_f16 v30, v30;
	;;#ASMEND
	v_and_b32_e32 v31, 0xffff, v31
	v_fmac_f32_e32 v23, v33, v30
	ds_read_u16 v38, v13 offset:16
	s_waitcnt lgkmcnt(0)
	;;#ASMSTART
	v_cvt_f32_f16 v20, v38;
	;;#ASMEND
	;;#ASMSTART
	v_cvt_f32_f16 v21, v31;
	;;#ASMEND
	v_lshlrev_b32_e32 v22, 2, v22
	v_fmac_f32_e32 v23, v20, v21
	v_and_b32_e32 v24, 0xffff, v24
	ds_read_u16 v25, v13 offset:18
	s_waitcnt lgkmcnt(0)
	;;#ASMSTART
	v_cvt_f32_f16 v20, v25;
	;;#ASMEND
	;;#ASMSTART
	v_cvt_f32_f16 v21, v24;
	;;#ASMEND
	v_cmp_lt_i32_e64 s[8:9], v17, v11
	v_fmac_f32_e32 v23, v20, v21
	ds_bpermute_b32 v20, v22, v23
	v_cndmask_b32_e64 v21, v10, v17, s[8:9]
	v_lshlrev_b32_e32 v21, 2, v21
	v_cmp_lt_i32_e64 s[8:9], v18, v11
	s_waitcnt lgkmcnt(0)
	v_add_f32_e32 v20, v23, v20
	ds_bpermute_b32 v21, v21, v20
	v_cndmask_b32_e64 v22, v10, v18, s[8:9]
	s_waitcnt lgkmcnt(0)
	v_add_f32_e32 v20, v20, v21
	v_lshlrev_b32_e32 v21, 2, v22
	ds_bpermute_b32 v21, v21, v20
	s_and_saveexec_b64 s[36:37], vcc
	s_cbranch_execz .LBB229_8
; %bb.10:                               ;   in Loop: Header=BB229_9 Depth=1
	v_add_u32_e32 v22, s39, v14
	v_cvt_f32_i32_e32 v22, v22
	s_waitcnt lgkmcnt(0)
	v_add_f32_e32 v20, v20, v21
	v_cmp_gt_i32_e64 s[8:9], s21, v14
	v_max_f32_e32 v21, v3, v3
	v_mul_f32_e32 v22, s10, v22
	v_cndmask_b32_e64 v22, 0, v22, s[0:1]
	v_fmac_f32_e32 v22, s11, v20
	v_cndmask_b32_e64 v20, 0, v22, s[8:9]
	ds_write_b32 v15, v20
	v_max_f32_e32 v20, v21, v22
	v_cndmask_b32_e64 v3, v3, v20, s[8:9]
	s_branch .LBB229_8
.LBB229_11:
	s_or_b64 exec, exec, s[18:19]
.LBB229_12:
	s_or_b64 exec, exec, s[34:35]
	v_xor_b32_e32 v4, 32, v10
	v_cmp_lt_i32_e32 vcc, v4, v11
	v_xor_b32_e32 v6, 16, v10
	v_xor_b32_e32 v8, 8, v10
	v_cndmask_b32_e32 v4, v10, v4, vcc
	v_lshlrev_b32_e32 v5, 2, v4
	ds_bpermute_b32 v4, v5, v3
	v_max_f32_e32 v3, v3, v3
	v_cmp_lt_i32_e32 vcc, v6, v11
	s_waitcnt lgkmcnt(0)
	v_max_f32_e32 v4, v4, v4
	v_max_f32_e32 v3, v3, v4
	v_cndmask_b32_e32 v4, v10, v6, vcc
	v_lshlrev_b32_e32 v7, 2, v4
	ds_bpermute_b32 v4, v7, v3
	v_cmp_lt_i32_e32 vcc, v8, v11
	s_waitcnt lgkmcnt(0)
	v_max_f32_e32 v4, v4, v4
	v_max_f32_e32 v6, v3, v4
	v_cndmask_b32_e32 v3, v10, v8, vcc
	v_lshlrev_b32_e32 v9, 2, v3
	ds_bpermute_b32 v8, v9, v6
	v_and_b32_e32 v3, 63, v0
	v_cmp_eq_u32_e32 vcc, 0, v3
	v_lshlrev_b32_e32 v4, 2, v1
	s_and_saveexec_b64 s[0:1], vcc
	s_cbranch_execz .LBB229_14
; %bb.13:
	s_waitcnt lgkmcnt(0)
	v_max_f32_e32 v8, v8, v8
	v_max_f32_e32 v6, v6, v6
	;; [unrolled: 1-line block ×3, first 2 shown]
	ds_write_b32 v4, v6 offset:160
.LBB229_14:
	s_or_b64 exec, exec, s[0:1]
	v_cmp_gt_u32_e64 s[0:1], 2, v3
	v_mov_b32_e32 v13, 0xff7fffff
	v_lshlrev_b32_e32 v6, 2, v3
	s_waitcnt lgkmcnt(0)
	s_barrier
	s_and_saveexec_b64 s[8:9], s[0:1]
	s_cbranch_execz .LBB229_16
; %bb.15:
	ds_read_b32 v13, v6 offset:160
.LBB229_16:
	s_or_b64 exec, exec, s[8:9]
	v_xor_b32_e32 v8, 1, v10
	v_cmp_lt_i32_e64 s[8:9], v8, v11
	v_lshlrev_b32_e32 v15, 2, v10
	s_nop 0
	v_cndmask_b32_e64 v8, v10, v8, s[8:9]
	v_lshlrev_b32_e32 v8, 2, v8
	s_waitcnt lgkmcnt(0)
	ds_bpermute_b32 v14, v8, v13
	v_max_f32_e32 v13, v13, v13
	s_lshl_b32 s8, s33, 3
	s_min_i32 s34, s8, s21
	v_cmp_gt_i32_e64 s[8:9], s34, v0
	s_waitcnt lgkmcnt(0)
	v_max_f32_e32 v14, v14, v14
	v_max_f32_e32 v14, v13, v14
	v_and_b32_e32 v13, 0xffffff00, v15
	ds_bpermute_b32 v15, v13, v14
	v_mov_b32_e32 v14, 0
	s_and_saveexec_b64 s[12:13], s[8:9]
	s_cbranch_execz .LBB229_20
; %bb.17:
	v_mov_b32_e32 v14, 0xb0
	v_lshl_add_u32 v16, v0, 2, v14
	s_mov_b64 s[18:19], 0
	v_mov_b32_e32 v14, 0
	v_mov_b32_e32 v17, v0
.LBB229_18:                             ; =>This Inner Loop Header: Depth=1
	ds_read_b32 v18, v16
	v_add_u32_e32 v17, 0x80, v17
	v_cmp_le_i32_e64 s[10:11], s34, v17
	s_or_b64 s[18:19], s[10:11], s[18:19]
	s_waitcnt lgkmcnt(0)
	v_sub_f32_e32 v18, v18, v15
	v_mul_f32_e32 v18, 0x3fb8aa3b, v18
	v_exp_f32_e32 v18, v18
	ds_write_b32 v16, v18
	v_add_f32_e32 v14, v14, v18
	v_add_u32_e32 v16, 0x200, v16
	s_andn2_b64 exec, exec, s[18:19]
	s_cbranch_execnz .LBB229_18
; %bb.19:
	s_or_b64 exec, exec, s[18:19]
.LBB229_20:
	s_or_b64 exec, exec, s[12:13]
	ds_bpermute_b32 v5, v5, v14
	s_waitcnt lgkmcnt(0)
	v_add_f32_e32 v5, v14, v5
	ds_bpermute_b32 v7, v7, v5
	s_waitcnt lgkmcnt(0)
	v_add_f32_e32 v5, v5, v7
	ds_bpermute_b32 v7, v9, v5
	v_xor_b32_e32 v9, 4, v10
	v_cmp_lt_i32_e64 s[10:11], v9, v11
	s_waitcnt lgkmcnt(0)
	v_add_f32_e32 v5, v5, v7
	v_cndmask_b32_e64 v9, v10, v9, s[10:11]
	v_lshlrev_b32_e32 v9, 2, v9
	ds_bpermute_b32 v7, v9, v5
	v_xor_b32_e32 v9, 2, v10
	v_cmp_lt_i32_e64 s[10:11], v9, v11
	s_waitcnt lgkmcnt(0)
	v_add_f32_e32 v5, v5, v7
	v_cndmask_b32_e64 v9, v10, v9, s[10:11]
	v_lshlrev_b32_e32 v7, 2, v9
	ds_bpermute_b32 v7, v7, v5
	s_waitcnt lgkmcnt(0)
	v_add_f32_e32 v5, v5, v7
	ds_bpermute_b32 v7, v8, v5
	s_waitcnt lgkmcnt(0)
	v_add_f32_e32 v5, v5, v7
	s_and_saveexec_b64 s[10:11], vcc
	s_cbranch_execz .LBB229_22
; %bb.21:
	ds_write_b32 v4, v5 offset:168
.LBB229_22:
	s_or_b64 exec, exec, s[10:11]
	s_waitcnt lgkmcnt(0)
	s_barrier
	s_and_saveexec_b64 s[10:11], s[0:1]
	s_cbranch_execz .LBB229_24
; %bb.23:
	ds_read_b32 v5, v6 offset:168
.LBB229_24:
	s_or_b64 exec, exec, s[10:11]
	s_waitcnt lgkmcnt(0)
	ds_bpermute_b32 v4, v8, v5
	s_waitcnt lgkmcnt(0)
	v_add_f32_e32 v4, v5, v4
	ds_bpermute_b32 v4, v13, v4
	s_and_saveexec_b64 s[0:1], s[8:9]
	s_cbranch_execz .LBB229_37
; %bb.25:
	s_waitcnt lgkmcnt(0)
	v_add_f32_e32 v4, 0x358637bd, v4
	v_div_scale_f32 v5, s[8:9], v4, v4, 1.0
	v_rcp_f32_e32 v6, v5
	v_div_scale_f32 v7, vcc, 1.0, v4, 1.0
	s_movk_i32 s8, 0x7f
	v_fma_f32 v8, -v5, v6, 1.0
	v_fmac_f32_e32 v6, v8, v6
	v_mul_f32_e32 v8, v7, v6
	v_fma_f32 v9, -v5, v8, v7
	v_fmac_f32_e32 v8, v9, v6
	v_fma_f32 v5, -v5, v8, v7
	v_div_fmas_f32 v5, v5, v6, v8
	v_xad_u32 v6, v0, -1, s34
	v_div_fixup_f32 v4, v5, v4, 1.0
	v_cmp_lt_u32_e32 vcc, s8, v6
	s_mov_b64 s[10:11], -1
	v_mov_b32_e32 v5, v0
	s_and_saveexec_b64 s[8:9], vcc
	s_cbranch_execz .LBB229_34
; %bb.26:
	v_lshrrev_b32_e32 v6, 7, v6
	v_add_u32_e32 v8, -1, v6
	v_lshrrev_b32_e32 v7, 1, v8
	v_mov_b32_e32 v5, v4
	v_add_u32_e32 v7, 1, v7
	v_cmp_lt_u32_e32 vcc, 13, v8
	v_mov_b32_e32 v10, 0
	s_and_saveexec_b64 s[10:11], vcc
	s_cbranch_execz .LBB229_30
; %bb.27:
	v_mov_b32_e32 v9, 0xb0
	v_and_b32_e32 v8, -8, v7
	v_lshl_add_u32 v9, v0, 2, v9
	s_mov_b32 s18, 0
	s_mov_b64 s[12:13], 0
.LBB229_28:                             ; =>This Inner Loop Header: Depth=1
	ds_read2st64_b32 v[10:11], v9 offset1:2
	ds_read2st64_b32 v[14:15], v9 offset0:4 offset1:6
	ds_read2st64_b32 v[16:17], v9 offset0:8 offset1:10
	;; [unrolled: 1-line block ×3, first 2 shown]
	v_add_u32_e32 v8, -8, v8
	s_waitcnt lgkmcnt(3)
	v_pk_mul_f32 v[10:11], v[4:5], v[10:11]
	s_waitcnt lgkmcnt(2)
	v_pk_mul_f32 v[14:15], v[4:5], v[14:15]
	ds_write2st64_b32 v9, v10, v11 offset1:2
	ds_write2st64_b32 v9, v14, v15 offset0:4 offset1:6
	ds_read2st64_b32 v[14:15], v9 offset0:16 offset1:18
	s_waitcnt lgkmcnt(4)
	v_pk_mul_f32 v[10:11], v[4:5], v[16:17]
	ds_write2st64_b32 v9, v10, v11 offset0:8 offset1:10
	s_waitcnt lgkmcnt(4)
	v_pk_mul_f32 v[10:11], v[4:5], v[18:19]
	ds_write2st64_b32 v9, v10, v11 offset0:12 offset1:14
	ds_read2st64_b32 v[10:11], v9 offset0:20 offset1:22
	s_waitcnt lgkmcnt(3)
	v_pk_mul_f32 v[14:15], v[4:5], v[14:15]
	ds_read2st64_b32 v[16:17], v9 offset0:24 offset1:26
	ds_write2st64_b32 v9, v14, v15 offset0:16 offset1:18
	ds_read2st64_b32 v[14:15], v9 offset0:28 offset1:30
	s_waitcnt lgkmcnt(3)
	v_pk_mul_f32 v[10:11], v[4:5], v[10:11]
	ds_write2st64_b32 v9, v10, v11 offset0:20 offset1:22
	s_waitcnt lgkmcnt(3)
	v_pk_mul_f32 v[10:11], v[4:5], v[16:17]
	ds_write2st64_b32 v9, v10, v11 offset0:24 offset1:26
	s_waitcnt lgkmcnt(2)
	v_pk_mul_f32 v[10:11], v[4:5], v[14:15]
	s_add_i32 s18, s18, 16
	v_cmp_eq_u32_e32 vcc, 0, v8
	ds_write2st64_b32 v9, v10, v11 offset0:28 offset1:30
	v_add_u32_e32 v9, 0x2000, v9
	s_or_b64 s[12:13], vcc, s[12:13]
	v_mov_b32_e32 v10, s18
	s_andn2_b64 exec, exec, s[12:13]
	s_cbranch_execnz .LBB229_28
; %bb.29:
	s_or_b64 exec, exec, s[12:13]
.LBB229_30:
	s_or_b64 exec, exec, s[10:11]
	v_and_b32_e32 v7, 7, v7
	v_cmp_ne_u32_e32 vcc, 0, v7
	s_and_saveexec_b64 s[10:11], vcc
	s_cbranch_execz .LBB229_33
; %bb.31:
	v_lshlrev_b32_e32 v8, 9, v10
	v_lshlrev_b32_e32 v9, 2, v0
	s_movk_i32 s12, 0xb0
	v_add3_u32 v8, v8, v9, s12
	s_mov_b64 s[12:13], 0
.LBB229_32:                             ; =>This Inner Loop Header: Depth=1
	ds_read2st64_b32 v[10:11], v8 offset1:2
	v_add_u32_e32 v7, -1, v7
	v_cmp_eq_u32_e32 vcc, 0, v7
	s_or_b64 s[12:13], vcc, s[12:13]
	s_waitcnt lgkmcnt(0)
	v_pk_mul_f32 v[10:11], v[4:5], v[10:11]
	ds_write2st64_b32 v8, v10, v11 offset1:2
	v_add_u32_e32 v8, 0x400, v8
	s_andn2_b64 exec, exec, s[12:13]
	s_cbranch_execnz .LBB229_32
.LBB229_33:
	s_or_b64 exec, exec, s[10:11]
	v_add_u32_e32 v6, 1, v6
	v_and_b32_e32 v7, 0x3fffffe, v6
	v_cmp_ne_u32_e32 vcc, v6, v7
	v_lshl_add_u32 v5, v7, 7, v0
	s_orn2_b64 s[10:11], vcc, exec
.LBB229_34:
	s_or_b64 exec, exec, s[8:9]
	s_and_b64 exec, exec, s[10:11]
	s_cbranch_execz .LBB229_37
; %bb.35:
	v_mov_b32_e32 v6, 0xb0
	v_lshl_add_u32 v6, v5, 2, v6
	s_mov_b64 s[8:9], 0
.LBB229_36:                             ; =>This Inner Loop Header: Depth=1
	ds_read_b32 v7, v6
	v_add_u32_e32 v5, 0x80, v5
	v_cmp_le_i32_e32 vcc, s34, v5
	s_or_b64 s[8:9], vcc, s[8:9]
	s_waitcnt lgkmcnt(0)
	v_mul_f32_e32 v7, v4, v7
	ds_write_b32 v6, v7
	v_add_u32_e32 v6, 0x200, v6
	s_andn2_b64 exec, exec, s[8:9]
	s_cbranch_execnz .LBB229_36
.LBB229_37:
	s_or_b64 exec, exec, s[0:1]
	s_mov_b32 s0, 0
	s_mov_b32 s1, s0
	s_waitcnt lgkmcnt(0)
	v_mov_b64_e32 v[4:5], s[0:1]
	s_barrier
	s_and_saveexec_b64 s[8:9], s[2:3]
	s_cbranch_execz .LBB229_175
; %bb.38:
	s_ashr_i32 s3, s16, 31
	s_add_u32 s2, s30, s16
	v_or_b32_e32 v4, 64, v3
	s_movk_i32 s10, 0x50
	s_addc_u32 s3, s31, s3
	s_add_i32 s30, s33, -1
	v_cmp_gt_u32_e32 vcc, s10, v4
	s_lshl_b64 s[10:11], s[28:29], 2
	s_add_u32 s10, s26, s10
	v_mov_b32_e32 v9, 0
	v_lshlrev_b32_e32 v10, 3, v4
	v_mov_b32_e32 v4, 0xb0
	v_and_b32_e32 v8, 60, v12
	s_addc_u32 s11, s27, s11
	s_mov_b32 s34, s17
	v_lshlrev_b32_e32 v6, 3, v3
	v_mov_b32_e32 v7, v9
	v_mov_b32_e32 v11, v9
	s_mov_b32 s31, s21
	v_lshlrev_b32_e32 v26, 3, v1
	v_lshl_add_u32 v27, v1, 5, v4
	v_lshl_add_u64 v[12:13], s[10:11], 0, v[8:9]
	s_mov_b64 s[10:11], 0
	v_mov_b64_e32 v[4:5], s[0:1]
	v_mov_b64_e32 v[14:15], s[2:3]
	s_movk_i32 s28, 0x7f
	s_movk_i32 s29, 0x80
	s_mov_b32 s35, 0x8000
	s_movk_i32 s36, 0x380
	s_mov_b32 s37, 0x3020706
	s_mov_b32 s38, 0x1000504
	;; [unrolled: 1-line block ×3, first 2 shown]
	v_mov_b32_e32 v28, 0x1c00
	s_branch .LBB229_41
.LBB229_39:                             ;   in Loop: Header=BB229_41 Depth=1
	s_or_b64 exec, exec, s[16:17]
	;;#ASMSTART
	v_pk_mul_f16 v18, v30, v19;

	;;#ASMEND
	;;#ASMSTART
	v_pk_mul_f16 v8, v29, v8;

	;;#ASMEND
	;; [unrolled: 4-line block ×4, first 2 shown]
	s_nop 0
	;;#ASMSTART
	v_pk_add_f16 v8, v18, v8;

	;;#ASMEND
	s_nop 0
	;;#ASMSTART
	v_pk_add_f16 v8, v8, v17;

	;;#ASMEND
	;; [unrolled: 5-line block ×3, first 2 shown]
	s_nop 0
	v_lshrrev_b32_e32 v16, 16, v8
	v_and_b32_e32 v8, 0xffff, v8
	;;#ASMSTART
	v_cvt_f32_f16 v8, v8;
	;;#ASMEND
	;;#ASMSTART
	v_cvt_f32_f16 v16, v16;
	;;#ASMEND
	s_nop 0
	v_add_f32_e32 v8, v8, v16
	v_add_f32_e32 v5, v5, v8
.LBB229_40:                             ;   in Loop: Header=BB229_41 Depth=1
	s_or_b64 exec, exec, s[12:13]
	v_add_u32_e32 v1, 2, v1
	v_cmp_le_i32_e64 s[0:1], s33, v1
	v_add_u32_e32 v26, 16, v26
	v_add_u32_e32 v27, 64, v27
	s_or_b64 s[10:11], s[0:1], s[10:11]
	v_lshl_add_u64 v[12:13], v[12:13], 0, 8
	s_andn2_b64 exec, exec, s[10:11]
	s_cbranch_execz .LBB229_174
.LBB229_41:                             ; =>This Inner Loop Header: Depth=1
	ds_read2_b64 v[20:23], v27 offset1:1
	ds_read2_b64 v[34:37], v27 offset0:2 offset1:3
                                        ; implicit-def: $sgpr16
	s_waitcnt lgkmcnt(1)
	;;#ASMSTART
	v_cvt_f16_f32 v19, v20;

	;;#ASMEND
	;;#ASMSTART
	v_cvt_f16_f32 v29, v21;

	;;#ASMEND
	;; [unrolled: 4-line block ×4, first 2 shown]
	s_waitcnt lgkmcnt(0)
	;;#ASMSTART
	v_cvt_f16_f32 v33, v34;

	;;#ASMEND
	;;#ASMSTART
	v_cvt_f16_f32 v34, v35;

	;;#ASMEND
	;; [unrolled: 4-line block ×4, first 2 shown]
	global_load_dword v8, v[12:13], off
	s_waitcnt vmcnt(0)
	v_mad_i64_i32 v[16:17], s[0:1], v8, s34, v[14:15]
	v_lshl_add_u64 v[22:23], v[16:17], 0, v[6:7]
	global_load_dwordx2 v[20:21], v[22:23], off
	global_load_dword v18, v9, s[14:15]
	s_mov_b64 s[0:1], 0
	s_waitcnt vmcnt(1)
	v_cmp_gt_i16_sdwa s[2:3], v20, s28 src0_sel:BYTE_0 src1_sel:DWORD
	s_and_saveexec_b64 s[12:13], s[2:3]
	s_xor_b64 s[2:3], exec, s[12:13]
	s_cbranch_execnz .LBB229_110
; %bb.42:                               ;   in Loop: Header=BB229_41 Depth=1
	s_or_saveexec_b64 s[2:3], s[2:3]
	v_mov_b32_e32 v22, s16
	s_xor_b64 exec, exec, s[2:3]
	s_cbranch_execnz .LBB229_113
.LBB229_43:                             ;   in Loop: Header=BB229_41 Depth=1
	s_or_b64 exec, exec, s[2:3]
	s_and_saveexec_b64 s[2:3], s[0:1]
	s_cbranch_execz .LBB229_45
.LBB229_44:                             ;   in Loop: Header=BB229_41 Depth=1
	v_and_b32_e32 v8, 7, v20
	v_ffbh_u32_e32 v8, v8
	v_bfe_u32 v22, v20, 3, 4
	v_min_u32_e32 v8, 32, v8
	v_subrev_u32_e32 v23, 28, v8
	v_sub_u32_e32 v8, 29, v8
	v_cmp_eq_u32_e64 s[0:1], 0, v22
	s_nop 1
	v_cndmask_b32_e64 v8, v22, v8, s[0:1]
	v_cndmask_b32_e64 v22, 0, v23, s[0:1]
	v_lshlrev_b64 v[22:23], v22, v[20:21]
	v_lshlrev_b32_e32 v23, 8, v20
	v_lshl_add_u32 v8, v8, 10, v28
	v_lshlrev_b32_e32 v22, 7, v22
	v_and_or_b32 v8, v23, s35, v8
	v_and_or_b32 v8, v22, s36, v8
	v_cvt_f32_f16_e32 v22, v8
.LBB229_45:                             ;   in Loop: Header=BB229_41 Depth=1
	s_or_b64 exec, exec, s[2:3]
	v_lshrrev_b16_e32 v8, 8, v20
	v_cmp_lt_i16_e64 s[0:1], s28, v8
	s_mov_b64 s[2:3], 0
                                        ; implicit-def: $sgpr18
	s_and_saveexec_b64 s[12:13], s[0:1]
	s_xor_b64 s[12:13], exec, s[12:13]
	s_cbranch_execnz .LBB229_114
; %bb.46:                               ;   in Loop: Header=BB229_41 Depth=1
	s_or_saveexec_b64 s[12:13], s[12:13]
	v_mov_b32_e32 v24, s18
	s_xor_b64 exec, exec, s[12:13]
	s_cbranch_execnz .LBB229_117
.LBB229_47:                             ;   in Loop: Header=BB229_41 Depth=1
	s_or_b64 exec, exec, s[12:13]
	s_and_saveexec_b64 s[12:13], s[2:3]
	s_cbranch_execz .LBB229_49
.LBB229_48:                             ;   in Loop: Header=BB229_41 Depth=1
	v_and_b32_e32 v23, 7, v8
	v_ffbh_u32_e32 v24, v23
	v_min_u32_e32 v37, 32, v24
	v_subrev_u32_e32 v24, 28, v37
	v_bfe_u32 v30, v8, 3, 4
	v_lshlrev_b64 v[24:25], v24, v[8:9]
	v_sub_u32_e32 v25, 29, v37
	v_cmp_eq_u32_e64 s[0:1], 0, v30
	v_and_b32_e32 v24, 7, v24
	v_lshlrev_b32_e32 v8, 8, v8
	v_cndmask_b32_e64 v25, v30, v25, s[0:1]
	v_cndmask_b32_e64 v23, v23, v24, s[0:1]
	v_lshl_add_u32 v24, v25, 10, v28
	v_and_or_b32 v8, v8, s35, v24
	v_lshl_or_b32 v8, v23, 7, v8
	v_cvt_f32_f16_e32 v24, v8
.LBB229_49:                             ;   in Loop: Header=BB229_41 Depth=1
	s_or_b64 exec, exec, s[12:13]
	v_lshrrev_b32_e32 v8, 16, v20
	v_cmp_gt_i16_sdwa s[2:3], v8, s28 src0_sel:BYTE_0 src1_sel:DWORD
	s_mov_b64 s[0:1], 0
                                        ; implicit-def: $sgpr16
	s_and_saveexec_b64 s[12:13], s[2:3]
	s_xor_b64 s[2:3], exec, s[12:13]
	s_cbranch_execnz .LBB229_118
; %bb.50:                               ;   in Loop: Header=BB229_41 Depth=1
	s_or_saveexec_b64 s[2:3], s[2:3]
	v_mov_b32_e32 v23, s16
	s_xor_b64 exec, exec, s[2:3]
	s_cbranch_execnz .LBB229_121
.LBB229_51:                             ;   in Loop: Header=BB229_41 Depth=1
	s_or_b64 exec, exec, s[2:3]
	s_and_saveexec_b64 s[2:3], s[0:1]
	s_cbranch_execz .LBB229_53
.LBB229_52:                             ;   in Loop: Header=BB229_41 Depth=1
	v_bfe_u32 v23, v20, 16, 3
	v_ffbh_u32_e32 v30, v23
	v_bfe_u32 v25, v20, 19, 4
	v_min_u32_e32 v30, 32, v30
	v_subrev_u32_e32 v37, 28, v30
	v_sub_u32_e32 v30, 29, v30
	v_cmp_eq_u32_e64 s[0:1], 0, v25
	v_lshlrev_b64 v[38:39], v37, v[8:9]
	v_and_b32_e32 v37, 7, v38
	v_cndmask_b32_e64 v25, v25, v30, s[0:1]
	v_lshlrev_b32_e32 v8, 8, v8
	v_lshl_add_u32 v25, v25, 10, v28
	v_cndmask_b32_e64 v23, v23, v37, s[0:1]
	v_and_or_b32 v8, v8, s35, v25
	v_lshl_or_b32 v8, v23, 7, v8
	v_cvt_f32_f16_e32 v23, v8
.LBB229_53:                             ;   in Loop: Header=BB229_41 Depth=1
	s_or_b64 exec, exec, s[2:3]
	v_lshrrev_b32_e32 v8, 24, v20
	v_cmp_lt_i16_e64 s[0:1], s28, v8
	s_mov_b64 s[2:3], 0
                                        ; implicit-def: $sgpr18
	s_and_saveexec_b64 s[12:13], s[0:1]
	s_xor_b64 s[12:13], exec, s[12:13]
	s_cbranch_execnz .LBB229_122
; %bb.54:                               ;   in Loop: Header=BB229_41 Depth=1
	s_or_saveexec_b64 s[12:13], s[12:13]
	v_mov_b32_e32 v25, s18
	s_xor_b64 exec, exec, s[12:13]
	s_cbranch_execnz .LBB229_125
.LBB229_55:                             ;   in Loop: Header=BB229_41 Depth=1
	s_or_b64 exec, exec, s[12:13]
	s_and_saveexec_b64 s[12:13], s[2:3]
	s_cbranch_execz .LBB229_57
.LBB229_56:                             ;   in Loop: Header=BB229_41 Depth=1
	v_bfe_u32 v25, v20, 24, 3
	v_ffbh_u32_e32 v30, v25
	v_bfe_u32 v20, v20, 27, 4
	v_min_u32_e32 v30, 32, v30
	v_subrev_u32_e32 v37, 28, v30
	v_sub_u32_e32 v30, 29, v30
	v_cmp_eq_u32_e64 s[0:1], 0, v20
	v_lshlrev_b64 v[38:39], v37, v[8:9]
	v_and_b32_e32 v37, 7, v38
	v_cndmask_b32_e64 v20, v20, v30, s[0:1]
	v_lshlrev_b32_e32 v8, 8, v8
	v_lshl_add_u32 v20, v20, 10, v28
	v_cndmask_b32_e64 v25, v25, v37, s[0:1]
	v_and_or_b32 v8, v8, s35, v20
	v_lshl_or_b32 v8, v25, 7, v8
	v_cvt_f32_f16_e32 v25, v8
.LBB229_57:                             ;   in Loop: Header=BB229_41 Depth=1
	s_or_b64 exec, exec, s[12:13]
	v_cmp_gt_i16_sdwa s[2:3], v21, s28 src0_sel:BYTE_0 src1_sel:DWORD
	s_mov_b64 s[0:1], 0
                                        ; implicit-def: $sgpr16
	s_and_saveexec_b64 s[12:13], s[2:3]
	s_xor_b64 s[2:3], exec, s[12:13]
	s_cbranch_execnz .LBB229_126
; %bb.58:                               ;   in Loop: Header=BB229_41 Depth=1
	s_or_saveexec_b64 s[2:3], s[2:3]
	v_mov_b32_e32 v20, s16
	s_xor_b64 exec, exec, s[2:3]
	s_cbranch_execnz .LBB229_129
.LBB229_59:                             ;   in Loop: Header=BB229_41 Depth=1
	s_or_b64 exec, exec, s[2:3]
	v_mov_b32_e32 v8, v21
	s_and_saveexec_b64 s[2:3], s[0:1]
	s_cbranch_execz .LBB229_61
.LBB229_60:                             ;   in Loop: Header=BB229_41 Depth=1
	v_and_b32_e32 v20, 7, v21
	v_ffbh_u32_e32 v20, v20
	v_bfe_u32 v30, v21, 3, 4
	v_min_u32_e32 v20, 32, v20
	v_subrev_u32_e32 v37, 28, v20
	v_sub_u32_e32 v20, 29, v20
	v_cmp_eq_u32_e64 s[0:1], 0, v30
	s_nop 1
	v_cndmask_b32_e64 v20, v30, v20, s[0:1]
	v_cndmask_b32_e64 v30, 0, v37, s[0:1]
	v_lshlrev_b64 v[38:39], v30, v[8:9]
	v_lshlrev_b32_e32 v37, 8, v21
	v_lshl_add_u32 v20, v20, 10, v28
	v_lshlrev_b32_e32 v30, 7, v38
	v_and_or_b32 v20, v37, s35, v20
	v_and_or_b32 v20, v30, s36, v20
	v_cvt_f32_f16_e32 v20, v20
.LBB229_61:                             ;   in Loop: Header=BB229_41 Depth=1
	s_or_b64 exec, exec, s[2:3]
	v_lshrrev_b16_e32 v8, 8, v8
	v_cmp_lt_i16_e64 s[0:1], s28, v8
	s_mov_b64 s[2:3], 0
                                        ; implicit-def: $sgpr18
	s_and_saveexec_b64 s[12:13], s[0:1]
	s_xor_b64 s[12:13], exec, s[12:13]
	s_cbranch_execnz .LBB229_130
; %bb.62:                               ;   in Loop: Header=BB229_41 Depth=1
	s_or_saveexec_b64 s[12:13], s[12:13]
	v_mov_b32_e32 v30, s18
	s_xor_b64 exec, exec, s[12:13]
	s_cbranch_execnz .LBB229_133
.LBB229_63:                             ;   in Loop: Header=BB229_41 Depth=1
	s_or_b64 exec, exec, s[12:13]
	s_and_saveexec_b64 s[12:13], s[2:3]
	s_cbranch_execz .LBB229_65
.LBB229_64:                             ;   in Loop: Header=BB229_41 Depth=1
	v_and_b32_e32 v30, 7, v8
	v_ffbh_u32_e32 v38, v30
	v_min_u32_e32 v40, 32, v38
	v_subrev_u32_e32 v38, 28, v40
	v_bfe_u32 v37, v8, 3, 4
	v_lshlrev_b64 v[38:39], v38, v[8:9]
	v_sub_u32_e32 v39, 29, v40
	v_cmp_eq_u32_e64 s[0:1], 0, v37
	v_and_b32_e32 v38, 7, v38
	v_lshlrev_b32_e32 v8, 8, v8
	v_cndmask_b32_e64 v37, v37, v39, s[0:1]
	v_lshl_add_u32 v37, v37, 10, v28
	v_cndmask_b32_e64 v30, v30, v38, s[0:1]
	v_and_or_b32 v8, v8, s35, v37
	v_lshl_or_b32 v8, v30, 7, v8
	v_cvt_f32_f16_e32 v30, v8
.LBB229_65:                             ;   in Loop: Header=BB229_41 Depth=1
	s_or_b64 exec, exec, s[12:13]
	v_lshrrev_b32_e32 v8, 16, v21
	v_cmp_gt_i16_sdwa s[2:3], v8, s28 src0_sel:BYTE_0 src1_sel:DWORD
	s_mov_b64 s[0:1], 0
                                        ; implicit-def: $sgpr16
	s_and_saveexec_b64 s[12:13], s[2:3]
	s_xor_b64 s[2:3], exec, s[12:13]
	s_cbranch_execnz .LBB229_134
; %bb.66:                               ;   in Loop: Header=BB229_41 Depth=1
	s_or_saveexec_b64 s[2:3], s[2:3]
	v_mov_b32_e32 v37, s16
	s_xor_b64 exec, exec, s[2:3]
	s_cbranch_execnz .LBB229_137
.LBB229_67:                             ;   in Loop: Header=BB229_41 Depth=1
	s_or_b64 exec, exec, s[2:3]
	s_and_saveexec_b64 s[2:3], s[0:1]
	s_cbranch_execz .LBB229_69
.LBB229_68:                             ;   in Loop: Header=BB229_41 Depth=1
	v_bfe_u32 v37, v21, 16, 3
	v_ffbh_u32_e32 v38, v37
	v_min_u32_e32 v41, 32, v38
	v_subrev_u32_e32 v38, 28, v41
	v_bfe_u32 v40, v21, 19, 4
	v_lshlrev_b64 v[38:39], v38, v[8:9]
	v_sub_u32_e32 v39, 29, v41
	v_cmp_eq_u32_e64 s[0:1], 0, v40
	v_and_b32_e32 v38, 7, v38
	v_lshlrev_b32_e32 v8, 8, v8
	v_cndmask_b32_e64 v39, v40, v39, s[0:1]
	v_cndmask_b32_e64 v37, v37, v38, s[0:1]
	v_lshl_add_u32 v38, v39, 10, v28
	v_and_or_b32 v8, v8, s35, v38
	v_lshl_or_b32 v8, v37, 7, v8
	v_cvt_f32_f16_e32 v37, v8
.LBB229_69:                             ;   in Loop: Header=BB229_41 Depth=1
	s_or_b64 exec, exec, s[2:3]
	v_lshrrev_b32_e32 v8, 24, v21
	v_cmp_lt_i16_e64 s[0:1], s28, v8
	s_mov_b64 s[2:3], 0
                                        ; implicit-def: $sgpr18
	s_and_saveexec_b64 s[12:13], s[0:1]
	s_xor_b64 s[12:13], exec, s[12:13]
	s_cbranch_execnz .LBB229_138
; %bb.70:                               ;   in Loop: Header=BB229_41 Depth=1
	s_or_saveexec_b64 s[12:13], s[12:13]
	v_mov_b32_e32 v38, s18
	s_xor_b64 exec, exec, s[12:13]
	s_cbranch_execnz .LBB229_141
.LBB229_71:                             ;   in Loop: Header=BB229_41 Depth=1
	s_or_b64 exec, exec, s[12:13]
	s_and_saveexec_b64 s[12:13], s[2:3]
	s_cbranch_execz .LBB229_73
.LBB229_72:                             ;   in Loop: Header=BB229_41 Depth=1
	v_bfe_u32 v40, v21, 24, 3
	v_ffbh_u32_e32 v38, v40
	v_min_u32_e32 v41, 32, v38
	v_subrev_u32_e32 v38, 28, v41
	v_bfe_u32 v21, v21, 27, 4
	v_lshlrev_b64 v[38:39], v38, v[8:9]
	v_sub_u32_e32 v39, 29, v41
	v_cmp_eq_u32_e64 s[0:1], 0, v21
	v_and_b32_e32 v38, 7, v38
	v_lshlrev_b32_e32 v8, 8, v8
	v_cndmask_b32_e64 v21, v21, v39, s[0:1]
	v_lshl_add_u32 v21, v21, 10, v28
	v_cndmask_b32_e64 v38, v40, v38, s[0:1]
	v_and_or_b32 v8, v8, s35, v21
	v_lshl_or_b32 v8, v38, 7, v8
	v_cvt_f32_f16_e32 v38, v8
.LBB229_73:                             ;   in Loop: Header=BB229_41 Depth=1
	s_or_b64 exec, exec, s[12:13]
	s_waitcnt vmcnt(0)
	v_pk_mul_f32 v[24:25], v[18:19], v[24:25] op_sel_hi:[0,1]
	v_pk_mul_f32 v[22:23], v[18:19], v[22:23] op_sel_hi:[0,1]
	v_cvt_f16_f32_e32 v8, v25
	v_cvt_f16_f32_e32 v21, v24
	;; [unrolled: 1-line block ×4, first 2 shown]
	v_fma_mixlo_f16 v20, v18, v20, 0
	v_pack_b32_f16 v21, v21, v8
	v_cmp_eq_u32_e64 s[2:3], s30, v1
	v_pack_b32_f16 v22, v22, v23
	v_perm_b32 v8, v22, v21, s37
	v_perm_b32 v21, v22, v21, s38
	v_fma_mixlo_f16 v22, v18, v30, 0
	v_lshlrev_b32_e32 v22, 16, v22
	v_or_b32_sdwa v20, v22, v20 dst_sel:DWORD dst_unused:UNUSED_PAD src0_sel:DWORD src1_sel:WORD_0
	v_fma_mixlo_f16 v22, v18, v37, 0
	v_fma_mixlo_f16 v18, v18, v38, 0
	v_lshlrev_b32_e32 v18, 16, v18
	v_or_b32_sdwa v18, v18, v22 dst_sel:DWORD dst_unused:UNUSED_PAD src0_sel:DWORD src1_sel:WORD_0
	s_and_saveexec_b64 s[12:13], s[2:3]
	s_cbranch_execz .LBB229_75
; %bb.74:                               ;   in Loop: Header=BB229_41 Depth=1
	v_add_u32_e32 v23, 1, v26
	v_lshrrev_b32_e32 v24, 16, v21
	v_cmp_gt_i32_e64 s[0:1], s31, v23
	v_lshrrev_b32_e32 v25, 16, v8
	v_lshrrev_b32_e32 v18, 16, v18
	v_cndmask_b32_e64 v23, 0, v24, s[0:1]
	v_cmp_gt_i32_e64 s[0:1], s21, v26
	v_or_b32_e32 v24, 2, v26
	s_nop 0
	v_cndmask_b32_e64 v21, 0, v21, s[0:1]
	v_perm_b32 v21, v23, v21, s39
	v_or_b32_e32 v23, 3, v26
	v_cmp_gt_i32_e64 s[0:1], s31, v23
	s_nop 1
	v_cndmask_b32_e64 v23, 0, v25, s[0:1]
	v_cmp_gt_i32_e64 s[0:1], s21, v24
	v_or_b32_e32 v24, 4, v26
	v_lshrrev_b32_e32 v25, 16, v20
	v_cndmask_b32_e64 v8, 0, v8, s[0:1]
	v_perm_b32 v8, v23, v8, s39
	v_or_b32_e32 v23, 5, v26
	v_cmp_gt_i32_e64 s[0:1], s31, v23
	s_nop 1
	v_cndmask_b32_e64 v23, 0, v25, s[0:1]
	v_cmp_gt_i32_e64 s[0:1], s21, v24
	v_or_b32_e32 v24, 6, v26
	s_nop 0
	v_cndmask_b32_e64 v20, 0, v20, s[0:1]
	v_perm_b32 v20, v23, v20, s39
	v_or_b32_e32 v23, 7, v26
	v_cmp_gt_i32_e64 s[0:1], s31, v23
	s_nop 1
	v_cndmask_b32_e64 v18, 0, v18, s[0:1]
	v_cmp_gt_i32_e64 s[0:1], s21, v24
	s_nop 1
	v_cndmask_b32_e64 v22, 0, v22, s[0:1]
	v_perm_b32 v18, v18, v22, s39
.LBB229_75:                             ;   in Loop: Header=BB229_41 Depth=1
	s_or_b64 exec, exec, s[12:13]
	v_and_b32_e32 v19, 0xffff, v19
	v_lshl_or_b32 v30, v29, 16, v19
	v_and_b32_e32 v19, 0xffff, v31
	v_lshl_or_b32 v29, v32, 16, v19
	;; [unrolled: 2-line block ×4, first 2 shown]
	;;#ASMSTART
	v_pk_mul_f16 v19, v30, v21;

	;;#ASMEND
	;;#ASMSTART
	v_pk_mul_f16 v8, v29, v8;

	;;#ASMEND
	;; [unrolled: 4-line block ×4, first 2 shown]
	s_nop 0
	;;#ASMSTART
	v_pk_add_f16 v8, v19, v8;

	;;#ASMEND
	s_nop 0
	;;#ASMSTART
	v_pk_add_f16 v8, v8, v20;

	;;#ASMEND
	;; [unrolled: 5-line block ×3, first 2 shown]
	s_nop 0
	v_lshrrev_b32_e32 v18, 16, v8
	v_and_b32_e32 v8, 0xffff, v8
	;;#ASMSTART
	v_cvt_f32_f16 v8, v8;
	;;#ASMEND
	;;#ASMSTART
	v_cvt_f32_f16 v18, v18;
	;;#ASMEND
	s_nop 0
	v_add_f32_e32 v8, v8, v18
	v_add_f32_e32 v4, v4, v8
	s_and_saveexec_b64 s[12:13], vcc
	s_cbranch_execz .LBB229_40
; %bb.76:                               ;   in Loop: Header=BB229_41 Depth=1
	v_lshl_add_u64 v[20:21], v[16:17], 0, v[10:11]
	global_load_dwordx2 v[18:19], v[20:21], off
	global_load_dword v16, v9, s[14:15]
	s_mov_b64 s[0:1], 0
                                        ; implicit-def: $sgpr26
	s_waitcnt vmcnt(1)
	v_cmp_gt_i16_sdwa s[16:17], v18, s28 src0_sel:BYTE_0 src1_sel:DWORD
	s_and_saveexec_b64 s[18:19], s[16:17]
	s_xor_b64 s[16:17], exec, s[18:19]
	s_cbranch_execnz .LBB229_142
; %bb.77:                               ;   in Loop: Header=BB229_41 Depth=1
	s_or_saveexec_b64 s[16:17], s[16:17]
	v_mov_b32_e32 v20, s26
	s_xor_b64 exec, exec, s[16:17]
	s_cbranch_execnz .LBB229_145
.LBB229_78:                             ;   in Loop: Header=BB229_41 Depth=1
	s_or_b64 exec, exec, s[16:17]
	s_and_saveexec_b64 s[16:17], s[0:1]
	s_cbranch_execz .LBB229_80
.LBB229_79:                             ;   in Loop: Header=BB229_41 Depth=1
	v_and_b32_e32 v8, 7, v18
	v_ffbh_u32_e32 v8, v8
	v_bfe_u32 v17, v18, 3, 4
	v_min_u32_e32 v8, 32, v8
	v_subrev_u32_e32 v20, 28, v8
	v_sub_u32_e32 v8, 29, v8
	v_cmp_eq_u32_e64 s[0:1], 0, v17
	s_nop 1
	v_cndmask_b32_e64 v8, v17, v8, s[0:1]
	v_cndmask_b32_e64 v17, 0, v20, s[0:1]
	v_lshlrev_b64 v[20:21], v17, v[18:19]
	v_lshlrev_b32_e32 v17, 7, v20
	v_lshlrev_b32_e32 v20, 8, v18
	v_lshl_add_u32 v8, v8, 10, v28
	v_and_or_b32 v8, v20, s35, v8
	v_and_or_b32 v8, v17, s36, v8
	v_cvt_f32_f16_e32 v20, v8
.LBB229_80:                             ;   in Loop: Header=BB229_41 Depth=1
	s_or_b64 exec, exec, s[16:17]
	v_lshrrev_b16_e32 v8, 8, v18
	v_cmp_lt_i16_e64 s[0:1], s28, v8
	s_mov_b64 s[16:17], 0
                                        ; implicit-def: $sgpr40
	s_and_saveexec_b64 s[18:19], s[0:1]
	s_xor_b64 s[18:19], exec, s[18:19]
	s_cbranch_execnz .LBB229_146
; %bb.81:                               ;   in Loop: Header=BB229_41 Depth=1
	s_or_saveexec_b64 s[18:19], s[18:19]
	v_mov_b32_e32 v22, s40
	s_xor_b64 exec, exec, s[18:19]
	s_cbranch_execnz .LBB229_149
.LBB229_82:                             ;   in Loop: Header=BB229_41 Depth=1
	s_or_b64 exec, exec, s[18:19]
	s_and_saveexec_b64 s[18:19], s[16:17]
	s_cbranch_execz .LBB229_84
.LBB229_83:                             ;   in Loop: Header=BB229_41 Depth=1
	v_and_b32_e32 v17, 7, v8
	v_ffbh_u32_e32 v22, v17
	v_min_u32_e32 v31, 32, v22
	v_subrev_u32_e32 v22, 28, v31
	v_bfe_u32 v21, v8, 3, 4
	v_lshlrev_b64 v[22:23], v22, v[8:9]
	v_sub_u32_e32 v23, 29, v31
	v_cmp_eq_u32_e64 s[0:1], 0, v21
	v_and_b32_e32 v22, 7, v22
	v_lshlrev_b32_e32 v8, 8, v8
	v_cndmask_b32_e64 v21, v21, v23, s[0:1]
	v_lshl_add_u32 v21, v21, 10, v28
	v_cndmask_b32_e64 v17, v17, v22, s[0:1]
	v_and_or_b32 v8, v8, s35, v21
	v_lshl_or_b32 v8, v17, 7, v8
	v_cvt_f32_f16_e32 v22, v8
.LBB229_84:                             ;   in Loop: Header=BB229_41 Depth=1
	s_or_b64 exec, exec, s[18:19]
	v_lshrrev_b32_e32 v8, 16, v18
	v_cmp_gt_i16_sdwa s[16:17], v8, s28 src0_sel:BYTE_0 src1_sel:DWORD
	s_mov_b64 s[0:1], 0
                                        ; implicit-def: $sgpr26
	s_and_saveexec_b64 s[18:19], s[16:17]
	s_xor_b64 s[16:17], exec, s[18:19]
	s_cbranch_execnz .LBB229_150
; %bb.85:                               ;   in Loop: Header=BB229_41 Depth=1
	s_or_saveexec_b64 s[16:17], s[16:17]
	v_mov_b32_e32 v21, s26
	s_xor_b64 exec, exec, s[16:17]
	s_cbranch_execnz .LBB229_153
.LBB229_86:                             ;   in Loop: Header=BB229_41 Depth=1
	s_or_b64 exec, exec, s[16:17]
	s_and_saveexec_b64 s[16:17], s[0:1]
	s_cbranch_execz .LBB229_88
.LBB229_87:                             ;   in Loop: Header=BB229_41 Depth=1
	v_bfe_u32 v17, v18, 16, 3
	v_ffbh_u32_e32 v23, v17
	v_bfe_u32 v21, v18, 19, 4
	v_min_u32_e32 v23, 32, v23
	v_subrev_u32_e32 v31, 28, v23
	v_sub_u32_e32 v23, 29, v23
	v_cmp_eq_u32_e64 s[0:1], 0, v21
	v_lshlrev_b64 v[32:33], v31, v[8:9]
	v_and_b32_e32 v31, 7, v32
	v_cndmask_b32_e64 v21, v21, v23, s[0:1]
	v_lshlrev_b32_e32 v8, 8, v8
	v_lshl_add_u32 v21, v21, 10, v28
	v_cndmask_b32_e64 v17, v17, v31, s[0:1]
	v_and_or_b32 v8, v8, s35, v21
	v_lshl_or_b32 v8, v17, 7, v8
	v_cvt_f32_f16_e32 v21, v8
.LBB229_88:                             ;   in Loop: Header=BB229_41 Depth=1
	s_or_b64 exec, exec, s[16:17]
	v_lshrrev_b32_e32 v8, 24, v18
	v_cmp_lt_i16_e64 s[0:1], s28, v8
	s_mov_b64 s[16:17], 0
                                        ; implicit-def: $sgpr40
	s_and_saveexec_b64 s[18:19], s[0:1]
	s_xor_b64 s[18:19], exec, s[18:19]
	s_cbranch_execnz .LBB229_154
; %bb.89:                               ;   in Loop: Header=BB229_41 Depth=1
	s_or_saveexec_b64 s[18:19], s[18:19]
	v_mov_b32_e32 v23, s40
	s_xor_b64 exec, exec, s[18:19]
	s_cbranch_execnz .LBB229_157
.LBB229_90:                             ;   in Loop: Header=BB229_41 Depth=1
	s_or_b64 exec, exec, s[18:19]
	s_and_saveexec_b64 s[18:19], s[16:17]
	s_cbranch_execz .LBB229_92
.LBB229_91:                             ;   in Loop: Header=BB229_41 Depth=1
	v_bfe_u32 v17, v18, 24, 3
	v_ffbh_u32_e32 v23, v17
	v_bfe_u32 v18, v18, 27, 4
	v_min_u32_e32 v23, 32, v23
	v_subrev_u32_e32 v31, 28, v23
	v_sub_u32_e32 v23, 29, v23
	v_cmp_eq_u32_e64 s[0:1], 0, v18
	v_lshlrev_b64 v[32:33], v31, v[8:9]
	v_and_b32_e32 v31, 7, v32
	v_cndmask_b32_e64 v18, v18, v23, s[0:1]
	v_lshlrev_b32_e32 v8, 8, v8
	v_lshl_add_u32 v18, v18, 10, v28
	v_cndmask_b32_e64 v17, v17, v31, s[0:1]
	v_and_or_b32 v8, v8, s35, v18
	v_lshl_or_b32 v8, v17, 7, v8
	v_cvt_f32_f16_e32 v23, v8
.LBB229_92:                             ;   in Loop: Header=BB229_41 Depth=1
	s_or_b64 exec, exec, s[18:19]
	v_cmp_gt_i16_sdwa s[16:17], v19, s28 src0_sel:BYTE_0 src1_sel:DWORD
	s_mov_b64 s[0:1], 0
                                        ; implicit-def: $sgpr26
	s_and_saveexec_b64 s[18:19], s[16:17]
	s_xor_b64 s[16:17], exec, s[18:19]
	s_cbranch_execnz .LBB229_158
; %bb.93:                               ;   in Loop: Header=BB229_41 Depth=1
	s_or_saveexec_b64 s[16:17], s[16:17]
	v_mov_b32_e32 v17, s26
	s_xor_b64 exec, exec, s[16:17]
	s_cbranch_execnz .LBB229_161
.LBB229_94:                             ;   in Loop: Header=BB229_41 Depth=1
	s_or_b64 exec, exec, s[16:17]
	v_mov_b32_e32 v8, v19
	s_and_saveexec_b64 s[16:17], s[0:1]
	s_cbranch_execz .LBB229_96
.LBB229_95:                             ;   in Loop: Header=BB229_41 Depth=1
	v_and_b32_e32 v17, 7, v19
	v_ffbh_u32_e32 v17, v17
	v_bfe_u32 v18, v19, 3, 4
	v_min_u32_e32 v17, 32, v17
	v_subrev_u32_e32 v31, 28, v17
	v_sub_u32_e32 v17, 29, v17
	v_cmp_eq_u32_e64 s[0:1], 0, v18
	s_nop 1
	v_cndmask_b32_e64 v17, v18, v17, s[0:1]
	v_cndmask_b32_e64 v18, 0, v31, s[0:1]
	v_lshlrev_b64 v[32:33], v18, v[8:9]
	v_lshlrev_b32_e32 v31, 8, v19
	v_lshl_add_u32 v17, v17, 10, v28
	v_lshlrev_b32_e32 v18, 7, v32
	v_and_or_b32 v17, v31, s35, v17
	v_and_or_b32 v17, v18, s36, v17
	v_cvt_f32_f16_e32 v17, v17
.LBB229_96:                             ;   in Loop: Header=BB229_41 Depth=1
	s_or_b64 exec, exec, s[16:17]
	v_lshrrev_b16_e32 v8, 8, v8
	v_cmp_lt_i16_e64 s[0:1], s28, v8
	s_mov_b64 s[16:17], 0
                                        ; implicit-def: $sgpr40
	s_and_saveexec_b64 s[18:19], s[0:1]
	s_xor_b64 s[18:19], exec, s[18:19]
	s_cbranch_execnz .LBB229_162
; %bb.97:                               ;   in Loop: Header=BB229_41 Depth=1
	s_or_saveexec_b64 s[18:19], s[18:19]
	v_mov_b32_e32 v18, s40
	s_xor_b64 exec, exec, s[18:19]
	s_cbranch_execnz .LBB229_165
.LBB229_98:                             ;   in Loop: Header=BB229_41 Depth=1
	s_or_b64 exec, exec, s[18:19]
	s_and_saveexec_b64 s[18:19], s[16:17]
	s_cbranch_execz .LBB229_100
.LBB229_99:                             ;   in Loop: Header=BB229_41 Depth=1
	v_and_b32_e32 v18, 7, v8
	v_ffbh_u32_e32 v32, v18
	v_min_u32_e32 v34, 32, v32
	v_subrev_u32_e32 v32, 28, v34
	v_bfe_u32 v31, v8, 3, 4
	v_lshlrev_b64 v[32:33], v32, v[8:9]
	v_sub_u32_e32 v33, 29, v34
	v_cmp_eq_u32_e64 s[0:1], 0, v31
	v_and_b32_e32 v32, 7, v32
	v_lshlrev_b32_e32 v8, 8, v8
	v_cndmask_b32_e64 v31, v31, v33, s[0:1]
	v_lshl_add_u32 v31, v31, 10, v28
	v_cndmask_b32_e64 v18, v18, v32, s[0:1]
	v_and_or_b32 v8, v8, s35, v31
	v_lshl_or_b32 v8, v18, 7, v8
	v_cvt_f32_f16_e32 v18, v8
.LBB229_100:                            ;   in Loop: Header=BB229_41 Depth=1
	s_or_b64 exec, exec, s[18:19]
	v_lshrrev_b32_e32 v8, 16, v19
	v_cmp_gt_i16_sdwa s[16:17], v8, s28 src0_sel:BYTE_0 src1_sel:DWORD
	s_mov_b64 s[0:1], 0
                                        ; implicit-def: $sgpr26
	s_and_saveexec_b64 s[18:19], s[16:17]
	s_xor_b64 s[16:17], exec, s[18:19]
	s_cbranch_execnz .LBB229_166
; %bb.101:                              ;   in Loop: Header=BB229_41 Depth=1
	s_or_saveexec_b64 s[16:17], s[16:17]
	v_mov_b32_e32 v31, s26
	s_xor_b64 exec, exec, s[16:17]
	s_cbranch_execnz .LBB229_169
.LBB229_102:                            ;   in Loop: Header=BB229_41 Depth=1
	s_or_b64 exec, exec, s[16:17]
	s_and_saveexec_b64 s[16:17], s[0:1]
	s_cbranch_execz .LBB229_104
.LBB229_103:                            ;   in Loop: Header=BB229_41 Depth=1
	v_bfe_u32 v31, v19, 16, 3
	v_ffbh_u32_e32 v32, v31
	v_min_u32_e32 v35, 32, v32
	v_subrev_u32_e32 v32, 28, v35
	v_bfe_u32 v34, v19, 19, 4
	v_lshlrev_b64 v[32:33], v32, v[8:9]
	v_sub_u32_e32 v33, 29, v35
	v_cmp_eq_u32_e64 s[0:1], 0, v34
	v_and_b32_e32 v32, 7, v32
	v_lshlrev_b32_e32 v8, 8, v8
	v_cndmask_b32_e64 v33, v34, v33, s[0:1]
	v_cndmask_b32_e64 v31, v31, v32, s[0:1]
	v_lshl_add_u32 v32, v33, 10, v28
	v_and_or_b32 v8, v8, s35, v32
	v_lshl_or_b32 v8, v31, 7, v8
	v_cvt_f32_f16_e32 v31, v8
.LBB229_104:                            ;   in Loop: Header=BB229_41 Depth=1
	s_or_b64 exec, exec, s[16:17]
	v_lshrrev_b32_e32 v8, 24, v19
	v_cmp_lt_i16_e64 s[0:1], s28, v8
	s_mov_b64 s[16:17], 0
                                        ; implicit-def: $sgpr40
	s_and_saveexec_b64 s[18:19], s[0:1]
	s_xor_b64 s[18:19], exec, s[18:19]
	s_cbranch_execnz .LBB229_170
; %bb.105:                              ;   in Loop: Header=BB229_41 Depth=1
	s_or_saveexec_b64 s[18:19], s[18:19]
	v_mov_b32_e32 v32, s40
	s_xor_b64 exec, exec, s[18:19]
	s_cbranch_execnz .LBB229_173
.LBB229_106:                            ;   in Loop: Header=BB229_41 Depth=1
	s_or_b64 exec, exec, s[18:19]
	s_and_saveexec_b64 s[18:19], s[16:17]
	s_cbranch_execz .LBB229_108
.LBB229_107:                            ;   in Loop: Header=BB229_41 Depth=1
	v_bfe_u32 v34, v19, 24, 3
	v_ffbh_u32_e32 v32, v34
	v_min_u32_e32 v35, 32, v32
	v_subrev_u32_e32 v32, 28, v35
	v_bfe_u32 v19, v19, 27, 4
	v_lshlrev_b64 v[32:33], v32, v[8:9]
	v_sub_u32_e32 v33, 29, v35
	v_cmp_eq_u32_e64 s[0:1], 0, v19
	v_and_b32_e32 v32, 7, v32
	v_lshlrev_b32_e32 v8, 8, v8
	v_cndmask_b32_e64 v19, v19, v33, s[0:1]
	v_lshl_add_u32 v19, v19, 10, v28
	v_cndmask_b32_e64 v32, v34, v32, s[0:1]
	v_and_or_b32 v8, v8, s35, v19
	v_lshl_or_b32 v8, v32, 7, v8
	v_cvt_f32_f16_e32 v32, v8
.LBB229_108:                            ;   in Loop: Header=BB229_41 Depth=1
	s_or_b64 exec, exec, s[18:19]
	s_waitcnt vmcnt(0)
	v_pk_mul_f32 v[22:23], v[16:17], v[22:23] op_sel_hi:[0,1]
	v_pk_mul_f32 v[20:21], v[16:17], v[20:21] op_sel_hi:[0,1]
	v_cvt_f16_f32_e32 v8, v23
	v_cvt_f16_f32_e32 v19, v22
	;; [unrolled: 1-line block ×4, first 2 shown]
	v_fma_mixlo_f16 v18, v16, v18, 0
	v_lshlrev_b32_e32 v18, 16, v18
	v_fma_mixlo_f16 v17, v16, v17, 0
	v_or_b32_sdwa v17, v18, v17 dst_sel:DWORD dst_unused:UNUSED_PAD src0_sel:DWORD src1_sel:WORD_0
	v_fma_mixlo_f16 v18, v16, v31, 0
	v_fma_mixlo_f16 v16, v16, v32, 0
	v_pack_b32_f16 v19, v19, v8
	v_pack_b32_f16 v20, v20, v21
	v_lshlrev_b32_e32 v16, 16, v16
	v_perm_b32 v8, v20, v19, s37
	v_perm_b32 v19, v20, v19, s38
	v_or_b32_sdwa v16, v16, v18 dst_sel:DWORD dst_unused:UNUSED_PAD src0_sel:DWORD src1_sel:WORD_0
	s_and_saveexec_b64 s[16:17], s[2:3]
	s_cbranch_execz .LBB229_39
; %bb.109:                              ;   in Loop: Header=BB229_41 Depth=1
	v_add_u32_e32 v20, 1, v26
	v_lshrrev_b32_e32 v21, 16, v19
	v_cmp_gt_i32_e64 s[0:1], s31, v20
	v_lshrrev_b32_e32 v22, 16, v8
	v_lshrrev_b32_e32 v16, 16, v16
	v_cndmask_b32_e64 v20, 0, v21, s[0:1]
	v_cmp_gt_i32_e64 s[0:1], s21, v26
	v_or_b32_e32 v21, 2, v26
	s_nop 0
	v_cndmask_b32_e64 v19, 0, v19, s[0:1]
	v_perm_b32 v19, v20, v19, s39
	v_or_b32_e32 v20, 3, v26
	v_cmp_gt_i32_e64 s[0:1], s31, v20
	s_nop 1
	v_cndmask_b32_e64 v20, 0, v22, s[0:1]
	v_cmp_gt_i32_e64 s[0:1], s21, v21
	v_or_b32_e32 v21, 4, v26
	v_lshrrev_b32_e32 v22, 16, v17
	v_cndmask_b32_e64 v8, 0, v8, s[0:1]
	v_perm_b32 v8, v20, v8, s39
	v_or_b32_e32 v20, 5, v26
	v_cmp_gt_i32_e64 s[0:1], s31, v20
	s_nop 1
	v_cndmask_b32_e64 v20, 0, v22, s[0:1]
	v_cmp_gt_i32_e64 s[0:1], s21, v21
	v_or_b32_e32 v21, 6, v26
	s_nop 0
	v_cndmask_b32_e64 v17, 0, v17, s[0:1]
	v_perm_b32 v17, v20, v17, s39
	v_or_b32_e32 v20, 7, v26
	v_cmp_gt_i32_e64 s[0:1], s31, v20
	s_nop 1
	v_cndmask_b32_e64 v16, 0, v16, s[0:1]
	v_cmp_gt_i32_e64 s[0:1], s21, v21
	s_nop 1
	v_cndmask_b32_e64 v18, 0, v18, s[0:1]
	v_perm_b32 v16, v16, v18, s39
	s_branch .LBB229_39
.LBB229_110:                            ;   in Loop: Header=BB229_41 Depth=1
	v_cmp_eq_u16_sdwa s[18:19], v20, s29 src0_sel:BYTE_0 src1_sel:DWORD
	s_mov_b64 s[0:1], -1
                                        ; implicit-def: $sgpr16
	s_and_saveexec_b64 s[12:13], s[18:19]
; %bb.111:                              ;   in Loop: Header=BB229_41 Depth=1
	s_mov_b32 s16, 0x7fc02000
	s_xor_b64 s[0:1], exec, -1
; %bb.112:                              ;   in Loop: Header=BB229_41 Depth=1
	s_or_b64 exec, exec, s[12:13]
	s_and_b64 s[0:1], s[0:1], exec
	s_or_saveexec_b64 s[2:3], s[2:3]
	v_mov_b32_e32 v22, s16
	s_xor_b64 exec, exec, s[2:3]
	s_cbranch_execz .LBB229_43
.LBB229_113:                            ;   in Loop: Header=BB229_41 Depth=1
	v_cmp_ne_u16_sdwa s[12:13], v20, v9 src0_sel:BYTE_0 src1_sel:DWORD
	s_andn2_b64 s[0:1], s[0:1], exec
	s_and_b64 s[12:13], s[12:13], exec
	v_mov_b32_e32 v22, 0
	s_or_b64 s[0:1], s[0:1], s[12:13]
	s_or_b64 exec, exec, s[2:3]
	s_and_saveexec_b64 s[2:3], s[0:1]
	s_cbranch_execnz .LBB229_44
	s_branch .LBB229_45
.LBB229_114:                            ;   in Loop: Header=BB229_41 Depth=1
	v_cmp_eq_u16_e64 s[0:1], s29, v8
	s_mov_b64 s[2:3], -1
                                        ; implicit-def: $sgpr18
	s_and_saveexec_b64 s[16:17], s[0:1]
; %bb.115:                              ;   in Loop: Header=BB229_41 Depth=1
	s_mov_b32 s18, 0x7fc02000
	s_xor_b64 s[2:3], exec, -1
; %bb.116:                              ;   in Loop: Header=BB229_41 Depth=1
	s_or_b64 exec, exec, s[16:17]
	s_and_b64 s[2:3], s[2:3], exec
	s_or_saveexec_b64 s[12:13], s[12:13]
	v_mov_b32_e32 v24, s18
	s_xor_b64 exec, exec, s[12:13]
	s_cbranch_execz .LBB229_47
.LBB229_117:                            ;   in Loop: Header=BB229_41 Depth=1
	v_cmp_ne_u16_e64 s[0:1], 0, v8
	s_andn2_b64 s[2:3], s[2:3], exec
	s_and_b64 s[0:1], s[0:1], exec
	v_mov_b32_e32 v24, 0
	s_or_b64 s[2:3], s[2:3], s[0:1]
	s_or_b64 exec, exec, s[12:13]
	s_and_saveexec_b64 s[12:13], s[2:3]
	s_cbranch_execnz .LBB229_48
	s_branch .LBB229_49
.LBB229_118:                            ;   in Loop: Header=BB229_41 Depth=1
	v_cmp_eq_u16_sdwa s[18:19], v8, s29 src0_sel:BYTE_0 src1_sel:DWORD
	s_mov_b64 s[0:1], -1
                                        ; implicit-def: $sgpr16
	s_and_saveexec_b64 s[12:13], s[18:19]
; %bb.119:                              ;   in Loop: Header=BB229_41 Depth=1
	s_mov_b32 s16, 0x7fc02000
	s_xor_b64 s[0:1], exec, -1
; %bb.120:                              ;   in Loop: Header=BB229_41 Depth=1
	s_or_b64 exec, exec, s[12:13]
	s_and_b64 s[0:1], s[0:1], exec
	s_or_saveexec_b64 s[2:3], s[2:3]
	v_mov_b32_e32 v23, s16
	s_xor_b64 exec, exec, s[2:3]
	s_cbranch_execz .LBB229_51
.LBB229_121:                            ;   in Loop: Header=BB229_41 Depth=1
	v_cmp_ne_u16_sdwa s[12:13], v8, v9 src0_sel:BYTE_0 src1_sel:DWORD
	s_andn2_b64 s[0:1], s[0:1], exec
	s_and_b64 s[12:13], s[12:13], exec
	v_mov_b32_e32 v23, 0
	s_or_b64 s[0:1], s[0:1], s[12:13]
	s_or_b64 exec, exec, s[2:3]
	s_and_saveexec_b64 s[2:3], s[0:1]
	s_cbranch_execnz .LBB229_52
	s_branch .LBB229_53
.LBB229_122:                            ;   in Loop: Header=BB229_41 Depth=1
	v_cmp_eq_u16_e64 s[0:1], s29, v8
	s_mov_b64 s[2:3], -1
                                        ; implicit-def: $sgpr18
	s_and_saveexec_b64 s[16:17], s[0:1]
; %bb.123:                              ;   in Loop: Header=BB229_41 Depth=1
	s_mov_b32 s18, 0x7fc02000
	s_xor_b64 s[2:3], exec, -1
; %bb.124:                              ;   in Loop: Header=BB229_41 Depth=1
	s_or_b64 exec, exec, s[16:17]
	s_and_b64 s[2:3], s[2:3], exec
	s_or_saveexec_b64 s[12:13], s[12:13]
	v_mov_b32_e32 v25, s18
	s_xor_b64 exec, exec, s[12:13]
	s_cbranch_execz .LBB229_55
.LBB229_125:                            ;   in Loop: Header=BB229_41 Depth=1
	v_cmp_ne_u16_e64 s[0:1], 0, v8
	s_andn2_b64 s[2:3], s[2:3], exec
	s_and_b64 s[0:1], s[0:1], exec
	v_mov_b32_e32 v25, 0
	s_or_b64 s[2:3], s[2:3], s[0:1]
	s_or_b64 exec, exec, s[12:13]
	s_and_saveexec_b64 s[12:13], s[2:3]
	s_cbranch_execnz .LBB229_56
	s_branch .LBB229_57
.LBB229_126:                            ;   in Loop: Header=BB229_41 Depth=1
	v_cmp_eq_u16_sdwa s[18:19], v21, s29 src0_sel:BYTE_0 src1_sel:DWORD
	s_mov_b64 s[0:1], -1
                                        ; implicit-def: $sgpr16
	s_and_saveexec_b64 s[12:13], s[18:19]
; %bb.127:                              ;   in Loop: Header=BB229_41 Depth=1
	s_mov_b32 s16, 0x7fc02000
	s_xor_b64 s[0:1], exec, -1
; %bb.128:                              ;   in Loop: Header=BB229_41 Depth=1
	s_or_b64 exec, exec, s[12:13]
	s_and_b64 s[0:1], s[0:1], exec
	s_or_saveexec_b64 s[2:3], s[2:3]
	v_mov_b32_e32 v20, s16
	s_xor_b64 exec, exec, s[2:3]
	s_cbranch_execz .LBB229_59
.LBB229_129:                            ;   in Loop: Header=BB229_41 Depth=1
	v_cmp_ne_u16_sdwa s[12:13], v21, v9 src0_sel:BYTE_0 src1_sel:DWORD
	s_andn2_b64 s[0:1], s[0:1], exec
	s_and_b64 s[12:13], s[12:13], exec
	v_mov_b32_e32 v20, 0
	s_or_b64 s[0:1], s[0:1], s[12:13]
	s_or_b64 exec, exec, s[2:3]
	v_mov_b32_e32 v8, v21
	s_and_saveexec_b64 s[2:3], s[0:1]
	s_cbranch_execnz .LBB229_60
	s_branch .LBB229_61
.LBB229_130:                            ;   in Loop: Header=BB229_41 Depth=1
	v_cmp_eq_u16_e64 s[0:1], s29, v8
	s_mov_b64 s[2:3], -1
                                        ; implicit-def: $sgpr18
	s_and_saveexec_b64 s[16:17], s[0:1]
; %bb.131:                              ;   in Loop: Header=BB229_41 Depth=1
	s_mov_b32 s18, 0x7fc02000
	s_xor_b64 s[2:3], exec, -1
; %bb.132:                              ;   in Loop: Header=BB229_41 Depth=1
	s_or_b64 exec, exec, s[16:17]
	s_and_b64 s[2:3], s[2:3], exec
	s_or_saveexec_b64 s[12:13], s[12:13]
	v_mov_b32_e32 v30, s18
	s_xor_b64 exec, exec, s[12:13]
	s_cbranch_execz .LBB229_63
.LBB229_133:                            ;   in Loop: Header=BB229_41 Depth=1
	v_cmp_ne_u16_e64 s[0:1], 0, v8
	s_andn2_b64 s[2:3], s[2:3], exec
	s_and_b64 s[0:1], s[0:1], exec
	v_mov_b32_e32 v30, 0
	s_or_b64 s[2:3], s[2:3], s[0:1]
	s_or_b64 exec, exec, s[12:13]
	s_and_saveexec_b64 s[12:13], s[2:3]
	s_cbranch_execnz .LBB229_64
	s_branch .LBB229_65
.LBB229_134:                            ;   in Loop: Header=BB229_41 Depth=1
	v_cmp_eq_u16_sdwa s[18:19], v8, s29 src0_sel:BYTE_0 src1_sel:DWORD
	s_mov_b64 s[0:1], -1
                                        ; implicit-def: $sgpr16
	s_and_saveexec_b64 s[12:13], s[18:19]
; %bb.135:                              ;   in Loop: Header=BB229_41 Depth=1
	s_mov_b32 s16, 0x7fc02000
	s_xor_b64 s[0:1], exec, -1
; %bb.136:                              ;   in Loop: Header=BB229_41 Depth=1
	s_or_b64 exec, exec, s[12:13]
	s_and_b64 s[0:1], s[0:1], exec
	s_or_saveexec_b64 s[2:3], s[2:3]
	v_mov_b32_e32 v37, s16
	s_xor_b64 exec, exec, s[2:3]
	s_cbranch_execz .LBB229_67
.LBB229_137:                            ;   in Loop: Header=BB229_41 Depth=1
	v_cmp_ne_u16_sdwa s[12:13], v8, v9 src0_sel:BYTE_0 src1_sel:DWORD
	s_andn2_b64 s[0:1], s[0:1], exec
	s_and_b64 s[12:13], s[12:13], exec
	v_mov_b32_e32 v37, 0
	s_or_b64 s[0:1], s[0:1], s[12:13]
	s_or_b64 exec, exec, s[2:3]
	s_and_saveexec_b64 s[2:3], s[0:1]
	s_cbranch_execnz .LBB229_68
	s_branch .LBB229_69
.LBB229_138:                            ;   in Loop: Header=BB229_41 Depth=1
	v_cmp_eq_u16_e64 s[0:1], s29, v8
	s_mov_b64 s[2:3], -1
                                        ; implicit-def: $sgpr18
	s_and_saveexec_b64 s[16:17], s[0:1]
; %bb.139:                              ;   in Loop: Header=BB229_41 Depth=1
	s_mov_b32 s18, 0x7fc02000
	s_xor_b64 s[2:3], exec, -1
; %bb.140:                              ;   in Loop: Header=BB229_41 Depth=1
	s_or_b64 exec, exec, s[16:17]
	s_and_b64 s[2:3], s[2:3], exec
	s_or_saveexec_b64 s[12:13], s[12:13]
	v_mov_b32_e32 v38, s18
	s_xor_b64 exec, exec, s[12:13]
	s_cbranch_execz .LBB229_71
.LBB229_141:                            ;   in Loop: Header=BB229_41 Depth=1
	v_cmp_ne_u16_e64 s[0:1], 0, v8
	s_andn2_b64 s[2:3], s[2:3], exec
	s_and_b64 s[0:1], s[0:1], exec
	v_mov_b32_e32 v38, 0
	s_or_b64 s[2:3], s[2:3], s[0:1]
	s_or_b64 exec, exec, s[12:13]
	s_and_saveexec_b64 s[12:13], s[2:3]
	s_cbranch_execnz .LBB229_72
	s_branch .LBB229_73
.LBB229_142:                            ;   in Loop: Header=BB229_41 Depth=1
	v_cmp_eq_u16_sdwa s[40:41], v18, s29 src0_sel:BYTE_0 src1_sel:DWORD
	s_mov_b64 s[0:1], -1
                                        ; implicit-def: $sgpr26
	s_and_saveexec_b64 s[18:19], s[40:41]
; %bb.143:                              ;   in Loop: Header=BB229_41 Depth=1
	s_mov_b32 s26, 0x7fc02000
	s_xor_b64 s[0:1], exec, -1
; %bb.144:                              ;   in Loop: Header=BB229_41 Depth=1
	s_or_b64 exec, exec, s[18:19]
	s_and_b64 s[0:1], s[0:1], exec
	s_or_saveexec_b64 s[16:17], s[16:17]
	v_mov_b32_e32 v20, s26
	s_xor_b64 exec, exec, s[16:17]
	s_cbranch_execz .LBB229_78
.LBB229_145:                            ;   in Loop: Header=BB229_41 Depth=1
	v_cmp_ne_u16_sdwa s[18:19], v18, v9 src0_sel:BYTE_0 src1_sel:DWORD
	s_andn2_b64 s[0:1], s[0:1], exec
	s_and_b64 s[18:19], s[18:19], exec
	v_mov_b32_e32 v20, 0
	s_or_b64 s[0:1], s[0:1], s[18:19]
	s_or_b64 exec, exec, s[16:17]
	s_and_saveexec_b64 s[16:17], s[0:1]
	s_cbranch_execnz .LBB229_79
	s_branch .LBB229_80
.LBB229_146:                            ;   in Loop: Header=BB229_41 Depth=1
	v_cmp_eq_u16_e64 s[0:1], s29, v8
	s_mov_b64 s[16:17], -1
                                        ; implicit-def: $sgpr40
	s_and_saveexec_b64 s[26:27], s[0:1]
; %bb.147:                              ;   in Loop: Header=BB229_41 Depth=1
	s_mov_b32 s40, 0x7fc02000
	s_xor_b64 s[16:17], exec, -1
; %bb.148:                              ;   in Loop: Header=BB229_41 Depth=1
	s_or_b64 exec, exec, s[26:27]
	s_and_b64 s[16:17], s[16:17], exec
	s_or_saveexec_b64 s[18:19], s[18:19]
	v_mov_b32_e32 v22, s40
	s_xor_b64 exec, exec, s[18:19]
	s_cbranch_execz .LBB229_82
.LBB229_149:                            ;   in Loop: Header=BB229_41 Depth=1
	v_cmp_ne_u16_e64 s[0:1], 0, v8
	s_andn2_b64 s[16:17], s[16:17], exec
	s_and_b64 s[0:1], s[0:1], exec
	v_mov_b32_e32 v22, 0
	s_or_b64 s[16:17], s[16:17], s[0:1]
	s_or_b64 exec, exec, s[18:19]
	s_and_saveexec_b64 s[18:19], s[16:17]
	s_cbranch_execnz .LBB229_83
	s_branch .LBB229_84
.LBB229_150:                            ;   in Loop: Header=BB229_41 Depth=1
	v_cmp_eq_u16_sdwa s[40:41], v8, s29 src0_sel:BYTE_0 src1_sel:DWORD
	s_mov_b64 s[0:1], -1
                                        ; implicit-def: $sgpr26
	s_and_saveexec_b64 s[18:19], s[40:41]
; %bb.151:                              ;   in Loop: Header=BB229_41 Depth=1
	s_mov_b32 s26, 0x7fc02000
	s_xor_b64 s[0:1], exec, -1
; %bb.152:                              ;   in Loop: Header=BB229_41 Depth=1
	s_or_b64 exec, exec, s[18:19]
	s_and_b64 s[0:1], s[0:1], exec
	s_or_saveexec_b64 s[16:17], s[16:17]
	v_mov_b32_e32 v21, s26
	s_xor_b64 exec, exec, s[16:17]
	s_cbranch_execz .LBB229_86
.LBB229_153:                            ;   in Loop: Header=BB229_41 Depth=1
	v_cmp_ne_u16_sdwa s[18:19], v8, v9 src0_sel:BYTE_0 src1_sel:DWORD
	s_andn2_b64 s[0:1], s[0:1], exec
	s_and_b64 s[18:19], s[18:19], exec
	v_mov_b32_e32 v21, 0
	s_or_b64 s[0:1], s[0:1], s[18:19]
	s_or_b64 exec, exec, s[16:17]
	s_and_saveexec_b64 s[16:17], s[0:1]
	s_cbranch_execnz .LBB229_87
	s_branch .LBB229_88
.LBB229_154:                            ;   in Loop: Header=BB229_41 Depth=1
	v_cmp_eq_u16_e64 s[0:1], s29, v8
	s_mov_b64 s[16:17], -1
                                        ; implicit-def: $sgpr40
	s_and_saveexec_b64 s[26:27], s[0:1]
; %bb.155:                              ;   in Loop: Header=BB229_41 Depth=1
	s_mov_b32 s40, 0x7fc02000
	s_xor_b64 s[16:17], exec, -1
; %bb.156:                              ;   in Loop: Header=BB229_41 Depth=1
	s_or_b64 exec, exec, s[26:27]
	s_and_b64 s[16:17], s[16:17], exec
	s_or_saveexec_b64 s[18:19], s[18:19]
	v_mov_b32_e32 v23, s40
	s_xor_b64 exec, exec, s[18:19]
	s_cbranch_execz .LBB229_90
.LBB229_157:                            ;   in Loop: Header=BB229_41 Depth=1
	v_cmp_ne_u16_e64 s[0:1], 0, v8
	s_andn2_b64 s[16:17], s[16:17], exec
	s_and_b64 s[0:1], s[0:1], exec
	v_mov_b32_e32 v23, 0
	s_or_b64 s[16:17], s[16:17], s[0:1]
	s_or_b64 exec, exec, s[18:19]
	s_and_saveexec_b64 s[18:19], s[16:17]
	s_cbranch_execnz .LBB229_91
	s_branch .LBB229_92
.LBB229_158:                            ;   in Loop: Header=BB229_41 Depth=1
	v_cmp_eq_u16_sdwa s[40:41], v19, s29 src0_sel:BYTE_0 src1_sel:DWORD
	s_mov_b64 s[0:1], -1
                                        ; implicit-def: $sgpr26
	s_and_saveexec_b64 s[18:19], s[40:41]
; %bb.159:                              ;   in Loop: Header=BB229_41 Depth=1
	s_mov_b32 s26, 0x7fc02000
	s_xor_b64 s[0:1], exec, -1
; %bb.160:                              ;   in Loop: Header=BB229_41 Depth=1
	s_or_b64 exec, exec, s[18:19]
	s_and_b64 s[0:1], s[0:1], exec
	s_or_saveexec_b64 s[16:17], s[16:17]
	v_mov_b32_e32 v17, s26
	s_xor_b64 exec, exec, s[16:17]
	s_cbranch_execz .LBB229_94
.LBB229_161:                            ;   in Loop: Header=BB229_41 Depth=1
	v_cmp_ne_u16_sdwa s[18:19], v19, v9 src0_sel:BYTE_0 src1_sel:DWORD
	s_andn2_b64 s[0:1], s[0:1], exec
	s_and_b64 s[18:19], s[18:19], exec
	v_mov_b32_e32 v17, 0
	s_or_b64 s[0:1], s[0:1], s[18:19]
	s_or_b64 exec, exec, s[16:17]
	v_mov_b32_e32 v8, v19
	s_and_saveexec_b64 s[16:17], s[0:1]
	s_cbranch_execnz .LBB229_95
	s_branch .LBB229_96
.LBB229_162:                            ;   in Loop: Header=BB229_41 Depth=1
	v_cmp_eq_u16_e64 s[0:1], s29, v8
	s_mov_b64 s[16:17], -1
                                        ; implicit-def: $sgpr40
	s_and_saveexec_b64 s[26:27], s[0:1]
; %bb.163:                              ;   in Loop: Header=BB229_41 Depth=1
	s_mov_b32 s40, 0x7fc02000
	s_xor_b64 s[16:17], exec, -1
; %bb.164:                              ;   in Loop: Header=BB229_41 Depth=1
	s_or_b64 exec, exec, s[26:27]
	s_and_b64 s[16:17], s[16:17], exec
	s_or_saveexec_b64 s[18:19], s[18:19]
	v_mov_b32_e32 v18, s40
	s_xor_b64 exec, exec, s[18:19]
	s_cbranch_execz .LBB229_98
.LBB229_165:                            ;   in Loop: Header=BB229_41 Depth=1
	v_cmp_ne_u16_e64 s[0:1], 0, v8
	s_andn2_b64 s[16:17], s[16:17], exec
	s_and_b64 s[0:1], s[0:1], exec
	v_mov_b32_e32 v18, 0
	s_or_b64 s[16:17], s[16:17], s[0:1]
	s_or_b64 exec, exec, s[18:19]
	s_and_saveexec_b64 s[18:19], s[16:17]
	s_cbranch_execnz .LBB229_99
	s_branch .LBB229_100
.LBB229_166:                            ;   in Loop: Header=BB229_41 Depth=1
	v_cmp_eq_u16_sdwa s[40:41], v8, s29 src0_sel:BYTE_0 src1_sel:DWORD
	s_mov_b64 s[0:1], -1
                                        ; implicit-def: $sgpr26
	s_and_saveexec_b64 s[18:19], s[40:41]
; %bb.167:                              ;   in Loop: Header=BB229_41 Depth=1
	s_mov_b32 s26, 0x7fc02000
	s_xor_b64 s[0:1], exec, -1
; %bb.168:                              ;   in Loop: Header=BB229_41 Depth=1
	s_or_b64 exec, exec, s[18:19]
	s_and_b64 s[0:1], s[0:1], exec
	s_or_saveexec_b64 s[16:17], s[16:17]
	v_mov_b32_e32 v31, s26
	s_xor_b64 exec, exec, s[16:17]
	s_cbranch_execz .LBB229_102
.LBB229_169:                            ;   in Loop: Header=BB229_41 Depth=1
	v_cmp_ne_u16_sdwa s[18:19], v8, v9 src0_sel:BYTE_0 src1_sel:DWORD
	s_andn2_b64 s[0:1], s[0:1], exec
	s_and_b64 s[18:19], s[18:19], exec
	v_mov_b32_e32 v31, 0
	s_or_b64 s[0:1], s[0:1], s[18:19]
	s_or_b64 exec, exec, s[16:17]
	s_and_saveexec_b64 s[16:17], s[0:1]
	s_cbranch_execnz .LBB229_103
	s_branch .LBB229_104
.LBB229_170:                            ;   in Loop: Header=BB229_41 Depth=1
	v_cmp_eq_u16_e64 s[0:1], s29, v8
	s_mov_b64 s[16:17], -1
                                        ; implicit-def: $sgpr40
	s_and_saveexec_b64 s[26:27], s[0:1]
; %bb.171:                              ;   in Loop: Header=BB229_41 Depth=1
	s_mov_b32 s40, 0x7fc02000
	s_xor_b64 s[16:17], exec, -1
; %bb.172:                              ;   in Loop: Header=BB229_41 Depth=1
	s_or_b64 exec, exec, s[26:27]
	s_and_b64 s[16:17], s[16:17], exec
	s_or_saveexec_b64 s[18:19], s[18:19]
	v_mov_b32_e32 v32, s40
	s_xor_b64 exec, exec, s[18:19]
	s_cbranch_execz .LBB229_106
.LBB229_173:                            ;   in Loop: Header=BB229_41 Depth=1
	v_cmp_ne_u16_e64 s[0:1], 0, v8
	s_andn2_b64 s[16:17], s[16:17], exec
	s_and_b64 s[0:1], s[0:1], exec
	v_mov_b32_e32 v32, 0
	s_or_b64 s[16:17], s[16:17], s[0:1]
	s_or_b64 exec, exec, s[18:19]
	s_and_saveexec_b64 s[18:19], s[16:17]
	s_cbranch_execnz .LBB229_107
	s_branch .LBB229_108
.LBB229_174:
	s_or_b64 exec, exec, s[10:11]
.LBB229_175:
	s_or_b64 exec, exec, s[8:9]
	v_and_b32_e32 v1, 0x3c0, v0
	v_cmp_eq_u32_e32 vcc, 64, v1
	s_barrier
	s_and_saveexec_b64 s[0:1], vcc
	s_cbranch_execz .LBB229_178
; %bb.176:
	v_mov_b32_e32 v1, 0xb0
	v_lshl_add_u32 v3, v3, 2, v1
	ds_write_b32 v3, v4
	s_and_b64 exec, exec, s[6:7]
	s_cbranch_execz .LBB229_178
; %bb.177:
	v_lshl_add_u32 v1, v0, 2, v1
	ds_write_b32 v1, v5
.LBB229_178:
	s_or_b64 exec, exec, s[0:1]
	v_cmp_gt_u32_e32 vcc, 64, v0
	v_or_b32_e32 v1, 64, v0
	s_waitcnt lgkmcnt(0)
	s_barrier
	s_and_saveexec_b64 s[2:3], vcc
	s_cbranch_execz .LBB229_182
; %bb.179:
	v_mov_b32_e32 v3, 0xb0
	v_lshl_add_u32 v0, v0, 2, v3
	ds_read_b32 v3, v0
	s_movk_i32 s0, 0x50
	v_cmp_gt_u32_e64 s[0:1], s0, v1
	s_waitcnt lgkmcnt(0)
	v_add_f32_e32 v4, v4, v3
	s_and_saveexec_b64 s[6:7], s[0:1]
	s_cbranch_execz .LBB229_181
; %bb.180:
	ds_read_b32 v0, v0 offset:256
	s_waitcnt lgkmcnt(0)
	v_add_f32_e32 v5, v5, v0
.LBB229_181:
	s_or_b64 exec, exec, s[6:7]
.LBB229_182:
	s_or_b64 exec, exec, s[2:3]
	s_barrier
	s_and_saveexec_b64 s[0:1], vcc
	s_cbranch_execz .LBB229_185
; %bb.183:
	s_mul_i32 s0, s20, s23
	s_mul_i32 s0, s0, s5
	s_mulk_i32 s0, 0x50
	s_ashr_i32 s1, s0, 31
	s_lshl_b64 s[0:1], s[0:1], 1
	s_add_u32 s3, s24, s0
	s_mul_i32 s0, s23, s22
	s_addc_u32 s5, s25, s1
	s_ashr_i32 s1, s0, 31
	s_lshl_b64 s[0:1], s[0:1], 1
	s_add_u32 s3, s3, s0
	s_mul_i32 s0, s4, 0x50
	s_addc_u32 s5, s5, s1
	s_ashr_i32 s1, s0, 31
	s_lshl_b64 s[0:1], s[0:1], 1
	s_movk_i32 s2, 0x50
	s_add_u32 s0, s3, s0
	s_addc_u32 s1, s5, s1
	v_cmp_gt_u32_e32 vcc, s2, v1
	;;#ASMSTART
	v_cvt_f16_f32 v0, v4;

	;;#ASMEND
	global_store_short v2, v0, s[0:1]
	s_and_b64 exec, exec, vcc
	s_cbranch_execz .LBB229_185
; %bb.184:
	v_mov_b32_e32 v3, 0
	v_lshl_add_u64 v[0:1], s[0:1], 0, v[2:3]
	;;#ASMSTART
	v_cvt_f16_f32 v2, v5;

	;;#ASMEND
	global_store_short v[0:1], v2, off offset:128
.LBB229_185:
	s_endpgm
	.section	.rodata,"a",@progbits
	.p2align	6, 0x0
	.amdhsa_kernel _ZN4vllm25paged_attention_v1_kernelIthLi80ELi8ELi128ELNS_18Fp8KVCacheDataTypeE1ELb0EEEvPT_PKS2_PKT0_S8_ifPKiSA_iPKfiiiSC_SC_iiiii
		.amdhsa_group_segment_fixed_size 176
		.amdhsa_private_segment_fixed_size 0
		.amdhsa_kernarg_size 384
		.amdhsa_user_sgpr_count 2
		.amdhsa_user_sgpr_dispatch_ptr 0
		.amdhsa_user_sgpr_queue_ptr 0
		.amdhsa_user_sgpr_kernarg_segment_ptr 1
		.amdhsa_user_sgpr_dispatch_id 0
		.amdhsa_user_sgpr_kernarg_preload_length 0
		.amdhsa_user_sgpr_kernarg_preload_offset 0
		.amdhsa_user_sgpr_private_segment_size 0
		.amdhsa_uses_dynamic_stack 0
		.amdhsa_enable_private_segment 0
		.amdhsa_system_sgpr_workgroup_id_x 1
		.amdhsa_system_sgpr_workgroup_id_y 1
		.amdhsa_system_sgpr_workgroup_id_z 1
		.amdhsa_system_sgpr_workgroup_info 0
		.amdhsa_system_vgpr_workitem_id 0
		.amdhsa_next_free_vgpr 42
		.amdhsa_next_free_sgpr 42
		.amdhsa_accum_offset 44
		.amdhsa_reserve_vcc 1
		.amdhsa_float_round_mode_32 0
		.amdhsa_float_round_mode_16_64 0
		.amdhsa_float_denorm_mode_32 3
		.amdhsa_float_denorm_mode_16_64 3
		.amdhsa_dx10_clamp 1
		.amdhsa_ieee_mode 1
		.amdhsa_fp16_overflow 0
		.amdhsa_tg_split 0
		.amdhsa_exception_fp_ieee_invalid_op 0
		.amdhsa_exception_fp_denorm_src 0
		.amdhsa_exception_fp_ieee_div_zero 0
		.amdhsa_exception_fp_ieee_overflow 0
		.amdhsa_exception_fp_ieee_underflow 0
		.amdhsa_exception_fp_ieee_inexact 0
		.amdhsa_exception_int_div_zero 0
	.end_amdhsa_kernel
	.section	.text._ZN4vllm25paged_attention_v1_kernelIthLi80ELi8ELi128ELNS_18Fp8KVCacheDataTypeE1ELb0EEEvPT_PKS2_PKT0_S8_ifPKiSA_iPKfiiiSC_SC_iiiii,"axG",@progbits,_ZN4vllm25paged_attention_v1_kernelIthLi80ELi8ELi128ELNS_18Fp8KVCacheDataTypeE1ELb0EEEvPT_PKS2_PKT0_S8_ifPKiSA_iPKfiiiSC_SC_iiiii,comdat
.Lfunc_end229:
	.size	_ZN4vllm25paged_attention_v1_kernelIthLi80ELi8ELi128ELNS_18Fp8KVCacheDataTypeE1ELb0EEEvPT_PKS2_PKT0_S8_ifPKiSA_iPKfiiiSC_SC_iiiii, .Lfunc_end229-_ZN4vllm25paged_attention_v1_kernelIthLi80ELi8ELi128ELNS_18Fp8KVCacheDataTypeE1ELb0EEEvPT_PKS2_PKT0_S8_ifPKiSA_iPKfiiiSC_SC_iiiii
                                        ; -- End function
	.section	.AMDGPU.csdata,"",@progbits
; Kernel info:
; codeLenInByte = 8868
; NumSgprs: 48
; NumVgprs: 42
; NumAgprs: 0
; TotalNumVgprs: 42
; ScratchSize: 0
; MemoryBound: 0
; FloatMode: 240
; IeeeMode: 1
; LDSByteSize: 176 bytes/workgroup (compile time only)
; SGPRBlocks: 5
; VGPRBlocks: 5
; NumSGPRsForWavesPerEU: 48
; NumVGPRsForWavesPerEU: 42
; AccumOffset: 44
; Occupancy: 8
; WaveLimiterHint : 1
; COMPUTE_PGM_RSRC2:SCRATCH_EN: 0
; COMPUTE_PGM_RSRC2:USER_SGPR: 2
; COMPUTE_PGM_RSRC2:TRAP_HANDLER: 0
; COMPUTE_PGM_RSRC2:TGID_X_EN: 1
; COMPUTE_PGM_RSRC2:TGID_Y_EN: 1
; COMPUTE_PGM_RSRC2:TGID_Z_EN: 1
; COMPUTE_PGM_RSRC2:TIDIG_COMP_CNT: 0
; COMPUTE_PGM_RSRC3_GFX90A:ACCUM_OFFSET: 10
; COMPUTE_PGM_RSRC3_GFX90A:TG_SPLIT: 0
	.section	.text._ZN4vllm25paged_attention_v1_kernelIthLi96ELi8ELi128ELNS_18Fp8KVCacheDataTypeE1ELb0EEEvPT_PKS2_PKT0_S8_ifPKiSA_iPKfiiiSC_SC_iiiii,"axG",@progbits,_ZN4vllm25paged_attention_v1_kernelIthLi96ELi8ELi128ELNS_18Fp8KVCacheDataTypeE1ELb0EEEvPT_PKS2_PKT0_S8_ifPKiSA_iPKfiiiSC_SC_iiiii,comdat
	.protected	_ZN4vllm25paged_attention_v1_kernelIthLi96ELi8ELi128ELNS_18Fp8KVCacheDataTypeE1ELb0EEEvPT_PKS2_PKT0_S8_ifPKiSA_iPKfiiiSC_SC_iiiii ; -- Begin function _ZN4vllm25paged_attention_v1_kernelIthLi96ELi8ELi128ELNS_18Fp8KVCacheDataTypeE1ELb0EEEvPT_PKS2_PKT0_S8_ifPKiSA_iPKfiiiSC_SC_iiiii
	.globl	_ZN4vllm25paged_attention_v1_kernelIthLi96ELi8ELi128ELNS_18Fp8KVCacheDataTypeE1ELb0EEEvPT_PKS2_PKT0_S8_ifPKiSA_iPKfiiiSC_SC_iiiii
	.p2align	8
	.type	_ZN4vllm25paged_attention_v1_kernelIthLi96ELi8ELi128ELNS_18Fp8KVCacheDataTypeE1ELb0EEEvPT_PKS2_PKT0_S8_ifPKiSA_iPKfiiiSC_SC_iiiii,@function
_ZN4vllm25paged_attention_v1_kernelIthLi96ELi8ELi128ELNS_18Fp8KVCacheDataTypeE1ELb0EEEvPT_PKS2_PKT0_S8_ifPKiSA_iPKfiiiSC_SC_iiiii: ; @_ZN4vllm25paged_attention_v1_kernelIthLi96ELi8ELi128ELNS_18Fp8KVCacheDataTypeE1ELb0EEEvPT_PKS2_PKT0_S8_ifPKiSA_iPKfiiiSC_SC_iiiii
; %bb.0:
	s_load_dword s5, s[0:1], 0x80
	s_load_dwordx2 s[6:7], s[0:1], 0x30
	s_load_dwordx2 s[10:11], s[0:1], 0x20
	s_mov_b32 s20, s3
	s_ashr_i32 s21, s3, 31
	s_lshl_b64 s[8:9], s[20:21], 2
	s_waitcnt lgkmcnt(0)
	s_add_u32 s6, s6, s8
	s_addc_u32 s7, s7, s9
	s_abs_i32 s3, s10
	v_cvt_f32_u32_e32 v1, s3
	s_xor_b32 s8, s5, s10
	s_sub_i32 s10, 0, s3
	s_abs_i32 s9, s5
	v_rcp_iflag_f32_e32 v1, v1
	s_ashr_i32 s8, s8, 31
	v_mul_f32_e32 v1, 0x4f7ffffe, v1
	v_cvt_u32_f32_e32 v1, v1
	s_nop 0
	v_readfirstlane_b32 s12, v1
	s_mul_i32 s10, s10, s12
	s_mul_hi_u32 s10, s12, s10
	s_add_i32 s12, s12, s10
	s_mul_hi_u32 s10, s9, s12
	s_mul_i32 s12, s10, s3
	s_sub_i32 s9, s9, s12
	s_add_i32 s12, s10, 1
	s_sub_i32 s13, s9, s3
	s_cmp_ge_u32 s9, s3
	s_cselect_b32 s10, s12, s10
	s_cselect_b32 s9, s13, s9
	s_add_i32 s12, s10, 1
	s_cmp_ge_u32 s9, s3
	s_cselect_b32 s3, s12, s10
	s_xor_b32 s3, s3, s8
	s_sub_i32 s15, s3, s8
	s_abs_i32 s12, s15
	v_cvt_f32_u32_e32 v1, s12
	s_load_dwordx2 s[8:9], s[0:1], 0x40
	s_sub_i32 s3, 0, s12
	s_abs_i32 s13, s2
	v_rcp_iflag_f32_e32 v1, v1
	s_mov_b32 s10, 0
	v_mul_f32_e32 v1, 0x4f7ffffe, v1
	v_cvt_u32_f32_e32 v1, v1
	s_nop 0
	v_readfirstlane_b32 s14, v1
	s_mul_i32 s3, s3, s14
	s_mul_hi_u32 s3, s14, s3
	s_add_i32 s14, s14, s3
	s_waitcnt lgkmcnt(0)
	s_cmp_eq_u64 s[8:9], 0
	s_mul_hi_u32 s14, s13, s14
	s_cbranch_scc1 .LBB230_2
; %bb.1:
	s_ashr_i32 s3, s2, 31
	s_lshl_b64 s[16:17], s[2:3], 2
	s_add_u32 s8, s8, s16
	s_addc_u32 s9, s9, s17
	s_load_dword s10, s[8:9], 0x0
.LBB230_2:
	s_load_dword s21, s[6:7], 0x0
	s_load_dwordx4 s[16:19], s[0:1], 0x48
	s_movk_i32 s3, 0x60
	s_ashr_i32 s8, s2, 31
	s_ashr_i32 s9, s15, 31
	v_and_b32_e32 v4, 7, v0
	s_mul_i32 s22, s2, 0x60
	v_cmp_gt_u32_e64 s[6:7], s3, v0
	v_lshlrev_b32_e32 v2, 1, v0
	s_and_saveexec_b64 s[2:3], s[6:7]
	s_cbranch_execz .LBB230_4
; %bb.3:
	s_load_dwordx2 s[24:25], s[0:1], 0x8
	s_waitcnt lgkmcnt(0)
	s_mul_i32 s26, s20, s16
	s_ashr_i32 s27, s26, 31
	s_lshl_b64 s[26:27], s[26:27], 1
	v_lshrrev_b32_e32 v3, 2, v0
	s_add_u32 s15, s24, s26
	s_addc_u32 s16, s25, s27
	s_ashr_i32 s23, s22, 31
	s_lshl_b64 s[24:25], s[22:23], 1
	s_add_u32 s24, s15, s24
	s_addc_u32 s25, s16, s25
	global_load_ushort v1, v2, s[24:25]
	v_and_b32_e32 v3, 0xfe, v3
	v_mad_u32_u24 v3, v4, 24, v3
	s_waitcnt vmcnt(0)
	ds_write_b16 v3, v1
.LBB230_4:
	s_or_b64 exec, exec, s[2:3]
	s_waitcnt lgkmcnt(0)
	s_add_i32 s3, s21, 7
	s_ashr_i32 s15, s3, 31
	s_lshr_b32 s15, s15, 29
	s_add_i32 s3, s3, s15
	s_ashr_i32 s33, s3, 3
	s_xor_b32 s3, s8, s9
	s_mul_i32 s8, s14, s12
	s_sub_i32 s8, s13, s8
	s_add_i32 s9, s14, 1
	s_sub_i32 s13, s8, s12
	s_load_dwordx2 s[26:27], s[0:1], 0x28
	s_load_dword s2, s[0:1], 0x38
	s_cmp_ge_u32 s8, s12
	s_cselect_b32 s9, s9, s14
	s_cselect_b32 s8, s13, s8
	s_add_i32 s13, s9, 1
	s_cmp_ge_u32 s8, s12
	s_cselect_b32 s8, s13, s9
	v_lshrrev_b32_e32 v1, 6, v0
	s_xor_b32 s8, s8, s3
	s_waitcnt lgkmcnt(0)
	s_mul_i32 s28, s20, s2
	s_sub_i32 s16, s8, s3
	s_ashr_i32 s29, s28, 31
	v_cmp_gt_i32_e64 s[2:3], s33, v1
	v_cmp_le_i32_e32 vcc, s33, v1
	v_mbcnt_lo_u32_b32 v16, -1, 0
	s_barrier
	s_waitcnt lgkmcnt(0)
                                        ; implicit-def: $sgpr19
                                        ; implicit-def: $vgpr10
                                        ; implicit-def: $vgpr11
	s_and_saveexec_b64 s[8:9], vcc
	s_xor_b64 s[8:9], exec, s[8:9]
; %bb.5:
	v_mbcnt_hi_u32_b32 v10, -1, v16
	v_and_b32_e32 v3, 64, v10
	v_add_u32_e32 v11, 64, v3
	s_mov_b32 s19, 0xff7fffff
                                        ; implicit-def: $vgpr4
                                        ; implicit-def: $vgpr16
; %bb.6:
	s_or_saveexec_b64 s[34:35], s[8:9]
	s_load_dwordx2 s[24:25], s[0:1], 0x0
	s_load_dwordx2 s[30:31], s[0:1], 0x18
	s_load_dword s23, s[0:1], 0x88
	s_load_dwordx4 s[12:15], s[0:1], 0x58
	v_mov_b32_e32 v3, s19
	s_mul_i32 s16, s16, s18
	v_lshrrev_b32_e32 v12, 4, v0
	s_xor_b64 exec, exec, s[34:35]
	s_cbranch_execz .LBB230_12
; %bb.7:
	s_load_dwordx2 s[0:1], s[0:1], 0x10
	s_ashr_i32 s8, s16, 31
	v_bfe_u32 v3, v0, 3, 3
	v_lshlrev_b32_e32 v6, 4, v3
	v_mov_b32_e32 v5, 0
	s_waitcnt lgkmcnt(0)
	s_add_u32 s0, s0, s16
	s_addc_u32 s1, s1, s8
	s_sub_i32 s39, 1, s21
	s_lshl_b64 s[8:9], s[28:29], 2
	v_lshl_or_b32 v14, v1, 3, v3
	v_lshlrev_b32_e32 v3, 2, v3
	s_add_u32 s8, s26, s8
	v_mbcnt_hi_u32_b32 v10, -1, v16
	v_mov_b32_e32 v7, v5
	v_lshl_or_b32 v3, v1, 5, v3
	v_and_b32_e32 v8, 60, v12
	v_mov_b32_e32 v9, v5
	s_addc_u32 s9, s27, s9
	v_and_b32_e32 v11, 64, v10
	s_mov_b32 s38, s17
	v_lshl_add_u64 v[6:7], s[0:1], 0, v[6:7]
	v_mul_u32_u24_e32 v13, 24, v4
	v_cmp_eq_u32_e32 vcc, 0, v4
	v_cmp_neq_f32_e64 s[0:1], s10, 0
	v_add_u32_e32 v15, 0xd0, v3
	v_lshl_add_u64 v[8:9], s[8:9], 0, v[8:9]
	s_mov_b64 s[18:19], 0
	v_mov_b32_e32 v3, 0xff7fffff
	v_add_u32_e32 v11, 64, v11
	v_xor_b32_e32 v16, 4, v10
	v_xor_b32_e32 v17, 2, v10
	;; [unrolled: 1-line block ×3, first 2 shown]
	v_mov_b32_e32 v19, v1
	s_branch .LBB230_9
.LBB230_8:                              ;   in Loop: Header=BB230_9 Depth=1
	s_or_b64 exec, exec, s[36:37]
	v_add_u32_e32 v19, 2, v19
	v_cmp_le_i32_e64 s[8:9], s33, v19
	v_add_u32_e32 v14, 16, v14
	v_add_u32_e32 v15, 64, v15
	s_or_b64 s[18:19], s[8:9], s[18:19]
	v_lshl_add_u64 v[8:9], v[8:9], 0, 8
	s_andn2_b64 exec, exec, s[18:19]
	s_cbranch_execz .LBB230_11
.LBB230_9:                              ; =>This Inner Loop Header: Depth=1
	global_load_dword v20, v[8:9], off
	s_waitcnt vmcnt(0) lgkmcnt(0)
	v_mad_i64_i32 v[20:21], s[8:9], v20, s38, v[6:7]
	v_lshl_add_u64 v[20:21], v[20:21], 0, v[4:5]
	global_load_ubyte v22, v[20:21], off
	global_load_ubyte v23, v[20:21], off offset:8
	global_load_dword v24, v5, s[12:13]
	global_load_ubyte v25, v[20:21], off offset:128
	global_load_ubyte v26, v[20:21], off offset:136
	;; [unrolled: 1-line block ×10, first 2 shown]
	ds_read_u16 v20, v13
	s_waitcnt lgkmcnt(0)
	;;#ASMSTART
	v_cvt_f32_f16 v20, v20;
	;;#ASMEND
	v_cmp_lt_i32_e64 s[8:9], v16, v11
	s_waitcnt vmcnt(12)
	v_cvt_f32_fp8_sdwa v21, v22 src0_sel:BYTE_0
	s_waitcnt vmcnt(11)
	v_cvt_f32_fp8_sdwa v23, v23 src0_sel:BYTE_0
	v_cndmask_b32_e64 v22, v10, v16, s[8:9]
	s_waitcnt vmcnt(9)
	v_cvt_f32_fp8_sdwa v25, v25 src0_sel:BYTE_0
	v_fma_mixlo_f16 v21, v24, v21, 0
	v_and_b32_e32 v21, 0xffff, v21
	v_fma_mixlo_f16 v23, v24, v23, 0
	s_waitcnt vmcnt(8)
	v_cvt_f32_fp8_sdwa v26, v26 src0_sel:BYTE_0
	;;#ASMSTART
	v_cvt_f32_f16 v21, v21;
	;;#ASMEND
	ds_read_u16 v35, v13 offset:2
	v_and_b32_e32 v23, 0xffff, v23
	s_waitcnt vmcnt(7)
	v_cvt_f32_fp8_sdwa v27, v27 src0_sel:BYTE_0
	s_waitcnt lgkmcnt(0)
	;;#ASMSTART
	v_cvt_f32_f16 v35, v35;
	;;#ASMEND
	;;#ASMSTART
	v_cvt_f32_f16 v23, v23;
	;;#ASMEND
	s_waitcnt vmcnt(6)
	v_cvt_f32_fp8_sdwa v28, v28 src0_sel:BYTE_0
	v_fma_mixlo_f16 v25, v24, v25, 0
	s_waitcnt vmcnt(5)
	v_cvt_f32_fp8_sdwa v29, v29 src0_sel:BYTE_0
	v_mul_f32_e32 v23, v35, v23
	ds_read_u16 v36, v13 offset:4
	v_and_b32_e32 v25, 0xffff, v25
	v_fma_mixlo_f16 v26, v24, v26, 0
	s_waitcnt vmcnt(4)
	v_cvt_f32_fp8_sdwa v30, v30 src0_sel:BYTE_0
	v_fmac_f32_e32 v23, v20, v21
	s_waitcnt lgkmcnt(0)
	;;#ASMSTART
	v_cvt_f32_f16 v36, v36;
	;;#ASMEND
	;;#ASMSTART
	v_cvt_f32_f16 v25, v25;
	;;#ASMEND
	ds_read_u16 v37, v13 offset:6
	v_and_b32_e32 v26, 0xffff, v26
	s_waitcnt vmcnt(3)
	v_cvt_f32_fp8_sdwa v31, v31 src0_sel:BYTE_0
	v_fma_mixlo_f16 v27, v24, v27, 0
	v_fmac_f32_e32 v23, v36, v25
	s_waitcnt lgkmcnt(0)
	;;#ASMSTART
	v_cvt_f32_f16 v37, v37;
	;;#ASMEND
	;;#ASMSTART
	v_cvt_f32_f16 v26, v26;
	;;#ASMEND
	ds_read_u16 v38, v13 offset:8
	v_and_b32_e32 v27, 0xffff, v27
	v_fma_mixlo_f16 v28, v24, v28, 0
	v_fmac_f32_e32 v23, v37, v26
	s_waitcnt lgkmcnt(0)
	;;#ASMSTART
	v_cvt_f32_f16 v38, v38;
	;;#ASMEND
	;;#ASMSTART
	v_cvt_f32_f16 v27, v27;
	;;#ASMEND
	ds_read_u16 v39, v13 offset:10
	s_waitcnt vmcnt(2)
	v_cvt_f32_fp8_sdwa v32, v32 src0_sel:BYTE_0
	s_waitcnt vmcnt(1)
	v_cvt_f32_fp8_sdwa v33, v33 src0_sel:BYTE_0
	v_and_b32_e32 v28, 0xffff, v28
	s_waitcnt vmcnt(0)
	v_cvt_f32_fp8_sdwa v34, v34 src0_sel:BYTE_0
	v_fma_mixlo_f16 v29, v24, v29, 0
	v_fmac_f32_e32 v23, v38, v27
	s_waitcnt lgkmcnt(0)
	;;#ASMSTART
	v_cvt_f32_f16 v39, v39;
	;;#ASMEND
	;;#ASMSTART
	v_cvt_f32_f16 v28, v28;
	;;#ASMEND
	ds_read_u16 v40, v13 offset:12
	v_fma_mixlo_f16 v30, v24, v30, 0
	v_and_b32_e32 v29, 0xffff, v29
	v_fmac_f32_e32 v23, v39, v28
	s_waitcnt lgkmcnt(0)
	;;#ASMSTART
	v_cvt_f32_f16 v40, v40;
	;;#ASMEND
	;;#ASMSTART
	v_cvt_f32_f16 v29, v29;
	;;#ASMEND
	ds_read_u16 v41, v13 offset:14
	v_fma_mixlo_f16 v31, v24, v31, 0
	v_and_b32_e32 v30, 0xffff, v30
	v_fmac_f32_e32 v23, v40, v29
	s_waitcnt lgkmcnt(0)
	;;#ASMSTART
	v_cvt_f32_f16 v41, v41;
	;;#ASMEND
	;;#ASMSTART
	v_cvt_f32_f16 v30, v30;
	;;#ASMEND
	v_and_b32_e32 v31, 0xffff, v31
	v_fmac_f32_e32 v23, v41, v30
	v_fma_mixlo_f16 v32, v24, v32, 0
	v_fma_mixlo_f16 v33, v24, v33, 0
	ds_read_u16 v42, v13 offset:16
	v_fma_mixlo_f16 v24, v24, v34, 0
	s_waitcnt lgkmcnt(0)
	;;#ASMSTART
	v_cvt_f32_f16 v34, v42;
	;;#ASMEND
	;;#ASMSTART
	v_cvt_f32_f16 v31, v31;
	;;#ASMEND
	v_and_b32_e32 v32, 0xffff, v32
	v_fmac_f32_e32 v23, v34, v31
	ds_read_u16 v42, v13 offset:18
	s_waitcnt lgkmcnt(0)
	;;#ASMSTART
	v_cvt_f32_f16 v20, v42;
	;;#ASMEND
	;;#ASMSTART
	v_cvt_f32_f16 v21, v32;
	;;#ASMEND
	ds_read_u16 v25, v13 offset:20
	v_fmac_f32_e32 v23, v20, v21
	v_and_b32_e32 v33, 0xffff, v33
	s_waitcnt lgkmcnt(0)
	;;#ASMSTART
	v_cvt_f32_f16 v25, v25;
	;;#ASMEND
	;;#ASMSTART
	v_cvt_f32_f16 v26, v33;
	;;#ASMEND
	v_lshlrev_b32_e32 v22, 2, v22
	v_fmac_f32_e32 v23, v25, v26
	v_and_b32_e32 v24, 0xffff, v24
	ds_read_u16 v27, v13 offset:22
	s_waitcnt lgkmcnt(0)
	;;#ASMSTART
	v_cvt_f32_f16 v20, v27;
	;;#ASMEND
	;;#ASMSTART
	v_cvt_f32_f16 v21, v24;
	;;#ASMEND
	v_cmp_lt_i32_e64 s[8:9], v17, v11
	v_fmac_f32_e32 v23, v20, v21
	ds_bpermute_b32 v20, v22, v23
	v_cndmask_b32_e64 v21, v10, v17, s[8:9]
	v_lshlrev_b32_e32 v21, 2, v21
	v_cmp_lt_i32_e64 s[8:9], v18, v11
	s_waitcnt lgkmcnt(0)
	v_add_f32_e32 v20, v23, v20
	ds_bpermute_b32 v21, v21, v20
	v_cndmask_b32_e64 v22, v10, v18, s[8:9]
	s_waitcnt lgkmcnt(0)
	v_add_f32_e32 v20, v20, v21
	v_lshlrev_b32_e32 v21, 2, v22
	ds_bpermute_b32 v21, v21, v20
	s_and_saveexec_b64 s[36:37], vcc
	s_cbranch_execz .LBB230_8
; %bb.10:                               ;   in Loop: Header=BB230_9 Depth=1
	v_add_u32_e32 v22, s39, v14
	v_cvt_f32_i32_e32 v22, v22
	s_waitcnt lgkmcnt(0)
	v_add_f32_e32 v20, v20, v21
	v_cmp_gt_i32_e64 s[8:9], s21, v14
	v_max_f32_e32 v21, v3, v3
	v_mul_f32_e32 v22, s10, v22
	v_cndmask_b32_e64 v22, 0, v22, s[0:1]
	v_fmac_f32_e32 v22, s11, v20
	v_cndmask_b32_e64 v20, 0, v22, s[8:9]
	ds_write_b32 v15, v20
	v_max_f32_e32 v20, v21, v22
	v_cndmask_b32_e64 v3, v3, v20, s[8:9]
	s_branch .LBB230_8
.LBB230_11:
	s_or_b64 exec, exec, s[18:19]
.LBB230_12:
	s_or_b64 exec, exec, s[34:35]
	v_xor_b32_e32 v4, 32, v10
	v_cmp_lt_i32_e32 vcc, v4, v11
	v_xor_b32_e32 v6, 16, v10
	v_xor_b32_e32 v8, 8, v10
	v_cndmask_b32_e32 v4, v10, v4, vcc
	v_lshlrev_b32_e32 v5, 2, v4
	ds_bpermute_b32 v4, v5, v3
	v_max_f32_e32 v3, v3, v3
	v_cmp_lt_i32_e32 vcc, v6, v11
	s_waitcnt lgkmcnt(0)
	v_max_f32_e32 v4, v4, v4
	v_max_f32_e32 v3, v3, v4
	v_cndmask_b32_e32 v4, v10, v6, vcc
	v_lshlrev_b32_e32 v7, 2, v4
	ds_bpermute_b32 v4, v7, v3
	v_cmp_lt_i32_e32 vcc, v8, v11
	s_waitcnt lgkmcnt(0)
	v_max_f32_e32 v4, v4, v4
	v_max_f32_e32 v6, v3, v4
	v_cndmask_b32_e32 v3, v10, v8, vcc
	v_lshlrev_b32_e32 v9, 2, v3
	ds_bpermute_b32 v8, v9, v6
	v_and_b32_e32 v3, 63, v0
	v_cmp_eq_u32_e32 vcc, 0, v3
	v_lshlrev_b32_e32 v4, 2, v1
	s_and_saveexec_b64 s[0:1], vcc
	s_cbranch_execz .LBB230_14
; %bb.13:
	s_waitcnt lgkmcnt(0)
	v_max_f32_e32 v8, v8, v8
	v_max_f32_e32 v6, v6, v6
	;; [unrolled: 1-line block ×3, first 2 shown]
	ds_write_b32 v4, v6 offset:192
.LBB230_14:
	s_or_b64 exec, exec, s[0:1]
	v_cmp_gt_u32_e64 s[0:1], 2, v3
	v_mov_b32_e32 v13, 0xff7fffff
	v_lshlrev_b32_e32 v6, 2, v3
	s_waitcnt lgkmcnt(0)
	s_barrier
	s_and_saveexec_b64 s[8:9], s[0:1]
	s_cbranch_execz .LBB230_16
; %bb.15:
	ds_read_b32 v13, v6 offset:192
.LBB230_16:
	s_or_b64 exec, exec, s[8:9]
	v_xor_b32_e32 v8, 1, v10
	v_cmp_lt_i32_e64 s[8:9], v8, v11
	v_lshlrev_b32_e32 v15, 2, v10
	s_nop 0
	v_cndmask_b32_e64 v8, v10, v8, s[8:9]
	v_lshlrev_b32_e32 v8, 2, v8
	s_waitcnt lgkmcnt(0)
	ds_bpermute_b32 v14, v8, v13
	v_max_f32_e32 v13, v13, v13
	s_lshl_b32 s8, s33, 3
	s_min_i32 s34, s8, s21
	v_cmp_gt_i32_e64 s[8:9], s34, v0
	s_waitcnt lgkmcnt(0)
	v_max_f32_e32 v14, v14, v14
	v_max_f32_e32 v14, v13, v14
	v_and_b32_e32 v13, 0xffffff00, v15
	ds_bpermute_b32 v15, v13, v14
	v_mov_b32_e32 v14, 0
	s_and_saveexec_b64 s[12:13], s[8:9]
	s_cbranch_execz .LBB230_20
; %bb.17:
	v_mov_b32_e32 v14, 0xd0
	v_lshl_add_u32 v16, v0, 2, v14
	s_mov_b64 s[18:19], 0
	v_mov_b32_e32 v14, 0
	v_mov_b32_e32 v17, v0
.LBB230_18:                             ; =>This Inner Loop Header: Depth=1
	ds_read_b32 v18, v16
	v_add_u32_e32 v17, 0x80, v17
	v_cmp_le_i32_e64 s[10:11], s34, v17
	s_or_b64 s[18:19], s[10:11], s[18:19]
	s_waitcnt lgkmcnt(0)
	v_sub_f32_e32 v18, v18, v15
	v_mul_f32_e32 v18, 0x3fb8aa3b, v18
	v_exp_f32_e32 v18, v18
	ds_write_b32 v16, v18
	v_add_f32_e32 v14, v14, v18
	v_add_u32_e32 v16, 0x200, v16
	s_andn2_b64 exec, exec, s[18:19]
	s_cbranch_execnz .LBB230_18
; %bb.19:
	s_or_b64 exec, exec, s[18:19]
.LBB230_20:
	s_or_b64 exec, exec, s[12:13]
	ds_bpermute_b32 v5, v5, v14
	s_waitcnt lgkmcnt(0)
	v_add_f32_e32 v5, v14, v5
	ds_bpermute_b32 v7, v7, v5
	s_waitcnt lgkmcnt(0)
	v_add_f32_e32 v5, v5, v7
	ds_bpermute_b32 v7, v9, v5
	v_xor_b32_e32 v9, 4, v10
	v_cmp_lt_i32_e64 s[10:11], v9, v11
	s_waitcnt lgkmcnt(0)
	v_add_f32_e32 v5, v5, v7
	v_cndmask_b32_e64 v9, v10, v9, s[10:11]
	v_lshlrev_b32_e32 v9, 2, v9
	ds_bpermute_b32 v7, v9, v5
	v_xor_b32_e32 v9, 2, v10
	v_cmp_lt_i32_e64 s[10:11], v9, v11
	s_waitcnt lgkmcnt(0)
	v_add_f32_e32 v5, v5, v7
	v_cndmask_b32_e64 v9, v10, v9, s[10:11]
	v_lshlrev_b32_e32 v7, 2, v9
	ds_bpermute_b32 v7, v7, v5
	s_waitcnt lgkmcnt(0)
	v_add_f32_e32 v5, v5, v7
	ds_bpermute_b32 v7, v8, v5
	s_waitcnt lgkmcnt(0)
	v_add_f32_e32 v5, v5, v7
	s_and_saveexec_b64 s[10:11], vcc
	s_cbranch_execz .LBB230_22
; %bb.21:
	ds_write_b32 v4, v5 offset:200
.LBB230_22:
	s_or_b64 exec, exec, s[10:11]
	s_waitcnt lgkmcnt(0)
	s_barrier
	s_and_saveexec_b64 s[10:11], s[0:1]
	s_cbranch_execz .LBB230_24
; %bb.23:
	ds_read_b32 v5, v6 offset:200
.LBB230_24:
	s_or_b64 exec, exec, s[10:11]
	s_waitcnt lgkmcnt(0)
	ds_bpermute_b32 v4, v8, v5
	s_waitcnt lgkmcnt(0)
	v_add_f32_e32 v4, v5, v4
	ds_bpermute_b32 v4, v13, v4
	s_and_saveexec_b64 s[0:1], s[8:9]
	s_cbranch_execz .LBB230_37
; %bb.25:
	s_waitcnt lgkmcnt(0)
	v_add_f32_e32 v4, 0x358637bd, v4
	v_div_scale_f32 v5, s[8:9], v4, v4, 1.0
	v_rcp_f32_e32 v6, v5
	v_div_scale_f32 v7, vcc, 1.0, v4, 1.0
	s_movk_i32 s8, 0x7f
	v_fma_f32 v8, -v5, v6, 1.0
	v_fmac_f32_e32 v6, v8, v6
	v_mul_f32_e32 v8, v7, v6
	v_fma_f32 v9, -v5, v8, v7
	v_fmac_f32_e32 v8, v9, v6
	v_fma_f32 v5, -v5, v8, v7
	v_div_fmas_f32 v5, v5, v6, v8
	v_xad_u32 v6, v0, -1, s34
	v_div_fixup_f32 v4, v5, v4, 1.0
	v_cmp_lt_u32_e32 vcc, s8, v6
	s_mov_b64 s[10:11], -1
	v_mov_b32_e32 v5, v0
	s_and_saveexec_b64 s[8:9], vcc
	s_cbranch_execz .LBB230_34
; %bb.26:
	v_lshrrev_b32_e32 v6, 7, v6
	v_add_u32_e32 v8, -1, v6
	v_lshrrev_b32_e32 v7, 1, v8
	v_mov_b32_e32 v5, v4
	v_add_u32_e32 v7, 1, v7
	v_cmp_lt_u32_e32 vcc, 13, v8
	v_mov_b32_e32 v10, 0
	s_and_saveexec_b64 s[10:11], vcc
	s_cbranch_execz .LBB230_30
; %bb.27:
	v_mov_b32_e32 v9, 0xd0
	v_and_b32_e32 v8, -8, v7
	v_lshl_add_u32 v9, v0, 2, v9
	s_mov_b32 s18, 0
	s_mov_b64 s[12:13], 0
.LBB230_28:                             ; =>This Inner Loop Header: Depth=1
	ds_read2st64_b32 v[10:11], v9 offset1:2
	ds_read2st64_b32 v[14:15], v9 offset0:4 offset1:6
	ds_read2st64_b32 v[16:17], v9 offset0:8 offset1:10
	;; [unrolled: 1-line block ×3, first 2 shown]
	v_add_u32_e32 v8, -8, v8
	s_waitcnt lgkmcnt(3)
	v_pk_mul_f32 v[10:11], v[4:5], v[10:11]
	s_waitcnt lgkmcnt(2)
	v_pk_mul_f32 v[14:15], v[4:5], v[14:15]
	ds_write2st64_b32 v9, v10, v11 offset1:2
	ds_write2st64_b32 v9, v14, v15 offset0:4 offset1:6
	ds_read2st64_b32 v[14:15], v9 offset0:16 offset1:18
	s_waitcnt lgkmcnt(4)
	v_pk_mul_f32 v[10:11], v[4:5], v[16:17]
	ds_write2st64_b32 v9, v10, v11 offset0:8 offset1:10
	s_waitcnt lgkmcnt(4)
	v_pk_mul_f32 v[10:11], v[4:5], v[18:19]
	ds_write2st64_b32 v9, v10, v11 offset0:12 offset1:14
	ds_read2st64_b32 v[10:11], v9 offset0:20 offset1:22
	s_waitcnt lgkmcnt(3)
	v_pk_mul_f32 v[14:15], v[4:5], v[14:15]
	ds_read2st64_b32 v[16:17], v9 offset0:24 offset1:26
	ds_write2st64_b32 v9, v14, v15 offset0:16 offset1:18
	ds_read2st64_b32 v[14:15], v9 offset0:28 offset1:30
	s_waitcnt lgkmcnt(3)
	v_pk_mul_f32 v[10:11], v[4:5], v[10:11]
	ds_write2st64_b32 v9, v10, v11 offset0:20 offset1:22
	s_waitcnt lgkmcnt(3)
	v_pk_mul_f32 v[10:11], v[4:5], v[16:17]
	ds_write2st64_b32 v9, v10, v11 offset0:24 offset1:26
	s_waitcnt lgkmcnt(2)
	v_pk_mul_f32 v[10:11], v[4:5], v[14:15]
	s_add_i32 s18, s18, 16
	v_cmp_eq_u32_e32 vcc, 0, v8
	ds_write2st64_b32 v9, v10, v11 offset0:28 offset1:30
	v_add_u32_e32 v9, 0x2000, v9
	s_or_b64 s[12:13], vcc, s[12:13]
	v_mov_b32_e32 v10, s18
	s_andn2_b64 exec, exec, s[12:13]
	s_cbranch_execnz .LBB230_28
; %bb.29:
	s_or_b64 exec, exec, s[12:13]
.LBB230_30:
	s_or_b64 exec, exec, s[10:11]
	v_and_b32_e32 v7, 7, v7
	v_cmp_ne_u32_e32 vcc, 0, v7
	s_and_saveexec_b64 s[10:11], vcc
	s_cbranch_execz .LBB230_33
; %bb.31:
	v_lshlrev_b32_e32 v8, 9, v10
	v_lshlrev_b32_e32 v9, 2, v0
	s_movk_i32 s12, 0xd0
	v_add3_u32 v8, v8, v9, s12
	s_mov_b64 s[12:13], 0
.LBB230_32:                             ; =>This Inner Loop Header: Depth=1
	ds_read2st64_b32 v[10:11], v8 offset1:2
	v_add_u32_e32 v7, -1, v7
	v_cmp_eq_u32_e32 vcc, 0, v7
	s_or_b64 s[12:13], vcc, s[12:13]
	s_waitcnt lgkmcnt(0)
	v_pk_mul_f32 v[10:11], v[4:5], v[10:11]
	ds_write2st64_b32 v8, v10, v11 offset1:2
	v_add_u32_e32 v8, 0x400, v8
	s_andn2_b64 exec, exec, s[12:13]
	s_cbranch_execnz .LBB230_32
.LBB230_33:
	s_or_b64 exec, exec, s[10:11]
	v_add_u32_e32 v6, 1, v6
	v_and_b32_e32 v7, 0x3fffffe, v6
	v_cmp_ne_u32_e32 vcc, v6, v7
	v_lshl_add_u32 v5, v7, 7, v0
	s_orn2_b64 s[10:11], vcc, exec
.LBB230_34:
	s_or_b64 exec, exec, s[8:9]
	s_and_b64 exec, exec, s[10:11]
	s_cbranch_execz .LBB230_37
; %bb.35:
	v_mov_b32_e32 v6, 0xd0
	v_lshl_add_u32 v6, v5, 2, v6
	s_mov_b64 s[8:9], 0
.LBB230_36:                             ; =>This Inner Loop Header: Depth=1
	ds_read_b32 v7, v6
	v_add_u32_e32 v5, 0x80, v5
	v_cmp_le_i32_e32 vcc, s34, v5
	s_or_b64 s[8:9], vcc, s[8:9]
	s_waitcnt lgkmcnt(0)
	v_mul_f32_e32 v7, v4, v7
	ds_write_b32 v6, v7
	v_add_u32_e32 v6, 0x200, v6
	s_andn2_b64 exec, exec, s[8:9]
	s_cbranch_execnz .LBB230_36
.LBB230_37:
	s_or_b64 exec, exec, s[0:1]
	s_mov_b32 s0, 0
	s_mov_b32 s1, s0
	s_waitcnt lgkmcnt(0)
	v_mov_b64_e32 v[4:5], s[0:1]
	s_barrier
	s_and_saveexec_b64 s[8:9], s[2:3]
	s_cbranch_execz .LBB230_175
; %bb.38:
	s_ashr_i32 s3, s16, 31
	s_add_u32 s2, s30, s16
	v_or_b32_e32 v4, 64, v3
	s_movk_i32 s10, 0x60
	s_addc_u32 s3, s31, s3
	s_add_i32 s30, s33, -1
	v_cmp_gt_u32_e32 vcc, s10, v4
	s_lshl_b64 s[10:11], s[28:29], 2
	s_add_u32 s10, s26, s10
	v_mov_b32_e32 v9, 0
	v_lshlrev_b32_e32 v10, 3, v4
	v_mov_b32_e32 v4, 0xd0
	v_and_b32_e32 v8, 60, v12
	s_addc_u32 s11, s27, s11
	s_mov_b32 s34, s17
	v_lshlrev_b32_e32 v6, 3, v3
	v_mov_b32_e32 v7, v9
	v_mov_b32_e32 v11, v9
	s_mov_b32 s31, s21
	v_lshlrev_b32_e32 v26, 3, v1
	v_lshl_add_u32 v27, v1, 5, v4
	v_lshl_add_u64 v[12:13], s[10:11], 0, v[8:9]
	s_mov_b64 s[10:11], 0
	v_mov_b64_e32 v[4:5], s[0:1]
	v_mov_b64_e32 v[14:15], s[2:3]
	s_movk_i32 s28, 0x7f
	s_movk_i32 s29, 0x80
	s_mov_b32 s35, 0x8000
	s_movk_i32 s36, 0x380
	s_mov_b32 s37, 0x3020706
	s_mov_b32 s38, 0x1000504
	;; [unrolled: 1-line block ×3, first 2 shown]
	v_mov_b32_e32 v28, 0x1c00
	s_branch .LBB230_41
.LBB230_39:                             ;   in Loop: Header=BB230_41 Depth=1
	s_or_b64 exec, exec, s[16:17]
	;;#ASMSTART
	v_pk_mul_f16 v18, v30, v19;

	;;#ASMEND
	;;#ASMSTART
	v_pk_mul_f16 v8, v29, v8;

	;;#ASMEND
	;; [unrolled: 4-line block ×4, first 2 shown]
	s_nop 0
	;;#ASMSTART
	v_pk_add_f16 v8, v18, v8;

	;;#ASMEND
	s_nop 0
	;;#ASMSTART
	v_pk_add_f16 v8, v8, v17;

	;;#ASMEND
	;; [unrolled: 5-line block ×3, first 2 shown]
	s_nop 0
	v_lshrrev_b32_e32 v16, 16, v8
	v_and_b32_e32 v8, 0xffff, v8
	;;#ASMSTART
	v_cvt_f32_f16 v8, v8;
	;;#ASMEND
	;;#ASMSTART
	v_cvt_f32_f16 v16, v16;
	;;#ASMEND
	s_nop 0
	v_add_f32_e32 v8, v8, v16
	v_add_f32_e32 v5, v5, v8
.LBB230_40:                             ;   in Loop: Header=BB230_41 Depth=1
	s_or_b64 exec, exec, s[12:13]
	v_add_u32_e32 v1, 2, v1
	v_cmp_le_i32_e64 s[0:1], s33, v1
	v_add_u32_e32 v26, 16, v26
	v_add_u32_e32 v27, 64, v27
	s_or_b64 s[10:11], s[0:1], s[10:11]
	v_lshl_add_u64 v[12:13], v[12:13], 0, 8
	s_andn2_b64 exec, exec, s[10:11]
	s_cbranch_execz .LBB230_174
.LBB230_41:                             ; =>This Inner Loop Header: Depth=1
	ds_read2_b64 v[20:23], v27 offset1:1
	ds_read2_b64 v[34:37], v27 offset0:2 offset1:3
                                        ; implicit-def: $sgpr16
	s_waitcnt lgkmcnt(1)
	;;#ASMSTART
	v_cvt_f16_f32 v19, v20;

	;;#ASMEND
	;;#ASMSTART
	v_cvt_f16_f32 v29, v21;

	;;#ASMEND
	;;#ASMSTART
	v_cvt_f16_f32 v31, v22;

	;;#ASMEND
	;;#ASMSTART
	v_cvt_f16_f32 v32, v23;

	;;#ASMEND
	s_waitcnt lgkmcnt(0)
	;;#ASMSTART
	v_cvt_f16_f32 v33, v34;

	;;#ASMEND
	;;#ASMSTART
	v_cvt_f16_f32 v34, v35;

	;;#ASMEND
	;; [unrolled: 4-line block ×4, first 2 shown]
	global_load_dword v8, v[12:13], off
	s_waitcnt vmcnt(0)
	v_mad_i64_i32 v[16:17], s[0:1], v8, s34, v[14:15]
	v_lshl_add_u64 v[22:23], v[16:17], 0, v[6:7]
	global_load_dwordx2 v[20:21], v[22:23], off
	global_load_dword v18, v9, s[14:15]
	s_mov_b64 s[0:1], 0
	s_waitcnt vmcnt(1)
	v_cmp_gt_i16_sdwa s[2:3], v20, s28 src0_sel:BYTE_0 src1_sel:DWORD
	s_and_saveexec_b64 s[12:13], s[2:3]
	s_xor_b64 s[2:3], exec, s[12:13]
	s_cbranch_execnz .LBB230_110
; %bb.42:                               ;   in Loop: Header=BB230_41 Depth=1
	s_or_saveexec_b64 s[2:3], s[2:3]
	v_mov_b32_e32 v22, s16
	s_xor_b64 exec, exec, s[2:3]
	s_cbranch_execnz .LBB230_113
.LBB230_43:                             ;   in Loop: Header=BB230_41 Depth=1
	s_or_b64 exec, exec, s[2:3]
	s_and_saveexec_b64 s[2:3], s[0:1]
	s_cbranch_execz .LBB230_45
.LBB230_44:                             ;   in Loop: Header=BB230_41 Depth=1
	v_and_b32_e32 v8, 7, v20
	v_ffbh_u32_e32 v8, v8
	v_bfe_u32 v22, v20, 3, 4
	v_min_u32_e32 v8, 32, v8
	v_subrev_u32_e32 v23, 28, v8
	v_sub_u32_e32 v8, 29, v8
	v_cmp_eq_u32_e64 s[0:1], 0, v22
	s_nop 1
	v_cndmask_b32_e64 v8, v22, v8, s[0:1]
	v_cndmask_b32_e64 v22, 0, v23, s[0:1]
	v_lshlrev_b64 v[22:23], v22, v[20:21]
	v_lshlrev_b32_e32 v23, 8, v20
	v_lshl_add_u32 v8, v8, 10, v28
	v_lshlrev_b32_e32 v22, 7, v22
	v_and_or_b32 v8, v23, s35, v8
	v_and_or_b32 v8, v22, s36, v8
	v_cvt_f32_f16_e32 v22, v8
.LBB230_45:                             ;   in Loop: Header=BB230_41 Depth=1
	s_or_b64 exec, exec, s[2:3]
	v_lshrrev_b16_e32 v8, 8, v20
	v_cmp_lt_i16_e64 s[0:1], s28, v8
	s_mov_b64 s[2:3], 0
                                        ; implicit-def: $sgpr18
	s_and_saveexec_b64 s[12:13], s[0:1]
	s_xor_b64 s[12:13], exec, s[12:13]
	s_cbranch_execnz .LBB230_114
; %bb.46:                               ;   in Loop: Header=BB230_41 Depth=1
	s_or_saveexec_b64 s[12:13], s[12:13]
	v_mov_b32_e32 v24, s18
	s_xor_b64 exec, exec, s[12:13]
	s_cbranch_execnz .LBB230_117
.LBB230_47:                             ;   in Loop: Header=BB230_41 Depth=1
	s_or_b64 exec, exec, s[12:13]
	s_and_saveexec_b64 s[12:13], s[2:3]
	s_cbranch_execz .LBB230_49
.LBB230_48:                             ;   in Loop: Header=BB230_41 Depth=1
	v_and_b32_e32 v23, 7, v8
	v_ffbh_u32_e32 v24, v23
	v_min_u32_e32 v37, 32, v24
	v_subrev_u32_e32 v24, 28, v37
	v_bfe_u32 v30, v8, 3, 4
	v_lshlrev_b64 v[24:25], v24, v[8:9]
	v_sub_u32_e32 v25, 29, v37
	v_cmp_eq_u32_e64 s[0:1], 0, v30
	v_and_b32_e32 v24, 7, v24
	v_lshlrev_b32_e32 v8, 8, v8
	v_cndmask_b32_e64 v25, v30, v25, s[0:1]
	v_cndmask_b32_e64 v23, v23, v24, s[0:1]
	v_lshl_add_u32 v24, v25, 10, v28
	v_and_or_b32 v8, v8, s35, v24
	v_lshl_or_b32 v8, v23, 7, v8
	v_cvt_f32_f16_e32 v24, v8
.LBB230_49:                             ;   in Loop: Header=BB230_41 Depth=1
	s_or_b64 exec, exec, s[12:13]
	v_lshrrev_b32_e32 v8, 16, v20
	v_cmp_gt_i16_sdwa s[2:3], v8, s28 src0_sel:BYTE_0 src1_sel:DWORD
	s_mov_b64 s[0:1], 0
                                        ; implicit-def: $sgpr16
	s_and_saveexec_b64 s[12:13], s[2:3]
	s_xor_b64 s[2:3], exec, s[12:13]
	s_cbranch_execnz .LBB230_118
; %bb.50:                               ;   in Loop: Header=BB230_41 Depth=1
	s_or_saveexec_b64 s[2:3], s[2:3]
	v_mov_b32_e32 v23, s16
	s_xor_b64 exec, exec, s[2:3]
	s_cbranch_execnz .LBB230_121
.LBB230_51:                             ;   in Loop: Header=BB230_41 Depth=1
	s_or_b64 exec, exec, s[2:3]
	s_and_saveexec_b64 s[2:3], s[0:1]
	s_cbranch_execz .LBB230_53
.LBB230_52:                             ;   in Loop: Header=BB230_41 Depth=1
	v_bfe_u32 v23, v20, 16, 3
	v_ffbh_u32_e32 v30, v23
	v_bfe_u32 v25, v20, 19, 4
	v_min_u32_e32 v30, 32, v30
	v_subrev_u32_e32 v37, 28, v30
	v_sub_u32_e32 v30, 29, v30
	v_cmp_eq_u32_e64 s[0:1], 0, v25
	v_lshlrev_b64 v[38:39], v37, v[8:9]
	v_and_b32_e32 v37, 7, v38
	v_cndmask_b32_e64 v25, v25, v30, s[0:1]
	v_lshlrev_b32_e32 v8, 8, v8
	v_lshl_add_u32 v25, v25, 10, v28
	v_cndmask_b32_e64 v23, v23, v37, s[0:1]
	v_and_or_b32 v8, v8, s35, v25
	v_lshl_or_b32 v8, v23, 7, v8
	v_cvt_f32_f16_e32 v23, v8
.LBB230_53:                             ;   in Loop: Header=BB230_41 Depth=1
	s_or_b64 exec, exec, s[2:3]
	v_lshrrev_b32_e32 v8, 24, v20
	v_cmp_lt_i16_e64 s[0:1], s28, v8
	s_mov_b64 s[2:3], 0
                                        ; implicit-def: $sgpr18
	s_and_saveexec_b64 s[12:13], s[0:1]
	s_xor_b64 s[12:13], exec, s[12:13]
	s_cbranch_execnz .LBB230_122
; %bb.54:                               ;   in Loop: Header=BB230_41 Depth=1
	s_or_saveexec_b64 s[12:13], s[12:13]
	v_mov_b32_e32 v25, s18
	s_xor_b64 exec, exec, s[12:13]
	s_cbranch_execnz .LBB230_125
.LBB230_55:                             ;   in Loop: Header=BB230_41 Depth=1
	s_or_b64 exec, exec, s[12:13]
	s_and_saveexec_b64 s[12:13], s[2:3]
	s_cbranch_execz .LBB230_57
.LBB230_56:                             ;   in Loop: Header=BB230_41 Depth=1
	v_bfe_u32 v25, v20, 24, 3
	v_ffbh_u32_e32 v30, v25
	v_bfe_u32 v20, v20, 27, 4
	v_min_u32_e32 v30, 32, v30
	v_subrev_u32_e32 v37, 28, v30
	v_sub_u32_e32 v30, 29, v30
	v_cmp_eq_u32_e64 s[0:1], 0, v20
	v_lshlrev_b64 v[38:39], v37, v[8:9]
	v_and_b32_e32 v37, 7, v38
	v_cndmask_b32_e64 v20, v20, v30, s[0:1]
	v_lshlrev_b32_e32 v8, 8, v8
	v_lshl_add_u32 v20, v20, 10, v28
	v_cndmask_b32_e64 v25, v25, v37, s[0:1]
	v_and_or_b32 v8, v8, s35, v20
	v_lshl_or_b32 v8, v25, 7, v8
	v_cvt_f32_f16_e32 v25, v8
.LBB230_57:                             ;   in Loop: Header=BB230_41 Depth=1
	s_or_b64 exec, exec, s[12:13]
	v_cmp_gt_i16_sdwa s[2:3], v21, s28 src0_sel:BYTE_0 src1_sel:DWORD
	s_mov_b64 s[0:1], 0
                                        ; implicit-def: $sgpr16
	s_and_saveexec_b64 s[12:13], s[2:3]
	s_xor_b64 s[2:3], exec, s[12:13]
	s_cbranch_execnz .LBB230_126
; %bb.58:                               ;   in Loop: Header=BB230_41 Depth=1
	s_or_saveexec_b64 s[2:3], s[2:3]
	v_mov_b32_e32 v20, s16
	s_xor_b64 exec, exec, s[2:3]
	s_cbranch_execnz .LBB230_129
.LBB230_59:                             ;   in Loop: Header=BB230_41 Depth=1
	s_or_b64 exec, exec, s[2:3]
	v_mov_b32_e32 v8, v21
	s_and_saveexec_b64 s[2:3], s[0:1]
	s_cbranch_execz .LBB230_61
.LBB230_60:                             ;   in Loop: Header=BB230_41 Depth=1
	v_and_b32_e32 v20, 7, v21
	v_ffbh_u32_e32 v20, v20
	v_bfe_u32 v30, v21, 3, 4
	v_min_u32_e32 v20, 32, v20
	v_subrev_u32_e32 v37, 28, v20
	v_sub_u32_e32 v20, 29, v20
	v_cmp_eq_u32_e64 s[0:1], 0, v30
	s_nop 1
	v_cndmask_b32_e64 v20, v30, v20, s[0:1]
	v_cndmask_b32_e64 v30, 0, v37, s[0:1]
	v_lshlrev_b64 v[38:39], v30, v[8:9]
	v_lshlrev_b32_e32 v37, 8, v21
	v_lshl_add_u32 v20, v20, 10, v28
	v_lshlrev_b32_e32 v30, 7, v38
	v_and_or_b32 v20, v37, s35, v20
	v_and_or_b32 v20, v30, s36, v20
	v_cvt_f32_f16_e32 v20, v20
.LBB230_61:                             ;   in Loop: Header=BB230_41 Depth=1
	s_or_b64 exec, exec, s[2:3]
	v_lshrrev_b16_e32 v8, 8, v8
	v_cmp_lt_i16_e64 s[0:1], s28, v8
	s_mov_b64 s[2:3], 0
                                        ; implicit-def: $sgpr18
	s_and_saveexec_b64 s[12:13], s[0:1]
	s_xor_b64 s[12:13], exec, s[12:13]
	s_cbranch_execnz .LBB230_130
; %bb.62:                               ;   in Loop: Header=BB230_41 Depth=1
	s_or_saveexec_b64 s[12:13], s[12:13]
	v_mov_b32_e32 v30, s18
	s_xor_b64 exec, exec, s[12:13]
	s_cbranch_execnz .LBB230_133
.LBB230_63:                             ;   in Loop: Header=BB230_41 Depth=1
	s_or_b64 exec, exec, s[12:13]
	s_and_saveexec_b64 s[12:13], s[2:3]
	s_cbranch_execz .LBB230_65
.LBB230_64:                             ;   in Loop: Header=BB230_41 Depth=1
	v_and_b32_e32 v30, 7, v8
	v_ffbh_u32_e32 v38, v30
	v_min_u32_e32 v40, 32, v38
	v_subrev_u32_e32 v38, 28, v40
	v_bfe_u32 v37, v8, 3, 4
	v_lshlrev_b64 v[38:39], v38, v[8:9]
	v_sub_u32_e32 v39, 29, v40
	v_cmp_eq_u32_e64 s[0:1], 0, v37
	v_and_b32_e32 v38, 7, v38
	v_lshlrev_b32_e32 v8, 8, v8
	v_cndmask_b32_e64 v37, v37, v39, s[0:1]
	v_lshl_add_u32 v37, v37, 10, v28
	v_cndmask_b32_e64 v30, v30, v38, s[0:1]
	v_and_or_b32 v8, v8, s35, v37
	v_lshl_or_b32 v8, v30, 7, v8
	v_cvt_f32_f16_e32 v30, v8
.LBB230_65:                             ;   in Loop: Header=BB230_41 Depth=1
	s_or_b64 exec, exec, s[12:13]
	v_lshrrev_b32_e32 v8, 16, v21
	v_cmp_gt_i16_sdwa s[2:3], v8, s28 src0_sel:BYTE_0 src1_sel:DWORD
	s_mov_b64 s[0:1], 0
                                        ; implicit-def: $sgpr16
	s_and_saveexec_b64 s[12:13], s[2:3]
	s_xor_b64 s[2:3], exec, s[12:13]
	s_cbranch_execnz .LBB230_134
; %bb.66:                               ;   in Loop: Header=BB230_41 Depth=1
	s_or_saveexec_b64 s[2:3], s[2:3]
	v_mov_b32_e32 v37, s16
	s_xor_b64 exec, exec, s[2:3]
	s_cbranch_execnz .LBB230_137
.LBB230_67:                             ;   in Loop: Header=BB230_41 Depth=1
	s_or_b64 exec, exec, s[2:3]
	s_and_saveexec_b64 s[2:3], s[0:1]
	s_cbranch_execz .LBB230_69
.LBB230_68:                             ;   in Loop: Header=BB230_41 Depth=1
	v_bfe_u32 v37, v21, 16, 3
	v_ffbh_u32_e32 v38, v37
	v_min_u32_e32 v41, 32, v38
	v_subrev_u32_e32 v38, 28, v41
	v_bfe_u32 v40, v21, 19, 4
	v_lshlrev_b64 v[38:39], v38, v[8:9]
	v_sub_u32_e32 v39, 29, v41
	v_cmp_eq_u32_e64 s[0:1], 0, v40
	v_and_b32_e32 v38, 7, v38
	v_lshlrev_b32_e32 v8, 8, v8
	v_cndmask_b32_e64 v39, v40, v39, s[0:1]
	v_cndmask_b32_e64 v37, v37, v38, s[0:1]
	v_lshl_add_u32 v38, v39, 10, v28
	v_and_or_b32 v8, v8, s35, v38
	v_lshl_or_b32 v8, v37, 7, v8
	v_cvt_f32_f16_e32 v37, v8
.LBB230_69:                             ;   in Loop: Header=BB230_41 Depth=1
	s_or_b64 exec, exec, s[2:3]
	v_lshrrev_b32_e32 v8, 24, v21
	v_cmp_lt_i16_e64 s[0:1], s28, v8
	s_mov_b64 s[2:3], 0
                                        ; implicit-def: $sgpr18
	s_and_saveexec_b64 s[12:13], s[0:1]
	s_xor_b64 s[12:13], exec, s[12:13]
	s_cbranch_execnz .LBB230_138
; %bb.70:                               ;   in Loop: Header=BB230_41 Depth=1
	s_or_saveexec_b64 s[12:13], s[12:13]
	v_mov_b32_e32 v38, s18
	s_xor_b64 exec, exec, s[12:13]
	s_cbranch_execnz .LBB230_141
.LBB230_71:                             ;   in Loop: Header=BB230_41 Depth=1
	s_or_b64 exec, exec, s[12:13]
	s_and_saveexec_b64 s[12:13], s[2:3]
	s_cbranch_execz .LBB230_73
.LBB230_72:                             ;   in Loop: Header=BB230_41 Depth=1
	v_bfe_u32 v40, v21, 24, 3
	v_ffbh_u32_e32 v38, v40
	v_min_u32_e32 v41, 32, v38
	v_subrev_u32_e32 v38, 28, v41
	v_bfe_u32 v21, v21, 27, 4
	v_lshlrev_b64 v[38:39], v38, v[8:9]
	v_sub_u32_e32 v39, 29, v41
	v_cmp_eq_u32_e64 s[0:1], 0, v21
	v_and_b32_e32 v38, 7, v38
	v_lshlrev_b32_e32 v8, 8, v8
	v_cndmask_b32_e64 v21, v21, v39, s[0:1]
	v_lshl_add_u32 v21, v21, 10, v28
	v_cndmask_b32_e64 v38, v40, v38, s[0:1]
	v_and_or_b32 v8, v8, s35, v21
	v_lshl_or_b32 v8, v38, 7, v8
	v_cvt_f32_f16_e32 v38, v8
.LBB230_73:                             ;   in Loop: Header=BB230_41 Depth=1
	s_or_b64 exec, exec, s[12:13]
	s_waitcnt vmcnt(0)
	v_pk_mul_f32 v[24:25], v[18:19], v[24:25] op_sel_hi:[0,1]
	v_pk_mul_f32 v[22:23], v[18:19], v[22:23] op_sel_hi:[0,1]
	v_cvt_f16_f32_e32 v8, v25
	v_cvt_f16_f32_e32 v21, v24
	;; [unrolled: 1-line block ×4, first 2 shown]
	v_fma_mixlo_f16 v20, v18, v20, 0
	v_pack_b32_f16 v21, v21, v8
	v_cmp_eq_u32_e64 s[2:3], s30, v1
	v_pack_b32_f16 v22, v22, v23
	v_perm_b32 v8, v22, v21, s37
	v_perm_b32 v21, v22, v21, s38
	v_fma_mixlo_f16 v22, v18, v30, 0
	v_lshlrev_b32_e32 v22, 16, v22
	v_or_b32_sdwa v20, v22, v20 dst_sel:DWORD dst_unused:UNUSED_PAD src0_sel:DWORD src1_sel:WORD_0
	v_fma_mixlo_f16 v22, v18, v37, 0
	v_fma_mixlo_f16 v18, v18, v38, 0
	v_lshlrev_b32_e32 v18, 16, v18
	v_or_b32_sdwa v18, v18, v22 dst_sel:DWORD dst_unused:UNUSED_PAD src0_sel:DWORD src1_sel:WORD_0
	s_and_saveexec_b64 s[12:13], s[2:3]
	s_cbranch_execz .LBB230_75
; %bb.74:                               ;   in Loop: Header=BB230_41 Depth=1
	v_add_u32_e32 v23, 1, v26
	v_lshrrev_b32_e32 v24, 16, v21
	v_cmp_gt_i32_e64 s[0:1], s31, v23
	v_lshrrev_b32_e32 v25, 16, v8
	v_lshrrev_b32_e32 v18, 16, v18
	v_cndmask_b32_e64 v23, 0, v24, s[0:1]
	v_cmp_gt_i32_e64 s[0:1], s21, v26
	v_or_b32_e32 v24, 2, v26
	s_nop 0
	v_cndmask_b32_e64 v21, 0, v21, s[0:1]
	v_perm_b32 v21, v23, v21, s39
	v_or_b32_e32 v23, 3, v26
	v_cmp_gt_i32_e64 s[0:1], s31, v23
	s_nop 1
	v_cndmask_b32_e64 v23, 0, v25, s[0:1]
	v_cmp_gt_i32_e64 s[0:1], s21, v24
	v_or_b32_e32 v24, 4, v26
	v_lshrrev_b32_e32 v25, 16, v20
	v_cndmask_b32_e64 v8, 0, v8, s[0:1]
	v_perm_b32 v8, v23, v8, s39
	v_or_b32_e32 v23, 5, v26
	v_cmp_gt_i32_e64 s[0:1], s31, v23
	s_nop 1
	v_cndmask_b32_e64 v23, 0, v25, s[0:1]
	v_cmp_gt_i32_e64 s[0:1], s21, v24
	v_or_b32_e32 v24, 6, v26
	s_nop 0
	v_cndmask_b32_e64 v20, 0, v20, s[0:1]
	v_perm_b32 v20, v23, v20, s39
	v_or_b32_e32 v23, 7, v26
	v_cmp_gt_i32_e64 s[0:1], s31, v23
	s_nop 1
	v_cndmask_b32_e64 v18, 0, v18, s[0:1]
	v_cmp_gt_i32_e64 s[0:1], s21, v24
	s_nop 1
	v_cndmask_b32_e64 v22, 0, v22, s[0:1]
	v_perm_b32 v18, v18, v22, s39
.LBB230_75:                             ;   in Loop: Header=BB230_41 Depth=1
	s_or_b64 exec, exec, s[12:13]
	v_and_b32_e32 v19, 0xffff, v19
	v_lshl_or_b32 v30, v29, 16, v19
	v_and_b32_e32 v19, 0xffff, v31
	v_lshl_or_b32 v29, v32, 16, v19
	;; [unrolled: 2-line block ×4, first 2 shown]
	;;#ASMSTART
	v_pk_mul_f16 v19, v30, v21;

	;;#ASMEND
	;;#ASMSTART
	v_pk_mul_f16 v8, v29, v8;

	;;#ASMEND
	;; [unrolled: 4-line block ×4, first 2 shown]
	s_nop 0
	;;#ASMSTART
	v_pk_add_f16 v8, v19, v8;

	;;#ASMEND
	s_nop 0
	;;#ASMSTART
	v_pk_add_f16 v8, v8, v20;

	;;#ASMEND
	;; [unrolled: 5-line block ×3, first 2 shown]
	s_nop 0
	v_lshrrev_b32_e32 v18, 16, v8
	v_and_b32_e32 v8, 0xffff, v8
	;;#ASMSTART
	v_cvt_f32_f16 v8, v8;
	;;#ASMEND
	;;#ASMSTART
	v_cvt_f32_f16 v18, v18;
	;;#ASMEND
	s_nop 0
	v_add_f32_e32 v8, v8, v18
	v_add_f32_e32 v4, v4, v8
	s_and_saveexec_b64 s[12:13], vcc
	s_cbranch_execz .LBB230_40
; %bb.76:                               ;   in Loop: Header=BB230_41 Depth=1
	v_lshl_add_u64 v[20:21], v[16:17], 0, v[10:11]
	global_load_dwordx2 v[18:19], v[20:21], off
	global_load_dword v16, v9, s[14:15]
	s_mov_b64 s[0:1], 0
                                        ; implicit-def: $sgpr26
	s_waitcnt vmcnt(1)
	v_cmp_gt_i16_sdwa s[16:17], v18, s28 src0_sel:BYTE_0 src1_sel:DWORD
	s_and_saveexec_b64 s[18:19], s[16:17]
	s_xor_b64 s[16:17], exec, s[18:19]
	s_cbranch_execnz .LBB230_142
; %bb.77:                               ;   in Loop: Header=BB230_41 Depth=1
	s_or_saveexec_b64 s[16:17], s[16:17]
	v_mov_b32_e32 v20, s26
	s_xor_b64 exec, exec, s[16:17]
	s_cbranch_execnz .LBB230_145
.LBB230_78:                             ;   in Loop: Header=BB230_41 Depth=1
	s_or_b64 exec, exec, s[16:17]
	s_and_saveexec_b64 s[16:17], s[0:1]
	s_cbranch_execz .LBB230_80
.LBB230_79:                             ;   in Loop: Header=BB230_41 Depth=1
	v_and_b32_e32 v8, 7, v18
	v_ffbh_u32_e32 v8, v8
	v_bfe_u32 v17, v18, 3, 4
	v_min_u32_e32 v8, 32, v8
	v_subrev_u32_e32 v20, 28, v8
	v_sub_u32_e32 v8, 29, v8
	v_cmp_eq_u32_e64 s[0:1], 0, v17
	s_nop 1
	v_cndmask_b32_e64 v8, v17, v8, s[0:1]
	v_cndmask_b32_e64 v17, 0, v20, s[0:1]
	v_lshlrev_b64 v[20:21], v17, v[18:19]
	v_lshlrev_b32_e32 v17, 7, v20
	v_lshlrev_b32_e32 v20, 8, v18
	v_lshl_add_u32 v8, v8, 10, v28
	v_and_or_b32 v8, v20, s35, v8
	v_and_or_b32 v8, v17, s36, v8
	v_cvt_f32_f16_e32 v20, v8
.LBB230_80:                             ;   in Loop: Header=BB230_41 Depth=1
	s_or_b64 exec, exec, s[16:17]
	v_lshrrev_b16_e32 v8, 8, v18
	v_cmp_lt_i16_e64 s[0:1], s28, v8
	s_mov_b64 s[16:17], 0
                                        ; implicit-def: $sgpr40
	s_and_saveexec_b64 s[18:19], s[0:1]
	s_xor_b64 s[18:19], exec, s[18:19]
	s_cbranch_execnz .LBB230_146
; %bb.81:                               ;   in Loop: Header=BB230_41 Depth=1
	s_or_saveexec_b64 s[18:19], s[18:19]
	v_mov_b32_e32 v22, s40
	s_xor_b64 exec, exec, s[18:19]
	s_cbranch_execnz .LBB230_149
.LBB230_82:                             ;   in Loop: Header=BB230_41 Depth=1
	s_or_b64 exec, exec, s[18:19]
	s_and_saveexec_b64 s[18:19], s[16:17]
	s_cbranch_execz .LBB230_84
.LBB230_83:                             ;   in Loop: Header=BB230_41 Depth=1
	v_and_b32_e32 v17, 7, v8
	v_ffbh_u32_e32 v22, v17
	v_min_u32_e32 v31, 32, v22
	v_subrev_u32_e32 v22, 28, v31
	v_bfe_u32 v21, v8, 3, 4
	v_lshlrev_b64 v[22:23], v22, v[8:9]
	v_sub_u32_e32 v23, 29, v31
	v_cmp_eq_u32_e64 s[0:1], 0, v21
	v_and_b32_e32 v22, 7, v22
	v_lshlrev_b32_e32 v8, 8, v8
	v_cndmask_b32_e64 v21, v21, v23, s[0:1]
	v_lshl_add_u32 v21, v21, 10, v28
	v_cndmask_b32_e64 v17, v17, v22, s[0:1]
	v_and_or_b32 v8, v8, s35, v21
	v_lshl_or_b32 v8, v17, 7, v8
	v_cvt_f32_f16_e32 v22, v8
.LBB230_84:                             ;   in Loop: Header=BB230_41 Depth=1
	s_or_b64 exec, exec, s[18:19]
	v_lshrrev_b32_e32 v8, 16, v18
	v_cmp_gt_i16_sdwa s[16:17], v8, s28 src0_sel:BYTE_0 src1_sel:DWORD
	s_mov_b64 s[0:1], 0
                                        ; implicit-def: $sgpr26
	s_and_saveexec_b64 s[18:19], s[16:17]
	s_xor_b64 s[16:17], exec, s[18:19]
	s_cbranch_execnz .LBB230_150
; %bb.85:                               ;   in Loop: Header=BB230_41 Depth=1
	s_or_saveexec_b64 s[16:17], s[16:17]
	v_mov_b32_e32 v21, s26
	s_xor_b64 exec, exec, s[16:17]
	s_cbranch_execnz .LBB230_153
.LBB230_86:                             ;   in Loop: Header=BB230_41 Depth=1
	s_or_b64 exec, exec, s[16:17]
	s_and_saveexec_b64 s[16:17], s[0:1]
	s_cbranch_execz .LBB230_88
.LBB230_87:                             ;   in Loop: Header=BB230_41 Depth=1
	v_bfe_u32 v17, v18, 16, 3
	v_ffbh_u32_e32 v23, v17
	v_bfe_u32 v21, v18, 19, 4
	v_min_u32_e32 v23, 32, v23
	v_subrev_u32_e32 v31, 28, v23
	v_sub_u32_e32 v23, 29, v23
	v_cmp_eq_u32_e64 s[0:1], 0, v21
	v_lshlrev_b64 v[32:33], v31, v[8:9]
	v_and_b32_e32 v31, 7, v32
	v_cndmask_b32_e64 v21, v21, v23, s[0:1]
	v_lshlrev_b32_e32 v8, 8, v8
	v_lshl_add_u32 v21, v21, 10, v28
	v_cndmask_b32_e64 v17, v17, v31, s[0:1]
	v_and_or_b32 v8, v8, s35, v21
	v_lshl_or_b32 v8, v17, 7, v8
	v_cvt_f32_f16_e32 v21, v8
.LBB230_88:                             ;   in Loop: Header=BB230_41 Depth=1
	s_or_b64 exec, exec, s[16:17]
	v_lshrrev_b32_e32 v8, 24, v18
	v_cmp_lt_i16_e64 s[0:1], s28, v8
	s_mov_b64 s[16:17], 0
                                        ; implicit-def: $sgpr40
	s_and_saveexec_b64 s[18:19], s[0:1]
	s_xor_b64 s[18:19], exec, s[18:19]
	s_cbranch_execnz .LBB230_154
; %bb.89:                               ;   in Loop: Header=BB230_41 Depth=1
	s_or_saveexec_b64 s[18:19], s[18:19]
	v_mov_b32_e32 v23, s40
	s_xor_b64 exec, exec, s[18:19]
	s_cbranch_execnz .LBB230_157
.LBB230_90:                             ;   in Loop: Header=BB230_41 Depth=1
	s_or_b64 exec, exec, s[18:19]
	s_and_saveexec_b64 s[18:19], s[16:17]
	s_cbranch_execz .LBB230_92
.LBB230_91:                             ;   in Loop: Header=BB230_41 Depth=1
	v_bfe_u32 v17, v18, 24, 3
	v_ffbh_u32_e32 v23, v17
	v_bfe_u32 v18, v18, 27, 4
	v_min_u32_e32 v23, 32, v23
	v_subrev_u32_e32 v31, 28, v23
	v_sub_u32_e32 v23, 29, v23
	v_cmp_eq_u32_e64 s[0:1], 0, v18
	v_lshlrev_b64 v[32:33], v31, v[8:9]
	v_and_b32_e32 v31, 7, v32
	v_cndmask_b32_e64 v18, v18, v23, s[0:1]
	v_lshlrev_b32_e32 v8, 8, v8
	v_lshl_add_u32 v18, v18, 10, v28
	v_cndmask_b32_e64 v17, v17, v31, s[0:1]
	v_and_or_b32 v8, v8, s35, v18
	v_lshl_or_b32 v8, v17, 7, v8
	v_cvt_f32_f16_e32 v23, v8
.LBB230_92:                             ;   in Loop: Header=BB230_41 Depth=1
	s_or_b64 exec, exec, s[18:19]
	v_cmp_gt_i16_sdwa s[16:17], v19, s28 src0_sel:BYTE_0 src1_sel:DWORD
	s_mov_b64 s[0:1], 0
                                        ; implicit-def: $sgpr26
	s_and_saveexec_b64 s[18:19], s[16:17]
	s_xor_b64 s[16:17], exec, s[18:19]
	s_cbranch_execnz .LBB230_158
; %bb.93:                               ;   in Loop: Header=BB230_41 Depth=1
	s_or_saveexec_b64 s[16:17], s[16:17]
	v_mov_b32_e32 v17, s26
	s_xor_b64 exec, exec, s[16:17]
	s_cbranch_execnz .LBB230_161
.LBB230_94:                             ;   in Loop: Header=BB230_41 Depth=1
	s_or_b64 exec, exec, s[16:17]
	v_mov_b32_e32 v8, v19
	s_and_saveexec_b64 s[16:17], s[0:1]
	s_cbranch_execz .LBB230_96
.LBB230_95:                             ;   in Loop: Header=BB230_41 Depth=1
	v_and_b32_e32 v17, 7, v19
	v_ffbh_u32_e32 v17, v17
	v_bfe_u32 v18, v19, 3, 4
	v_min_u32_e32 v17, 32, v17
	v_subrev_u32_e32 v31, 28, v17
	v_sub_u32_e32 v17, 29, v17
	v_cmp_eq_u32_e64 s[0:1], 0, v18
	s_nop 1
	v_cndmask_b32_e64 v17, v18, v17, s[0:1]
	v_cndmask_b32_e64 v18, 0, v31, s[0:1]
	v_lshlrev_b64 v[32:33], v18, v[8:9]
	v_lshlrev_b32_e32 v31, 8, v19
	v_lshl_add_u32 v17, v17, 10, v28
	v_lshlrev_b32_e32 v18, 7, v32
	v_and_or_b32 v17, v31, s35, v17
	v_and_or_b32 v17, v18, s36, v17
	v_cvt_f32_f16_e32 v17, v17
.LBB230_96:                             ;   in Loop: Header=BB230_41 Depth=1
	s_or_b64 exec, exec, s[16:17]
	v_lshrrev_b16_e32 v8, 8, v8
	v_cmp_lt_i16_e64 s[0:1], s28, v8
	s_mov_b64 s[16:17], 0
                                        ; implicit-def: $sgpr40
	s_and_saveexec_b64 s[18:19], s[0:1]
	s_xor_b64 s[18:19], exec, s[18:19]
	s_cbranch_execnz .LBB230_162
; %bb.97:                               ;   in Loop: Header=BB230_41 Depth=1
	s_or_saveexec_b64 s[18:19], s[18:19]
	v_mov_b32_e32 v18, s40
	s_xor_b64 exec, exec, s[18:19]
	s_cbranch_execnz .LBB230_165
.LBB230_98:                             ;   in Loop: Header=BB230_41 Depth=1
	s_or_b64 exec, exec, s[18:19]
	s_and_saveexec_b64 s[18:19], s[16:17]
	s_cbranch_execz .LBB230_100
.LBB230_99:                             ;   in Loop: Header=BB230_41 Depth=1
	v_and_b32_e32 v18, 7, v8
	v_ffbh_u32_e32 v32, v18
	v_min_u32_e32 v34, 32, v32
	v_subrev_u32_e32 v32, 28, v34
	v_bfe_u32 v31, v8, 3, 4
	v_lshlrev_b64 v[32:33], v32, v[8:9]
	v_sub_u32_e32 v33, 29, v34
	v_cmp_eq_u32_e64 s[0:1], 0, v31
	v_and_b32_e32 v32, 7, v32
	v_lshlrev_b32_e32 v8, 8, v8
	v_cndmask_b32_e64 v31, v31, v33, s[0:1]
	v_lshl_add_u32 v31, v31, 10, v28
	v_cndmask_b32_e64 v18, v18, v32, s[0:1]
	v_and_or_b32 v8, v8, s35, v31
	v_lshl_or_b32 v8, v18, 7, v8
	v_cvt_f32_f16_e32 v18, v8
.LBB230_100:                            ;   in Loop: Header=BB230_41 Depth=1
	s_or_b64 exec, exec, s[18:19]
	v_lshrrev_b32_e32 v8, 16, v19
	v_cmp_gt_i16_sdwa s[16:17], v8, s28 src0_sel:BYTE_0 src1_sel:DWORD
	s_mov_b64 s[0:1], 0
                                        ; implicit-def: $sgpr26
	s_and_saveexec_b64 s[18:19], s[16:17]
	s_xor_b64 s[16:17], exec, s[18:19]
	s_cbranch_execnz .LBB230_166
; %bb.101:                              ;   in Loop: Header=BB230_41 Depth=1
	s_or_saveexec_b64 s[16:17], s[16:17]
	v_mov_b32_e32 v31, s26
	s_xor_b64 exec, exec, s[16:17]
	s_cbranch_execnz .LBB230_169
.LBB230_102:                            ;   in Loop: Header=BB230_41 Depth=1
	s_or_b64 exec, exec, s[16:17]
	s_and_saveexec_b64 s[16:17], s[0:1]
	s_cbranch_execz .LBB230_104
.LBB230_103:                            ;   in Loop: Header=BB230_41 Depth=1
	v_bfe_u32 v31, v19, 16, 3
	v_ffbh_u32_e32 v32, v31
	v_min_u32_e32 v35, 32, v32
	v_subrev_u32_e32 v32, 28, v35
	v_bfe_u32 v34, v19, 19, 4
	v_lshlrev_b64 v[32:33], v32, v[8:9]
	v_sub_u32_e32 v33, 29, v35
	v_cmp_eq_u32_e64 s[0:1], 0, v34
	v_and_b32_e32 v32, 7, v32
	v_lshlrev_b32_e32 v8, 8, v8
	v_cndmask_b32_e64 v33, v34, v33, s[0:1]
	v_cndmask_b32_e64 v31, v31, v32, s[0:1]
	v_lshl_add_u32 v32, v33, 10, v28
	v_and_or_b32 v8, v8, s35, v32
	v_lshl_or_b32 v8, v31, 7, v8
	v_cvt_f32_f16_e32 v31, v8
.LBB230_104:                            ;   in Loop: Header=BB230_41 Depth=1
	s_or_b64 exec, exec, s[16:17]
	v_lshrrev_b32_e32 v8, 24, v19
	v_cmp_lt_i16_e64 s[0:1], s28, v8
	s_mov_b64 s[16:17], 0
                                        ; implicit-def: $sgpr40
	s_and_saveexec_b64 s[18:19], s[0:1]
	s_xor_b64 s[18:19], exec, s[18:19]
	s_cbranch_execnz .LBB230_170
; %bb.105:                              ;   in Loop: Header=BB230_41 Depth=1
	s_or_saveexec_b64 s[18:19], s[18:19]
	v_mov_b32_e32 v32, s40
	s_xor_b64 exec, exec, s[18:19]
	s_cbranch_execnz .LBB230_173
.LBB230_106:                            ;   in Loop: Header=BB230_41 Depth=1
	s_or_b64 exec, exec, s[18:19]
	s_and_saveexec_b64 s[18:19], s[16:17]
	s_cbranch_execz .LBB230_108
.LBB230_107:                            ;   in Loop: Header=BB230_41 Depth=1
	v_bfe_u32 v34, v19, 24, 3
	v_ffbh_u32_e32 v32, v34
	v_min_u32_e32 v35, 32, v32
	v_subrev_u32_e32 v32, 28, v35
	v_bfe_u32 v19, v19, 27, 4
	v_lshlrev_b64 v[32:33], v32, v[8:9]
	v_sub_u32_e32 v33, 29, v35
	v_cmp_eq_u32_e64 s[0:1], 0, v19
	v_and_b32_e32 v32, 7, v32
	v_lshlrev_b32_e32 v8, 8, v8
	v_cndmask_b32_e64 v19, v19, v33, s[0:1]
	v_lshl_add_u32 v19, v19, 10, v28
	v_cndmask_b32_e64 v32, v34, v32, s[0:1]
	v_and_or_b32 v8, v8, s35, v19
	v_lshl_or_b32 v8, v32, 7, v8
	v_cvt_f32_f16_e32 v32, v8
.LBB230_108:                            ;   in Loop: Header=BB230_41 Depth=1
	s_or_b64 exec, exec, s[18:19]
	s_waitcnt vmcnt(0)
	v_pk_mul_f32 v[22:23], v[16:17], v[22:23] op_sel_hi:[0,1]
	v_pk_mul_f32 v[20:21], v[16:17], v[20:21] op_sel_hi:[0,1]
	v_cvt_f16_f32_e32 v8, v23
	v_cvt_f16_f32_e32 v19, v22
	;; [unrolled: 1-line block ×4, first 2 shown]
	v_fma_mixlo_f16 v18, v16, v18, 0
	v_lshlrev_b32_e32 v18, 16, v18
	v_fma_mixlo_f16 v17, v16, v17, 0
	v_or_b32_sdwa v17, v18, v17 dst_sel:DWORD dst_unused:UNUSED_PAD src0_sel:DWORD src1_sel:WORD_0
	v_fma_mixlo_f16 v18, v16, v31, 0
	v_fma_mixlo_f16 v16, v16, v32, 0
	v_pack_b32_f16 v19, v19, v8
	v_pack_b32_f16 v20, v20, v21
	v_lshlrev_b32_e32 v16, 16, v16
	v_perm_b32 v8, v20, v19, s37
	v_perm_b32 v19, v20, v19, s38
	v_or_b32_sdwa v16, v16, v18 dst_sel:DWORD dst_unused:UNUSED_PAD src0_sel:DWORD src1_sel:WORD_0
	s_and_saveexec_b64 s[16:17], s[2:3]
	s_cbranch_execz .LBB230_39
; %bb.109:                              ;   in Loop: Header=BB230_41 Depth=1
	v_add_u32_e32 v20, 1, v26
	v_lshrrev_b32_e32 v21, 16, v19
	v_cmp_gt_i32_e64 s[0:1], s31, v20
	v_lshrrev_b32_e32 v22, 16, v8
	v_lshrrev_b32_e32 v16, 16, v16
	v_cndmask_b32_e64 v20, 0, v21, s[0:1]
	v_cmp_gt_i32_e64 s[0:1], s21, v26
	v_or_b32_e32 v21, 2, v26
	s_nop 0
	v_cndmask_b32_e64 v19, 0, v19, s[0:1]
	v_perm_b32 v19, v20, v19, s39
	v_or_b32_e32 v20, 3, v26
	v_cmp_gt_i32_e64 s[0:1], s31, v20
	s_nop 1
	v_cndmask_b32_e64 v20, 0, v22, s[0:1]
	v_cmp_gt_i32_e64 s[0:1], s21, v21
	v_or_b32_e32 v21, 4, v26
	v_lshrrev_b32_e32 v22, 16, v17
	v_cndmask_b32_e64 v8, 0, v8, s[0:1]
	v_perm_b32 v8, v20, v8, s39
	v_or_b32_e32 v20, 5, v26
	v_cmp_gt_i32_e64 s[0:1], s31, v20
	s_nop 1
	v_cndmask_b32_e64 v20, 0, v22, s[0:1]
	v_cmp_gt_i32_e64 s[0:1], s21, v21
	v_or_b32_e32 v21, 6, v26
	s_nop 0
	v_cndmask_b32_e64 v17, 0, v17, s[0:1]
	v_perm_b32 v17, v20, v17, s39
	v_or_b32_e32 v20, 7, v26
	v_cmp_gt_i32_e64 s[0:1], s31, v20
	s_nop 1
	v_cndmask_b32_e64 v16, 0, v16, s[0:1]
	v_cmp_gt_i32_e64 s[0:1], s21, v21
	s_nop 1
	v_cndmask_b32_e64 v18, 0, v18, s[0:1]
	v_perm_b32 v16, v16, v18, s39
	s_branch .LBB230_39
.LBB230_110:                            ;   in Loop: Header=BB230_41 Depth=1
	v_cmp_eq_u16_sdwa s[18:19], v20, s29 src0_sel:BYTE_0 src1_sel:DWORD
	s_mov_b64 s[0:1], -1
                                        ; implicit-def: $sgpr16
	s_and_saveexec_b64 s[12:13], s[18:19]
; %bb.111:                              ;   in Loop: Header=BB230_41 Depth=1
	s_mov_b32 s16, 0x7fc02000
	s_xor_b64 s[0:1], exec, -1
; %bb.112:                              ;   in Loop: Header=BB230_41 Depth=1
	s_or_b64 exec, exec, s[12:13]
	s_and_b64 s[0:1], s[0:1], exec
	s_or_saveexec_b64 s[2:3], s[2:3]
	v_mov_b32_e32 v22, s16
	s_xor_b64 exec, exec, s[2:3]
	s_cbranch_execz .LBB230_43
.LBB230_113:                            ;   in Loop: Header=BB230_41 Depth=1
	v_cmp_ne_u16_sdwa s[12:13], v20, v9 src0_sel:BYTE_0 src1_sel:DWORD
	s_andn2_b64 s[0:1], s[0:1], exec
	s_and_b64 s[12:13], s[12:13], exec
	v_mov_b32_e32 v22, 0
	s_or_b64 s[0:1], s[0:1], s[12:13]
	s_or_b64 exec, exec, s[2:3]
	s_and_saveexec_b64 s[2:3], s[0:1]
	s_cbranch_execnz .LBB230_44
	s_branch .LBB230_45
.LBB230_114:                            ;   in Loop: Header=BB230_41 Depth=1
	v_cmp_eq_u16_e64 s[0:1], s29, v8
	s_mov_b64 s[2:3], -1
                                        ; implicit-def: $sgpr18
	s_and_saveexec_b64 s[16:17], s[0:1]
; %bb.115:                              ;   in Loop: Header=BB230_41 Depth=1
	s_mov_b32 s18, 0x7fc02000
	s_xor_b64 s[2:3], exec, -1
; %bb.116:                              ;   in Loop: Header=BB230_41 Depth=1
	s_or_b64 exec, exec, s[16:17]
	s_and_b64 s[2:3], s[2:3], exec
	s_or_saveexec_b64 s[12:13], s[12:13]
	v_mov_b32_e32 v24, s18
	s_xor_b64 exec, exec, s[12:13]
	s_cbranch_execz .LBB230_47
.LBB230_117:                            ;   in Loop: Header=BB230_41 Depth=1
	v_cmp_ne_u16_e64 s[0:1], 0, v8
	s_andn2_b64 s[2:3], s[2:3], exec
	s_and_b64 s[0:1], s[0:1], exec
	v_mov_b32_e32 v24, 0
	s_or_b64 s[2:3], s[2:3], s[0:1]
	s_or_b64 exec, exec, s[12:13]
	s_and_saveexec_b64 s[12:13], s[2:3]
	s_cbranch_execnz .LBB230_48
	s_branch .LBB230_49
.LBB230_118:                            ;   in Loop: Header=BB230_41 Depth=1
	v_cmp_eq_u16_sdwa s[18:19], v8, s29 src0_sel:BYTE_0 src1_sel:DWORD
	s_mov_b64 s[0:1], -1
                                        ; implicit-def: $sgpr16
	s_and_saveexec_b64 s[12:13], s[18:19]
; %bb.119:                              ;   in Loop: Header=BB230_41 Depth=1
	s_mov_b32 s16, 0x7fc02000
	s_xor_b64 s[0:1], exec, -1
; %bb.120:                              ;   in Loop: Header=BB230_41 Depth=1
	s_or_b64 exec, exec, s[12:13]
	s_and_b64 s[0:1], s[0:1], exec
	s_or_saveexec_b64 s[2:3], s[2:3]
	v_mov_b32_e32 v23, s16
	s_xor_b64 exec, exec, s[2:3]
	s_cbranch_execz .LBB230_51
.LBB230_121:                            ;   in Loop: Header=BB230_41 Depth=1
	v_cmp_ne_u16_sdwa s[12:13], v8, v9 src0_sel:BYTE_0 src1_sel:DWORD
	s_andn2_b64 s[0:1], s[0:1], exec
	s_and_b64 s[12:13], s[12:13], exec
	v_mov_b32_e32 v23, 0
	s_or_b64 s[0:1], s[0:1], s[12:13]
	s_or_b64 exec, exec, s[2:3]
	s_and_saveexec_b64 s[2:3], s[0:1]
	s_cbranch_execnz .LBB230_52
	s_branch .LBB230_53
.LBB230_122:                            ;   in Loop: Header=BB230_41 Depth=1
	v_cmp_eq_u16_e64 s[0:1], s29, v8
	s_mov_b64 s[2:3], -1
                                        ; implicit-def: $sgpr18
	s_and_saveexec_b64 s[16:17], s[0:1]
; %bb.123:                              ;   in Loop: Header=BB230_41 Depth=1
	s_mov_b32 s18, 0x7fc02000
	s_xor_b64 s[2:3], exec, -1
; %bb.124:                              ;   in Loop: Header=BB230_41 Depth=1
	s_or_b64 exec, exec, s[16:17]
	s_and_b64 s[2:3], s[2:3], exec
	s_or_saveexec_b64 s[12:13], s[12:13]
	v_mov_b32_e32 v25, s18
	s_xor_b64 exec, exec, s[12:13]
	s_cbranch_execz .LBB230_55
.LBB230_125:                            ;   in Loop: Header=BB230_41 Depth=1
	v_cmp_ne_u16_e64 s[0:1], 0, v8
	s_andn2_b64 s[2:3], s[2:3], exec
	s_and_b64 s[0:1], s[0:1], exec
	v_mov_b32_e32 v25, 0
	s_or_b64 s[2:3], s[2:3], s[0:1]
	s_or_b64 exec, exec, s[12:13]
	s_and_saveexec_b64 s[12:13], s[2:3]
	s_cbranch_execnz .LBB230_56
	s_branch .LBB230_57
.LBB230_126:                            ;   in Loop: Header=BB230_41 Depth=1
	v_cmp_eq_u16_sdwa s[18:19], v21, s29 src0_sel:BYTE_0 src1_sel:DWORD
	s_mov_b64 s[0:1], -1
                                        ; implicit-def: $sgpr16
	s_and_saveexec_b64 s[12:13], s[18:19]
; %bb.127:                              ;   in Loop: Header=BB230_41 Depth=1
	s_mov_b32 s16, 0x7fc02000
	s_xor_b64 s[0:1], exec, -1
; %bb.128:                              ;   in Loop: Header=BB230_41 Depth=1
	s_or_b64 exec, exec, s[12:13]
	s_and_b64 s[0:1], s[0:1], exec
	s_or_saveexec_b64 s[2:3], s[2:3]
	v_mov_b32_e32 v20, s16
	s_xor_b64 exec, exec, s[2:3]
	s_cbranch_execz .LBB230_59
.LBB230_129:                            ;   in Loop: Header=BB230_41 Depth=1
	v_cmp_ne_u16_sdwa s[12:13], v21, v9 src0_sel:BYTE_0 src1_sel:DWORD
	s_andn2_b64 s[0:1], s[0:1], exec
	s_and_b64 s[12:13], s[12:13], exec
	v_mov_b32_e32 v20, 0
	s_or_b64 s[0:1], s[0:1], s[12:13]
	s_or_b64 exec, exec, s[2:3]
	v_mov_b32_e32 v8, v21
	s_and_saveexec_b64 s[2:3], s[0:1]
	s_cbranch_execnz .LBB230_60
	s_branch .LBB230_61
.LBB230_130:                            ;   in Loop: Header=BB230_41 Depth=1
	v_cmp_eq_u16_e64 s[0:1], s29, v8
	s_mov_b64 s[2:3], -1
                                        ; implicit-def: $sgpr18
	s_and_saveexec_b64 s[16:17], s[0:1]
; %bb.131:                              ;   in Loop: Header=BB230_41 Depth=1
	s_mov_b32 s18, 0x7fc02000
	s_xor_b64 s[2:3], exec, -1
; %bb.132:                              ;   in Loop: Header=BB230_41 Depth=1
	s_or_b64 exec, exec, s[16:17]
	s_and_b64 s[2:3], s[2:3], exec
	s_or_saveexec_b64 s[12:13], s[12:13]
	v_mov_b32_e32 v30, s18
	s_xor_b64 exec, exec, s[12:13]
	s_cbranch_execz .LBB230_63
.LBB230_133:                            ;   in Loop: Header=BB230_41 Depth=1
	v_cmp_ne_u16_e64 s[0:1], 0, v8
	s_andn2_b64 s[2:3], s[2:3], exec
	s_and_b64 s[0:1], s[0:1], exec
	v_mov_b32_e32 v30, 0
	s_or_b64 s[2:3], s[2:3], s[0:1]
	s_or_b64 exec, exec, s[12:13]
	s_and_saveexec_b64 s[12:13], s[2:3]
	s_cbranch_execnz .LBB230_64
	s_branch .LBB230_65
.LBB230_134:                            ;   in Loop: Header=BB230_41 Depth=1
	v_cmp_eq_u16_sdwa s[18:19], v8, s29 src0_sel:BYTE_0 src1_sel:DWORD
	s_mov_b64 s[0:1], -1
                                        ; implicit-def: $sgpr16
	s_and_saveexec_b64 s[12:13], s[18:19]
; %bb.135:                              ;   in Loop: Header=BB230_41 Depth=1
	s_mov_b32 s16, 0x7fc02000
	s_xor_b64 s[0:1], exec, -1
; %bb.136:                              ;   in Loop: Header=BB230_41 Depth=1
	s_or_b64 exec, exec, s[12:13]
	s_and_b64 s[0:1], s[0:1], exec
	s_or_saveexec_b64 s[2:3], s[2:3]
	v_mov_b32_e32 v37, s16
	s_xor_b64 exec, exec, s[2:3]
	s_cbranch_execz .LBB230_67
.LBB230_137:                            ;   in Loop: Header=BB230_41 Depth=1
	v_cmp_ne_u16_sdwa s[12:13], v8, v9 src0_sel:BYTE_0 src1_sel:DWORD
	s_andn2_b64 s[0:1], s[0:1], exec
	s_and_b64 s[12:13], s[12:13], exec
	v_mov_b32_e32 v37, 0
	s_or_b64 s[0:1], s[0:1], s[12:13]
	s_or_b64 exec, exec, s[2:3]
	s_and_saveexec_b64 s[2:3], s[0:1]
	s_cbranch_execnz .LBB230_68
	s_branch .LBB230_69
.LBB230_138:                            ;   in Loop: Header=BB230_41 Depth=1
	v_cmp_eq_u16_e64 s[0:1], s29, v8
	s_mov_b64 s[2:3], -1
                                        ; implicit-def: $sgpr18
	s_and_saveexec_b64 s[16:17], s[0:1]
; %bb.139:                              ;   in Loop: Header=BB230_41 Depth=1
	s_mov_b32 s18, 0x7fc02000
	s_xor_b64 s[2:3], exec, -1
; %bb.140:                              ;   in Loop: Header=BB230_41 Depth=1
	s_or_b64 exec, exec, s[16:17]
	s_and_b64 s[2:3], s[2:3], exec
	s_or_saveexec_b64 s[12:13], s[12:13]
	v_mov_b32_e32 v38, s18
	s_xor_b64 exec, exec, s[12:13]
	s_cbranch_execz .LBB230_71
.LBB230_141:                            ;   in Loop: Header=BB230_41 Depth=1
	v_cmp_ne_u16_e64 s[0:1], 0, v8
	s_andn2_b64 s[2:3], s[2:3], exec
	s_and_b64 s[0:1], s[0:1], exec
	v_mov_b32_e32 v38, 0
	s_or_b64 s[2:3], s[2:3], s[0:1]
	s_or_b64 exec, exec, s[12:13]
	s_and_saveexec_b64 s[12:13], s[2:3]
	s_cbranch_execnz .LBB230_72
	s_branch .LBB230_73
.LBB230_142:                            ;   in Loop: Header=BB230_41 Depth=1
	v_cmp_eq_u16_sdwa s[40:41], v18, s29 src0_sel:BYTE_0 src1_sel:DWORD
	s_mov_b64 s[0:1], -1
                                        ; implicit-def: $sgpr26
	s_and_saveexec_b64 s[18:19], s[40:41]
; %bb.143:                              ;   in Loop: Header=BB230_41 Depth=1
	s_mov_b32 s26, 0x7fc02000
	s_xor_b64 s[0:1], exec, -1
; %bb.144:                              ;   in Loop: Header=BB230_41 Depth=1
	s_or_b64 exec, exec, s[18:19]
	s_and_b64 s[0:1], s[0:1], exec
	s_or_saveexec_b64 s[16:17], s[16:17]
	v_mov_b32_e32 v20, s26
	s_xor_b64 exec, exec, s[16:17]
	s_cbranch_execz .LBB230_78
.LBB230_145:                            ;   in Loop: Header=BB230_41 Depth=1
	v_cmp_ne_u16_sdwa s[18:19], v18, v9 src0_sel:BYTE_0 src1_sel:DWORD
	s_andn2_b64 s[0:1], s[0:1], exec
	s_and_b64 s[18:19], s[18:19], exec
	v_mov_b32_e32 v20, 0
	s_or_b64 s[0:1], s[0:1], s[18:19]
	s_or_b64 exec, exec, s[16:17]
	s_and_saveexec_b64 s[16:17], s[0:1]
	s_cbranch_execnz .LBB230_79
	s_branch .LBB230_80
.LBB230_146:                            ;   in Loop: Header=BB230_41 Depth=1
	v_cmp_eq_u16_e64 s[0:1], s29, v8
	s_mov_b64 s[16:17], -1
                                        ; implicit-def: $sgpr40
	s_and_saveexec_b64 s[26:27], s[0:1]
; %bb.147:                              ;   in Loop: Header=BB230_41 Depth=1
	s_mov_b32 s40, 0x7fc02000
	s_xor_b64 s[16:17], exec, -1
; %bb.148:                              ;   in Loop: Header=BB230_41 Depth=1
	s_or_b64 exec, exec, s[26:27]
	s_and_b64 s[16:17], s[16:17], exec
	s_or_saveexec_b64 s[18:19], s[18:19]
	v_mov_b32_e32 v22, s40
	s_xor_b64 exec, exec, s[18:19]
	s_cbranch_execz .LBB230_82
.LBB230_149:                            ;   in Loop: Header=BB230_41 Depth=1
	v_cmp_ne_u16_e64 s[0:1], 0, v8
	s_andn2_b64 s[16:17], s[16:17], exec
	s_and_b64 s[0:1], s[0:1], exec
	v_mov_b32_e32 v22, 0
	s_or_b64 s[16:17], s[16:17], s[0:1]
	s_or_b64 exec, exec, s[18:19]
	s_and_saveexec_b64 s[18:19], s[16:17]
	s_cbranch_execnz .LBB230_83
	s_branch .LBB230_84
.LBB230_150:                            ;   in Loop: Header=BB230_41 Depth=1
	v_cmp_eq_u16_sdwa s[40:41], v8, s29 src0_sel:BYTE_0 src1_sel:DWORD
	s_mov_b64 s[0:1], -1
                                        ; implicit-def: $sgpr26
	s_and_saveexec_b64 s[18:19], s[40:41]
; %bb.151:                              ;   in Loop: Header=BB230_41 Depth=1
	s_mov_b32 s26, 0x7fc02000
	s_xor_b64 s[0:1], exec, -1
; %bb.152:                              ;   in Loop: Header=BB230_41 Depth=1
	s_or_b64 exec, exec, s[18:19]
	s_and_b64 s[0:1], s[0:1], exec
	s_or_saveexec_b64 s[16:17], s[16:17]
	v_mov_b32_e32 v21, s26
	s_xor_b64 exec, exec, s[16:17]
	s_cbranch_execz .LBB230_86
.LBB230_153:                            ;   in Loop: Header=BB230_41 Depth=1
	v_cmp_ne_u16_sdwa s[18:19], v8, v9 src0_sel:BYTE_0 src1_sel:DWORD
	s_andn2_b64 s[0:1], s[0:1], exec
	s_and_b64 s[18:19], s[18:19], exec
	v_mov_b32_e32 v21, 0
	s_or_b64 s[0:1], s[0:1], s[18:19]
	s_or_b64 exec, exec, s[16:17]
	s_and_saveexec_b64 s[16:17], s[0:1]
	s_cbranch_execnz .LBB230_87
	s_branch .LBB230_88
.LBB230_154:                            ;   in Loop: Header=BB230_41 Depth=1
	v_cmp_eq_u16_e64 s[0:1], s29, v8
	s_mov_b64 s[16:17], -1
                                        ; implicit-def: $sgpr40
	s_and_saveexec_b64 s[26:27], s[0:1]
; %bb.155:                              ;   in Loop: Header=BB230_41 Depth=1
	s_mov_b32 s40, 0x7fc02000
	s_xor_b64 s[16:17], exec, -1
; %bb.156:                              ;   in Loop: Header=BB230_41 Depth=1
	s_or_b64 exec, exec, s[26:27]
	s_and_b64 s[16:17], s[16:17], exec
	s_or_saveexec_b64 s[18:19], s[18:19]
	v_mov_b32_e32 v23, s40
	s_xor_b64 exec, exec, s[18:19]
	s_cbranch_execz .LBB230_90
.LBB230_157:                            ;   in Loop: Header=BB230_41 Depth=1
	v_cmp_ne_u16_e64 s[0:1], 0, v8
	s_andn2_b64 s[16:17], s[16:17], exec
	s_and_b64 s[0:1], s[0:1], exec
	v_mov_b32_e32 v23, 0
	s_or_b64 s[16:17], s[16:17], s[0:1]
	s_or_b64 exec, exec, s[18:19]
	s_and_saveexec_b64 s[18:19], s[16:17]
	s_cbranch_execnz .LBB230_91
	s_branch .LBB230_92
.LBB230_158:                            ;   in Loop: Header=BB230_41 Depth=1
	v_cmp_eq_u16_sdwa s[40:41], v19, s29 src0_sel:BYTE_0 src1_sel:DWORD
	s_mov_b64 s[0:1], -1
                                        ; implicit-def: $sgpr26
	s_and_saveexec_b64 s[18:19], s[40:41]
; %bb.159:                              ;   in Loop: Header=BB230_41 Depth=1
	s_mov_b32 s26, 0x7fc02000
	s_xor_b64 s[0:1], exec, -1
; %bb.160:                              ;   in Loop: Header=BB230_41 Depth=1
	s_or_b64 exec, exec, s[18:19]
	s_and_b64 s[0:1], s[0:1], exec
	s_or_saveexec_b64 s[16:17], s[16:17]
	v_mov_b32_e32 v17, s26
	s_xor_b64 exec, exec, s[16:17]
	s_cbranch_execz .LBB230_94
.LBB230_161:                            ;   in Loop: Header=BB230_41 Depth=1
	v_cmp_ne_u16_sdwa s[18:19], v19, v9 src0_sel:BYTE_0 src1_sel:DWORD
	s_andn2_b64 s[0:1], s[0:1], exec
	s_and_b64 s[18:19], s[18:19], exec
	v_mov_b32_e32 v17, 0
	s_or_b64 s[0:1], s[0:1], s[18:19]
	s_or_b64 exec, exec, s[16:17]
	v_mov_b32_e32 v8, v19
	s_and_saveexec_b64 s[16:17], s[0:1]
	s_cbranch_execnz .LBB230_95
	s_branch .LBB230_96
.LBB230_162:                            ;   in Loop: Header=BB230_41 Depth=1
	v_cmp_eq_u16_e64 s[0:1], s29, v8
	s_mov_b64 s[16:17], -1
                                        ; implicit-def: $sgpr40
	s_and_saveexec_b64 s[26:27], s[0:1]
; %bb.163:                              ;   in Loop: Header=BB230_41 Depth=1
	s_mov_b32 s40, 0x7fc02000
	s_xor_b64 s[16:17], exec, -1
; %bb.164:                              ;   in Loop: Header=BB230_41 Depth=1
	s_or_b64 exec, exec, s[26:27]
	s_and_b64 s[16:17], s[16:17], exec
	s_or_saveexec_b64 s[18:19], s[18:19]
	v_mov_b32_e32 v18, s40
	s_xor_b64 exec, exec, s[18:19]
	s_cbranch_execz .LBB230_98
.LBB230_165:                            ;   in Loop: Header=BB230_41 Depth=1
	v_cmp_ne_u16_e64 s[0:1], 0, v8
	s_andn2_b64 s[16:17], s[16:17], exec
	s_and_b64 s[0:1], s[0:1], exec
	v_mov_b32_e32 v18, 0
	s_or_b64 s[16:17], s[16:17], s[0:1]
	s_or_b64 exec, exec, s[18:19]
	s_and_saveexec_b64 s[18:19], s[16:17]
	s_cbranch_execnz .LBB230_99
	s_branch .LBB230_100
.LBB230_166:                            ;   in Loop: Header=BB230_41 Depth=1
	v_cmp_eq_u16_sdwa s[40:41], v8, s29 src0_sel:BYTE_0 src1_sel:DWORD
	s_mov_b64 s[0:1], -1
                                        ; implicit-def: $sgpr26
	s_and_saveexec_b64 s[18:19], s[40:41]
; %bb.167:                              ;   in Loop: Header=BB230_41 Depth=1
	s_mov_b32 s26, 0x7fc02000
	s_xor_b64 s[0:1], exec, -1
; %bb.168:                              ;   in Loop: Header=BB230_41 Depth=1
	s_or_b64 exec, exec, s[18:19]
	s_and_b64 s[0:1], s[0:1], exec
	s_or_saveexec_b64 s[16:17], s[16:17]
	v_mov_b32_e32 v31, s26
	s_xor_b64 exec, exec, s[16:17]
	s_cbranch_execz .LBB230_102
.LBB230_169:                            ;   in Loop: Header=BB230_41 Depth=1
	v_cmp_ne_u16_sdwa s[18:19], v8, v9 src0_sel:BYTE_0 src1_sel:DWORD
	s_andn2_b64 s[0:1], s[0:1], exec
	s_and_b64 s[18:19], s[18:19], exec
	v_mov_b32_e32 v31, 0
	s_or_b64 s[0:1], s[0:1], s[18:19]
	s_or_b64 exec, exec, s[16:17]
	s_and_saveexec_b64 s[16:17], s[0:1]
	s_cbranch_execnz .LBB230_103
	s_branch .LBB230_104
.LBB230_170:                            ;   in Loop: Header=BB230_41 Depth=1
	v_cmp_eq_u16_e64 s[0:1], s29, v8
	s_mov_b64 s[16:17], -1
                                        ; implicit-def: $sgpr40
	s_and_saveexec_b64 s[26:27], s[0:1]
; %bb.171:                              ;   in Loop: Header=BB230_41 Depth=1
	s_mov_b32 s40, 0x7fc02000
	s_xor_b64 s[16:17], exec, -1
; %bb.172:                              ;   in Loop: Header=BB230_41 Depth=1
	s_or_b64 exec, exec, s[26:27]
	s_and_b64 s[16:17], s[16:17], exec
	s_or_saveexec_b64 s[18:19], s[18:19]
	v_mov_b32_e32 v32, s40
	s_xor_b64 exec, exec, s[18:19]
	s_cbranch_execz .LBB230_106
.LBB230_173:                            ;   in Loop: Header=BB230_41 Depth=1
	v_cmp_ne_u16_e64 s[0:1], 0, v8
	s_andn2_b64 s[16:17], s[16:17], exec
	s_and_b64 s[0:1], s[0:1], exec
	v_mov_b32_e32 v32, 0
	s_or_b64 s[16:17], s[16:17], s[0:1]
	s_or_b64 exec, exec, s[18:19]
	s_and_saveexec_b64 s[18:19], s[16:17]
	s_cbranch_execnz .LBB230_107
	s_branch .LBB230_108
.LBB230_174:
	s_or_b64 exec, exec, s[10:11]
.LBB230_175:
	s_or_b64 exec, exec, s[8:9]
	v_and_b32_e32 v1, 0x3c0, v0
	v_cmp_eq_u32_e32 vcc, 64, v1
	s_barrier
	s_and_saveexec_b64 s[0:1], vcc
	s_cbranch_execz .LBB230_178
; %bb.176:
	v_mov_b32_e32 v1, 0xd0
	v_lshl_add_u32 v3, v3, 2, v1
	ds_write_b32 v3, v4
	s_and_b64 exec, exec, s[6:7]
	s_cbranch_execz .LBB230_178
; %bb.177:
	v_lshl_add_u32 v1, v0, 2, v1
	ds_write_b32 v1, v5
.LBB230_178:
	s_or_b64 exec, exec, s[0:1]
	v_cmp_gt_u32_e32 vcc, 64, v0
	v_or_b32_e32 v1, 64, v0
	s_waitcnt lgkmcnt(0)
	s_barrier
	s_and_saveexec_b64 s[2:3], vcc
	s_cbranch_execz .LBB230_182
; %bb.179:
	v_mov_b32_e32 v3, 0xd0
	v_lshl_add_u32 v0, v0, 2, v3
	ds_read_b32 v3, v0
	s_movk_i32 s0, 0x60
	v_cmp_gt_u32_e64 s[0:1], s0, v1
	s_waitcnt lgkmcnt(0)
	v_add_f32_e32 v4, v4, v3
	s_and_saveexec_b64 s[6:7], s[0:1]
	s_cbranch_execz .LBB230_181
; %bb.180:
	ds_read_b32 v0, v0 offset:256
	s_waitcnt lgkmcnt(0)
	v_add_f32_e32 v5, v5, v0
.LBB230_181:
	s_or_b64 exec, exec, s[6:7]
.LBB230_182:
	s_or_b64 exec, exec, s[2:3]
	s_barrier
	s_and_saveexec_b64 s[0:1], vcc
	s_cbranch_execz .LBB230_185
; %bb.183:
	s_mul_i32 s0, s20, s23
	s_mul_i32 s0, s0, s5
	s_mulk_i32 s0, 0x60
	s_ashr_i32 s1, s0, 31
	s_lshl_b64 s[0:1], s[0:1], 1
	s_add_u32 s3, s24, s0
	s_mul_i32 s0, s23, s22
	s_addc_u32 s5, s25, s1
	s_ashr_i32 s1, s0, 31
	s_lshl_b64 s[0:1], s[0:1], 1
	s_add_u32 s3, s3, s0
	s_mul_i32 s0, s4, 0x60
	s_addc_u32 s5, s5, s1
	s_ashr_i32 s1, s0, 31
	s_lshl_b64 s[0:1], s[0:1], 1
	s_movk_i32 s2, 0x60
	s_add_u32 s0, s3, s0
	s_addc_u32 s1, s5, s1
	v_cmp_gt_u32_e32 vcc, s2, v1
	;;#ASMSTART
	v_cvt_f16_f32 v0, v4;

	;;#ASMEND
	global_store_short v2, v0, s[0:1]
	s_and_b64 exec, exec, vcc
	s_cbranch_execz .LBB230_185
; %bb.184:
	v_mov_b32_e32 v3, 0
	v_lshl_add_u64 v[0:1], s[0:1], 0, v[2:3]
	;;#ASMSTART
	v_cvt_f16_f32 v2, v5;

	;;#ASMEND
	global_store_short v[0:1], v2, off offset:128
.LBB230_185:
	s_endpgm
	.section	.rodata,"a",@progbits
	.p2align	6, 0x0
	.amdhsa_kernel _ZN4vllm25paged_attention_v1_kernelIthLi96ELi8ELi128ELNS_18Fp8KVCacheDataTypeE1ELb0EEEvPT_PKS2_PKT0_S8_ifPKiSA_iPKfiiiSC_SC_iiiii
		.amdhsa_group_segment_fixed_size 208
		.amdhsa_private_segment_fixed_size 0
		.amdhsa_kernarg_size 384
		.amdhsa_user_sgpr_count 2
		.amdhsa_user_sgpr_dispatch_ptr 0
		.amdhsa_user_sgpr_queue_ptr 0
		.amdhsa_user_sgpr_kernarg_segment_ptr 1
		.amdhsa_user_sgpr_dispatch_id 0
		.amdhsa_user_sgpr_kernarg_preload_length 0
		.amdhsa_user_sgpr_kernarg_preload_offset 0
		.amdhsa_user_sgpr_private_segment_size 0
		.amdhsa_uses_dynamic_stack 0
		.amdhsa_enable_private_segment 0
		.amdhsa_system_sgpr_workgroup_id_x 1
		.amdhsa_system_sgpr_workgroup_id_y 1
		.amdhsa_system_sgpr_workgroup_id_z 1
		.amdhsa_system_sgpr_workgroup_info 0
		.amdhsa_system_vgpr_workitem_id 0
		.amdhsa_next_free_vgpr 43
		.amdhsa_next_free_sgpr 42
		.amdhsa_accum_offset 44
		.amdhsa_reserve_vcc 1
		.amdhsa_float_round_mode_32 0
		.amdhsa_float_round_mode_16_64 0
		.amdhsa_float_denorm_mode_32 3
		.amdhsa_float_denorm_mode_16_64 3
		.amdhsa_dx10_clamp 1
		.amdhsa_ieee_mode 1
		.amdhsa_fp16_overflow 0
		.amdhsa_tg_split 0
		.amdhsa_exception_fp_ieee_invalid_op 0
		.amdhsa_exception_fp_denorm_src 0
		.amdhsa_exception_fp_ieee_div_zero 0
		.amdhsa_exception_fp_ieee_overflow 0
		.amdhsa_exception_fp_ieee_underflow 0
		.amdhsa_exception_fp_ieee_inexact 0
		.amdhsa_exception_int_div_zero 0
	.end_amdhsa_kernel
	.section	.text._ZN4vllm25paged_attention_v1_kernelIthLi96ELi8ELi128ELNS_18Fp8KVCacheDataTypeE1ELb0EEEvPT_PKS2_PKT0_S8_ifPKiSA_iPKfiiiSC_SC_iiiii,"axG",@progbits,_ZN4vllm25paged_attention_v1_kernelIthLi96ELi8ELi128ELNS_18Fp8KVCacheDataTypeE1ELb0EEEvPT_PKS2_PKT0_S8_ifPKiSA_iPKfiiiSC_SC_iiiii,comdat
.Lfunc_end230:
	.size	_ZN4vllm25paged_attention_v1_kernelIthLi96ELi8ELi128ELNS_18Fp8KVCacheDataTypeE1ELb0EEEvPT_PKS2_PKT0_S8_ifPKiSA_iPKfiiiSC_SC_iiiii, .Lfunc_end230-_ZN4vllm25paged_attention_v1_kernelIthLi96ELi8ELi128ELNS_18Fp8KVCacheDataTypeE1ELb0EEEvPT_PKS2_PKT0_S8_ifPKiSA_iPKfiiiSC_SC_iiiii
                                        ; -- End function
	.section	.AMDGPU.csdata,"",@progbits
; Kernel info:
; codeLenInByte = 9004
; NumSgprs: 48
; NumVgprs: 43
; NumAgprs: 0
; TotalNumVgprs: 43
; ScratchSize: 0
; MemoryBound: 0
; FloatMode: 240
; IeeeMode: 1
; LDSByteSize: 208 bytes/workgroup (compile time only)
; SGPRBlocks: 5
; VGPRBlocks: 5
; NumSGPRsForWavesPerEU: 48
; NumVGPRsForWavesPerEU: 43
; AccumOffset: 44
; Occupancy: 8
; WaveLimiterHint : 1
; COMPUTE_PGM_RSRC2:SCRATCH_EN: 0
; COMPUTE_PGM_RSRC2:USER_SGPR: 2
; COMPUTE_PGM_RSRC2:TRAP_HANDLER: 0
; COMPUTE_PGM_RSRC2:TGID_X_EN: 1
; COMPUTE_PGM_RSRC2:TGID_Y_EN: 1
; COMPUTE_PGM_RSRC2:TGID_Z_EN: 1
; COMPUTE_PGM_RSRC2:TIDIG_COMP_CNT: 0
; COMPUTE_PGM_RSRC3_GFX90A:ACCUM_OFFSET: 10
; COMPUTE_PGM_RSRC3_GFX90A:TG_SPLIT: 0
	.section	.text._ZN4vllm25paged_attention_v1_kernelIthLi112ELi8ELi128ELNS_18Fp8KVCacheDataTypeE1ELb0EEEvPT_PKS2_PKT0_S8_ifPKiSA_iPKfiiiSC_SC_iiiii,"axG",@progbits,_ZN4vllm25paged_attention_v1_kernelIthLi112ELi8ELi128ELNS_18Fp8KVCacheDataTypeE1ELb0EEEvPT_PKS2_PKT0_S8_ifPKiSA_iPKfiiiSC_SC_iiiii,comdat
	.protected	_ZN4vllm25paged_attention_v1_kernelIthLi112ELi8ELi128ELNS_18Fp8KVCacheDataTypeE1ELb0EEEvPT_PKS2_PKT0_S8_ifPKiSA_iPKfiiiSC_SC_iiiii ; -- Begin function _ZN4vllm25paged_attention_v1_kernelIthLi112ELi8ELi128ELNS_18Fp8KVCacheDataTypeE1ELb0EEEvPT_PKS2_PKT0_S8_ifPKiSA_iPKfiiiSC_SC_iiiii
	.globl	_ZN4vllm25paged_attention_v1_kernelIthLi112ELi8ELi128ELNS_18Fp8KVCacheDataTypeE1ELb0EEEvPT_PKS2_PKT0_S8_ifPKiSA_iPKfiiiSC_SC_iiiii
	.p2align	8
	.type	_ZN4vllm25paged_attention_v1_kernelIthLi112ELi8ELi128ELNS_18Fp8KVCacheDataTypeE1ELb0EEEvPT_PKS2_PKT0_S8_ifPKiSA_iPKfiiiSC_SC_iiiii,@function
_ZN4vllm25paged_attention_v1_kernelIthLi112ELi8ELi128ELNS_18Fp8KVCacheDataTypeE1ELb0EEEvPT_PKS2_PKT0_S8_ifPKiSA_iPKfiiiSC_SC_iiiii: ; @_ZN4vllm25paged_attention_v1_kernelIthLi112ELi8ELi128ELNS_18Fp8KVCacheDataTypeE1ELb0EEEvPT_PKS2_PKT0_S8_ifPKiSA_iPKfiiiSC_SC_iiiii
; %bb.0:
	s_load_dword s5, s[0:1], 0x80
	s_load_dwordx2 s[6:7], s[0:1], 0x30
	s_load_dwordx2 s[10:11], s[0:1], 0x20
	s_mov_b32 s20, s3
	s_ashr_i32 s21, s3, 31
	s_lshl_b64 s[8:9], s[20:21], 2
	s_waitcnt lgkmcnt(0)
	s_add_u32 s6, s6, s8
	s_addc_u32 s7, s7, s9
	s_abs_i32 s3, s10
	v_cvt_f32_u32_e32 v1, s3
	s_xor_b32 s8, s5, s10
	s_sub_i32 s10, 0, s3
	s_abs_i32 s9, s5
	v_rcp_iflag_f32_e32 v1, v1
	s_ashr_i32 s8, s8, 31
	v_mul_f32_e32 v1, 0x4f7ffffe, v1
	v_cvt_u32_f32_e32 v1, v1
	s_nop 0
	v_readfirstlane_b32 s12, v1
	s_mul_i32 s10, s10, s12
	s_mul_hi_u32 s10, s12, s10
	s_add_i32 s12, s12, s10
	s_mul_hi_u32 s10, s9, s12
	s_mul_i32 s12, s10, s3
	s_sub_i32 s9, s9, s12
	s_add_i32 s12, s10, 1
	s_sub_i32 s13, s9, s3
	s_cmp_ge_u32 s9, s3
	s_cselect_b32 s10, s12, s10
	s_cselect_b32 s9, s13, s9
	s_add_i32 s12, s10, 1
	s_cmp_ge_u32 s9, s3
	s_cselect_b32 s3, s12, s10
	s_xor_b32 s3, s3, s8
	s_sub_i32 s15, s3, s8
	s_abs_i32 s12, s15
	v_cvt_f32_u32_e32 v1, s12
	s_load_dwordx2 s[8:9], s[0:1], 0x40
	s_sub_i32 s3, 0, s12
	s_abs_i32 s13, s2
	v_rcp_iflag_f32_e32 v1, v1
	s_mov_b32 s10, 0
	v_mul_f32_e32 v1, 0x4f7ffffe, v1
	v_cvt_u32_f32_e32 v1, v1
	s_nop 0
	v_readfirstlane_b32 s14, v1
	s_mul_i32 s3, s3, s14
	s_mul_hi_u32 s3, s14, s3
	s_add_i32 s14, s14, s3
	s_waitcnt lgkmcnt(0)
	s_cmp_eq_u64 s[8:9], 0
	s_mul_hi_u32 s14, s13, s14
	s_cbranch_scc1 .LBB231_2
; %bb.1:
	s_ashr_i32 s3, s2, 31
	s_lshl_b64 s[16:17], s[2:3], 2
	s_add_u32 s8, s8, s16
	s_addc_u32 s9, s9, s17
	s_load_dword s10, s[8:9], 0x0
.LBB231_2:
	s_load_dword s21, s[6:7], 0x0
	s_load_dwordx4 s[16:19], s[0:1], 0x48
	s_movk_i32 s3, 0x70
	s_ashr_i32 s8, s2, 31
	s_ashr_i32 s9, s15, 31
	v_and_b32_e32 v4, 7, v0
	s_mul_i32 s22, s2, 0x70
	v_cmp_gt_u32_e64 s[6:7], s3, v0
	v_lshlrev_b32_e32 v2, 1, v0
	s_and_saveexec_b64 s[2:3], s[6:7]
	s_cbranch_execz .LBB231_4
; %bb.3:
	s_load_dwordx2 s[24:25], s[0:1], 0x8
	s_waitcnt lgkmcnt(0)
	s_mul_i32 s26, s20, s16
	s_ashr_i32 s27, s26, 31
	s_lshl_b64 s[26:27], s[26:27], 1
	v_lshrrev_b32_e32 v3, 2, v0
	s_add_u32 s15, s24, s26
	s_addc_u32 s16, s25, s27
	s_ashr_i32 s23, s22, 31
	s_lshl_b64 s[24:25], s[22:23], 1
	s_add_u32 s24, s15, s24
	s_addc_u32 s25, s16, s25
	global_load_ushort v1, v2, s[24:25]
	v_and_b32_e32 v3, 0xfe, v3
	v_mad_u32_u24 v3, v4, 28, v3
	s_waitcnt vmcnt(0)
	ds_write_b16 v3, v1
.LBB231_4:
	s_or_b64 exec, exec, s[2:3]
	s_waitcnt lgkmcnt(0)
	s_add_i32 s3, s21, 7
	s_ashr_i32 s15, s3, 31
	s_lshr_b32 s15, s15, 29
	s_add_i32 s3, s3, s15
	s_ashr_i32 s33, s3, 3
	s_xor_b32 s3, s8, s9
	s_mul_i32 s8, s14, s12
	s_sub_i32 s8, s13, s8
	s_add_i32 s9, s14, 1
	s_sub_i32 s13, s8, s12
	s_load_dwordx2 s[26:27], s[0:1], 0x28
	s_load_dword s2, s[0:1], 0x38
	s_cmp_ge_u32 s8, s12
	s_cselect_b32 s9, s9, s14
	s_cselect_b32 s8, s13, s8
	s_add_i32 s13, s9, 1
	s_cmp_ge_u32 s8, s12
	s_cselect_b32 s8, s13, s9
	v_lshrrev_b32_e32 v1, 6, v0
	s_xor_b32 s8, s8, s3
	s_waitcnt lgkmcnt(0)
	s_mul_i32 s28, s20, s2
	s_sub_i32 s16, s8, s3
	s_ashr_i32 s29, s28, 31
	v_cmp_gt_i32_e64 s[2:3], s33, v1
	v_cmp_le_i32_e32 vcc, s33, v1
	v_mbcnt_lo_u32_b32 v16, -1, 0
	s_barrier
	s_waitcnt lgkmcnt(0)
                                        ; implicit-def: $sgpr19
                                        ; implicit-def: $vgpr11
                                        ; implicit-def: $vgpr12
	s_and_saveexec_b64 s[8:9], vcc
	s_xor_b64 s[8:9], exec, s[8:9]
; %bb.5:
	v_mbcnt_hi_u32_b32 v11, -1, v16
	v_and_b32_e32 v3, 64, v11
	v_add_u32_e32 v12, 64, v3
	s_mov_b32 s19, 0xff7fffff
                                        ; implicit-def: $vgpr4
                                        ; implicit-def: $vgpr16
; %bb.6:
	s_or_saveexec_b64 s[34:35], s[8:9]
	s_load_dwordx2 s[24:25], s[0:1], 0x0
	s_load_dwordx2 s[30:31], s[0:1], 0x18
	s_load_dword s23, s[0:1], 0x88
	s_load_dwordx4 s[12:15], s[0:1], 0x58
	v_mov_b32_e32 v3, s19
	s_mul_i32 s16, s16, s18
	v_lshrrev_b32_e32 v10, 4, v0
	s_xor_b64 exec, exec, s[34:35]
	s_cbranch_execz .LBB231_12
; %bb.7:
	s_load_dwordx2 s[0:1], s[0:1], 0x10
	s_ashr_i32 s8, s16, 31
	v_bfe_u32 v3, v0, 3, 3
	v_lshlrev_b32_e32 v6, 4, v3
	v_mov_b32_e32 v5, 0
	s_waitcnt lgkmcnt(0)
	s_add_u32 s0, s0, s16
	s_addc_u32 s1, s1, s8
	s_sub_i32 s39, 1, s21
	s_lshl_b64 s[8:9], s[28:29], 2
	v_lshl_or_b32 v14, v1, 3, v3
	v_lshlrev_b32_e32 v3, 2, v3
	s_add_u32 s8, s26, s8
	v_mbcnt_hi_u32_b32 v11, -1, v16
	v_mov_b32_e32 v7, v5
	v_lshl_or_b32 v3, v1, 5, v3
	v_and_b32_e32 v8, 60, v10
	v_mov_b32_e32 v9, v5
	s_addc_u32 s9, s27, s9
	v_and_b32_e32 v12, 64, v11
	s_mov_b32 s38, s17
	v_lshl_add_u64 v[6:7], s[0:1], 0, v[6:7]
	v_mul_u32_u24_e32 v13, 28, v4
	v_cmp_eq_u32_e32 vcc, 0, v4
	v_cmp_neq_f32_e64 s[0:1], s10, 0
	v_add_u32_e32 v15, 0xf0, v3
	v_lshl_add_u64 v[8:9], s[8:9], 0, v[8:9]
	s_mov_b64 s[18:19], 0
	v_mov_b32_e32 v3, 0xff7fffff
	v_add_u32_e32 v12, 64, v12
	v_xor_b32_e32 v16, 4, v11
	v_xor_b32_e32 v17, 2, v11
	;; [unrolled: 1-line block ×3, first 2 shown]
	v_mov_b32_e32 v19, v1
	s_branch .LBB231_9
.LBB231_8:                              ;   in Loop: Header=BB231_9 Depth=1
	s_or_b64 exec, exec, s[36:37]
	v_add_u32_e32 v19, 2, v19
	v_cmp_le_i32_e64 s[8:9], s33, v19
	v_add_u32_e32 v14, 16, v14
	v_add_u32_e32 v15, 64, v15
	s_or_b64 s[18:19], s[8:9], s[18:19]
	v_lshl_add_u64 v[8:9], v[8:9], 0, 8
	s_andn2_b64 exec, exec, s[18:19]
	s_cbranch_execz .LBB231_11
.LBB231_9:                              ; =>This Inner Loop Header: Depth=1
	global_load_dword v20, v[8:9], off
	s_waitcnt vmcnt(0) lgkmcnt(0)
	v_mad_i64_i32 v[20:21], s[8:9], v20, s38, v[6:7]
	v_lshl_add_u64 v[20:21], v[20:21], 0, v[4:5]
	global_load_ubyte v22, v[20:21], off
	global_load_ubyte v23, v[20:21], off offset:8
	global_load_dword v24, v5, s[12:13]
	global_load_ubyte v25, v[20:21], off offset:128
	global_load_ubyte v26, v[20:21], off offset:136
	global_load_ubyte v27, v[20:21], off offset:256
	global_load_ubyte v28, v[20:21], off offset:264
	global_load_ubyte v29, v[20:21], off offset:384
	global_load_ubyte v30, v[20:21], off offset:392
	global_load_ubyte v31, v[20:21], off offset:512
	global_load_ubyte v32, v[20:21], off offset:520
	global_load_ubyte v33, v[20:21], off offset:640
	global_load_ubyte v34, v[20:21], off offset:648
	global_load_ubyte v35, v[20:21], off offset:768
	global_load_ubyte v36, v[20:21], off offset:776
	ds_read_u16 v20, v13
	s_waitcnt lgkmcnt(0)
	;;#ASMSTART
	v_cvt_f32_f16 v20, v20;
	;;#ASMEND
	v_cmp_lt_i32_e64 s[8:9], v16, v12
	s_waitcnt vmcnt(14)
	v_cvt_f32_fp8_sdwa v21, v22 src0_sel:BYTE_0
	s_waitcnt vmcnt(13)
	v_cvt_f32_fp8_sdwa v23, v23 src0_sel:BYTE_0
	v_cndmask_b32_e64 v22, v11, v16, s[8:9]
	s_waitcnt vmcnt(11)
	v_cvt_f32_fp8_sdwa v25, v25 src0_sel:BYTE_0
	v_fma_mixlo_f16 v21, v24, v21, 0
	v_and_b32_e32 v21, 0xffff, v21
	v_fma_mixlo_f16 v23, v24, v23, 0
	s_waitcnt vmcnt(10)
	v_cvt_f32_fp8_sdwa v26, v26 src0_sel:BYTE_0
	;;#ASMSTART
	v_cvt_f32_f16 v21, v21;
	;;#ASMEND
	ds_read_u16 v37, v13 offset:2
	v_and_b32_e32 v23, 0xffff, v23
	s_waitcnt vmcnt(9)
	v_cvt_f32_fp8_sdwa v27, v27 src0_sel:BYTE_0
	s_waitcnt lgkmcnt(0)
	;;#ASMSTART
	v_cvt_f32_f16 v37, v37;
	;;#ASMEND
	;;#ASMSTART
	v_cvt_f32_f16 v23, v23;
	;;#ASMEND
	s_waitcnt vmcnt(8)
	v_cvt_f32_fp8_sdwa v28, v28 src0_sel:BYTE_0
	v_fma_mixlo_f16 v25, v24, v25, 0
	s_waitcnt vmcnt(7)
	v_cvt_f32_fp8_sdwa v29, v29 src0_sel:BYTE_0
	v_mul_f32_e32 v23, v37, v23
	ds_read_u16 v38, v13 offset:4
	v_and_b32_e32 v25, 0xffff, v25
	v_fma_mixlo_f16 v26, v24, v26, 0
	s_waitcnt vmcnt(6)
	v_cvt_f32_fp8_sdwa v30, v30 src0_sel:BYTE_0
	v_fmac_f32_e32 v23, v20, v21
	s_waitcnt lgkmcnt(0)
	;;#ASMSTART
	v_cvt_f32_f16 v38, v38;
	;;#ASMEND
	;;#ASMSTART
	v_cvt_f32_f16 v25, v25;
	;;#ASMEND
	ds_read_u16 v39, v13 offset:6
	v_and_b32_e32 v26, 0xffff, v26
	s_waitcnt vmcnt(5)
	v_cvt_f32_fp8_sdwa v31, v31 src0_sel:BYTE_0
	v_fma_mixlo_f16 v27, v24, v27, 0
	v_fmac_f32_e32 v23, v38, v25
	s_waitcnt lgkmcnt(0)
	;;#ASMSTART
	v_cvt_f32_f16 v39, v39;
	;;#ASMEND
	;;#ASMSTART
	v_cvt_f32_f16 v26, v26;
	;;#ASMEND
	ds_read_u16 v40, v13 offset:8
	v_and_b32_e32 v27, 0xffff, v27
	s_waitcnt vmcnt(4)
	v_cvt_f32_fp8_sdwa v32, v32 src0_sel:BYTE_0
	v_fma_mixlo_f16 v28, v24, v28, 0
	v_fmac_f32_e32 v23, v39, v26
	s_waitcnt lgkmcnt(0)
	;;#ASMSTART
	v_cvt_f32_f16 v40, v40;
	;;#ASMEND
	;;#ASMSTART
	v_cvt_f32_f16 v27, v27;
	;;#ASMEND
	ds_read_u16 v41, v13 offset:10
	s_waitcnt vmcnt(3)
	v_cvt_f32_fp8_sdwa v33, v33 src0_sel:BYTE_0
	v_and_b32_e32 v28, 0xffff, v28
	v_fma_mixlo_f16 v29, v24, v29, 0
	v_fmac_f32_e32 v23, v40, v27
	s_waitcnt lgkmcnt(0)
	;;#ASMSTART
	v_cvt_f32_f16 v41, v41;
	;;#ASMEND
	;;#ASMSTART
	v_cvt_f32_f16 v28, v28;
	;;#ASMEND
	ds_read_u16 v42, v13 offset:12
	s_waitcnt vmcnt(2)
	v_cvt_f32_fp8_sdwa v34, v34 src0_sel:BYTE_0
	s_waitcnt vmcnt(1)
	v_cvt_f32_fp8_sdwa v35, v35 src0_sel:BYTE_0
	v_and_b32_e32 v29, 0xffff, v29
	s_waitcnt vmcnt(0)
	v_cvt_f32_fp8_sdwa v36, v36 src0_sel:BYTE_0
	v_fma_mixlo_f16 v30, v24, v30, 0
	v_fmac_f32_e32 v23, v41, v28
	s_waitcnt lgkmcnt(0)
	;;#ASMSTART
	v_cvt_f32_f16 v42, v42;
	;;#ASMEND
	;;#ASMSTART
	v_cvt_f32_f16 v29, v29;
	;;#ASMEND
	ds_read_u16 v43, v13 offset:14
	v_fma_mixlo_f16 v31, v24, v31, 0
	v_and_b32_e32 v30, 0xffff, v30
	v_fmac_f32_e32 v23, v42, v29
	s_waitcnt lgkmcnt(0)
	;;#ASMSTART
	v_cvt_f32_f16 v43, v43;
	;;#ASMEND
	;;#ASMSTART
	v_cvt_f32_f16 v30, v30;
	;;#ASMEND
	ds_read_u16 v44, v13 offset:16
	v_fma_mixlo_f16 v32, v24, v32, 0
	v_and_b32_e32 v31, 0xffff, v31
	v_fmac_f32_e32 v23, v43, v30
	v_fma_mixlo_f16 v33, v24, v33, 0
	s_waitcnt lgkmcnt(0)
	;;#ASMSTART
	v_cvt_f32_f16 v44, v44;
	;;#ASMEND
	;;#ASMSTART
	v_cvt_f32_f16 v31, v31;
	;;#ASMEND
	v_and_b32_e32 v32, 0xffff, v32
	v_fmac_f32_e32 v23, v44, v31
	v_fma_mixlo_f16 v34, v24, v34, 0
	ds_read_u16 v45, v13 offset:18
	v_fma_mixlo_f16 v35, v24, v35, 0
	v_fma_mixlo_f16 v24, v24, v36, 0
	v_and_b32_e32 v33, 0xffff, v33
	s_waitcnt lgkmcnt(0)
	;;#ASMSTART
	v_cvt_f32_f16 v36, v45;
	;;#ASMEND
	;;#ASMSTART
	v_cvt_f32_f16 v32, v32;
	;;#ASMEND
	ds_read_u16 v45, v13 offset:20
	v_fmac_f32_e32 v23, v36, v32
	s_waitcnt lgkmcnt(0)
	;;#ASMSTART
	v_cvt_f32_f16 v37, v45;
	;;#ASMEND
	;;#ASMSTART
	v_cvt_f32_f16 v33, v33;
	;;#ASMEND
	v_and_b32_e32 v34, 0xffff, v34
	v_fmac_f32_e32 v23, v37, v33
	ds_read_u16 v45, v13 offset:22
	s_waitcnt lgkmcnt(0)
	;;#ASMSTART
	v_cvt_f32_f16 v20, v45;
	;;#ASMEND
	;;#ASMSTART
	v_cvt_f32_f16 v21, v34;
	;;#ASMEND
	ds_read_u16 v25, v13 offset:24
	v_fmac_f32_e32 v23, v20, v21
	v_and_b32_e32 v35, 0xffff, v35
	s_waitcnt lgkmcnt(0)
	;;#ASMSTART
	v_cvt_f32_f16 v25, v25;
	;;#ASMEND
	;;#ASMSTART
	v_cvt_f32_f16 v26, v35;
	;;#ASMEND
	v_lshlrev_b32_e32 v22, 2, v22
	v_fmac_f32_e32 v23, v25, v26
	v_and_b32_e32 v24, 0xffff, v24
	ds_read_u16 v27, v13 offset:26
	s_waitcnt lgkmcnt(0)
	;;#ASMSTART
	v_cvt_f32_f16 v20, v27;
	;;#ASMEND
	;;#ASMSTART
	v_cvt_f32_f16 v21, v24;
	;;#ASMEND
	v_cmp_lt_i32_e64 s[8:9], v17, v12
	v_fmac_f32_e32 v23, v20, v21
	ds_bpermute_b32 v20, v22, v23
	v_cndmask_b32_e64 v21, v11, v17, s[8:9]
	v_lshlrev_b32_e32 v21, 2, v21
	v_cmp_lt_i32_e64 s[8:9], v18, v12
	s_waitcnt lgkmcnt(0)
	v_add_f32_e32 v20, v23, v20
	ds_bpermute_b32 v21, v21, v20
	v_cndmask_b32_e64 v22, v11, v18, s[8:9]
	s_waitcnt lgkmcnt(0)
	v_add_f32_e32 v20, v20, v21
	v_lshlrev_b32_e32 v21, 2, v22
	ds_bpermute_b32 v21, v21, v20
	s_and_saveexec_b64 s[36:37], vcc
	s_cbranch_execz .LBB231_8
; %bb.10:                               ;   in Loop: Header=BB231_9 Depth=1
	v_add_u32_e32 v22, s39, v14
	v_cvt_f32_i32_e32 v22, v22
	s_waitcnt lgkmcnt(0)
	v_add_f32_e32 v20, v20, v21
	v_cmp_gt_i32_e64 s[8:9], s21, v14
	v_max_f32_e32 v21, v3, v3
	v_mul_f32_e32 v22, s10, v22
	v_cndmask_b32_e64 v22, 0, v22, s[0:1]
	v_fmac_f32_e32 v22, s11, v20
	v_cndmask_b32_e64 v20, 0, v22, s[8:9]
	ds_write_b32 v15, v20
	v_max_f32_e32 v20, v21, v22
	v_cndmask_b32_e64 v3, v3, v20, s[8:9]
	s_branch .LBB231_8
.LBB231_11:
	s_or_b64 exec, exec, s[18:19]
.LBB231_12:
	s_or_b64 exec, exec, s[34:35]
	v_xor_b32_e32 v4, 32, v11
	v_cmp_lt_i32_e32 vcc, v4, v12
	v_xor_b32_e32 v6, 16, v11
	v_xor_b32_e32 v8, 8, v11
	v_cndmask_b32_e32 v4, v11, v4, vcc
	v_lshlrev_b32_e32 v5, 2, v4
	ds_bpermute_b32 v4, v5, v3
	v_max_f32_e32 v3, v3, v3
	v_cmp_lt_i32_e32 vcc, v6, v12
	s_waitcnt lgkmcnt(0)
	v_max_f32_e32 v4, v4, v4
	v_max_f32_e32 v3, v3, v4
	v_cndmask_b32_e32 v4, v11, v6, vcc
	v_lshlrev_b32_e32 v7, 2, v4
	ds_bpermute_b32 v4, v7, v3
	v_cmp_lt_i32_e32 vcc, v8, v12
	s_waitcnt lgkmcnt(0)
	v_max_f32_e32 v4, v4, v4
	v_max_f32_e32 v6, v3, v4
	v_cndmask_b32_e32 v3, v11, v8, vcc
	v_lshlrev_b32_e32 v9, 2, v3
	ds_bpermute_b32 v8, v9, v6
	v_and_b32_e32 v3, 63, v0
	v_cmp_eq_u32_e32 vcc, 0, v3
	v_lshlrev_b32_e32 v4, 2, v1
	s_and_saveexec_b64 s[0:1], vcc
	s_cbranch_execz .LBB231_14
; %bb.13:
	s_waitcnt lgkmcnt(0)
	v_max_f32_e32 v8, v8, v8
	v_max_f32_e32 v6, v6, v6
	;; [unrolled: 1-line block ×3, first 2 shown]
	ds_write_b32 v4, v6 offset:224
.LBB231_14:
	s_or_b64 exec, exec, s[0:1]
	v_cmp_gt_u32_e64 s[0:1], 2, v3
	v_mov_b32_e32 v13, 0xff7fffff
	v_lshlrev_b32_e32 v6, 2, v3
	s_waitcnt lgkmcnt(0)
	s_barrier
	s_and_saveexec_b64 s[8:9], s[0:1]
	s_cbranch_execz .LBB231_16
; %bb.15:
	ds_read_b32 v13, v6 offset:224
.LBB231_16:
	s_or_b64 exec, exec, s[8:9]
	v_xor_b32_e32 v8, 1, v11
	v_cmp_lt_i32_e64 s[8:9], v8, v12
	v_lshlrev_b32_e32 v15, 2, v11
	s_nop 0
	v_cndmask_b32_e64 v8, v11, v8, s[8:9]
	v_lshlrev_b32_e32 v8, 2, v8
	s_waitcnt lgkmcnt(0)
	ds_bpermute_b32 v14, v8, v13
	v_max_f32_e32 v13, v13, v13
	s_lshl_b32 s8, s33, 3
	s_min_i32 s34, s8, s21
	v_cmp_gt_i32_e64 s[8:9], s34, v0
	s_waitcnt lgkmcnt(0)
	v_max_f32_e32 v14, v14, v14
	v_max_f32_e32 v14, v13, v14
	v_and_b32_e32 v13, 0xffffff00, v15
	ds_bpermute_b32 v15, v13, v14
	v_mov_b32_e32 v14, 0
	s_and_saveexec_b64 s[12:13], s[8:9]
	s_cbranch_execz .LBB231_20
; %bb.17:
	v_mov_b32_e32 v14, 0xf0
	v_lshl_add_u32 v16, v0, 2, v14
	s_mov_b64 s[18:19], 0
	v_mov_b32_e32 v14, 0
	v_mov_b32_e32 v17, v0
.LBB231_18:                             ; =>This Inner Loop Header: Depth=1
	ds_read_b32 v18, v16
	v_add_u32_e32 v17, 0x80, v17
	v_cmp_le_i32_e64 s[10:11], s34, v17
	s_or_b64 s[18:19], s[10:11], s[18:19]
	s_waitcnt lgkmcnt(0)
	v_sub_f32_e32 v18, v18, v15
	v_mul_f32_e32 v18, 0x3fb8aa3b, v18
	v_exp_f32_e32 v18, v18
	ds_write_b32 v16, v18
	v_add_f32_e32 v14, v14, v18
	v_add_u32_e32 v16, 0x200, v16
	s_andn2_b64 exec, exec, s[18:19]
	s_cbranch_execnz .LBB231_18
; %bb.19:
	s_or_b64 exec, exec, s[18:19]
.LBB231_20:
	s_or_b64 exec, exec, s[12:13]
	ds_bpermute_b32 v5, v5, v14
	s_waitcnt lgkmcnt(0)
	v_add_f32_e32 v5, v14, v5
	ds_bpermute_b32 v7, v7, v5
	s_waitcnt lgkmcnt(0)
	v_add_f32_e32 v5, v5, v7
	ds_bpermute_b32 v7, v9, v5
	v_xor_b32_e32 v9, 4, v11
	v_cmp_lt_i32_e64 s[10:11], v9, v12
	s_waitcnt lgkmcnt(0)
	v_add_f32_e32 v5, v5, v7
	v_cndmask_b32_e64 v9, v11, v9, s[10:11]
	v_lshlrev_b32_e32 v9, 2, v9
	ds_bpermute_b32 v7, v9, v5
	v_xor_b32_e32 v9, 2, v11
	v_cmp_lt_i32_e64 s[10:11], v9, v12
	s_waitcnt lgkmcnt(0)
	v_add_f32_e32 v5, v5, v7
	v_cndmask_b32_e64 v9, v11, v9, s[10:11]
	v_lshlrev_b32_e32 v7, 2, v9
	ds_bpermute_b32 v7, v7, v5
	s_waitcnt lgkmcnt(0)
	v_add_f32_e32 v5, v5, v7
	ds_bpermute_b32 v7, v8, v5
	s_waitcnt lgkmcnt(0)
	v_add_f32_e32 v5, v5, v7
	s_and_saveexec_b64 s[10:11], vcc
	s_cbranch_execz .LBB231_22
; %bb.21:
	ds_write_b32 v4, v5 offset:232
.LBB231_22:
	s_or_b64 exec, exec, s[10:11]
	s_waitcnt lgkmcnt(0)
	s_barrier
	s_and_saveexec_b64 s[10:11], s[0:1]
	s_cbranch_execz .LBB231_24
; %bb.23:
	ds_read_b32 v5, v6 offset:232
.LBB231_24:
	s_or_b64 exec, exec, s[10:11]
	s_waitcnt lgkmcnt(0)
	ds_bpermute_b32 v4, v8, v5
	s_waitcnt lgkmcnt(0)
	v_add_f32_e32 v4, v5, v4
	ds_bpermute_b32 v4, v13, v4
	s_and_saveexec_b64 s[0:1], s[8:9]
	s_cbranch_execz .LBB231_37
; %bb.25:
	s_waitcnt lgkmcnt(0)
	v_add_f32_e32 v4, 0x358637bd, v4
	v_div_scale_f32 v5, s[8:9], v4, v4, 1.0
	v_rcp_f32_e32 v6, v5
	v_div_scale_f32 v7, vcc, 1.0, v4, 1.0
	s_movk_i32 s8, 0x7f
	v_fma_f32 v8, -v5, v6, 1.0
	v_fmac_f32_e32 v6, v8, v6
	v_mul_f32_e32 v8, v7, v6
	v_fma_f32 v9, -v5, v8, v7
	v_fmac_f32_e32 v8, v9, v6
	v_fma_f32 v5, -v5, v8, v7
	v_div_fmas_f32 v5, v5, v6, v8
	v_xad_u32 v6, v0, -1, s34
	v_div_fixup_f32 v4, v5, v4, 1.0
	v_cmp_lt_u32_e32 vcc, s8, v6
	s_mov_b64 s[10:11], -1
	v_mov_b32_e32 v5, v0
	s_and_saveexec_b64 s[8:9], vcc
	s_cbranch_execz .LBB231_34
; %bb.26:
	v_lshrrev_b32_e32 v6, 7, v6
	v_add_u32_e32 v8, -1, v6
	v_lshrrev_b32_e32 v7, 1, v8
	v_mov_b32_e32 v5, v4
	v_add_u32_e32 v7, 1, v7
	v_cmp_lt_u32_e32 vcc, 13, v8
	v_mov_b32_e32 v11, 0
	s_and_saveexec_b64 s[10:11], vcc
	s_cbranch_execz .LBB231_30
; %bb.27:
	v_mov_b32_e32 v9, 0xf0
	v_and_b32_e32 v8, -8, v7
	v_lshl_add_u32 v9, v0, 2, v9
	s_mov_b32 s18, 0
	s_mov_b64 s[12:13], 0
.LBB231_28:                             ; =>This Inner Loop Header: Depth=1
	ds_read2st64_b32 v[12:13], v9 offset1:2
	ds_read2st64_b32 v[14:15], v9 offset0:4 offset1:6
	ds_read2st64_b32 v[16:17], v9 offset0:8 offset1:10
	;; [unrolled: 1-line block ×3, first 2 shown]
	v_add_u32_e32 v8, -8, v8
	s_waitcnt lgkmcnt(3)
	v_pk_mul_f32 v[12:13], v[4:5], v[12:13]
	s_waitcnt lgkmcnt(2)
	v_pk_mul_f32 v[14:15], v[4:5], v[14:15]
	ds_write2st64_b32 v9, v12, v13 offset1:2
	ds_write2st64_b32 v9, v14, v15 offset0:4 offset1:6
	ds_read2st64_b32 v[14:15], v9 offset0:16 offset1:18
	s_waitcnt lgkmcnt(4)
	v_pk_mul_f32 v[12:13], v[4:5], v[16:17]
	ds_write2st64_b32 v9, v12, v13 offset0:8 offset1:10
	s_waitcnt lgkmcnt(4)
	v_pk_mul_f32 v[12:13], v[4:5], v[18:19]
	ds_write2st64_b32 v9, v12, v13 offset0:12 offset1:14
	ds_read2st64_b32 v[12:13], v9 offset0:20 offset1:22
	s_waitcnt lgkmcnt(3)
	v_pk_mul_f32 v[14:15], v[4:5], v[14:15]
	ds_read2st64_b32 v[16:17], v9 offset0:24 offset1:26
	ds_write2st64_b32 v9, v14, v15 offset0:16 offset1:18
	ds_read2st64_b32 v[14:15], v9 offset0:28 offset1:30
	s_waitcnt lgkmcnt(3)
	v_pk_mul_f32 v[12:13], v[4:5], v[12:13]
	ds_write2st64_b32 v9, v12, v13 offset0:20 offset1:22
	s_waitcnt lgkmcnt(3)
	v_pk_mul_f32 v[12:13], v[4:5], v[16:17]
	ds_write2st64_b32 v9, v12, v13 offset0:24 offset1:26
	s_waitcnt lgkmcnt(2)
	v_pk_mul_f32 v[12:13], v[4:5], v[14:15]
	s_add_i32 s18, s18, 16
	v_cmp_eq_u32_e32 vcc, 0, v8
	ds_write2st64_b32 v9, v12, v13 offset0:28 offset1:30
	v_add_u32_e32 v9, 0x2000, v9
	s_or_b64 s[12:13], vcc, s[12:13]
	v_mov_b32_e32 v11, s18
	s_andn2_b64 exec, exec, s[12:13]
	s_cbranch_execnz .LBB231_28
; %bb.29:
	s_or_b64 exec, exec, s[12:13]
.LBB231_30:
	s_or_b64 exec, exec, s[10:11]
	v_and_b32_e32 v7, 7, v7
	v_cmp_ne_u32_e32 vcc, 0, v7
	s_and_saveexec_b64 s[10:11], vcc
	s_cbranch_execz .LBB231_33
; %bb.31:
	v_lshlrev_b32_e32 v8, 9, v11
	v_lshlrev_b32_e32 v9, 2, v0
	s_movk_i32 s12, 0xf0
	v_add3_u32 v8, v8, v9, s12
	s_mov_b64 s[12:13], 0
.LBB231_32:                             ; =>This Inner Loop Header: Depth=1
	ds_read2st64_b32 v[12:13], v8 offset1:2
	v_add_u32_e32 v7, -1, v7
	v_cmp_eq_u32_e32 vcc, 0, v7
	s_or_b64 s[12:13], vcc, s[12:13]
	s_waitcnt lgkmcnt(0)
	v_pk_mul_f32 v[12:13], v[4:5], v[12:13]
	ds_write2st64_b32 v8, v12, v13 offset1:2
	v_add_u32_e32 v8, 0x400, v8
	s_andn2_b64 exec, exec, s[12:13]
	s_cbranch_execnz .LBB231_32
.LBB231_33:
	s_or_b64 exec, exec, s[10:11]
	v_add_u32_e32 v6, 1, v6
	v_and_b32_e32 v7, 0x3fffffe, v6
	v_cmp_ne_u32_e32 vcc, v6, v7
	v_lshl_add_u32 v5, v7, 7, v0
	s_orn2_b64 s[10:11], vcc, exec
.LBB231_34:
	s_or_b64 exec, exec, s[8:9]
	s_and_b64 exec, exec, s[10:11]
	s_cbranch_execz .LBB231_37
; %bb.35:
	v_mov_b32_e32 v6, 0xf0
	v_lshl_add_u32 v6, v5, 2, v6
	s_mov_b64 s[8:9], 0
.LBB231_36:                             ; =>This Inner Loop Header: Depth=1
	ds_read_b32 v7, v6
	v_add_u32_e32 v5, 0x80, v5
	v_cmp_le_i32_e32 vcc, s34, v5
	s_or_b64 s[8:9], vcc, s[8:9]
	s_waitcnt lgkmcnt(0)
	v_mul_f32_e32 v7, v4, v7
	ds_write_b32 v6, v7
	v_add_u32_e32 v6, 0x200, v6
	s_andn2_b64 exec, exec, s[8:9]
	s_cbranch_execnz .LBB231_36
.LBB231_37:
	s_or_b64 exec, exec, s[0:1]
	v_mov_b32_e32 v25, 0
	v_mov_b32_e32 v24, 0
	s_waitcnt lgkmcnt(0)
	s_barrier
	s_and_saveexec_b64 s[8:9], s[2:3]
	s_cbranch_execz .LBB231_175
; %bb.38:
	s_ashr_i32 s1, s16, 31
	s_add_u32 s0, s30, s16
	v_or_b32_e32 v6, 64, v3
	s_movk_i32 s2, 0x70
	s_addc_u32 s1, s31, s1
	s_add_i32 s30, s33, -1
	v_cmp_gt_u32_e32 vcc, s2, v6
	s_lshl_b64 s[2:3], s[28:29], 2
	v_lshlrev_b32_e32 v8, 3, v6
	v_mov_b32_e32 v6, 0xf0
	s_add_u32 s2, s26, s2
	v_mov_b32_e32 v7, 0
	v_lshl_add_u32 v27, v1, 5, v6
	v_and_b32_e32 v6, 60, v10
	s_addc_u32 s3, s27, s3
	s_mov_b32 s34, s17
	v_lshlrev_b32_e32 v4, 3, v3
	v_mov_b32_e32 v5, v7
	v_mov_b32_e32 v9, v7
	s_mov_b32 s31, s21
	v_lshlrev_b32_e32 v26, 3, v1
	v_lshl_add_u64 v[10:11], s[2:3], 0, v[6:7]
	s_mov_b64 s[10:11], 0
	v_mov_b64_e32 v[12:13], s[0:1]
	s_movk_i32 s28, 0x7f
	s_movk_i32 s29, 0x80
	s_mov_b32 s35, 0x8000
	s_movk_i32 s36, 0x380
	s_mov_b32 s37, 0x3020706
	s_mov_b32 s38, 0x1000504
	;; [unrolled: 1-line block ×3, first 2 shown]
	v_mov_b32_e32 v28, 0x1c00
	v_mov_b32_e32 v24, 0
	;; [unrolled: 1-line block ×3, first 2 shown]
	s_branch .LBB231_41
.LBB231_39:                             ;   in Loop: Header=BB231_41 Depth=1
	s_or_b64 exec, exec, s[16:17]
	;;#ASMSTART
	v_pk_mul_f16 v16, v32, v17;

	;;#ASMEND
	;;#ASMSTART
	v_pk_mul_f16 v6, v31, v6;

	;;#ASMEND
	;; [unrolled: 4-line block ×4, first 2 shown]
	s_nop 0
	;;#ASMSTART
	v_pk_add_f16 v6, v16, v6;

	;;#ASMEND
	s_nop 0
	;;#ASMSTART
	v_pk_add_f16 v6, v6, v15;

	;;#ASMEND
	;; [unrolled: 5-line block ×3, first 2 shown]
	s_nop 0
	v_lshrrev_b32_e32 v14, 16, v6
	v_and_b32_e32 v6, 0xffff, v6
	;;#ASMSTART
	v_cvt_f32_f16 v6, v6;
	;;#ASMEND
	;;#ASMSTART
	v_cvt_f32_f16 v14, v14;
	;;#ASMEND
	s_nop 0
	v_add_f32_e32 v6, v6, v14
	v_add_f32_e32 v24, v24, v6
.LBB231_40:                             ;   in Loop: Header=BB231_41 Depth=1
	s_or_b64 exec, exec, s[12:13]
	v_add_u32_e32 v1, 2, v1
	v_add_f32_e32 v6, v22, v23
	v_cmp_le_i32_e64 s[0:1], s33, v1
	v_add_f32_e32 v25, v25, v6
	v_add_u32_e32 v26, 16, v26
	v_add_u32_e32 v27, 64, v27
	s_or_b64 s[10:11], s[0:1], s[10:11]
	v_lshl_add_u64 v[10:11], v[10:11], 0, 8
	s_andn2_b64 exec, exec, s[10:11]
	s_cbranch_execz .LBB231_174
.LBB231_41:                             ; =>This Inner Loop Header: Depth=1
	ds_read2_b64 v[18:21], v27 offset1:1
	ds_read2_b64 v[34:37], v27 offset0:2 offset1:3
                                        ; implicit-def: $sgpr16
	s_waitcnt lgkmcnt(1)
	;;#ASMSTART
	v_cvt_f16_f32 v17, v18;

	;;#ASMEND
	;;#ASMSTART
	v_cvt_f16_f32 v29, v19;

	;;#ASMEND
	;; [unrolled: 4-line block ×4, first 2 shown]
	s_waitcnt lgkmcnt(0)
	;;#ASMSTART
	v_cvt_f16_f32 v33, v34;

	;;#ASMEND
	;;#ASMSTART
	v_cvt_f16_f32 v34, v35;

	;;#ASMEND
	;; [unrolled: 4-line block ×4, first 2 shown]
	global_load_dword v6, v[10:11], off
	s_waitcnt vmcnt(0)
	v_mad_i64_i32 v[14:15], s[0:1], v6, s34, v[12:13]
	v_lshl_add_u64 v[20:21], v[14:15], 0, v[4:5]
	global_load_dwordx2 v[18:19], v[20:21], off
	global_load_dword v16, v7, s[14:15]
	s_mov_b64 s[0:1], 0
	s_waitcnt vmcnt(1)
	v_cmp_gt_i16_sdwa s[2:3], v18, s28 src0_sel:BYTE_0 src1_sel:DWORD
	s_and_saveexec_b64 s[12:13], s[2:3]
	s_xor_b64 s[2:3], exec, s[12:13]
	s_cbranch_execnz .LBB231_110
; %bb.42:                               ;   in Loop: Header=BB231_41 Depth=1
	s_or_saveexec_b64 s[2:3], s[2:3]
	v_mov_b32_e32 v20, s16
	s_xor_b64 exec, exec, s[2:3]
	s_cbranch_execnz .LBB231_113
.LBB231_43:                             ;   in Loop: Header=BB231_41 Depth=1
	s_or_b64 exec, exec, s[2:3]
	s_and_saveexec_b64 s[2:3], s[0:1]
	s_cbranch_execz .LBB231_45
.LBB231_44:                             ;   in Loop: Header=BB231_41 Depth=1
	v_and_b32_e32 v6, 7, v18
	v_ffbh_u32_e32 v6, v6
	v_bfe_u32 v20, v18, 3, 4
	v_min_u32_e32 v6, 32, v6
	v_subrev_u32_e32 v21, 28, v6
	v_sub_u32_e32 v6, 29, v6
	v_cmp_eq_u32_e64 s[0:1], 0, v20
	s_nop 1
	v_cndmask_b32_e64 v6, v20, v6, s[0:1]
	v_cndmask_b32_e64 v20, 0, v21, s[0:1]
	v_lshlrev_b64 v[20:21], v20, v[18:19]
	v_lshlrev_b32_e32 v21, 8, v18
	v_lshl_add_u32 v6, v6, 10, v28
	v_lshlrev_b32_e32 v20, 7, v20
	v_and_or_b32 v6, v21, s35, v6
	v_and_or_b32 v6, v20, s36, v6
	v_cvt_f32_f16_e32 v20, v6
.LBB231_45:                             ;   in Loop: Header=BB231_41 Depth=1
	s_or_b64 exec, exec, s[2:3]
	v_lshrrev_b16_e32 v6, 8, v18
	v_cmp_lt_i16_e64 s[0:1], s28, v6
	s_mov_b64 s[2:3], 0
                                        ; implicit-def: $sgpr18
	s_and_saveexec_b64 s[12:13], s[0:1]
	s_xor_b64 s[12:13], exec, s[12:13]
	s_cbranch_execnz .LBB231_114
; %bb.46:                               ;   in Loop: Header=BB231_41 Depth=1
	s_or_saveexec_b64 s[12:13], s[12:13]
	v_mov_b32_e32 v22, s18
	s_xor_b64 exec, exec, s[12:13]
	s_cbranch_execnz .LBB231_117
.LBB231_47:                             ;   in Loop: Header=BB231_41 Depth=1
	s_or_b64 exec, exec, s[12:13]
	s_and_saveexec_b64 s[12:13], s[2:3]
	s_cbranch_execz .LBB231_49
.LBB231_48:                             ;   in Loop: Header=BB231_41 Depth=1
	v_and_b32_e32 v21, 7, v6
	v_ffbh_u32_e32 v22, v21
	v_min_u32_e32 v37, 32, v22
	v_subrev_u32_e32 v22, 28, v37
	v_bfe_u32 v32, v6, 3, 4
	v_lshlrev_b64 v[22:23], v22, v[6:7]
	v_sub_u32_e32 v23, 29, v37
	v_cmp_eq_u32_e64 s[0:1], 0, v32
	v_and_b32_e32 v22, 7, v22
	v_lshlrev_b32_e32 v6, 8, v6
	v_cndmask_b32_e64 v23, v32, v23, s[0:1]
	v_cndmask_b32_e64 v21, v21, v22, s[0:1]
	v_lshl_add_u32 v22, v23, 10, v28
	v_and_or_b32 v6, v6, s35, v22
	v_lshl_or_b32 v6, v21, 7, v6
	v_cvt_f32_f16_e32 v22, v6
.LBB231_49:                             ;   in Loop: Header=BB231_41 Depth=1
	s_or_b64 exec, exec, s[12:13]
	v_lshrrev_b32_e32 v6, 16, v18
	v_cmp_gt_i16_sdwa s[2:3], v6, s28 src0_sel:BYTE_0 src1_sel:DWORD
	s_mov_b64 s[0:1], 0
                                        ; implicit-def: $sgpr16
	s_and_saveexec_b64 s[12:13], s[2:3]
	s_xor_b64 s[2:3], exec, s[12:13]
	s_cbranch_execnz .LBB231_118
; %bb.50:                               ;   in Loop: Header=BB231_41 Depth=1
	s_or_saveexec_b64 s[2:3], s[2:3]
	v_mov_b32_e32 v21, s16
	s_xor_b64 exec, exec, s[2:3]
	s_cbranch_execnz .LBB231_121
.LBB231_51:                             ;   in Loop: Header=BB231_41 Depth=1
	s_or_b64 exec, exec, s[2:3]
	s_and_saveexec_b64 s[2:3], s[0:1]
	s_cbranch_execz .LBB231_53
.LBB231_52:                             ;   in Loop: Header=BB231_41 Depth=1
	v_bfe_u32 v21, v18, 16, 3
	v_ffbh_u32_e32 v32, v21
	v_bfe_u32 v23, v18, 19, 4
	v_min_u32_e32 v32, 32, v32
	v_subrev_u32_e32 v37, 28, v32
	v_sub_u32_e32 v32, 29, v32
	v_cmp_eq_u32_e64 s[0:1], 0, v23
	v_lshlrev_b64 v[38:39], v37, v[6:7]
	v_and_b32_e32 v37, 7, v38
	v_cndmask_b32_e64 v23, v23, v32, s[0:1]
	v_lshlrev_b32_e32 v6, 8, v6
	v_lshl_add_u32 v23, v23, 10, v28
	v_cndmask_b32_e64 v21, v21, v37, s[0:1]
	v_and_or_b32 v6, v6, s35, v23
	v_lshl_or_b32 v6, v21, 7, v6
	v_cvt_f32_f16_e32 v21, v6
.LBB231_53:                             ;   in Loop: Header=BB231_41 Depth=1
	s_or_b64 exec, exec, s[2:3]
	v_lshrrev_b32_e32 v6, 24, v18
	v_cmp_lt_i16_e64 s[0:1], s28, v6
	s_mov_b64 s[2:3], 0
                                        ; implicit-def: $sgpr18
	s_and_saveexec_b64 s[12:13], s[0:1]
	s_xor_b64 s[12:13], exec, s[12:13]
	s_cbranch_execnz .LBB231_122
; %bb.54:                               ;   in Loop: Header=BB231_41 Depth=1
	s_or_saveexec_b64 s[12:13], s[12:13]
	v_mov_b32_e32 v23, s18
	s_xor_b64 exec, exec, s[12:13]
	s_cbranch_execnz .LBB231_125
.LBB231_55:                             ;   in Loop: Header=BB231_41 Depth=1
	s_or_b64 exec, exec, s[12:13]
	s_and_saveexec_b64 s[12:13], s[2:3]
	s_cbranch_execz .LBB231_57
.LBB231_56:                             ;   in Loop: Header=BB231_41 Depth=1
	v_bfe_u32 v23, v18, 24, 3
	v_ffbh_u32_e32 v32, v23
	v_bfe_u32 v18, v18, 27, 4
	v_min_u32_e32 v32, 32, v32
	v_subrev_u32_e32 v37, 28, v32
	v_sub_u32_e32 v32, 29, v32
	v_cmp_eq_u32_e64 s[0:1], 0, v18
	v_lshlrev_b64 v[38:39], v37, v[6:7]
	v_and_b32_e32 v37, 7, v38
	v_cndmask_b32_e64 v18, v18, v32, s[0:1]
	v_lshlrev_b32_e32 v6, 8, v6
	v_lshl_add_u32 v18, v18, 10, v28
	v_cndmask_b32_e64 v23, v23, v37, s[0:1]
	v_and_or_b32 v6, v6, s35, v18
	v_lshl_or_b32 v6, v23, 7, v6
	v_cvt_f32_f16_e32 v23, v6
.LBB231_57:                             ;   in Loop: Header=BB231_41 Depth=1
	s_or_b64 exec, exec, s[12:13]
	v_cmp_gt_i16_sdwa s[2:3], v19, s28 src0_sel:BYTE_0 src1_sel:DWORD
	s_mov_b64 s[0:1], 0
                                        ; implicit-def: $sgpr16
	s_and_saveexec_b64 s[12:13], s[2:3]
	s_xor_b64 s[2:3], exec, s[12:13]
	s_cbranch_execnz .LBB231_126
; %bb.58:                               ;   in Loop: Header=BB231_41 Depth=1
	s_or_saveexec_b64 s[2:3], s[2:3]
	v_mov_b32_e32 v18, s16
	s_xor_b64 exec, exec, s[2:3]
	s_cbranch_execnz .LBB231_129
.LBB231_59:                             ;   in Loop: Header=BB231_41 Depth=1
	s_or_b64 exec, exec, s[2:3]
	v_mov_b32_e32 v6, v19
	s_and_saveexec_b64 s[2:3], s[0:1]
	s_cbranch_execz .LBB231_61
.LBB231_60:                             ;   in Loop: Header=BB231_41 Depth=1
	v_and_b32_e32 v18, 7, v19
	v_ffbh_u32_e32 v18, v18
	v_bfe_u32 v32, v19, 3, 4
	v_min_u32_e32 v18, 32, v18
	v_subrev_u32_e32 v37, 28, v18
	v_sub_u32_e32 v18, 29, v18
	v_cmp_eq_u32_e64 s[0:1], 0, v32
	s_nop 1
	v_cndmask_b32_e64 v18, v32, v18, s[0:1]
	v_cndmask_b32_e64 v32, 0, v37, s[0:1]
	v_lshlrev_b64 v[38:39], v32, v[6:7]
	v_lshlrev_b32_e32 v37, 8, v19
	v_lshl_add_u32 v18, v18, 10, v28
	v_lshlrev_b32_e32 v32, 7, v38
	v_and_or_b32 v18, v37, s35, v18
	v_and_or_b32 v18, v32, s36, v18
	v_cvt_f32_f16_e32 v18, v18
.LBB231_61:                             ;   in Loop: Header=BB231_41 Depth=1
	s_or_b64 exec, exec, s[2:3]
	v_lshrrev_b16_e32 v6, 8, v6
	v_cmp_lt_i16_e64 s[0:1], s28, v6
	s_mov_b64 s[2:3], 0
                                        ; implicit-def: $sgpr18
	s_and_saveexec_b64 s[12:13], s[0:1]
	s_xor_b64 s[12:13], exec, s[12:13]
	s_cbranch_execnz .LBB231_130
; %bb.62:                               ;   in Loop: Header=BB231_41 Depth=1
	s_or_saveexec_b64 s[12:13], s[12:13]
	v_mov_b32_e32 v32, s18
	s_xor_b64 exec, exec, s[12:13]
	s_cbranch_execnz .LBB231_133
.LBB231_63:                             ;   in Loop: Header=BB231_41 Depth=1
	s_or_b64 exec, exec, s[12:13]
	s_and_saveexec_b64 s[12:13], s[2:3]
	s_cbranch_execz .LBB231_65
.LBB231_64:                             ;   in Loop: Header=BB231_41 Depth=1
	v_and_b32_e32 v32, 7, v6
	v_ffbh_u32_e32 v38, v32
	v_min_u32_e32 v40, 32, v38
	v_subrev_u32_e32 v38, 28, v40
	v_bfe_u32 v37, v6, 3, 4
	v_lshlrev_b64 v[38:39], v38, v[6:7]
	v_sub_u32_e32 v39, 29, v40
	v_cmp_eq_u32_e64 s[0:1], 0, v37
	v_and_b32_e32 v38, 7, v38
	v_lshlrev_b32_e32 v6, 8, v6
	v_cndmask_b32_e64 v37, v37, v39, s[0:1]
	v_lshl_add_u32 v37, v37, 10, v28
	v_cndmask_b32_e64 v32, v32, v38, s[0:1]
	v_and_or_b32 v6, v6, s35, v37
	v_lshl_or_b32 v6, v32, 7, v6
	v_cvt_f32_f16_e32 v32, v6
.LBB231_65:                             ;   in Loop: Header=BB231_41 Depth=1
	s_or_b64 exec, exec, s[12:13]
	v_lshrrev_b32_e32 v6, 16, v19
	v_cmp_gt_i16_sdwa s[2:3], v6, s28 src0_sel:BYTE_0 src1_sel:DWORD
	s_mov_b64 s[0:1], 0
                                        ; implicit-def: $sgpr16
	s_and_saveexec_b64 s[12:13], s[2:3]
	s_xor_b64 s[2:3], exec, s[12:13]
	s_cbranch_execnz .LBB231_134
; %bb.66:                               ;   in Loop: Header=BB231_41 Depth=1
	s_or_saveexec_b64 s[2:3], s[2:3]
	v_mov_b32_e32 v37, s16
	s_xor_b64 exec, exec, s[2:3]
	s_cbranch_execnz .LBB231_137
.LBB231_67:                             ;   in Loop: Header=BB231_41 Depth=1
	s_or_b64 exec, exec, s[2:3]
	s_and_saveexec_b64 s[2:3], s[0:1]
	s_cbranch_execz .LBB231_69
.LBB231_68:                             ;   in Loop: Header=BB231_41 Depth=1
	v_bfe_u32 v37, v19, 16, 3
	v_ffbh_u32_e32 v38, v37
	v_min_u32_e32 v41, 32, v38
	v_subrev_u32_e32 v38, 28, v41
	v_bfe_u32 v40, v19, 19, 4
	v_lshlrev_b64 v[38:39], v38, v[6:7]
	v_sub_u32_e32 v39, 29, v41
	v_cmp_eq_u32_e64 s[0:1], 0, v40
	v_and_b32_e32 v38, 7, v38
	v_lshlrev_b32_e32 v6, 8, v6
	v_cndmask_b32_e64 v39, v40, v39, s[0:1]
	v_cndmask_b32_e64 v37, v37, v38, s[0:1]
	v_lshl_add_u32 v38, v39, 10, v28
	v_and_or_b32 v6, v6, s35, v38
	v_lshl_or_b32 v6, v37, 7, v6
	v_cvt_f32_f16_e32 v37, v6
.LBB231_69:                             ;   in Loop: Header=BB231_41 Depth=1
	s_or_b64 exec, exec, s[2:3]
	v_lshrrev_b32_e32 v6, 24, v19
	v_cmp_lt_i16_e64 s[0:1], s28, v6
	s_mov_b64 s[2:3], 0
                                        ; implicit-def: $sgpr18
	s_and_saveexec_b64 s[12:13], s[0:1]
	s_xor_b64 s[12:13], exec, s[12:13]
	s_cbranch_execnz .LBB231_138
; %bb.70:                               ;   in Loop: Header=BB231_41 Depth=1
	s_or_saveexec_b64 s[12:13], s[12:13]
	v_mov_b32_e32 v38, s18
	s_xor_b64 exec, exec, s[12:13]
	s_cbranch_execnz .LBB231_141
.LBB231_71:                             ;   in Loop: Header=BB231_41 Depth=1
	s_or_b64 exec, exec, s[12:13]
	s_and_saveexec_b64 s[12:13], s[2:3]
	s_cbranch_execz .LBB231_73
.LBB231_72:                             ;   in Loop: Header=BB231_41 Depth=1
	v_bfe_u32 v40, v19, 24, 3
	v_ffbh_u32_e32 v38, v40
	v_min_u32_e32 v41, 32, v38
	v_subrev_u32_e32 v38, 28, v41
	v_bfe_u32 v19, v19, 27, 4
	v_lshlrev_b64 v[38:39], v38, v[6:7]
	v_sub_u32_e32 v39, 29, v41
	v_cmp_eq_u32_e64 s[0:1], 0, v19
	v_and_b32_e32 v38, 7, v38
	v_lshlrev_b32_e32 v6, 8, v6
	v_cndmask_b32_e64 v19, v19, v39, s[0:1]
	v_lshl_add_u32 v19, v19, 10, v28
	v_cndmask_b32_e64 v38, v40, v38, s[0:1]
	v_and_or_b32 v6, v6, s35, v19
	v_lshl_or_b32 v6, v38, 7, v6
	v_cvt_f32_f16_e32 v38, v6
.LBB231_73:                             ;   in Loop: Header=BB231_41 Depth=1
	s_or_b64 exec, exec, s[12:13]
	s_waitcnt vmcnt(0)
	v_pk_mul_f32 v[22:23], v[16:17], v[22:23] op_sel_hi:[0,1]
	v_pk_mul_f32 v[20:21], v[16:17], v[20:21] op_sel_hi:[0,1]
	v_cvt_f16_f32_e32 v6, v23
	v_cvt_f16_f32_e32 v19, v22
	;; [unrolled: 1-line block ×4, first 2 shown]
	v_fma_mixlo_f16 v18, v16, v18, 0
	v_pack_b32_f16 v19, v19, v6
	v_cmp_eq_u32_e64 s[2:3], s30, v1
	v_pack_b32_f16 v20, v20, v21
	v_perm_b32 v6, v20, v19, s37
	v_perm_b32 v19, v20, v19, s38
	v_fma_mixlo_f16 v20, v16, v32, 0
	v_lshlrev_b32_e32 v20, 16, v20
	v_or_b32_sdwa v18, v20, v18 dst_sel:DWORD dst_unused:UNUSED_PAD src0_sel:DWORD src1_sel:WORD_0
	v_fma_mixlo_f16 v20, v16, v37, 0
	v_fma_mixlo_f16 v16, v16, v38, 0
	v_lshlrev_b32_e32 v16, 16, v16
	v_or_b32_sdwa v16, v16, v20 dst_sel:DWORD dst_unused:UNUSED_PAD src0_sel:DWORD src1_sel:WORD_0
	s_and_saveexec_b64 s[12:13], s[2:3]
	s_cbranch_execz .LBB231_75
; %bb.74:                               ;   in Loop: Header=BB231_41 Depth=1
	v_add_u32_e32 v21, 1, v26
	v_lshrrev_b32_e32 v22, 16, v19
	v_cmp_gt_i32_e64 s[0:1], s31, v21
	v_lshrrev_b32_e32 v23, 16, v6
	v_lshrrev_b32_e32 v16, 16, v16
	v_cndmask_b32_e64 v21, 0, v22, s[0:1]
	v_cmp_gt_i32_e64 s[0:1], s21, v26
	v_or_b32_e32 v22, 2, v26
	s_nop 0
	v_cndmask_b32_e64 v19, 0, v19, s[0:1]
	v_perm_b32 v19, v21, v19, s39
	v_or_b32_e32 v21, 3, v26
	v_cmp_gt_i32_e64 s[0:1], s31, v21
	s_nop 1
	v_cndmask_b32_e64 v21, 0, v23, s[0:1]
	v_cmp_gt_i32_e64 s[0:1], s21, v22
	v_or_b32_e32 v22, 4, v26
	v_lshrrev_b32_e32 v23, 16, v18
	v_cndmask_b32_e64 v6, 0, v6, s[0:1]
	v_perm_b32 v6, v21, v6, s39
	v_or_b32_e32 v21, 5, v26
	v_cmp_gt_i32_e64 s[0:1], s31, v21
	s_nop 1
	v_cndmask_b32_e64 v21, 0, v23, s[0:1]
	v_cmp_gt_i32_e64 s[0:1], s21, v22
	v_or_b32_e32 v22, 6, v26
	s_nop 0
	v_cndmask_b32_e64 v18, 0, v18, s[0:1]
	v_perm_b32 v18, v21, v18, s39
	v_or_b32_e32 v21, 7, v26
	v_cmp_gt_i32_e64 s[0:1], s31, v21
	s_nop 1
	v_cndmask_b32_e64 v16, 0, v16, s[0:1]
	v_cmp_gt_i32_e64 s[0:1], s21, v22
	s_nop 1
	v_cndmask_b32_e64 v20, 0, v20, s[0:1]
	v_perm_b32 v16, v16, v20, s39
.LBB231_75:                             ;   in Loop: Header=BB231_41 Depth=1
	s_or_b64 exec, exec, s[12:13]
	v_and_b32_e32 v17, 0xffff, v17
	v_lshl_or_b32 v32, v29, 16, v17
	v_and_b32_e32 v17, 0xffff, v30
	v_lshl_or_b32 v31, v31, 16, v17
	;; [unrolled: 2-line block ×4, first 2 shown]
	;;#ASMSTART
	v_pk_mul_f16 v17, v32, v19;

	;;#ASMEND
	;;#ASMSTART
	v_pk_mul_f16 v6, v31, v6;

	;;#ASMEND
	;; [unrolled: 4-line block ×4, first 2 shown]
	s_nop 0
	;;#ASMSTART
	v_pk_add_f16 v6, v17, v6;

	;;#ASMEND
	s_nop 0
	;;#ASMSTART
	v_pk_add_f16 v6, v6, v18;

	;;#ASMEND
	;; [unrolled: 5-line block ×3, first 2 shown]
	s_nop 0
	v_lshrrev_b32_e32 v16, 16, v6
	v_and_b32_e32 v6, 0xffff, v6
	;;#ASMSTART
	v_cvt_f32_f16 v22, v6;
	;;#ASMEND
	;;#ASMSTART
	v_cvt_f32_f16 v23, v16;
	;;#ASMEND
	s_and_saveexec_b64 s[12:13], vcc
	s_cbranch_execz .LBB231_40
; %bb.76:                               ;   in Loop: Header=BB231_41 Depth=1
	v_lshl_add_u64 v[18:19], v[14:15], 0, v[8:9]
	global_load_dwordx2 v[16:17], v[18:19], off
	global_load_dword v14, v7, s[14:15]
	s_mov_b64 s[0:1], 0
                                        ; implicit-def: $sgpr26
	s_waitcnt vmcnt(1)
	v_cmp_gt_i16_sdwa s[16:17], v16, s28 src0_sel:BYTE_0 src1_sel:DWORD
	s_and_saveexec_b64 s[18:19], s[16:17]
	s_xor_b64 s[16:17], exec, s[18:19]
	s_cbranch_execnz .LBB231_142
; %bb.77:                               ;   in Loop: Header=BB231_41 Depth=1
	s_or_saveexec_b64 s[16:17], s[16:17]
	v_mov_b32_e32 v18, s26
	s_xor_b64 exec, exec, s[16:17]
	s_cbranch_execnz .LBB231_145
.LBB231_78:                             ;   in Loop: Header=BB231_41 Depth=1
	s_or_b64 exec, exec, s[16:17]
	s_and_saveexec_b64 s[16:17], s[0:1]
	s_cbranch_execz .LBB231_80
.LBB231_79:                             ;   in Loop: Header=BB231_41 Depth=1
	v_and_b32_e32 v6, 7, v16
	v_ffbh_u32_e32 v6, v6
	v_bfe_u32 v15, v16, 3, 4
	v_min_u32_e32 v6, 32, v6
	v_subrev_u32_e32 v18, 28, v6
	v_sub_u32_e32 v6, 29, v6
	v_cmp_eq_u32_e64 s[0:1], 0, v15
	s_nop 1
	v_cndmask_b32_e64 v6, v15, v6, s[0:1]
	v_cndmask_b32_e64 v15, 0, v18, s[0:1]
	v_lshlrev_b64 v[18:19], v15, v[16:17]
	v_lshlrev_b32_e32 v15, 7, v18
	v_lshlrev_b32_e32 v18, 8, v16
	v_lshl_add_u32 v6, v6, 10, v28
	v_and_or_b32 v6, v18, s35, v6
	v_and_or_b32 v6, v15, s36, v6
	v_cvt_f32_f16_e32 v18, v6
.LBB231_80:                             ;   in Loop: Header=BB231_41 Depth=1
	s_or_b64 exec, exec, s[16:17]
	v_lshrrev_b16_e32 v6, 8, v16
	v_cmp_lt_i16_e64 s[0:1], s28, v6
	s_mov_b64 s[16:17], 0
                                        ; implicit-def: $sgpr40
	s_and_saveexec_b64 s[18:19], s[0:1]
	s_xor_b64 s[18:19], exec, s[18:19]
	s_cbranch_execnz .LBB231_146
; %bb.81:                               ;   in Loop: Header=BB231_41 Depth=1
	s_or_saveexec_b64 s[18:19], s[18:19]
	v_mov_b32_e32 v20, s40
	s_xor_b64 exec, exec, s[18:19]
	s_cbranch_execnz .LBB231_149
.LBB231_82:                             ;   in Loop: Header=BB231_41 Depth=1
	s_or_b64 exec, exec, s[18:19]
	s_and_saveexec_b64 s[18:19], s[16:17]
	s_cbranch_execz .LBB231_84
.LBB231_83:                             ;   in Loop: Header=BB231_41 Depth=1
	v_and_b32_e32 v15, 7, v6
	v_ffbh_u32_e32 v20, v15
	v_min_u32_e32 v33, 32, v20
	v_subrev_u32_e32 v20, 28, v33
	v_bfe_u32 v19, v6, 3, 4
	v_lshlrev_b64 v[20:21], v20, v[6:7]
	v_sub_u32_e32 v21, 29, v33
	v_cmp_eq_u32_e64 s[0:1], 0, v19
	v_and_b32_e32 v20, 7, v20
	v_lshlrev_b32_e32 v6, 8, v6
	v_cndmask_b32_e64 v19, v19, v21, s[0:1]
	v_lshl_add_u32 v19, v19, 10, v28
	v_cndmask_b32_e64 v15, v15, v20, s[0:1]
	v_and_or_b32 v6, v6, s35, v19
	v_lshl_or_b32 v6, v15, 7, v6
	v_cvt_f32_f16_e32 v20, v6
.LBB231_84:                             ;   in Loop: Header=BB231_41 Depth=1
	s_or_b64 exec, exec, s[18:19]
	v_lshrrev_b32_e32 v6, 16, v16
	v_cmp_gt_i16_sdwa s[16:17], v6, s28 src0_sel:BYTE_0 src1_sel:DWORD
	s_mov_b64 s[0:1], 0
                                        ; implicit-def: $sgpr26
	s_and_saveexec_b64 s[18:19], s[16:17]
	s_xor_b64 s[16:17], exec, s[18:19]
	s_cbranch_execnz .LBB231_150
; %bb.85:                               ;   in Loop: Header=BB231_41 Depth=1
	s_or_saveexec_b64 s[16:17], s[16:17]
	v_mov_b32_e32 v19, s26
	s_xor_b64 exec, exec, s[16:17]
	s_cbranch_execnz .LBB231_153
.LBB231_86:                             ;   in Loop: Header=BB231_41 Depth=1
	s_or_b64 exec, exec, s[16:17]
	s_and_saveexec_b64 s[16:17], s[0:1]
	s_cbranch_execz .LBB231_88
.LBB231_87:                             ;   in Loop: Header=BB231_41 Depth=1
	v_bfe_u32 v15, v16, 16, 3
	v_ffbh_u32_e32 v21, v15
	v_bfe_u32 v19, v16, 19, 4
	v_min_u32_e32 v21, 32, v21
	v_subrev_u32_e32 v33, 28, v21
	v_sub_u32_e32 v21, 29, v21
	v_cmp_eq_u32_e64 s[0:1], 0, v19
	v_lshlrev_b64 v[34:35], v33, v[6:7]
	v_and_b32_e32 v33, 7, v34
	v_cndmask_b32_e64 v19, v19, v21, s[0:1]
	v_lshlrev_b32_e32 v6, 8, v6
	v_lshl_add_u32 v19, v19, 10, v28
	v_cndmask_b32_e64 v15, v15, v33, s[0:1]
	v_and_or_b32 v6, v6, s35, v19
	v_lshl_or_b32 v6, v15, 7, v6
	v_cvt_f32_f16_e32 v19, v6
.LBB231_88:                             ;   in Loop: Header=BB231_41 Depth=1
	s_or_b64 exec, exec, s[16:17]
	v_lshrrev_b32_e32 v6, 24, v16
	v_cmp_lt_i16_e64 s[0:1], s28, v6
	s_mov_b64 s[16:17], 0
                                        ; implicit-def: $sgpr40
	s_and_saveexec_b64 s[18:19], s[0:1]
	s_xor_b64 s[18:19], exec, s[18:19]
	s_cbranch_execnz .LBB231_154
; %bb.89:                               ;   in Loop: Header=BB231_41 Depth=1
	s_or_saveexec_b64 s[18:19], s[18:19]
	v_mov_b32_e32 v21, s40
	s_xor_b64 exec, exec, s[18:19]
	s_cbranch_execnz .LBB231_157
.LBB231_90:                             ;   in Loop: Header=BB231_41 Depth=1
	s_or_b64 exec, exec, s[18:19]
	s_and_saveexec_b64 s[18:19], s[16:17]
	s_cbranch_execz .LBB231_92
.LBB231_91:                             ;   in Loop: Header=BB231_41 Depth=1
	v_bfe_u32 v15, v16, 24, 3
	v_ffbh_u32_e32 v21, v15
	v_bfe_u32 v16, v16, 27, 4
	v_min_u32_e32 v21, 32, v21
	v_subrev_u32_e32 v33, 28, v21
	v_sub_u32_e32 v21, 29, v21
	v_cmp_eq_u32_e64 s[0:1], 0, v16
	v_lshlrev_b64 v[34:35], v33, v[6:7]
	v_and_b32_e32 v33, 7, v34
	v_cndmask_b32_e64 v16, v16, v21, s[0:1]
	v_lshlrev_b32_e32 v6, 8, v6
	v_lshl_add_u32 v16, v16, 10, v28
	v_cndmask_b32_e64 v15, v15, v33, s[0:1]
	v_and_or_b32 v6, v6, s35, v16
	v_lshl_or_b32 v6, v15, 7, v6
	v_cvt_f32_f16_e32 v21, v6
.LBB231_92:                             ;   in Loop: Header=BB231_41 Depth=1
	s_or_b64 exec, exec, s[18:19]
	v_cmp_gt_i16_sdwa s[16:17], v17, s28 src0_sel:BYTE_0 src1_sel:DWORD
	s_mov_b64 s[0:1], 0
                                        ; implicit-def: $sgpr26
	s_and_saveexec_b64 s[18:19], s[16:17]
	s_xor_b64 s[16:17], exec, s[18:19]
	s_cbranch_execnz .LBB231_158
; %bb.93:                               ;   in Loop: Header=BB231_41 Depth=1
	s_or_saveexec_b64 s[16:17], s[16:17]
	v_mov_b32_e32 v15, s26
	s_xor_b64 exec, exec, s[16:17]
	s_cbranch_execnz .LBB231_161
.LBB231_94:                             ;   in Loop: Header=BB231_41 Depth=1
	s_or_b64 exec, exec, s[16:17]
	v_mov_b32_e32 v6, v17
	s_and_saveexec_b64 s[16:17], s[0:1]
	s_cbranch_execz .LBB231_96
.LBB231_95:                             ;   in Loop: Header=BB231_41 Depth=1
	v_and_b32_e32 v15, 7, v17
	v_ffbh_u32_e32 v15, v15
	v_bfe_u32 v16, v17, 3, 4
	v_min_u32_e32 v15, 32, v15
	v_subrev_u32_e32 v33, 28, v15
	v_sub_u32_e32 v15, 29, v15
	v_cmp_eq_u32_e64 s[0:1], 0, v16
	s_nop 1
	v_cndmask_b32_e64 v15, v16, v15, s[0:1]
	v_cndmask_b32_e64 v16, 0, v33, s[0:1]
	v_lshlrev_b64 v[34:35], v16, v[6:7]
	v_lshlrev_b32_e32 v33, 8, v17
	v_lshl_add_u32 v15, v15, 10, v28
	v_lshlrev_b32_e32 v16, 7, v34
	v_and_or_b32 v15, v33, s35, v15
	v_and_or_b32 v15, v16, s36, v15
	v_cvt_f32_f16_e32 v15, v15
.LBB231_96:                             ;   in Loop: Header=BB231_41 Depth=1
	s_or_b64 exec, exec, s[16:17]
	v_lshrrev_b16_e32 v6, 8, v6
	v_cmp_lt_i16_e64 s[0:1], s28, v6
	s_mov_b64 s[16:17], 0
                                        ; implicit-def: $sgpr40
	s_and_saveexec_b64 s[18:19], s[0:1]
	s_xor_b64 s[18:19], exec, s[18:19]
	s_cbranch_execnz .LBB231_162
; %bb.97:                               ;   in Loop: Header=BB231_41 Depth=1
	s_or_saveexec_b64 s[18:19], s[18:19]
	v_mov_b32_e32 v16, s40
	s_xor_b64 exec, exec, s[18:19]
	s_cbranch_execnz .LBB231_165
.LBB231_98:                             ;   in Loop: Header=BB231_41 Depth=1
	s_or_b64 exec, exec, s[18:19]
	s_and_saveexec_b64 s[18:19], s[16:17]
	s_cbranch_execz .LBB231_100
.LBB231_99:                             ;   in Loop: Header=BB231_41 Depth=1
	v_and_b32_e32 v16, 7, v6
	v_ffbh_u32_e32 v34, v16
	v_min_u32_e32 v36, 32, v34
	v_subrev_u32_e32 v34, 28, v36
	v_bfe_u32 v33, v6, 3, 4
	v_lshlrev_b64 v[34:35], v34, v[6:7]
	v_sub_u32_e32 v35, 29, v36
	v_cmp_eq_u32_e64 s[0:1], 0, v33
	v_and_b32_e32 v34, 7, v34
	v_lshlrev_b32_e32 v6, 8, v6
	v_cndmask_b32_e64 v33, v33, v35, s[0:1]
	v_lshl_add_u32 v33, v33, 10, v28
	v_cndmask_b32_e64 v16, v16, v34, s[0:1]
	v_and_or_b32 v6, v6, s35, v33
	v_lshl_or_b32 v6, v16, 7, v6
	v_cvt_f32_f16_e32 v16, v6
.LBB231_100:                            ;   in Loop: Header=BB231_41 Depth=1
	s_or_b64 exec, exec, s[18:19]
	v_lshrrev_b32_e32 v6, 16, v17
	v_cmp_gt_i16_sdwa s[16:17], v6, s28 src0_sel:BYTE_0 src1_sel:DWORD
	s_mov_b64 s[0:1], 0
                                        ; implicit-def: $sgpr26
	s_and_saveexec_b64 s[18:19], s[16:17]
	s_xor_b64 s[16:17], exec, s[18:19]
	s_cbranch_execnz .LBB231_166
; %bb.101:                              ;   in Loop: Header=BB231_41 Depth=1
	s_or_saveexec_b64 s[16:17], s[16:17]
	v_mov_b32_e32 v33, s26
	s_xor_b64 exec, exec, s[16:17]
	s_cbranch_execnz .LBB231_169
.LBB231_102:                            ;   in Loop: Header=BB231_41 Depth=1
	s_or_b64 exec, exec, s[16:17]
	s_and_saveexec_b64 s[16:17], s[0:1]
	s_cbranch_execz .LBB231_104
.LBB231_103:                            ;   in Loop: Header=BB231_41 Depth=1
	v_bfe_u32 v33, v17, 16, 3
	v_ffbh_u32_e32 v34, v33
	v_min_u32_e32 v37, 32, v34
	v_subrev_u32_e32 v34, 28, v37
	v_bfe_u32 v36, v17, 19, 4
	v_lshlrev_b64 v[34:35], v34, v[6:7]
	v_sub_u32_e32 v35, 29, v37
	v_cmp_eq_u32_e64 s[0:1], 0, v36
	v_and_b32_e32 v34, 7, v34
	v_lshlrev_b32_e32 v6, 8, v6
	v_cndmask_b32_e64 v35, v36, v35, s[0:1]
	v_cndmask_b32_e64 v33, v33, v34, s[0:1]
	v_lshl_add_u32 v34, v35, 10, v28
	v_and_or_b32 v6, v6, s35, v34
	v_lshl_or_b32 v6, v33, 7, v6
	v_cvt_f32_f16_e32 v33, v6
.LBB231_104:                            ;   in Loop: Header=BB231_41 Depth=1
	s_or_b64 exec, exec, s[16:17]
	v_lshrrev_b32_e32 v6, 24, v17
	v_cmp_lt_i16_e64 s[0:1], s28, v6
	s_mov_b64 s[16:17], 0
                                        ; implicit-def: $sgpr40
	s_and_saveexec_b64 s[18:19], s[0:1]
	s_xor_b64 s[18:19], exec, s[18:19]
	s_cbranch_execnz .LBB231_170
; %bb.105:                              ;   in Loop: Header=BB231_41 Depth=1
	s_or_saveexec_b64 s[18:19], s[18:19]
	v_mov_b32_e32 v34, s40
	s_xor_b64 exec, exec, s[18:19]
	s_cbranch_execnz .LBB231_173
.LBB231_106:                            ;   in Loop: Header=BB231_41 Depth=1
	s_or_b64 exec, exec, s[18:19]
	s_and_saveexec_b64 s[18:19], s[16:17]
	s_cbranch_execz .LBB231_108
.LBB231_107:                            ;   in Loop: Header=BB231_41 Depth=1
	v_bfe_u32 v36, v17, 24, 3
	v_ffbh_u32_e32 v34, v36
	v_min_u32_e32 v37, 32, v34
	v_subrev_u32_e32 v34, 28, v37
	v_bfe_u32 v17, v17, 27, 4
	v_lshlrev_b64 v[34:35], v34, v[6:7]
	v_sub_u32_e32 v35, 29, v37
	v_cmp_eq_u32_e64 s[0:1], 0, v17
	v_and_b32_e32 v34, 7, v34
	v_lshlrev_b32_e32 v6, 8, v6
	v_cndmask_b32_e64 v17, v17, v35, s[0:1]
	v_lshl_add_u32 v17, v17, 10, v28
	v_cndmask_b32_e64 v34, v36, v34, s[0:1]
	v_and_or_b32 v6, v6, s35, v17
	v_lshl_or_b32 v6, v34, 7, v6
	v_cvt_f32_f16_e32 v34, v6
.LBB231_108:                            ;   in Loop: Header=BB231_41 Depth=1
	s_or_b64 exec, exec, s[18:19]
	s_waitcnt vmcnt(0)
	v_pk_mul_f32 v[20:21], v[14:15], v[20:21] op_sel_hi:[0,1]
	v_pk_mul_f32 v[18:19], v[14:15], v[18:19] op_sel_hi:[0,1]
	v_cvt_f16_f32_e32 v6, v21
	v_cvt_f16_f32_e32 v17, v20
	;; [unrolled: 1-line block ×4, first 2 shown]
	v_fma_mixlo_f16 v16, v14, v16, 0
	v_lshlrev_b32_e32 v16, 16, v16
	v_fma_mixlo_f16 v15, v14, v15, 0
	v_or_b32_sdwa v15, v16, v15 dst_sel:DWORD dst_unused:UNUSED_PAD src0_sel:DWORD src1_sel:WORD_0
	v_fma_mixlo_f16 v16, v14, v33, 0
	v_fma_mixlo_f16 v14, v14, v34, 0
	v_pack_b32_f16 v17, v17, v6
	v_pack_b32_f16 v18, v18, v19
	v_lshlrev_b32_e32 v14, 16, v14
	v_perm_b32 v6, v18, v17, s37
	v_perm_b32 v17, v18, v17, s38
	v_or_b32_sdwa v14, v14, v16 dst_sel:DWORD dst_unused:UNUSED_PAD src0_sel:DWORD src1_sel:WORD_0
	s_and_saveexec_b64 s[16:17], s[2:3]
	s_cbranch_execz .LBB231_39
; %bb.109:                              ;   in Loop: Header=BB231_41 Depth=1
	v_add_u32_e32 v18, 1, v26
	v_lshrrev_b32_e32 v19, 16, v17
	v_cmp_gt_i32_e64 s[0:1], s31, v18
	v_lshrrev_b32_e32 v20, 16, v6
	v_lshrrev_b32_e32 v14, 16, v14
	v_cndmask_b32_e64 v18, 0, v19, s[0:1]
	v_cmp_gt_i32_e64 s[0:1], s21, v26
	v_or_b32_e32 v19, 2, v26
	s_nop 0
	v_cndmask_b32_e64 v17, 0, v17, s[0:1]
	v_perm_b32 v17, v18, v17, s39
	v_or_b32_e32 v18, 3, v26
	v_cmp_gt_i32_e64 s[0:1], s31, v18
	s_nop 1
	v_cndmask_b32_e64 v18, 0, v20, s[0:1]
	v_cmp_gt_i32_e64 s[0:1], s21, v19
	v_or_b32_e32 v19, 4, v26
	v_lshrrev_b32_e32 v20, 16, v15
	v_cndmask_b32_e64 v6, 0, v6, s[0:1]
	v_perm_b32 v6, v18, v6, s39
	v_or_b32_e32 v18, 5, v26
	v_cmp_gt_i32_e64 s[0:1], s31, v18
	s_nop 1
	v_cndmask_b32_e64 v18, 0, v20, s[0:1]
	v_cmp_gt_i32_e64 s[0:1], s21, v19
	v_or_b32_e32 v19, 6, v26
	s_nop 0
	v_cndmask_b32_e64 v15, 0, v15, s[0:1]
	v_perm_b32 v15, v18, v15, s39
	v_or_b32_e32 v18, 7, v26
	v_cmp_gt_i32_e64 s[0:1], s31, v18
	s_nop 1
	v_cndmask_b32_e64 v14, 0, v14, s[0:1]
	v_cmp_gt_i32_e64 s[0:1], s21, v19
	s_nop 1
	v_cndmask_b32_e64 v16, 0, v16, s[0:1]
	v_perm_b32 v14, v14, v16, s39
	s_branch .LBB231_39
.LBB231_110:                            ;   in Loop: Header=BB231_41 Depth=1
	v_cmp_eq_u16_sdwa s[18:19], v18, s29 src0_sel:BYTE_0 src1_sel:DWORD
	s_mov_b64 s[0:1], -1
                                        ; implicit-def: $sgpr16
	s_and_saveexec_b64 s[12:13], s[18:19]
; %bb.111:                              ;   in Loop: Header=BB231_41 Depth=1
	s_mov_b32 s16, 0x7fc02000
	s_xor_b64 s[0:1], exec, -1
; %bb.112:                              ;   in Loop: Header=BB231_41 Depth=1
	s_or_b64 exec, exec, s[12:13]
	s_and_b64 s[0:1], s[0:1], exec
	s_or_saveexec_b64 s[2:3], s[2:3]
	v_mov_b32_e32 v20, s16
	s_xor_b64 exec, exec, s[2:3]
	s_cbranch_execz .LBB231_43
.LBB231_113:                            ;   in Loop: Header=BB231_41 Depth=1
	v_cmp_ne_u16_sdwa s[12:13], v18, v7 src0_sel:BYTE_0 src1_sel:DWORD
	s_andn2_b64 s[0:1], s[0:1], exec
	s_and_b64 s[12:13], s[12:13], exec
	v_mov_b32_e32 v20, 0
	s_or_b64 s[0:1], s[0:1], s[12:13]
	s_or_b64 exec, exec, s[2:3]
	s_and_saveexec_b64 s[2:3], s[0:1]
	s_cbranch_execnz .LBB231_44
	s_branch .LBB231_45
.LBB231_114:                            ;   in Loop: Header=BB231_41 Depth=1
	v_cmp_eq_u16_e64 s[0:1], s29, v6
	s_mov_b64 s[2:3], -1
                                        ; implicit-def: $sgpr18
	s_and_saveexec_b64 s[16:17], s[0:1]
; %bb.115:                              ;   in Loop: Header=BB231_41 Depth=1
	s_mov_b32 s18, 0x7fc02000
	s_xor_b64 s[2:3], exec, -1
; %bb.116:                              ;   in Loop: Header=BB231_41 Depth=1
	s_or_b64 exec, exec, s[16:17]
	s_and_b64 s[2:3], s[2:3], exec
	s_or_saveexec_b64 s[12:13], s[12:13]
	v_mov_b32_e32 v22, s18
	s_xor_b64 exec, exec, s[12:13]
	s_cbranch_execz .LBB231_47
.LBB231_117:                            ;   in Loop: Header=BB231_41 Depth=1
	v_cmp_ne_u16_e64 s[0:1], 0, v6
	s_andn2_b64 s[2:3], s[2:3], exec
	s_and_b64 s[0:1], s[0:1], exec
	v_mov_b32_e32 v22, 0
	s_or_b64 s[2:3], s[2:3], s[0:1]
	s_or_b64 exec, exec, s[12:13]
	s_and_saveexec_b64 s[12:13], s[2:3]
	s_cbranch_execnz .LBB231_48
	s_branch .LBB231_49
.LBB231_118:                            ;   in Loop: Header=BB231_41 Depth=1
	v_cmp_eq_u16_sdwa s[18:19], v6, s29 src0_sel:BYTE_0 src1_sel:DWORD
	s_mov_b64 s[0:1], -1
                                        ; implicit-def: $sgpr16
	s_and_saveexec_b64 s[12:13], s[18:19]
; %bb.119:                              ;   in Loop: Header=BB231_41 Depth=1
	s_mov_b32 s16, 0x7fc02000
	s_xor_b64 s[0:1], exec, -1
; %bb.120:                              ;   in Loop: Header=BB231_41 Depth=1
	s_or_b64 exec, exec, s[12:13]
	s_and_b64 s[0:1], s[0:1], exec
	s_or_saveexec_b64 s[2:3], s[2:3]
	v_mov_b32_e32 v21, s16
	s_xor_b64 exec, exec, s[2:3]
	s_cbranch_execz .LBB231_51
.LBB231_121:                            ;   in Loop: Header=BB231_41 Depth=1
	v_cmp_ne_u16_sdwa s[12:13], v6, v7 src0_sel:BYTE_0 src1_sel:DWORD
	s_andn2_b64 s[0:1], s[0:1], exec
	s_and_b64 s[12:13], s[12:13], exec
	v_mov_b32_e32 v21, 0
	s_or_b64 s[0:1], s[0:1], s[12:13]
	s_or_b64 exec, exec, s[2:3]
	s_and_saveexec_b64 s[2:3], s[0:1]
	s_cbranch_execnz .LBB231_52
	s_branch .LBB231_53
.LBB231_122:                            ;   in Loop: Header=BB231_41 Depth=1
	v_cmp_eq_u16_e64 s[0:1], s29, v6
	s_mov_b64 s[2:3], -1
                                        ; implicit-def: $sgpr18
	s_and_saveexec_b64 s[16:17], s[0:1]
; %bb.123:                              ;   in Loop: Header=BB231_41 Depth=1
	s_mov_b32 s18, 0x7fc02000
	s_xor_b64 s[2:3], exec, -1
; %bb.124:                              ;   in Loop: Header=BB231_41 Depth=1
	s_or_b64 exec, exec, s[16:17]
	s_and_b64 s[2:3], s[2:3], exec
	s_or_saveexec_b64 s[12:13], s[12:13]
	v_mov_b32_e32 v23, s18
	s_xor_b64 exec, exec, s[12:13]
	s_cbranch_execz .LBB231_55
.LBB231_125:                            ;   in Loop: Header=BB231_41 Depth=1
	v_cmp_ne_u16_e64 s[0:1], 0, v6
	s_andn2_b64 s[2:3], s[2:3], exec
	s_and_b64 s[0:1], s[0:1], exec
	v_mov_b32_e32 v23, 0
	s_or_b64 s[2:3], s[2:3], s[0:1]
	s_or_b64 exec, exec, s[12:13]
	s_and_saveexec_b64 s[12:13], s[2:3]
	s_cbranch_execnz .LBB231_56
	s_branch .LBB231_57
.LBB231_126:                            ;   in Loop: Header=BB231_41 Depth=1
	v_cmp_eq_u16_sdwa s[18:19], v19, s29 src0_sel:BYTE_0 src1_sel:DWORD
	s_mov_b64 s[0:1], -1
                                        ; implicit-def: $sgpr16
	s_and_saveexec_b64 s[12:13], s[18:19]
; %bb.127:                              ;   in Loop: Header=BB231_41 Depth=1
	s_mov_b32 s16, 0x7fc02000
	s_xor_b64 s[0:1], exec, -1
; %bb.128:                              ;   in Loop: Header=BB231_41 Depth=1
	s_or_b64 exec, exec, s[12:13]
	s_and_b64 s[0:1], s[0:1], exec
	s_or_saveexec_b64 s[2:3], s[2:3]
	v_mov_b32_e32 v18, s16
	s_xor_b64 exec, exec, s[2:3]
	s_cbranch_execz .LBB231_59
.LBB231_129:                            ;   in Loop: Header=BB231_41 Depth=1
	v_cmp_ne_u16_sdwa s[12:13], v19, v7 src0_sel:BYTE_0 src1_sel:DWORD
	s_andn2_b64 s[0:1], s[0:1], exec
	s_and_b64 s[12:13], s[12:13], exec
	v_mov_b32_e32 v18, 0
	s_or_b64 s[0:1], s[0:1], s[12:13]
	s_or_b64 exec, exec, s[2:3]
	v_mov_b32_e32 v6, v19
	s_and_saveexec_b64 s[2:3], s[0:1]
	s_cbranch_execnz .LBB231_60
	s_branch .LBB231_61
.LBB231_130:                            ;   in Loop: Header=BB231_41 Depth=1
	v_cmp_eq_u16_e64 s[0:1], s29, v6
	s_mov_b64 s[2:3], -1
                                        ; implicit-def: $sgpr18
	s_and_saveexec_b64 s[16:17], s[0:1]
; %bb.131:                              ;   in Loop: Header=BB231_41 Depth=1
	s_mov_b32 s18, 0x7fc02000
	s_xor_b64 s[2:3], exec, -1
; %bb.132:                              ;   in Loop: Header=BB231_41 Depth=1
	s_or_b64 exec, exec, s[16:17]
	s_and_b64 s[2:3], s[2:3], exec
	s_or_saveexec_b64 s[12:13], s[12:13]
	v_mov_b32_e32 v32, s18
	s_xor_b64 exec, exec, s[12:13]
	s_cbranch_execz .LBB231_63
.LBB231_133:                            ;   in Loop: Header=BB231_41 Depth=1
	v_cmp_ne_u16_e64 s[0:1], 0, v6
	s_andn2_b64 s[2:3], s[2:3], exec
	s_and_b64 s[0:1], s[0:1], exec
	v_mov_b32_e32 v32, 0
	s_or_b64 s[2:3], s[2:3], s[0:1]
	s_or_b64 exec, exec, s[12:13]
	s_and_saveexec_b64 s[12:13], s[2:3]
	s_cbranch_execnz .LBB231_64
	s_branch .LBB231_65
.LBB231_134:                            ;   in Loop: Header=BB231_41 Depth=1
	v_cmp_eq_u16_sdwa s[18:19], v6, s29 src0_sel:BYTE_0 src1_sel:DWORD
	s_mov_b64 s[0:1], -1
                                        ; implicit-def: $sgpr16
	s_and_saveexec_b64 s[12:13], s[18:19]
; %bb.135:                              ;   in Loop: Header=BB231_41 Depth=1
	s_mov_b32 s16, 0x7fc02000
	s_xor_b64 s[0:1], exec, -1
; %bb.136:                              ;   in Loop: Header=BB231_41 Depth=1
	s_or_b64 exec, exec, s[12:13]
	s_and_b64 s[0:1], s[0:1], exec
	s_or_saveexec_b64 s[2:3], s[2:3]
	v_mov_b32_e32 v37, s16
	s_xor_b64 exec, exec, s[2:3]
	s_cbranch_execz .LBB231_67
.LBB231_137:                            ;   in Loop: Header=BB231_41 Depth=1
	v_cmp_ne_u16_sdwa s[12:13], v6, v7 src0_sel:BYTE_0 src1_sel:DWORD
	s_andn2_b64 s[0:1], s[0:1], exec
	s_and_b64 s[12:13], s[12:13], exec
	v_mov_b32_e32 v37, 0
	s_or_b64 s[0:1], s[0:1], s[12:13]
	s_or_b64 exec, exec, s[2:3]
	s_and_saveexec_b64 s[2:3], s[0:1]
	s_cbranch_execnz .LBB231_68
	s_branch .LBB231_69
.LBB231_138:                            ;   in Loop: Header=BB231_41 Depth=1
	v_cmp_eq_u16_e64 s[0:1], s29, v6
	s_mov_b64 s[2:3], -1
                                        ; implicit-def: $sgpr18
	s_and_saveexec_b64 s[16:17], s[0:1]
; %bb.139:                              ;   in Loop: Header=BB231_41 Depth=1
	s_mov_b32 s18, 0x7fc02000
	s_xor_b64 s[2:3], exec, -1
; %bb.140:                              ;   in Loop: Header=BB231_41 Depth=1
	s_or_b64 exec, exec, s[16:17]
	s_and_b64 s[2:3], s[2:3], exec
	s_or_saveexec_b64 s[12:13], s[12:13]
	v_mov_b32_e32 v38, s18
	s_xor_b64 exec, exec, s[12:13]
	s_cbranch_execz .LBB231_71
.LBB231_141:                            ;   in Loop: Header=BB231_41 Depth=1
	v_cmp_ne_u16_e64 s[0:1], 0, v6
	s_andn2_b64 s[2:3], s[2:3], exec
	s_and_b64 s[0:1], s[0:1], exec
	v_mov_b32_e32 v38, 0
	s_or_b64 s[2:3], s[2:3], s[0:1]
	s_or_b64 exec, exec, s[12:13]
	s_and_saveexec_b64 s[12:13], s[2:3]
	s_cbranch_execnz .LBB231_72
	s_branch .LBB231_73
.LBB231_142:                            ;   in Loop: Header=BB231_41 Depth=1
	v_cmp_eq_u16_sdwa s[40:41], v16, s29 src0_sel:BYTE_0 src1_sel:DWORD
	s_mov_b64 s[0:1], -1
                                        ; implicit-def: $sgpr26
	s_and_saveexec_b64 s[18:19], s[40:41]
; %bb.143:                              ;   in Loop: Header=BB231_41 Depth=1
	s_mov_b32 s26, 0x7fc02000
	s_xor_b64 s[0:1], exec, -1
; %bb.144:                              ;   in Loop: Header=BB231_41 Depth=1
	s_or_b64 exec, exec, s[18:19]
	s_and_b64 s[0:1], s[0:1], exec
	s_or_saveexec_b64 s[16:17], s[16:17]
	v_mov_b32_e32 v18, s26
	s_xor_b64 exec, exec, s[16:17]
	s_cbranch_execz .LBB231_78
.LBB231_145:                            ;   in Loop: Header=BB231_41 Depth=1
	v_cmp_ne_u16_sdwa s[18:19], v16, v7 src0_sel:BYTE_0 src1_sel:DWORD
	s_andn2_b64 s[0:1], s[0:1], exec
	s_and_b64 s[18:19], s[18:19], exec
	v_mov_b32_e32 v18, 0
	s_or_b64 s[0:1], s[0:1], s[18:19]
	s_or_b64 exec, exec, s[16:17]
	s_and_saveexec_b64 s[16:17], s[0:1]
	s_cbranch_execnz .LBB231_79
	s_branch .LBB231_80
.LBB231_146:                            ;   in Loop: Header=BB231_41 Depth=1
	v_cmp_eq_u16_e64 s[0:1], s29, v6
	s_mov_b64 s[16:17], -1
                                        ; implicit-def: $sgpr40
	s_and_saveexec_b64 s[26:27], s[0:1]
; %bb.147:                              ;   in Loop: Header=BB231_41 Depth=1
	s_mov_b32 s40, 0x7fc02000
	s_xor_b64 s[16:17], exec, -1
; %bb.148:                              ;   in Loop: Header=BB231_41 Depth=1
	s_or_b64 exec, exec, s[26:27]
	s_and_b64 s[16:17], s[16:17], exec
	s_or_saveexec_b64 s[18:19], s[18:19]
	v_mov_b32_e32 v20, s40
	s_xor_b64 exec, exec, s[18:19]
	s_cbranch_execz .LBB231_82
.LBB231_149:                            ;   in Loop: Header=BB231_41 Depth=1
	v_cmp_ne_u16_e64 s[0:1], 0, v6
	s_andn2_b64 s[16:17], s[16:17], exec
	s_and_b64 s[0:1], s[0:1], exec
	v_mov_b32_e32 v20, 0
	s_or_b64 s[16:17], s[16:17], s[0:1]
	s_or_b64 exec, exec, s[18:19]
	s_and_saveexec_b64 s[18:19], s[16:17]
	s_cbranch_execnz .LBB231_83
	s_branch .LBB231_84
.LBB231_150:                            ;   in Loop: Header=BB231_41 Depth=1
	v_cmp_eq_u16_sdwa s[40:41], v6, s29 src0_sel:BYTE_0 src1_sel:DWORD
	s_mov_b64 s[0:1], -1
                                        ; implicit-def: $sgpr26
	s_and_saveexec_b64 s[18:19], s[40:41]
; %bb.151:                              ;   in Loop: Header=BB231_41 Depth=1
	s_mov_b32 s26, 0x7fc02000
	s_xor_b64 s[0:1], exec, -1
; %bb.152:                              ;   in Loop: Header=BB231_41 Depth=1
	s_or_b64 exec, exec, s[18:19]
	s_and_b64 s[0:1], s[0:1], exec
	s_or_saveexec_b64 s[16:17], s[16:17]
	v_mov_b32_e32 v19, s26
	s_xor_b64 exec, exec, s[16:17]
	s_cbranch_execz .LBB231_86
.LBB231_153:                            ;   in Loop: Header=BB231_41 Depth=1
	v_cmp_ne_u16_sdwa s[18:19], v6, v7 src0_sel:BYTE_0 src1_sel:DWORD
	s_andn2_b64 s[0:1], s[0:1], exec
	s_and_b64 s[18:19], s[18:19], exec
	v_mov_b32_e32 v19, 0
	s_or_b64 s[0:1], s[0:1], s[18:19]
	s_or_b64 exec, exec, s[16:17]
	s_and_saveexec_b64 s[16:17], s[0:1]
	s_cbranch_execnz .LBB231_87
	s_branch .LBB231_88
.LBB231_154:                            ;   in Loop: Header=BB231_41 Depth=1
	v_cmp_eq_u16_e64 s[0:1], s29, v6
	s_mov_b64 s[16:17], -1
                                        ; implicit-def: $sgpr40
	s_and_saveexec_b64 s[26:27], s[0:1]
; %bb.155:                              ;   in Loop: Header=BB231_41 Depth=1
	s_mov_b32 s40, 0x7fc02000
	s_xor_b64 s[16:17], exec, -1
; %bb.156:                              ;   in Loop: Header=BB231_41 Depth=1
	s_or_b64 exec, exec, s[26:27]
	s_and_b64 s[16:17], s[16:17], exec
	s_or_saveexec_b64 s[18:19], s[18:19]
	v_mov_b32_e32 v21, s40
	s_xor_b64 exec, exec, s[18:19]
	s_cbranch_execz .LBB231_90
.LBB231_157:                            ;   in Loop: Header=BB231_41 Depth=1
	v_cmp_ne_u16_e64 s[0:1], 0, v6
	s_andn2_b64 s[16:17], s[16:17], exec
	s_and_b64 s[0:1], s[0:1], exec
	v_mov_b32_e32 v21, 0
	s_or_b64 s[16:17], s[16:17], s[0:1]
	s_or_b64 exec, exec, s[18:19]
	s_and_saveexec_b64 s[18:19], s[16:17]
	s_cbranch_execnz .LBB231_91
	s_branch .LBB231_92
.LBB231_158:                            ;   in Loop: Header=BB231_41 Depth=1
	v_cmp_eq_u16_sdwa s[40:41], v17, s29 src0_sel:BYTE_0 src1_sel:DWORD
	s_mov_b64 s[0:1], -1
                                        ; implicit-def: $sgpr26
	s_and_saveexec_b64 s[18:19], s[40:41]
; %bb.159:                              ;   in Loop: Header=BB231_41 Depth=1
	s_mov_b32 s26, 0x7fc02000
	s_xor_b64 s[0:1], exec, -1
; %bb.160:                              ;   in Loop: Header=BB231_41 Depth=1
	s_or_b64 exec, exec, s[18:19]
	s_and_b64 s[0:1], s[0:1], exec
	s_or_saveexec_b64 s[16:17], s[16:17]
	v_mov_b32_e32 v15, s26
	s_xor_b64 exec, exec, s[16:17]
	s_cbranch_execz .LBB231_94
.LBB231_161:                            ;   in Loop: Header=BB231_41 Depth=1
	v_cmp_ne_u16_sdwa s[18:19], v17, v7 src0_sel:BYTE_0 src1_sel:DWORD
	s_andn2_b64 s[0:1], s[0:1], exec
	s_and_b64 s[18:19], s[18:19], exec
	v_mov_b32_e32 v15, 0
	s_or_b64 s[0:1], s[0:1], s[18:19]
	s_or_b64 exec, exec, s[16:17]
	v_mov_b32_e32 v6, v17
	s_and_saveexec_b64 s[16:17], s[0:1]
	s_cbranch_execnz .LBB231_95
	s_branch .LBB231_96
.LBB231_162:                            ;   in Loop: Header=BB231_41 Depth=1
	v_cmp_eq_u16_e64 s[0:1], s29, v6
	s_mov_b64 s[16:17], -1
                                        ; implicit-def: $sgpr40
	s_and_saveexec_b64 s[26:27], s[0:1]
; %bb.163:                              ;   in Loop: Header=BB231_41 Depth=1
	s_mov_b32 s40, 0x7fc02000
	s_xor_b64 s[16:17], exec, -1
; %bb.164:                              ;   in Loop: Header=BB231_41 Depth=1
	s_or_b64 exec, exec, s[26:27]
	s_and_b64 s[16:17], s[16:17], exec
	s_or_saveexec_b64 s[18:19], s[18:19]
	v_mov_b32_e32 v16, s40
	s_xor_b64 exec, exec, s[18:19]
	s_cbranch_execz .LBB231_98
.LBB231_165:                            ;   in Loop: Header=BB231_41 Depth=1
	v_cmp_ne_u16_e64 s[0:1], 0, v6
	s_andn2_b64 s[16:17], s[16:17], exec
	s_and_b64 s[0:1], s[0:1], exec
	v_mov_b32_e32 v16, 0
	s_or_b64 s[16:17], s[16:17], s[0:1]
	s_or_b64 exec, exec, s[18:19]
	s_and_saveexec_b64 s[18:19], s[16:17]
	s_cbranch_execnz .LBB231_99
	s_branch .LBB231_100
.LBB231_166:                            ;   in Loop: Header=BB231_41 Depth=1
	v_cmp_eq_u16_sdwa s[40:41], v6, s29 src0_sel:BYTE_0 src1_sel:DWORD
	s_mov_b64 s[0:1], -1
                                        ; implicit-def: $sgpr26
	s_and_saveexec_b64 s[18:19], s[40:41]
; %bb.167:                              ;   in Loop: Header=BB231_41 Depth=1
	s_mov_b32 s26, 0x7fc02000
	s_xor_b64 s[0:1], exec, -1
; %bb.168:                              ;   in Loop: Header=BB231_41 Depth=1
	s_or_b64 exec, exec, s[18:19]
	s_and_b64 s[0:1], s[0:1], exec
	s_or_saveexec_b64 s[16:17], s[16:17]
	v_mov_b32_e32 v33, s26
	s_xor_b64 exec, exec, s[16:17]
	s_cbranch_execz .LBB231_102
.LBB231_169:                            ;   in Loop: Header=BB231_41 Depth=1
	v_cmp_ne_u16_sdwa s[18:19], v6, v7 src0_sel:BYTE_0 src1_sel:DWORD
	s_andn2_b64 s[0:1], s[0:1], exec
	s_and_b64 s[18:19], s[18:19], exec
	v_mov_b32_e32 v33, 0
	s_or_b64 s[0:1], s[0:1], s[18:19]
	s_or_b64 exec, exec, s[16:17]
	s_and_saveexec_b64 s[16:17], s[0:1]
	s_cbranch_execnz .LBB231_103
	s_branch .LBB231_104
.LBB231_170:                            ;   in Loop: Header=BB231_41 Depth=1
	v_cmp_eq_u16_e64 s[0:1], s29, v6
	s_mov_b64 s[16:17], -1
                                        ; implicit-def: $sgpr40
	s_and_saveexec_b64 s[26:27], s[0:1]
; %bb.171:                              ;   in Loop: Header=BB231_41 Depth=1
	s_mov_b32 s40, 0x7fc02000
	s_xor_b64 s[16:17], exec, -1
; %bb.172:                              ;   in Loop: Header=BB231_41 Depth=1
	s_or_b64 exec, exec, s[26:27]
	s_and_b64 s[16:17], s[16:17], exec
	s_or_saveexec_b64 s[18:19], s[18:19]
	v_mov_b32_e32 v34, s40
	s_xor_b64 exec, exec, s[18:19]
	s_cbranch_execz .LBB231_106
.LBB231_173:                            ;   in Loop: Header=BB231_41 Depth=1
	v_cmp_ne_u16_e64 s[0:1], 0, v6
	s_andn2_b64 s[16:17], s[16:17], exec
	s_and_b64 s[0:1], s[0:1], exec
	v_mov_b32_e32 v34, 0
	s_or_b64 s[16:17], s[16:17], s[0:1]
	s_or_b64 exec, exec, s[18:19]
	s_and_saveexec_b64 s[18:19], s[16:17]
	s_cbranch_execnz .LBB231_107
	s_branch .LBB231_108
.LBB231_174:
	s_or_b64 exec, exec, s[10:11]
.LBB231_175:
	s_or_b64 exec, exec, s[8:9]
	v_and_b32_e32 v1, 0x3c0, v0
	v_cmp_eq_u32_e32 vcc, 64, v1
	s_barrier
	s_and_saveexec_b64 s[0:1], vcc
	s_cbranch_execz .LBB231_178
; %bb.176:
	v_mov_b32_e32 v1, 0xf0
	v_lshl_add_u32 v3, v3, 2, v1
	ds_write_b32 v3, v25
	s_and_b64 exec, exec, s[6:7]
	s_cbranch_execz .LBB231_178
; %bb.177:
	v_lshl_add_u32 v1, v0, 2, v1
	ds_write_b32 v1, v24
.LBB231_178:
	s_or_b64 exec, exec, s[0:1]
	v_cmp_gt_u32_e32 vcc, 64, v0
	v_or_b32_e32 v1, 64, v0
	s_waitcnt lgkmcnt(0)
	s_barrier
	s_and_saveexec_b64 s[2:3], vcc
	s_cbranch_execz .LBB231_182
; %bb.179:
	v_mov_b32_e32 v3, 0xf0
	v_lshl_add_u32 v3, v0, 2, v3
	ds_read_b32 v0, v3
	s_movk_i32 s0, 0x70
	v_cmp_gt_u32_e64 s[0:1], s0, v1
	s_and_saveexec_b64 s[6:7], s[0:1]
	s_cbranch_execz .LBB231_181
; %bb.180:
	ds_read_b32 v3, v3 offset:256
	s_waitcnt lgkmcnt(0)
	v_add_f32_e32 v24, v24, v3
.LBB231_181:
	s_or_b64 exec, exec, s[6:7]
	s_waitcnt lgkmcnt(0)
	v_add_f32_e32 v25, v25, v0
.LBB231_182:
	s_or_b64 exec, exec, s[2:3]
	s_barrier
	s_and_saveexec_b64 s[0:1], vcc
	s_cbranch_execz .LBB231_185
; %bb.183:
	s_mul_i32 s0, s20, s23
	s_mul_i32 s0, s0, s5
	s_mulk_i32 s0, 0x70
	s_ashr_i32 s1, s0, 31
	s_lshl_b64 s[0:1], s[0:1], 1
	s_add_u32 s3, s24, s0
	s_mul_i32 s0, s23, s22
	s_addc_u32 s5, s25, s1
	s_ashr_i32 s1, s0, 31
	s_lshl_b64 s[0:1], s[0:1], 1
	s_add_u32 s3, s3, s0
	s_mul_i32 s0, s4, 0x70
	s_addc_u32 s5, s5, s1
	s_ashr_i32 s1, s0, 31
	s_lshl_b64 s[0:1], s[0:1], 1
	s_movk_i32 s2, 0x70
	s_add_u32 s0, s3, s0
	s_addc_u32 s1, s5, s1
	v_cmp_gt_u32_e32 vcc, s2, v1
	;;#ASMSTART
	v_cvt_f16_f32 v0, v25;

	;;#ASMEND
	global_store_short v2, v0, s[0:1]
	s_and_b64 exec, exec, vcc
	s_cbranch_execz .LBB231_185
; %bb.184:
	v_mov_b32_e32 v3, 0
	v_lshl_add_u64 v[0:1], s[0:1], 0, v[2:3]
	;;#ASMSTART
	v_cvt_f16_f32 v2, v24;

	;;#ASMEND
	global_store_short v[0:1], v2, off offset:128
.LBB231_185:
	s_endpgm
	.section	.rodata,"a",@progbits
	.p2align	6, 0x0
	.amdhsa_kernel _ZN4vllm25paged_attention_v1_kernelIthLi112ELi8ELi128ELNS_18Fp8KVCacheDataTypeE1ELb0EEEvPT_PKS2_PKT0_S8_ifPKiSA_iPKfiiiSC_SC_iiiii
		.amdhsa_group_segment_fixed_size 240
		.amdhsa_private_segment_fixed_size 0
		.amdhsa_kernarg_size 384
		.amdhsa_user_sgpr_count 2
		.amdhsa_user_sgpr_dispatch_ptr 0
		.amdhsa_user_sgpr_queue_ptr 0
		.amdhsa_user_sgpr_kernarg_segment_ptr 1
		.amdhsa_user_sgpr_dispatch_id 0
		.amdhsa_user_sgpr_kernarg_preload_length 0
		.amdhsa_user_sgpr_kernarg_preload_offset 0
		.amdhsa_user_sgpr_private_segment_size 0
		.amdhsa_uses_dynamic_stack 0
		.amdhsa_enable_private_segment 0
		.amdhsa_system_sgpr_workgroup_id_x 1
		.amdhsa_system_sgpr_workgroup_id_y 1
		.amdhsa_system_sgpr_workgroup_id_z 1
		.amdhsa_system_sgpr_workgroup_info 0
		.amdhsa_system_vgpr_workitem_id 0
		.amdhsa_next_free_vgpr 46
		.amdhsa_next_free_sgpr 42
		.amdhsa_accum_offset 48
		.amdhsa_reserve_vcc 1
		.amdhsa_float_round_mode_32 0
		.amdhsa_float_round_mode_16_64 0
		.amdhsa_float_denorm_mode_32 3
		.amdhsa_float_denorm_mode_16_64 3
		.amdhsa_dx10_clamp 1
		.amdhsa_ieee_mode 1
		.amdhsa_fp16_overflow 0
		.amdhsa_tg_split 0
		.amdhsa_exception_fp_ieee_invalid_op 0
		.amdhsa_exception_fp_denorm_src 0
		.amdhsa_exception_fp_ieee_div_zero 0
		.amdhsa_exception_fp_ieee_overflow 0
		.amdhsa_exception_fp_ieee_underflow 0
		.amdhsa_exception_fp_ieee_inexact 0
		.amdhsa_exception_int_div_zero 0
	.end_amdhsa_kernel
	.section	.text._ZN4vllm25paged_attention_v1_kernelIthLi112ELi8ELi128ELNS_18Fp8KVCacheDataTypeE1ELb0EEEvPT_PKS2_PKT0_S8_ifPKiSA_iPKfiiiSC_SC_iiiii,"axG",@progbits,_ZN4vllm25paged_attention_v1_kernelIthLi112ELi8ELi128ELNS_18Fp8KVCacheDataTypeE1ELb0EEEvPT_PKS2_PKT0_S8_ifPKiSA_iPKfiiiSC_SC_iiiii,comdat
.Lfunc_end231:
	.size	_ZN4vllm25paged_attention_v1_kernelIthLi112ELi8ELi128ELNS_18Fp8KVCacheDataTypeE1ELb0EEEvPT_PKS2_PKT0_S8_ifPKiSA_iPKfiiiSC_SC_iiiii, .Lfunc_end231-_ZN4vllm25paged_attention_v1_kernelIthLi112ELi8ELi128ELNS_18Fp8KVCacheDataTypeE1ELb0EEEvPT_PKS2_PKT0_S8_ifPKiSA_iPKfiiiSC_SC_iiiii
                                        ; -- End function
	.section	.AMDGPU.csdata,"",@progbits
; Kernel info:
; codeLenInByte = 9136
; NumSgprs: 48
; NumVgprs: 46
; NumAgprs: 0
; TotalNumVgprs: 46
; ScratchSize: 0
; MemoryBound: 0
; FloatMode: 240
; IeeeMode: 1
; LDSByteSize: 240 bytes/workgroup (compile time only)
; SGPRBlocks: 5
; VGPRBlocks: 5
; NumSGPRsForWavesPerEU: 48
; NumVGPRsForWavesPerEU: 46
; AccumOffset: 48
; Occupancy: 8
; WaveLimiterHint : 1
; COMPUTE_PGM_RSRC2:SCRATCH_EN: 0
; COMPUTE_PGM_RSRC2:USER_SGPR: 2
; COMPUTE_PGM_RSRC2:TRAP_HANDLER: 0
; COMPUTE_PGM_RSRC2:TGID_X_EN: 1
; COMPUTE_PGM_RSRC2:TGID_Y_EN: 1
; COMPUTE_PGM_RSRC2:TGID_Z_EN: 1
; COMPUTE_PGM_RSRC2:TIDIG_COMP_CNT: 0
; COMPUTE_PGM_RSRC3_GFX90A:ACCUM_OFFSET: 11
; COMPUTE_PGM_RSRC3_GFX90A:TG_SPLIT: 0
	.section	.text._ZN4vllm25paged_attention_v1_kernelIthLi120ELi8ELi128ELNS_18Fp8KVCacheDataTypeE1ELb0EEEvPT_PKS2_PKT0_S8_ifPKiSA_iPKfiiiSC_SC_iiiii,"axG",@progbits,_ZN4vllm25paged_attention_v1_kernelIthLi120ELi8ELi128ELNS_18Fp8KVCacheDataTypeE1ELb0EEEvPT_PKS2_PKT0_S8_ifPKiSA_iPKfiiiSC_SC_iiiii,comdat
	.protected	_ZN4vllm25paged_attention_v1_kernelIthLi120ELi8ELi128ELNS_18Fp8KVCacheDataTypeE1ELb0EEEvPT_PKS2_PKT0_S8_ifPKiSA_iPKfiiiSC_SC_iiiii ; -- Begin function _ZN4vllm25paged_attention_v1_kernelIthLi120ELi8ELi128ELNS_18Fp8KVCacheDataTypeE1ELb0EEEvPT_PKS2_PKT0_S8_ifPKiSA_iPKfiiiSC_SC_iiiii
	.globl	_ZN4vllm25paged_attention_v1_kernelIthLi120ELi8ELi128ELNS_18Fp8KVCacheDataTypeE1ELb0EEEvPT_PKS2_PKT0_S8_ifPKiSA_iPKfiiiSC_SC_iiiii
	.p2align	8
	.type	_ZN4vllm25paged_attention_v1_kernelIthLi120ELi8ELi128ELNS_18Fp8KVCacheDataTypeE1ELb0EEEvPT_PKS2_PKT0_S8_ifPKiSA_iPKfiiiSC_SC_iiiii,@function
_ZN4vllm25paged_attention_v1_kernelIthLi120ELi8ELi128ELNS_18Fp8KVCacheDataTypeE1ELb0EEEvPT_PKS2_PKT0_S8_ifPKiSA_iPKfiiiSC_SC_iiiii: ; @_ZN4vllm25paged_attention_v1_kernelIthLi120ELi8ELi128ELNS_18Fp8KVCacheDataTypeE1ELb0EEEvPT_PKS2_PKT0_S8_ifPKiSA_iPKfiiiSC_SC_iiiii
; %bb.0:
	s_load_dword s5, s[0:1], 0x80
	s_load_dwordx2 s[6:7], s[0:1], 0x30
	s_load_dwordx2 s[10:11], s[0:1], 0x20
	s_mov_b32 s20, s3
	s_ashr_i32 s21, s3, 31
	s_lshl_b64 s[8:9], s[20:21], 2
	s_waitcnt lgkmcnt(0)
	s_add_u32 s6, s6, s8
	s_addc_u32 s7, s7, s9
	s_abs_i32 s3, s10
	v_cvt_f32_u32_e32 v1, s3
	s_xor_b32 s8, s5, s10
	s_sub_i32 s10, 0, s3
	s_abs_i32 s9, s5
	v_rcp_iflag_f32_e32 v1, v1
	s_ashr_i32 s8, s8, 31
	v_mul_f32_e32 v1, 0x4f7ffffe, v1
	v_cvt_u32_f32_e32 v1, v1
	s_nop 0
	v_readfirstlane_b32 s12, v1
	s_mul_i32 s10, s10, s12
	s_mul_hi_u32 s10, s12, s10
	s_add_i32 s12, s12, s10
	s_mul_hi_u32 s10, s9, s12
	s_mul_i32 s12, s10, s3
	s_sub_i32 s9, s9, s12
	s_add_i32 s12, s10, 1
	s_sub_i32 s13, s9, s3
	s_cmp_ge_u32 s9, s3
	s_cselect_b32 s10, s12, s10
	s_cselect_b32 s9, s13, s9
	s_add_i32 s12, s10, 1
	s_cmp_ge_u32 s9, s3
	s_cselect_b32 s3, s12, s10
	s_xor_b32 s3, s3, s8
	s_sub_i32 s15, s3, s8
	s_abs_i32 s12, s15
	v_cvt_f32_u32_e32 v1, s12
	s_load_dwordx2 s[8:9], s[0:1], 0x40
	s_sub_i32 s3, 0, s12
	s_abs_i32 s13, s2
	v_rcp_iflag_f32_e32 v1, v1
	s_mov_b32 s10, 0
	v_mul_f32_e32 v1, 0x4f7ffffe, v1
	v_cvt_u32_f32_e32 v1, v1
	s_nop 0
	v_readfirstlane_b32 s14, v1
	s_mul_i32 s3, s3, s14
	s_mul_hi_u32 s3, s14, s3
	s_add_i32 s14, s14, s3
	s_waitcnt lgkmcnt(0)
	s_cmp_eq_u64 s[8:9], 0
	s_mul_hi_u32 s14, s13, s14
	s_cbranch_scc1 .LBB232_2
; %bb.1:
	s_ashr_i32 s3, s2, 31
	s_lshl_b64 s[16:17], s[2:3], 2
	s_add_u32 s8, s8, s16
	s_addc_u32 s9, s9, s17
	s_load_dword s10, s[8:9], 0x0
.LBB232_2:
	s_load_dword s21, s[6:7], 0x0
	s_load_dwordx4 s[16:19], s[0:1], 0x48
	s_movk_i32 s3, 0x78
	s_ashr_i32 s8, s2, 31
	s_ashr_i32 s9, s15, 31
	v_and_b32_e32 v4, 7, v0
	s_mul_i32 s22, s2, 0x78
	v_cmp_gt_u32_e64 s[6:7], s3, v0
	v_lshlrev_b32_e32 v2, 1, v0
	s_and_saveexec_b64 s[2:3], s[6:7]
	s_cbranch_execz .LBB232_4
; %bb.3:
	s_load_dwordx2 s[24:25], s[0:1], 0x8
	s_waitcnt lgkmcnt(0)
	s_mul_i32 s26, s20, s16
	s_ashr_i32 s27, s26, 31
	s_lshl_b64 s[26:27], s[26:27], 1
	v_lshrrev_b32_e32 v3, 2, v0
	s_add_u32 s15, s24, s26
	s_addc_u32 s16, s25, s27
	s_ashr_i32 s23, s22, 31
	s_lshl_b64 s[24:25], s[22:23], 1
	s_add_u32 s24, s15, s24
	s_addc_u32 s25, s16, s25
	global_load_ushort v1, v2, s[24:25]
	v_and_b32_e32 v3, 0xfe, v3
	v_mad_u32_u24 v3, v4, 30, v3
	s_waitcnt vmcnt(0)
	ds_write_b16 v3, v1
.LBB232_4:
	s_or_b64 exec, exec, s[2:3]
	s_waitcnt lgkmcnt(0)
	s_add_i32 s3, s21, 7
	s_ashr_i32 s15, s3, 31
	s_lshr_b32 s15, s15, 29
	s_add_i32 s3, s3, s15
	s_ashr_i32 s33, s3, 3
	s_xor_b32 s3, s8, s9
	s_mul_i32 s8, s14, s12
	s_sub_i32 s8, s13, s8
	s_add_i32 s9, s14, 1
	s_sub_i32 s13, s8, s12
	s_load_dwordx2 s[26:27], s[0:1], 0x28
	s_load_dword s2, s[0:1], 0x38
	s_cmp_ge_u32 s8, s12
	s_cselect_b32 s9, s9, s14
	s_cselect_b32 s8, s13, s8
	s_add_i32 s13, s9, 1
	s_cmp_ge_u32 s8, s12
	s_cselect_b32 s8, s13, s9
	v_lshrrev_b32_e32 v1, 6, v0
	s_xor_b32 s8, s8, s3
	s_waitcnt lgkmcnt(0)
	s_mul_i32 s28, s20, s2
	s_sub_i32 s16, s8, s3
	s_ashr_i32 s29, s28, 31
	v_cmp_gt_i32_e64 s[2:3], s33, v1
	v_cmp_le_i32_e32 vcc, s33, v1
	v_mbcnt_lo_u32_b32 v16, -1, 0
	s_barrier
	s_waitcnt lgkmcnt(0)
                                        ; implicit-def: $sgpr19
                                        ; implicit-def: $vgpr11
                                        ; implicit-def: $vgpr12
	s_and_saveexec_b64 s[8:9], vcc
	s_xor_b64 s[8:9], exec, s[8:9]
; %bb.5:
	v_mbcnt_hi_u32_b32 v11, -1, v16
	v_and_b32_e32 v3, 64, v11
	v_add_u32_e32 v12, 64, v3
	s_mov_b32 s19, 0xff7fffff
                                        ; implicit-def: $vgpr4
                                        ; implicit-def: $vgpr16
; %bb.6:
	s_or_saveexec_b64 s[34:35], s[8:9]
	s_load_dwordx2 s[24:25], s[0:1], 0x0
	s_load_dwordx2 s[30:31], s[0:1], 0x18
	s_load_dword s23, s[0:1], 0x88
	s_load_dwordx4 s[12:15], s[0:1], 0x58
	v_mov_b32_e32 v3, s19
	s_mul_i32 s16, s16, s18
	v_lshrrev_b32_e32 v10, 4, v0
	s_xor_b64 exec, exec, s[34:35]
	s_cbranch_execz .LBB232_12
; %bb.7:
	s_load_dwordx2 s[0:1], s[0:1], 0x10
	s_ashr_i32 s8, s16, 31
	v_bfe_u32 v3, v0, 3, 3
	v_lshlrev_b32_e32 v6, 4, v3
	v_mov_b32_e32 v5, 0
	s_waitcnt lgkmcnt(0)
	s_add_u32 s0, s0, s16
	s_addc_u32 s1, s1, s8
	s_sub_i32 s39, 1, s21
	s_lshl_b64 s[8:9], s[28:29], 2
	v_lshl_or_b32 v14, v1, 3, v3
	v_lshlrev_b32_e32 v3, 2, v3
	s_add_u32 s8, s26, s8
	v_mbcnt_hi_u32_b32 v11, -1, v16
	v_mov_b32_e32 v7, v5
	v_lshl_or_b32 v3, v1, 5, v3
	v_and_b32_e32 v8, 60, v10
	v_mov_b32_e32 v9, v5
	s_addc_u32 s9, s27, s9
	v_and_b32_e32 v12, 64, v11
	s_mov_b32 s38, s17
	v_lshl_add_u64 v[6:7], s[0:1], 0, v[6:7]
	v_mul_u32_u24_e32 v13, 30, v4
	v_cmp_eq_u32_e32 vcc, 0, v4
	v_cmp_neq_f32_e64 s[0:1], s10, 0
	v_add_u32_e32 v15, 0x100, v3
	v_lshl_add_u64 v[8:9], s[8:9], 0, v[8:9]
	s_mov_b64 s[18:19], 0
	v_mov_b32_e32 v3, 0xff7fffff
	v_add_u32_e32 v12, 64, v12
	v_xor_b32_e32 v16, 4, v11
	v_xor_b32_e32 v17, 2, v11
	;; [unrolled: 1-line block ×3, first 2 shown]
	v_mov_b32_e32 v19, v1
	s_branch .LBB232_9
.LBB232_8:                              ;   in Loop: Header=BB232_9 Depth=1
	s_or_b64 exec, exec, s[36:37]
	v_add_u32_e32 v19, 2, v19
	v_cmp_le_i32_e64 s[8:9], s33, v19
	v_add_u32_e32 v14, 16, v14
	v_add_u32_e32 v15, 64, v15
	s_or_b64 s[18:19], s[8:9], s[18:19]
	v_lshl_add_u64 v[8:9], v[8:9], 0, 8
	s_andn2_b64 exec, exec, s[18:19]
	s_cbranch_execz .LBB232_11
.LBB232_9:                              ; =>This Inner Loop Header: Depth=1
	global_load_dword v20, v[8:9], off
	s_waitcnt vmcnt(0) lgkmcnt(0)
	v_mad_i64_i32 v[20:21], s[8:9], v20, s38, v[6:7]
	v_lshl_add_u64 v[20:21], v[20:21], 0, v[4:5]
	global_load_ubyte v22, v[20:21], off
	global_load_ubyte v23, v[20:21], off offset:8
	global_load_dword v24, v5, s[12:13]
	global_load_ubyte v25, v[20:21], off offset:128
	global_load_ubyte v26, v[20:21], off offset:136
	;; [unrolled: 1-line block ×12, first 2 shown]
	s_nop 0
	global_load_ubyte v20, v[20:21], off offset:896
	ds_read_u16 v21, v13
	s_waitcnt lgkmcnt(0)
	;;#ASMSTART
	v_cvt_f32_f16 v21, v21;
	;;#ASMEND
	v_cmp_lt_i32_e64 s[8:9], v16, v12
	s_waitcnt vmcnt(15)
	v_cvt_f32_fp8_sdwa v22, v22 src0_sel:BYTE_0
	s_waitcnt vmcnt(14)
	v_cvt_f32_fp8_sdwa v23, v23 src0_sel:BYTE_0
	v_cndmask_b32_e64 v37, v11, v16, s[8:9]
	s_waitcnt vmcnt(12)
	v_cvt_f32_fp8_sdwa v25, v25 src0_sel:BYTE_0
	v_fma_mixlo_f16 v22, v24, v22, 0
	v_and_b32_e32 v22, 0xffff, v22
	v_fma_mixlo_f16 v23, v24, v23, 0
	s_waitcnt vmcnt(11)
	v_cvt_f32_fp8_sdwa v26, v26 src0_sel:BYTE_0
	;;#ASMSTART
	v_cvt_f32_f16 v22, v22;
	;;#ASMEND
	ds_read_u16 v38, v13 offset:2
	v_and_b32_e32 v23, 0xffff, v23
	s_waitcnt vmcnt(10)
	v_cvt_f32_fp8_sdwa v27, v27 src0_sel:BYTE_0
	s_waitcnt lgkmcnt(0)
	;;#ASMSTART
	v_cvt_f32_f16 v38, v38;
	;;#ASMEND
	;;#ASMSTART
	v_cvt_f32_f16 v23, v23;
	;;#ASMEND
	s_waitcnt vmcnt(9)
	v_cvt_f32_fp8_sdwa v28, v28 src0_sel:BYTE_0
	v_fma_mixlo_f16 v25, v24, v25, 0
	s_waitcnt vmcnt(8)
	v_cvt_f32_fp8_sdwa v29, v29 src0_sel:BYTE_0
	v_mul_f32_e32 v23, v38, v23
	ds_read_u16 v39, v13 offset:4
	v_and_b32_e32 v25, 0xffff, v25
	v_fma_mixlo_f16 v26, v24, v26, 0
	s_waitcnt vmcnt(7)
	v_cvt_f32_fp8_sdwa v30, v30 src0_sel:BYTE_0
	v_fmac_f32_e32 v23, v21, v22
	s_waitcnt lgkmcnt(0)
	;;#ASMSTART
	v_cvt_f32_f16 v39, v39;
	;;#ASMEND
	;;#ASMSTART
	v_cvt_f32_f16 v25, v25;
	;;#ASMEND
	ds_read_u16 v40, v13 offset:6
	v_and_b32_e32 v26, 0xffff, v26
	s_waitcnt vmcnt(6)
	v_cvt_f32_fp8_sdwa v31, v31 src0_sel:BYTE_0
	v_fma_mixlo_f16 v27, v24, v27, 0
	v_fmac_f32_e32 v23, v39, v25
	s_waitcnt lgkmcnt(0)
	;;#ASMSTART
	v_cvt_f32_f16 v40, v40;
	;;#ASMEND
	;;#ASMSTART
	v_cvt_f32_f16 v26, v26;
	;;#ASMEND
	ds_read_u16 v41, v13 offset:8
	v_and_b32_e32 v27, 0xffff, v27
	s_waitcnt vmcnt(5)
	v_cvt_f32_fp8_sdwa v32, v32 src0_sel:BYTE_0
	v_fma_mixlo_f16 v28, v24, v28, 0
	v_fmac_f32_e32 v23, v40, v26
	s_waitcnt lgkmcnt(0)
	;;#ASMSTART
	v_cvt_f32_f16 v41, v41;
	;;#ASMEND
	;;#ASMSTART
	v_cvt_f32_f16 v27, v27;
	;;#ASMEND
	ds_read_u16 v42, v13 offset:10
	s_waitcnt vmcnt(4)
	v_cvt_f32_fp8_sdwa v33, v33 src0_sel:BYTE_0
	v_and_b32_e32 v28, 0xffff, v28
	v_fma_mixlo_f16 v29, v24, v29, 0
	v_fmac_f32_e32 v23, v41, v27
	s_waitcnt lgkmcnt(0)
	;;#ASMSTART
	v_cvt_f32_f16 v42, v42;
	;;#ASMEND
	;;#ASMSTART
	v_cvt_f32_f16 v28, v28;
	;;#ASMEND
	ds_read_u16 v43, v13 offset:12
	s_waitcnt vmcnt(3)
	v_cvt_f32_fp8_sdwa v34, v34 src0_sel:BYTE_0
	s_waitcnt vmcnt(2)
	v_cvt_f32_fp8_sdwa v35, v35 src0_sel:BYTE_0
	v_and_b32_e32 v29, 0xffff, v29
	s_waitcnt vmcnt(1)
	v_cvt_f32_fp8_sdwa v36, v36 src0_sel:BYTE_0
	s_waitcnt vmcnt(0)
	v_cvt_f32_fp8_sdwa v20, v20 src0_sel:BYTE_0
	v_fma_mixlo_f16 v30, v24, v30, 0
	v_fmac_f32_e32 v23, v42, v28
	s_waitcnt lgkmcnt(0)
	;;#ASMSTART
	v_cvt_f32_f16 v43, v43;
	;;#ASMEND
	;;#ASMSTART
	v_cvt_f32_f16 v29, v29;
	;;#ASMEND
	ds_read_u16 v44, v13 offset:14
	v_and_b32_e32 v30, 0xffff, v30
	v_fma_mixlo_f16 v31, v24, v31, 0
	v_fmac_f32_e32 v23, v43, v29
	s_waitcnt lgkmcnt(0)
	;;#ASMSTART
	v_cvt_f32_f16 v44, v44;
	;;#ASMEND
	;;#ASMSTART
	v_cvt_f32_f16 v30, v30;
	;;#ASMEND
	ds_read_u16 v45, v13 offset:16
	v_fma_mixlo_f16 v32, v24, v32, 0
	v_and_b32_e32 v31, 0xffff, v31
	v_fmac_f32_e32 v23, v44, v30
	v_fma_mixlo_f16 v33, v24, v33, 0
	s_waitcnt lgkmcnt(0)
	;;#ASMSTART
	v_cvt_f32_f16 v45, v45;
	;;#ASMEND
	;;#ASMSTART
	v_cvt_f32_f16 v31, v31;
	;;#ASMEND
	ds_read_u16 v46, v13 offset:18
	v_and_b32_e32 v32, 0xffff, v32
	v_fmac_f32_e32 v23, v45, v31
	v_fma_mixlo_f16 v34, v24, v34, 0
	v_fma_mixlo_f16 v35, v24, v35, 0
	;; [unrolled: 1-line block ×3, first 2 shown]
	s_waitcnt lgkmcnt(0)
	;;#ASMSTART
	v_cvt_f32_f16 v46, v46;
	;;#ASMEND
	;;#ASMSTART
	v_cvt_f32_f16 v32, v32;
	;;#ASMEND
	v_fma_mixlo_f16 v20, v24, v20, 0
	v_and_b32_e32 v24, 0xffff, v33
	v_fmac_f32_e32 v23, v46, v32
	ds_read_u16 v47, v13 offset:20
	v_and_b32_e32 v33, 0xffff, v34
	v_and_b32_e32 v34, 0xffff, v35
	s_waitcnt lgkmcnt(0)
	;;#ASMSTART
	v_cvt_f32_f16 v35, v47;
	;;#ASMEND
	;;#ASMSTART
	v_cvt_f32_f16 v24, v24;
	;;#ASMEND
	ds_read_u16 v47, v13 offset:22
	v_fmac_f32_e32 v23, v35, v24
	s_waitcnt lgkmcnt(0)
	;;#ASMSTART
	v_cvt_f32_f16 v21, v47;
	;;#ASMEND
	;;#ASMSTART
	v_cvt_f32_f16 v22, v33;
	;;#ASMEND
	ds_read_u16 v33, v13 offset:24
	v_fmac_f32_e32 v23, v21, v22
	;; [unrolled: 9-line block ×3, first 2 shown]
	v_and_b32_e32 v36, 0xffff, v36
	v_and_b32_e32 v20, 0xffff, v20
	s_waitcnt lgkmcnt(0)
	;;#ASMSTART
	v_cvt_f32_f16 v27, v27;
	;;#ASMEND
	;;#ASMSTART
	v_cvt_f32_f16 v28, v36;
	;;#ASMEND
	v_lshlrev_b32_e32 v37, 2, v37
	v_fmac_f32_e32 v23, v27, v28
	ds_read_u16 v29, v13 offset:28
	s_waitcnt lgkmcnt(0)
	;;#ASMSTART
	v_cvt_f32_f16 v21, v29;
	;;#ASMEND
	;;#ASMSTART
	v_cvt_f32_f16 v20, v20;
	;;#ASMEND
	v_cmp_lt_i32_e64 s[8:9], v17, v12
	v_fmac_f32_e32 v23, v21, v20
	ds_bpermute_b32 v20, v37, v23
	v_cndmask_b32_e64 v21, v11, v17, s[8:9]
	v_lshlrev_b32_e32 v21, 2, v21
	v_cmp_lt_i32_e64 s[8:9], v18, v12
	s_waitcnt lgkmcnt(0)
	v_add_f32_e32 v20, v23, v20
	ds_bpermute_b32 v21, v21, v20
	v_cndmask_b32_e64 v22, v11, v18, s[8:9]
	s_waitcnt lgkmcnt(0)
	v_add_f32_e32 v20, v20, v21
	v_lshlrev_b32_e32 v21, 2, v22
	ds_bpermute_b32 v21, v21, v20
	s_and_saveexec_b64 s[36:37], vcc
	s_cbranch_execz .LBB232_8
; %bb.10:                               ;   in Loop: Header=BB232_9 Depth=1
	v_add_u32_e32 v22, s39, v14
	v_cvt_f32_i32_e32 v22, v22
	s_waitcnt lgkmcnt(0)
	v_add_f32_e32 v20, v20, v21
	v_cmp_gt_i32_e64 s[8:9], s21, v14
	v_max_f32_e32 v21, v3, v3
	v_mul_f32_e32 v22, s10, v22
	v_cndmask_b32_e64 v22, 0, v22, s[0:1]
	v_fmac_f32_e32 v22, s11, v20
	v_cndmask_b32_e64 v20, 0, v22, s[8:9]
	ds_write_b32 v15, v20
	v_max_f32_e32 v20, v21, v22
	v_cndmask_b32_e64 v3, v3, v20, s[8:9]
	s_branch .LBB232_8
.LBB232_11:
	s_or_b64 exec, exec, s[18:19]
.LBB232_12:
	s_or_b64 exec, exec, s[34:35]
	v_xor_b32_e32 v4, 32, v11
	v_cmp_lt_i32_e32 vcc, v4, v12
	v_xor_b32_e32 v6, 16, v11
	v_xor_b32_e32 v8, 8, v11
	v_cndmask_b32_e32 v4, v11, v4, vcc
	v_lshlrev_b32_e32 v5, 2, v4
	ds_bpermute_b32 v4, v5, v3
	v_max_f32_e32 v3, v3, v3
	v_cmp_lt_i32_e32 vcc, v6, v12
	s_waitcnt lgkmcnt(0)
	v_max_f32_e32 v4, v4, v4
	v_max_f32_e32 v3, v3, v4
	v_cndmask_b32_e32 v4, v11, v6, vcc
	v_lshlrev_b32_e32 v7, 2, v4
	ds_bpermute_b32 v4, v7, v3
	v_cmp_lt_i32_e32 vcc, v8, v12
	s_waitcnt lgkmcnt(0)
	v_max_f32_e32 v4, v4, v4
	v_max_f32_e32 v6, v3, v4
	v_cndmask_b32_e32 v3, v11, v8, vcc
	v_lshlrev_b32_e32 v9, 2, v3
	ds_bpermute_b32 v8, v9, v6
	v_and_b32_e32 v3, 63, v0
	v_cmp_eq_u32_e32 vcc, 0, v3
	v_lshlrev_b32_e32 v4, 2, v1
	s_and_saveexec_b64 s[0:1], vcc
	s_cbranch_execz .LBB232_14
; %bb.13:
	s_waitcnt lgkmcnt(0)
	v_max_f32_e32 v8, v8, v8
	v_max_f32_e32 v6, v6, v6
	;; [unrolled: 1-line block ×3, first 2 shown]
	ds_write_b32 v4, v6 offset:240
.LBB232_14:
	s_or_b64 exec, exec, s[0:1]
	v_cmp_gt_u32_e64 s[0:1], 2, v3
	v_mov_b32_e32 v13, 0xff7fffff
	v_lshlrev_b32_e32 v6, 2, v3
	s_waitcnt lgkmcnt(0)
	s_barrier
	s_and_saveexec_b64 s[8:9], s[0:1]
	s_cbranch_execz .LBB232_16
; %bb.15:
	ds_read_b32 v13, v6 offset:240
.LBB232_16:
	s_or_b64 exec, exec, s[8:9]
	v_xor_b32_e32 v8, 1, v11
	v_cmp_lt_i32_e64 s[8:9], v8, v12
	v_lshlrev_b32_e32 v15, 2, v11
	s_nop 0
	v_cndmask_b32_e64 v8, v11, v8, s[8:9]
	v_lshlrev_b32_e32 v8, 2, v8
	s_waitcnt lgkmcnt(0)
	ds_bpermute_b32 v14, v8, v13
	v_max_f32_e32 v13, v13, v13
	s_lshl_b32 s8, s33, 3
	s_min_i32 s34, s8, s21
	v_cmp_gt_i32_e64 s[8:9], s34, v0
	s_waitcnt lgkmcnt(0)
	v_max_f32_e32 v14, v14, v14
	v_max_f32_e32 v14, v13, v14
	v_and_b32_e32 v13, 0xffffff00, v15
	ds_bpermute_b32 v15, v13, v14
	v_mov_b32_e32 v14, 0
	s_and_saveexec_b64 s[12:13], s[8:9]
	s_cbranch_execz .LBB232_20
; %bb.17:
	v_mov_b32_e32 v14, 0x100
	v_lshl_add_u32 v16, v0, 2, v14
	s_mov_b64 s[18:19], 0
	v_mov_b32_e32 v14, 0
	v_mov_b32_e32 v17, v0
.LBB232_18:                             ; =>This Inner Loop Header: Depth=1
	ds_read_b32 v18, v16
	v_add_u32_e32 v17, 0x80, v17
	v_cmp_le_i32_e64 s[10:11], s34, v17
	s_or_b64 s[18:19], s[10:11], s[18:19]
	s_waitcnt lgkmcnt(0)
	v_sub_f32_e32 v18, v18, v15
	v_mul_f32_e32 v18, 0x3fb8aa3b, v18
	v_exp_f32_e32 v18, v18
	ds_write_b32 v16, v18
	v_add_f32_e32 v14, v14, v18
	v_add_u32_e32 v16, 0x200, v16
	s_andn2_b64 exec, exec, s[18:19]
	s_cbranch_execnz .LBB232_18
; %bb.19:
	s_or_b64 exec, exec, s[18:19]
.LBB232_20:
	s_or_b64 exec, exec, s[12:13]
	ds_bpermute_b32 v5, v5, v14
	s_waitcnt lgkmcnt(0)
	v_add_f32_e32 v5, v14, v5
	ds_bpermute_b32 v7, v7, v5
	s_waitcnt lgkmcnt(0)
	v_add_f32_e32 v5, v5, v7
	ds_bpermute_b32 v7, v9, v5
	v_xor_b32_e32 v9, 4, v11
	v_cmp_lt_i32_e64 s[10:11], v9, v12
	s_waitcnt lgkmcnt(0)
	v_add_f32_e32 v5, v5, v7
	v_cndmask_b32_e64 v9, v11, v9, s[10:11]
	v_lshlrev_b32_e32 v9, 2, v9
	ds_bpermute_b32 v7, v9, v5
	v_xor_b32_e32 v9, 2, v11
	v_cmp_lt_i32_e64 s[10:11], v9, v12
	s_waitcnt lgkmcnt(0)
	v_add_f32_e32 v5, v5, v7
	v_cndmask_b32_e64 v9, v11, v9, s[10:11]
	v_lshlrev_b32_e32 v7, 2, v9
	ds_bpermute_b32 v7, v7, v5
	s_waitcnt lgkmcnt(0)
	v_add_f32_e32 v5, v5, v7
	ds_bpermute_b32 v7, v8, v5
	s_waitcnt lgkmcnt(0)
	v_add_f32_e32 v5, v5, v7
	s_and_saveexec_b64 s[10:11], vcc
	s_cbranch_execz .LBB232_22
; %bb.21:
	ds_write_b32 v4, v5 offset:248
.LBB232_22:
	s_or_b64 exec, exec, s[10:11]
	s_waitcnt lgkmcnt(0)
	s_barrier
	s_and_saveexec_b64 s[10:11], s[0:1]
	s_cbranch_execz .LBB232_24
; %bb.23:
	ds_read_b32 v5, v6 offset:248
.LBB232_24:
	s_or_b64 exec, exec, s[10:11]
	s_waitcnt lgkmcnt(0)
	ds_bpermute_b32 v4, v8, v5
	s_waitcnt lgkmcnt(0)
	v_add_f32_e32 v4, v5, v4
	ds_bpermute_b32 v4, v13, v4
	s_and_saveexec_b64 s[0:1], s[8:9]
	s_cbranch_execz .LBB232_37
; %bb.25:
	s_waitcnt lgkmcnt(0)
	v_add_f32_e32 v4, 0x358637bd, v4
	v_div_scale_f32 v5, s[8:9], v4, v4, 1.0
	v_rcp_f32_e32 v6, v5
	v_div_scale_f32 v7, vcc, 1.0, v4, 1.0
	s_movk_i32 s8, 0x7f
	v_fma_f32 v8, -v5, v6, 1.0
	v_fmac_f32_e32 v6, v8, v6
	v_mul_f32_e32 v8, v7, v6
	v_fma_f32 v9, -v5, v8, v7
	v_fmac_f32_e32 v8, v9, v6
	v_fma_f32 v5, -v5, v8, v7
	v_div_fmas_f32 v5, v5, v6, v8
	v_xad_u32 v6, v0, -1, s34
	v_div_fixup_f32 v4, v5, v4, 1.0
	v_cmp_lt_u32_e32 vcc, s8, v6
	s_mov_b64 s[10:11], -1
	v_mov_b32_e32 v5, v0
	s_and_saveexec_b64 s[8:9], vcc
	s_cbranch_execz .LBB232_34
; %bb.26:
	v_lshrrev_b32_e32 v6, 7, v6
	v_add_u32_e32 v8, -1, v6
	v_lshrrev_b32_e32 v7, 1, v8
	v_mov_b32_e32 v5, v4
	v_add_u32_e32 v7, 1, v7
	v_cmp_lt_u32_e32 vcc, 13, v8
	v_mov_b32_e32 v11, 0
	s_and_saveexec_b64 s[10:11], vcc
	s_cbranch_execz .LBB232_30
; %bb.27:
	v_mov_b32_e32 v9, 0x100
	v_and_b32_e32 v8, -8, v7
	v_lshl_add_u32 v9, v0, 2, v9
	s_mov_b32 s18, 0
	s_mov_b64 s[12:13], 0
.LBB232_28:                             ; =>This Inner Loop Header: Depth=1
	ds_read2st64_b32 v[12:13], v9 offset1:2
	ds_read2st64_b32 v[14:15], v9 offset0:4 offset1:6
	ds_read2st64_b32 v[16:17], v9 offset0:8 offset1:10
	;; [unrolled: 1-line block ×3, first 2 shown]
	v_add_u32_e32 v8, -8, v8
	s_waitcnt lgkmcnt(3)
	v_pk_mul_f32 v[12:13], v[4:5], v[12:13]
	s_waitcnt lgkmcnt(2)
	v_pk_mul_f32 v[14:15], v[4:5], v[14:15]
	ds_write2st64_b32 v9, v12, v13 offset1:2
	ds_write2st64_b32 v9, v14, v15 offset0:4 offset1:6
	ds_read2st64_b32 v[14:15], v9 offset0:16 offset1:18
	s_waitcnt lgkmcnt(4)
	v_pk_mul_f32 v[12:13], v[4:5], v[16:17]
	ds_write2st64_b32 v9, v12, v13 offset0:8 offset1:10
	s_waitcnt lgkmcnt(4)
	v_pk_mul_f32 v[12:13], v[4:5], v[18:19]
	ds_write2st64_b32 v9, v12, v13 offset0:12 offset1:14
	ds_read2st64_b32 v[12:13], v9 offset0:20 offset1:22
	s_waitcnt lgkmcnt(3)
	v_pk_mul_f32 v[14:15], v[4:5], v[14:15]
	ds_read2st64_b32 v[16:17], v9 offset0:24 offset1:26
	ds_write2st64_b32 v9, v14, v15 offset0:16 offset1:18
	ds_read2st64_b32 v[14:15], v9 offset0:28 offset1:30
	s_waitcnt lgkmcnt(3)
	v_pk_mul_f32 v[12:13], v[4:5], v[12:13]
	ds_write2st64_b32 v9, v12, v13 offset0:20 offset1:22
	s_waitcnt lgkmcnt(3)
	v_pk_mul_f32 v[12:13], v[4:5], v[16:17]
	ds_write2st64_b32 v9, v12, v13 offset0:24 offset1:26
	s_waitcnt lgkmcnt(2)
	v_pk_mul_f32 v[12:13], v[4:5], v[14:15]
	s_add_i32 s18, s18, 16
	v_cmp_eq_u32_e32 vcc, 0, v8
	ds_write2st64_b32 v9, v12, v13 offset0:28 offset1:30
	v_add_u32_e32 v9, 0x2000, v9
	s_or_b64 s[12:13], vcc, s[12:13]
	v_mov_b32_e32 v11, s18
	s_andn2_b64 exec, exec, s[12:13]
	s_cbranch_execnz .LBB232_28
; %bb.29:
	s_or_b64 exec, exec, s[12:13]
.LBB232_30:
	s_or_b64 exec, exec, s[10:11]
	v_and_b32_e32 v7, 7, v7
	v_cmp_ne_u32_e32 vcc, 0, v7
	s_and_saveexec_b64 s[10:11], vcc
	s_cbranch_execz .LBB232_33
; %bb.31:
	v_lshlrev_b32_e32 v8, 9, v11
	v_lshlrev_b32_e32 v9, 2, v0
	s_movk_i32 s12, 0x100
	v_add3_u32 v8, v8, v9, s12
	s_mov_b64 s[12:13], 0
.LBB232_32:                             ; =>This Inner Loop Header: Depth=1
	ds_read2st64_b32 v[12:13], v8 offset1:2
	v_add_u32_e32 v7, -1, v7
	v_cmp_eq_u32_e32 vcc, 0, v7
	s_or_b64 s[12:13], vcc, s[12:13]
	s_waitcnt lgkmcnt(0)
	v_pk_mul_f32 v[12:13], v[4:5], v[12:13]
	ds_write2st64_b32 v8, v12, v13 offset1:2
	v_add_u32_e32 v8, 0x400, v8
	s_andn2_b64 exec, exec, s[12:13]
	s_cbranch_execnz .LBB232_32
.LBB232_33:
	s_or_b64 exec, exec, s[10:11]
	v_add_u32_e32 v6, 1, v6
	v_and_b32_e32 v7, 0x3fffffe, v6
	v_cmp_ne_u32_e32 vcc, v6, v7
	v_lshl_add_u32 v5, v7, 7, v0
	s_orn2_b64 s[10:11], vcc, exec
.LBB232_34:
	s_or_b64 exec, exec, s[8:9]
	s_and_b64 exec, exec, s[10:11]
	s_cbranch_execz .LBB232_37
; %bb.35:
	v_mov_b32_e32 v6, 0x100
	v_lshl_add_u32 v6, v5, 2, v6
	s_mov_b64 s[8:9], 0
.LBB232_36:                             ; =>This Inner Loop Header: Depth=1
	ds_read_b32 v7, v6
	v_add_u32_e32 v5, 0x80, v5
	v_cmp_le_i32_e32 vcc, s34, v5
	s_or_b64 s[8:9], vcc, s[8:9]
	s_waitcnt lgkmcnt(0)
	v_mul_f32_e32 v7, v4, v7
	ds_write_b32 v6, v7
	v_add_u32_e32 v6, 0x200, v6
	s_andn2_b64 exec, exec, s[8:9]
	s_cbranch_execnz .LBB232_36
.LBB232_37:
	s_or_b64 exec, exec, s[0:1]
	v_mov_b32_e32 v25, 0
	v_mov_b32_e32 v24, 0
	s_waitcnt lgkmcnt(0)
	s_barrier
	s_and_saveexec_b64 s[8:9], s[2:3]
	s_cbranch_execz .LBB232_175
; %bb.38:
	s_ashr_i32 s1, s16, 31
	s_add_u32 s0, s30, s16
	v_or_b32_e32 v6, 64, v3
	s_movk_i32 s2, 0x78
	s_addc_u32 s1, s31, s1
	s_add_i32 s30, s33, -1
	v_cmp_gt_u32_e32 vcc, s2, v6
	s_lshl_b64 s[2:3], s[28:29], 2
	v_lshlrev_b32_e32 v8, 3, v6
	v_mov_b32_e32 v6, 0x100
	s_add_u32 s2, s26, s2
	v_mov_b32_e32 v7, 0
	v_lshl_add_u32 v27, v1, 5, v6
	v_and_b32_e32 v6, 60, v10
	s_addc_u32 s3, s27, s3
	s_mov_b32 s34, s17
	v_lshlrev_b32_e32 v4, 3, v3
	v_mov_b32_e32 v5, v7
	v_mov_b32_e32 v9, v7
	s_mov_b32 s31, s21
	v_lshlrev_b32_e32 v26, 3, v1
	v_lshl_add_u64 v[10:11], s[2:3], 0, v[6:7]
	s_mov_b64 s[10:11], 0
	v_mov_b64_e32 v[12:13], s[0:1]
	s_movk_i32 s28, 0x7f
	s_movk_i32 s29, 0x80
	s_mov_b32 s35, 0x8000
	s_movk_i32 s36, 0x380
	s_mov_b32 s37, 0x3020706
	s_mov_b32 s38, 0x1000504
	;; [unrolled: 1-line block ×3, first 2 shown]
	v_mov_b32_e32 v28, 0x1c00
	v_mov_b32_e32 v24, 0
	;; [unrolled: 1-line block ×3, first 2 shown]
	s_branch .LBB232_41
.LBB232_39:                             ;   in Loop: Header=BB232_41 Depth=1
	s_or_b64 exec, exec, s[16:17]
	;;#ASMSTART
	v_pk_mul_f16 v16, v32, v17;

	;;#ASMEND
	;;#ASMSTART
	v_pk_mul_f16 v6, v31, v6;

	;;#ASMEND
	;; [unrolled: 4-line block ×4, first 2 shown]
	s_nop 0
	;;#ASMSTART
	v_pk_add_f16 v6, v16, v6;

	;;#ASMEND
	s_nop 0
	;;#ASMSTART
	v_pk_add_f16 v6, v6, v15;

	;;#ASMEND
	;; [unrolled: 5-line block ×3, first 2 shown]
	s_nop 0
	v_lshrrev_b32_e32 v14, 16, v6
	v_and_b32_e32 v6, 0xffff, v6
	;;#ASMSTART
	v_cvt_f32_f16 v6, v6;
	;;#ASMEND
	;;#ASMSTART
	v_cvt_f32_f16 v14, v14;
	;;#ASMEND
	s_nop 0
	v_add_f32_e32 v6, v6, v14
	v_add_f32_e32 v24, v24, v6
.LBB232_40:                             ;   in Loop: Header=BB232_41 Depth=1
	s_or_b64 exec, exec, s[12:13]
	v_add_u32_e32 v1, 2, v1
	v_add_f32_e32 v6, v22, v23
	v_cmp_le_i32_e64 s[0:1], s33, v1
	v_add_f32_e32 v25, v25, v6
	v_add_u32_e32 v26, 16, v26
	v_add_u32_e32 v27, 64, v27
	s_or_b64 s[10:11], s[0:1], s[10:11]
	v_lshl_add_u64 v[10:11], v[10:11], 0, 8
	s_andn2_b64 exec, exec, s[10:11]
	s_cbranch_execz .LBB232_174
.LBB232_41:                             ; =>This Inner Loop Header: Depth=1
	ds_read2_b64 v[18:21], v27 offset1:1
	ds_read2_b64 v[34:37], v27 offset0:2 offset1:3
                                        ; implicit-def: $sgpr16
	s_waitcnt lgkmcnt(1)
	;;#ASMSTART
	v_cvt_f16_f32 v17, v18;

	;;#ASMEND
	;;#ASMSTART
	v_cvt_f16_f32 v29, v19;

	;;#ASMEND
	;;#ASMSTART
	v_cvt_f16_f32 v30, v20;

	;;#ASMEND
	;;#ASMSTART
	v_cvt_f16_f32 v31, v21;

	;;#ASMEND
	s_waitcnt lgkmcnt(0)
	;;#ASMSTART
	v_cvt_f16_f32 v33, v34;

	;;#ASMEND
	;;#ASMSTART
	v_cvt_f16_f32 v34, v35;

	;;#ASMEND
	;;#ASMSTART
	v_cvt_f16_f32 v35, v36;

	;;#ASMEND
	;;#ASMSTART
	v_cvt_f16_f32 v36, v37;

	;;#ASMEND
	global_load_dword v6, v[10:11], off
	s_waitcnt vmcnt(0)
	v_mad_i64_i32 v[14:15], s[0:1], v6, s34, v[12:13]
	v_lshl_add_u64 v[20:21], v[14:15], 0, v[4:5]
	global_load_dwordx2 v[18:19], v[20:21], off
	global_load_dword v16, v7, s[14:15]
	s_mov_b64 s[0:1], 0
	s_waitcnt vmcnt(1)
	v_cmp_gt_i16_sdwa s[2:3], v18, s28 src0_sel:BYTE_0 src1_sel:DWORD
	s_and_saveexec_b64 s[12:13], s[2:3]
	s_xor_b64 s[2:3], exec, s[12:13]
	s_cbranch_execnz .LBB232_110
; %bb.42:                               ;   in Loop: Header=BB232_41 Depth=1
	s_or_saveexec_b64 s[2:3], s[2:3]
	v_mov_b32_e32 v20, s16
	s_xor_b64 exec, exec, s[2:3]
	s_cbranch_execnz .LBB232_113
.LBB232_43:                             ;   in Loop: Header=BB232_41 Depth=1
	s_or_b64 exec, exec, s[2:3]
	s_and_saveexec_b64 s[2:3], s[0:1]
	s_cbranch_execz .LBB232_45
.LBB232_44:                             ;   in Loop: Header=BB232_41 Depth=1
	v_and_b32_e32 v6, 7, v18
	v_ffbh_u32_e32 v6, v6
	v_bfe_u32 v20, v18, 3, 4
	v_min_u32_e32 v6, 32, v6
	v_subrev_u32_e32 v21, 28, v6
	v_sub_u32_e32 v6, 29, v6
	v_cmp_eq_u32_e64 s[0:1], 0, v20
	s_nop 1
	v_cndmask_b32_e64 v6, v20, v6, s[0:1]
	v_cndmask_b32_e64 v20, 0, v21, s[0:1]
	v_lshlrev_b64 v[20:21], v20, v[18:19]
	v_lshlrev_b32_e32 v21, 8, v18
	v_lshl_add_u32 v6, v6, 10, v28
	v_lshlrev_b32_e32 v20, 7, v20
	v_and_or_b32 v6, v21, s35, v6
	v_and_or_b32 v6, v20, s36, v6
	v_cvt_f32_f16_e32 v20, v6
.LBB232_45:                             ;   in Loop: Header=BB232_41 Depth=1
	s_or_b64 exec, exec, s[2:3]
	v_lshrrev_b16_e32 v6, 8, v18
	v_cmp_lt_i16_e64 s[0:1], s28, v6
	s_mov_b64 s[2:3], 0
                                        ; implicit-def: $sgpr18
	s_and_saveexec_b64 s[12:13], s[0:1]
	s_xor_b64 s[12:13], exec, s[12:13]
	s_cbranch_execnz .LBB232_114
; %bb.46:                               ;   in Loop: Header=BB232_41 Depth=1
	s_or_saveexec_b64 s[12:13], s[12:13]
	v_mov_b32_e32 v22, s18
	s_xor_b64 exec, exec, s[12:13]
	s_cbranch_execnz .LBB232_117
.LBB232_47:                             ;   in Loop: Header=BB232_41 Depth=1
	s_or_b64 exec, exec, s[12:13]
	s_and_saveexec_b64 s[12:13], s[2:3]
	s_cbranch_execz .LBB232_49
.LBB232_48:                             ;   in Loop: Header=BB232_41 Depth=1
	v_and_b32_e32 v21, 7, v6
	v_ffbh_u32_e32 v22, v21
	v_min_u32_e32 v37, 32, v22
	v_subrev_u32_e32 v22, 28, v37
	v_bfe_u32 v32, v6, 3, 4
	v_lshlrev_b64 v[22:23], v22, v[6:7]
	v_sub_u32_e32 v23, 29, v37
	v_cmp_eq_u32_e64 s[0:1], 0, v32
	v_and_b32_e32 v22, 7, v22
	v_lshlrev_b32_e32 v6, 8, v6
	v_cndmask_b32_e64 v23, v32, v23, s[0:1]
	v_cndmask_b32_e64 v21, v21, v22, s[0:1]
	v_lshl_add_u32 v22, v23, 10, v28
	v_and_or_b32 v6, v6, s35, v22
	v_lshl_or_b32 v6, v21, 7, v6
	v_cvt_f32_f16_e32 v22, v6
.LBB232_49:                             ;   in Loop: Header=BB232_41 Depth=1
	s_or_b64 exec, exec, s[12:13]
	v_lshrrev_b32_e32 v6, 16, v18
	v_cmp_gt_i16_sdwa s[2:3], v6, s28 src0_sel:BYTE_0 src1_sel:DWORD
	s_mov_b64 s[0:1], 0
                                        ; implicit-def: $sgpr16
	s_and_saveexec_b64 s[12:13], s[2:3]
	s_xor_b64 s[2:3], exec, s[12:13]
	s_cbranch_execnz .LBB232_118
; %bb.50:                               ;   in Loop: Header=BB232_41 Depth=1
	s_or_saveexec_b64 s[2:3], s[2:3]
	v_mov_b32_e32 v21, s16
	s_xor_b64 exec, exec, s[2:3]
	s_cbranch_execnz .LBB232_121
.LBB232_51:                             ;   in Loop: Header=BB232_41 Depth=1
	s_or_b64 exec, exec, s[2:3]
	s_and_saveexec_b64 s[2:3], s[0:1]
	s_cbranch_execz .LBB232_53
.LBB232_52:                             ;   in Loop: Header=BB232_41 Depth=1
	v_bfe_u32 v21, v18, 16, 3
	v_ffbh_u32_e32 v32, v21
	v_bfe_u32 v23, v18, 19, 4
	v_min_u32_e32 v32, 32, v32
	v_subrev_u32_e32 v37, 28, v32
	v_sub_u32_e32 v32, 29, v32
	v_cmp_eq_u32_e64 s[0:1], 0, v23
	v_lshlrev_b64 v[38:39], v37, v[6:7]
	v_and_b32_e32 v37, 7, v38
	v_cndmask_b32_e64 v23, v23, v32, s[0:1]
	v_lshlrev_b32_e32 v6, 8, v6
	v_lshl_add_u32 v23, v23, 10, v28
	v_cndmask_b32_e64 v21, v21, v37, s[0:1]
	v_and_or_b32 v6, v6, s35, v23
	v_lshl_or_b32 v6, v21, 7, v6
	v_cvt_f32_f16_e32 v21, v6
.LBB232_53:                             ;   in Loop: Header=BB232_41 Depth=1
	s_or_b64 exec, exec, s[2:3]
	v_lshrrev_b32_e32 v6, 24, v18
	v_cmp_lt_i16_e64 s[0:1], s28, v6
	s_mov_b64 s[2:3], 0
                                        ; implicit-def: $sgpr18
	s_and_saveexec_b64 s[12:13], s[0:1]
	s_xor_b64 s[12:13], exec, s[12:13]
	s_cbranch_execnz .LBB232_122
; %bb.54:                               ;   in Loop: Header=BB232_41 Depth=1
	s_or_saveexec_b64 s[12:13], s[12:13]
	v_mov_b32_e32 v23, s18
	s_xor_b64 exec, exec, s[12:13]
	s_cbranch_execnz .LBB232_125
.LBB232_55:                             ;   in Loop: Header=BB232_41 Depth=1
	s_or_b64 exec, exec, s[12:13]
	s_and_saveexec_b64 s[12:13], s[2:3]
	s_cbranch_execz .LBB232_57
.LBB232_56:                             ;   in Loop: Header=BB232_41 Depth=1
	v_bfe_u32 v23, v18, 24, 3
	v_ffbh_u32_e32 v32, v23
	v_bfe_u32 v18, v18, 27, 4
	v_min_u32_e32 v32, 32, v32
	v_subrev_u32_e32 v37, 28, v32
	v_sub_u32_e32 v32, 29, v32
	v_cmp_eq_u32_e64 s[0:1], 0, v18
	v_lshlrev_b64 v[38:39], v37, v[6:7]
	v_and_b32_e32 v37, 7, v38
	v_cndmask_b32_e64 v18, v18, v32, s[0:1]
	v_lshlrev_b32_e32 v6, 8, v6
	v_lshl_add_u32 v18, v18, 10, v28
	v_cndmask_b32_e64 v23, v23, v37, s[0:1]
	v_and_or_b32 v6, v6, s35, v18
	v_lshl_or_b32 v6, v23, 7, v6
	v_cvt_f32_f16_e32 v23, v6
.LBB232_57:                             ;   in Loop: Header=BB232_41 Depth=1
	s_or_b64 exec, exec, s[12:13]
	v_cmp_gt_i16_sdwa s[2:3], v19, s28 src0_sel:BYTE_0 src1_sel:DWORD
	s_mov_b64 s[0:1], 0
                                        ; implicit-def: $sgpr16
	s_and_saveexec_b64 s[12:13], s[2:3]
	s_xor_b64 s[2:3], exec, s[12:13]
	s_cbranch_execnz .LBB232_126
; %bb.58:                               ;   in Loop: Header=BB232_41 Depth=1
	s_or_saveexec_b64 s[2:3], s[2:3]
	v_mov_b32_e32 v18, s16
	s_xor_b64 exec, exec, s[2:3]
	s_cbranch_execnz .LBB232_129
.LBB232_59:                             ;   in Loop: Header=BB232_41 Depth=1
	s_or_b64 exec, exec, s[2:3]
	v_mov_b32_e32 v6, v19
	s_and_saveexec_b64 s[2:3], s[0:1]
	s_cbranch_execz .LBB232_61
.LBB232_60:                             ;   in Loop: Header=BB232_41 Depth=1
	v_and_b32_e32 v18, 7, v19
	v_ffbh_u32_e32 v18, v18
	v_bfe_u32 v32, v19, 3, 4
	v_min_u32_e32 v18, 32, v18
	v_subrev_u32_e32 v37, 28, v18
	v_sub_u32_e32 v18, 29, v18
	v_cmp_eq_u32_e64 s[0:1], 0, v32
	s_nop 1
	v_cndmask_b32_e64 v18, v32, v18, s[0:1]
	v_cndmask_b32_e64 v32, 0, v37, s[0:1]
	v_lshlrev_b64 v[38:39], v32, v[6:7]
	v_lshlrev_b32_e32 v37, 8, v19
	v_lshl_add_u32 v18, v18, 10, v28
	v_lshlrev_b32_e32 v32, 7, v38
	v_and_or_b32 v18, v37, s35, v18
	v_and_or_b32 v18, v32, s36, v18
	v_cvt_f32_f16_e32 v18, v18
.LBB232_61:                             ;   in Loop: Header=BB232_41 Depth=1
	s_or_b64 exec, exec, s[2:3]
	v_lshrrev_b16_e32 v6, 8, v6
	v_cmp_lt_i16_e64 s[0:1], s28, v6
	s_mov_b64 s[2:3], 0
                                        ; implicit-def: $sgpr18
	s_and_saveexec_b64 s[12:13], s[0:1]
	s_xor_b64 s[12:13], exec, s[12:13]
	s_cbranch_execnz .LBB232_130
; %bb.62:                               ;   in Loop: Header=BB232_41 Depth=1
	s_or_saveexec_b64 s[12:13], s[12:13]
	v_mov_b32_e32 v32, s18
	s_xor_b64 exec, exec, s[12:13]
	s_cbranch_execnz .LBB232_133
.LBB232_63:                             ;   in Loop: Header=BB232_41 Depth=1
	s_or_b64 exec, exec, s[12:13]
	s_and_saveexec_b64 s[12:13], s[2:3]
	s_cbranch_execz .LBB232_65
.LBB232_64:                             ;   in Loop: Header=BB232_41 Depth=1
	v_and_b32_e32 v32, 7, v6
	v_ffbh_u32_e32 v38, v32
	v_min_u32_e32 v40, 32, v38
	v_subrev_u32_e32 v38, 28, v40
	v_bfe_u32 v37, v6, 3, 4
	v_lshlrev_b64 v[38:39], v38, v[6:7]
	v_sub_u32_e32 v39, 29, v40
	v_cmp_eq_u32_e64 s[0:1], 0, v37
	v_and_b32_e32 v38, 7, v38
	v_lshlrev_b32_e32 v6, 8, v6
	v_cndmask_b32_e64 v37, v37, v39, s[0:1]
	v_lshl_add_u32 v37, v37, 10, v28
	v_cndmask_b32_e64 v32, v32, v38, s[0:1]
	v_and_or_b32 v6, v6, s35, v37
	v_lshl_or_b32 v6, v32, 7, v6
	v_cvt_f32_f16_e32 v32, v6
.LBB232_65:                             ;   in Loop: Header=BB232_41 Depth=1
	s_or_b64 exec, exec, s[12:13]
	v_lshrrev_b32_e32 v6, 16, v19
	v_cmp_gt_i16_sdwa s[2:3], v6, s28 src0_sel:BYTE_0 src1_sel:DWORD
	s_mov_b64 s[0:1], 0
                                        ; implicit-def: $sgpr16
	s_and_saveexec_b64 s[12:13], s[2:3]
	s_xor_b64 s[2:3], exec, s[12:13]
	s_cbranch_execnz .LBB232_134
; %bb.66:                               ;   in Loop: Header=BB232_41 Depth=1
	s_or_saveexec_b64 s[2:3], s[2:3]
	v_mov_b32_e32 v37, s16
	s_xor_b64 exec, exec, s[2:3]
	s_cbranch_execnz .LBB232_137
.LBB232_67:                             ;   in Loop: Header=BB232_41 Depth=1
	s_or_b64 exec, exec, s[2:3]
	s_and_saveexec_b64 s[2:3], s[0:1]
	s_cbranch_execz .LBB232_69
.LBB232_68:                             ;   in Loop: Header=BB232_41 Depth=1
	v_bfe_u32 v37, v19, 16, 3
	v_ffbh_u32_e32 v38, v37
	v_min_u32_e32 v41, 32, v38
	v_subrev_u32_e32 v38, 28, v41
	v_bfe_u32 v40, v19, 19, 4
	v_lshlrev_b64 v[38:39], v38, v[6:7]
	v_sub_u32_e32 v39, 29, v41
	v_cmp_eq_u32_e64 s[0:1], 0, v40
	v_and_b32_e32 v38, 7, v38
	v_lshlrev_b32_e32 v6, 8, v6
	v_cndmask_b32_e64 v39, v40, v39, s[0:1]
	v_cndmask_b32_e64 v37, v37, v38, s[0:1]
	v_lshl_add_u32 v38, v39, 10, v28
	v_and_or_b32 v6, v6, s35, v38
	v_lshl_or_b32 v6, v37, 7, v6
	v_cvt_f32_f16_e32 v37, v6
.LBB232_69:                             ;   in Loop: Header=BB232_41 Depth=1
	s_or_b64 exec, exec, s[2:3]
	v_lshrrev_b32_e32 v6, 24, v19
	v_cmp_lt_i16_e64 s[0:1], s28, v6
	s_mov_b64 s[2:3], 0
                                        ; implicit-def: $sgpr18
	s_and_saveexec_b64 s[12:13], s[0:1]
	s_xor_b64 s[12:13], exec, s[12:13]
	s_cbranch_execnz .LBB232_138
; %bb.70:                               ;   in Loop: Header=BB232_41 Depth=1
	s_or_saveexec_b64 s[12:13], s[12:13]
	v_mov_b32_e32 v38, s18
	s_xor_b64 exec, exec, s[12:13]
	s_cbranch_execnz .LBB232_141
.LBB232_71:                             ;   in Loop: Header=BB232_41 Depth=1
	s_or_b64 exec, exec, s[12:13]
	s_and_saveexec_b64 s[12:13], s[2:3]
	s_cbranch_execz .LBB232_73
.LBB232_72:                             ;   in Loop: Header=BB232_41 Depth=1
	v_bfe_u32 v40, v19, 24, 3
	v_ffbh_u32_e32 v38, v40
	v_min_u32_e32 v41, 32, v38
	v_subrev_u32_e32 v38, 28, v41
	v_bfe_u32 v19, v19, 27, 4
	v_lshlrev_b64 v[38:39], v38, v[6:7]
	v_sub_u32_e32 v39, 29, v41
	v_cmp_eq_u32_e64 s[0:1], 0, v19
	v_and_b32_e32 v38, 7, v38
	v_lshlrev_b32_e32 v6, 8, v6
	v_cndmask_b32_e64 v19, v19, v39, s[0:1]
	v_lshl_add_u32 v19, v19, 10, v28
	v_cndmask_b32_e64 v38, v40, v38, s[0:1]
	v_and_or_b32 v6, v6, s35, v19
	v_lshl_or_b32 v6, v38, 7, v6
	v_cvt_f32_f16_e32 v38, v6
.LBB232_73:                             ;   in Loop: Header=BB232_41 Depth=1
	s_or_b64 exec, exec, s[12:13]
	s_waitcnt vmcnt(0)
	v_pk_mul_f32 v[22:23], v[16:17], v[22:23] op_sel_hi:[0,1]
	v_pk_mul_f32 v[20:21], v[16:17], v[20:21] op_sel_hi:[0,1]
	v_cvt_f16_f32_e32 v6, v23
	v_cvt_f16_f32_e32 v19, v22
	;; [unrolled: 1-line block ×4, first 2 shown]
	v_fma_mixlo_f16 v18, v16, v18, 0
	v_pack_b32_f16 v19, v19, v6
	v_cmp_eq_u32_e64 s[2:3], s30, v1
	v_pack_b32_f16 v20, v20, v21
	v_perm_b32 v6, v20, v19, s37
	v_perm_b32 v19, v20, v19, s38
	v_fma_mixlo_f16 v20, v16, v32, 0
	v_lshlrev_b32_e32 v20, 16, v20
	v_or_b32_sdwa v18, v20, v18 dst_sel:DWORD dst_unused:UNUSED_PAD src0_sel:DWORD src1_sel:WORD_0
	v_fma_mixlo_f16 v20, v16, v37, 0
	v_fma_mixlo_f16 v16, v16, v38, 0
	v_lshlrev_b32_e32 v16, 16, v16
	v_or_b32_sdwa v16, v16, v20 dst_sel:DWORD dst_unused:UNUSED_PAD src0_sel:DWORD src1_sel:WORD_0
	s_and_saveexec_b64 s[12:13], s[2:3]
	s_cbranch_execz .LBB232_75
; %bb.74:                               ;   in Loop: Header=BB232_41 Depth=1
	v_add_u32_e32 v21, 1, v26
	v_lshrrev_b32_e32 v22, 16, v19
	v_cmp_gt_i32_e64 s[0:1], s31, v21
	v_lshrrev_b32_e32 v23, 16, v6
	v_lshrrev_b32_e32 v16, 16, v16
	v_cndmask_b32_e64 v21, 0, v22, s[0:1]
	v_cmp_gt_i32_e64 s[0:1], s21, v26
	v_or_b32_e32 v22, 2, v26
	s_nop 0
	v_cndmask_b32_e64 v19, 0, v19, s[0:1]
	v_perm_b32 v19, v21, v19, s39
	v_or_b32_e32 v21, 3, v26
	v_cmp_gt_i32_e64 s[0:1], s31, v21
	s_nop 1
	v_cndmask_b32_e64 v21, 0, v23, s[0:1]
	v_cmp_gt_i32_e64 s[0:1], s21, v22
	v_or_b32_e32 v22, 4, v26
	v_lshrrev_b32_e32 v23, 16, v18
	v_cndmask_b32_e64 v6, 0, v6, s[0:1]
	v_perm_b32 v6, v21, v6, s39
	v_or_b32_e32 v21, 5, v26
	v_cmp_gt_i32_e64 s[0:1], s31, v21
	s_nop 1
	v_cndmask_b32_e64 v21, 0, v23, s[0:1]
	v_cmp_gt_i32_e64 s[0:1], s21, v22
	v_or_b32_e32 v22, 6, v26
	s_nop 0
	v_cndmask_b32_e64 v18, 0, v18, s[0:1]
	v_perm_b32 v18, v21, v18, s39
	v_or_b32_e32 v21, 7, v26
	v_cmp_gt_i32_e64 s[0:1], s31, v21
	s_nop 1
	v_cndmask_b32_e64 v16, 0, v16, s[0:1]
	v_cmp_gt_i32_e64 s[0:1], s21, v22
	s_nop 1
	v_cndmask_b32_e64 v20, 0, v20, s[0:1]
	v_perm_b32 v16, v16, v20, s39
.LBB232_75:                             ;   in Loop: Header=BB232_41 Depth=1
	s_or_b64 exec, exec, s[12:13]
	v_and_b32_e32 v17, 0xffff, v17
	v_lshl_or_b32 v32, v29, 16, v17
	v_and_b32_e32 v17, 0xffff, v30
	v_lshl_or_b32 v31, v31, 16, v17
	v_and_b32_e32 v17, 0xffff, v33
	v_lshl_or_b32 v30, v34, 16, v17
	v_and_b32_e32 v17, 0xffff, v35
	v_lshl_or_b32 v29, v36, 16, v17
	;;#ASMSTART
	v_pk_mul_f16 v17, v32, v19;

	;;#ASMEND
	;;#ASMSTART
	v_pk_mul_f16 v6, v31, v6;

	;;#ASMEND
	;; [unrolled: 4-line block ×4, first 2 shown]
	s_nop 0
	;;#ASMSTART
	v_pk_add_f16 v6, v17, v6;

	;;#ASMEND
	s_nop 0
	;;#ASMSTART
	v_pk_add_f16 v6, v6, v18;

	;;#ASMEND
	;; [unrolled: 5-line block ×3, first 2 shown]
	s_nop 0
	v_lshrrev_b32_e32 v16, 16, v6
	v_and_b32_e32 v6, 0xffff, v6
	;;#ASMSTART
	v_cvt_f32_f16 v22, v6;
	;;#ASMEND
	;;#ASMSTART
	v_cvt_f32_f16 v23, v16;
	;;#ASMEND
	s_and_saveexec_b64 s[12:13], vcc
	s_cbranch_execz .LBB232_40
; %bb.76:                               ;   in Loop: Header=BB232_41 Depth=1
	v_lshl_add_u64 v[18:19], v[14:15], 0, v[8:9]
	global_load_dwordx2 v[16:17], v[18:19], off
	global_load_dword v14, v7, s[14:15]
	s_mov_b64 s[0:1], 0
                                        ; implicit-def: $sgpr26
	s_waitcnt vmcnt(1)
	v_cmp_gt_i16_sdwa s[16:17], v16, s28 src0_sel:BYTE_0 src1_sel:DWORD
	s_and_saveexec_b64 s[18:19], s[16:17]
	s_xor_b64 s[16:17], exec, s[18:19]
	s_cbranch_execnz .LBB232_142
; %bb.77:                               ;   in Loop: Header=BB232_41 Depth=1
	s_or_saveexec_b64 s[16:17], s[16:17]
	v_mov_b32_e32 v18, s26
	s_xor_b64 exec, exec, s[16:17]
	s_cbranch_execnz .LBB232_145
.LBB232_78:                             ;   in Loop: Header=BB232_41 Depth=1
	s_or_b64 exec, exec, s[16:17]
	s_and_saveexec_b64 s[16:17], s[0:1]
	s_cbranch_execz .LBB232_80
.LBB232_79:                             ;   in Loop: Header=BB232_41 Depth=1
	v_and_b32_e32 v6, 7, v16
	v_ffbh_u32_e32 v6, v6
	v_bfe_u32 v15, v16, 3, 4
	v_min_u32_e32 v6, 32, v6
	v_subrev_u32_e32 v18, 28, v6
	v_sub_u32_e32 v6, 29, v6
	v_cmp_eq_u32_e64 s[0:1], 0, v15
	s_nop 1
	v_cndmask_b32_e64 v6, v15, v6, s[0:1]
	v_cndmask_b32_e64 v15, 0, v18, s[0:1]
	v_lshlrev_b64 v[18:19], v15, v[16:17]
	v_lshlrev_b32_e32 v15, 7, v18
	v_lshlrev_b32_e32 v18, 8, v16
	v_lshl_add_u32 v6, v6, 10, v28
	v_and_or_b32 v6, v18, s35, v6
	v_and_or_b32 v6, v15, s36, v6
	v_cvt_f32_f16_e32 v18, v6
.LBB232_80:                             ;   in Loop: Header=BB232_41 Depth=1
	s_or_b64 exec, exec, s[16:17]
	v_lshrrev_b16_e32 v6, 8, v16
	v_cmp_lt_i16_e64 s[0:1], s28, v6
	s_mov_b64 s[16:17], 0
                                        ; implicit-def: $sgpr40
	s_and_saveexec_b64 s[18:19], s[0:1]
	s_xor_b64 s[18:19], exec, s[18:19]
	s_cbranch_execnz .LBB232_146
; %bb.81:                               ;   in Loop: Header=BB232_41 Depth=1
	s_or_saveexec_b64 s[18:19], s[18:19]
	v_mov_b32_e32 v20, s40
	s_xor_b64 exec, exec, s[18:19]
	s_cbranch_execnz .LBB232_149
.LBB232_82:                             ;   in Loop: Header=BB232_41 Depth=1
	s_or_b64 exec, exec, s[18:19]
	s_and_saveexec_b64 s[18:19], s[16:17]
	s_cbranch_execz .LBB232_84
.LBB232_83:                             ;   in Loop: Header=BB232_41 Depth=1
	v_and_b32_e32 v15, 7, v6
	v_ffbh_u32_e32 v20, v15
	v_min_u32_e32 v33, 32, v20
	v_subrev_u32_e32 v20, 28, v33
	v_bfe_u32 v19, v6, 3, 4
	v_lshlrev_b64 v[20:21], v20, v[6:7]
	v_sub_u32_e32 v21, 29, v33
	v_cmp_eq_u32_e64 s[0:1], 0, v19
	v_and_b32_e32 v20, 7, v20
	v_lshlrev_b32_e32 v6, 8, v6
	v_cndmask_b32_e64 v19, v19, v21, s[0:1]
	v_lshl_add_u32 v19, v19, 10, v28
	v_cndmask_b32_e64 v15, v15, v20, s[0:1]
	v_and_or_b32 v6, v6, s35, v19
	v_lshl_or_b32 v6, v15, 7, v6
	v_cvt_f32_f16_e32 v20, v6
.LBB232_84:                             ;   in Loop: Header=BB232_41 Depth=1
	s_or_b64 exec, exec, s[18:19]
	v_lshrrev_b32_e32 v6, 16, v16
	v_cmp_gt_i16_sdwa s[16:17], v6, s28 src0_sel:BYTE_0 src1_sel:DWORD
	s_mov_b64 s[0:1], 0
                                        ; implicit-def: $sgpr26
	s_and_saveexec_b64 s[18:19], s[16:17]
	s_xor_b64 s[16:17], exec, s[18:19]
	s_cbranch_execnz .LBB232_150
; %bb.85:                               ;   in Loop: Header=BB232_41 Depth=1
	s_or_saveexec_b64 s[16:17], s[16:17]
	v_mov_b32_e32 v19, s26
	s_xor_b64 exec, exec, s[16:17]
	s_cbranch_execnz .LBB232_153
.LBB232_86:                             ;   in Loop: Header=BB232_41 Depth=1
	s_or_b64 exec, exec, s[16:17]
	s_and_saveexec_b64 s[16:17], s[0:1]
	s_cbranch_execz .LBB232_88
.LBB232_87:                             ;   in Loop: Header=BB232_41 Depth=1
	v_bfe_u32 v15, v16, 16, 3
	v_ffbh_u32_e32 v21, v15
	v_bfe_u32 v19, v16, 19, 4
	v_min_u32_e32 v21, 32, v21
	v_subrev_u32_e32 v33, 28, v21
	v_sub_u32_e32 v21, 29, v21
	v_cmp_eq_u32_e64 s[0:1], 0, v19
	v_lshlrev_b64 v[34:35], v33, v[6:7]
	v_and_b32_e32 v33, 7, v34
	v_cndmask_b32_e64 v19, v19, v21, s[0:1]
	v_lshlrev_b32_e32 v6, 8, v6
	v_lshl_add_u32 v19, v19, 10, v28
	v_cndmask_b32_e64 v15, v15, v33, s[0:1]
	v_and_or_b32 v6, v6, s35, v19
	v_lshl_or_b32 v6, v15, 7, v6
	v_cvt_f32_f16_e32 v19, v6
.LBB232_88:                             ;   in Loop: Header=BB232_41 Depth=1
	s_or_b64 exec, exec, s[16:17]
	v_lshrrev_b32_e32 v6, 24, v16
	v_cmp_lt_i16_e64 s[0:1], s28, v6
	s_mov_b64 s[16:17], 0
                                        ; implicit-def: $sgpr40
	s_and_saveexec_b64 s[18:19], s[0:1]
	s_xor_b64 s[18:19], exec, s[18:19]
	s_cbranch_execnz .LBB232_154
; %bb.89:                               ;   in Loop: Header=BB232_41 Depth=1
	s_or_saveexec_b64 s[18:19], s[18:19]
	v_mov_b32_e32 v21, s40
	s_xor_b64 exec, exec, s[18:19]
	s_cbranch_execnz .LBB232_157
.LBB232_90:                             ;   in Loop: Header=BB232_41 Depth=1
	s_or_b64 exec, exec, s[18:19]
	s_and_saveexec_b64 s[18:19], s[16:17]
	s_cbranch_execz .LBB232_92
.LBB232_91:                             ;   in Loop: Header=BB232_41 Depth=1
	v_bfe_u32 v15, v16, 24, 3
	v_ffbh_u32_e32 v21, v15
	v_bfe_u32 v16, v16, 27, 4
	v_min_u32_e32 v21, 32, v21
	v_subrev_u32_e32 v33, 28, v21
	v_sub_u32_e32 v21, 29, v21
	v_cmp_eq_u32_e64 s[0:1], 0, v16
	v_lshlrev_b64 v[34:35], v33, v[6:7]
	v_and_b32_e32 v33, 7, v34
	v_cndmask_b32_e64 v16, v16, v21, s[0:1]
	v_lshlrev_b32_e32 v6, 8, v6
	v_lshl_add_u32 v16, v16, 10, v28
	v_cndmask_b32_e64 v15, v15, v33, s[0:1]
	v_and_or_b32 v6, v6, s35, v16
	v_lshl_or_b32 v6, v15, 7, v6
	v_cvt_f32_f16_e32 v21, v6
.LBB232_92:                             ;   in Loop: Header=BB232_41 Depth=1
	s_or_b64 exec, exec, s[18:19]
	v_cmp_gt_i16_sdwa s[16:17], v17, s28 src0_sel:BYTE_0 src1_sel:DWORD
	s_mov_b64 s[0:1], 0
                                        ; implicit-def: $sgpr26
	s_and_saveexec_b64 s[18:19], s[16:17]
	s_xor_b64 s[16:17], exec, s[18:19]
	s_cbranch_execnz .LBB232_158
; %bb.93:                               ;   in Loop: Header=BB232_41 Depth=1
	s_or_saveexec_b64 s[16:17], s[16:17]
	v_mov_b32_e32 v15, s26
	s_xor_b64 exec, exec, s[16:17]
	s_cbranch_execnz .LBB232_161
.LBB232_94:                             ;   in Loop: Header=BB232_41 Depth=1
	s_or_b64 exec, exec, s[16:17]
	v_mov_b32_e32 v6, v17
	s_and_saveexec_b64 s[16:17], s[0:1]
	s_cbranch_execz .LBB232_96
.LBB232_95:                             ;   in Loop: Header=BB232_41 Depth=1
	v_and_b32_e32 v15, 7, v17
	v_ffbh_u32_e32 v15, v15
	v_bfe_u32 v16, v17, 3, 4
	v_min_u32_e32 v15, 32, v15
	v_subrev_u32_e32 v33, 28, v15
	v_sub_u32_e32 v15, 29, v15
	v_cmp_eq_u32_e64 s[0:1], 0, v16
	s_nop 1
	v_cndmask_b32_e64 v15, v16, v15, s[0:1]
	v_cndmask_b32_e64 v16, 0, v33, s[0:1]
	v_lshlrev_b64 v[34:35], v16, v[6:7]
	v_lshlrev_b32_e32 v33, 8, v17
	v_lshl_add_u32 v15, v15, 10, v28
	v_lshlrev_b32_e32 v16, 7, v34
	v_and_or_b32 v15, v33, s35, v15
	v_and_or_b32 v15, v16, s36, v15
	v_cvt_f32_f16_e32 v15, v15
.LBB232_96:                             ;   in Loop: Header=BB232_41 Depth=1
	s_or_b64 exec, exec, s[16:17]
	v_lshrrev_b16_e32 v6, 8, v6
	v_cmp_lt_i16_e64 s[0:1], s28, v6
	s_mov_b64 s[16:17], 0
                                        ; implicit-def: $sgpr40
	s_and_saveexec_b64 s[18:19], s[0:1]
	s_xor_b64 s[18:19], exec, s[18:19]
	s_cbranch_execnz .LBB232_162
; %bb.97:                               ;   in Loop: Header=BB232_41 Depth=1
	s_or_saveexec_b64 s[18:19], s[18:19]
	v_mov_b32_e32 v16, s40
	s_xor_b64 exec, exec, s[18:19]
	s_cbranch_execnz .LBB232_165
.LBB232_98:                             ;   in Loop: Header=BB232_41 Depth=1
	s_or_b64 exec, exec, s[18:19]
	s_and_saveexec_b64 s[18:19], s[16:17]
	s_cbranch_execz .LBB232_100
.LBB232_99:                             ;   in Loop: Header=BB232_41 Depth=1
	v_and_b32_e32 v16, 7, v6
	v_ffbh_u32_e32 v34, v16
	v_min_u32_e32 v36, 32, v34
	v_subrev_u32_e32 v34, 28, v36
	v_bfe_u32 v33, v6, 3, 4
	v_lshlrev_b64 v[34:35], v34, v[6:7]
	v_sub_u32_e32 v35, 29, v36
	v_cmp_eq_u32_e64 s[0:1], 0, v33
	v_and_b32_e32 v34, 7, v34
	v_lshlrev_b32_e32 v6, 8, v6
	v_cndmask_b32_e64 v33, v33, v35, s[0:1]
	v_lshl_add_u32 v33, v33, 10, v28
	v_cndmask_b32_e64 v16, v16, v34, s[0:1]
	v_and_or_b32 v6, v6, s35, v33
	v_lshl_or_b32 v6, v16, 7, v6
	v_cvt_f32_f16_e32 v16, v6
.LBB232_100:                            ;   in Loop: Header=BB232_41 Depth=1
	s_or_b64 exec, exec, s[18:19]
	v_lshrrev_b32_e32 v6, 16, v17
	v_cmp_gt_i16_sdwa s[16:17], v6, s28 src0_sel:BYTE_0 src1_sel:DWORD
	s_mov_b64 s[0:1], 0
                                        ; implicit-def: $sgpr26
	s_and_saveexec_b64 s[18:19], s[16:17]
	s_xor_b64 s[16:17], exec, s[18:19]
	s_cbranch_execnz .LBB232_166
; %bb.101:                              ;   in Loop: Header=BB232_41 Depth=1
	s_or_saveexec_b64 s[16:17], s[16:17]
	v_mov_b32_e32 v33, s26
	s_xor_b64 exec, exec, s[16:17]
	s_cbranch_execnz .LBB232_169
.LBB232_102:                            ;   in Loop: Header=BB232_41 Depth=1
	s_or_b64 exec, exec, s[16:17]
	s_and_saveexec_b64 s[16:17], s[0:1]
	s_cbranch_execz .LBB232_104
.LBB232_103:                            ;   in Loop: Header=BB232_41 Depth=1
	v_bfe_u32 v33, v17, 16, 3
	v_ffbh_u32_e32 v34, v33
	v_min_u32_e32 v37, 32, v34
	v_subrev_u32_e32 v34, 28, v37
	v_bfe_u32 v36, v17, 19, 4
	v_lshlrev_b64 v[34:35], v34, v[6:7]
	v_sub_u32_e32 v35, 29, v37
	v_cmp_eq_u32_e64 s[0:1], 0, v36
	v_and_b32_e32 v34, 7, v34
	v_lshlrev_b32_e32 v6, 8, v6
	v_cndmask_b32_e64 v35, v36, v35, s[0:1]
	v_cndmask_b32_e64 v33, v33, v34, s[0:1]
	v_lshl_add_u32 v34, v35, 10, v28
	v_and_or_b32 v6, v6, s35, v34
	v_lshl_or_b32 v6, v33, 7, v6
	v_cvt_f32_f16_e32 v33, v6
.LBB232_104:                            ;   in Loop: Header=BB232_41 Depth=1
	s_or_b64 exec, exec, s[16:17]
	v_lshrrev_b32_e32 v6, 24, v17
	v_cmp_lt_i16_e64 s[0:1], s28, v6
	s_mov_b64 s[16:17], 0
                                        ; implicit-def: $sgpr40
	s_and_saveexec_b64 s[18:19], s[0:1]
	s_xor_b64 s[18:19], exec, s[18:19]
	s_cbranch_execnz .LBB232_170
; %bb.105:                              ;   in Loop: Header=BB232_41 Depth=1
	s_or_saveexec_b64 s[18:19], s[18:19]
	v_mov_b32_e32 v34, s40
	s_xor_b64 exec, exec, s[18:19]
	s_cbranch_execnz .LBB232_173
.LBB232_106:                            ;   in Loop: Header=BB232_41 Depth=1
	s_or_b64 exec, exec, s[18:19]
	s_and_saveexec_b64 s[18:19], s[16:17]
	s_cbranch_execz .LBB232_108
.LBB232_107:                            ;   in Loop: Header=BB232_41 Depth=1
	v_bfe_u32 v36, v17, 24, 3
	v_ffbh_u32_e32 v34, v36
	v_min_u32_e32 v37, 32, v34
	v_subrev_u32_e32 v34, 28, v37
	v_bfe_u32 v17, v17, 27, 4
	v_lshlrev_b64 v[34:35], v34, v[6:7]
	v_sub_u32_e32 v35, 29, v37
	v_cmp_eq_u32_e64 s[0:1], 0, v17
	v_and_b32_e32 v34, 7, v34
	v_lshlrev_b32_e32 v6, 8, v6
	v_cndmask_b32_e64 v17, v17, v35, s[0:1]
	v_lshl_add_u32 v17, v17, 10, v28
	v_cndmask_b32_e64 v34, v36, v34, s[0:1]
	v_and_or_b32 v6, v6, s35, v17
	v_lshl_or_b32 v6, v34, 7, v6
	v_cvt_f32_f16_e32 v34, v6
.LBB232_108:                            ;   in Loop: Header=BB232_41 Depth=1
	s_or_b64 exec, exec, s[18:19]
	s_waitcnt vmcnt(0)
	v_pk_mul_f32 v[20:21], v[14:15], v[20:21] op_sel_hi:[0,1]
	v_pk_mul_f32 v[18:19], v[14:15], v[18:19] op_sel_hi:[0,1]
	v_cvt_f16_f32_e32 v6, v21
	v_cvt_f16_f32_e32 v17, v20
	;; [unrolled: 1-line block ×4, first 2 shown]
	v_fma_mixlo_f16 v16, v14, v16, 0
	v_lshlrev_b32_e32 v16, 16, v16
	v_fma_mixlo_f16 v15, v14, v15, 0
	v_or_b32_sdwa v15, v16, v15 dst_sel:DWORD dst_unused:UNUSED_PAD src0_sel:DWORD src1_sel:WORD_0
	v_fma_mixlo_f16 v16, v14, v33, 0
	v_fma_mixlo_f16 v14, v14, v34, 0
	v_pack_b32_f16 v17, v17, v6
	v_pack_b32_f16 v18, v18, v19
	v_lshlrev_b32_e32 v14, 16, v14
	v_perm_b32 v6, v18, v17, s37
	v_perm_b32 v17, v18, v17, s38
	v_or_b32_sdwa v14, v14, v16 dst_sel:DWORD dst_unused:UNUSED_PAD src0_sel:DWORD src1_sel:WORD_0
	s_and_saveexec_b64 s[16:17], s[2:3]
	s_cbranch_execz .LBB232_39
; %bb.109:                              ;   in Loop: Header=BB232_41 Depth=1
	v_add_u32_e32 v18, 1, v26
	v_lshrrev_b32_e32 v19, 16, v17
	v_cmp_gt_i32_e64 s[0:1], s31, v18
	v_lshrrev_b32_e32 v20, 16, v6
	v_lshrrev_b32_e32 v14, 16, v14
	v_cndmask_b32_e64 v18, 0, v19, s[0:1]
	v_cmp_gt_i32_e64 s[0:1], s21, v26
	v_or_b32_e32 v19, 2, v26
	s_nop 0
	v_cndmask_b32_e64 v17, 0, v17, s[0:1]
	v_perm_b32 v17, v18, v17, s39
	v_or_b32_e32 v18, 3, v26
	v_cmp_gt_i32_e64 s[0:1], s31, v18
	s_nop 1
	v_cndmask_b32_e64 v18, 0, v20, s[0:1]
	v_cmp_gt_i32_e64 s[0:1], s21, v19
	v_or_b32_e32 v19, 4, v26
	v_lshrrev_b32_e32 v20, 16, v15
	v_cndmask_b32_e64 v6, 0, v6, s[0:1]
	v_perm_b32 v6, v18, v6, s39
	v_or_b32_e32 v18, 5, v26
	v_cmp_gt_i32_e64 s[0:1], s31, v18
	s_nop 1
	v_cndmask_b32_e64 v18, 0, v20, s[0:1]
	v_cmp_gt_i32_e64 s[0:1], s21, v19
	v_or_b32_e32 v19, 6, v26
	s_nop 0
	v_cndmask_b32_e64 v15, 0, v15, s[0:1]
	v_perm_b32 v15, v18, v15, s39
	v_or_b32_e32 v18, 7, v26
	v_cmp_gt_i32_e64 s[0:1], s31, v18
	s_nop 1
	v_cndmask_b32_e64 v14, 0, v14, s[0:1]
	v_cmp_gt_i32_e64 s[0:1], s21, v19
	s_nop 1
	v_cndmask_b32_e64 v16, 0, v16, s[0:1]
	v_perm_b32 v14, v14, v16, s39
	s_branch .LBB232_39
.LBB232_110:                            ;   in Loop: Header=BB232_41 Depth=1
	v_cmp_eq_u16_sdwa s[18:19], v18, s29 src0_sel:BYTE_0 src1_sel:DWORD
	s_mov_b64 s[0:1], -1
                                        ; implicit-def: $sgpr16
	s_and_saveexec_b64 s[12:13], s[18:19]
; %bb.111:                              ;   in Loop: Header=BB232_41 Depth=1
	s_mov_b32 s16, 0x7fc02000
	s_xor_b64 s[0:1], exec, -1
; %bb.112:                              ;   in Loop: Header=BB232_41 Depth=1
	s_or_b64 exec, exec, s[12:13]
	s_and_b64 s[0:1], s[0:1], exec
	s_or_saveexec_b64 s[2:3], s[2:3]
	v_mov_b32_e32 v20, s16
	s_xor_b64 exec, exec, s[2:3]
	s_cbranch_execz .LBB232_43
.LBB232_113:                            ;   in Loop: Header=BB232_41 Depth=1
	v_cmp_ne_u16_sdwa s[12:13], v18, v7 src0_sel:BYTE_0 src1_sel:DWORD
	s_andn2_b64 s[0:1], s[0:1], exec
	s_and_b64 s[12:13], s[12:13], exec
	v_mov_b32_e32 v20, 0
	s_or_b64 s[0:1], s[0:1], s[12:13]
	s_or_b64 exec, exec, s[2:3]
	s_and_saveexec_b64 s[2:3], s[0:1]
	s_cbranch_execnz .LBB232_44
	s_branch .LBB232_45
.LBB232_114:                            ;   in Loop: Header=BB232_41 Depth=1
	v_cmp_eq_u16_e64 s[0:1], s29, v6
	s_mov_b64 s[2:3], -1
                                        ; implicit-def: $sgpr18
	s_and_saveexec_b64 s[16:17], s[0:1]
; %bb.115:                              ;   in Loop: Header=BB232_41 Depth=1
	s_mov_b32 s18, 0x7fc02000
	s_xor_b64 s[2:3], exec, -1
; %bb.116:                              ;   in Loop: Header=BB232_41 Depth=1
	s_or_b64 exec, exec, s[16:17]
	s_and_b64 s[2:3], s[2:3], exec
	s_or_saveexec_b64 s[12:13], s[12:13]
	v_mov_b32_e32 v22, s18
	s_xor_b64 exec, exec, s[12:13]
	s_cbranch_execz .LBB232_47
.LBB232_117:                            ;   in Loop: Header=BB232_41 Depth=1
	v_cmp_ne_u16_e64 s[0:1], 0, v6
	s_andn2_b64 s[2:3], s[2:3], exec
	s_and_b64 s[0:1], s[0:1], exec
	v_mov_b32_e32 v22, 0
	s_or_b64 s[2:3], s[2:3], s[0:1]
	s_or_b64 exec, exec, s[12:13]
	s_and_saveexec_b64 s[12:13], s[2:3]
	s_cbranch_execnz .LBB232_48
	s_branch .LBB232_49
.LBB232_118:                            ;   in Loop: Header=BB232_41 Depth=1
	v_cmp_eq_u16_sdwa s[18:19], v6, s29 src0_sel:BYTE_0 src1_sel:DWORD
	s_mov_b64 s[0:1], -1
                                        ; implicit-def: $sgpr16
	s_and_saveexec_b64 s[12:13], s[18:19]
; %bb.119:                              ;   in Loop: Header=BB232_41 Depth=1
	s_mov_b32 s16, 0x7fc02000
	s_xor_b64 s[0:1], exec, -1
; %bb.120:                              ;   in Loop: Header=BB232_41 Depth=1
	s_or_b64 exec, exec, s[12:13]
	s_and_b64 s[0:1], s[0:1], exec
	s_or_saveexec_b64 s[2:3], s[2:3]
	v_mov_b32_e32 v21, s16
	s_xor_b64 exec, exec, s[2:3]
	s_cbranch_execz .LBB232_51
.LBB232_121:                            ;   in Loop: Header=BB232_41 Depth=1
	v_cmp_ne_u16_sdwa s[12:13], v6, v7 src0_sel:BYTE_0 src1_sel:DWORD
	s_andn2_b64 s[0:1], s[0:1], exec
	s_and_b64 s[12:13], s[12:13], exec
	v_mov_b32_e32 v21, 0
	s_or_b64 s[0:1], s[0:1], s[12:13]
	s_or_b64 exec, exec, s[2:3]
	s_and_saveexec_b64 s[2:3], s[0:1]
	s_cbranch_execnz .LBB232_52
	s_branch .LBB232_53
.LBB232_122:                            ;   in Loop: Header=BB232_41 Depth=1
	v_cmp_eq_u16_e64 s[0:1], s29, v6
	s_mov_b64 s[2:3], -1
                                        ; implicit-def: $sgpr18
	s_and_saveexec_b64 s[16:17], s[0:1]
; %bb.123:                              ;   in Loop: Header=BB232_41 Depth=1
	s_mov_b32 s18, 0x7fc02000
	s_xor_b64 s[2:3], exec, -1
; %bb.124:                              ;   in Loop: Header=BB232_41 Depth=1
	s_or_b64 exec, exec, s[16:17]
	s_and_b64 s[2:3], s[2:3], exec
	s_or_saveexec_b64 s[12:13], s[12:13]
	v_mov_b32_e32 v23, s18
	s_xor_b64 exec, exec, s[12:13]
	s_cbranch_execz .LBB232_55
.LBB232_125:                            ;   in Loop: Header=BB232_41 Depth=1
	v_cmp_ne_u16_e64 s[0:1], 0, v6
	s_andn2_b64 s[2:3], s[2:3], exec
	s_and_b64 s[0:1], s[0:1], exec
	v_mov_b32_e32 v23, 0
	s_or_b64 s[2:3], s[2:3], s[0:1]
	s_or_b64 exec, exec, s[12:13]
	s_and_saveexec_b64 s[12:13], s[2:3]
	s_cbranch_execnz .LBB232_56
	s_branch .LBB232_57
.LBB232_126:                            ;   in Loop: Header=BB232_41 Depth=1
	v_cmp_eq_u16_sdwa s[18:19], v19, s29 src0_sel:BYTE_0 src1_sel:DWORD
	s_mov_b64 s[0:1], -1
                                        ; implicit-def: $sgpr16
	s_and_saveexec_b64 s[12:13], s[18:19]
; %bb.127:                              ;   in Loop: Header=BB232_41 Depth=1
	s_mov_b32 s16, 0x7fc02000
	s_xor_b64 s[0:1], exec, -1
; %bb.128:                              ;   in Loop: Header=BB232_41 Depth=1
	s_or_b64 exec, exec, s[12:13]
	s_and_b64 s[0:1], s[0:1], exec
	s_or_saveexec_b64 s[2:3], s[2:3]
	v_mov_b32_e32 v18, s16
	s_xor_b64 exec, exec, s[2:3]
	s_cbranch_execz .LBB232_59
.LBB232_129:                            ;   in Loop: Header=BB232_41 Depth=1
	v_cmp_ne_u16_sdwa s[12:13], v19, v7 src0_sel:BYTE_0 src1_sel:DWORD
	s_andn2_b64 s[0:1], s[0:1], exec
	s_and_b64 s[12:13], s[12:13], exec
	v_mov_b32_e32 v18, 0
	s_or_b64 s[0:1], s[0:1], s[12:13]
	s_or_b64 exec, exec, s[2:3]
	v_mov_b32_e32 v6, v19
	s_and_saveexec_b64 s[2:3], s[0:1]
	s_cbranch_execnz .LBB232_60
	s_branch .LBB232_61
.LBB232_130:                            ;   in Loop: Header=BB232_41 Depth=1
	v_cmp_eq_u16_e64 s[0:1], s29, v6
	s_mov_b64 s[2:3], -1
                                        ; implicit-def: $sgpr18
	s_and_saveexec_b64 s[16:17], s[0:1]
; %bb.131:                              ;   in Loop: Header=BB232_41 Depth=1
	s_mov_b32 s18, 0x7fc02000
	s_xor_b64 s[2:3], exec, -1
; %bb.132:                              ;   in Loop: Header=BB232_41 Depth=1
	s_or_b64 exec, exec, s[16:17]
	s_and_b64 s[2:3], s[2:3], exec
	s_or_saveexec_b64 s[12:13], s[12:13]
	v_mov_b32_e32 v32, s18
	s_xor_b64 exec, exec, s[12:13]
	s_cbranch_execz .LBB232_63
.LBB232_133:                            ;   in Loop: Header=BB232_41 Depth=1
	v_cmp_ne_u16_e64 s[0:1], 0, v6
	s_andn2_b64 s[2:3], s[2:3], exec
	s_and_b64 s[0:1], s[0:1], exec
	v_mov_b32_e32 v32, 0
	s_or_b64 s[2:3], s[2:3], s[0:1]
	s_or_b64 exec, exec, s[12:13]
	s_and_saveexec_b64 s[12:13], s[2:3]
	s_cbranch_execnz .LBB232_64
	s_branch .LBB232_65
.LBB232_134:                            ;   in Loop: Header=BB232_41 Depth=1
	v_cmp_eq_u16_sdwa s[18:19], v6, s29 src0_sel:BYTE_0 src1_sel:DWORD
	s_mov_b64 s[0:1], -1
                                        ; implicit-def: $sgpr16
	s_and_saveexec_b64 s[12:13], s[18:19]
; %bb.135:                              ;   in Loop: Header=BB232_41 Depth=1
	s_mov_b32 s16, 0x7fc02000
	s_xor_b64 s[0:1], exec, -1
; %bb.136:                              ;   in Loop: Header=BB232_41 Depth=1
	s_or_b64 exec, exec, s[12:13]
	s_and_b64 s[0:1], s[0:1], exec
	s_or_saveexec_b64 s[2:3], s[2:3]
	v_mov_b32_e32 v37, s16
	s_xor_b64 exec, exec, s[2:3]
	s_cbranch_execz .LBB232_67
.LBB232_137:                            ;   in Loop: Header=BB232_41 Depth=1
	v_cmp_ne_u16_sdwa s[12:13], v6, v7 src0_sel:BYTE_0 src1_sel:DWORD
	s_andn2_b64 s[0:1], s[0:1], exec
	s_and_b64 s[12:13], s[12:13], exec
	v_mov_b32_e32 v37, 0
	s_or_b64 s[0:1], s[0:1], s[12:13]
	s_or_b64 exec, exec, s[2:3]
	s_and_saveexec_b64 s[2:3], s[0:1]
	s_cbranch_execnz .LBB232_68
	s_branch .LBB232_69
.LBB232_138:                            ;   in Loop: Header=BB232_41 Depth=1
	v_cmp_eq_u16_e64 s[0:1], s29, v6
	s_mov_b64 s[2:3], -1
                                        ; implicit-def: $sgpr18
	s_and_saveexec_b64 s[16:17], s[0:1]
; %bb.139:                              ;   in Loop: Header=BB232_41 Depth=1
	s_mov_b32 s18, 0x7fc02000
	s_xor_b64 s[2:3], exec, -1
; %bb.140:                              ;   in Loop: Header=BB232_41 Depth=1
	s_or_b64 exec, exec, s[16:17]
	s_and_b64 s[2:3], s[2:3], exec
	s_or_saveexec_b64 s[12:13], s[12:13]
	v_mov_b32_e32 v38, s18
	s_xor_b64 exec, exec, s[12:13]
	s_cbranch_execz .LBB232_71
.LBB232_141:                            ;   in Loop: Header=BB232_41 Depth=1
	v_cmp_ne_u16_e64 s[0:1], 0, v6
	s_andn2_b64 s[2:3], s[2:3], exec
	s_and_b64 s[0:1], s[0:1], exec
	v_mov_b32_e32 v38, 0
	s_or_b64 s[2:3], s[2:3], s[0:1]
	s_or_b64 exec, exec, s[12:13]
	s_and_saveexec_b64 s[12:13], s[2:3]
	s_cbranch_execnz .LBB232_72
	s_branch .LBB232_73
.LBB232_142:                            ;   in Loop: Header=BB232_41 Depth=1
	v_cmp_eq_u16_sdwa s[40:41], v16, s29 src0_sel:BYTE_0 src1_sel:DWORD
	s_mov_b64 s[0:1], -1
                                        ; implicit-def: $sgpr26
	s_and_saveexec_b64 s[18:19], s[40:41]
; %bb.143:                              ;   in Loop: Header=BB232_41 Depth=1
	s_mov_b32 s26, 0x7fc02000
	s_xor_b64 s[0:1], exec, -1
; %bb.144:                              ;   in Loop: Header=BB232_41 Depth=1
	s_or_b64 exec, exec, s[18:19]
	s_and_b64 s[0:1], s[0:1], exec
	s_or_saveexec_b64 s[16:17], s[16:17]
	v_mov_b32_e32 v18, s26
	s_xor_b64 exec, exec, s[16:17]
	s_cbranch_execz .LBB232_78
.LBB232_145:                            ;   in Loop: Header=BB232_41 Depth=1
	v_cmp_ne_u16_sdwa s[18:19], v16, v7 src0_sel:BYTE_0 src1_sel:DWORD
	s_andn2_b64 s[0:1], s[0:1], exec
	s_and_b64 s[18:19], s[18:19], exec
	v_mov_b32_e32 v18, 0
	s_or_b64 s[0:1], s[0:1], s[18:19]
	s_or_b64 exec, exec, s[16:17]
	s_and_saveexec_b64 s[16:17], s[0:1]
	s_cbranch_execnz .LBB232_79
	s_branch .LBB232_80
.LBB232_146:                            ;   in Loop: Header=BB232_41 Depth=1
	v_cmp_eq_u16_e64 s[0:1], s29, v6
	s_mov_b64 s[16:17], -1
                                        ; implicit-def: $sgpr40
	s_and_saveexec_b64 s[26:27], s[0:1]
; %bb.147:                              ;   in Loop: Header=BB232_41 Depth=1
	s_mov_b32 s40, 0x7fc02000
	s_xor_b64 s[16:17], exec, -1
; %bb.148:                              ;   in Loop: Header=BB232_41 Depth=1
	s_or_b64 exec, exec, s[26:27]
	s_and_b64 s[16:17], s[16:17], exec
	s_or_saveexec_b64 s[18:19], s[18:19]
	v_mov_b32_e32 v20, s40
	s_xor_b64 exec, exec, s[18:19]
	s_cbranch_execz .LBB232_82
.LBB232_149:                            ;   in Loop: Header=BB232_41 Depth=1
	v_cmp_ne_u16_e64 s[0:1], 0, v6
	s_andn2_b64 s[16:17], s[16:17], exec
	s_and_b64 s[0:1], s[0:1], exec
	v_mov_b32_e32 v20, 0
	s_or_b64 s[16:17], s[16:17], s[0:1]
	s_or_b64 exec, exec, s[18:19]
	s_and_saveexec_b64 s[18:19], s[16:17]
	s_cbranch_execnz .LBB232_83
	s_branch .LBB232_84
.LBB232_150:                            ;   in Loop: Header=BB232_41 Depth=1
	v_cmp_eq_u16_sdwa s[40:41], v6, s29 src0_sel:BYTE_0 src1_sel:DWORD
	s_mov_b64 s[0:1], -1
                                        ; implicit-def: $sgpr26
	s_and_saveexec_b64 s[18:19], s[40:41]
; %bb.151:                              ;   in Loop: Header=BB232_41 Depth=1
	s_mov_b32 s26, 0x7fc02000
	s_xor_b64 s[0:1], exec, -1
; %bb.152:                              ;   in Loop: Header=BB232_41 Depth=1
	s_or_b64 exec, exec, s[18:19]
	s_and_b64 s[0:1], s[0:1], exec
	s_or_saveexec_b64 s[16:17], s[16:17]
	v_mov_b32_e32 v19, s26
	s_xor_b64 exec, exec, s[16:17]
	s_cbranch_execz .LBB232_86
.LBB232_153:                            ;   in Loop: Header=BB232_41 Depth=1
	v_cmp_ne_u16_sdwa s[18:19], v6, v7 src0_sel:BYTE_0 src1_sel:DWORD
	s_andn2_b64 s[0:1], s[0:1], exec
	s_and_b64 s[18:19], s[18:19], exec
	v_mov_b32_e32 v19, 0
	s_or_b64 s[0:1], s[0:1], s[18:19]
	s_or_b64 exec, exec, s[16:17]
	s_and_saveexec_b64 s[16:17], s[0:1]
	s_cbranch_execnz .LBB232_87
	s_branch .LBB232_88
.LBB232_154:                            ;   in Loop: Header=BB232_41 Depth=1
	v_cmp_eq_u16_e64 s[0:1], s29, v6
	s_mov_b64 s[16:17], -1
                                        ; implicit-def: $sgpr40
	s_and_saveexec_b64 s[26:27], s[0:1]
; %bb.155:                              ;   in Loop: Header=BB232_41 Depth=1
	s_mov_b32 s40, 0x7fc02000
	s_xor_b64 s[16:17], exec, -1
; %bb.156:                              ;   in Loop: Header=BB232_41 Depth=1
	s_or_b64 exec, exec, s[26:27]
	s_and_b64 s[16:17], s[16:17], exec
	s_or_saveexec_b64 s[18:19], s[18:19]
	v_mov_b32_e32 v21, s40
	s_xor_b64 exec, exec, s[18:19]
	s_cbranch_execz .LBB232_90
.LBB232_157:                            ;   in Loop: Header=BB232_41 Depth=1
	v_cmp_ne_u16_e64 s[0:1], 0, v6
	s_andn2_b64 s[16:17], s[16:17], exec
	s_and_b64 s[0:1], s[0:1], exec
	v_mov_b32_e32 v21, 0
	s_or_b64 s[16:17], s[16:17], s[0:1]
	s_or_b64 exec, exec, s[18:19]
	s_and_saveexec_b64 s[18:19], s[16:17]
	s_cbranch_execnz .LBB232_91
	s_branch .LBB232_92
.LBB232_158:                            ;   in Loop: Header=BB232_41 Depth=1
	v_cmp_eq_u16_sdwa s[40:41], v17, s29 src0_sel:BYTE_0 src1_sel:DWORD
	s_mov_b64 s[0:1], -1
                                        ; implicit-def: $sgpr26
	s_and_saveexec_b64 s[18:19], s[40:41]
; %bb.159:                              ;   in Loop: Header=BB232_41 Depth=1
	s_mov_b32 s26, 0x7fc02000
	s_xor_b64 s[0:1], exec, -1
; %bb.160:                              ;   in Loop: Header=BB232_41 Depth=1
	s_or_b64 exec, exec, s[18:19]
	s_and_b64 s[0:1], s[0:1], exec
	s_or_saveexec_b64 s[16:17], s[16:17]
	v_mov_b32_e32 v15, s26
	s_xor_b64 exec, exec, s[16:17]
	s_cbranch_execz .LBB232_94
.LBB232_161:                            ;   in Loop: Header=BB232_41 Depth=1
	v_cmp_ne_u16_sdwa s[18:19], v17, v7 src0_sel:BYTE_0 src1_sel:DWORD
	s_andn2_b64 s[0:1], s[0:1], exec
	s_and_b64 s[18:19], s[18:19], exec
	v_mov_b32_e32 v15, 0
	s_or_b64 s[0:1], s[0:1], s[18:19]
	s_or_b64 exec, exec, s[16:17]
	v_mov_b32_e32 v6, v17
	s_and_saveexec_b64 s[16:17], s[0:1]
	s_cbranch_execnz .LBB232_95
	s_branch .LBB232_96
.LBB232_162:                            ;   in Loop: Header=BB232_41 Depth=1
	v_cmp_eq_u16_e64 s[0:1], s29, v6
	s_mov_b64 s[16:17], -1
                                        ; implicit-def: $sgpr40
	s_and_saveexec_b64 s[26:27], s[0:1]
; %bb.163:                              ;   in Loop: Header=BB232_41 Depth=1
	s_mov_b32 s40, 0x7fc02000
	s_xor_b64 s[16:17], exec, -1
; %bb.164:                              ;   in Loop: Header=BB232_41 Depth=1
	s_or_b64 exec, exec, s[26:27]
	s_and_b64 s[16:17], s[16:17], exec
	s_or_saveexec_b64 s[18:19], s[18:19]
	v_mov_b32_e32 v16, s40
	s_xor_b64 exec, exec, s[18:19]
	s_cbranch_execz .LBB232_98
.LBB232_165:                            ;   in Loop: Header=BB232_41 Depth=1
	v_cmp_ne_u16_e64 s[0:1], 0, v6
	s_andn2_b64 s[16:17], s[16:17], exec
	s_and_b64 s[0:1], s[0:1], exec
	v_mov_b32_e32 v16, 0
	s_or_b64 s[16:17], s[16:17], s[0:1]
	s_or_b64 exec, exec, s[18:19]
	s_and_saveexec_b64 s[18:19], s[16:17]
	s_cbranch_execnz .LBB232_99
	s_branch .LBB232_100
.LBB232_166:                            ;   in Loop: Header=BB232_41 Depth=1
	v_cmp_eq_u16_sdwa s[40:41], v6, s29 src0_sel:BYTE_0 src1_sel:DWORD
	s_mov_b64 s[0:1], -1
                                        ; implicit-def: $sgpr26
	s_and_saveexec_b64 s[18:19], s[40:41]
; %bb.167:                              ;   in Loop: Header=BB232_41 Depth=1
	s_mov_b32 s26, 0x7fc02000
	s_xor_b64 s[0:1], exec, -1
; %bb.168:                              ;   in Loop: Header=BB232_41 Depth=1
	s_or_b64 exec, exec, s[18:19]
	s_and_b64 s[0:1], s[0:1], exec
	s_or_saveexec_b64 s[16:17], s[16:17]
	v_mov_b32_e32 v33, s26
	s_xor_b64 exec, exec, s[16:17]
	s_cbranch_execz .LBB232_102
.LBB232_169:                            ;   in Loop: Header=BB232_41 Depth=1
	v_cmp_ne_u16_sdwa s[18:19], v6, v7 src0_sel:BYTE_0 src1_sel:DWORD
	s_andn2_b64 s[0:1], s[0:1], exec
	s_and_b64 s[18:19], s[18:19], exec
	v_mov_b32_e32 v33, 0
	s_or_b64 s[0:1], s[0:1], s[18:19]
	s_or_b64 exec, exec, s[16:17]
	s_and_saveexec_b64 s[16:17], s[0:1]
	s_cbranch_execnz .LBB232_103
	s_branch .LBB232_104
.LBB232_170:                            ;   in Loop: Header=BB232_41 Depth=1
	v_cmp_eq_u16_e64 s[0:1], s29, v6
	s_mov_b64 s[16:17], -1
                                        ; implicit-def: $sgpr40
	s_and_saveexec_b64 s[26:27], s[0:1]
; %bb.171:                              ;   in Loop: Header=BB232_41 Depth=1
	s_mov_b32 s40, 0x7fc02000
	s_xor_b64 s[16:17], exec, -1
; %bb.172:                              ;   in Loop: Header=BB232_41 Depth=1
	s_or_b64 exec, exec, s[26:27]
	s_and_b64 s[16:17], s[16:17], exec
	s_or_saveexec_b64 s[18:19], s[18:19]
	v_mov_b32_e32 v34, s40
	s_xor_b64 exec, exec, s[18:19]
	s_cbranch_execz .LBB232_106
.LBB232_173:                            ;   in Loop: Header=BB232_41 Depth=1
	v_cmp_ne_u16_e64 s[0:1], 0, v6
	s_andn2_b64 s[16:17], s[16:17], exec
	s_and_b64 s[0:1], s[0:1], exec
	v_mov_b32_e32 v34, 0
	s_or_b64 s[16:17], s[16:17], s[0:1]
	s_or_b64 exec, exec, s[18:19]
	s_and_saveexec_b64 s[18:19], s[16:17]
	s_cbranch_execnz .LBB232_107
	s_branch .LBB232_108
.LBB232_174:
	s_or_b64 exec, exec, s[10:11]
.LBB232_175:
	s_or_b64 exec, exec, s[8:9]
	v_and_b32_e32 v1, 0x3c0, v0
	v_cmp_eq_u32_e32 vcc, 64, v1
	s_barrier
	s_and_saveexec_b64 s[0:1], vcc
	s_cbranch_execz .LBB232_178
; %bb.176:
	v_mov_b32_e32 v1, 0x100
	v_lshl_add_u32 v3, v3, 2, v1
	ds_write_b32 v3, v25
	s_and_b64 exec, exec, s[6:7]
	s_cbranch_execz .LBB232_178
; %bb.177:
	v_lshl_add_u32 v1, v0, 2, v1
	ds_write_b32 v1, v24
.LBB232_178:
	s_or_b64 exec, exec, s[0:1]
	v_cmp_gt_u32_e32 vcc, 64, v0
	v_or_b32_e32 v1, 64, v0
	s_waitcnt lgkmcnt(0)
	s_barrier
	s_and_saveexec_b64 s[2:3], vcc
	s_cbranch_execz .LBB232_182
; %bb.179:
	v_mov_b32_e32 v3, 0x100
	v_lshl_add_u32 v3, v0, 2, v3
	ds_read_b32 v0, v3
	s_movk_i32 s0, 0x78
	v_cmp_gt_u32_e64 s[0:1], s0, v1
	s_and_saveexec_b64 s[6:7], s[0:1]
	s_cbranch_execz .LBB232_181
; %bb.180:
	ds_read_b32 v3, v3 offset:256
	s_waitcnt lgkmcnt(0)
	v_add_f32_e32 v24, v24, v3
.LBB232_181:
	s_or_b64 exec, exec, s[6:7]
	s_waitcnt lgkmcnt(0)
	v_add_f32_e32 v25, v25, v0
.LBB232_182:
	s_or_b64 exec, exec, s[2:3]
	s_barrier
	s_and_saveexec_b64 s[0:1], vcc
	s_cbranch_execz .LBB232_185
; %bb.183:
	s_mul_i32 s0, s20, s23
	s_mul_i32 s0, s0, s5
	s_mulk_i32 s0, 0x78
	s_ashr_i32 s1, s0, 31
	s_lshl_b64 s[0:1], s[0:1], 1
	s_add_u32 s3, s24, s0
	s_mul_i32 s0, s23, s22
	s_addc_u32 s5, s25, s1
	s_ashr_i32 s1, s0, 31
	s_lshl_b64 s[0:1], s[0:1], 1
	s_add_u32 s3, s3, s0
	s_mul_i32 s0, s4, 0x78
	s_addc_u32 s5, s5, s1
	s_ashr_i32 s1, s0, 31
	s_lshl_b64 s[0:1], s[0:1], 1
	s_movk_i32 s2, 0x78
	s_add_u32 s0, s3, s0
	s_addc_u32 s1, s5, s1
	v_cmp_gt_u32_e32 vcc, s2, v1
	;;#ASMSTART
	v_cvt_f16_f32 v0, v25;

	;;#ASMEND
	global_store_short v2, v0, s[0:1]
	s_and_b64 exec, exec, vcc
	s_cbranch_execz .LBB232_185
; %bb.184:
	v_mov_b32_e32 v3, 0
	v_lshl_add_u64 v[0:1], s[0:1], 0, v[2:3]
	;;#ASMSTART
	v_cvt_f16_f32 v2, v24;

	;;#ASMEND
	global_store_short v[0:1], v2, off offset:128
.LBB232_185:
	s_endpgm
	.section	.rodata,"a",@progbits
	.p2align	6, 0x0
	.amdhsa_kernel _ZN4vllm25paged_attention_v1_kernelIthLi120ELi8ELi128ELNS_18Fp8KVCacheDataTypeE1ELb0EEEvPT_PKS2_PKT0_S8_ifPKiSA_iPKfiiiSC_SC_iiiii
		.amdhsa_group_segment_fixed_size 256
		.amdhsa_private_segment_fixed_size 0
		.amdhsa_kernarg_size 384
		.amdhsa_user_sgpr_count 2
		.amdhsa_user_sgpr_dispatch_ptr 0
		.amdhsa_user_sgpr_queue_ptr 0
		.amdhsa_user_sgpr_kernarg_segment_ptr 1
		.amdhsa_user_sgpr_dispatch_id 0
		.amdhsa_user_sgpr_kernarg_preload_length 0
		.amdhsa_user_sgpr_kernarg_preload_offset 0
		.amdhsa_user_sgpr_private_segment_size 0
		.amdhsa_uses_dynamic_stack 0
		.amdhsa_enable_private_segment 0
		.amdhsa_system_sgpr_workgroup_id_x 1
		.amdhsa_system_sgpr_workgroup_id_y 1
		.amdhsa_system_sgpr_workgroup_id_z 1
		.amdhsa_system_sgpr_workgroup_info 0
		.amdhsa_system_vgpr_workitem_id 0
		.amdhsa_next_free_vgpr 48
		.amdhsa_next_free_sgpr 42
		.amdhsa_accum_offset 48
		.amdhsa_reserve_vcc 1
		.amdhsa_float_round_mode_32 0
		.amdhsa_float_round_mode_16_64 0
		.amdhsa_float_denorm_mode_32 3
		.amdhsa_float_denorm_mode_16_64 3
		.amdhsa_dx10_clamp 1
		.amdhsa_ieee_mode 1
		.amdhsa_fp16_overflow 0
		.amdhsa_tg_split 0
		.amdhsa_exception_fp_ieee_invalid_op 0
		.amdhsa_exception_fp_denorm_src 0
		.amdhsa_exception_fp_ieee_div_zero 0
		.amdhsa_exception_fp_ieee_overflow 0
		.amdhsa_exception_fp_ieee_underflow 0
		.amdhsa_exception_fp_ieee_inexact 0
		.amdhsa_exception_int_div_zero 0
	.end_amdhsa_kernel
	.section	.text._ZN4vllm25paged_attention_v1_kernelIthLi120ELi8ELi128ELNS_18Fp8KVCacheDataTypeE1ELb0EEEvPT_PKS2_PKT0_S8_ifPKiSA_iPKfiiiSC_SC_iiiii,"axG",@progbits,_ZN4vllm25paged_attention_v1_kernelIthLi120ELi8ELi128ELNS_18Fp8KVCacheDataTypeE1ELb0EEEvPT_PKS2_PKT0_S8_ifPKiSA_iPKfiiiSC_SC_iiiii,comdat
.Lfunc_end232:
	.size	_ZN4vllm25paged_attention_v1_kernelIthLi120ELi8ELi128ELNS_18Fp8KVCacheDataTypeE1ELb0EEEvPT_PKS2_PKT0_S8_ifPKiSA_iPKfiiiSC_SC_iiiii, .Lfunc_end232-_ZN4vllm25paged_attention_v1_kernelIthLi120ELi8ELi128ELNS_18Fp8KVCacheDataTypeE1ELb0EEEvPT_PKS2_PKT0_S8_ifPKiSA_iPKfiiiSC_SC_iiiii
                                        ; -- End function
	.section	.AMDGPU.csdata,"",@progbits
; Kernel info:
; codeLenInByte = 9208
; NumSgprs: 48
; NumVgprs: 48
; NumAgprs: 0
; TotalNumVgprs: 48
; ScratchSize: 0
; MemoryBound: 0
; FloatMode: 240
; IeeeMode: 1
; LDSByteSize: 256 bytes/workgroup (compile time only)
; SGPRBlocks: 5
; VGPRBlocks: 5
; NumSGPRsForWavesPerEU: 48
; NumVGPRsForWavesPerEU: 48
; AccumOffset: 48
; Occupancy: 8
; WaveLimiterHint : 1
; COMPUTE_PGM_RSRC2:SCRATCH_EN: 0
; COMPUTE_PGM_RSRC2:USER_SGPR: 2
; COMPUTE_PGM_RSRC2:TRAP_HANDLER: 0
; COMPUTE_PGM_RSRC2:TGID_X_EN: 1
; COMPUTE_PGM_RSRC2:TGID_Y_EN: 1
; COMPUTE_PGM_RSRC2:TGID_Z_EN: 1
; COMPUTE_PGM_RSRC2:TIDIG_COMP_CNT: 0
; COMPUTE_PGM_RSRC3_GFX90A:ACCUM_OFFSET: 11
; COMPUTE_PGM_RSRC3_GFX90A:TG_SPLIT: 0
	.section	.text._ZN4vllm25paged_attention_v1_kernelIthLi128ELi8ELi128ELNS_18Fp8KVCacheDataTypeE1ELb0EEEvPT_PKS2_PKT0_S8_ifPKiSA_iPKfiiiSC_SC_iiiii,"axG",@progbits,_ZN4vllm25paged_attention_v1_kernelIthLi128ELi8ELi128ELNS_18Fp8KVCacheDataTypeE1ELb0EEEvPT_PKS2_PKT0_S8_ifPKiSA_iPKfiiiSC_SC_iiiii,comdat
	.protected	_ZN4vllm25paged_attention_v1_kernelIthLi128ELi8ELi128ELNS_18Fp8KVCacheDataTypeE1ELb0EEEvPT_PKS2_PKT0_S8_ifPKiSA_iPKfiiiSC_SC_iiiii ; -- Begin function _ZN4vllm25paged_attention_v1_kernelIthLi128ELi8ELi128ELNS_18Fp8KVCacheDataTypeE1ELb0EEEvPT_PKS2_PKT0_S8_ifPKiSA_iPKfiiiSC_SC_iiiii
	.globl	_ZN4vllm25paged_attention_v1_kernelIthLi128ELi8ELi128ELNS_18Fp8KVCacheDataTypeE1ELb0EEEvPT_PKS2_PKT0_S8_ifPKiSA_iPKfiiiSC_SC_iiiii
	.p2align	8
	.type	_ZN4vllm25paged_attention_v1_kernelIthLi128ELi8ELi128ELNS_18Fp8KVCacheDataTypeE1ELb0EEEvPT_PKS2_PKT0_S8_ifPKiSA_iPKfiiiSC_SC_iiiii,@function
_ZN4vllm25paged_attention_v1_kernelIthLi128ELi8ELi128ELNS_18Fp8KVCacheDataTypeE1ELb0EEEvPT_PKS2_PKT0_S8_ifPKiSA_iPKfiiiSC_SC_iiiii: ; @_ZN4vllm25paged_attention_v1_kernelIthLi128ELi8ELi128ELNS_18Fp8KVCacheDataTypeE1ELb0EEEvPT_PKS2_PKT0_S8_ifPKiSA_iPKfiiiSC_SC_iiiii
; %bb.0:
	s_load_dword s5, s[0:1], 0x80
	s_load_dwordx2 s[6:7], s[0:1], 0x30
	s_load_dwordx2 s[28:29], s[0:1], 0x20
	s_mov_b32 s16, s3
	s_ashr_i32 s17, s3, 31
	s_lshl_b64 s[8:9], s[16:17], 2
	s_waitcnt lgkmcnt(0)
	s_add_u32 s6, s6, s8
	s_addc_u32 s7, s7, s9
	s_abs_i32 s3, s28
	v_cvt_f32_u32_e32 v1, s3
	s_sub_i32 s10, 0, s3
	s_abs_i32 s9, s5
	s_xor_b32 s8, s5, s28
	v_rcp_iflag_f32_e32 v1, v1
	s_ashr_i32 s8, s8, 31
	s_mov_b32 s28, 0
	v_mul_f32_e32 v1, 0x4f7ffffe, v1
	v_cvt_u32_f32_e32 v1, v1
	s_nop 0
	v_readfirstlane_b32 s11, v1
	s_mul_i32 s10, s10, s11
	s_mul_hi_u32 s10, s11, s10
	s_add_i32 s11, s11, s10
	s_mul_hi_u32 s10, s9, s11
	s_mul_i32 s11, s10, s3
	s_sub_i32 s9, s9, s11
	s_add_i32 s11, s10, 1
	s_sub_i32 s12, s9, s3
	s_cmp_ge_u32 s9, s3
	s_cselect_b32 s10, s11, s10
	s_cselect_b32 s9, s12, s9
	s_add_i32 s11, s10, 1
	s_cmp_ge_u32 s9, s3
	s_cselect_b32 s3, s11, s10
	s_xor_b32 s3, s3, s8
	s_sub_i32 s12, s3, s8
	s_abs_i32 s10, s12
	v_cvt_f32_u32_e32 v1, s10
	s_load_dwordx2 s[8:9], s[0:1], 0x40
	s_sub_i32 s3, 0, s10
	s_abs_i32 s11, s2
	v_rcp_iflag_f32_e32 v1, v1
	s_nop 0
	v_mul_f32_e32 v1, 0x4f7ffffe, v1
	v_cvt_u32_f32_e32 v1, v1
	s_nop 0
	v_readfirstlane_b32 s13, v1
	s_mul_i32 s3, s3, s13
	s_mul_hi_u32 s3, s13, s3
	s_add_i32 s13, s13, s3
	s_waitcnt lgkmcnt(0)
	s_cmp_eq_u64 s[8:9], 0
	s_mul_hi_u32 s20, s11, s13
	s_cbranch_scc1 .LBB233_2
; %bb.1:
	s_ashr_i32 s3, s2, 31
	s_lshl_b64 s[14:15], s[2:3], 2
	s_add_u32 s8, s8, s14
	s_addc_u32 s9, s9, s15
	s_load_dword s28, s[8:9], 0x0
.LBB233_2:
	s_load_dword s17, s[6:7], 0x0
	s_ashr_i32 s7, s12, 31
	s_load_dwordx4 s[12:15], s[0:1], 0x48
	s_ashr_i32 s6, s2, 31
	s_lshl_b32 s18, s2, 7
	s_movk_i32 s2, 0x80
	v_and_b32_e32 v2, 7, v0
	v_cmp_gt_u32_e32 vcc, s2, v0
	v_lshlrev_b32_e32 v1, 1, v0
	s_and_saveexec_b64 s[2:3], vcc
	s_cbranch_execz .LBB233_4
; %bb.3:
	s_load_dwordx2 s[8:9], s[0:1], 0x8
	s_waitcnt lgkmcnt(0)
	s_mul_i32 s22, s16, s12
	s_ashr_i32 s23, s22, 31
	s_lshl_b64 s[22:23], s[22:23], 1
	v_lshrrev_b32_e32 v4, 2, v0
	s_add_u32 s12, s8, s22
	s_addc_u32 s15, s9, s23
	s_ashr_i32 s19, s18, 31
	s_lshl_b64 s[8:9], s[18:19], 1
	s_add_u32 s8, s12, s8
	s_addc_u32 s9, s15, s9
	global_load_ushort v3, v1, s[8:9]
	v_and_b32_e32 v4, 0xfe, v4
	v_lshl_add_u32 v4, v2, 5, v4
	s_waitcnt vmcnt(0)
	ds_write_b16 v4, v3
.LBB233_4:
	s_or_b64 exec, exec, s[2:3]
	s_waitcnt lgkmcnt(0)
	s_add_i32 s3, s17, 7
	s_ashr_i32 s8, s3, 31
	s_lshr_b32 s8, s8, 29
	s_add_i32 s3, s3, s8
	s_ashr_i32 s33, s3, 3
	s_xor_b32 s3, s6, s7
	s_mul_i32 s6, s20, s10
	s_sub_i32 s6, s11, s6
	s_add_i32 s7, s20, 1
	s_sub_i32 s8, s6, s10
	s_load_dwordx2 s[22:23], s[0:1], 0x28
	s_load_dword s2, s[0:1], 0x38
	s_cmp_ge_u32 s6, s10
	s_cselect_b32 s7, s7, s20
	s_cselect_b32 s6, s8, s6
	s_add_i32 s8, s7, 1
	s_cmp_ge_u32 s6, s10
	s_cselect_b32 s6, s8, s7
	v_lshrrev_b32_e32 v13, 6, v0
	s_xor_b32 s6, s6, s3
	s_waitcnt lgkmcnt(0)
	s_mul_i32 s24, s16, s2
	s_sub_i32 s12, s6, s3
	s_ashr_i32 s25, s24, 31
	v_cmp_gt_i32_e64 s[6:7], s33, v13
	v_cmp_le_i32_e32 vcc, s33, v13
	v_mbcnt_lo_u32_b32 v16, -1, 0
	s_barrier
	s_waitcnt lgkmcnt(0)
                                        ; implicit-def: $sgpr15
                                        ; implicit-def: $vgpr9
                                        ; implicit-def: $vgpr10
	s_and_saveexec_b64 s[2:3], vcc
	s_xor_b64 s[2:3], exec, s[2:3]
; %bb.5:
	v_mbcnt_hi_u32_b32 v9, -1, v16
	v_and_b32_e32 v2, 64, v9
	v_add_u32_e32 v10, 64, v2
	s_mov_b32 s15, 0xff7fffff
                                        ; implicit-def: $vgpr2
                                        ; implicit-def: $vgpr16
; %bb.6:
	s_or_saveexec_b64 s[30:31], s[2:3]
	s_load_dwordx2 s[20:21], s[0:1], 0x0
	s_load_dwordx2 s[26:27], s[0:1], 0x18
	s_load_dword s19, s[0:1], 0x88
	s_load_dwordx4 s[8:11], s[0:1], 0x58
	v_mov_b32_e32 v11, s15
	s_mul_i32 s12, s12, s14
	v_lshrrev_b32_e32 v8, 4, v0
	s_xor_b64 exec, exec, s[30:31]
	s_cbranch_execz .LBB233_12
; %bb.7:
	s_load_dwordx2 s[0:1], s[0:1], 0x10
	s_ashr_i32 s2, s12, 31
	v_bfe_u32 v6, v0, 3, 3
	v_mov_b32_e32 v3, 0
	v_lshlrev_b32_e32 v4, 4, v6
	s_waitcnt lgkmcnt(0)
	s_add_u32 s0, s0, s12
	s_addc_u32 s1, s1, s2
	v_mov_b32_e32 v5, v3
	v_lshl_add_u64 v[4:5], s[0:1], 0, v[4:5]
	s_sub_i32 s37, 1, s17
	v_lshl_or_b32 v14, v13, 3, v6
	v_lshlrev_b32_e32 v6, 2, v6
	s_lshl_b64 s[0:1], s[24:25], 2
	v_lshl_or_b32 v6, v13, 5, v6
	s_add_u32 s0, s22, s0
	v_mbcnt_hi_u32_b32 v9, -1, v16
	v_add_u32_e32 v15, 0x110, v6
	v_and_b32_e32 v6, 60, v8
	v_mov_b32_e32 v7, v3
	s_addc_u32 s1, s23, s1
	v_and_b32_e32 v10, 64, v9
	s_mov_b32 s36, s13
	v_lshlrev_b32_e32 v12, 5, v2
	v_cmp_eq_u32_e32 vcc, 0, v2
	v_cmp_neq_f32_e64 s[2:3], s28, 0
	v_lshl_add_u64 v[6:7], s[0:1], 0, v[6:7]
	s_mov_b64 s[14:15], 0
	v_mov_b32_e32 v11, 0xff7fffff
	v_add_u32_e32 v10, 64, v10
	v_xor_b32_e32 v16, 4, v9
	v_xor_b32_e32 v17, 2, v9
	v_xor_b32_e32 v18, 1, v9
	v_mov_b32_e32 v19, v13
	s_branch .LBB233_9
.LBB233_8:                              ;   in Loop: Header=BB233_9 Depth=1
	s_or_b64 exec, exec, s[34:35]
	v_add_u32_e32 v19, 2, v19
	v_cmp_le_i32_e64 s[0:1], s33, v19
	v_add_u32_e32 v14, 16, v14
	v_add_u32_e32 v15, 64, v15
	s_or_b64 s[14:15], s[0:1], s[14:15]
	v_lshl_add_u64 v[6:7], v[6:7], 0, 8
	s_andn2_b64 exec, exec, s[14:15]
	s_cbranch_execz .LBB233_11
.LBB233_9:                              ; =>This Inner Loop Header: Depth=1
	global_load_dword v20, v[6:7], off
	s_waitcnt vmcnt(0) lgkmcnt(0)
	v_mad_i64_i32 v[20:21], s[0:1], v20, s36, v[4:5]
	v_lshl_add_u64 v[20:21], v[20:21], 0, v[2:3]
	global_load_ubyte v22, v[20:21], off
	global_load_ubyte v23, v[20:21], off offset:8
	global_load_dword v24, v3, s[8:9]
	global_load_ubyte v25, v[20:21], off offset:128
	global_load_ubyte v26, v[20:21], off offset:136
	;; [unrolled: 1-line block ×14, first 2 shown]
	ds_read_u16 v20, v12
	s_waitcnt lgkmcnt(0)
	;;#ASMSTART
	v_cvt_f32_f16 v20, v20;
	;;#ASMEND
	v_cmp_lt_i32_e64 s[0:1], v16, v10
	s_waitcnt vmcnt(16)
	v_cvt_f32_fp8_sdwa v21, v22 src0_sel:BYTE_0
	s_waitcnt vmcnt(15)
	v_cvt_f32_fp8_sdwa v23, v23 src0_sel:BYTE_0
	v_cndmask_b32_e64 v22, v9, v16, s[0:1]
	s_waitcnt vmcnt(13)
	v_cvt_f32_fp8_sdwa v25, v25 src0_sel:BYTE_0
	v_fma_mixlo_f16 v21, v24, v21, 0
	v_and_b32_e32 v21, 0xffff, v21
	v_fma_mixlo_f16 v23, v24, v23, 0
	s_waitcnt vmcnt(12)
	v_cvt_f32_fp8_sdwa v26, v26 src0_sel:BYTE_0
	;;#ASMSTART
	v_cvt_f32_f16 v21, v21;
	;;#ASMEND
	ds_read_u16 v39, v12 offset:2
	v_and_b32_e32 v23, 0xffff, v23
	s_waitcnt vmcnt(11)
	v_cvt_f32_fp8_sdwa v27, v27 src0_sel:BYTE_0
	s_waitcnt lgkmcnt(0)
	;;#ASMSTART
	v_cvt_f32_f16 v39, v39;
	;;#ASMEND
	;;#ASMSTART
	v_cvt_f32_f16 v23, v23;
	;;#ASMEND
	s_waitcnt vmcnt(10)
	v_cvt_f32_fp8_sdwa v28, v28 src0_sel:BYTE_0
	v_fma_mixlo_f16 v25, v24, v25, 0
	s_waitcnt vmcnt(9)
	v_cvt_f32_fp8_sdwa v29, v29 src0_sel:BYTE_0
	v_mul_f32_e32 v23, v39, v23
	ds_read_u16 v40, v12 offset:4
	v_and_b32_e32 v25, 0xffff, v25
	v_fma_mixlo_f16 v26, v24, v26, 0
	s_waitcnt vmcnt(8)
	v_cvt_f32_fp8_sdwa v30, v30 src0_sel:BYTE_0
	v_fmac_f32_e32 v23, v20, v21
	s_waitcnt lgkmcnt(0)
	;;#ASMSTART
	v_cvt_f32_f16 v40, v40;
	;;#ASMEND
	;;#ASMSTART
	v_cvt_f32_f16 v25, v25;
	;;#ASMEND
	ds_read_u16 v41, v12 offset:6
	v_and_b32_e32 v26, 0xffff, v26
	s_waitcnt vmcnt(7)
	v_cvt_f32_fp8_sdwa v31, v31 src0_sel:BYTE_0
	v_fma_mixlo_f16 v27, v24, v27, 0
	v_fmac_f32_e32 v23, v40, v25
	s_waitcnt lgkmcnt(0)
	;;#ASMSTART
	v_cvt_f32_f16 v41, v41;
	;;#ASMEND
	;;#ASMSTART
	v_cvt_f32_f16 v26, v26;
	;;#ASMEND
	ds_read_u16 v42, v12 offset:8
	v_and_b32_e32 v27, 0xffff, v27
	s_waitcnt vmcnt(6)
	v_cvt_f32_fp8_sdwa v32, v32 src0_sel:BYTE_0
	v_fma_mixlo_f16 v28, v24, v28, 0
	v_fmac_f32_e32 v23, v41, v26
	s_waitcnt lgkmcnt(0)
	;;#ASMSTART
	v_cvt_f32_f16 v42, v42;
	;;#ASMEND
	;;#ASMSTART
	v_cvt_f32_f16 v27, v27;
	;;#ASMEND
	ds_read_u16 v43, v12 offset:10
	s_waitcnt vmcnt(5)
	v_cvt_f32_fp8_sdwa v33, v33 src0_sel:BYTE_0
	v_and_b32_e32 v28, 0xffff, v28
	v_fma_mixlo_f16 v29, v24, v29, 0
	v_fmac_f32_e32 v23, v42, v27
	s_waitcnt lgkmcnt(0)
	;;#ASMSTART
	v_cvt_f32_f16 v43, v43;
	;;#ASMEND
	;;#ASMSTART
	v_cvt_f32_f16 v28, v28;
	;;#ASMEND
	ds_read_u16 v44, v12 offset:12
	s_waitcnt vmcnt(4)
	v_cvt_f32_fp8_sdwa v34, v34 src0_sel:BYTE_0
	v_and_b32_e32 v29, 0xffff, v29
	v_fma_mixlo_f16 v30, v24, v30, 0
	v_fmac_f32_e32 v23, v43, v28
	s_waitcnt vmcnt(3)
	v_cvt_f32_fp8_sdwa v35, v35 src0_sel:BYTE_0
	s_waitcnt lgkmcnt(0)
	;;#ASMSTART
	v_cvt_f32_f16 v44, v44;
	;;#ASMEND
	;;#ASMSTART
	v_cvt_f32_f16 v29, v29;
	;;#ASMEND
	ds_read_u16 v45, v12 offset:14
	s_waitcnt vmcnt(2)
	v_cvt_f32_fp8_sdwa v36, v36 src0_sel:BYTE_0
	s_waitcnt vmcnt(1)
	v_cvt_f32_fp8_sdwa v37, v37 src0_sel:BYTE_0
	v_and_b32_e32 v30, 0xffff, v30
	s_waitcnt vmcnt(0)
	v_cvt_f32_fp8_sdwa v38, v38 src0_sel:BYTE_0
	v_fma_mixlo_f16 v31, v24, v31, 0
	v_fmac_f32_e32 v23, v44, v29
	s_waitcnt lgkmcnt(0)
	;;#ASMSTART
	v_cvt_f32_f16 v45, v45;
	;;#ASMEND
	;;#ASMSTART
	v_cvt_f32_f16 v30, v30;
	;;#ASMEND
	ds_read_u16 v46, v12 offset:16
	v_fma_mixlo_f16 v32, v24, v32, 0
	v_and_b32_e32 v31, 0xffff, v31
	v_fmac_f32_e32 v23, v45, v30
	s_waitcnt lgkmcnt(0)
	;;#ASMSTART
	v_cvt_f32_f16 v46, v46;
	;;#ASMEND
	;;#ASMSTART
	v_cvt_f32_f16 v31, v31;
	;;#ASMEND
	ds_read_u16 v47, v12 offset:18
	v_fma_mixlo_f16 v33, v24, v33, 0
	v_and_b32_e32 v32, 0xffff, v32
	v_fmac_f32_e32 v23, v46, v31
	v_fma_mixlo_f16 v34, v24, v34, 0
	s_waitcnt lgkmcnt(0)
	;;#ASMSTART
	v_cvt_f32_f16 v47, v47;
	;;#ASMEND
	;;#ASMSTART
	v_cvt_f32_f16 v32, v32;
	;;#ASMEND
	ds_read_u16 v48, v12 offset:20
	v_and_b32_e32 v33, 0xffff, v33
	v_fmac_f32_e32 v23, v47, v32
	v_fma_mixlo_f16 v35, v24, v35, 0
	v_fma_mixlo_f16 v36, v24, v36, 0
	;; [unrolled: 1-line block ×4, first 2 shown]
	s_waitcnt lgkmcnt(0)
	;;#ASMSTART
	v_cvt_f32_f16 v38, v48;
	;;#ASMEND
	;;#ASMSTART
	v_cvt_f32_f16 v33, v33;
	;;#ASMEND
	ds_read_u16 v48, v12 offset:22
	v_and_b32_e32 v34, 0xffff, v34
	v_fmac_f32_e32 v23, v38, v33
	s_waitcnt lgkmcnt(0)
	;;#ASMSTART
	v_cvt_f32_f16 v48, v48;
	;;#ASMEND
	;;#ASMSTART
	v_cvt_f32_f16 v34, v34;
	;;#ASMEND
	v_and_b32_e32 v35, 0xffff, v35
	v_fmac_f32_e32 v23, v48, v34
	ds_read_u16 v49, v12 offset:24
	s_waitcnt lgkmcnt(0)
	;;#ASMSTART
	v_cvt_f32_f16 v20, v49;
	;;#ASMEND
	;;#ASMSTART
	v_cvt_f32_f16 v21, v35;
	;;#ASMEND
	ds_read_u16 v25, v12 offset:26
	v_fmac_f32_e32 v23, v20, v21
	v_and_b32_e32 v36, 0xffff, v36
	s_waitcnt lgkmcnt(0)
	;;#ASMSTART
	v_cvt_f32_f16 v25, v25;
	;;#ASMEND
	;;#ASMSTART
	v_cvt_f32_f16 v26, v36;
	;;#ASMEND
	ds_read_u16 v27, v12 offset:28
	v_fmac_f32_e32 v23, v25, v26
	v_and_b32_e32 v37, 0xffff, v37
	s_waitcnt lgkmcnt(0)
	;;#ASMSTART
	v_cvt_f32_f16 v27, v27;
	;;#ASMEND
	;;#ASMSTART
	v_cvt_f32_f16 v28, v37;
	;;#ASMEND
	v_lshlrev_b32_e32 v22, 2, v22
	v_fmac_f32_e32 v23, v27, v28
	v_and_b32_e32 v24, 0xffff, v24
	ds_read_u16 v29, v12 offset:30
	s_waitcnt lgkmcnt(0)
	;;#ASMSTART
	v_cvt_f32_f16 v20, v29;
	;;#ASMEND
	;;#ASMSTART
	v_cvt_f32_f16 v21, v24;
	;;#ASMEND
	v_cmp_lt_i32_e64 s[0:1], v17, v10
	v_fmac_f32_e32 v23, v20, v21
	ds_bpermute_b32 v20, v22, v23
	v_cndmask_b32_e64 v21, v9, v17, s[0:1]
	v_lshlrev_b32_e32 v21, 2, v21
	v_cmp_lt_i32_e64 s[0:1], v18, v10
	s_waitcnt lgkmcnt(0)
	v_add_f32_e32 v20, v23, v20
	ds_bpermute_b32 v21, v21, v20
	v_cndmask_b32_e64 v22, v9, v18, s[0:1]
	s_waitcnt lgkmcnt(0)
	v_add_f32_e32 v20, v20, v21
	v_lshlrev_b32_e32 v21, 2, v22
	ds_bpermute_b32 v21, v21, v20
	s_and_saveexec_b64 s[34:35], vcc
	s_cbranch_execz .LBB233_8
; %bb.10:                               ;   in Loop: Header=BB233_9 Depth=1
	v_add_u32_e32 v22, s37, v14
	v_cvt_f32_i32_e32 v22, v22
	s_waitcnt lgkmcnt(0)
	v_add_f32_e32 v20, v20, v21
	v_cmp_gt_i32_e64 s[0:1], s17, v14
	v_max_f32_e32 v21, v11, v11
	v_mul_f32_e32 v22, s28, v22
	v_cndmask_b32_e64 v22, 0, v22, s[2:3]
	v_fmac_f32_e32 v22, s29, v20
	v_cndmask_b32_e64 v20, 0, v22, s[0:1]
	ds_write_b32 v15, v20
	v_max_f32_e32 v20, v21, v22
	v_cndmask_b32_e64 v11, v11, v20, s[0:1]
	s_branch .LBB233_8
.LBB233_11:
	s_or_b64 exec, exec, s[14:15]
.LBB233_12:
	s_or_b64 exec, exec, s[30:31]
	v_xor_b32_e32 v2, 32, v9
	v_cmp_lt_i32_e32 vcc, v2, v10
	v_xor_b32_e32 v5, 16, v9
	v_max_f32_e32 v4, v11, v11
	v_cndmask_b32_e32 v2, v9, v2, vcc
	v_lshlrev_b32_e32 v3, 2, v2
	ds_bpermute_b32 v2, v3, v11
	v_cmp_lt_i32_e32 vcc, v5, v10
	v_xor_b32_e32 v6, 8, v9
	v_and_b32_e32 v20, 63, v0
	s_waitcnt lgkmcnt(0)
	v_max_f32_e32 v2, v2, v2
	v_max_f32_e32 v2, v4, v2
	v_cndmask_b32_e32 v4, v9, v5, vcc
	v_lshlrev_b32_e32 v5, 2, v4
	ds_bpermute_b32 v4, v5, v2
	v_cmp_lt_i32_e32 vcc, v6, v10
	s_waitcnt lgkmcnt(0)
	v_max_f32_e32 v4, v4, v4
	v_max_f32_e32 v4, v2, v4
	v_cndmask_b32_e32 v2, v9, v6, vcc
	v_lshlrev_b32_e32 v7, 2, v2
	ds_bpermute_b32 v6, v7, v4
	v_cmp_eq_u32_e32 vcc, 0, v20
	v_lshlrev_b32_e32 v2, 2, v13
	s_and_saveexec_b64 s[0:1], vcc
	s_cbranch_execz .LBB233_14
; %bb.13:
	s_waitcnt lgkmcnt(0)
	v_max_f32_e32 v6, v6, v6
	v_max_f32_e32 v4, v4, v4
	;; [unrolled: 1-line block ×3, first 2 shown]
	ds_write_b32 v2, v4 offset:256
.LBB233_14:
	s_or_b64 exec, exec, s[0:1]
	v_cmp_gt_u32_e64 s[0:1], 2, v20
	v_mov_b32_e32 v11, 0xff7fffff
	v_lshlrev_b32_e32 v4, 2, v20
	s_waitcnt lgkmcnt(0)
	s_barrier
	s_and_saveexec_b64 s[2:3], s[0:1]
	s_cbranch_execz .LBB233_16
; %bb.15:
	ds_read_b32 v11, v4 offset:256
.LBB233_16:
	s_or_b64 exec, exec, s[2:3]
	v_xor_b32_e32 v6, 1, v9
	v_cmp_lt_i32_e64 s[2:3], v6, v10
	v_lshlrev_b32_e32 v14, 2, v9
	s_nop 0
	v_cndmask_b32_e64 v6, v9, v6, s[2:3]
	v_lshlrev_b32_e32 v6, 2, v6
	s_waitcnt lgkmcnt(0)
	ds_bpermute_b32 v12, v6, v11
	v_max_f32_e32 v11, v11, v11
	s_lshl_b32 s2, s33, 3
	s_min_i32 s30, s2, s17
	v_cmp_gt_i32_e64 s[2:3], s30, v0
	s_waitcnt lgkmcnt(0)
	v_max_f32_e32 v12, v12, v12
	v_max_f32_e32 v12, v11, v12
	v_and_b32_e32 v11, 0xffffff00, v14
	ds_bpermute_b32 v14, v11, v12
	v_mov_b32_e32 v12, 0
	s_and_saveexec_b64 s[14:15], s[2:3]
	s_cbranch_execz .LBB233_20
; %bb.17:
	v_mov_b32_e32 v12, 0x110
	v_lshl_add_u32 v15, v0, 2, v12
	s_mov_b64 s[28:29], 0
	v_mov_b32_e32 v12, 0
	v_mov_b32_e32 v16, v0
.LBB233_18:                             ; =>This Inner Loop Header: Depth=1
	ds_read_b32 v17, v15
	v_add_u32_e32 v16, 0x80, v16
	v_cmp_le_i32_e64 s[8:9], s30, v16
	s_or_b64 s[28:29], s[8:9], s[28:29]
	s_waitcnt lgkmcnt(0)
	v_sub_f32_e32 v17, v17, v14
	v_mul_f32_e32 v17, 0x3fb8aa3b, v17
	v_exp_f32_e32 v17, v17
	ds_write_b32 v15, v17
	v_add_f32_e32 v12, v12, v17
	v_add_u32_e32 v15, 0x200, v15
	s_andn2_b64 exec, exec, s[28:29]
	s_cbranch_execnz .LBB233_18
; %bb.19:
	s_or_b64 exec, exec, s[28:29]
.LBB233_20:
	s_or_b64 exec, exec, s[14:15]
	ds_bpermute_b32 v3, v3, v12
	s_waitcnt lgkmcnt(0)
	v_add_f32_e32 v3, v12, v3
	ds_bpermute_b32 v5, v5, v3
	s_waitcnt lgkmcnt(0)
	v_add_f32_e32 v3, v3, v5
	ds_bpermute_b32 v5, v7, v3
	v_xor_b32_e32 v7, 4, v9
	v_cmp_lt_i32_e64 s[8:9], v7, v10
	s_waitcnt lgkmcnt(0)
	v_add_f32_e32 v3, v3, v5
	v_cndmask_b32_e64 v7, v9, v7, s[8:9]
	v_lshlrev_b32_e32 v7, 2, v7
	ds_bpermute_b32 v5, v7, v3
	v_xor_b32_e32 v7, 2, v9
	v_cmp_lt_i32_e64 s[8:9], v7, v10
	s_waitcnt lgkmcnt(0)
	v_add_f32_e32 v3, v3, v5
	v_cndmask_b32_e64 v7, v9, v7, s[8:9]
	v_lshlrev_b32_e32 v5, 2, v7
	ds_bpermute_b32 v5, v5, v3
	s_waitcnt lgkmcnt(0)
	v_add_f32_e32 v3, v3, v5
	ds_bpermute_b32 v5, v6, v3
	s_waitcnt lgkmcnt(0)
	v_add_f32_e32 v3, v3, v5
	s_and_saveexec_b64 s[8:9], vcc
	s_cbranch_execz .LBB233_22
; %bb.21:
	ds_write_b32 v2, v3 offset:264
.LBB233_22:
	s_or_b64 exec, exec, s[8:9]
	s_waitcnt lgkmcnt(0)
	s_barrier
	s_and_saveexec_b64 s[8:9], s[0:1]
	s_cbranch_execz .LBB233_24
; %bb.23:
	ds_read_b32 v3, v4 offset:264
.LBB233_24:
	s_or_b64 exec, exec, s[8:9]
	s_waitcnt lgkmcnt(0)
	ds_bpermute_b32 v2, v6, v3
	s_waitcnt lgkmcnt(0)
	v_add_f32_e32 v2, v3, v2
	ds_bpermute_b32 v2, v11, v2
	s_and_saveexec_b64 s[0:1], s[2:3]
	s_cbranch_execz .LBB233_37
; %bb.25:
	s_waitcnt lgkmcnt(0)
	v_add_f32_e32 v2, 0x358637bd, v2
	v_div_scale_f32 v3, s[2:3], v2, v2, 1.0
	v_rcp_f32_e32 v4, v3
	v_div_scale_f32 v5, vcc, 1.0, v2, 1.0
	s_movk_i32 s2, 0x7f
	v_fma_f32 v6, -v3, v4, 1.0
	v_fmac_f32_e32 v4, v6, v4
	v_mul_f32_e32 v6, v5, v4
	v_fma_f32 v7, -v3, v6, v5
	v_fmac_f32_e32 v6, v7, v4
	v_fma_f32 v3, -v3, v6, v5
	v_div_fmas_f32 v3, v3, v4, v6
	v_xad_u32 v4, v0, -1, s30
	v_div_fixup_f32 v2, v3, v2, 1.0
	v_cmp_lt_u32_e32 vcc, s2, v4
	s_mov_b64 s[8:9], -1
	v_mov_b32_e32 v3, v0
	s_and_saveexec_b64 s[2:3], vcc
	s_cbranch_execz .LBB233_34
; %bb.26:
	v_lshrrev_b32_e32 v4, 7, v4
	v_add_u32_e32 v6, -1, v4
	v_lshrrev_b32_e32 v5, 1, v6
	v_mov_b32_e32 v3, v2
	v_add_u32_e32 v5, 1, v5
	v_cmp_lt_u32_e32 vcc, 13, v6
	v_mov_b32_e32 v9, 0
	s_and_saveexec_b64 s[8:9], vcc
	s_cbranch_execz .LBB233_30
; %bb.27:
	v_mov_b32_e32 v7, 0x110
	v_and_b32_e32 v6, -8, v5
	v_lshl_add_u32 v7, v0, 2, v7
	s_mov_b32 s28, 0
	s_mov_b64 s[14:15], 0
.LBB233_28:                             ; =>This Inner Loop Header: Depth=1
	ds_read2st64_b32 v[10:11], v7 offset1:2
	ds_read2st64_b32 v[14:15], v7 offset0:4 offset1:6
	ds_read2st64_b32 v[16:17], v7 offset0:8 offset1:10
	ds_read2st64_b32 v[18:19], v7 offset0:12 offset1:14
	v_add_u32_e32 v6, -8, v6
	s_waitcnt lgkmcnt(3)
	v_pk_mul_f32 v[10:11], v[2:3], v[10:11]
	s_waitcnt lgkmcnt(2)
	v_pk_mul_f32 v[14:15], v[2:3], v[14:15]
	ds_write2st64_b32 v7, v10, v11 offset1:2
	ds_write2st64_b32 v7, v14, v15 offset0:4 offset1:6
	ds_read2st64_b32 v[14:15], v7 offset0:16 offset1:18
	s_waitcnt lgkmcnt(4)
	v_pk_mul_f32 v[10:11], v[2:3], v[16:17]
	ds_write2st64_b32 v7, v10, v11 offset0:8 offset1:10
	s_waitcnt lgkmcnt(4)
	v_pk_mul_f32 v[10:11], v[2:3], v[18:19]
	ds_write2st64_b32 v7, v10, v11 offset0:12 offset1:14
	ds_read2st64_b32 v[10:11], v7 offset0:20 offset1:22
	s_waitcnt lgkmcnt(3)
	v_pk_mul_f32 v[14:15], v[2:3], v[14:15]
	ds_read2st64_b32 v[16:17], v7 offset0:24 offset1:26
	ds_write2st64_b32 v7, v14, v15 offset0:16 offset1:18
	ds_read2st64_b32 v[14:15], v7 offset0:28 offset1:30
	s_waitcnt lgkmcnt(3)
	v_pk_mul_f32 v[10:11], v[2:3], v[10:11]
	ds_write2st64_b32 v7, v10, v11 offset0:20 offset1:22
	s_waitcnt lgkmcnt(3)
	v_pk_mul_f32 v[10:11], v[2:3], v[16:17]
	ds_write2st64_b32 v7, v10, v11 offset0:24 offset1:26
	s_waitcnt lgkmcnt(2)
	v_pk_mul_f32 v[10:11], v[2:3], v[14:15]
	s_add_i32 s28, s28, 16
	v_cmp_eq_u32_e32 vcc, 0, v6
	ds_write2st64_b32 v7, v10, v11 offset0:28 offset1:30
	v_add_u32_e32 v7, 0x2000, v7
	s_or_b64 s[14:15], vcc, s[14:15]
	v_mov_b32_e32 v9, s28
	s_andn2_b64 exec, exec, s[14:15]
	s_cbranch_execnz .LBB233_28
; %bb.29:
	s_or_b64 exec, exec, s[14:15]
.LBB233_30:
	s_or_b64 exec, exec, s[8:9]
	v_and_b32_e32 v5, 7, v5
	v_cmp_ne_u32_e32 vcc, 0, v5
	s_and_saveexec_b64 s[8:9], vcc
	s_cbranch_execz .LBB233_33
; %bb.31:
	v_lshlrev_b32_e32 v6, 9, v9
	v_lshlrev_b32_e32 v7, 2, v0
	s_movk_i32 s14, 0x110
	v_add3_u32 v6, v6, v7, s14
	s_mov_b64 s[14:15], 0
.LBB233_32:                             ; =>This Inner Loop Header: Depth=1
	ds_read2st64_b32 v[10:11], v6 offset1:2
	v_add_u32_e32 v5, -1, v5
	v_cmp_eq_u32_e32 vcc, 0, v5
	s_or_b64 s[14:15], vcc, s[14:15]
	s_waitcnt lgkmcnt(0)
	v_pk_mul_f32 v[10:11], v[2:3], v[10:11]
	ds_write2st64_b32 v6, v10, v11 offset1:2
	v_add_u32_e32 v6, 0x400, v6
	s_andn2_b64 exec, exec, s[14:15]
	s_cbranch_execnz .LBB233_32
.LBB233_33:
	s_or_b64 exec, exec, s[8:9]
	v_add_u32_e32 v4, 1, v4
	v_and_b32_e32 v5, 0x3fffffe, v4
	v_cmp_ne_u32_e32 vcc, v4, v5
	v_lshl_add_u32 v3, v5, 7, v0
	s_orn2_b64 s[8:9], vcc, exec
.LBB233_34:
	s_or_b64 exec, exec, s[2:3]
	s_and_b64 exec, exec, s[8:9]
	s_cbranch_execz .LBB233_37
; %bb.35:
	v_mov_b32_e32 v4, 0x110
	v_lshl_add_u32 v4, v3, 2, v4
	s_mov_b64 s[2:3], 0
.LBB233_36:                             ; =>This Inner Loop Header: Depth=1
	ds_read_b32 v5, v4
	v_add_u32_e32 v3, 0x80, v3
	v_cmp_le_i32_e32 vcc, s30, v3
	s_or_b64 s[2:3], vcc, s[2:3]
	s_waitcnt lgkmcnt(0)
	v_mul_f32_e32 v5, v2, v5
	ds_write_b32 v4, v5
	v_add_u32_e32 v4, 0x200, v4
	s_andn2_b64 exec, exec, s[2:3]
	s_cbranch_execnz .LBB233_36
.LBB233_37:
	s_or_b64 exec, exec, s[0:1]
	s_mov_b32 s0, 0
	s_mov_b32 s1, s0
	s_waitcnt lgkmcnt(0)
	v_mov_b64_e32 v[2:3], s[0:1]
	s_barrier
	s_and_saveexec_b64 s[2:3], s[6:7]
	s_cbranch_execz .LBB233_173
; %bb.38:
	s_ashr_i32 s1, s12, 31
	s_add_u32 s0, s26, s12
	s_addc_u32 s1, s27, s1
	v_lshlrev_b32_e32 v4, 3, v20
	v_mov_b32_e32 v5, 0
	s_add_i32 s26, s33, -1
	v_lshl_add_u64 v[6:7], s[0:1], 0, v[4:5]
	s_lshl_b64 s[0:1], s[24:25], 2
	s_add_u32 s0, s22, s0
	v_mov_b32_e32 v2, 0x110
	v_and_b32_e32 v4, 60, v8
	s_addc_u32 s1, s23, s1
	s_mov_b32 s28, s13
	s_mov_b32 s27, s17
	v_lshlrev_b32_e32 v21, 3, v13
	v_lshl_add_u32 v22, v13, 5, v2
	v_lshl_add_u64 v[8:9], s[0:1], 0, v[4:5]
	s_mov_b64 s[6:7], 0
	s_movk_i32 s22, 0x7f
	s_movk_i32 s23, 0x80
	s_mov_b32 s24, 0x8000
	s_movk_i32 s25, 0x380
	s_mov_b32 s29, 0x3020706
	s_mov_b32 s30, 0x1000504
	;; [unrolled: 1-line block ×3, first 2 shown]
	v_mov_b32_e32 v23, 0x1c00
	v_mov_b32_e32 v3, 0
	v_mov_b32_e32 v2, 0
	s_branch .LBB233_40
.LBB233_39:                             ;   in Loop: Header=BB233_40 Depth=1
	s_or_b64 exec, exec, s[0:1]
	;;#ASMSTART
	v_pk_mul_f16 v10, v29, v10;

	;;#ASMEND
	;;#ASMSTART
	v_pk_mul_f16 v4, v30, v4;

	;;#ASMEND
	;; [unrolled: 4-line block ×4, first 2 shown]
	v_add_u32_e32 v13, 2, v13
	;;#ASMSTART
	v_pk_add_f16 v4, v10, v4;

	;;#ASMEND
	v_add_f32_e32 v14, v33, v34
	;;#ASMSTART
	v_pk_add_f16 v4, v4, v11;

	;;#ASMEND
	v_cmp_le_i32_e32 vcc, s33, v13
	;;#ASMSTART
	v_pk_add_f16 v4, v4, v12;

	;;#ASMEND
	v_add_f32_e32 v2, v2, v14
	v_lshrrev_b32_e32 v10, 16, v4
	v_and_b32_e32 v4, 0xffff, v4
	;;#ASMSTART
	v_cvt_f32_f16 v4, v4;
	;;#ASMEND
	;;#ASMSTART
	v_cvt_f32_f16 v10, v10;
	;;#ASMEND
	v_add_u32_e32 v21, 16, v21
	v_add_f32_e32 v4, v4, v10
	v_add_f32_e32 v3, v3, v4
	v_add_u32_e32 v22, 64, v22
	s_or_b64 s[6:7], vcc, s[6:7]
	v_lshl_add_u64 v[8:9], v[8:9], 0, 8
	s_andn2_b64 exec, exec, s[6:7]
	s_cbranch_execz .LBB233_172
.LBB233_40:                             ; =>This Inner Loop Header: Depth=1
	ds_read2_b64 v[14:17], v22 offset1:1
	ds_read2_b64 v[24:27], v22 offset0:2 offset1:3
                                        ; implicit-def: $sgpr14
	s_waitcnt lgkmcnt(1)
	;;#ASMSTART
	v_cvt_f16_f32 v29, v14;

	;;#ASMEND
	;;#ASMSTART
	v_cvt_f16_f32 v30, v15;

	;;#ASMEND
	;; [unrolled: 4-line block ×4, first 2 shown]
	s_waitcnt lgkmcnt(0)
	;;#ASMSTART
	v_cvt_f16_f32 v33, v24;

	;;#ASMEND
	;;#ASMSTART
	v_cvt_f16_f32 v34, v25;

	;;#ASMEND
	;; [unrolled: 4-line block ×4, first 2 shown]
	global_load_dword v4, v[8:9], off
	s_waitcnt vmcnt(0)
	v_mad_i64_i32 v[10:11], s[0:1], v4, s28, v[6:7]
	global_load_dwordx2 v[14:15], v[10:11], off
	global_load_dword v12, v5, s[10:11]
	s_mov_b64 s[0:1], 0
	s_waitcnt vmcnt(1)
	v_cmp_gt_i16_sdwa s[8:9], v14, s22 src0_sel:BYTE_0 src1_sel:DWORD
	s_and_saveexec_b64 s[12:13], s[8:9]
	s_xor_b64 s[8:9], exec, s[12:13]
	s_cbranch_execnz .LBB233_108
; %bb.41:                               ;   in Loop: Header=BB233_40 Depth=1
	s_or_saveexec_b64 s[8:9], s[8:9]
	v_mov_b32_e32 v16, s14
	s_xor_b64 exec, exec, s[8:9]
	s_cbranch_execnz .LBB233_111
.LBB233_42:                             ;   in Loop: Header=BB233_40 Depth=1
	s_or_b64 exec, exec, s[8:9]
	s_and_saveexec_b64 s[8:9], s[0:1]
	s_cbranch_execz .LBB233_44
.LBB233_43:                             ;   in Loop: Header=BB233_40 Depth=1
	v_and_b32_e32 v4, 7, v14
	v_ffbh_u32_e32 v4, v4
	v_bfe_u32 v16, v14, 3, 4
	v_min_u32_e32 v4, 32, v4
	v_subrev_u32_e32 v17, 28, v4
	v_sub_u32_e32 v4, 29, v4
	v_cmp_eq_u32_e32 vcc, 0, v16
	s_nop 1
	v_cndmask_b32_e32 v4, v16, v4, vcc
	v_cndmask_b32_e32 v16, 0, v17, vcc
	v_lshlrev_b64 v[16:17], v16, v[14:15]
	v_lshlrev_b32_e32 v17, 8, v14
	v_lshl_add_u32 v4, v4, 10, v23
	v_lshlrev_b32_e32 v16, 7, v16
	v_and_or_b32 v4, v17, s24, v4
	v_and_or_b32 v4, v16, s25, v4
	v_cvt_f32_f16_e32 v16, v4
.LBB233_44:                             ;   in Loop: Header=BB233_40 Depth=1
	s_or_b64 exec, exec, s[8:9]
	v_lshrrev_b16_e32 v4, 8, v14
	v_cmp_lt_i16_e32 vcc, s22, v4
	s_mov_b64 s[0:1], 0
                                        ; implicit-def: $sgpr14
	s_and_saveexec_b64 s[8:9], vcc
	s_xor_b64 s[8:9], exec, s[8:9]
	s_cbranch_execnz .LBB233_112
; %bb.45:                               ;   in Loop: Header=BB233_40 Depth=1
	s_or_saveexec_b64 s[8:9], s[8:9]
	v_mov_b32_e32 v18, s14
	s_xor_b64 exec, exec, s[8:9]
	s_cbranch_execnz .LBB233_115
.LBB233_46:                             ;   in Loop: Header=BB233_40 Depth=1
	s_or_b64 exec, exec, s[8:9]
	s_and_saveexec_b64 s[8:9], s[0:1]
	s_cbranch_execz .LBB233_48
.LBB233_47:                             ;   in Loop: Header=BB233_40 Depth=1
	v_and_b32_e32 v17, 7, v4
	v_ffbh_u32_e32 v18, v17
	v_min_u32_e32 v25, 32, v18
	v_subrev_u32_e32 v18, 28, v25
	v_bfe_u32 v24, v4, 3, 4
	v_lshlrev_b64 v[18:19], v18, v[4:5]
	v_sub_u32_e32 v19, 29, v25
	v_cmp_eq_u32_e32 vcc, 0, v24
	v_and_b32_e32 v18, 7, v18
	v_lshlrev_b32_e32 v4, 8, v4
	v_cndmask_b32_e32 v19, v24, v19, vcc
	v_cndmask_b32_e32 v17, v17, v18, vcc
	v_lshl_add_u32 v18, v19, 10, v23
	v_and_or_b32 v4, v4, s24, v18
	v_lshl_or_b32 v4, v17, 7, v4
	v_cvt_f32_f16_e32 v18, v4
.LBB233_48:                             ;   in Loop: Header=BB233_40 Depth=1
	s_or_b64 exec, exec, s[8:9]
	v_lshrrev_b32_e32 v4, 16, v14
	v_cmp_gt_i16_sdwa s[8:9], v4, s22 src0_sel:BYTE_0 src1_sel:DWORD
	s_mov_b64 s[0:1], 0
                                        ; implicit-def: $sgpr14
	s_and_saveexec_b64 s[12:13], s[8:9]
	s_xor_b64 s[8:9], exec, s[12:13]
	s_cbranch_execnz .LBB233_116
; %bb.49:                               ;   in Loop: Header=BB233_40 Depth=1
	s_or_saveexec_b64 s[8:9], s[8:9]
	v_mov_b32_e32 v17, s14
	s_xor_b64 exec, exec, s[8:9]
	s_cbranch_execnz .LBB233_119
.LBB233_50:                             ;   in Loop: Header=BB233_40 Depth=1
	s_or_b64 exec, exec, s[8:9]
	s_and_saveexec_b64 s[8:9], s[0:1]
	s_cbranch_execz .LBB233_52
.LBB233_51:                             ;   in Loop: Header=BB233_40 Depth=1
	v_bfe_u32 v17, v14, 16, 3
	v_ffbh_u32_e32 v24, v17
	v_min_u32_e32 v26, 32, v24
	v_subrev_u32_e32 v24, 28, v26
	v_bfe_u32 v19, v14, 19, 4
	v_lshlrev_b64 v[24:25], v24, v[4:5]
	v_sub_u32_e32 v25, 29, v26
	v_cmp_eq_u32_e32 vcc, 0, v19
	v_and_b32_e32 v24, 7, v24
	v_lshlrev_b32_e32 v4, 8, v4
	v_cndmask_b32_e32 v19, v19, v25, vcc
	v_lshl_add_u32 v19, v19, 10, v23
	v_cndmask_b32_e32 v17, v17, v24, vcc
	v_and_or_b32 v4, v4, s24, v19
	v_lshl_or_b32 v4, v17, 7, v4
	v_cvt_f32_f16_e32 v17, v4
.LBB233_52:                             ;   in Loop: Header=BB233_40 Depth=1
	s_or_b64 exec, exec, s[8:9]
	v_lshrrev_b32_e32 v4, 24, v14
	v_cmp_lt_i16_e32 vcc, s22, v4
	s_mov_b64 s[0:1], 0
                                        ; implicit-def: $sgpr14
	s_and_saveexec_b64 s[8:9], vcc
	s_xor_b64 s[8:9], exec, s[8:9]
	s_cbranch_execnz .LBB233_120
; %bb.53:                               ;   in Loop: Header=BB233_40 Depth=1
	s_or_saveexec_b64 s[8:9], s[8:9]
	v_mov_b32_e32 v19, s14
	s_xor_b64 exec, exec, s[8:9]
	s_cbranch_execnz .LBB233_123
.LBB233_54:                             ;   in Loop: Header=BB233_40 Depth=1
	s_or_b64 exec, exec, s[8:9]
	s_and_saveexec_b64 s[8:9], s[0:1]
	s_cbranch_execz .LBB233_56
.LBB233_55:                             ;   in Loop: Header=BB233_40 Depth=1
	v_bfe_u32 v19, v14, 24, 3
	v_ffbh_u32_e32 v24, v19
	v_min_u32_e32 v26, 32, v24
	v_subrev_u32_e32 v24, 28, v26
	v_bfe_u32 v14, v14, 27, 4
	v_lshlrev_b64 v[24:25], v24, v[4:5]
	v_sub_u32_e32 v25, 29, v26
	v_cmp_eq_u32_e32 vcc, 0, v14
	v_and_b32_e32 v24, 7, v24
	v_lshlrev_b32_e32 v4, 8, v4
	v_cndmask_b32_e32 v14, v14, v25, vcc
	v_lshl_add_u32 v14, v14, 10, v23
	v_cndmask_b32_e32 v19, v19, v24, vcc
	v_and_or_b32 v4, v4, s24, v14
	v_lshl_or_b32 v4, v19, 7, v4
	v_cvt_f32_f16_e32 v19, v4
.LBB233_56:                             ;   in Loop: Header=BB233_40 Depth=1
	s_or_b64 exec, exec, s[8:9]
	v_cmp_gt_i16_sdwa s[8:9], v15, s22 src0_sel:BYTE_0 src1_sel:DWORD
	s_mov_b64 s[0:1], 0
                                        ; implicit-def: $sgpr14
	s_and_saveexec_b64 s[12:13], s[8:9]
	s_xor_b64 s[8:9], exec, s[12:13]
	s_cbranch_execnz .LBB233_124
; %bb.57:                               ;   in Loop: Header=BB233_40 Depth=1
	s_or_saveexec_b64 s[8:9], s[8:9]
	v_mov_b32_e32 v14, s14
	s_xor_b64 exec, exec, s[8:9]
	s_cbranch_execnz .LBB233_127
.LBB233_58:                             ;   in Loop: Header=BB233_40 Depth=1
	s_or_b64 exec, exec, s[8:9]
	v_mov_b32_e32 v4, v15
	s_and_saveexec_b64 s[8:9], s[0:1]
	s_cbranch_execz .LBB233_60
.LBB233_59:                             ;   in Loop: Header=BB233_40 Depth=1
	v_and_b32_e32 v14, 7, v15
	v_ffbh_u32_e32 v14, v14
	v_bfe_u32 v24, v15, 3, 4
	v_min_u32_e32 v14, 32, v14
	v_subrev_u32_e32 v25, 28, v14
	v_sub_u32_e32 v14, 29, v14
	v_cmp_eq_u32_e32 vcc, 0, v24
	s_nop 1
	v_cndmask_b32_e32 v14, v24, v14, vcc
	v_cndmask_b32_e32 v24, 0, v25, vcc
	v_lshlrev_b64 v[24:25], v24, v[4:5]
	v_lshlrev_b32_e32 v25, 8, v15
	v_lshl_add_u32 v14, v14, 10, v23
	v_lshlrev_b32_e32 v24, 7, v24
	v_and_or_b32 v14, v25, s24, v14
	v_and_or_b32 v14, v24, s25, v14
	v_cvt_f32_f16_e32 v14, v14
.LBB233_60:                             ;   in Loop: Header=BB233_40 Depth=1
	s_or_b64 exec, exec, s[8:9]
	v_lshrrev_b16_e32 v4, 8, v4
	v_cmp_lt_i16_e32 vcc, s22, v4
	s_mov_b64 s[0:1], 0
                                        ; implicit-def: $sgpr14
	s_and_saveexec_b64 s[8:9], vcc
	s_xor_b64 s[8:9], exec, s[8:9]
	s_cbranch_execnz .LBB233_128
; %bb.61:                               ;   in Loop: Header=BB233_40 Depth=1
	s_or_saveexec_b64 s[8:9], s[8:9]
	v_mov_b32_e32 v24, s14
	s_xor_b64 exec, exec, s[8:9]
	s_cbranch_execnz .LBB233_131
.LBB233_62:                             ;   in Loop: Header=BB233_40 Depth=1
	s_or_b64 exec, exec, s[8:9]
	s_and_saveexec_b64 s[8:9], s[0:1]
	s_cbranch_execz .LBB233_64
.LBB233_63:                             ;   in Loop: Header=BB233_40 Depth=1
	v_and_b32_e32 v26, 7, v4
	v_ffbh_u32_e32 v24, v26
	v_min_u32_e32 v28, 32, v24
	v_subrev_u32_e32 v24, 28, v28
	v_bfe_u32 v27, v4, 3, 4
	v_lshlrev_b64 v[24:25], v24, v[4:5]
	v_sub_u32_e32 v25, 29, v28
	v_cmp_eq_u32_e32 vcc, 0, v27
	v_and_b32_e32 v24, 7, v24
	v_lshlrev_b32_e32 v4, 8, v4
	v_cndmask_b32_e32 v25, v27, v25, vcc
	v_lshl_add_u32 v25, v25, 10, v23
	v_cndmask_b32_e32 v24, v26, v24, vcc
	v_and_or_b32 v4, v4, s24, v25
	v_lshl_or_b32 v4, v24, 7, v4
	v_cvt_f32_f16_e32 v24, v4
.LBB233_64:                             ;   in Loop: Header=BB233_40 Depth=1
	s_or_b64 exec, exec, s[8:9]
	v_lshrrev_b32_e32 v4, 16, v15
	v_cmp_gt_i16_sdwa s[8:9], v4, s22 src0_sel:BYTE_0 src1_sel:DWORD
	s_mov_b64 s[0:1], 0
                                        ; implicit-def: $sgpr14
	s_and_saveexec_b64 s[12:13], s[8:9]
	s_xor_b64 s[8:9], exec, s[12:13]
	s_cbranch_execnz .LBB233_132
; %bb.65:                               ;   in Loop: Header=BB233_40 Depth=1
	s_or_saveexec_b64 s[8:9], s[8:9]
	v_mov_b32_e32 v25, s14
	s_xor_b64 exec, exec, s[8:9]
	s_cbranch_execnz .LBB233_135
.LBB233_66:                             ;   in Loop: Header=BB233_40 Depth=1
	s_or_b64 exec, exec, s[8:9]
	s_and_saveexec_b64 s[8:9], s[0:1]
	s_cbranch_execz .LBB233_68
.LBB233_67:                             ;   in Loop: Header=BB233_40 Depth=1
	v_bfe_u32 v25, v15, 16, 3
	v_ffbh_u32_e32 v26, v25
	v_min_u32_e32 v37, 32, v26
	v_subrev_u32_e32 v26, 28, v37
	v_bfe_u32 v28, v15, 19, 4
	v_lshlrev_b64 v[26:27], v26, v[4:5]
	v_sub_u32_e32 v27, 29, v37
	v_cmp_eq_u32_e32 vcc, 0, v28
	v_and_b32_e32 v26, 7, v26
	v_lshlrev_b32_e32 v4, 8, v4
	v_cndmask_b32_e32 v27, v28, v27, vcc
	v_cndmask_b32_e32 v25, v25, v26, vcc
	v_lshl_add_u32 v26, v27, 10, v23
	v_and_or_b32 v4, v4, s24, v26
	v_lshl_or_b32 v4, v25, 7, v4
	v_cvt_f32_f16_e32 v25, v4
.LBB233_68:                             ;   in Loop: Header=BB233_40 Depth=1
	s_or_b64 exec, exec, s[8:9]
	v_lshrrev_b32_e32 v4, 24, v15
	v_cmp_lt_i16_e32 vcc, s22, v4
	s_mov_b64 s[0:1], 0
                                        ; implicit-def: $sgpr14
	s_and_saveexec_b64 s[8:9], vcc
	s_xor_b64 s[8:9], exec, s[8:9]
	s_cbranch_execnz .LBB233_136
; %bb.69:                               ;   in Loop: Header=BB233_40 Depth=1
	s_or_saveexec_b64 s[8:9], s[8:9]
	v_mov_b32_e32 v26, s14
	s_xor_b64 exec, exec, s[8:9]
	s_cbranch_execnz .LBB233_139
.LBB233_70:                             ;   in Loop: Header=BB233_40 Depth=1
	s_or_b64 exec, exec, s[8:9]
	s_and_saveexec_b64 s[8:9], s[0:1]
	s_cbranch_execz .LBB233_72
.LBB233_71:                             ;   in Loop: Header=BB233_40 Depth=1
	v_bfe_u32 v28, v15, 24, 3
	v_ffbh_u32_e32 v26, v28
	v_min_u32_e32 v37, 32, v26
	v_subrev_u32_e32 v26, 28, v37
	v_bfe_u32 v15, v15, 27, 4
	v_lshlrev_b64 v[26:27], v26, v[4:5]
	v_sub_u32_e32 v27, 29, v37
	v_cmp_eq_u32_e32 vcc, 0, v15
	v_and_b32_e32 v26, 7, v26
	v_lshlrev_b32_e32 v4, 8, v4
	v_cndmask_b32_e32 v15, v15, v27, vcc
	v_lshl_add_u32 v15, v15, 10, v23
	v_cndmask_b32_e32 v26, v28, v26, vcc
	v_and_or_b32 v4, v4, s24, v15
	v_lshl_or_b32 v4, v26, 7, v4
	v_cvt_f32_f16_e32 v26, v4
.LBB233_72:                             ;   in Loop: Header=BB233_40 Depth=1
	s_or_b64 exec, exec, s[8:9]
	s_waitcnt vmcnt(0)
	v_pk_mul_f32 v[18:19], v[12:13], v[18:19] op_sel_hi:[0,1]
	v_pk_mul_f32 v[16:17], v[12:13], v[16:17] op_sel_hi:[0,1]
	v_cvt_f16_f32_e32 v4, v19
	v_cvt_f16_f32_e32 v15, v18
	;; [unrolled: 1-line block ×4, first 2 shown]
	v_fma_mixlo_f16 v14, v12, v14, 0
	v_pack_b32_f16 v15, v15, v4
	v_cmp_eq_u32_e32 vcc, s26, v13
	v_pack_b32_f16 v16, v16, v17
	v_perm_b32 v4, v16, v15, s29
	v_perm_b32 v15, v16, v15, s30
	v_fma_mixlo_f16 v16, v12, v24, 0
	v_lshlrev_b32_e32 v16, 16, v16
	v_or_b32_sdwa v14, v16, v14 dst_sel:DWORD dst_unused:UNUSED_PAD src0_sel:DWORD src1_sel:WORD_0
	v_fma_mixlo_f16 v16, v12, v25, 0
	v_fma_mixlo_f16 v12, v12, v26, 0
	v_lshlrev_b32_e32 v12, 16, v12
	v_or_b32_sdwa v12, v12, v16 dst_sel:DWORD dst_unused:UNUSED_PAD src0_sel:DWORD src1_sel:WORD_0
	v_add_u32_e32 v28, 1, v21
	v_or_b32_e32 v27, 3, v21
	v_or_b32_e32 v26, 2, v21
	;; [unrolled: 1-line block ×6, first 2 shown]
	s_and_saveexec_b64 s[8:9], vcc
	s_cbranch_execz .LBB233_74
; %bb.73:                               ;   in Loop: Header=BB233_40 Depth=1
	v_lshrrev_b32_e32 v17, 16, v15
	v_cmp_gt_i32_e64 s[0:1], s27, v28
	v_lshrrev_b32_e32 v12, 16, v12
	s_nop 0
	v_cndmask_b32_e64 v17, 0, v17, s[0:1]
	v_cmp_gt_i32_e64 s[0:1], s17, v21
	s_nop 1
	v_cndmask_b32_e64 v15, 0, v15, s[0:1]
	v_perm_b32 v15, v17, v15, s31
	v_lshrrev_b32_e32 v17, 16, v4
	v_cmp_gt_i32_e64 s[0:1], s27, v27
	s_nop 1
	v_cndmask_b32_e64 v17, 0, v17, s[0:1]
	v_cmp_gt_i32_e64 s[0:1], s17, v26
	s_nop 1
	v_cndmask_b32_e64 v4, 0, v4, s[0:1]
	v_perm_b32 v4, v17, v4, s31
	v_lshrrev_b32_e32 v17, 16, v14
	v_cmp_gt_i32_e64 s[0:1], s27, v25
	s_nop 1
	v_cndmask_b32_e64 v17, 0, v17, s[0:1]
	v_cmp_gt_i32_e64 s[0:1], s17, v24
	s_nop 1
	v_cndmask_b32_e64 v14, 0, v14, s[0:1]
	v_cmp_gt_i32_e64 s[0:1], s27, v19
	v_perm_b32 v14, v17, v14, s31
	s_nop 0
	v_cndmask_b32_e64 v12, 0, v12, s[0:1]
	v_cmp_gt_i32_e64 s[0:1], s17, v18
	s_nop 1
	v_cndmask_b32_e64 v16, 0, v16, s[0:1]
	v_perm_b32 v12, v12, v16, s31
.LBB233_74:                             ;   in Loop: Header=BB233_40 Depth=1
	s_or_b64 exec, exec, s[8:9]
	v_and_b32_e32 v16, 0xffff, v29
	v_lshl_or_b32 v29, v30, 16, v16
	v_and_b32_e32 v16, 0xffff, v31
	v_lshl_or_b32 v30, v32, 16, v16
	;; [unrolled: 2-line block ×3, first 2 shown]
	v_and_b32_e32 v16, 0xffff, v35
	;;#ASMSTART
	v_pk_mul_f16 v15, v29, v15;

	;;#ASMEND
	;;#ASMSTART
	v_pk_mul_f16 v4, v30, v4;

	;;#ASMEND
	v_lshl_or_b32 v32, v36, 16, v16
	;;#ASMSTART
	v_pk_mul_f16 v14, v31, v14;

	;;#ASMEND
	;;#ASMSTART
	v_pk_mul_f16 v12, v32, v12;

	;;#ASMEND
	;;#ASMSTART
	v_pk_add_f16 v4, v15, v4;

	;;#ASMEND
	s_mov_b64 s[0:1], 0
	;;#ASMSTART
	v_pk_add_f16 v4, v4, v14;

	;;#ASMEND
                                        ; implicit-def: $sgpr14
	s_nop 0
	;;#ASMSTART
	v_pk_add_f16 v4, v4, v12;

	;;#ASMEND
	s_nop 0
	v_lshrrev_b32_e32 v12, 16, v4
	v_and_b32_e32 v4, 0xffff, v4
	;;#ASMSTART
	v_cvt_f32_f16 v33, v4;
	;;#ASMEND
	;;#ASMSTART
	v_cvt_f32_f16 v34, v12;
	;;#ASMEND
	global_load_dwordx2 v[14:15], v[10:11], off offset:512
	global_load_dword v12, v5, s[10:11]
	s_waitcnt vmcnt(1)
	v_cmp_gt_i16_sdwa s[8:9], v14, s22 src0_sel:BYTE_0 src1_sel:DWORD
	s_and_saveexec_b64 s[12:13], s[8:9]
	s_xor_b64 s[8:9], exec, s[12:13]
	s_cbranch_execnz .LBB233_140
; %bb.75:                               ;   in Loop: Header=BB233_40 Depth=1
	s_or_saveexec_b64 s[8:9], s[8:9]
	v_mov_b32_e32 v10, s14
	s_xor_b64 exec, exec, s[8:9]
	s_cbranch_execnz .LBB233_143
.LBB233_76:                             ;   in Loop: Header=BB233_40 Depth=1
	s_or_b64 exec, exec, s[8:9]
	s_and_saveexec_b64 s[8:9], s[0:1]
	s_cbranch_execz .LBB233_78
.LBB233_77:                             ;   in Loop: Header=BB233_40 Depth=1
	v_and_b32_e32 v4, 7, v14
	v_ffbh_u32_e32 v4, v4
	v_bfe_u32 v10, v14, 3, 4
	v_min_u32_e32 v4, 32, v4
	v_subrev_u32_e32 v11, 28, v4
	v_sub_u32_e32 v4, 29, v4
	v_cmp_eq_u32_e64 s[0:1], 0, v10
	s_nop 1
	v_cndmask_b32_e64 v4, v10, v4, s[0:1]
	v_cndmask_b32_e64 v10, 0, v11, s[0:1]
	v_lshlrev_b64 v[10:11], v10, v[14:15]
	v_lshlrev_b32_e32 v11, 8, v14
	v_lshl_add_u32 v4, v4, 10, v23
	v_lshlrev_b32_e32 v10, 7, v10
	v_and_or_b32 v4, v11, s24, v4
	v_and_or_b32 v4, v10, s25, v4
	v_cvt_f32_f16_e32 v10, v4
.LBB233_78:                             ;   in Loop: Header=BB233_40 Depth=1
	s_or_b64 exec, exec, s[8:9]
	v_lshrrev_b16_e32 v4, 8, v14
	v_cmp_lt_i16_e64 s[0:1], s22, v4
	s_mov_b64 s[8:9], 0
                                        ; implicit-def: $sgpr34
	s_and_saveexec_b64 s[12:13], s[0:1]
	s_xor_b64 s[12:13], exec, s[12:13]
	s_cbranch_execnz .LBB233_144
; %bb.79:                               ;   in Loop: Header=BB233_40 Depth=1
	s_or_saveexec_b64 s[12:13], s[12:13]
	v_mov_b32_e32 v16, s34
	s_xor_b64 exec, exec, s[12:13]
	s_cbranch_execnz .LBB233_147
.LBB233_80:                             ;   in Loop: Header=BB233_40 Depth=1
	s_or_b64 exec, exec, s[12:13]
	s_and_saveexec_b64 s[12:13], s[8:9]
	s_cbranch_execz .LBB233_82
.LBB233_81:                             ;   in Loop: Header=BB233_40 Depth=1
	v_and_b32_e32 v11, 7, v4
	v_ffbh_u32_e32 v16, v11
	v_min_u32_e32 v36, 32, v16
	v_subrev_u32_e32 v16, 28, v36
	v_bfe_u32 v35, v4, 3, 4
	v_lshlrev_b64 v[16:17], v16, v[4:5]
	v_sub_u32_e32 v17, 29, v36
	v_cmp_eq_u32_e64 s[0:1], 0, v35
	v_and_b32_e32 v16, 7, v16
	v_lshlrev_b32_e32 v4, 8, v4
	v_cndmask_b32_e64 v17, v35, v17, s[0:1]
	v_cndmask_b32_e64 v11, v11, v16, s[0:1]
	v_lshl_add_u32 v16, v17, 10, v23
	v_and_or_b32 v4, v4, s24, v16
	v_lshl_or_b32 v4, v11, 7, v4
	v_cvt_f32_f16_e32 v16, v4
.LBB233_82:                             ;   in Loop: Header=BB233_40 Depth=1
	s_or_b64 exec, exec, s[12:13]
	v_lshrrev_b32_e32 v4, 16, v14
	v_cmp_gt_i16_sdwa s[8:9], v4, s22 src0_sel:BYTE_0 src1_sel:DWORD
	s_mov_b64 s[0:1], 0
                                        ; implicit-def: $sgpr14
	s_and_saveexec_b64 s[12:13], s[8:9]
	s_xor_b64 s[8:9], exec, s[12:13]
	s_cbranch_execnz .LBB233_148
; %bb.83:                               ;   in Loop: Header=BB233_40 Depth=1
	s_or_saveexec_b64 s[8:9], s[8:9]
	v_mov_b32_e32 v11, s14
	s_xor_b64 exec, exec, s[8:9]
	s_cbranch_execnz .LBB233_151
.LBB233_84:                             ;   in Loop: Header=BB233_40 Depth=1
	s_or_b64 exec, exec, s[8:9]
	s_and_saveexec_b64 s[8:9], s[0:1]
	s_cbranch_execz .LBB233_86
.LBB233_85:                             ;   in Loop: Header=BB233_40 Depth=1
	v_bfe_u32 v11, v14, 16, 3
	v_ffbh_u32_e32 v35, v11
	v_bfe_u32 v17, v14, 19, 4
	v_min_u32_e32 v35, 32, v35
	v_subrev_u32_e32 v36, 28, v35
	v_sub_u32_e32 v35, 29, v35
	v_cmp_eq_u32_e64 s[0:1], 0, v17
	v_lshlrev_b64 v[36:37], v36, v[4:5]
	v_and_b32_e32 v36, 7, v36
	v_cndmask_b32_e64 v17, v17, v35, s[0:1]
	v_lshlrev_b32_e32 v4, 8, v4
	v_lshl_add_u32 v17, v17, 10, v23
	v_cndmask_b32_e64 v11, v11, v36, s[0:1]
	v_and_or_b32 v4, v4, s24, v17
	v_lshl_or_b32 v4, v11, 7, v4
	v_cvt_f32_f16_e32 v11, v4
.LBB233_86:                             ;   in Loop: Header=BB233_40 Depth=1
	s_or_b64 exec, exec, s[8:9]
	v_lshrrev_b32_e32 v4, 24, v14
	v_cmp_lt_i16_e64 s[0:1], s22, v4
	s_mov_b64 s[8:9], 0
                                        ; implicit-def: $sgpr34
	s_and_saveexec_b64 s[12:13], s[0:1]
	s_xor_b64 s[12:13], exec, s[12:13]
	s_cbranch_execnz .LBB233_152
; %bb.87:                               ;   in Loop: Header=BB233_40 Depth=1
	s_or_saveexec_b64 s[12:13], s[12:13]
	v_mov_b32_e32 v17, s34
	s_xor_b64 exec, exec, s[12:13]
	s_cbranch_execnz .LBB233_155
.LBB233_88:                             ;   in Loop: Header=BB233_40 Depth=1
	s_or_b64 exec, exec, s[12:13]
	s_and_saveexec_b64 s[12:13], s[8:9]
	s_cbranch_execz .LBB233_90
.LBB233_89:                             ;   in Loop: Header=BB233_40 Depth=1
	v_bfe_u32 v17, v14, 24, 3
	v_ffbh_u32_e32 v35, v17
	v_bfe_u32 v14, v14, 27, 4
	v_min_u32_e32 v35, 32, v35
	v_subrev_u32_e32 v36, 28, v35
	v_sub_u32_e32 v35, 29, v35
	v_cmp_eq_u32_e64 s[0:1], 0, v14
	v_lshlrev_b64 v[36:37], v36, v[4:5]
	v_and_b32_e32 v36, 7, v36
	v_cndmask_b32_e64 v14, v14, v35, s[0:1]
	v_lshlrev_b32_e32 v4, 8, v4
	v_lshl_add_u32 v14, v14, 10, v23
	v_cndmask_b32_e64 v17, v17, v36, s[0:1]
	v_and_or_b32 v4, v4, s24, v14
	v_lshl_or_b32 v4, v17, 7, v4
	v_cvt_f32_f16_e32 v17, v4
.LBB233_90:                             ;   in Loop: Header=BB233_40 Depth=1
	s_or_b64 exec, exec, s[12:13]
	v_cmp_gt_i16_sdwa s[8:9], v15, s22 src0_sel:BYTE_0 src1_sel:DWORD
	s_mov_b64 s[0:1], 0
                                        ; implicit-def: $sgpr14
	s_and_saveexec_b64 s[12:13], s[8:9]
	s_xor_b64 s[8:9], exec, s[12:13]
	s_cbranch_execnz .LBB233_156
; %bb.91:                               ;   in Loop: Header=BB233_40 Depth=1
	s_or_saveexec_b64 s[8:9], s[8:9]
	v_mov_b32_e32 v14, s14
	s_xor_b64 exec, exec, s[8:9]
	s_cbranch_execnz .LBB233_159
.LBB233_92:                             ;   in Loop: Header=BB233_40 Depth=1
	s_or_b64 exec, exec, s[8:9]
	v_mov_b32_e32 v4, v15
	s_and_saveexec_b64 s[8:9], s[0:1]
	s_cbranch_execz .LBB233_94
.LBB233_93:                             ;   in Loop: Header=BB233_40 Depth=1
	v_and_b32_e32 v14, 7, v15
	v_ffbh_u32_e32 v14, v14
	v_bfe_u32 v35, v15, 3, 4
	v_min_u32_e32 v14, 32, v14
	v_subrev_u32_e32 v36, 28, v14
	v_sub_u32_e32 v14, 29, v14
	v_cmp_eq_u32_e64 s[0:1], 0, v35
	s_nop 1
	v_cndmask_b32_e64 v14, v35, v14, s[0:1]
	v_cndmask_b32_e64 v35, 0, v36, s[0:1]
	v_lshlrev_b64 v[36:37], v35, v[4:5]
	v_lshlrev_b32_e32 v35, 7, v36
	v_lshlrev_b32_e32 v36, 8, v15
	v_lshl_add_u32 v14, v14, 10, v23
	v_and_or_b32 v14, v36, s24, v14
	v_and_or_b32 v14, v35, s25, v14
	v_cvt_f32_f16_e32 v14, v14
.LBB233_94:                             ;   in Loop: Header=BB233_40 Depth=1
	s_or_b64 exec, exec, s[8:9]
	v_lshrrev_b16_e32 v4, 8, v4
	v_cmp_lt_i16_e64 s[0:1], s22, v4
	s_mov_b64 s[8:9], 0
                                        ; implicit-def: $sgpr34
	s_and_saveexec_b64 s[12:13], s[0:1]
	s_xor_b64 s[12:13], exec, s[12:13]
	s_cbranch_execnz .LBB233_160
; %bb.95:                               ;   in Loop: Header=BB233_40 Depth=1
	s_or_saveexec_b64 s[12:13], s[12:13]
	v_mov_b32_e32 v35, s34
	s_xor_b64 exec, exec, s[12:13]
	s_cbranch_execnz .LBB233_163
.LBB233_96:                             ;   in Loop: Header=BB233_40 Depth=1
	s_or_b64 exec, exec, s[12:13]
	s_and_saveexec_b64 s[12:13], s[8:9]
	s_cbranch_execz .LBB233_98
.LBB233_97:                             ;   in Loop: Header=BB233_40 Depth=1
	v_and_b32_e32 v35, 7, v4
	v_ffbh_u32_e32 v36, v35
	v_min_u32_e32 v39, 32, v36
	v_subrev_u32_e32 v36, 28, v39
	v_bfe_u32 v38, v4, 3, 4
	v_lshlrev_b64 v[36:37], v36, v[4:5]
	v_sub_u32_e32 v37, 29, v39
	v_cmp_eq_u32_e64 s[0:1], 0, v38
	v_and_b32_e32 v36, 7, v36
	v_lshlrev_b32_e32 v4, 8, v4
	v_cndmask_b32_e64 v37, v38, v37, s[0:1]
	v_cndmask_b32_e64 v35, v35, v36, s[0:1]
	v_lshl_add_u32 v36, v37, 10, v23
	v_and_or_b32 v4, v4, s24, v36
	v_lshl_or_b32 v4, v35, 7, v4
	v_cvt_f32_f16_e32 v35, v4
.LBB233_98:                             ;   in Loop: Header=BB233_40 Depth=1
	s_or_b64 exec, exec, s[12:13]
	v_lshrrev_b32_e32 v4, 16, v15
	v_cmp_gt_i16_sdwa s[8:9], v4, s22 src0_sel:BYTE_0 src1_sel:DWORD
	s_mov_b64 s[0:1], 0
                                        ; implicit-def: $sgpr14
	s_and_saveexec_b64 s[12:13], s[8:9]
	s_xor_b64 s[8:9], exec, s[12:13]
	s_cbranch_execnz .LBB233_164
; %bb.99:                               ;   in Loop: Header=BB233_40 Depth=1
	s_or_saveexec_b64 s[8:9], s[8:9]
	v_mov_b32_e32 v36, s14
	s_xor_b64 exec, exec, s[8:9]
	s_cbranch_execnz .LBB233_167
.LBB233_100:                            ;   in Loop: Header=BB233_40 Depth=1
	s_or_b64 exec, exec, s[8:9]
	s_and_saveexec_b64 s[8:9], s[0:1]
	s_cbranch_execz .LBB233_102
.LBB233_101:                            ;   in Loop: Header=BB233_40 Depth=1
	v_bfe_u32 v38, v15, 16, 3
	v_ffbh_u32_e32 v36, v38
	v_min_u32_e32 v40, 32, v36
	v_subrev_u32_e32 v36, 28, v40
	v_bfe_u32 v39, v15, 19, 4
	v_lshlrev_b64 v[36:37], v36, v[4:5]
	v_sub_u32_e32 v37, 29, v40
	v_cmp_eq_u32_e64 s[0:1], 0, v39
	v_and_b32_e32 v36, 7, v36
	v_lshlrev_b32_e32 v4, 8, v4
	v_cndmask_b32_e64 v37, v39, v37, s[0:1]
	v_lshl_add_u32 v37, v37, 10, v23
	v_cndmask_b32_e64 v36, v38, v36, s[0:1]
	v_and_or_b32 v4, v4, s24, v37
	v_lshl_or_b32 v4, v36, 7, v4
	v_cvt_f32_f16_e32 v36, v4
.LBB233_102:                            ;   in Loop: Header=BB233_40 Depth=1
	s_or_b64 exec, exec, s[8:9]
	v_lshrrev_b32_e32 v4, 24, v15
	v_cmp_lt_i16_e64 s[0:1], s22, v4
	s_mov_b64 s[8:9], 0
                                        ; implicit-def: $sgpr34
	s_and_saveexec_b64 s[12:13], s[0:1]
	s_xor_b64 s[12:13], exec, s[12:13]
	s_cbranch_execnz .LBB233_168
; %bb.103:                              ;   in Loop: Header=BB233_40 Depth=1
	s_or_saveexec_b64 s[12:13], s[12:13]
	v_mov_b32_e32 v37, s34
	s_xor_b64 exec, exec, s[12:13]
	s_cbranch_execnz .LBB233_171
.LBB233_104:                            ;   in Loop: Header=BB233_40 Depth=1
	s_or_b64 exec, exec, s[12:13]
	s_and_saveexec_b64 s[12:13], s[8:9]
	s_cbranch_execz .LBB233_106
.LBB233_105:                            ;   in Loop: Header=BB233_40 Depth=1
	v_bfe_u32 v37, v15, 24, 3
	v_ffbh_u32_e32 v38, v37
	v_min_u32_e32 v40, 32, v38
	v_subrev_u32_e32 v38, 28, v40
	v_bfe_u32 v15, v15, 27, 4
	v_lshlrev_b64 v[38:39], v38, v[4:5]
	v_sub_u32_e32 v39, 29, v40
	v_cmp_eq_u32_e64 s[0:1], 0, v15
	v_and_b32_e32 v38, 7, v38
	v_lshlrev_b32_e32 v4, 8, v4
	v_cndmask_b32_e64 v15, v15, v39, s[0:1]
	v_lshl_add_u32 v15, v15, 10, v23
	v_cndmask_b32_e64 v37, v37, v38, s[0:1]
	v_and_or_b32 v4, v4, s24, v15
	v_lshl_or_b32 v4, v37, 7, v4
	v_cvt_f32_f16_e32 v37, v4
.LBB233_106:                            ;   in Loop: Header=BB233_40 Depth=1
	s_or_b64 exec, exec, s[12:13]
	s_waitcnt vmcnt(0)
	v_pk_mul_f32 v[10:11], v[12:13], v[10:11] op_sel_hi:[0,1]
	v_cvt_f16_f32_e32 v11, v11
	v_cvt_f16_f32_e32 v10, v10
	v_pk_mul_f32 v[16:17], v[12:13], v[16:17] op_sel_hi:[0,1]
	v_cvt_f16_f32_e32 v4, v17
	v_cvt_f16_f32_e32 v15, v16
	v_pack_b32_f16 v10, v10, v11
	v_fma_mixlo_f16 v11, v12, v35, 0
	v_lshlrev_b32_e32 v11, 16, v11
	v_fma_mixlo_f16 v14, v12, v14, 0
	v_or_b32_sdwa v11, v11, v14 dst_sel:DWORD dst_unused:UNUSED_PAD src0_sel:DWORD src1_sel:WORD_0
	v_fma_mixlo_f16 v14, v12, v36, 0
	v_fma_mixlo_f16 v12, v12, v37, 0
	v_pack_b32_f16 v15, v15, v4
	v_lshlrev_b32_e32 v12, 16, v12
	v_perm_b32 v4, v10, v15, s29
	v_perm_b32 v10, v10, v15, s30
	v_or_b32_sdwa v12, v12, v14 dst_sel:DWORD dst_unused:UNUSED_PAD src0_sel:DWORD src1_sel:WORD_0
	s_and_saveexec_b64 s[0:1], vcc
	s_cbranch_execz .LBB233_39
; %bb.107:                              ;   in Loop: Header=BB233_40 Depth=1
	v_lshrrev_b32_e32 v15, 16, v10
	v_cmp_gt_i32_e32 vcc, s27, v28
	v_lshrrev_b32_e32 v12, 16, v12
	s_nop 0
	v_cndmask_b32_e32 v15, 0, v15, vcc
	v_cmp_gt_i32_e32 vcc, s17, v21
	s_nop 1
	v_cndmask_b32_e32 v10, 0, v10, vcc
	v_perm_b32 v10, v15, v10, s31
	v_lshrrev_b32_e32 v15, 16, v4
	v_cmp_gt_i32_e32 vcc, s27, v27
	s_nop 1
	v_cndmask_b32_e32 v15, 0, v15, vcc
	v_cmp_gt_i32_e32 vcc, s17, v26
	s_nop 1
	v_cndmask_b32_e32 v4, 0, v4, vcc
	v_perm_b32 v4, v15, v4, s31
	v_lshrrev_b32_e32 v15, 16, v11
	v_cmp_gt_i32_e32 vcc, s27, v25
	s_nop 1
	v_cndmask_b32_e32 v15, 0, v15, vcc
	v_cmp_gt_i32_e32 vcc, s17, v24
	s_nop 1
	v_cndmask_b32_e32 v11, 0, v11, vcc
	v_cmp_gt_i32_e32 vcc, s27, v19
	v_perm_b32 v11, v15, v11, s31
	s_nop 0
	v_cndmask_b32_e32 v12, 0, v12, vcc
	v_cmp_gt_i32_e32 vcc, s17, v18
	s_nop 1
	v_cndmask_b32_e32 v14, 0, v14, vcc
	v_perm_b32 v12, v12, v14, s31
	s_branch .LBB233_39
.LBB233_108:                            ;   in Loop: Header=BB233_40 Depth=1
	v_cmp_eq_u16_sdwa s[34:35], v14, s23 src0_sel:BYTE_0 src1_sel:DWORD
	s_mov_b64 s[0:1], -1
                                        ; implicit-def: $sgpr14
	s_and_saveexec_b64 s[12:13], s[34:35]
; %bb.109:                              ;   in Loop: Header=BB233_40 Depth=1
	s_mov_b32 s14, 0x7fc02000
	s_xor_b64 s[0:1], exec, -1
; %bb.110:                              ;   in Loop: Header=BB233_40 Depth=1
	s_or_b64 exec, exec, s[12:13]
	s_and_b64 s[0:1], s[0:1], exec
	s_or_saveexec_b64 s[8:9], s[8:9]
	v_mov_b32_e32 v16, s14
	s_xor_b64 exec, exec, s[8:9]
	s_cbranch_execz .LBB233_42
.LBB233_111:                            ;   in Loop: Header=BB233_40 Depth=1
	v_cmp_ne_u16_sdwa s[12:13], v14, v5 src0_sel:BYTE_0 src1_sel:DWORD
	s_andn2_b64 s[0:1], s[0:1], exec
	s_and_b64 s[12:13], s[12:13], exec
	v_mov_b32_e32 v16, 0
	s_or_b64 s[0:1], s[0:1], s[12:13]
	s_or_b64 exec, exec, s[8:9]
	s_and_saveexec_b64 s[8:9], s[0:1]
	s_cbranch_execnz .LBB233_43
	s_branch .LBB233_44
.LBB233_112:                            ;   in Loop: Header=BB233_40 Depth=1
	v_cmp_eq_u16_e32 vcc, s23, v4
	s_mov_b64 s[0:1], -1
                                        ; implicit-def: $sgpr14
	s_and_saveexec_b64 s[12:13], vcc
; %bb.113:                              ;   in Loop: Header=BB233_40 Depth=1
	s_mov_b32 s14, 0x7fc02000
	s_xor_b64 s[0:1], exec, -1
; %bb.114:                              ;   in Loop: Header=BB233_40 Depth=1
	s_or_b64 exec, exec, s[12:13]
	s_and_b64 s[0:1], s[0:1], exec
	s_or_saveexec_b64 s[8:9], s[8:9]
	v_mov_b32_e32 v18, s14
	s_xor_b64 exec, exec, s[8:9]
	s_cbranch_execz .LBB233_46
.LBB233_115:                            ;   in Loop: Header=BB233_40 Depth=1
	v_cmp_ne_u16_e32 vcc, 0, v4
	s_andn2_b64 s[0:1], s[0:1], exec
	s_and_b64 s[12:13], vcc, exec
	v_mov_b32_e32 v18, 0
	s_or_b64 s[0:1], s[0:1], s[12:13]
	s_or_b64 exec, exec, s[8:9]
	s_and_saveexec_b64 s[8:9], s[0:1]
	s_cbranch_execnz .LBB233_47
	s_branch .LBB233_48
.LBB233_116:                            ;   in Loop: Header=BB233_40 Depth=1
	v_cmp_eq_u16_sdwa s[34:35], v4, s23 src0_sel:BYTE_0 src1_sel:DWORD
	s_mov_b64 s[0:1], -1
                                        ; implicit-def: $sgpr14
	s_and_saveexec_b64 s[12:13], s[34:35]
; %bb.117:                              ;   in Loop: Header=BB233_40 Depth=1
	s_mov_b32 s14, 0x7fc02000
	s_xor_b64 s[0:1], exec, -1
; %bb.118:                              ;   in Loop: Header=BB233_40 Depth=1
	s_or_b64 exec, exec, s[12:13]
	s_and_b64 s[0:1], s[0:1], exec
	s_or_saveexec_b64 s[8:9], s[8:9]
	v_mov_b32_e32 v17, s14
	s_xor_b64 exec, exec, s[8:9]
	s_cbranch_execz .LBB233_50
.LBB233_119:                            ;   in Loop: Header=BB233_40 Depth=1
	v_cmp_ne_u16_sdwa s[12:13], v4, v5 src0_sel:BYTE_0 src1_sel:DWORD
	s_andn2_b64 s[0:1], s[0:1], exec
	s_and_b64 s[12:13], s[12:13], exec
	v_mov_b32_e32 v17, 0
	s_or_b64 s[0:1], s[0:1], s[12:13]
	s_or_b64 exec, exec, s[8:9]
	s_and_saveexec_b64 s[8:9], s[0:1]
	s_cbranch_execnz .LBB233_51
	s_branch .LBB233_52
.LBB233_120:                            ;   in Loop: Header=BB233_40 Depth=1
	v_cmp_eq_u16_e32 vcc, s23, v4
	s_mov_b64 s[0:1], -1
                                        ; implicit-def: $sgpr14
	s_and_saveexec_b64 s[12:13], vcc
; %bb.121:                              ;   in Loop: Header=BB233_40 Depth=1
	s_mov_b32 s14, 0x7fc02000
	s_xor_b64 s[0:1], exec, -1
; %bb.122:                              ;   in Loop: Header=BB233_40 Depth=1
	s_or_b64 exec, exec, s[12:13]
	s_and_b64 s[0:1], s[0:1], exec
	s_or_saveexec_b64 s[8:9], s[8:9]
	v_mov_b32_e32 v19, s14
	s_xor_b64 exec, exec, s[8:9]
	s_cbranch_execz .LBB233_54
.LBB233_123:                            ;   in Loop: Header=BB233_40 Depth=1
	v_cmp_ne_u16_e32 vcc, 0, v4
	s_andn2_b64 s[0:1], s[0:1], exec
	s_and_b64 s[12:13], vcc, exec
	v_mov_b32_e32 v19, 0
	s_or_b64 s[0:1], s[0:1], s[12:13]
	s_or_b64 exec, exec, s[8:9]
	s_and_saveexec_b64 s[8:9], s[0:1]
	s_cbranch_execnz .LBB233_55
	s_branch .LBB233_56
.LBB233_124:                            ;   in Loop: Header=BB233_40 Depth=1
	v_cmp_eq_u16_sdwa s[34:35], v15, s23 src0_sel:BYTE_0 src1_sel:DWORD
	s_mov_b64 s[0:1], -1
                                        ; implicit-def: $sgpr14
	s_and_saveexec_b64 s[12:13], s[34:35]
; %bb.125:                              ;   in Loop: Header=BB233_40 Depth=1
	s_mov_b32 s14, 0x7fc02000
	s_xor_b64 s[0:1], exec, -1
; %bb.126:                              ;   in Loop: Header=BB233_40 Depth=1
	s_or_b64 exec, exec, s[12:13]
	s_and_b64 s[0:1], s[0:1], exec
	s_or_saveexec_b64 s[8:9], s[8:9]
	v_mov_b32_e32 v14, s14
	s_xor_b64 exec, exec, s[8:9]
	s_cbranch_execz .LBB233_58
.LBB233_127:                            ;   in Loop: Header=BB233_40 Depth=1
	v_cmp_ne_u16_sdwa s[12:13], v15, v5 src0_sel:BYTE_0 src1_sel:DWORD
	s_andn2_b64 s[0:1], s[0:1], exec
	s_and_b64 s[12:13], s[12:13], exec
	v_mov_b32_e32 v14, 0
	s_or_b64 s[0:1], s[0:1], s[12:13]
	s_or_b64 exec, exec, s[8:9]
	v_mov_b32_e32 v4, v15
	s_and_saveexec_b64 s[8:9], s[0:1]
	s_cbranch_execnz .LBB233_59
	s_branch .LBB233_60
.LBB233_128:                            ;   in Loop: Header=BB233_40 Depth=1
	v_cmp_eq_u16_e32 vcc, s23, v4
	s_mov_b64 s[0:1], -1
                                        ; implicit-def: $sgpr14
	s_and_saveexec_b64 s[12:13], vcc
; %bb.129:                              ;   in Loop: Header=BB233_40 Depth=1
	s_mov_b32 s14, 0x7fc02000
	s_xor_b64 s[0:1], exec, -1
; %bb.130:                              ;   in Loop: Header=BB233_40 Depth=1
	s_or_b64 exec, exec, s[12:13]
	s_and_b64 s[0:1], s[0:1], exec
	s_or_saveexec_b64 s[8:9], s[8:9]
	v_mov_b32_e32 v24, s14
	s_xor_b64 exec, exec, s[8:9]
	s_cbranch_execz .LBB233_62
.LBB233_131:                            ;   in Loop: Header=BB233_40 Depth=1
	v_cmp_ne_u16_e32 vcc, 0, v4
	s_andn2_b64 s[0:1], s[0:1], exec
	s_and_b64 s[12:13], vcc, exec
	v_mov_b32_e32 v24, 0
	s_or_b64 s[0:1], s[0:1], s[12:13]
	s_or_b64 exec, exec, s[8:9]
	s_and_saveexec_b64 s[8:9], s[0:1]
	s_cbranch_execnz .LBB233_63
	s_branch .LBB233_64
.LBB233_132:                            ;   in Loop: Header=BB233_40 Depth=1
	v_cmp_eq_u16_sdwa s[34:35], v4, s23 src0_sel:BYTE_0 src1_sel:DWORD
	s_mov_b64 s[0:1], -1
                                        ; implicit-def: $sgpr14
	s_and_saveexec_b64 s[12:13], s[34:35]
; %bb.133:                              ;   in Loop: Header=BB233_40 Depth=1
	s_mov_b32 s14, 0x7fc02000
	s_xor_b64 s[0:1], exec, -1
; %bb.134:                              ;   in Loop: Header=BB233_40 Depth=1
	s_or_b64 exec, exec, s[12:13]
	s_and_b64 s[0:1], s[0:1], exec
	s_or_saveexec_b64 s[8:9], s[8:9]
	v_mov_b32_e32 v25, s14
	s_xor_b64 exec, exec, s[8:9]
	s_cbranch_execz .LBB233_66
.LBB233_135:                            ;   in Loop: Header=BB233_40 Depth=1
	v_cmp_ne_u16_sdwa s[12:13], v4, v5 src0_sel:BYTE_0 src1_sel:DWORD
	s_andn2_b64 s[0:1], s[0:1], exec
	s_and_b64 s[12:13], s[12:13], exec
	v_mov_b32_e32 v25, 0
	s_or_b64 s[0:1], s[0:1], s[12:13]
	s_or_b64 exec, exec, s[8:9]
	s_and_saveexec_b64 s[8:9], s[0:1]
	s_cbranch_execnz .LBB233_67
	s_branch .LBB233_68
.LBB233_136:                            ;   in Loop: Header=BB233_40 Depth=1
	v_cmp_eq_u16_e32 vcc, s23, v4
	s_mov_b64 s[0:1], -1
                                        ; implicit-def: $sgpr14
	s_and_saveexec_b64 s[12:13], vcc
; %bb.137:                              ;   in Loop: Header=BB233_40 Depth=1
	s_mov_b32 s14, 0x7fc02000
	s_xor_b64 s[0:1], exec, -1
; %bb.138:                              ;   in Loop: Header=BB233_40 Depth=1
	s_or_b64 exec, exec, s[12:13]
	s_and_b64 s[0:1], s[0:1], exec
	s_or_saveexec_b64 s[8:9], s[8:9]
	v_mov_b32_e32 v26, s14
	s_xor_b64 exec, exec, s[8:9]
	s_cbranch_execz .LBB233_70
.LBB233_139:                            ;   in Loop: Header=BB233_40 Depth=1
	v_cmp_ne_u16_e32 vcc, 0, v4
	s_andn2_b64 s[0:1], s[0:1], exec
	s_and_b64 s[12:13], vcc, exec
	v_mov_b32_e32 v26, 0
	s_or_b64 s[0:1], s[0:1], s[12:13]
	s_or_b64 exec, exec, s[8:9]
	s_and_saveexec_b64 s[8:9], s[0:1]
	s_cbranch_execnz .LBB233_71
	s_branch .LBB233_72
.LBB233_140:                            ;   in Loop: Header=BB233_40 Depth=1
	v_cmp_eq_u16_sdwa s[34:35], v14, s23 src0_sel:BYTE_0 src1_sel:DWORD
	s_mov_b64 s[0:1], -1
                                        ; implicit-def: $sgpr14
	s_and_saveexec_b64 s[12:13], s[34:35]
; %bb.141:                              ;   in Loop: Header=BB233_40 Depth=1
	s_mov_b32 s14, 0x7fc02000
	s_xor_b64 s[0:1], exec, -1
; %bb.142:                              ;   in Loop: Header=BB233_40 Depth=1
	s_or_b64 exec, exec, s[12:13]
	s_and_b64 s[0:1], s[0:1], exec
	s_or_saveexec_b64 s[8:9], s[8:9]
	v_mov_b32_e32 v10, s14
	s_xor_b64 exec, exec, s[8:9]
	s_cbranch_execz .LBB233_76
.LBB233_143:                            ;   in Loop: Header=BB233_40 Depth=1
	v_cmp_ne_u16_sdwa s[12:13], v14, v5 src0_sel:BYTE_0 src1_sel:DWORD
	s_andn2_b64 s[0:1], s[0:1], exec
	s_and_b64 s[12:13], s[12:13], exec
	v_mov_b32_e32 v10, 0
	s_or_b64 s[0:1], s[0:1], s[12:13]
	s_or_b64 exec, exec, s[8:9]
	s_and_saveexec_b64 s[8:9], s[0:1]
	s_cbranch_execnz .LBB233_77
	s_branch .LBB233_78
.LBB233_144:                            ;   in Loop: Header=BB233_40 Depth=1
	v_cmp_eq_u16_e64 s[0:1], s23, v4
	s_mov_b64 s[8:9], -1
                                        ; implicit-def: $sgpr34
	s_and_saveexec_b64 s[14:15], s[0:1]
; %bb.145:                              ;   in Loop: Header=BB233_40 Depth=1
	s_mov_b32 s34, 0x7fc02000
	s_xor_b64 s[8:9], exec, -1
; %bb.146:                              ;   in Loop: Header=BB233_40 Depth=1
	s_or_b64 exec, exec, s[14:15]
	s_and_b64 s[8:9], s[8:9], exec
	s_or_saveexec_b64 s[12:13], s[12:13]
	v_mov_b32_e32 v16, s34
	s_xor_b64 exec, exec, s[12:13]
	s_cbranch_execz .LBB233_80
.LBB233_147:                            ;   in Loop: Header=BB233_40 Depth=1
	v_cmp_ne_u16_e64 s[0:1], 0, v4
	s_andn2_b64 s[8:9], s[8:9], exec
	s_and_b64 s[0:1], s[0:1], exec
	v_mov_b32_e32 v16, 0
	s_or_b64 s[8:9], s[8:9], s[0:1]
	s_or_b64 exec, exec, s[12:13]
	s_and_saveexec_b64 s[12:13], s[8:9]
	s_cbranch_execnz .LBB233_81
	s_branch .LBB233_82
.LBB233_148:                            ;   in Loop: Header=BB233_40 Depth=1
	v_cmp_eq_u16_sdwa s[34:35], v4, s23 src0_sel:BYTE_0 src1_sel:DWORD
	s_mov_b64 s[0:1], -1
                                        ; implicit-def: $sgpr14
	s_and_saveexec_b64 s[12:13], s[34:35]
; %bb.149:                              ;   in Loop: Header=BB233_40 Depth=1
	s_mov_b32 s14, 0x7fc02000
	s_xor_b64 s[0:1], exec, -1
; %bb.150:                              ;   in Loop: Header=BB233_40 Depth=1
	s_or_b64 exec, exec, s[12:13]
	s_and_b64 s[0:1], s[0:1], exec
	s_or_saveexec_b64 s[8:9], s[8:9]
	v_mov_b32_e32 v11, s14
	s_xor_b64 exec, exec, s[8:9]
	s_cbranch_execz .LBB233_84
.LBB233_151:                            ;   in Loop: Header=BB233_40 Depth=1
	v_cmp_ne_u16_sdwa s[12:13], v4, v5 src0_sel:BYTE_0 src1_sel:DWORD
	s_andn2_b64 s[0:1], s[0:1], exec
	s_and_b64 s[12:13], s[12:13], exec
	v_mov_b32_e32 v11, 0
	s_or_b64 s[0:1], s[0:1], s[12:13]
	s_or_b64 exec, exec, s[8:9]
	s_and_saveexec_b64 s[8:9], s[0:1]
	s_cbranch_execnz .LBB233_85
	s_branch .LBB233_86
.LBB233_152:                            ;   in Loop: Header=BB233_40 Depth=1
	v_cmp_eq_u16_e64 s[0:1], s23, v4
	s_mov_b64 s[8:9], -1
                                        ; implicit-def: $sgpr34
	s_and_saveexec_b64 s[14:15], s[0:1]
; %bb.153:                              ;   in Loop: Header=BB233_40 Depth=1
	s_mov_b32 s34, 0x7fc02000
	s_xor_b64 s[8:9], exec, -1
; %bb.154:                              ;   in Loop: Header=BB233_40 Depth=1
	s_or_b64 exec, exec, s[14:15]
	s_and_b64 s[8:9], s[8:9], exec
	s_or_saveexec_b64 s[12:13], s[12:13]
	v_mov_b32_e32 v17, s34
	s_xor_b64 exec, exec, s[12:13]
	s_cbranch_execz .LBB233_88
.LBB233_155:                            ;   in Loop: Header=BB233_40 Depth=1
	v_cmp_ne_u16_e64 s[0:1], 0, v4
	s_andn2_b64 s[8:9], s[8:9], exec
	s_and_b64 s[0:1], s[0:1], exec
	v_mov_b32_e32 v17, 0
	s_or_b64 s[8:9], s[8:9], s[0:1]
	s_or_b64 exec, exec, s[12:13]
	s_and_saveexec_b64 s[12:13], s[8:9]
	s_cbranch_execnz .LBB233_89
	s_branch .LBB233_90
.LBB233_156:                            ;   in Loop: Header=BB233_40 Depth=1
	v_cmp_eq_u16_sdwa s[34:35], v15, s23 src0_sel:BYTE_0 src1_sel:DWORD
	s_mov_b64 s[0:1], -1
                                        ; implicit-def: $sgpr14
	s_and_saveexec_b64 s[12:13], s[34:35]
; %bb.157:                              ;   in Loop: Header=BB233_40 Depth=1
	s_mov_b32 s14, 0x7fc02000
	s_xor_b64 s[0:1], exec, -1
; %bb.158:                              ;   in Loop: Header=BB233_40 Depth=1
	s_or_b64 exec, exec, s[12:13]
	s_and_b64 s[0:1], s[0:1], exec
	s_or_saveexec_b64 s[8:9], s[8:9]
	v_mov_b32_e32 v14, s14
	s_xor_b64 exec, exec, s[8:9]
	s_cbranch_execz .LBB233_92
.LBB233_159:                            ;   in Loop: Header=BB233_40 Depth=1
	v_cmp_ne_u16_sdwa s[12:13], v15, v5 src0_sel:BYTE_0 src1_sel:DWORD
	s_andn2_b64 s[0:1], s[0:1], exec
	s_and_b64 s[12:13], s[12:13], exec
	v_mov_b32_e32 v14, 0
	s_or_b64 s[0:1], s[0:1], s[12:13]
	s_or_b64 exec, exec, s[8:9]
	v_mov_b32_e32 v4, v15
	s_and_saveexec_b64 s[8:9], s[0:1]
	s_cbranch_execnz .LBB233_93
	s_branch .LBB233_94
.LBB233_160:                            ;   in Loop: Header=BB233_40 Depth=1
	v_cmp_eq_u16_e64 s[0:1], s23, v4
	s_mov_b64 s[8:9], -1
                                        ; implicit-def: $sgpr34
	s_and_saveexec_b64 s[14:15], s[0:1]
; %bb.161:                              ;   in Loop: Header=BB233_40 Depth=1
	s_mov_b32 s34, 0x7fc02000
	s_xor_b64 s[8:9], exec, -1
; %bb.162:                              ;   in Loop: Header=BB233_40 Depth=1
	s_or_b64 exec, exec, s[14:15]
	s_and_b64 s[8:9], s[8:9], exec
	s_or_saveexec_b64 s[12:13], s[12:13]
	v_mov_b32_e32 v35, s34
	s_xor_b64 exec, exec, s[12:13]
	s_cbranch_execz .LBB233_96
.LBB233_163:                            ;   in Loop: Header=BB233_40 Depth=1
	v_cmp_ne_u16_e64 s[0:1], 0, v4
	s_andn2_b64 s[8:9], s[8:9], exec
	s_and_b64 s[0:1], s[0:1], exec
	v_mov_b32_e32 v35, 0
	s_or_b64 s[8:9], s[8:9], s[0:1]
	s_or_b64 exec, exec, s[12:13]
	s_and_saveexec_b64 s[12:13], s[8:9]
	s_cbranch_execnz .LBB233_97
	s_branch .LBB233_98
.LBB233_164:                            ;   in Loop: Header=BB233_40 Depth=1
	v_cmp_eq_u16_sdwa s[34:35], v4, s23 src0_sel:BYTE_0 src1_sel:DWORD
	s_mov_b64 s[0:1], -1
                                        ; implicit-def: $sgpr14
	s_and_saveexec_b64 s[12:13], s[34:35]
; %bb.165:                              ;   in Loop: Header=BB233_40 Depth=1
	s_mov_b32 s14, 0x7fc02000
	s_xor_b64 s[0:1], exec, -1
; %bb.166:                              ;   in Loop: Header=BB233_40 Depth=1
	s_or_b64 exec, exec, s[12:13]
	s_and_b64 s[0:1], s[0:1], exec
	s_or_saveexec_b64 s[8:9], s[8:9]
	v_mov_b32_e32 v36, s14
	s_xor_b64 exec, exec, s[8:9]
	s_cbranch_execz .LBB233_100
.LBB233_167:                            ;   in Loop: Header=BB233_40 Depth=1
	v_cmp_ne_u16_sdwa s[12:13], v4, v5 src0_sel:BYTE_0 src1_sel:DWORD
	s_andn2_b64 s[0:1], s[0:1], exec
	s_and_b64 s[12:13], s[12:13], exec
	v_mov_b32_e32 v36, 0
	s_or_b64 s[0:1], s[0:1], s[12:13]
	s_or_b64 exec, exec, s[8:9]
	s_and_saveexec_b64 s[8:9], s[0:1]
	s_cbranch_execnz .LBB233_101
	s_branch .LBB233_102
.LBB233_168:                            ;   in Loop: Header=BB233_40 Depth=1
	v_cmp_eq_u16_e64 s[0:1], s23, v4
	s_mov_b64 s[8:9], -1
                                        ; implicit-def: $sgpr34
	s_and_saveexec_b64 s[14:15], s[0:1]
; %bb.169:                              ;   in Loop: Header=BB233_40 Depth=1
	s_mov_b32 s34, 0x7fc02000
	s_xor_b64 s[8:9], exec, -1
; %bb.170:                              ;   in Loop: Header=BB233_40 Depth=1
	s_or_b64 exec, exec, s[14:15]
	s_and_b64 s[8:9], s[8:9], exec
	s_or_saveexec_b64 s[12:13], s[12:13]
	v_mov_b32_e32 v37, s34
	s_xor_b64 exec, exec, s[12:13]
	s_cbranch_execz .LBB233_104
.LBB233_171:                            ;   in Loop: Header=BB233_40 Depth=1
	v_cmp_ne_u16_e64 s[0:1], 0, v4
	s_andn2_b64 s[8:9], s[8:9], exec
	s_and_b64 s[0:1], s[0:1], exec
	v_mov_b32_e32 v37, 0
	s_or_b64 s[8:9], s[8:9], s[0:1]
	s_or_b64 exec, exec, s[12:13]
	s_and_saveexec_b64 s[12:13], s[8:9]
	s_cbranch_execnz .LBB233_105
	s_branch .LBB233_106
.LBB233_172:
	s_or_b64 exec, exec, s[6:7]
.LBB233_173:
	s_or_b64 exec, exec, s[2:3]
	v_and_b32_e32 v4, 0x3c0, v0
	v_cmp_eq_u32_e32 vcc, 64, v4
	s_barrier
	s_and_saveexec_b64 s[0:1], vcc
	s_cbranch_execz .LBB233_175
; %bb.174:
	v_mov_b32_e32 v4, 0x110
	v_lshl_add_u32 v5, v0, 2, v4
	v_lshl_add_u32 v4, v20, 2, v4
	ds_write_b32 v4, v2
	ds_write_b32 v5, v3
.LBB233_175:
	s_or_b64 exec, exec, s[0:1]
	v_cmp_gt_u32_e32 vcc, 64, v0
	s_waitcnt lgkmcnt(0)
	s_barrier
	s_and_saveexec_b64 s[0:1], vcc
	s_cbranch_execz .LBB233_177
; %bb.176:
	v_mov_b32_e32 v4, 0x110
	v_lshl_add_u32 v0, v0, 2, v4
	ds_read2st64_b32 v[4:5], v0 offset1:1
	s_waitcnt lgkmcnt(0)
	v_pk_add_f32 v[2:3], v[2:3], v[4:5]
.LBB233_177:
	s_or_b64 exec, exec, s[0:1]
	s_barrier
	s_and_saveexec_b64 s[0:1], vcc
	s_cbranch_execz .LBB233_179
; %bb.178:
	s_mul_i32 s0, s16, s19
	s_mul_i32 s0, s0, s5
	s_lshl_b32 s0, s0, 7
	s_ashr_i32 s1, s0, 31
	s_lshl_b64 s[0:1], s[0:1], 1
	s_add_u32 s2, s20, s0
	s_mul_i32 s0, s19, s18
	s_addc_u32 s3, s21, s1
	s_ashr_i32 s1, s0, 31
	s_lshl_b64 s[0:1], s[0:1], 1
	s_add_u32 s2, s2, s0
	s_addc_u32 s3, s3, s1
	s_lshl_b32 s0, s4, 7
	s_ashr_i32 s1, s0, 31
	s_lshl_b64 s[0:1], s[0:1], 1
	s_add_u32 s0, s2, s0
	s_addc_u32 s1, s3, s1
	;;#ASMSTART
	v_cvt_f16_f32 v0, v2;

	;;#ASMEND
	global_store_short v1, v0, s[0:1]
	;;#ASMSTART
	v_cvt_f16_f32 v0, v3;

	;;#ASMEND
	global_store_short v1, v0, s[0:1] offset:128
.LBB233_179:
	s_endpgm
	.section	.rodata,"a",@progbits
	.p2align	6, 0x0
	.amdhsa_kernel _ZN4vllm25paged_attention_v1_kernelIthLi128ELi8ELi128ELNS_18Fp8KVCacheDataTypeE1ELb0EEEvPT_PKS2_PKT0_S8_ifPKiSA_iPKfiiiSC_SC_iiiii
		.amdhsa_group_segment_fixed_size 272
		.amdhsa_private_segment_fixed_size 0
		.amdhsa_kernarg_size 384
		.amdhsa_user_sgpr_count 2
		.amdhsa_user_sgpr_dispatch_ptr 0
		.amdhsa_user_sgpr_queue_ptr 0
		.amdhsa_user_sgpr_kernarg_segment_ptr 1
		.amdhsa_user_sgpr_dispatch_id 0
		.amdhsa_user_sgpr_kernarg_preload_length 0
		.amdhsa_user_sgpr_kernarg_preload_offset 0
		.amdhsa_user_sgpr_private_segment_size 0
		.amdhsa_uses_dynamic_stack 0
		.amdhsa_enable_private_segment 0
		.amdhsa_system_sgpr_workgroup_id_x 1
		.amdhsa_system_sgpr_workgroup_id_y 1
		.amdhsa_system_sgpr_workgroup_id_z 1
		.amdhsa_system_sgpr_workgroup_info 0
		.amdhsa_system_vgpr_workitem_id 0
		.amdhsa_next_free_vgpr 50
		.amdhsa_next_free_sgpr 38
		.amdhsa_accum_offset 52
		.amdhsa_reserve_vcc 1
		.amdhsa_float_round_mode_32 0
		.amdhsa_float_round_mode_16_64 0
		.amdhsa_float_denorm_mode_32 3
		.amdhsa_float_denorm_mode_16_64 3
		.amdhsa_dx10_clamp 1
		.amdhsa_ieee_mode 1
		.amdhsa_fp16_overflow 0
		.amdhsa_tg_split 0
		.amdhsa_exception_fp_ieee_invalid_op 0
		.amdhsa_exception_fp_denorm_src 0
		.amdhsa_exception_fp_ieee_div_zero 0
		.amdhsa_exception_fp_ieee_overflow 0
		.amdhsa_exception_fp_ieee_underflow 0
		.amdhsa_exception_fp_ieee_inexact 0
		.amdhsa_exception_int_div_zero 0
	.end_amdhsa_kernel
	.section	.text._ZN4vllm25paged_attention_v1_kernelIthLi128ELi8ELi128ELNS_18Fp8KVCacheDataTypeE1ELb0EEEvPT_PKS2_PKT0_S8_ifPKiSA_iPKfiiiSC_SC_iiiii,"axG",@progbits,_ZN4vllm25paged_attention_v1_kernelIthLi128ELi8ELi128ELNS_18Fp8KVCacheDataTypeE1ELb0EEEvPT_PKS2_PKT0_S8_ifPKiSA_iPKfiiiSC_SC_iiiii,comdat
.Lfunc_end233:
	.size	_ZN4vllm25paged_attention_v1_kernelIthLi128ELi8ELi128ELNS_18Fp8KVCacheDataTypeE1ELb0EEEvPT_PKS2_PKT0_S8_ifPKiSA_iPKfiiiSC_SC_iiiii, .Lfunc_end233-_ZN4vllm25paged_attention_v1_kernelIthLi128ELi8ELi128ELNS_18Fp8KVCacheDataTypeE1ELb0EEEvPT_PKS2_PKT0_S8_ifPKiSA_iPKfiiiSC_SC_iiiii
                                        ; -- End function
	.section	.AMDGPU.csdata,"",@progbits
; Kernel info:
; codeLenInByte = 8888
; NumSgprs: 44
; NumVgprs: 50
; NumAgprs: 0
; TotalNumVgprs: 50
; ScratchSize: 0
; MemoryBound: 0
; FloatMode: 240
; IeeeMode: 1
; LDSByteSize: 272 bytes/workgroup (compile time only)
; SGPRBlocks: 5
; VGPRBlocks: 6
; NumSGPRsForWavesPerEU: 44
; NumVGPRsForWavesPerEU: 50
; AccumOffset: 52
; Occupancy: 8
; WaveLimiterHint : 1
; COMPUTE_PGM_RSRC2:SCRATCH_EN: 0
; COMPUTE_PGM_RSRC2:USER_SGPR: 2
; COMPUTE_PGM_RSRC2:TRAP_HANDLER: 0
; COMPUTE_PGM_RSRC2:TGID_X_EN: 1
; COMPUTE_PGM_RSRC2:TGID_Y_EN: 1
; COMPUTE_PGM_RSRC2:TGID_Z_EN: 1
; COMPUTE_PGM_RSRC2:TIDIG_COMP_CNT: 0
; COMPUTE_PGM_RSRC3_GFX90A:ACCUM_OFFSET: 12
; COMPUTE_PGM_RSRC3_GFX90A:TG_SPLIT: 0
	.section	.text._ZN4vllm25paged_attention_v1_kernelIthLi192ELi8ELi128ELNS_18Fp8KVCacheDataTypeE1ELb0EEEvPT_PKS2_PKT0_S8_ifPKiSA_iPKfiiiSC_SC_iiiii,"axG",@progbits,_ZN4vllm25paged_attention_v1_kernelIthLi192ELi8ELi128ELNS_18Fp8KVCacheDataTypeE1ELb0EEEvPT_PKS2_PKT0_S8_ifPKiSA_iPKfiiiSC_SC_iiiii,comdat
	.protected	_ZN4vllm25paged_attention_v1_kernelIthLi192ELi8ELi128ELNS_18Fp8KVCacheDataTypeE1ELb0EEEvPT_PKS2_PKT0_S8_ifPKiSA_iPKfiiiSC_SC_iiiii ; -- Begin function _ZN4vllm25paged_attention_v1_kernelIthLi192ELi8ELi128ELNS_18Fp8KVCacheDataTypeE1ELb0EEEvPT_PKS2_PKT0_S8_ifPKiSA_iPKfiiiSC_SC_iiiii
	.globl	_ZN4vllm25paged_attention_v1_kernelIthLi192ELi8ELi128ELNS_18Fp8KVCacheDataTypeE1ELb0EEEvPT_PKS2_PKT0_S8_ifPKiSA_iPKfiiiSC_SC_iiiii
	.p2align	8
	.type	_ZN4vllm25paged_attention_v1_kernelIthLi192ELi8ELi128ELNS_18Fp8KVCacheDataTypeE1ELb0EEEvPT_PKS2_PKT0_S8_ifPKiSA_iPKfiiiSC_SC_iiiii,@function
_ZN4vllm25paged_attention_v1_kernelIthLi192ELi8ELi128ELNS_18Fp8KVCacheDataTypeE1ELb0EEEvPT_PKS2_PKT0_S8_ifPKiSA_iPKfiiiSC_SC_iiiii: ; @_ZN4vllm25paged_attention_v1_kernelIthLi192ELi8ELi128ELNS_18Fp8KVCacheDataTypeE1ELb0EEEvPT_PKS2_PKT0_S8_ifPKiSA_iPKfiiiSC_SC_iiiii
; %bb.0:
	s_load_dword s5, s[0:1], 0x80
	s_load_dwordx2 s[6:7], s[0:1], 0x30
	s_load_dwordx2 s[30:31], s[0:1], 0x20
	s_mov_b32 s20, s3
	s_ashr_i32 s21, s3, 31
	s_lshl_b64 s[8:9], s[20:21], 2
	s_waitcnt lgkmcnt(0)
	s_add_u32 s6, s6, s8
	s_addc_u32 s7, s7, s9
	s_abs_i32 s3, s30
	v_cvt_f32_u32_e32 v1, s3
	s_sub_i32 s10, 0, s3
	s_abs_i32 s9, s5
	s_xor_b32 s8, s5, s30
	v_rcp_iflag_f32_e32 v1, v1
	s_ashr_i32 s8, s8, 31
	s_mov_b32 s33, 0
	v_mul_f32_e32 v1, 0x4f7ffffe, v1
	v_cvt_u32_f32_e32 v1, v1
	s_nop 0
	v_readfirstlane_b32 s11, v1
	s_mul_i32 s10, s10, s11
	s_mul_hi_u32 s10, s11, s10
	s_add_i32 s11, s11, s10
	s_mul_hi_u32 s10, s9, s11
	s_mul_i32 s11, s10, s3
	s_sub_i32 s9, s9, s11
	s_add_i32 s11, s10, 1
	s_sub_i32 s12, s9, s3
	s_cmp_ge_u32 s9, s3
	s_cselect_b32 s10, s11, s10
	s_cselect_b32 s9, s12, s9
	s_add_i32 s11, s10, 1
	s_cmp_ge_u32 s9, s3
	s_cselect_b32 s3, s11, s10
	s_xor_b32 s3, s3, s8
	s_sub_i32 s34, s3, s8
	s_abs_i32 s28, s34
	v_cvt_f32_u32_e32 v1, s28
	s_load_dwordx2 s[8:9], s[0:1], 0x40
	s_sub_i32 s3, 0, s28
	s_abs_i32 s29, s2
	v_rcp_iflag_f32_e32 v1, v1
	s_nop 0
	v_mul_f32_e32 v1, 0x4f7ffffe, v1
	v_cvt_u32_f32_e32 v1, v1
	s_nop 0
	v_readfirstlane_b32 s10, v1
	s_mul_i32 s3, s3, s10
	s_mul_hi_u32 s3, s10, s3
	s_add_i32 s10, s10, s3
	s_waitcnt lgkmcnt(0)
	s_cmp_eq_u64 s[8:9], 0
	s_cbranch_scc1 .LBB234_2
; %bb.1:
	s_ashr_i32 s3, s2, 31
	s_lshl_b64 s[12:13], s[2:3], 2
	s_add_u32 s8, s8, s12
	s_addc_u32 s9, s9, s13
	s_load_dword s33, s[8:9], 0x0
.LBB234_2:
	s_load_dwordx2 s[22:23], s[0:1], 0x0
	s_load_dwordx4 s[12:15], s[0:1], 0x10
	s_load_dword s21, s[0:1], 0x88
	s_load_dword s30, s[6:7], 0x0
	s_load_dwordx2 s[26:27], s[0:1], 0x28
	s_load_dwordx4 s[16:19], s[0:1], 0x48
	s_movk_i32 s6, 0xc0
	s_mul_i32 s24, s2, 0xc0
	s_mul_hi_u32 s3, s29, s10
	v_and_b32_e32 v2, 7, v0
	s_ashr_i32 s25, s24, 31
	v_cmp_gt_u32_e32 vcc, s6, v0
	s_and_saveexec_b64 s[6:7], vcc
	s_cbranch_execz .LBB234_5
; %bb.3:
	s_load_dwordx2 s[8:9], s[0:1], 0x8
	s_waitcnt lgkmcnt(0)
	s_mul_i32 s10, s20, s16
	s_ashr_i32 s11, s10, 31
	s_lshl_b64 s[10:11], s[10:11], 1
	s_lshl_b64 s[36:37], s[24:25], 1
	s_add_u32 s10, s10, s36
	s_addc_u32 s11, s11, s37
	v_lshrrev_b32_e32 v4, 3, v0
	v_lshlrev_b32_e32 v5, 1, v2
	s_add_u32 s8, s8, s10
	v_add_u32_e32 v1, -16, v4
	v_lshlrev_b32_e32 v3, 1, v4
	v_lshl_or_b32 v4, v4, 4, v5
	v_mov_b32_e32 v5, 0
	s_addc_u32 s9, s9, s11
	v_mad_u32_u24 v3, v2, 48, v3
	v_lshl_add_u64 v[4:5], s[8:9], 0, v[4:5]
	s_mov_b64 s[8:9], 0
	s_mov_b64 s[10:11], 0x100
.LBB234_4:                              ; =>This Inner Loop Header: Depth=1
	global_load_ushort v6, v[4:5], off
	v_add_u32_e32 v1, 16, v1
	v_cmp_lt_u32_e32 vcc, 7, v1
	v_lshl_add_u64 v[4:5], v[4:5], 0, s[10:11]
	s_or_b64 s[8:9], vcc, s[8:9]
	s_waitcnt vmcnt(0)
	ds_write_b16 v3, v6
	v_add_u32_e32 v3, 32, v3
	s_andn2_b64 exec, exec, s[8:9]
	s_cbranch_execnz .LBB234_4
.LBB234_5:
	s_or_b64 exec, exec, s[6:7]
	s_waitcnt lgkmcnt(0)
	s_add_i32 s8, s30, 7
	s_ashr_i32 s2, s2, 31
	s_ashr_i32 s6, s34, 31
	;; [unrolled: 1-line block ×3, first 2 shown]
	s_lshr_b32 s9, s9, 29
	s_xor_b32 s2, s2, s6
	s_mul_i32 s6, s3, s28
	s_add_i32 s8, s8, s9
	s_sub_i32 s6, s29, s6
	s_ashr_i32 s16, s8, 3
	s_add_i32 s8, s3, 1
	s_sub_i32 s9, s6, s28
	s_load_dword s7, s[0:1], 0x38
	s_cmp_ge_u32 s6, s28
	s_cselect_b32 s3, s8, s3
	s_cselect_b32 s6, s9, s6
	s_add_i32 s8, s3, 1
	s_cmp_ge_u32 s6, s28
	s_cselect_b32 s3, s8, s3
	v_lshrrev_b32_e32 v1, 6, v0
	s_xor_b32 s3, s3, s2
	s_waitcnt lgkmcnt(0)
	s_mul_i32 s28, s20, s7
	s_sub_i32 s25, s3, s2
	s_ashr_i32 s29, s28, 31
	v_cmp_gt_i32_e64 s[6:7], s16, v1
	v_cmp_le_i32_e32 vcc, s16, v1
	v_mbcnt_lo_u32_b32 v8, -1, 0
	s_barrier
	s_waitcnt lgkmcnt(0)
                                        ; implicit-def: $sgpr19
                                        ; implicit-def: $vgpr11
                                        ; implicit-def: $vgpr12
	s_and_saveexec_b64 s[2:3], vcc
	s_xor_b64 s[2:3], exec, s[2:3]
; %bb.6:
	v_mbcnt_hi_u32_b32 v11, -1, v8
	v_and_b32_e32 v2, 64, v11
	v_add_u32_e32 v12, 64, v2
	s_mov_b32 s19, 0xff7fffff
                                        ; implicit-def: $vgpr2
                                        ; implicit-def: $vgpr8
; %bb.7:
	s_or_saveexec_b64 s[34:35], s[2:3]
	s_load_dwordx4 s[8:11], s[0:1], 0x58
	v_mov_b32_e32 v13, s19
	s_mul_i32 s25, s25, s18
	v_lshrrev_b32_e32 v10, 4, v0
	s_xor_b64 exec, exec, s[34:35]
	s_cbranch_execz .LBB234_13
; %bb.8:
	s_ashr_i32 s1, s25, 31
	v_bfe_u32 v6, v0, 3, 3
	s_add_u32 s0, s12, s25
	v_mov_b32_e32 v3, 0
	s_addc_u32 s1, s13, s1
	v_lshlrev_b32_e32 v4, 4, v6
	v_mov_b32_e32 v5, v3
	v_lshl_add_u64 v[4:5], s[0:1], 0, v[4:5]
	s_sub_i32 s37, 1, s30
	v_lshl_or_b32 v15, v1, 3, v6
	v_lshlrev_b32_e32 v6, 2, v6
	s_lshl_b64 s[0:1], s[28:29], 2
	v_lshl_or_b32 v6, v1, 5, v6
	s_add_u32 s0, s26, s0
	v_mbcnt_hi_u32_b32 v11, -1, v8
	v_add_u32_e32 v16, 0x190, v6
	v_and_b32_e32 v6, 60, v10
	v_mov_b32_e32 v7, v3
	s_addc_u32 s1, s27, s1
	v_and_b32_e32 v8, 64, v11
	s_mov_b32 s36, s17
	v_mul_u32_u24_e32 v14, 48, v2
	v_cmp_eq_u32_e32 vcc, 0, v2
	v_cmp_neq_f32_e64 s[2:3], s33, 0
	v_lshl_add_u64 v[6:7], s[0:1], 0, v[6:7]
	s_mov_b64 s[12:13], 0
	v_mov_b32_e32 v13, 0xff7fffff
	v_add_u32_e32 v12, 64, v8
	v_xor_b32_e32 v17, 4, v11
	v_xor_b32_e32 v18, 2, v11
	;; [unrolled: 1-line block ×3, first 2 shown]
	v_mov_b32_e32 v20, v1
	s_branch .LBB234_10
.LBB234_9:                              ;   in Loop: Header=BB234_10 Depth=1
	s_or_b64 exec, exec, s[18:19]
	v_add_u32_e32 v20, 2, v20
	v_cmp_le_i32_e64 s[0:1], s16, v20
	v_add_u32_e32 v15, 16, v15
	v_add_u32_e32 v16, 64, v16
	s_or_b64 s[12:13], s[0:1], s[12:13]
	v_lshl_add_u64 v[6:7], v[6:7], 0, 8
	s_andn2_b64 exec, exec, s[12:13]
	s_cbranch_execz .LBB234_12
.LBB234_10:                             ; =>This Inner Loop Header: Depth=1
	global_load_dword v8, v[6:7], off
	s_waitcnt vmcnt(0) lgkmcnt(0)
	v_mad_i64_i32 v[8:9], s[0:1], v8, s36, v[4:5]
	v_lshl_add_u64 v[8:9], v[8:9], 0, v[2:3]
	global_load_ubyte v22, v[8:9], off
	global_load_ubyte v23, v[8:9], off offset:8
	s_waitcnt lgkmcnt(0)
	global_load_dword v21, v3, s[8:9]
	global_load_ubyte v24, v[8:9], off offset:128
	global_load_ubyte v25, v[8:9], off offset:136
	;; [unrolled: 1-line block ×19, first 2 shown]
	ds_read_u16 v43, v14
	global_load_ubyte v45, v[8:9], off offset:1288
	global_load_ubyte v46, v[8:9], off offset:1408
	v_cmp_lt_i32_e64 s[0:1], v17, v12
	global_load_ubyte v8, v[8:9], off offset:1416
	s_waitcnt lgkmcnt(0)
	;;#ASMSTART
	v_cvt_f32_f16 v9, v43;
	;;#ASMEND
	s_waitcnt vmcnt(24)
	v_cvt_f32_fp8_sdwa v22, v22 src0_sel:BYTE_0
	s_waitcnt vmcnt(23)
	v_cvt_f32_fp8_sdwa v23, v23 src0_sel:BYTE_0
	v_cndmask_b32_e64 v44, v11, v17, s[0:1]
	s_waitcnt vmcnt(21)
	v_cvt_f32_fp8_sdwa v24, v24 src0_sel:BYTE_0
	v_fma_mixlo_f16 v22, v21, v22, 0
	v_and_b32_e32 v22, 0xffff, v22
	v_fma_mixlo_f16 v23, v21, v23, 0
	s_waitcnt vmcnt(20)
	v_cvt_f32_fp8_sdwa v25, v25 src0_sel:BYTE_0
	;;#ASMSTART
	v_cvt_f32_f16 v22, v22;
	;;#ASMEND
	ds_read_u16 v43, v14 offset:2
	v_and_b32_e32 v23, 0xffff, v23
	s_waitcnt vmcnt(19)
	v_cvt_f32_fp8_sdwa v26, v26 src0_sel:BYTE_0
	s_waitcnt lgkmcnt(0)
	;;#ASMSTART
	v_cvt_f32_f16 v43, v43;
	;;#ASMEND
	;;#ASMSTART
	v_cvt_f32_f16 v23, v23;
	;;#ASMEND
	s_waitcnt vmcnt(18)
	v_cvt_f32_fp8_sdwa v27, v27 src0_sel:BYTE_0
	v_fma_mixlo_f16 v24, v21, v24, 0
	s_waitcnt vmcnt(17)
	v_cvt_f32_fp8_sdwa v28, v28 src0_sel:BYTE_0
	v_mul_f32_e32 v23, v43, v23
	ds_read_u16 v47, v14 offset:4
	v_and_b32_e32 v24, 0xffff, v24
	v_fma_mixlo_f16 v25, v21, v25, 0
	s_waitcnt vmcnt(16)
	v_cvt_f32_fp8_sdwa v29, v29 src0_sel:BYTE_0
	v_fmac_f32_e32 v23, v9, v22
	s_waitcnt lgkmcnt(0)
	;;#ASMSTART
	v_cvt_f32_f16 v47, v47;
	;;#ASMEND
	;;#ASMSTART
	v_cvt_f32_f16 v24, v24;
	;;#ASMEND
	ds_read_u16 v48, v14 offset:6
	v_and_b32_e32 v25, 0xffff, v25
	s_waitcnt vmcnt(15)
	v_cvt_f32_fp8_sdwa v30, v30 src0_sel:BYTE_0
	v_fma_mixlo_f16 v26, v21, v26, 0
	v_fmac_f32_e32 v23, v47, v24
	s_waitcnt lgkmcnt(0)
	;;#ASMSTART
	v_cvt_f32_f16 v48, v48;
	;;#ASMEND
	;;#ASMSTART
	v_cvt_f32_f16 v25, v25;
	;;#ASMEND
	ds_read_u16 v49, v14 offset:8
	v_and_b32_e32 v26, 0xffff, v26
	s_waitcnt vmcnt(14)
	v_cvt_f32_fp8_sdwa v31, v31 src0_sel:BYTE_0
	v_fma_mixlo_f16 v27, v21, v27, 0
	v_fmac_f32_e32 v23, v48, v25
	s_waitcnt lgkmcnt(0)
	;;#ASMSTART
	v_cvt_f32_f16 v49, v49;
	;;#ASMEND
	;;#ASMSTART
	v_cvt_f32_f16 v26, v26;
	;;#ASMEND
	ds_read_u16 v50, v14 offset:10
	s_waitcnt vmcnt(13)
	v_cvt_f32_fp8_sdwa v32, v32 src0_sel:BYTE_0
	v_and_b32_e32 v27, 0xffff, v27
	v_fma_mixlo_f16 v28, v21, v28, 0
	v_fmac_f32_e32 v23, v49, v26
	s_waitcnt lgkmcnt(0)
	;;#ASMSTART
	v_cvt_f32_f16 v50, v50;
	;;#ASMEND
	;;#ASMSTART
	v_cvt_f32_f16 v27, v27;
	;;#ASMEND
	ds_read_u16 v51, v14 offset:12
	s_waitcnt vmcnt(12)
	v_cvt_f32_fp8_sdwa v33, v33 src0_sel:BYTE_0
	v_and_b32_e32 v28, 0xffff, v28
	v_fma_mixlo_f16 v29, v21, v29, 0
	v_fmac_f32_e32 v23, v50, v27
	s_waitcnt vmcnt(11)
	v_cvt_f32_fp8_sdwa v34, v34 src0_sel:BYTE_0
	s_waitcnt lgkmcnt(0)
	;;#ASMSTART
	v_cvt_f32_f16 v51, v51;
	;;#ASMEND
	;;#ASMSTART
	v_cvt_f32_f16 v28, v28;
	;;#ASMEND
	ds_read_u16 v52, v14 offset:14
	v_and_b32_e32 v29, 0xffff, v29
	v_fma_mixlo_f16 v30, v21, v30, 0
	v_fmac_f32_e32 v23, v51, v28
	s_waitcnt vmcnt(10)
	v_cvt_f32_fp8_sdwa v35, v35 src0_sel:BYTE_0
	s_waitcnt lgkmcnt(0)
	;;#ASMSTART
	v_cvt_f32_f16 v52, v52;
	;;#ASMEND
	;;#ASMSTART
	v_cvt_f32_f16 v29, v29;
	;;#ASMEND
	ds_read_u16 v53, v14 offset:16
	;; [unrolled: 13-line block ×5, first 2 shown]
	v_and_b32_e32 v33, 0xffff, v33
	v_fma_mixlo_f16 v34, v21, v34, 0
	v_fmac_f32_e32 v23, v55, v32
	s_waitcnt vmcnt(6)
	v_cvt_f32_fp8_sdwa v39, v39 src0_sel:BYTE_0
	s_waitcnt vmcnt(5)
	v_cvt_f32_fp8_sdwa v40, v40 src0_sel:BYTE_0
	;; [unrolled: 2-line block ×6, first 2 shown]
	s_waitcnt lgkmcnt(0)
	;;#ASMSTART
	v_cvt_f32_f16 v56, v56;
	;;#ASMEND
	;;#ASMSTART
	v_cvt_f32_f16 v33, v33;
	;;#ASMEND
	ds_read_u16 v57, v14 offset:24
	s_waitcnt vmcnt(0)
	v_cvt_f32_fp8_sdwa v8, v8 src0_sel:BYTE_0
	v_fma_mixlo_f16 v35, v21, v35, 0
	v_and_b32_e32 v34, 0xffff, v34
	v_fmac_f32_e32 v23, v56, v33
	s_waitcnt lgkmcnt(0)
	;;#ASMSTART
	v_cvt_f32_f16 v57, v57;
	;;#ASMEND
	;;#ASMSTART
	v_cvt_f32_f16 v34, v34;
	;;#ASMEND
	ds_read_u16 v58, v14 offset:26
	v_fma_mixlo_f16 v36, v21, v36, 0
	v_and_b32_e32 v35, 0xffff, v35
	v_fmac_f32_e32 v23, v57, v34
	v_fma_mixlo_f16 v37, v21, v37, 0
	s_waitcnt lgkmcnt(0)
	;;#ASMSTART
	v_cvt_f32_f16 v58, v58;
	;;#ASMEND
	;;#ASMSTART
	v_cvt_f32_f16 v35, v35;
	;;#ASMEND
	ds_read_u16 v59, v14 offset:28
	v_and_b32_e32 v36, 0xffff, v36
	v_fmac_f32_e32 v23, v58, v35
	v_fma_mixlo_f16 v38, v21, v38, 0
	s_waitcnt lgkmcnt(0)
	;;#ASMSTART
	v_cvt_f32_f16 v59, v59;
	;;#ASMEND
	;;#ASMSTART
	v_cvt_f32_f16 v36, v36;
	;;#ASMEND
	ds_read_u16 v60, v14 offset:30
	v_and_b32_e32 v37, 0xffff, v37
	v_fmac_f32_e32 v23, v59, v36
	v_fma_mixlo_f16 v39, v21, v39, 0
	v_fma_mixlo_f16 v40, v21, v40, 0
	;; [unrolled: 1-line block ×6, first 2 shown]
	s_waitcnt lgkmcnt(0)
	;;#ASMSTART
	v_cvt_f32_f16 v60, v60;
	;;#ASMEND
	;;#ASMSTART
	v_cvt_f32_f16 v37, v37;
	;;#ASMEND
	ds_read_u16 v61, v14 offset:32
	v_fma_mixlo_f16 v8, v21, v8, 0
	v_and_b32_e32 v21, 0xffff, v38
	v_fmac_f32_e32 v23, v60, v37
	v_and_b32_e32 v38, 0xffff, v39
	v_and_b32_e32 v39, 0xffff, v40
	s_waitcnt lgkmcnt(0)
	;;#ASMSTART
	v_cvt_f32_f16 v40, v61;
	;;#ASMEND
	;;#ASMSTART
	v_cvt_f32_f16 v21, v21;
	;;#ASMEND
	ds_read_u16 v61, v14 offset:34
	v_fmac_f32_e32 v23, v40, v21
	s_waitcnt lgkmcnt(0)
	;;#ASMSTART
	v_cvt_f32_f16 v61, v61;
	;;#ASMEND
	;;#ASMSTART
	v_cvt_f32_f16 v38, v38;
	;;#ASMEND
	ds_read_u16 v62, v14 offset:36
	v_fmac_f32_e32 v23, v61, v38
	;; [unrolled: 9-line block ×3, first 2 shown]
	v_and_b32_e32 v41, 0xffff, v41
	s_waitcnt lgkmcnt(0)
	;;#ASMSTART
	v_cvt_f32_f16 v24, v24;
	;;#ASMEND
	;;#ASMSTART
	v_cvt_f32_f16 v25, v41;
	;;#ASMEND
	ds_read_u16 v26, v14 offset:40
	v_fmac_f32_e32 v23, v24, v25
	v_and_b32_e32 v42, 0xffff, v42
	s_waitcnt lgkmcnt(0)
	;;#ASMSTART
	v_cvt_f32_f16 v26, v26;
	;;#ASMEND
	;;#ASMSTART
	v_cvt_f32_f16 v27, v42;
	;;#ASMEND
	ds_read_u16 v28, v14 offset:42
	v_fmac_f32_e32 v23, v26, v27
	v_and_b32_e32 v45, 0xffff, v45
	s_waitcnt lgkmcnt(0)
	;;#ASMSTART
	v_cvt_f32_f16 v28, v28;
	;;#ASMEND
	;;#ASMSTART
	v_cvt_f32_f16 v29, v45;
	;;#ASMEND
	v_and_b32_e32 v46, 0xffff, v46
	v_fmac_f32_e32 v23, v28, v29
	v_and_b32_e32 v8, 0xffff, v8
	ds_read_u16 v30, v14 offset:44
	s_waitcnt lgkmcnt(0)
	;;#ASMSTART
	v_cvt_f32_f16 v9, v30;
	;;#ASMEND
	;;#ASMSTART
	v_cvt_f32_f16 v21, v46;
	;;#ASMEND
	v_lshlrev_b32_e32 v44, 2, v44
	v_fmac_f32_e32 v23, v9, v21
	ds_read_u16 v22, v14 offset:46
	s_waitcnt lgkmcnt(0)
	;;#ASMSTART
	v_cvt_f32_f16 v9, v22;
	;;#ASMEND
	;;#ASMSTART
	v_cvt_f32_f16 v8, v8;
	;;#ASMEND
	v_cmp_lt_i32_e64 s[0:1], v18, v12
	v_fmac_f32_e32 v23, v9, v8
	ds_bpermute_b32 v8, v44, v23
	v_cndmask_b32_e64 v9, v11, v18, s[0:1]
	v_lshlrev_b32_e32 v9, 2, v9
	v_cmp_lt_i32_e64 s[0:1], v19, v12
	s_waitcnt lgkmcnt(0)
	v_add_f32_e32 v8, v23, v8
	ds_bpermute_b32 v9, v9, v8
	v_cndmask_b32_e64 v21, v11, v19, s[0:1]
	s_waitcnt lgkmcnt(0)
	v_add_f32_e32 v8, v8, v9
	v_lshlrev_b32_e32 v9, 2, v21
	ds_bpermute_b32 v9, v9, v8
	s_and_saveexec_b64 s[18:19], vcc
	s_cbranch_execz .LBB234_9
; %bb.11:                               ;   in Loop: Header=BB234_10 Depth=1
	v_add_u32_e32 v21, s37, v15
	v_cvt_f32_i32_e32 v21, v21
	s_waitcnt lgkmcnt(0)
	v_add_f32_e32 v8, v8, v9
	v_cmp_gt_i32_e64 s[0:1], s30, v15
	v_max_f32_e32 v9, v13, v13
	v_mul_f32_e32 v21, s33, v21
	v_cndmask_b32_e64 v21, 0, v21, s[2:3]
	v_fmac_f32_e32 v21, s31, v8
	v_cndmask_b32_e64 v8, 0, v21, s[0:1]
	ds_write_b32 v16, v8
	v_max_f32_e32 v8, v9, v21
	v_cndmask_b32_e64 v13, v13, v8, s[0:1]
	s_branch .LBB234_9
.LBB234_12:
	s_or_b64 exec, exec, s[12:13]
.LBB234_13:
	s_or_b64 exec, exec, s[34:35]
	v_xor_b32_e32 v2, 32, v11
	v_cmp_lt_i32_e32 vcc, v2, v12
	v_xor_b32_e32 v5, 16, v11
	v_max_f32_e32 v4, v13, v13
	v_cndmask_b32_e32 v2, v11, v2, vcc
	v_lshlrev_b32_e32 v3, 2, v2
	ds_bpermute_b32 v2, v3, v13
	v_cmp_lt_i32_e32 vcc, v5, v12
	v_xor_b32_e32 v6, 8, v11
	v_and_b32_e32 v13, 63, v0
	s_waitcnt lgkmcnt(0)
	v_max_f32_e32 v2, v2, v2
	v_max_f32_e32 v2, v4, v2
	v_cndmask_b32_e32 v4, v11, v5, vcc
	v_lshlrev_b32_e32 v5, 2, v4
	ds_bpermute_b32 v4, v5, v2
	v_cmp_lt_i32_e32 vcc, v6, v12
	s_waitcnt lgkmcnt(0)
	v_max_f32_e32 v4, v4, v4
	v_max_f32_e32 v4, v2, v4
	v_cndmask_b32_e32 v2, v11, v6, vcc
	v_lshlrev_b32_e32 v7, 2, v2
	ds_bpermute_b32 v6, v7, v4
	v_cmp_eq_u32_e32 vcc, 0, v13
	v_lshlrev_b32_e32 v2, 2, v1
	s_and_saveexec_b64 s[0:1], vcc
	s_cbranch_execz .LBB234_15
; %bb.14:
	s_waitcnt lgkmcnt(0)
	v_max_f32_e32 v6, v6, v6
	v_max_f32_e32 v4, v4, v4
	;; [unrolled: 1-line block ×3, first 2 shown]
	ds_write_b32 v2, v4 offset:384
.LBB234_15:
	s_or_b64 exec, exec, s[0:1]
	v_cmp_gt_u32_e64 s[0:1], 2, v13
	v_mov_b32_e32 v8, 0xff7fffff
	v_lshlrev_b32_e32 v4, 2, v13
	s_waitcnt lgkmcnt(0)
	s_barrier
	s_and_saveexec_b64 s[2:3], s[0:1]
	s_cbranch_execz .LBB234_17
; %bb.16:
	ds_read_b32 v8, v4 offset:384
.LBB234_17:
	s_or_b64 exec, exec, s[2:3]
	v_xor_b32_e32 v6, 1, v11
	v_cmp_lt_i32_e64 s[2:3], v6, v12
	v_lshlrev_b32_e32 v14, 2, v11
	s_nop 0
	v_cndmask_b32_e64 v6, v11, v6, s[2:3]
	v_lshlrev_b32_e32 v6, 2, v6
	s_waitcnt lgkmcnt(0)
	ds_bpermute_b32 v9, v6, v8
	v_max_f32_e32 v8, v8, v8
	s_lshl_b32 s2, s16, 3
	s_min_i32 s31, s2, s30
	v_cmp_gt_i32_e64 s[2:3], s31, v0
	s_waitcnt lgkmcnt(0)
	v_max_f32_e32 v9, v9, v9
	v_max_f32_e32 v9, v8, v9
	v_and_b32_e32 v8, 0xffffff00, v14
	ds_bpermute_b32 v14, v8, v9
	v_mov_b32_e32 v9, 0
	s_and_saveexec_b64 s[12:13], s[2:3]
	s_cbranch_execz .LBB234_21
; %bb.18:
	v_mov_b32_e32 v9, 0x190
	v_lshl_add_u32 v15, v0, 2, v9
	s_mov_b64 s[18:19], 0
	v_mov_b32_e32 v9, 0
	v_mov_b32_e32 v16, v0
.LBB234_19:                             ; =>This Inner Loop Header: Depth=1
	ds_read_b32 v17, v15
	v_add_u32_e32 v16, 0x80, v16
	v_cmp_le_i32_e64 s[8:9], s31, v16
	s_or_b64 s[18:19], s[8:9], s[18:19]
	s_waitcnt lgkmcnt(0)
	v_sub_f32_e32 v17, v17, v14
	v_mul_f32_e32 v17, 0x3fb8aa3b, v17
	v_exp_f32_e32 v17, v17
	ds_write_b32 v15, v17
	v_add_f32_e32 v9, v9, v17
	v_add_u32_e32 v15, 0x200, v15
	s_andn2_b64 exec, exec, s[18:19]
	s_cbranch_execnz .LBB234_19
; %bb.20:
	s_or_b64 exec, exec, s[18:19]
.LBB234_21:
	s_or_b64 exec, exec, s[12:13]
	ds_bpermute_b32 v3, v3, v9
	s_waitcnt lgkmcnt(0)
	v_add_f32_e32 v3, v9, v3
	ds_bpermute_b32 v5, v5, v3
	s_waitcnt lgkmcnt(0)
	v_add_f32_e32 v3, v3, v5
	ds_bpermute_b32 v5, v7, v3
	v_xor_b32_e32 v7, 4, v11
	v_cmp_lt_i32_e64 s[8:9], v7, v12
	s_waitcnt lgkmcnt(0)
	v_add_f32_e32 v3, v3, v5
	v_cndmask_b32_e64 v7, v11, v7, s[8:9]
	v_lshlrev_b32_e32 v7, 2, v7
	ds_bpermute_b32 v5, v7, v3
	v_xor_b32_e32 v7, 2, v11
	v_cmp_lt_i32_e64 s[8:9], v7, v12
	s_waitcnt lgkmcnt(0)
	v_add_f32_e32 v3, v3, v5
	v_cndmask_b32_e64 v7, v11, v7, s[8:9]
	v_lshlrev_b32_e32 v5, 2, v7
	ds_bpermute_b32 v5, v5, v3
	s_waitcnt lgkmcnt(0)
	v_add_f32_e32 v3, v3, v5
	ds_bpermute_b32 v5, v6, v3
	s_waitcnt lgkmcnt(0)
	v_add_f32_e32 v3, v3, v5
	s_and_saveexec_b64 s[8:9], vcc
	s_cbranch_execz .LBB234_23
; %bb.22:
	ds_write_b32 v2, v3 offset:392
.LBB234_23:
	s_or_b64 exec, exec, s[8:9]
	s_waitcnt lgkmcnt(0)
	s_barrier
	s_and_saveexec_b64 s[8:9], s[0:1]
	s_cbranch_execz .LBB234_25
; %bb.24:
	ds_read_b32 v3, v4 offset:392
.LBB234_25:
	s_or_b64 exec, exec, s[8:9]
	s_waitcnt lgkmcnt(0)
	ds_bpermute_b32 v2, v6, v3
	s_waitcnt lgkmcnt(0)
	v_add_f32_e32 v2, v3, v2
	ds_bpermute_b32 v2, v8, v2
	s_and_saveexec_b64 s[0:1], s[2:3]
	s_cbranch_execz .LBB234_38
; %bb.26:
	s_waitcnt lgkmcnt(0)
	v_add_f32_e32 v2, 0x358637bd, v2
	v_div_scale_f32 v3, s[2:3], v2, v2, 1.0
	v_rcp_f32_e32 v4, v3
	v_div_scale_f32 v5, vcc, 1.0, v2, 1.0
	s_movk_i32 s2, 0x7f
	v_fma_f32 v6, -v3, v4, 1.0
	v_fmac_f32_e32 v4, v6, v4
	v_mul_f32_e32 v6, v5, v4
	v_fma_f32 v7, -v3, v6, v5
	v_fmac_f32_e32 v6, v7, v4
	v_fma_f32 v3, -v3, v6, v5
	v_div_fmas_f32 v3, v3, v4, v6
	v_xad_u32 v4, v0, -1, s31
	v_div_fixup_f32 v2, v3, v2, 1.0
	v_cmp_lt_u32_e32 vcc, s2, v4
	s_mov_b64 s[8:9], -1
	v_mov_b32_e32 v3, v0
	s_and_saveexec_b64 s[2:3], vcc
	s_cbranch_execz .LBB234_35
; %bb.27:
	v_lshrrev_b32_e32 v4, 7, v4
	v_add_u32_e32 v6, -1, v4
	v_lshrrev_b32_e32 v5, 1, v6
	v_mov_b32_e32 v3, v2
	v_add_u32_e32 v5, 1, v5
	v_cmp_lt_u32_e32 vcc, 13, v6
	v_mov_b32_e32 v8, 0
	s_and_saveexec_b64 s[8:9], vcc
	s_cbranch_execz .LBB234_31
; %bb.28:
	v_mov_b32_e32 v7, 0x190
	v_and_b32_e32 v6, -8, v5
	v_lshl_add_u32 v7, v0, 2, v7
	s_mov_b32 s18, 0
	s_mov_b64 s[12:13], 0
.LBB234_29:                             ; =>This Inner Loop Header: Depth=1
	ds_read2st64_b32 v[8:9], v7 offset1:2
	ds_read2st64_b32 v[14:15], v7 offset0:4 offset1:6
	ds_read2st64_b32 v[16:17], v7 offset0:8 offset1:10
	;; [unrolled: 1-line block ×3, first 2 shown]
	v_add_u32_e32 v6, -8, v6
	s_waitcnt lgkmcnt(3)
	v_pk_mul_f32 v[8:9], v[2:3], v[8:9]
	s_waitcnt lgkmcnt(2)
	v_pk_mul_f32 v[14:15], v[2:3], v[14:15]
	ds_write2st64_b32 v7, v8, v9 offset1:2
	ds_write2st64_b32 v7, v14, v15 offset0:4 offset1:6
	ds_read2st64_b32 v[14:15], v7 offset0:16 offset1:18
	s_waitcnt lgkmcnt(4)
	v_pk_mul_f32 v[8:9], v[2:3], v[16:17]
	ds_write2st64_b32 v7, v8, v9 offset0:8 offset1:10
	s_waitcnt lgkmcnt(4)
	v_pk_mul_f32 v[8:9], v[2:3], v[18:19]
	ds_write2st64_b32 v7, v8, v9 offset0:12 offset1:14
	ds_read2st64_b32 v[8:9], v7 offset0:20 offset1:22
	s_waitcnt lgkmcnt(3)
	v_pk_mul_f32 v[14:15], v[2:3], v[14:15]
	ds_read2st64_b32 v[16:17], v7 offset0:24 offset1:26
	ds_write2st64_b32 v7, v14, v15 offset0:16 offset1:18
	ds_read2st64_b32 v[14:15], v7 offset0:28 offset1:30
	s_waitcnt lgkmcnt(3)
	v_pk_mul_f32 v[8:9], v[2:3], v[8:9]
	ds_write2st64_b32 v7, v8, v9 offset0:20 offset1:22
	s_waitcnt lgkmcnt(3)
	v_pk_mul_f32 v[8:9], v[2:3], v[16:17]
	ds_write2st64_b32 v7, v8, v9 offset0:24 offset1:26
	s_waitcnt lgkmcnt(2)
	v_pk_mul_f32 v[8:9], v[2:3], v[14:15]
	s_add_i32 s18, s18, 16
	v_cmp_eq_u32_e32 vcc, 0, v6
	ds_write2st64_b32 v7, v8, v9 offset0:28 offset1:30
	v_add_u32_e32 v7, 0x2000, v7
	s_or_b64 s[12:13], vcc, s[12:13]
	v_mov_b32_e32 v8, s18
	s_andn2_b64 exec, exec, s[12:13]
	s_cbranch_execnz .LBB234_29
; %bb.30:
	s_or_b64 exec, exec, s[12:13]
.LBB234_31:
	s_or_b64 exec, exec, s[8:9]
	v_and_b32_e32 v5, 7, v5
	v_cmp_ne_u32_e32 vcc, 0, v5
	s_and_saveexec_b64 s[8:9], vcc
	s_cbranch_execz .LBB234_34
; %bb.32:
	v_lshlrev_b32_e32 v6, 9, v8
	v_lshlrev_b32_e32 v7, 2, v0
	s_movk_i32 s12, 0x190
	v_add3_u32 v6, v6, v7, s12
	s_mov_b64 s[12:13], 0
.LBB234_33:                             ; =>This Inner Loop Header: Depth=1
	ds_read2st64_b32 v[8:9], v6 offset1:2
	v_add_u32_e32 v5, -1, v5
	v_cmp_eq_u32_e32 vcc, 0, v5
	s_or_b64 s[12:13], vcc, s[12:13]
	s_waitcnt lgkmcnt(0)
	v_pk_mul_f32 v[8:9], v[2:3], v[8:9]
	ds_write2st64_b32 v6, v8, v9 offset1:2
	v_add_u32_e32 v6, 0x400, v6
	s_andn2_b64 exec, exec, s[12:13]
	s_cbranch_execnz .LBB234_33
.LBB234_34:
	s_or_b64 exec, exec, s[8:9]
	v_add_u32_e32 v4, 1, v4
	v_and_b32_e32 v5, 0x3fffffe, v4
	v_cmp_ne_u32_e32 vcc, v4, v5
	v_lshl_add_u32 v3, v5, 7, v0
	s_orn2_b64 s[8:9], vcc, exec
.LBB234_35:
	s_or_b64 exec, exec, s[2:3]
	s_and_b64 exec, exec, s[8:9]
	s_cbranch_execz .LBB234_38
; %bb.36:
	v_mov_b32_e32 v4, 0x190
	v_lshl_add_u32 v4, v3, 2, v4
	s_mov_b64 s[2:3], 0
.LBB234_37:                             ; =>This Inner Loop Header: Depth=1
	ds_read_b32 v5, v4
	v_add_u32_e32 v3, 0x80, v3
	v_cmp_le_i32_e32 vcc, s31, v3
	s_or_b64 s[2:3], vcc, s[2:3]
	s_waitcnt lgkmcnt(0)
	v_mul_f32_e32 v5, v2, v5
	ds_write_b32 v4, v5
	v_add_u32_e32 v4, 0x200, v4
	s_andn2_b64 exec, exec, s[2:3]
	s_cbranch_execnz .LBB234_37
.LBB234_38:
	s_or_b64 exec, exec, s[0:1]
	v_mov_b32_e32 v20, 0
	v_mov_b32_e32 v3, 0
	s_waitcnt lgkmcnt(0)
	v_mov_b32_e32 v2, 0
	s_barrier
	s_and_saveexec_b64 s[2:3], s[6:7]
	s_cbranch_execz .LBB234_240
; %bb.39:
	s_ashr_i32 s1, s25, 31
	s_add_u32 s0, s14, s25
	s_addc_u32 s1, s15, s1
	v_lshlrev_b32_e32 v4, 3, v13
	v_mov_b32_e32 v5, 0
	s_add_i32 s18, s16, -1
	v_lshl_add_u64 v[6:7], s[0:1], 0, v[4:5]
	s_lshl_b64 s[0:1], s[28:29], 2
	s_add_u32 s0, s26, s0
	v_mov_b32_e32 v2, 0x190
	v_and_b32_e32 v4, 60, v10
	s_addc_u32 s1, s27, s1
	s_mov_b32 s19, s30
	v_lshlrev_b32_e32 v21, 3, v1
	v_lshl_add_u32 v22, v1, 5, v2
	v_lshl_add_u64 v[8:9], s[0:1], 0, v[4:5]
	s_mov_b64 s[6:7], 0
	s_movk_i32 s25, 0x7f
	s_movk_i32 s26, 0x80
	s_mov_b32 s27, 0x8000
	s_movk_i32 s28, 0x380
	s_mov_b32 s29, 0x3020706
	s_mov_b32 s31, 0x1000504
	;; [unrolled: 1-line block ×3, first 2 shown]
	v_mov_b32_e32 v23, 0x1c00
	v_mov_b32_e32 v2, 0
	;; [unrolled: 1-line block ×4, first 2 shown]
	s_branch .LBB234_41
.LBB234_40:                             ;   in Loop: Header=BB234_41 Depth=1
	s_or_b64 exec, exec, s[0:1]
	;;#ASMSTART
	v_pk_mul_f16 v10, v31, v10;

	;;#ASMEND
	;;#ASMSTART
	v_pk_mul_f16 v4, v32, v4;

	;;#ASMEND
	;;#ASMSTART
	v_pk_mul_f16 v11, v33, v11;

	;;#ASMEND
	;;#ASMSTART
	v_pk_mul_f16 v12, v34, v12;

	;;#ASMEND
	v_add_f32_e32 v14, v35, v36
	;;#ASMSTART
	v_pk_add_f16 v4, v10, v4;

	;;#ASMEND
	v_add_u32_e32 v1, 2, v1
	;;#ASMSTART
	v_pk_add_f16 v4, v4, v11;

	;;#ASMEND
	v_add_f32_e32 v2, v2, v14
	;;#ASMSTART
	v_pk_add_f16 v4, v4, v12;

	;;#ASMEND
	v_add_f32_e32 v14, v18, v19
	v_lshrrev_b32_e32 v10, 16, v4
	v_and_b32_e32 v4, 0xffff, v4
	;;#ASMSTART
	v_cvt_f32_f16 v4, v4;
	;;#ASMEND
	;;#ASMSTART
	v_cvt_f32_f16 v10, v10;
	;;#ASMEND
	v_cmp_le_i32_e32 vcc, s16, v1
	v_add_f32_e32 v4, v4, v10
	v_add_f32_e32 v3, v3, v14
	;; [unrolled: 1-line block ×3, first 2 shown]
	v_add_u32_e32 v21, 16, v21
	v_add_u32_e32 v22, 64, v22
	s_or_b64 s[6:7], vcc, s[6:7]
	v_lshl_add_u64 v[8:9], v[8:9], 0, 8
	s_andn2_b64 exec, exec, s[6:7]
	s_cbranch_execz .LBB234_239
.LBB234_41:                             ; =>This Inner Loop Header: Depth=1
	ds_read2_b64 v[14:17], v22 offset1:1
	ds_read2_b64 v[24:27], v22 offset0:2 offset1:3
                                        ; implicit-def: $sgpr14
	s_waitcnt lgkmcnt(1)
	;;#ASMSTART
	v_cvt_f16_f32 v31, v14;

	;;#ASMEND
	;;#ASMSTART
	v_cvt_f16_f32 v32, v15;

	;;#ASMEND
	;; [unrolled: 4-line block ×4, first 2 shown]
	s_waitcnt lgkmcnt(0)
	;;#ASMSTART
	v_cvt_f16_f32 v35, v24;

	;;#ASMEND
	;;#ASMSTART
	v_cvt_f16_f32 v36, v25;

	;;#ASMEND
	;; [unrolled: 4-line block ×4, first 2 shown]
	global_load_dword v4, v[8:9], off
	s_waitcnt vmcnt(0)
	v_mad_i64_i32 v[10:11], s[0:1], v4, s17, v[6:7]
	global_load_dwordx2 v[14:15], v[10:11], off
	global_load_dword v12, v5, s[10:11]
	s_mov_b64 s[0:1], 0
	s_waitcnt vmcnt(1)
	v_cmp_gt_i16_sdwa s[8:9], v14, s25 src0_sel:BYTE_0 src1_sel:DWORD
	s_and_saveexec_b64 s[12:13], s[8:9]
	s_xor_b64 s[8:9], exec, s[12:13]
	s_cbranch_execnz .LBB234_143
; %bb.42:                               ;   in Loop: Header=BB234_41 Depth=1
	s_or_saveexec_b64 s[8:9], s[8:9]
	v_mov_b32_e32 v16, s14
	s_xor_b64 exec, exec, s[8:9]
	s_cbranch_execnz .LBB234_146
.LBB234_43:                             ;   in Loop: Header=BB234_41 Depth=1
	s_or_b64 exec, exec, s[8:9]
	s_and_saveexec_b64 s[8:9], s[0:1]
	s_cbranch_execz .LBB234_45
.LBB234_44:                             ;   in Loop: Header=BB234_41 Depth=1
	v_and_b32_e32 v4, 7, v14
	v_ffbh_u32_e32 v4, v4
	v_bfe_u32 v16, v14, 3, 4
	v_min_u32_e32 v4, 32, v4
	v_subrev_u32_e32 v17, 28, v4
	v_sub_u32_e32 v4, 29, v4
	v_cmp_eq_u32_e32 vcc, 0, v16
	s_nop 1
	v_cndmask_b32_e32 v4, v16, v4, vcc
	v_cndmask_b32_e32 v16, 0, v17, vcc
	v_lshlrev_b64 v[16:17], v16, v[14:15]
	v_lshlrev_b32_e32 v17, 8, v14
	v_lshl_add_u32 v4, v4, 10, v23
	v_lshlrev_b32_e32 v16, 7, v16
	v_and_or_b32 v4, v17, s27, v4
	v_and_or_b32 v4, v16, s28, v4
	v_cvt_f32_f16_e32 v16, v4
.LBB234_45:                             ;   in Loop: Header=BB234_41 Depth=1
	s_or_b64 exec, exec, s[8:9]
	v_lshrrev_b16_e32 v4, 8, v14
	v_cmp_lt_i16_e32 vcc, s25, v4
	s_mov_b64 s[0:1], 0
                                        ; implicit-def: $sgpr14
	s_and_saveexec_b64 s[8:9], vcc
	s_xor_b64 s[8:9], exec, s[8:9]
	s_cbranch_execnz .LBB234_147
; %bb.46:                               ;   in Loop: Header=BB234_41 Depth=1
	s_or_saveexec_b64 s[8:9], s[8:9]
	v_mov_b32_e32 v18, s14
	s_xor_b64 exec, exec, s[8:9]
	s_cbranch_execnz .LBB234_150
.LBB234_47:                             ;   in Loop: Header=BB234_41 Depth=1
	s_or_b64 exec, exec, s[8:9]
	s_and_saveexec_b64 s[8:9], s[0:1]
	s_cbranch_execz .LBB234_49
.LBB234_48:                             ;   in Loop: Header=BB234_41 Depth=1
	v_and_b32_e32 v17, 7, v4
	v_ffbh_u32_e32 v18, v17
	v_min_u32_e32 v25, 32, v18
	v_subrev_u32_e32 v18, 28, v25
	v_bfe_u32 v24, v4, 3, 4
	v_lshlrev_b64 v[18:19], v18, v[4:5]
	v_sub_u32_e32 v19, 29, v25
	v_cmp_eq_u32_e32 vcc, 0, v24
	v_and_b32_e32 v18, 7, v18
	v_lshlrev_b32_e32 v4, 8, v4
	v_cndmask_b32_e32 v19, v24, v19, vcc
	v_cndmask_b32_e32 v17, v17, v18, vcc
	v_lshl_add_u32 v18, v19, 10, v23
	v_and_or_b32 v4, v4, s27, v18
	v_lshl_or_b32 v4, v17, 7, v4
	v_cvt_f32_f16_e32 v18, v4
.LBB234_49:                             ;   in Loop: Header=BB234_41 Depth=1
	s_or_b64 exec, exec, s[8:9]
	v_lshrrev_b32_e32 v4, 16, v14
	v_cmp_gt_i16_sdwa s[8:9], v4, s25 src0_sel:BYTE_0 src1_sel:DWORD
	s_mov_b64 s[0:1], 0
                                        ; implicit-def: $sgpr14
	s_and_saveexec_b64 s[12:13], s[8:9]
	s_xor_b64 s[8:9], exec, s[12:13]
	s_cbranch_execnz .LBB234_151
; %bb.50:                               ;   in Loop: Header=BB234_41 Depth=1
	s_or_saveexec_b64 s[8:9], s[8:9]
	v_mov_b32_e32 v17, s14
	s_xor_b64 exec, exec, s[8:9]
	s_cbranch_execnz .LBB234_154
.LBB234_51:                             ;   in Loop: Header=BB234_41 Depth=1
	s_or_b64 exec, exec, s[8:9]
	s_and_saveexec_b64 s[8:9], s[0:1]
	s_cbranch_execz .LBB234_53
.LBB234_52:                             ;   in Loop: Header=BB234_41 Depth=1
	v_bfe_u32 v17, v14, 16, 3
	v_ffbh_u32_e32 v24, v17
	v_min_u32_e32 v26, 32, v24
	v_subrev_u32_e32 v24, 28, v26
	v_bfe_u32 v19, v14, 19, 4
	v_lshlrev_b64 v[24:25], v24, v[4:5]
	v_sub_u32_e32 v25, 29, v26
	v_cmp_eq_u32_e32 vcc, 0, v19
	v_and_b32_e32 v24, 7, v24
	v_lshlrev_b32_e32 v4, 8, v4
	v_cndmask_b32_e32 v19, v19, v25, vcc
	v_lshl_add_u32 v19, v19, 10, v23
	v_cndmask_b32_e32 v17, v17, v24, vcc
	v_and_or_b32 v4, v4, s27, v19
	v_lshl_or_b32 v4, v17, 7, v4
	v_cvt_f32_f16_e32 v17, v4
.LBB234_53:                             ;   in Loop: Header=BB234_41 Depth=1
	s_or_b64 exec, exec, s[8:9]
	v_lshrrev_b32_e32 v4, 24, v14
	v_cmp_lt_i16_e32 vcc, s25, v4
	s_mov_b64 s[0:1], 0
                                        ; implicit-def: $sgpr14
	s_and_saveexec_b64 s[8:9], vcc
	s_xor_b64 s[8:9], exec, s[8:9]
	s_cbranch_execnz .LBB234_155
; %bb.54:                               ;   in Loop: Header=BB234_41 Depth=1
	s_or_saveexec_b64 s[8:9], s[8:9]
	v_mov_b32_e32 v19, s14
	s_xor_b64 exec, exec, s[8:9]
	s_cbranch_execnz .LBB234_158
.LBB234_55:                             ;   in Loop: Header=BB234_41 Depth=1
	s_or_b64 exec, exec, s[8:9]
	s_and_saveexec_b64 s[8:9], s[0:1]
	s_cbranch_execz .LBB234_57
.LBB234_56:                             ;   in Loop: Header=BB234_41 Depth=1
	v_bfe_u32 v19, v14, 24, 3
	v_ffbh_u32_e32 v24, v19
	v_min_u32_e32 v26, 32, v24
	v_subrev_u32_e32 v24, 28, v26
	v_bfe_u32 v14, v14, 27, 4
	v_lshlrev_b64 v[24:25], v24, v[4:5]
	v_sub_u32_e32 v25, 29, v26
	v_cmp_eq_u32_e32 vcc, 0, v14
	v_and_b32_e32 v24, 7, v24
	v_lshlrev_b32_e32 v4, 8, v4
	v_cndmask_b32_e32 v14, v14, v25, vcc
	v_lshl_add_u32 v14, v14, 10, v23
	v_cndmask_b32_e32 v19, v19, v24, vcc
	v_and_or_b32 v4, v4, s27, v14
	v_lshl_or_b32 v4, v19, 7, v4
	v_cvt_f32_f16_e32 v19, v4
.LBB234_57:                             ;   in Loop: Header=BB234_41 Depth=1
	s_or_b64 exec, exec, s[8:9]
	v_cmp_gt_i16_sdwa s[8:9], v15, s25 src0_sel:BYTE_0 src1_sel:DWORD
	s_mov_b64 s[0:1], 0
                                        ; implicit-def: $sgpr14
	s_and_saveexec_b64 s[12:13], s[8:9]
	s_xor_b64 s[8:9], exec, s[12:13]
	s_cbranch_execnz .LBB234_159
; %bb.58:                               ;   in Loop: Header=BB234_41 Depth=1
	s_or_saveexec_b64 s[8:9], s[8:9]
	v_mov_b32_e32 v14, s14
	s_xor_b64 exec, exec, s[8:9]
	s_cbranch_execnz .LBB234_162
.LBB234_59:                             ;   in Loop: Header=BB234_41 Depth=1
	s_or_b64 exec, exec, s[8:9]
	v_mov_b32_e32 v4, v15
	s_and_saveexec_b64 s[8:9], s[0:1]
	s_cbranch_execz .LBB234_61
.LBB234_60:                             ;   in Loop: Header=BB234_41 Depth=1
	v_and_b32_e32 v14, 7, v15
	v_ffbh_u32_e32 v14, v14
	v_bfe_u32 v24, v15, 3, 4
	v_min_u32_e32 v14, 32, v14
	v_subrev_u32_e32 v25, 28, v14
	v_sub_u32_e32 v14, 29, v14
	v_cmp_eq_u32_e32 vcc, 0, v24
	s_nop 1
	v_cndmask_b32_e32 v14, v24, v14, vcc
	v_cndmask_b32_e32 v24, 0, v25, vcc
	v_lshlrev_b64 v[24:25], v24, v[4:5]
	v_lshlrev_b32_e32 v25, 8, v15
	v_lshl_add_u32 v14, v14, 10, v23
	v_lshlrev_b32_e32 v24, 7, v24
	v_and_or_b32 v14, v25, s27, v14
	v_and_or_b32 v14, v24, s28, v14
	v_cvt_f32_f16_e32 v14, v14
.LBB234_61:                             ;   in Loop: Header=BB234_41 Depth=1
	s_or_b64 exec, exec, s[8:9]
	v_lshrrev_b16_e32 v4, 8, v4
	v_cmp_lt_i16_e32 vcc, s25, v4
	s_mov_b64 s[0:1], 0
                                        ; implicit-def: $sgpr14
	s_and_saveexec_b64 s[8:9], vcc
	s_xor_b64 s[8:9], exec, s[8:9]
	s_cbranch_execnz .LBB234_163
; %bb.62:                               ;   in Loop: Header=BB234_41 Depth=1
	s_or_saveexec_b64 s[8:9], s[8:9]
	v_mov_b32_e32 v24, s14
	s_xor_b64 exec, exec, s[8:9]
	s_cbranch_execnz .LBB234_166
.LBB234_63:                             ;   in Loop: Header=BB234_41 Depth=1
	s_or_b64 exec, exec, s[8:9]
	s_and_saveexec_b64 s[8:9], s[0:1]
	s_cbranch_execz .LBB234_65
.LBB234_64:                             ;   in Loop: Header=BB234_41 Depth=1
	v_and_b32_e32 v26, 7, v4
	v_ffbh_u32_e32 v24, v26
	v_min_u32_e32 v28, 32, v24
	v_subrev_u32_e32 v24, 28, v28
	v_bfe_u32 v27, v4, 3, 4
	v_lshlrev_b64 v[24:25], v24, v[4:5]
	v_sub_u32_e32 v25, 29, v28
	v_cmp_eq_u32_e32 vcc, 0, v27
	v_and_b32_e32 v24, 7, v24
	v_lshlrev_b32_e32 v4, 8, v4
	v_cndmask_b32_e32 v25, v27, v25, vcc
	v_lshl_add_u32 v25, v25, 10, v23
	v_cndmask_b32_e32 v24, v26, v24, vcc
	v_and_or_b32 v4, v4, s27, v25
	v_lshl_or_b32 v4, v24, 7, v4
	v_cvt_f32_f16_e32 v24, v4
.LBB234_65:                             ;   in Loop: Header=BB234_41 Depth=1
	s_or_b64 exec, exec, s[8:9]
	v_lshrrev_b32_e32 v4, 16, v15
	v_cmp_gt_i16_sdwa s[8:9], v4, s25 src0_sel:BYTE_0 src1_sel:DWORD
	s_mov_b64 s[0:1], 0
                                        ; implicit-def: $sgpr14
	s_and_saveexec_b64 s[12:13], s[8:9]
	s_xor_b64 s[8:9], exec, s[12:13]
	s_cbranch_execnz .LBB234_167
; %bb.66:                               ;   in Loop: Header=BB234_41 Depth=1
	s_or_saveexec_b64 s[8:9], s[8:9]
	v_mov_b32_e32 v25, s14
	s_xor_b64 exec, exec, s[8:9]
	s_cbranch_execnz .LBB234_170
.LBB234_67:                             ;   in Loop: Header=BB234_41 Depth=1
	s_or_b64 exec, exec, s[8:9]
	s_and_saveexec_b64 s[8:9], s[0:1]
	s_cbranch_execz .LBB234_69
.LBB234_68:                             ;   in Loop: Header=BB234_41 Depth=1
	v_bfe_u32 v25, v15, 16, 3
	v_ffbh_u32_e32 v26, v25
	v_min_u32_e32 v29, 32, v26
	v_subrev_u32_e32 v26, 28, v29
	v_bfe_u32 v28, v15, 19, 4
	v_lshlrev_b64 v[26:27], v26, v[4:5]
	v_sub_u32_e32 v27, 29, v29
	v_cmp_eq_u32_e32 vcc, 0, v28
	v_and_b32_e32 v26, 7, v26
	v_lshlrev_b32_e32 v4, 8, v4
	v_cndmask_b32_e32 v27, v28, v27, vcc
	v_cndmask_b32_e32 v25, v25, v26, vcc
	v_lshl_add_u32 v26, v27, 10, v23
	v_and_or_b32 v4, v4, s27, v26
	v_lshl_or_b32 v4, v25, 7, v4
	v_cvt_f32_f16_e32 v25, v4
.LBB234_69:                             ;   in Loop: Header=BB234_41 Depth=1
	s_or_b64 exec, exec, s[8:9]
	v_lshrrev_b32_e32 v4, 24, v15
	v_cmp_lt_i16_e32 vcc, s25, v4
	s_mov_b64 s[0:1], 0
                                        ; implicit-def: $sgpr14
	s_and_saveexec_b64 s[8:9], vcc
	s_xor_b64 s[8:9], exec, s[8:9]
	s_cbranch_execnz .LBB234_171
; %bb.70:                               ;   in Loop: Header=BB234_41 Depth=1
	s_or_saveexec_b64 s[8:9], s[8:9]
	v_mov_b32_e32 v26, s14
	s_xor_b64 exec, exec, s[8:9]
	s_cbranch_execnz .LBB234_174
.LBB234_71:                             ;   in Loop: Header=BB234_41 Depth=1
	s_or_b64 exec, exec, s[8:9]
	s_and_saveexec_b64 s[8:9], s[0:1]
	s_cbranch_execz .LBB234_73
.LBB234_72:                             ;   in Loop: Header=BB234_41 Depth=1
	v_bfe_u32 v28, v15, 24, 3
	v_ffbh_u32_e32 v26, v28
	v_min_u32_e32 v29, 32, v26
	v_subrev_u32_e32 v26, 28, v29
	v_bfe_u32 v15, v15, 27, 4
	v_lshlrev_b64 v[26:27], v26, v[4:5]
	v_sub_u32_e32 v27, 29, v29
	v_cmp_eq_u32_e32 vcc, 0, v15
	v_and_b32_e32 v26, 7, v26
	v_lshlrev_b32_e32 v4, 8, v4
	v_cndmask_b32_e32 v15, v15, v27, vcc
	v_lshl_add_u32 v15, v15, 10, v23
	v_cndmask_b32_e32 v26, v28, v26, vcc
	v_and_or_b32 v4, v4, s27, v15
	v_lshl_or_b32 v4, v26, 7, v4
	v_cvt_f32_f16_e32 v26, v4
.LBB234_73:                             ;   in Loop: Header=BB234_41 Depth=1
	s_or_b64 exec, exec, s[8:9]
	s_waitcnt vmcnt(0)
	v_pk_mul_f32 v[18:19], v[12:13], v[18:19] op_sel_hi:[0,1]
	v_pk_mul_f32 v[16:17], v[12:13], v[16:17] op_sel_hi:[0,1]
	v_cvt_f16_f32_e32 v4, v19
	v_cvt_f16_f32_e32 v15, v18
	;; [unrolled: 1-line block ×4, first 2 shown]
	v_fma_mixlo_f16 v14, v12, v14, 0
	v_pack_b32_f16 v15, v15, v4
	v_cmp_eq_u32_e32 vcc, s18, v1
	v_pack_b32_f16 v16, v16, v17
	v_perm_b32 v4, v16, v15, s29
	v_perm_b32 v15, v16, v15, s31
	v_fma_mixlo_f16 v16, v12, v24, 0
	v_lshlrev_b32_e32 v16, 16, v16
	v_or_b32_sdwa v14, v16, v14 dst_sel:DWORD dst_unused:UNUSED_PAD src0_sel:DWORD src1_sel:WORD_0
	v_fma_mixlo_f16 v16, v12, v25, 0
	v_fma_mixlo_f16 v12, v12, v26, 0
	v_lshlrev_b32_e32 v12, 16, v12
	v_or_b32_sdwa v12, v12, v16 dst_sel:DWORD dst_unused:UNUSED_PAD src0_sel:DWORD src1_sel:WORD_0
	v_add_u32_e32 v30, 1, v21
	v_or_b32_e32 v29, 3, v21
	v_or_b32_e32 v28, 2, v21
	;; [unrolled: 1-line block ×6, first 2 shown]
	s_and_saveexec_b64 s[8:9], vcc
	s_cbranch_execz .LBB234_75
; %bb.74:                               ;   in Loop: Header=BB234_41 Depth=1
	v_lshrrev_b32_e32 v17, 16, v15
	v_cmp_gt_i32_e64 s[0:1], s19, v30
	v_lshrrev_b32_e32 v12, 16, v12
	s_nop 0
	v_cndmask_b32_e64 v17, 0, v17, s[0:1]
	v_cmp_gt_i32_e64 s[0:1], s30, v21
	s_nop 1
	v_cndmask_b32_e64 v15, 0, v15, s[0:1]
	v_perm_b32 v15, v17, v15, s33
	v_lshrrev_b32_e32 v17, 16, v4
	v_cmp_gt_i32_e64 s[0:1], s19, v29
	s_nop 1
	v_cndmask_b32_e64 v17, 0, v17, s[0:1]
	v_cmp_gt_i32_e64 s[0:1], s30, v28
	s_nop 1
	v_cndmask_b32_e64 v4, 0, v4, s[0:1]
	v_perm_b32 v4, v17, v4, s33
	v_lshrrev_b32_e32 v17, 16, v14
	v_cmp_gt_i32_e64 s[0:1], s19, v27
	s_nop 1
	v_cndmask_b32_e64 v17, 0, v17, s[0:1]
	v_cmp_gt_i32_e64 s[0:1], s30, v26
	s_nop 1
	v_cndmask_b32_e64 v14, 0, v14, s[0:1]
	v_cmp_gt_i32_e64 s[0:1], s19, v25
	v_perm_b32 v14, v17, v14, s33
	s_nop 0
	v_cndmask_b32_e64 v12, 0, v12, s[0:1]
	v_cmp_gt_i32_e64 s[0:1], s30, v24
	s_nop 1
	v_cndmask_b32_e64 v16, 0, v16, s[0:1]
	v_perm_b32 v12, v12, v16, s33
.LBB234_75:                             ;   in Loop: Header=BB234_41 Depth=1
	s_or_b64 exec, exec, s[8:9]
	v_and_b32_e32 v16, 0xffff, v31
	v_lshl_or_b32 v31, v32, 16, v16
	v_and_b32_e32 v16, 0xffff, v33
	v_lshl_or_b32 v32, v34, 16, v16
	;; [unrolled: 2-line block ×3, first 2 shown]
	v_and_b32_e32 v16, 0xffff, v37
	;;#ASMSTART
	v_pk_mul_f16 v15, v31, v15;

	;;#ASMEND
	;;#ASMSTART
	v_pk_mul_f16 v4, v32, v4;

	;;#ASMEND
	v_lshl_or_b32 v34, v38, 16, v16
	;;#ASMSTART
	v_pk_mul_f16 v14, v33, v14;

	;;#ASMEND
	;;#ASMSTART
	v_pk_mul_f16 v12, v34, v12;

	;;#ASMEND
	;;#ASMSTART
	v_pk_add_f16 v4, v15, v4;

	;;#ASMEND
	s_mov_b64 s[0:1], 0
	;;#ASMSTART
	v_pk_add_f16 v4, v4, v14;

	;;#ASMEND
                                        ; implicit-def: $sgpr14
	s_nop 0
	;;#ASMSTART
	v_pk_add_f16 v4, v4, v12;

	;;#ASMEND
	s_nop 0
	v_lshrrev_b32_e32 v12, 16, v4
	v_and_b32_e32 v4, 0xffff, v4
	;;#ASMSTART
	v_cvt_f32_f16 v35, v4;
	;;#ASMEND
	;;#ASMSTART
	v_cvt_f32_f16 v36, v12;
	;;#ASMEND
	global_load_dwordx2 v[14:15], v[10:11], off offset:512
	global_load_dword v12, v5, s[10:11]
	s_waitcnt vmcnt(1)
	v_cmp_gt_i16_sdwa s[8:9], v14, s25 src0_sel:BYTE_0 src1_sel:DWORD
	s_and_saveexec_b64 s[12:13], s[8:9]
	s_xor_b64 s[8:9], exec, s[12:13]
	s_cbranch_execnz .LBB234_175
; %bb.76:                               ;   in Loop: Header=BB234_41 Depth=1
	s_or_saveexec_b64 s[8:9], s[8:9]
	v_mov_b32_e32 v16, s14
	s_xor_b64 exec, exec, s[8:9]
	s_cbranch_execnz .LBB234_178
.LBB234_77:                             ;   in Loop: Header=BB234_41 Depth=1
	s_or_b64 exec, exec, s[8:9]
	s_and_saveexec_b64 s[8:9], s[0:1]
	s_cbranch_execz .LBB234_79
.LBB234_78:                             ;   in Loop: Header=BB234_41 Depth=1
	v_and_b32_e32 v4, 7, v14
	v_ffbh_u32_e32 v4, v4
	v_bfe_u32 v16, v14, 3, 4
	v_min_u32_e32 v4, 32, v4
	v_subrev_u32_e32 v17, 28, v4
	v_sub_u32_e32 v4, 29, v4
	v_cmp_eq_u32_e64 s[0:1], 0, v16
	s_nop 1
	v_cndmask_b32_e64 v4, v16, v4, s[0:1]
	v_cndmask_b32_e64 v16, 0, v17, s[0:1]
	v_lshlrev_b64 v[16:17], v16, v[14:15]
	v_lshlrev_b32_e32 v17, 8, v14
	v_lshl_add_u32 v4, v4, 10, v23
	v_lshlrev_b32_e32 v16, 7, v16
	v_and_or_b32 v4, v17, s27, v4
	v_and_or_b32 v4, v16, s28, v4
	v_cvt_f32_f16_e32 v16, v4
.LBB234_79:                             ;   in Loop: Header=BB234_41 Depth=1
	s_or_b64 exec, exec, s[8:9]
	v_lshrrev_b16_e32 v4, 8, v14
	v_cmp_lt_i16_e64 s[0:1], s25, v4
	s_mov_b64 s[8:9], 0
                                        ; implicit-def: $sgpr34
	s_and_saveexec_b64 s[12:13], s[0:1]
	s_xor_b64 s[12:13], exec, s[12:13]
	s_cbranch_execnz .LBB234_179
; %bb.80:                               ;   in Loop: Header=BB234_41 Depth=1
	s_or_saveexec_b64 s[12:13], s[12:13]
	v_mov_b32_e32 v18, s34
	s_xor_b64 exec, exec, s[12:13]
	s_cbranch_execnz .LBB234_182
.LBB234_81:                             ;   in Loop: Header=BB234_41 Depth=1
	s_or_b64 exec, exec, s[12:13]
	s_and_saveexec_b64 s[12:13], s[8:9]
	s_cbranch_execz .LBB234_83
.LBB234_82:                             ;   in Loop: Header=BB234_41 Depth=1
	v_and_b32_e32 v17, 7, v4
	v_ffbh_u32_e32 v18, v17
	v_min_u32_e32 v38, 32, v18
	v_subrev_u32_e32 v18, 28, v38
	v_bfe_u32 v37, v4, 3, 4
	v_lshlrev_b64 v[18:19], v18, v[4:5]
	v_sub_u32_e32 v19, 29, v38
	v_cmp_eq_u32_e64 s[0:1], 0, v37
	v_and_b32_e32 v18, 7, v18
	v_lshlrev_b32_e32 v4, 8, v4
	v_cndmask_b32_e64 v19, v37, v19, s[0:1]
	v_cndmask_b32_e64 v17, v17, v18, s[0:1]
	v_lshl_add_u32 v18, v19, 10, v23
	v_and_or_b32 v4, v4, s27, v18
	v_lshl_or_b32 v4, v17, 7, v4
	v_cvt_f32_f16_e32 v18, v4
.LBB234_83:                             ;   in Loop: Header=BB234_41 Depth=1
	s_or_b64 exec, exec, s[12:13]
	v_lshrrev_b32_e32 v4, 16, v14
	v_cmp_gt_i16_sdwa s[8:9], v4, s25 src0_sel:BYTE_0 src1_sel:DWORD
	s_mov_b64 s[0:1], 0
                                        ; implicit-def: $sgpr14
	s_and_saveexec_b64 s[12:13], s[8:9]
	s_xor_b64 s[8:9], exec, s[12:13]
	s_cbranch_execnz .LBB234_183
; %bb.84:                               ;   in Loop: Header=BB234_41 Depth=1
	s_or_saveexec_b64 s[8:9], s[8:9]
	v_mov_b32_e32 v17, s14
	s_xor_b64 exec, exec, s[8:9]
	s_cbranch_execnz .LBB234_186
.LBB234_85:                             ;   in Loop: Header=BB234_41 Depth=1
	s_or_b64 exec, exec, s[8:9]
	s_and_saveexec_b64 s[8:9], s[0:1]
	s_cbranch_execz .LBB234_87
.LBB234_86:                             ;   in Loop: Header=BB234_41 Depth=1
	v_bfe_u32 v17, v14, 16, 3
	v_ffbh_u32_e32 v37, v17
	v_bfe_u32 v19, v14, 19, 4
	v_min_u32_e32 v37, 32, v37
	v_subrev_u32_e32 v38, 28, v37
	v_sub_u32_e32 v37, 29, v37
	v_cmp_eq_u32_e64 s[0:1], 0, v19
	v_lshlrev_b64 v[38:39], v38, v[4:5]
	v_and_b32_e32 v38, 7, v38
	v_cndmask_b32_e64 v19, v19, v37, s[0:1]
	v_lshlrev_b32_e32 v4, 8, v4
	v_lshl_add_u32 v19, v19, 10, v23
	v_cndmask_b32_e64 v17, v17, v38, s[0:1]
	v_and_or_b32 v4, v4, s27, v19
	v_lshl_or_b32 v4, v17, 7, v4
	v_cvt_f32_f16_e32 v17, v4
.LBB234_87:                             ;   in Loop: Header=BB234_41 Depth=1
	s_or_b64 exec, exec, s[8:9]
	v_lshrrev_b32_e32 v4, 24, v14
	v_cmp_lt_i16_e64 s[0:1], s25, v4
	s_mov_b64 s[8:9], 0
                                        ; implicit-def: $sgpr34
	s_and_saveexec_b64 s[12:13], s[0:1]
	s_xor_b64 s[12:13], exec, s[12:13]
	s_cbranch_execnz .LBB234_187
; %bb.88:                               ;   in Loop: Header=BB234_41 Depth=1
	s_or_saveexec_b64 s[12:13], s[12:13]
	v_mov_b32_e32 v19, s34
	s_xor_b64 exec, exec, s[12:13]
	s_cbranch_execnz .LBB234_190
.LBB234_89:                             ;   in Loop: Header=BB234_41 Depth=1
	s_or_b64 exec, exec, s[12:13]
	s_and_saveexec_b64 s[12:13], s[8:9]
	s_cbranch_execz .LBB234_91
.LBB234_90:                             ;   in Loop: Header=BB234_41 Depth=1
	v_bfe_u32 v19, v14, 24, 3
	v_ffbh_u32_e32 v37, v19
	v_bfe_u32 v14, v14, 27, 4
	v_min_u32_e32 v37, 32, v37
	v_subrev_u32_e32 v38, 28, v37
	v_sub_u32_e32 v37, 29, v37
	v_cmp_eq_u32_e64 s[0:1], 0, v14
	v_lshlrev_b64 v[38:39], v38, v[4:5]
	v_and_b32_e32 v38, 7, v38
	v_cndmask_b32_e64 v14, v14, v37, s[0:1]
	v_lshlrev_b32_e32 v4, 8, v4
	v_lshl_add_u32 v14, v14, 10, v23
	v_cndmask_b32_e64 v19, v19, v38, s[0:1]
	v_and_or_b32 v4, v4, s27, v14
	v_lshl_or_b32 v4, v19, 7, v4
	v_cvt_f32_f16_e32 v19, v4
.LBB234_91:                             ;   in Loop: Header=BB234_41 Depth=1
	s_or_b64 exec, exec, s[12:13]
	v_cmp_gt_i16_sdwa s[8:9], v15, s25 src0_sel:BYTE_0 src1_sel:DWORD
	s_mov_b64 s[0:1], 0
                                        ; implicit-def: $sgpr14
	s_and_saveexec_b64 s[12:13], s[8:9]
	s_xor_b64 s[8:9], exec, s[12:13]
	s_cbranch_execnz .LBB234_191
; %bb.92:                               ;   in Loop: Header=BB234_41 Depth=1
	s_or_saveexec_b64 s[8:9], s[8:9]
	v_mov_b32_e32 v14, s14
	s_xor_b64 exec, exec, s[8:9]
	s_cbranch_execnz .LBB234_194
.LBB234_93:                             ;   in Loop: Header=BB234_41 Depth=1
	s_or_b64 exec, exec, s[8:9]
	v_mov_b32_e32 v4, v15
	s_and_saveexec_b64 s[8:9], s[0:1]
	s_cbranch_execz .LBB234_95
.LBB234_94:                             ;   in Loop: Header=BB234_41 Depth=1
	v_and_b32_e32 v14, 7, v15
	v_ffbh_u32_e32 v14, v14
	v_bfe_u32 v37, v15, 3, 4
	v_min_u32_e32 v14, 32, v14
	v_subrev_u32_e32 v38, 28, v14
	v_sub_u32_e32 v14, 29, v14
	v_cmp_eq_u32_e64 s[0:1], 0, v37
	s_nop 1
	v_cndmask_b32_e64 v14, v37, v14, s[0:1]
	v_cndmask_b32_e64 v37, 0, v38, s[0:1]
	v_lshlrev_b64 v[38:39], v37, v[4:5]
	v_lshlrev_b32_e32 v37, 7, v38
	v_lshlrev_b32_e32 v38, 8, v15
	v_lshl_add_u32 v14, v14, 10, v23
	v_and_or_b32 v14, v38, s27, v14
	v_and_or_b32 v14, v37, s28, v14
	v_cvt_f32_f16_e32 v14, v14
.LBB234_95:                             ;   in Loop: Header=BB234_41 Depth=1
	s_or_b64 exec, exec, s[8:9]
	v_lshrrev_b16_e32 v4, 8, v4
	v_cmp_lt_i16_e64 s[0:1], s25, v4
	s_mov_b64 s[8:9], 0
                                        ; implicit-def: $sgpr34
	s_and_saveexec_b64 s[12:13], s[0:1]
	s_xor_b64 s[12:13], exec, s[12:13]
	s_cbranch_execnz .LBB234_195
; %bb.96:                               ;   in Loop: Header=BB234_41 Depth=1
	s_or_saveexec_b64 s[12:13], s[12:13]
	v_mov_b32_e32 v37, s34
	s_xor_b64 exec, exec, s[12:13]
	s_cbranch_execnz .LBB234_198
.LBB234_97:                             ;   in Loop: Header=BB234_41 Depth=1
	s_or_b64 exec, exec, s[12:13]
	s_and_saveexec_b64 s[12:13], s[8:9]
	s_cbranch_execz .LBB234_99
.LBB234_98:                             ;   in Loop: Header=BB234_41 Depth=1
	v_and_b32_e32 v37, 7, v4
	v_ffbh_u32_e32 v38, v37
	v_min_u32_e32 v41, 32, v38
	v_subrev_u32_e32 v38, 28, v41
	v_bfe_u32 v40, v4, 3, 4
	v_lshlrev_b64 v[38:39], v38, v[4:5]
	v_sub_u32_e32 v39, 29, v41
	v_cmp_eq_u32_e64 s[0:1], 0, v40
	v_and_b32_e32 v38, 7, v38
	v_lshlrev_b32_e32 v4, 8, v4
	v_cndmask_b32_e64 v39, v40, v39, s[0:1]
	v_cndmask_b32_e64 v37, v37, v38, s[0:1]
	v_lshl_add_u32 v38, v39, 10, v23
	v_and_or_b32 v4, v4, s27, v38
	v_lshl_or_b32 v4, v37, 7, v4
	v_cvt_f32_f16_e32 v37, v4
.LBB234_99:                             ;   in Loop: Header=BB234_41 Depth=1
	s_or_b64 exec, exec, s[12:13]
	v_lshrrev_b32_e32 v4, 16, v15
	v_cmp_gt_i16_sdwa s[8:9], v4, s25 src0_sel:BYTE_0 src1_sel:DWORD
	s_mov_b64 s[0:1], 0
                                        ; implicit-def: $sgpr14
	s_and_saveexec_b64 s[12:13], s[8:9]
	s_xor_b64 s[8:9], exec, s[12:13]
	s_cbranch_execnz .LBB234_199
; %bb.100:                              ;   in Loop: Header=BB234_41 Depth=1
	s_or_saveexec_b64 s[8:9], s[8:9]
	v_mov_b32_e32 v38, s14
	s_xor_b64 exec, exec, s[8:9]
	s_cbranch_execnz .LBB234_202
.LBB234_101:                            ;   in Loop: Header=BB234_41 Depth=1
	s_or_b64 exec, exec, s[8:9]
	s_and_saveexec_b64 s[8:9], s[0:1]
	s_cbranch_execz .LBB234_103
.LBB234_102:                            ;   in Loop: Header=BB234_41 Depth=1
	v_bfe_u32 v40, v15, 16, 3
	v_ffbh_u32_e32 v38, v40
	v_min_u32_e32 v42, 32, v38
	v_subrev_u32_e32 v38, 28, v42
	v_bfe_u32 v41, v15, 19, 4
	v_lshlrev_b64 v[38:39], v38, v[4:5]
	v_sub_u32_e32 v39, 29, v42
	v_cmp_eq_u32_e64 s[0:1], 0, v41
	v_and_b32_e32 v38, 7, v38
	v_lshlrev_b32_e32 v4, 8, v4
	v_cndmask_b32_e64 v39, v41, v39, s[0:1]
	v_lshl_add_u32 v39, v39, 10, v23
	v_cndmask_b32_e64 v38, v40, v38, s[0:1]
	v_and_or_b32 v4, v4, s27, v39
	v_lshl_or_b32 v4, v38, 7, v4
	v_cvt_f32_f16_e32 v38, v4
.LBB234_103:                            ;   in Loop: Header=BB234_41 Depth=1
	s_or_b64 exec, exec, s[8:9]
	v_lshrrev_b32_e32 v4, 24, v15
	v_cmp_lt_i16_e64 s[0:1], s25, v4
	s_mov_b64 s[8:9], 0
                                        ; implicit-def: $sgpr34
	s_and_saveexec_b64 s[12:13], s[0:1]
	s_xor_b64 s[12:13], exec, s[12:13]
	s_cbranch_execnz .LBB234_203
; %bb.104:                              ;   in Loop: Header=BB234_41 Depth=1
	s_or_saveexec_b64 s[12:13], s[12:13]
	v_mov_b32_e32 v39, s34
	s_xor_b64 exec, exec, s[12:13]
	s_cbranch_execnz .LBB234_206
.LBB234_105:                            ;   in Loop: Header=BB234_41 Depth=1
	s_or_b64 exec, exec, s[12:13]
	s_and_saveexec_b64 s[12:13], s[8:9]
	s_cbranch_execz .LBB234_107
.LBB234_106:                            ;   in Loop: Header=BB234_41 Depth=1
	v_bfe_u32 v39, v15, 24, 3
	v_ffbh_u32_e32 v40, v39
	v_min_u32_e32 v42, 32, v40
	v_subrev_u32_e32 v40, 28, v42
	v_bfe_u32 v15, v15, 27, 4
	v_lshlrev_b64 v[40:41], v40, v[4:5]
	v_sub_u32_e32 v41, 29, v42
	v_cmp_eq_u32_e64 s[0:1], 0, v15
	v_and_b32_e32 v40, 7, v40
	v_lshlrev_b32_e32 v4, 8, v4
	v_cndmask_b32_e64 v15, v15, v41, s[0:1]
	v_lshl_add_u32 v15, v15, 10, v23
	v_cndmask_b32_e64 v39, v39, v40, s[0:1]
	v_and_or_b32 v4, v4, s27, v15
	v_lshl_or_b32 v4, v39, 7, v4
	v_cvt_f32_f16_e32 v39, v4
.LBB234_107:                            ;   in Loop: Header=BB234_41 Depth=1
	s_or_b64 exec, exec, s[12:13]
	s_waitcnt vmcnt(0)
	v_pk_mul_f32 v[18:19], v[12:13], v[18:19] op_sel_hi:[0,1]
	v_pk_mul_f32 v[16:17], v[12:13], v[16:17] op_sel_hi:[0,1]
	v_cvt_f16_f32_e32 v4, v19
	v_cvt_f16_f32_e32 v15, v18
	v_cvt_f16_f32_e32 v17, v17
	v_cvt_f16_f32_e32 v16, v16
	v_fma_mixlo_f16 v14, v12, v14, 0
	v_pack_b32_f16 v15, v15, v4
	v_pack_b32_f16 v16, v16, v17
	v_perm_b32 v4, v16, v15, s29
	v_perm_b32 v15, v16, v15, s31
	v_fma_mixlo_f16 v16, v12, v37, 0
	v_lshlrev_b32_e32 v16, 16, v16
	v_or_b32_sdwa v14, v16, v14 dst_sel:DWORD dst_unused:UNUSED_PAD src0_sel:DWORD src1_sel:WORD_0
	v_fma_mixlo_f16 v16, v12, v38, 0
	v_fma_mixlo_f16 v12, v12, v39, 0
	v_lshlrev_b32_e32 v12, 16, v12
	v_or_b32_sdwa v12, v12, v16 dst_sel:DWORD dst_unused:UNUSED_PAD src0_sel:DWORD src1_sel:WORD_0
	s_and_saveexec_b64 s[8:9], vcc
	s_cbranch_execz .LBB234_109
; %bb.108:                              ;   in Loop: Header=BB234_41 Depth=1
	v_lshrrev_b32_e32 v17, 16, v15
	v_cmp_gt_i32_e64 s[0:1], s19, v30
	v_lshrrev_b32_e32 v12, 16, v12
	s_nop 0
	v_cndmask_b32_e64 v17, 0, v17, s[0:1]
	v_cmp_gt_i32_e64 s[0:1], s30, v21
	s_nop 1
	v_cndmask_b32_e64 v15, 0, v15, s[0:1]
	v_perm_b32 v15, v17, v15, s33
	v_lshrrev_b32_e32 v17, 16, v4
	v_cmp_gt_i32_e64 s[0:1], s19, v29
	s_nop 1
	v_cndmask_b32_e64 v17, 0, v17, s[0:1]
	v_cmp_gt_i32_e64 s[0:1], s30, v28
	s_nop 1
	v_cndmask_b32_e64 v4, 0, v4, s[0:1]
	v_perm_b32 v4, v17, v4, s33
	v_lshrrev_b32_e32 v17, 16, v14
	v_cmp_gt_i32_e64 s[0:1], s19, v27
	s_nop 1
	v_cndmask_b32_e64 v17, 0, v17, s[0:1]
	v_cmp_gt_i32_e64 s[0:1], s30, v26
	s_nop 1
	v_cndmask_b32_e64 v14, 0, v14, s[0:1]
	v_cmp_gt_i32_e64 s[0:1], s19, v25
	v_perm_b32 v14, v17, v14, s33
	s_nop 0
	v_cndmask_b32_e64 v12, 0, v12, s[0:1]
	v_cmp_gt_i32_e64 s[0:1], s30, v24
	s_nop 1
	v_cndmask_b32_e64 v16, 0, v16, s[0:1]
	v_perm_b32 v12, v12, v16, s33
.LBB234_109:                            ;   in Loop: Header=BB234_41 Depth=1
	s_or_b64 exec, exec, s[8:9]
	;;#ASMSTART
	v_pk_mul_f16 v15, v31, v15;

	;;#ASMEND
	;;#ASMSTART
	v_pk_mul_f16 v4, v32, v4;

	;;#ASMEND
	;; [unrolled: 4-line block ×4, first 2 shown]
	s_mov_b64 s[0:1], 0
	;;#ASMSTART
	v_pk_add_f16 v4, v15, v4;

	;;#ASMEND
                                        ; implicit-def: $sgpr14
	s_nop 0
	;;#ASMSTART
	v_pk_add_f16 v4, v4, v14;

	;;#ASMEND
	s_nop 0
	;;#ASMSTART
	v_pk_add_f16 v4, v4, v12;

	;;#ASMEND
	s_nop 0
	v_lshrrev_b32_e32 v12, 16, v4
	v_and_b32_e32 v4, 0xffff, v4
	;;#ASMSTART
	v_cvt_f32_f16 v18, v4;
	;;#ASMEND
	;;#ASMSTART
	v_cvt_f32_f16 v19, v12;
	;;#ASMEND
	global_load_dwordx2 v[14:15], v[10:11], off offset:1024
	global_load_dword v12, v5, s[10:11]
	s_waitcnt vmcnt(1)
	v_cmp_gt_i16_sdwa s[8:9], v14, s25 src0_sel:BYTE_0 src1_sel:DWORD
	s_and_saveexec_b64 s[12:13], s[8:9]
	s_xor_b64 s[8:9], exec, s[12:13]
	s_cbranch_execnz .LBB234_207
; %bb.110:                              ;   in Loop: Header=BB234_41 Depth=1
	s_or_saveexec_b64 s[8:9], s[8:9]
	v_mov_b32_e32 v10, s14
	s_xor_b64 exec, exec, s[8:9]
	s_cbranch_execnz .LBB234_210
.LBB234_111:                            ;   in Loop: Header=BB234_41 Depth=1
	s_or_b64 exec, exec, s[8:9]
	s_and_saveexec_b64 s[8:9], s[0:1]
	s_cbranch_execz .LBB234_113
.LBB234_112:                            ;   in Loop: Header=BB234_41 Depth=1
	v_and_b32_e32 v4, 7, v14
	v_ffbh_u32_e32 v4, v4
	v_bfe_u32 v10, v14, 3, 4
	v_min_u32_e32 v4, 32, v4
	v_subrev_u32_e32 v11, 28, v4
	v_sub_u32_e32 v4, 29, v4
	v_cmp_eq_u32_e64 s[0:1], 0, v10
	s_nop 1
	v_cndmask_b32_e64 v4, v10, v4, s[0:1]
	v_cndmask_b32_e64 v10, 0, v11, s[0:1]
	v_lshlrev_b64 v[10:11], v10, v[14:15]
	v_lshlrev_b32_e32 v11, 8, v14
	v_lshl_add_u32 v4, v4, 10, v23
	v_lshlrev_b32_e32 v10, 7, v10
	v_and_or_b32 v4, v11, s27, v4
	v_and_or_b32 v4, v10, s28, v4
	v_cvt_f32_f16_e32 v10, v4
.LBB234_113:                            ;   in Loop: Header=BB234_41 Depth=1
	s_or_b64 exec, exec, s[8:9]
	v_lshrrev_b16_e32 v4, 8, v14
	v_cmp_lt_i16_e64 s[0:1], s25, v4
	s_mov_b64 s[8:9], 0
                                        ; implicit-def: $sgpr34
	s_and_saveexec_b64 s[12:13], s[0:1]
	s_xor_b64 s[12:13], exec, s[12:13]
	s_cbranch_execnz .LBB234_211
; %bb.114:                              ;   in Loop: Header=BB234_41 Depth=1
	s_or_saveexec_b64 s[12:13], s[12:13]
	v_mov_b32_e32 v16, s34
	s_xor_b64 exec, exec, s[12:13]
	s_cbranch_execnz .LBB234_214
.LBB234_115:                            ;   in Loop: Header=BB234_41 Depth=1
	s_or_b64 exec, exec, s[12:13]
	s_and_saveexec_b64 s[12:13], s[8:9]
	s_cbranch_execz .LBB234_117
.LBB234_116:                            ;   in Loop: Header=BB234_41 Depth=1
	v_and_b32_e32 v11, 7, v4
	v_ffbh_u32_e32 v16, v11
	v_min_u32_e32 v38, 32, v16
	v_subrev_u32_e32 v16, 28, v38
	v_bfe_u32 v37, v4, 3, 4
	v_lshlrev_b64 v[16:17], v16, v[4:5]
	v_sub_u32_e32 v17, 29, v38
	v_cmp_eq_u32_e64 s[0:1], 0, v37
	v_and_b32_e32 v16, 7, v16
	v_lshlrev_b32_e32 v4, 8, v4
	v_cndmask_b32_e64 v17, v37, v17, s[0:1]
	v_cndmask_b32_e64 v11, v11, v16, s[0:1]
	v_lshl_add_u32 v16, v17, 10, v23
	v_and_or_b32 v4, v4, s27, v16
	v_lshl_or_b32 v4, v11, 7, v4
	v_cvt_f32_f16_e32 v16, v4
.LBB234_117:                            ;   in Loop: Header=BB234_41 Depth=1
	s_or_b64 exec, exec, s[12:13]
	v_lshrrev_b32_e32 v4, 16, v14
	v_cmp_gt_i16_sdwa s[8:9], v4, s25 src0_sel:BYTE_0 src1_sel:DWORD
	s_mov_b64 s[0:1], 0
                                        ; implicit-def: $sgpr14
	s_and_saveexec_b64 s[12:13], s[8:9]
	s_xor_b64 s[8:9], exec, s[12:13]
	s_cbranch_execnz .LBB234_215
; %bb.118:                              ;   in Loop: Header=BB234_41 Depth=1
	s_or_saveexec_b64 s[8:9], s[8:9]
	v_mov_b32_e32 v11, s14
	s_xor_b64 exec, exec, s[8:9]
	s_cbranch_execnz .LBB234_218
.LBB234_119:                            ;   in Loop: Header=BB234_41 Depth=1
	s_or_b64 exec, exec, s[8:9]
	s_and_saveexec_b64 s[8:9], s[0:1]
	s_cbranch_execz .LBB234_121
.LBB234_120:                            ;   in Loop: Header=BB234_41 Depth=1
	v_bfe_u32 v11, v14, 16, 3
	v_ffbh_u32_e32 v37, v11
	v_bfe_u32 v17, v14, 19, 4
	v_min_u32_e32 v37, 32, v37
	v_subrev_u32_e32 v38, 28, v37
	v_sub_u32_e32 v37, 29, v37
	v_cmp_eq_u32_e64 s[0:1], 0, v17
	v_lshlrev_b64 v[38:39], v38, v[4:5]
	v_and_b32_e32 v38, 7, v38
	v_cndmask_b32_e64 v17, v17, v37, s[0:1]
	v_lshlrev_b32_e32 v4, 8, v4
	v_lshl_add_u32 v17, v17, 10, v23
	v_cndmask_b32_e64 v11, v11, v38, s[0:1]
	v_and_or_b32 v4, v4, s27, v17
	v_lshl_or_b32 v4, v11, 7, v4
	v_cvt_f32_f16_e32 v11, v4
.LBB234_121:                            ;   in Loop: Header=BB234_41 Depth=1
	s_or_b64 exec, exec, s[8:9]
	v_lshrrev_b32_e32 v4, 24, v14
	v_cmp_lt_i16_e64 s[0:1], s25, v4
	s_mov_b64 s[8:9], 0
                                        ; implicit-def: $sgpr34
	s_and_saveexec_b64 s[12:13], s[0:1]
	s_xor_b64 s[12:13], exec, s[12:13]
	s_cbranch_execnz .LBB234_219
; %bb.122:                              ;   in Loop: Header=BB234_41 Depth=1
	s_or_saveexec_b64 s[12:13], s[12:13]
	v_mov_b32_e32 v17, s34
	s_xor_b64 exec, exec, s[12:13]
	s_cbranch_execnz .LBB234_222
.LBB234_123:                            ;   in Loop: Header=BB234_41 Depth=1
	s_or_b64 exec, exec, s[12:13]
	s_and_saveexec_b64 s[12:13], s[8:9]
	s_cbranch_execz .LBB234_125
.LBB234_124:                            ;   in Loop: Header=BB234_41 Depth=1
	v_bfe_u32 v17, v14, 24, 3
	v_ffbh_u32_e32 v37, v17
	v_bfe_u32 v14, v14, 27, 4
	v_min_u32_e32 v37, 32, v37
	v_subrev_u32_e32 v38, 28, v37
	v_sub_u32_e32 v37, 29, v37
	v_cmp_eq_u32_e64 s[0:1], 0, v14
	v_lshlrev_b64 v[38:39], v38, v[4:5]
	v_and_b32_e32 v38, 7, v38
	v_cndmask_b32_e64 v14, v14, v37, s[0:1]
	v_lshlrev_b32_e32 v4, 8, v4
	v_lshl_add_u32 v14, v14, 10, v23
	v_cndmask_b32_e64 v17, v17, v38, s[0:1]
	v_and_or_b32 v4, v4, s27, v14
	v_lshl_or_b32 v4, v17, 7, v4
	v_cvt_f32_f16_e32 v17, v4
.LBB234_125:                            ;   in Loop: Header=BB234_41 Depth=1
	s_or_b64 exec, exec, s[12:13]
	v_cmp_gt_i16_sdwa s[8:9], v15, s25 src0_sel:BYTE_0 src1_sel:DWORD
	s_mov_b64 s[0:1], 0
                                        ; implicit-def: $sgpr14
	s_and_saveexec_b64 s[12:13], s[8:9]
	s_xor_b64 s[8:9], exec, s[12:13]
	s_cbranch_execnz .LBB234_223
; %bb.126:                              ;   in Loop: Header=BB234_41 Depth=1
	s_or_saveexec_b64 s[8:9], s[8:9]
	v_mov_b32_e32 v14, s14
	s_xor_b64 exec, exec, s[8:9]
	s_cbranch_execnz .LBB234_226
.LBB234_127:                            ;   in Loop: Header=BB234_41 Depth=1
	s_or_b64 exec, exec, s[8:9]
	v_mov_b32_e32 v4, v15
	s_and_saveexec_b64 s[8:9], s[0:1]
	s_cbranch_execz .LBB234_129
.LBB234_128:                            ;   in Loop: Header=BB234_41 Depth=1
	v_and_b32_e32 v14, 7, v15
	v_ffbh_u32_e32 v14, v14
	v_bfe_u32 v37, v15, 3, 4
	v_min_u32_e32 v14, 32, v14
	v_subrev_u32_e32 v38, 28, v14
	v_sub_u32_e32 v14, 29, v14
	v_cmp_eq_u32_e64 s[0:1], 0, v37
	s_nop 1
	v_cndmask_b32_e64 v14, v37, v14, s[0:1]
	v_cndmask_b32_e64 v37, 0, v38, s[0:1]
	v_lshlrev_b64 v[38:39], v37, v[4:5]
	v_lshlrev_b32_e32 v37, 7, v38
	v_lshlrev_b32_e32 v38, 8, v15
	v_lshl_add_u32 v14, v14, 10, v23
	v_and_or_b32 v14, v38, s27, v14
	v_and_or_b32 v14, v37, s28, v14
	v_cvt_f32_f16_e32 v14, v14
.LBB234_129:                            ;   in Loop: Header=BB234_41 Depth=1
	s_or_b64 exec, exec, s[8:9]
	v_lshrrev_b16_e32 v4, 8, v4
	v_cmp_lt_i16_e64 s[0:1], s25, v4
	s_mov_b64 s[8:9], 0
                                        ; implicit-def: $sgpr34
	s_and_saveexec_b64 s[12:13], s[0:1]
	s_xor_b64 s[12:13], exec, s[12:13]
	s_cbranch_execnz .LBB234_227
; %bb.130:                              ;   in Loop: Header=BB234_41 Depth=1
	s_or_saveexec_b64 s[12:13], s[12:13]
	v_mov_b32_e32 v37, s34
	s_xor_b64 exec, exec, s[12:13]
	s_cbranch_execnz .LBB234_230
.LBB234_131:                            ;   in Loop: Header=BB234_41 Depth=1
	s_or_b64 exec, exec, s[12:13]
	s_and_saveexec_b64 s[12:13], s[8:9]
	s_cbranch_execz .LBB234_133
.LBB234_132:                            ;   in Loop: Header=BB234_41 Depth=1
	v_and_b32_e32 v37, 7, v4
	v_ffbh_u32_e32 v38, v37
	v_min_u32_e32 v41, 32, v38
	v_subrev_u32_e32 v38, 28, v41
	v_bfe_u32 v40, v4, 3, 4
	v_lshlrev_b64 v[38:39], v38, v[4:5]
	v_sub_u32_e32 v39, 29, v41
	v_cmp_eq_u32_e64 s[0:1], 0, v40
	v_and_b32_e32 v38, 7, v38
	v_lshlrev_b32_e32 v4, 8, v4
	v_cndmask_b32_e64 v39, v40, v39, s[0:1]
	v_cndmask_b32_e64 v37, v37, v38, s[0:1]
	v_lshl_add_u32 v38, v39, 10, v23
	v_and_or_b32 v4, v4, s27, v38
	v_lshl_or_b32 v4, v37, 7, v4
	v_cvt_f32_f16_e32 v37, v4
.LBB234_133:                            ;   in Loop: Header=BB234_41 Depth=1
	s_or_b64 exec, exec, s[12:13]
	v_lshrrev_b32_e32 v4, 16, v15
	v_cmp_gt_i16_sdwa s[8:9], v4, s25 src0_sel:BYTE_0 src1_sel:DWORD
	s_mov_b64 s[0:1], 0
                                        ; implicit-def: $sgpr14
	s_and_saveexec_b64 s[12:13], s[8:9]
	s_xor_b64 s[8:9], exec, s[12:13]
	s_cbranch_execnz .LBB234_231
; %bb.134:                              ;   in Loop: Header=BB234_41 Depth=1
	s_or_saveexec_b64 s[8:9], s[8:9]
	v_mov_b32_e32 v38, s14
	s_xor_b64 exec, exec, s[8:9]
	s_cbranch_execnz .LBB234_234
.LBB234_135:                            ;   in Loop: Header=BB234_41 Depth=1
	s_or_b64 exec, exec, s[8:9]
	s_and_saveexec_b64 s[8:9], s[0:1]
	s_cbranch_execz .LBB234_137
.LBB234_136:                            ;   in Loop: Header=BB234_41 Depth=1
	v_bfe_u32 v40, v15, 16, 3
	v_ffbh_u32_e32 v38, v40
	v_min_u32_e32 v42, 32, v38
	v_subrev_u32_e32 v38, 28, v42
	v_bfe_u32 v41, v15, 19, 4
	v_lshlrev_b64 v[38:39], v38, v[4:5]
	v_sub_u32_e32 v39, 29, v42
	v_cmp_eq_u32_e64 s[0:1], 0, v41
	v_and_b32_e32 v38, 7, v38
	v_lshlrev_b32_e32 v4, 8, v4
	v_cndmask_b32_e64 v39, v41, v39, s[0:1]
	v_lshl_add_u32 v39, v39, 10, v23
	v_cndmask_b32_e64 v38, v40, v38, s[0:1]
	v_and_or_b32 v4, v4, s27, v39
	v_lshl_or_b32 v4, v38, 7, v4
	v_cvt_f32_f16_e32 v38, v4
.LBB234_137:                            ;   in Loop: Header=BB234_41 Depth=1
	s_or_b64 exec, exec, s[8:9]
	v_lshrrev_b32_e32 v4, 24, v15
	v_cmp_lt_i16_e64 s[0:1], s25, v4
	s_mov_b64 s[8:9], 0
                                        ; implicit-def: $sgpr34
	s_and_saveexec_b64 s[12:13], s[0:1]
	s_xor_b64 s[12:13], exec, s[12:13]
	s_cbranch_execnz .LBB234_235
; %bb.138:                              ;   in Loop: Header=BB234_41 Depth=1
	s_or_saveexec_b64 s[12:13], s[12:13]
	v_mov_b32_e32 v39, s34
	s_xor_b64 exec, exec, s[12:13]
	s_cbranch_execnz .LBB234_238
.LBB234_139:                            ;   in Loop: Header=BB234_41 Depth=1
	s_or_b64 exec, exec, s[12:13]
	s_and_saveexec_b64 s[12:13], s[8:9]
	s_cbranch_execz .LBB234_141
.LBB234_140:                            ;   in Loop: Header=BB234_41 Depth=1
	v_bfe_u32 v39, v15, 24, 3
	v_ffbh_u32_e32 v40, v39
	v_min_u32_e32 v42, 32, v40
	v_subrev_u32_e32 v40, 28, v42
	v_bfe_u32 v15, v15, 27, 4
	v_lshlrev_b64 v[40:41], v40, v[4:5]
	v_sub_u32_e32 v41, 29, v42
	v_cmp_eq_u32_e64 s[0:1], 0, v15
	v_and_b32_e32 v40, 7, v40
	v_lshlrev_b32_e32 v4, 8, v4
	v_cndmask_b32_e64 v15, v15, v41, s[0:1]
	v_lshl_add_u32 v15, v15, 10, v23
	v_cndmask_b32_e64 v39, v39, v40, s[0:1]
	v_and_or_b32 v4, v4, s27, v15
	v_lshl_or_b32 v4, v39, 7, v4
	v_cvt_f32_f16_e32 v39, v4
.LBB234_141:                            ;   in Loop: Header=BB234_41 Depth=1
	s_or_b64 exec, exec, s[12:13]
	s_waitcnt vmcnt(0)
	v_pk_mul_f32 v[10:11], v[12:13], v[10:11] op_sel_hi:[0,1]
	v_cvt_f16_f32_e32 v11, v11
	v_cvt_f16_f32_e32 v10, v10
	v_pk_mul_f32 v[16:17], v[12:13], v[16:17] op_sel_hi:[0,1]
	v_cvt_f16_f32_e32 v4, v17
	v_cvt_f16_f32_e32 v15, v16
	v_pack_b32_f16 v10, v10, v11
	v_fma_mixlo_f16 v11, v12, v37, 0
	v_lshlrev_b32_e32 v11, 16, v11
	v_fma_mixlo_f16 v14, v12, v14, 0
	v_or_b32_sdwa v11, v11, v14 dst_sel:DWORD dst_unused:UNUSED_PAD src0_sel:DWORD src1_sel:WORD_0
	v_fma_mixlo_f16 v14, v12, v38, 0
	v_fma_mixlo_f16 v12, v12, v39, 0
	v_pack_b32_f16 v15, v15, v4
	v_lshlrev_b32_e32 v12, 16, v12
	v_perm_b32 v4, v10, v15, s29
	v_perm_b32 v10, v10, v15, s31
	v_or_b32_sdwa v12, v12, v14 dst_sel:DWORD dst_unused:UNUSED_PAD src0_sel:DWORD src1_sel:WORD_0
	s_and_saveexec_b64 s[0:1], vcc
	s_cbranch_execz .LBB234_40
; %bb.142:                              ;   in Loop: Header=BB234_41 Depth=1
	v_lshrrev_b32_e32 v15, 16, v10
	v_cmp_gt_i32_e32 vcc, s19, v30
	v_lshrrev_b32_e32 v12, 16, v12
	s_nop 0
	v_cndmask_b32_e32 v15, 0, v15, vcc
	v_cmp_gt_i32_e32 vcc, s30, v21
	s_nop 1
	v_cndmask_b32_e32 v10, 0, v10, vcc
	v_perm_b32 v10, v15, v10, s33
	v_lshrrev_b32_e32 v15, 16, v4
	v_cmp_gt_i32_e32 vcc, s19, v29
	s_nop 1
	v_cndmask_b32_e32 v15, 0, v15, vcc
	v_cmp_gt_i32_e32 vcc, s30, v28
	s_nop 1
	v_cndmask_b32_e32 v4, 0, v4, vcc
	v_perm_b32 v4, v15, v4, s33
	v_lshrrev_b32_e32 v15, 16, v11
	v_cmp_gt_i32_e32 vcc, s19, v27
	s_nop 1
	v_cndmask_b32_e32 v15, 0, v15, vcc
	v_cmp_gt_i32_e32 vcc, s30, v26
	s_nop 1
	v_cndmask_b32_e32 v11, 0, v11, vcc
	v_cmp_gt_i32_e32 vcc, s19, v25
	v_perm_b32 v11, v15, v11, s33
	s_nop 0
	v_cndmask_b32_e32 v12, 0, v12, vcc
	v_cmp_gt_i32_e32 vcc, s30, v24
	s_nop 1
	v_cndmask_b32_e32 v14, 0, v14, vcc
	v_perm_b32 v12, v12, v14, s33
	s_branch .LBB234_40
.LBB234_143:                            ;   in Loop: Header=BB234_41 Depth=1
	v_cmp_eq_u16_sdwa s[34:35], v14, s26 src0_sel:BYTE_0 src1_sel:DWORD
	s_mov_b64 s[0:1], -1
                                        ; implicit-def: $sgpr14
	s_and_saveexec_b64 s[12:13], s[34:35]
; %bb.144:                              ;   in Loop: Header=BB234_41 Depth=1
	s_mov_b32 s14, 0x7fc02000
	s_xor_b64 s[0:1], exec, -1
; %bb.145:                              ;   in Loop: Header=BB234_41 Depth=1
	s_or_b64 exec, exec, s[12:13]
	s_and_b64 s[0:1], s[0:1], exec
	s_or_saveexec_b64 s[8:9], s[8:9]
	v_mov_b32_e32 v16, s14
	s_xor_b64 exec, exec, s[8:9]
	s_cbranch_execz .LBB234_43
.LBB234_146:                            ;   in Loop: Header=BB234_41 Depth=1
	v_cmp_ne_u16_sdwa s[12:13], v14, v5 src0_sel:BYTE_0 src1_sel:DWORD
	s_andn2_b64 s[0:1], s[0:1], exec
	s_and_b64 s[12:13], s[12:13], exec
	v_mov_b32_e32 v16, 0
	s_or_b64 s[0:1], s[0:1], s[12:13]
	s_or_b64 exec, exec, s[8:9]
	s_and_saveexec_b64 s[8:9], s[0:1]
	s_cbranch_execnz .LBB234_44
	s_branch .LBB234_45
.LBB234_147:                            ;   in Loop: Header=BB234_41 Depth=1
	v_cmp_eq_u16_e32 vcc, s26, v4
	s_mov_b64 s[0:1], -1
                                        ; implicit-def: $sgpr14
	s_and_saveexec_b64 s[12:13], vcc
; %bb.148:                              ;   in Loop: Header=BB234_41 Depth=1
	s_mov_b32 s14, 0x7fc02000
	s_xor_b64 s[0:1], exec, -1
; %bb.149:                              ;   in Loop: Header=BB234_41 Depth=1
	s_or_b64 exec, exec, s[12:13]
	s_and_b64 s[0:1], s[0:1], exec
	s_or_saveexec_b64 s[8:9], s[8:9]
	v_mov_b32_e32 v18, s14
	s_xor_b64 exec, exec, s[8:9]
	s_cbranch_execz .LBB234_47
.LBB234_150:                            ;   in Loop: Header=BB234_41 Depth=1
	v_cmp_ne_u16_e32 vcc, 0, v4
	s_andn2_b64 s[0:1], s[0:1], exec
	s_and_b64 s[12:13], vcc, exec
	v_mov_b32_e32 v18, 0
	s_or_b64 s[0:1], s[0:1], s[12:13]
	s_or_b64 exec, exec, s[8:9]
	s_and_saveexec_b64 s[8:9], s[0:1]
	s_cbranch_execnz .LBB234_48
	s_branch .LBB234_49
.LBB234_151:                            ;   in Loop: Header=BB234_41 Depth=1
	v_cmp_eq_u16_sdwa s[34:35], v4, s26 src0_sel:BYTE_0 src1_sel:DWORD
	s_mov_b64 s[0:1], -1
                                        ; implicit-def: $sgpr14
	s_and_saveexec_b64 s[12:13], s[34:35]
; %bb.152:                              ;   in Loop: Header=BB234_41 Depth=1
	s_mov_b32 s14, 0x7fc02000
	s_xor_b64 s[0:1], exec, -1
; %bb.153:                              ;   in Loop: Header=BB234_41 Depth=1
	s_or_b64 exec, exec, s[12:13]
	s_and_b64 s[0:1], s[0:1], exec
	s_or_saveexec_b64 s[8:9], s[8:9]
	v_mov_b32_e32 v17, s14
	s_xor_b64 exec, exec, s[8:9]
	s_cbranch_execz .LBB234_51
.LBB234_154:                            ;   in Loop: Header=BB234_41 Depth=1
	v_cmp_ne_u16_sdwa s[12:13], v4, v5 src0_sel:BYTE_0 src1_sel:DWORD
	s_andn2_b64 s[0:1], s[0:1], exec
	s_and_b64 s[12:13], s[12:13], exec
	v_mov_b32_e32 v17, 0
	s_or_b64 s[0:1], s[0:1], s[12:13]
	s_or_b64 exec, exec, s[8:9]
	s_and_saveexec_b64 s[8:9], s[0:1]
	s_cbranch_execnz .LBB234_52
	s_branch .LBB234_53
.LBB234_155:                            ;   in Loop: Header=BB234_41 Depth=1
	v_cmp_eq_u16_e32 vcc, s26, v4
	s_mov_b64 s[0:1], -1
                                        ; implicit-def: $sgpr14
	s_and_saveexec_b64 s[12:13], vcc
; %bb.156:                              ;   in Loop: Header=BB234_41 Depth=1
	s_mov_b32 s14, 0x7fc02000
	s_xor_b64 s[0:1], exec, -1
; %bb.157:                              ;   in Loop: Header=BB234_41 Depth=1
	s_or_b64 exec, exec, s[12:13]
	s_and_b64 s[0:1], s[0:1], exec
	s_or_saveexec_b64 s[8:9], s[8:9]
	v_mov_b32_e32 v19, s14
	s_xor_b64 exec, exec, s[8:9]
	s_cbranch_execz .LBB234_55
.LBB234_158:                            ;   in Loop: Header=BB234_41 Depth=1
	v_cmp_ne_u16_e32 vcc, 0, v4
	s_andn2_b64 s[0:1], s[0:1], exec
	s_and_b64 s[12:13], vcc, exec
	v_mov_b32_e32 v19, 0
	s_or_b64 s[0:1], s[0:1], s[12:13]
	s_or_b64 exec, exec, s[8:9]
	s_and_saveexec_b64 s[8:9], s[0:1]
	s_cbranch_execnz .LBB234_56
	s_branch .LBB234_57
.LBB234_159:                            ;   in Loop: Header=BB234_41 Depth=1
	v_cmp_eq_u16_sdwa s[34:35], v15, s26 src0_sel:BYTE_0 src1_sel:DWORD
	s_mov_b64 s[0:1], -1
                                        ; implicit-def: $sgpr14
	s_and_saveexec_b64 s[12:13], s[34:35]
; %bb.160:                              ;   in Loop: Header=BB234_41 Depth=1
	s_mov_b32 s14, 0x7fc02000
	s_xor_b64 s[0:1], exec, -1
; %bb.161:                              ;   in Loop: Header=BB234_41 Depth=1
	s_or_b64 exec, exec, s[12:13]
	s_and_b64 s[0:1], s[0:1], exec
	s_or_saveexec_b64 s[8:9], s[8:9]
	v_mov_b32_e32 v14, s14
	s_xor_b64 exec, exec, s[8:9]
	s_cbranch_execz .LBB234_59
.LBB234_162:                            ;   in Loop: Header=BB234_41 Depth=1
	v_cmp_ne_u16_sdwa s[12:13], v15, v5 src0_sel:BYTE_0 src1_sel:DWORD
	s_andn2_b64 s[0:1], s[0:1], exec
	s_and_b64 s[12:13], s[12:13], exec
	v_mov_b32_e32 v14, 0
	s_or_b64 s[0:1], s[0:1], s[12:13]
	s_or_b64 exec, exec, s[8:9]
	v_mov_b32_e32 v4, v15
	s_and_saveexec_b64 s[8:9], s[0:1]
	s_cbranch_execnz .LBB234_60
	s_branch .LBB234_61
.LBB234_163:                            ;   in Loop: Header=BB234_41 Depth=1
	v_cmp_eq_u16_e32 vcc, s26, v4
	s_mov_b64 s[0:1], -1
                                        ; implicit-def: $sgpr14
	s_and_saveexec_b64 s[12:13], vcc
; %bb.164:                              ;   in Loop: Header=BB234_41 Depth=1
	s_mov_b32 s14, 0x7fc02000
	s_xor_b64 s[0:1], exec, -1
; %bb.165:                              ;   in Loop: Header=BB234_41 Depth=1
	s_or_b64 exec, exec, s[12:13]
	s_and_b64 s[0:1], s[0:1], exec
	s_or_saveexec_b64 s[8:9], s[8:9]
	v_mov_b32_e32 v24, s14
	s_xor_b64 exec, exec, s[8:9]
	s_cbranch_execz .LBB234_63
.LBB234_166:                            ;   in Loop: Header=BB234_41 Depth=1
	v_cmp_ne_u16_e32 vcc, 0, v4
	s_andn2_b64 s[0:1], s[0:1], exec
	s_and_b64 s[12:13], vcc, exec
	v_mov_b32_e32 v24, 0
	s_or_b64 s[0:1], s[0:1], s[12:13]
	s_or_b64 exec, exec, s[8:9]
	s_and_saveexec_b64 s[8:9], s[0:1]
	s_cbranch_execnz .LBB234_64
	s_branch .LBB234_65
.LBB234_167:                            ;   in Loop: Header=BB234_41 Depth=1
	v_cmp_eq_u16_sdwa s[34:35], v4, s26 src0_sel:BYTE_0 src1_sel:DWORD
	s_mov_b64 s[0:1], -1
                                        ; implicit-def: $sgpr14
	s_and_saveexec_b64 s[12:13], s[34:35]
; %bb.168:                              ;   in Loop: Header=BB234_41 Depth=1
	s_mov_b32 s14, 0x7fc02000
	s_xor_b64 s[0:1], exec, -1
; %bb.169:                              ;   in Loop: Header=BB234_41 Depth=1
	s_or_b64 exec, exec, s[12:13]
	s_and_b64 s[0:1], s[0:1], exec
	s_or_saveexec_b64 s[8:9], s[8:9]
	v_mov_b32_e32 v25, s14
	s_xor_b64 exec, exec, s[8:9]
	s_cbranch_execz .LBB234_67
.LBB234_170:                            ;   in Loop: Header=BB234_41 Depth=1
	v_cmp_ne_u16_sdwa s[12:13], v4, v5 src0_sel:BYTE_0 src1_sel:DWORD
	s_andn2_b64 s[0:1], s[0:1], exec
	s_and_b64 s[12:13], s[12:13], exec
	v_mov_b32_e32 v25, 0
	s_or_b64 s[0:1], s[0:1], s[12:13]
	s_or_b64 exec, exec, s[8:9]
	s_and_saveexec_b64 s[8:9], s[0:1]
	s_cbranch_execnz .LBB234_68
	s_branch .LBB234_69
.LBB234_171:                            ;   in Loop: Header=BB234_41 Depth=1
	v_cmp_eq_u16_e32 vcc, s26, v4
	s_mov_b64 s[0:1], -1
                                        ; implicit-def: $sgpr14
	s_and_saveexec_b64 s[12:13], vcc
; %bb.172:                              ;   in Loop: Header=BB234_41 Depth=1
	s_mov_b32 s14, 0x7fc02000
	s_xor_b64 s[0:1], exec, -1
; %bb.173:                              ;   in Loop: Header=BB234_41 Depth=1
	s_or_b64 exec, exec, s[12:13]
	s_and_b64 s[0:1], s[0:1], exec
	s_or_saveexec_b64 s[8:9], s[8:9]
	v_mov_b32_e32 v26, s14
	s_xor_b64 exec, exec, s[8:9]
	s_cbranch_execz .LBB234_71
.LBB234_174:                            ;   in Loop: Header=BB234_41 Depth=1
	v_cmp_ne_u16_e32 vcc, 0, v4
	s_andn2_b64 s[0:1], s[0:1], exec
	s_and_b64 s[12:13], vcc, exec
	v_mov_b32_e32 v26, 0
	s_or_b64 s[0:1], s[0:1], s[12:13]
	s_or_b64 exec, exec, s[8:9]
	s_and_saveexec_b64 s[8:9], s[0:1]
	s_cbranch_execnz .LBB234_72
	s_branch .LBB234_73
.LBB234_175:                            ;   in Loop: Header=BB234_41 Depth=1
	v_cmp_eq_u16_sdwa s[34:35], v14, s26 src0_sel:BYTE_0 src1_sel:DWORD
	s_mov_b64 s[0:1], -1
                                        ; implicit-def: $sgpr14
	s_and_saveexec_b64 s[12:13], s[34:35]
; %bb.176:                              ;   in Loop: Header=BB234_41 Depth=1
	s_mov_b32 s14, 0x7fc02000
	s_xor_b64 s[0:1], exec, -1
; %bb.177:                              ;   in Loop: Header=BB234_41 Depth=1
	s_or_b64 exec, exec, s[12:13]
	s_and_b64 s[0:1], s[0:1], exec
	s_or_saveexec_b64 s[8:9], s[8:9]
	v_mov_b32_e32 v16, s14
	s_xor_b64 exec, exec, s[8:9]
	s_cbranch_execz .LBB234_77
.LBB234_178:                            ;   in Loop: Header=BB234_41 Depth=1
	v_cmp_ne_u16_sdwa s[12:13], v14, v5 src0_sel:BYTE_0 src1_sel:DWORD
	s_andn2_b64 s[0:1], s[0:1], exec
	s_and_b64 s[12:13], s[12:13], exec
	v_mov_b32_e32 v16, 0
	s_or_b64 s[0:1], s[0:1], s[12:13]
	s_or_b64 exec, exec, s[8:9]
	s_and_saveexec_b64 s[8:9], s[0:1]
	s_cbranch_execnz .LBB234_78
	s_branch .LBB234_79
.LBB234_179:                            ;   in Loop: Header=BB234_41 Depth=1
	v_cmp_eq_u16_e64 s[0:1], s26, v4
	s_mov_b64 s[8:9], -1
                                        ; implicit-def: $sgpr34
	s_and_saveexec_b64 s[14:15], s[0:1]
; %bb.180:                              ;   in Loop: Header=BB234_41 Depth=1
	s_mov_b32 s34, 0x7fc02000
	s_xor_b64 s[8:9], exec, -1
; %bb.181:                              ;   in Loop: Header=BB234_41 Depth=1
	s_or_b64 exec, exec, s[14:15]
	s_and_b64 s[8:9], s[8:9], exec
	s_or_saveexec_b64 s[12:13], s[12:13]
	v_mov_b32_e32 v18, s34
	s_xor_b64 exec, exec, s[12:13]
	s_cbranch_execz .LBB234_81
.LBB234_182:                            ;   in Loop: Header=BB234_41 Depth=1
	v_cmp_ne_u16_e64 s[0:1], 0, v4
	s_andn2_b64 s[8:9], s[8:9], exec
	s_and_b64 s[0:1], s[0:1], exec
	v_mov_b32_e32 v18, 0
	s_or_b64 s[8:9], s[8:9], s[0:1]
	s_or_b64 exec, exec, s[12:13]
	s_and_saveexec_b64 s[12:13], s[8:9]
	s_cbranch_execnz .LBB234_82
	s_branch .LBB234_83
.LBB234_183:                            ;   in Loop: Header=BB234_41 Depth=1
	v_cmp_eq_u16_sdwa s[34:35], v4, s26 src0_sel:BYTE_0 src1_sel:DWORD
	s_mov_b64 s[0:1], -1
                                        ; implicit-def: $sgpr14
	s_and_saveexec_b64 s[12:13], s[34:35]
; %bb.184:                              ;   in Loop: Header=BB234_41 Depth=1
	s_mov_b32 s14, 0x7fc02000
	s_xor_b64 s[0:1], exec, -1
; %bb.185:                              ;   in Loop: Header=BB234_41 Depth=1
	s_or_b64 exec, exec, s[12:13]
	s_and_b64 s[0:1], s[0:1], exec
	s_or_saveexec_b64 s[8:9], s[8:9]
	v_mov_b32_e32 v17, s14
	s_xor_b64 exec, exec, s[8:9]
	s_cbranch_execz .LBB234_85
.LBB234_186:                            ;   in Loop: Header=BB234_41 Depth=1
	v_cmp_ne_u16_sdwa s[12:13], v4, v5 src0_sel:BYTE_0 src1_sel:DWORD
	s_andn2_b64 s[0:1], s[0:1], exec
	s_and_b64 s[12:13], s[12:13], exec
	v_mov_b32_e32 v17, 0
	s_or_b64 s[0:1], s[0:1], s[12:13]
	s_or_b64 exec, exec, s[8:9]
	s_and_saveexec_b64 s[8:9], s[0:1]
	s_cbranch_execnz .LBB234_86
	s_branch .LBB234_87
.LBB234_187:                            ;   in Loop: Header=BB234_41 Depth=1
	v_cmp_eq_u16_e64 s[0:1], s26, v4
	s_mov_b64 s[8:9], -1
                                        ; implicit-def: $sgpr34
	s_and_saveexec_b64 s[14:15], s[0:1]
; %bb.188:                              ;   in Loop: Header=BB234_41 Depth=1
	s_mov_b32 s34, 0x7fc02000
	s_xor_b64 s[8:9], exec, -1
; %bb.189:                              ;   in Loop: Header=BB234_41 Depth=1
	s_or_b64 exec, exec, s[14:15]
	s_and_b64 s[8:9], s[8:9], exec
	s_or_saveexec_b64 s[12:13], s[12:13]
	v_mov_b32_e32 v19, s34
	s_xor_b64 exec, exec, s[12:13]
	s_cbranch_execz .LBB234_89
.LBB234_190:                            ;   in Loop: Header=BB234_41 Depth=1
	v_cmp_ne_u16_e64 s[0:1], 0, v4
	s_andn2_b64 s[8:9], s[8:9], exec
	s_and_b64 s[0:1], s[0:1], exec
	v_mov_b32_e32 v19, 0
	s_or_b64 s[8:9], s[8:9], s[0:1]
	s_or_b64 exec, exec, s[12:13]
	s_and_saveexec_b64 s[12:13], s[8:9]
	s_cbranch_execnz .LBB234_90
	s_branch .LBB234_91
.LBB234_191:                            ;   in Loop: Header=BB234_41 Depth=1
	v_cmp_eq_u16_sdwa s[34:35], v15, s26 src0_sel:BYTE_0 src1_sel:DWORD
	s_mov_b64 s[0:1], -1
                                        ; implicit-def: $sgpr14
	s_and_saveexec_b64 s[12:13], s[34:35]
; %bb.192:                              ;   in Loop: Header=BB234_41 Depth=1
	s_mov_b32 s14, 0x7fc02000
	s_xor_b64 s[0:1], exec, -1
; %bb.193:                              ;   in Loop: Header=BB234_41 Depth=1
	s_or_b64 exec, exec, s[12:13]
	s_and_b64 s[0:1], s[0:1], exec
	s_or_saveexec_b64 s[8:9], s[8:9]
	v_mov_b32_e32 v14, s14
	s_xor_b64 exec, exec, s[8:9]
	s_cbranch_execz .LBB234_93
.LBB234_194:                            ;   in Loop: Header=BB234_41 Depth=1
	v_cmp_ne_u16_sdwa s[12:13], v15, v5 src0_sel:BYTE_0 src1_sel:DWORD
	s_andn2_b64 s[0:1], s[0:1], exec
	s_and_b64 s[12:13], s[12:13], exec
	v_mov_b32_e32 v14, 0
	s_or_b64 s[0:1], s[0:1], s[12:13]
	s_or_b64 exec, exec, s[8:9]
	v_mov_b32_e32 v4, v15
	s_and_saveexec_b64 s[8:9], s[0:1]
	s_cbranch_execnz .LBB234_94
	s_branch .LBB234_95
.LBB234_195:                            ;   in Loop: Header=BB234_41 Depth=1
	v_cmp_eq_u16_e64 s[0:1], s26, v4
	s_mov_b64 s[8:9], -1
                                        ; implicit-def: $sgpr34
	s_and_saveexec_b64 s[14:15], s[0:1]
; %bb.196:                              ;   in Loop: Header=BB234_41 Depth=1
	s_mov_b32 s34, 0x7fc02000
	s_xor_b64 s[8:9], exec, -1
; %bb.197:                              ;   in Loop: Header=BB234_41 Depth=1
	s_or_b64 exec, exec, s[14:15]
	s_and_b64 s[8:9], s[8:9], exec
	s_or_saveexec_b64 s[12:13], s[12:13]
	v_mov_b32_e32 v37, s34
	s_xor_b64 exec, exec, s[12:13]
	s_cbranch_execz .LBB234_97
.LBB234_198:                            ;   in Loop: Header=BB234_41 Depth=1
	v_cmp_ne_u16_e64 s[0:1], 0, v4
	s_andn2_b64 s[8:9], s[8:9], exec
	s_and_b64 s[0:1], s[0:1], exec
	v_mov_b32_e32 v37, 0
	s_or_b64 s[8:9], s[8:9], s[0:1]
	s_or_b64 exec, exec, s[12:13]
	s_and_saveexec_b64 s[12:13], s[8:9]
	s_cbranch_execnz .LBB234_98
	s_branch .LBB234_99
.LBB234_199:                            ;   in Loop: Header=BB234_41 Depth=1
	v_cmp_eq_u16_sdwa s[34:35], v4, s26 src0_sel:BYTE_0 src1_sel:DWORD
	s_mov_b64 s[0:1], -1
                                        ; implicit-def: $sgpr14
	s_and_saveexec_b64 s[12:13], s[34:35]
; %bb.200:                              ;   in Loop: Header=BB234_41 Depth=1
	s_mov_b32 s14, 0x7fc02000
	s_xor_b64 s[0:1], exec, -1
; %bb.201:                              ;   in Loop: Header=BB234_41 Depth=1
	s_or_b64 exec, exec, s[12:13]
	s_and_b64 s[0:1], s[0:1], exec
	s_or_saveexec_b64 s[8:9], s[8:9]
	v_mov_b32_e32 v38, s14
	s_xor_b64 exec, exec, s[8:9]
	s_cbranch_execz .LBB234_101
.LBB234_202:                            ;   in Loop: Header=BB234_41 Depth=1
	v_cmp_ne_u16_sdwa s[12:13], v4, v5 src0_sel:BYTE_0 src1_sel:DWORD
	s_andn2_b64 s[0:1], s[0:1], exec
	s_and_b64 s[12:13], s[12:13], exec
	v_mov_b32_e32 v38, 0
	s_or_b64 s[0:1], s[0:1], s[12:13]
	s_or_b64 exec, exec, s[8:9]
	s_and_saveexec_b64 s[8:9], s[0:1]
	s_cbranch_execnz .LBB234_102
	s_branch .LBB234_103
.LBB234_203:                            ;   in Loop: Header=BB234_41 Depth=1
	v_cmp_eq_u16_e64 s[0:1], s26, v4
	s_mov_b64 s[8:9], -1
                                        ; implicit-def: $sgpr34
	s_and_saveexec_b64 s[14:15], s[0:1]
; %bb.204:                              ;   in Loop: Header=BB234_41 Depth=1
	s_mov_b32 s34, 0x7fc02000
	s_xor_b64 s[8:9], exec, -1
; %bb.205:                              ;   in Loop: Header=BB234_41 Depth=1
	s_or_b64 exec, exec, s[14:15]
	s_and_b64 s[8:9], s[8:9], exec
	s_or_saveexec_b64 s[12:13], s[12:13]
	v_mov_b32_e32 v39, s34
	s_xor_b64 exec, exec, s[12:13]
	s_cbranch_execz .LBB234_105
.LBB234_206:                            ;   in Loop: Header=BB234_41 Depth=1
	v_cmp_ne_u16_e64 s[0:1], 0, v4
	s_andn2_b64 s[8:9], s[8:9], exec
	s_and_b64 s[0:1], s[0:1], exec
	v_mov_b32_e32 v39, 0
	s_or_b64 s[8:9], s[8:9], s[0:1]
	s_or_b64 exec, exec, s[12:13]
	s_and_saveexec_b64 s[12:13], s[8:9]
	s_cbranch_execnz .LBB234_106
	s_branch .LBB234_107
.LBB234_207:                            ;   in Loop: Header=BB234_41 Depth=1
	v_cmp_eq_u16_sdwa s[34:35], v14, s26 src0_sel:BYTE_0 src1_sel:DWORD
	s_mov_b64 s[0:1], -1
                                        ; implicit-def: $sgpr14
	s_and_saveexec_b64 s[12:13], s[34:35]
; %bb.208:                              ;   in Loop: Header=BB234_41 Depth=1
	s_mov_b32 s14, 0x7fc02000
	s_xor_b64 s[0:1], exec, -1
; %bb.209:                              ;   in Loop: Header=BB234_41 Depth=1
	s_or_b64 exec, exec, s[12:13]
	s_and_b64 s[0:1], s[0:1], exec
	s_or_saveexec_b64 s[8:9], s[8:9]
	v_mov_b32_e32 v10, s14
	s_xor_b64 exec, exec, s[8:9]
	s_cbranch_execz .LBB234_111
.LBB234_210:                            ;   in Loop: Header=BB234_41 Depth=1
	v_cmp_ne_u16_sdwa s[12:13], v14, v5 src0_sel:BYTE_0 src1_sel:DWORD
	s_andn2_b64 s[0:1], s[0:1], exec
	s_and_b64 s[12:13], s[12:13], exec
	v_mov_b32_e32 v10, 0
	s_or_b64 s[0:1], s[0:1], s[12:13]
	s_or_b64 exec, exec, s[8:9]
	s_and_saveexec_b64 s[8:9], s[0:1]
	s_cbranch_execnz .LBB234_112
	s_branch .LBB234_113
.LBB234_211:                            ;   in Loop: Header=BB234_41 Depth=1
	v_cmp_eq_u16_e64 s[0:1], s26, v4
	s_mov_b64 s[8:9], -1
                                        ; implicit-def: $sgpr34
	s_and_saveexec_b64 s[14:15], s[0:1]
; %bb.212:                              ;   in Loop: Header=BB234_41 Depth=1
	s_mov_b32 s34, 0x7fc02000
	s_xor_b64 s[8:9], exec, -1
; %bb.213:                              ;   in Loop: Header=BB234_41 Depth=1
	s_or_b64 exec, exec, s[14:15]
	s_and_b64 s[8:9], s[8:9], exec
	s_or_saveexec_b64 s[12:13], s[12:13]
	v_mov_b32_e32 v16, s34
	s_xor_b64 exec, exec, s[12:13]
	s_cbranch_execz .LBB234_115
.LBB234_214:                            ;   in Loop: Header=BB234_41 Depth=1
	v_cmp_ne_u16_e64 s[0:1], 0, v4
	s_andn2_b64 s[8:9], s[8:9], exec
	s_and_b64 s[0:1], s[0:1], exec
	v_mov_b32_e32 v16, 0
	s_or_b64 s[8:9], s[8:9], s[0:1]
	s_or_b64 exec, exec, s[12:13]
	s_and_saveexec_b64 s[12:13], s[8:9]
	s_cbranch_execnz .LBB234_116
	s_branch .LBB234_117
.LBB234_215:                            ;   in Loop: Header=BB234_41 Depth=1
	v_cmp_eq_u16_sdwa s[34:35], v4, s26 src0_sel:BYTE_0 src1_sel:DWORD
	s_mov_b64 s[0:1], -1
                                        ; implicit-def: $sgpr14
	s_and_saveexec_b64 s[12:13], s[34:35]
; %bb.216:                              ;   in Loop: Header=BB234_41 Depth=1
	s_mov_b32 s14, 0x7fc02000
	s_xor_b64 s[0:1], exec, -1
; %bb.217:                              ;   in Loop: Header=BB234_41 Depth=1
	s_or_b64 exec, exec, s[12:13]
	s_and_b64 s[0:1], s[0:1], exec
	s_or_saveexec_b64 s[8:9], s[8:9]
	v_mov_b32_e32 v11, s14
	s_xor_b64 exec, exec, s[8:9]
	s_cbranch_execz .LBB234_119
.LBB234_218:                            ;   in Loop: Header=BB234_41 Depth=1
	v_cmp_ne_u16_sdwa s[12:13], v4, v5 src0_sel:BYTE_0 src1_sel:DWORD
	s_andn2_b64 s[0:1], s[0:1], exec
	s_and_b64 s[12:13], s[12:13], exec
	v_mov_b32_e32 v11, 0
	s_or_b64 s[0:1], s[0:1], s[12:13]
	s_or_b64 exec, exec, s[8:9]
	s_and_saveexec_b64 s[8:9], s[0:1]
	s_cbranch_execnz .LBB234_120
	s_branch .LBB234_121
.LBB234_219:                            ;   in Loop: Header=BB234_41 Depth=1
	v_cmp_eq_u16_e64 s[0:1], s26, v4
	s_mov_b64 s[8:9], -1
                                        ; implicit-def: $sgpr34
	s_and_saveexec_b64 s[14:15], s[0:1]
; %bb.220:                              ;   in Loop: Header=BB234_41 Depth=1
	s_mov_b32 s34, 0x7fc02000
	s_xor_b64 s[8:9], exec, -1
; %bb.221:                              ;   in Loop: Header=BB234_41 Depth=1
	s_or_b64 exec, exec, s[14:15]
	s_and_b64 s[8:9], s[8:9], exec
	s_or_saveexec_b64 s[12:13], s[12:13]
	v_mov_b32_e32 v17, s34
	s_xor_b64 exec, exec, s[12:13]
	s_cbranch_execz .LBB234_123
.LBB234_222:                            ;   in Loop: Header=BB234_41 Depth=1
	v_cmp_ne_u16_e64 s[0:1], 0, v4
	s_andn2_b64 s[8:9], s[8:9], exec
	s_and_b64 s[0:1], s[0:1], exec
	v_mov_b32_e32 v17, 0
	s_or_b64 s[8:9], s[8:9], s[0:1]
	s_or_b64 exec, exec, s[12:13]
	s_and_saveexec_b64 s[12:13], s[8:9]
	s_cbranch_execnz .LBB234_124
	s_branch .LBB234_125
.LBB234_223:                            ;   in Loop: Header=BB234_41 Depth=1
	v_cmp_eq_u16_sdwa s[34:35], v15, s26 src0_sel:BYTE_0 src1_sel:DWORD
	s_mov_b64 s[0:1], -1
                                        ; implicit-def: $sgpr14
	s_and_saveexec_b64 s[12:13], s[34:35]
; %bb.224:                              ;   in Loop: Header=BB234_41 Depth=1
	s_mov_b32 s14, 0x7fc02000
	s_xor_b64 s[0:1], exec, -1
; %bb.225:                              ;   in Loop: Header=BB234_41 Depth=1
	s_or_b64 exec, exec, s[12:13]
	s_and_b64 s[0:1], s[0:1], exec
	s_or_saveexec_b64 s[8:9], s[8:9]
	v_mov_b32_e32 v14, s14
	s_xor_b64 exec, exec, s[8:9]
	s_cbranch_execz .LBB234_127
.LBB234_226:                            ;   in Loop: Header=BB234_41 Depth=1
	v_cmp_ne_u16_sdwa s[12:13], v15, v5 src0_sel:BYTE_0 src1_sel:DWORD
	s_andn2_b64 s[0:1], s[0:1], exec
	s_and_b64 s[12:13], s[12:13], exec
	v_mov_b32_e32 v14, 0
	s_or_b64 s[0:1], s[0:1], s[12:13]
	s_or_b64 exec, exec, s[8:9]
	v_mov_b32_e32 v4, v15
	s_and_saveexec_b64 s[8:9], s[0:1]
	s_cbranch_execnz .LBB234_128
	s_branch .LBB234_129
.LBB234_227:                            ;   in Loop: Header=BB234_41 Depth=1
	v_cmp_eq_u16_e64 s[0:1], s26, v4
	s_mov_b64 s[8:9], -1
                                        ; implicit-def: $sgpr34
	s_and_saveexec_b64 s[14:15], s[0:1]
; %bb.228:                              ;   in Loop: Header=BB234_41 Depth=1
	s_mov_b32 s34, 0x7fc02000
	s_xor_b64 s[8:9], exec, -1
; %bb.229:                              ;   in Loop: Header=BB234_41 Depth=1
	s_or_b64 exec, exec, s[14:15]
	s_and_b64 s[8:9], s[8:9], exec
	s_or_saveexec_b64 s[12:13], s[12:13]
	v_mov_b32_e32 v37, s34
	s_xor_b64 exec, exec, s[12:13]
	s_cbranch_execz .LBB234_131
.LBB234_230:                            ;   in Loop: Header=BB234_41 Depth=1
	v_cmp_ne_u16_e64 s[0:1], 0, v4
	s_andn2_b64 s[8:9], s[8:9], exec
	s_and_b64 s[0:1], s[0:1], exec
	v_mov_b32_e32 v37, 0
	s_or_b64 s[8:9], s[8:9], s[0:1]
	s_or_b64 exec, exec, s[12:13]
	s_and_saveexec_b64 s[12:13], s[8:9]
	s_cbranch_execnz .LBB234_132
	s_branch .LBB234_133
.LBB234_231:                            ;   in Loop: Header=BB234_41 Depth=1
	v_cmp_eq_u16_sdwa s[34:35], v4, s26 src0_sel:BYTE_0 src1_sel:DWORD
	s_mov_b64 s[0:1], -1
                                        ; implicit-def: $sgpr14
	s_and_saveexec_b64 s[12:13], s[34:35]
; %bb.232:                              ;   in Loop: Header=BB234_41 Depth=1
	s_mov_b32 s14, 0x7fc02000
	s_xor_b64 s[0:1], exec, -1
; %bb.233:                              ;   in Loop: Header=BB234_41 Depth=1
	s_or_b64 exec, exec, s[12:13]
	s_and_b64 s[0:1], s[0:1], exec
	s_or_saveexec_b64 s[8:9], s[8:9]
	v_mov_b32_e32 v38, s14
	s_xor_b64 exec, exec, s[8:9]
	s_cbranch_execz .LBB234_135
.LBB234_234:                            ;   in Loop: Header=BB234_41 Depth=1
	v_cmp_ne_u16_sdwa s[12:13], v4, v5 src0_sel:BYTE_0 src1_sel:DWORD
	s_andn2_b64 s[0:1], s[0:1], exec
	s_and_b64 s[12:13], s[12:13], exec
	v_mov_b32_e32 v38, 0
	s_or_b64 s[0:1], s[0:1], s[12:13]
	s_or_b64 exec, exec, s[8:9]
	s_and_saveexec_b64 s[8:9], s[0:1]
	s_cbranch_execnz .LBB234_136
	s_branch .LBB234_137
.LBB234_235:                            ;   in Loop: Header=BB234_41 Depth=1
	v_cmp_eq_u16_e64 s[0:1], s26, v4
	s_mov_b64 s[8:9], -1
                                        ; implicit-def: $sgpr34
	s_and_saveexec_b64 s[14:15], s[0:1]
; %bb.236:                              ;   in Loop: Header=BB234_41 Depth=1
	s_mov_b32 s34, 0x7fc02000
	s_xor_b64 s[8:9], exec, -1
; %bb.237:                              ;   in Loop: Header=BB234_41 Depth=1
	s_or_b64 exec, exec, s[14:15]
	s_and_b64 s[8:9], s[8:9], exec
	s_or_saveexec_b64 s[12:13], s[12:13]
	v_mov_b32_e32 v39, s34
	s_xor_b64 exec, exec, s[12:13]
	s_cbranch_execz .LBB234_139
.LBB234_238:                            ;   in Loop: Header=BB234_41 Depth=1
	v_cmp_ne_u16_e64 s[0:1], 0, v4
	s_andn2_b64 s[8:9], s[8:9], exec
	s_and_b64 s[0:1], s[0:1], exec
	v_mov_b32_e32 v39, 0
	s_or_b64 s[8:9], s[8:9], s[0:1]
	s_or_b64 exec, exec, s[12:13]
	s_and_saveexec_b64 s[12:13], s[8:9]
	s_cbranch_execnz .LBB234_140
	s_branch .LBB234_141
.LBB234_239:
	s_or_b64 exec, exec, s[6:7]
.LBB234_240:
	s_or_b64 exec, exec, s[2:3]
	v_and_b32_e32 v1, 0x3c0, v0
	v_cmp_eq_u32_e32 vcc, 64, v1
	s_barrier
	s_and_saveexec_b64 s[0:1], vcc
	s_cbranch_execz .LBB234_242
; %bb.241:
	v_mov_b32_e32 v1, 0x190
	v_lshl_add_u32 v4, v13, 2, v1
	v_lshl_add_u32 v1, v0, 2, v1
	ds_write_b32 v4, v2
	ds_write_b32 v1, v3
	ds_write_b32 v4, v20 offset:512
.LBB234_242:
	s_or_b64 exec, exec, s[0:1]
	v_cmp_gt_u32_e32 vcc, 64, v0
	s_waitcnt lgkmcnt(0)
	s_barrier
	s_and_saveexec_b64 s[0:1], vcc
	s_cbranch_execz .LBB234_244
; %bb.243:
	v_mov_b32_e32 v1, 0x190
	v_lshl_add_u32 v1, v0, 2, v1
	ds_read2st64_b32 v[4:5], v1 offset1:1
	ds_read_b32 v1, v1 offset:512
	s_waitcnt lgkmcnt(1)
	v_pk_add_f32 v[2:3], v[2:3], v[4:5]
	s_waitcnt lgkmcnt(0)
	v_add_f32_e32 v20, v20, v1
.LBB234_244:
	s_or_b64 exec, exec, s[0:1]
	s_barrier
	s_and_saveexec_b64 s[0:1], vcc
	s_cbranch_execz .LBB234_246
; %bb.245:
	s_mul_i32 s0, s20, s21
	s_mul_i32 s0, s0, s5
	s_mulk_i32 s0, 0xc0
	s_ashr_i32 s1, s0, 31
	s_lshl_b64 s[0:1], s[0:1], 1
	s_add_u32 s2, s22, s0
	s_mul_i32 s0, s21, s24
	s_addc_u32 s3, s23, s1
	s_ashr_i32 s1, s0, 31
	s_lshl_b64 s[0:1], s[0:1], 1
	s_add_u32 s2, s2, s0
	s_mul_i32 s0, s4, 0xc0
	s_addc_u32 s3, s3, s1
	s_ashr_i32 s1, s0, 31
	s_lshl_b64 s[0:1], s[0:1], 1
	s_add_u32 s0, s2, s0
	s_addc_u32 s1, s3, s1
	v_lshlrev_b32_e32 v0, 1, v0
	;;#ASMSTART
	v_cvt_f16_f32 v1, v2;

	;;#ASMEND
	global_store_short v0, v1, s[0:1]
	;;#ASMSTART
	v_cvt_f16_f32 v1, v3;

	;;#ASMEND
	global_store_short v0, v1, s[0:1] offset:128
	;;#ASMSTART
	v_cvt_f16_f32 v1, v20;

	;;#ASMEND
	global_store_short v0, v1, s[0:1] offset:256
.LBB234_246:
	s_endpgm
	.section	.rodata,"a",@progbits
	.p2align	6, 0x0
	.amdhsa_kernel _ZN4vllm25paged_attention_v1_kernelIthLi192ELi8ELi128ELNS_18Fp8KVCacheDataTypeE1ELb0EEEvPT_PKS2_PKT0_S8_ifPKiSA_iPKfiiiSC_SC_iiiii
		.amdhsa_group_segment_fixed_size 400
		.amdhsa_private_segment_fixed_size 0
		.amdhsa_kernarg_size 384
		.amdhsa_user_sgpr_count 2
		.amdhsa_user_sgpr_dispatch_ptr 0
		.amdhsa_user_sgpr_queue_ptr 0
		.amdhsa_user_sgpr_kernarg_segment_ptr 1
		.amdhsa_user_sgpr_dispatch_id 0
		.amdhsa_user_sgpr_kernarg_preload_length 0
		.amdhsa_user_sgpr_kernarg_preload_offset 0
		.amdhsa_user_sgpr_private_segment_size 0
		.amdhsa_uses_dynamic_stack 0
		.amdhsa_enable_private_segment 0
		.amdhsa_system_sgpr_workgroup_id_x 1
		.amdhsa_system_sgpr_workgroup_id_y 1
		.amdhsa_system_sgpr_workgroup_id_z 1
		.amdhsa_system_sgpr_workgroup_info 0
		.amdhsa_system_vgpr_workitem_id 0
		.amdhsa_next_free_vgpr 63
		.amdhsa_next_free_sgpr 38
		.amdhsa_accum_offset 64
		.amdhsa_reserve_vcc 1
		.amdhsa_float_round_mode_32 0
		.amdhsa_float_round_mode_16_64 0
		.amdhsa_float_denorm_mode_32 3
		.amdhsa_float_denorm_mode_16_64 3
		.amdhsa_dx10_clamp 1
		.amdhsa_ieee_mode 1
		.amdhsa_fp16_overflow 0
		.amdhsa_tg_split 0
		.amdhsa_exception_fp_ieee_invalid_op 0
		.amdhsa_exception_fp_denorm_src 0
		.amdhsa_exception_fp_ieee_div_zero 0
		.amdhsa_exception_fp_ieee_overflow 0
		.amdhsa_exception_fp_ieee_underflow 0
		.amdhsa_exception_fp_ieee_inexact 0
		.amdhsa_exception_int_div_zero 0
	.end_amdhsa_kernel
	.section	.text._ZN4vllm25paged_attention_v1_kernelIthLi192ELi8ELi128ELNS_18Fp8KVCacheDataTypeE1ELb0EEEvPT_PKS2_PKT0_S8_ifPKiSA_iPKfiiiSC_SC_iiiii,"axG",@progbits,_ZN4vllm25paged_attention_v1_kernelIthLi192ELi8ELi128ELNS_18Fp8KVCacheDataTypeE1ELb0EEEvPT_PKS2_PKT0_S8_ifPKiSA_iPKfiiiSC_SC_iiiii,comdat
.Lfunc_end234:
	.size	_ZN4vllm25paged_attention_v1_kernelIthLi192ELi8ELi128ELNS_18Fp8KVCacheDataTypeE1ELb0EEEvPT_PKS2_PKT0_S8_ifPKiSA_iPKfiiiSC_SC_iiiii, .Lfunc_end234-_ZN4vllm25paged_attention_v1_kernelIthLi192ELi8ELi128ELNS_18Fp8KVCacheDataTypeE1ELb0EEEvPT_PKS2_PKT0_S8_ifPKiSA_iPKfiiiSC_SC_iiiii
                                        ; -- End function
	.section	.AMDGPU.csdata,"",@progbits
; Kernel info:
; codeLenInByte = 12016
; NumSgprs: 44
; NumVgprs: 63
; NumAgprs: 0
; TotalNumVgprs: 63
; ScratchSize: 0
; MemoryBound: 0
; FloatMode: 240
; IeeeMode: 1
; LDSByteSize: 400 bytes/workgroup (compile time only)
; SGPRBlocks: 5
; VGPRBlocks: 7
; NumSGPRsForWavesPerEU: 44
; NumVGPRsForWavesPerEU: 63
; AccumOffset: 64
; Occupancy: 8
; WaveLimiterHint : 1
; COMPUTE_PGM_RSRC2:SCRATCH_EN: 0
; COMPUTE_PGM_RSRC2:USER_SGPR: 2
; COMPUTE_PGM_RSRC2:TRAP_HANDLER: 0
; COMPUTE_PGM_RSRC2:TGID_X_EN: 1
; COMPUTE_PGM_RSRC2:TGID_Y_EN: 1
; COMPUTE_PGM_RSRC2:TGID_Z_EN: 1
; COMPUTE_PGM_RSRC2:TIDIG_COMP_CNT: 0
; COMPUTE_PGM_RSRC3_GFX90A:ACCUM_OFFSET: 15
; COMPUTE_PGM_RSRC3_GFX90A:TG_SPLIT: 0
	.section	.text._ZN4vllm25paged_attention_v1_kernelIthLi256ELi8ELi128ELNS_18Fp8KVCacheDataTypeE1ELb0EEEvPT_PKS2_PKT0_S8_ifPKiSA_iPKfiiiSC_SC_iiiii,"axG",@progbits,_ZN4vllm25paged_attention_v1_kernelIthLi256ELi8ELi128ELNS_18Fp8KVCacheDataTypeE1ELb0EEEvPT_PKS2_PKT0_S8_ifPKiSA_iPKfiiiSC_SC_iiiii,comdat
	.protected	_ZN4vllm25paged_attention_v1_kernelIthLi256ELi8ELi128ELNS_18Fp8KVCacheDataTypeE1ELb0EEEvPT_PKS2_PKT0_S8_ifPKiSA_iPKfiiiSC_SC_iiiii ; -- Begin function _ZN4vllm25paged_attention_v1_kernelIthLi256ELi8ELi128ELNS_18Fp8KVCacheDataTypeE1ELb0EEEvPT_PKS2_PKT0_S8_ifPKiSA_iPKfiiiSC_SC_iiiii
	.globl	_ZN4vllm25paged_attention_v1_kernelIthLi256ELi8ELi128ELNS_18Fp8KVCacheDataTypeE1ELb0EEEvPT_PKS2_PKT0_S8_ifPKiSA_iPKfiiiSC_SC_iiiii
	.p2align	8
	.type	_ZN4vllm25paged_attention_v1_kernelIthLi256ELi8ELi128ELNS_18Fp8KVCacheDataTypeE1ELb0EEEvPT_PKS2_PKT0_S8_ifPKiSA_iPKfiiiSC_SC_iiiii,@function
_ZN4vllm25paged_attention_v1_kernelIthLi256ELi8ELi128ELNS_18Fp8KVCacheDataTypeE1ELb0EEEvPT_PKS2_PKT0_S8_ifPKiSA_iPKfiiiSC_SC_iiiii: ; @_ZN4vllm25paged_attention_v1_kernelIthLi256ELi8ELi128ELNS_18Fp8KVCacheDataTypeE1ELb0EEEvPT_PKS2_PKT0_S8_ifPKiSA_iPKfiiiSC_SC_iiiii
; %bb.0:
	s_load_dword s5, s[0:1], 0x80
	s_load_dwordx2 s[6:7], s[0:1], 0x30
	s_load_dwordx2 s[30:31], s[0:1], 0x20
	s_mov_b32 s20, s3
	s_ashr_i32 s21, s3, 31
	s_lshl_b64 s[8:9], s[20:21], 2
	s_waitcnt lgkmcnt(0)
	s_add_u32 s6, s6, s8
	s_addc_u32 s7, s7, s9
	s_abs_i32 s3, s30
	v_cvt_f32_u32_e32 v1, s3
	s_sub_i32 s10, 0, s3
	s_abs_i32 s9, s5
	s_xor_b32 s8, s5, s30
	v_rcp_iflag_f32_e32 v1, v1
	s_ashr_i32 s8, s8, 31
	s_mov_b32 s33, 0
	v_mul_f32_e32 v1, 0x4f7ffffe, v1
	v_cvt_u32_f32_e32 v1, v1
	s_nop 0
	v_readfirstlane_b32 s11, v1
	s_mul_i32 s10, s10, s11
	s_mul_hi_u32 s10, s11, s10
	s_add_i32 s11, s11, s10
	s_mul_hi_u32 s10, s9, s11
	s_mul_i32 s11, s10, s3
	s_sub_i32 s9, s9, s11
	s_add_i32 s11, s10, 1
	s_sub_i32 s12, s9, s3
	s_cmp_ge_u32 s9, s3
	s_cselect_b32 s10, s11, s10
	s_cselect_b32 s9, s12, s9
	s_add_i32 s11, s10, 1
	s_cmp_ge_u32 s9, s3
	s_cselect_b32 s3, s11, s10
	s_xor_b32 s3, s3, s8
	s_sub_i32 s34, s3, s8
	s_abs_i32 s28, s34
	v_cvt_f32_u32_e32 v1, s28
	s_load_dwordx2 s[8:9], s[0:1], 0x40
	s_sub_i32 s3, 0, s28
	s_abs_i32 s29, s2
	v_rcp_iflag_f32_e32 v1, v1
	s_nop 0
	v_mul_f32_e32 v1, 0x4f7ffffe, v1
	v_cvt_u32_f32_e32 v1, v1
	s_nop 0
	v_readfirstlane_b32 s10, v1
	s_mul_i32 s3, s3, s10
	s_mul_hi_u32 s3, s10, s3
	s_add_i32 s10, s10, s3
	s_waitcnt lgkmcnt(0)
	s_cmp_eq_u64 s[8:9], 0
	s_cbranch_scc1 .LBB235_2
; %bb.1:
	s_ashr_i32 s3, s2, 31
	s_lshl_b64 s[12:13], s[2:3], 2
	s_add_u32 s8, s8, s12
	s_addc_u32 s9, s9, s13
	s_load_dword s33, s[8:9], 0x0
.LBB235_2:
	s_load_dwordx2 s[22:23], s[0:1], 0x0
	s_load_dwordx4 s[12:15], s[0:1], 0x10
	s_load_dword s21, s[0:1], 0x88
	s_load_dword s30, s[6:7], 0x0
	s_load_dwordx2 s[26:27], s[0:1], 0x28
	s_load_dwordx4 s[16:19], s[0:1], 0x48
	s_lshl_b32 s24, s2, 8
	s_movk_i32 s6, 0x100
	s_mul_hi_u32 s3, s29, s10
	v_and_b32_e32 v2, 7, v0
	s_ashr_i32 s25, s24, 31
	v_cmp_gt_u32_e32 vcc, s6, v0
	s_and_saveexec_b64 s[6:7], vcc
	s_cbranch_execz .LBB235_5
; %bb.3:
	s_load_dwordx2 s[8:9], s[0:1], 0x8
	s_waitcnt lgkmcnt(0)
	s_mul_i32 s10, s20, s16
	s_ashr_i32 s11, s10, 31
	s_lshl_b64 s[10:11], s[10:11], 1
	s_lshl_b64 s[36:37], s[24:25], 1
	s_add_u32 s10, s10, s36
	s_addc_u32 s11, s11, s37
	v_lshrrev_b32_e32 v4, 3, v0
	v_lshlrev_b32_e32 v5, 1, v2
	s_add_u32 s8, s8, s10
	v_add_u32_e32 v1, -16, v4
	v_lshlrev_b32_e32 v3, 1, v4
	v_lshl_or_b32 v4, v4, 4, v5
	v_mov_b32_e32 v5, 0
	s_addc_u32 s9, s9, s11
	v_lshl_add_u32 v3, v2, 6, v3
	v_lshl_add_u64 v[4:5], s[8:9], 0, v[4:5]
	s_mov_b64 s[8:9], 0
	s_mov_b64 s[10:11], 0x100
.LBB235_4:                              ; =>This Inner Loop Header: Depth=1
	global_load_ushort v6, v[4:5], off
	v_add_co_u32_e32 v1, vcc, 16, v1
	s_xor_b64 s[36:37], vcc, -1
	s_and_b64 s[36:37], exec, s[36:37]
	v_lshl_add_u64 v[4:5], v[4:5], 0, s[10:11]
	s_or_b64 s[8:9], s[36:37], s[8:9]
	s_waitcnt vmcnt(0)
	ds_write_b16 v3, v6
	v_add_u32_e32 v3, 32, v3
	s_andn2_b64 exec, exec, s[8:9]
	s_cbranch_execnz .LBB235_4
.LBB235_5:
	s_or_b64 exec, exec, s[6:7]
	s_waitcnt lgkmcnt(0)
	s_add_i32 s8, s30, 7
	s_ashr_i32 s2, s2, 31
	s_ashr_i32 s6, s34, 31
	;; [unrolled: 1-line block ×3, first 2 shown]
	s_lshr_b32 s9, s9, 29
	s_xor_b32 s2, s2, s6
	s_mul_i32 s6, s3, s28
	s_add_i32 s8, s8, s9
	s_sub_i32 s6, s29, s6
	s_ashr_i32 s16, s8, 3
	s_add_i32 s8, s3, 1
	s_sub_i32 s9, s6, s28
	s_load_dword s7, s[0:1], 0x38
	s_cmp_ge_u32 s6, s28
	s_cselect_b32 s3, s8, s3
	s_cselect_b32 s6, s9, s6
	s_add_i32 s8, s3, 1
	s_cmp_ge_u32 s6, s28
	s_cselect_b32 s3, s8, s3
	v_lshrrev_b32_e32 v1, 6, v0
	s_xor_b32 s3, s3, s2
	s_waitcnt lgkmcnt(0)
	s_mul_i32 s28, s20, s7
	s_sub_i32 s25, s3, s2
	s_ashr_i32 s29, s28, 31
	v_cmp_gt_i32_e64 s[6:7], s16, v1
	v_cmp_le_i32_e32 vcc, s16, v1
	v_mbcnt_lo_u32_b32 v8, -1, 0
	s_barrier
	s_waitcnt lgkmcnt(0)
                                        ; implicit-def: $sgpr19
                                        ; implicit-def: $vgpr11
                                        ; implicit-def: $vgpr12
	s_and_saveexec_b64 s[2:3], vcc
	s_xor_b64 s[2:3], exec, s[2:3]
; %bb.6:
	v_mbcnt_hi_u32_b32 v11, -1, v8
	v_and_b32_e32 v2, 64, v11
	v_add_u32_e32 v12, 64, v2
	s_mov_b32 s19, 0xff7fffff
                                        ; implicit-def: $vgpr2
                                        ; implicit-def: $vgpr8
; %bb.7:
	s_or_saveexec_b64 s[34:35], s[2:3]
	s_load_dwordx4 s[8:11], s[0:1], 0x58
	v_mov_b32_e32 v13, s19
	s_mul_i32 s25, s25, s18
	v_lshrrev_b32_e32 v10, 4, v0
	s_xor_b64 exec, exec, s[34:35]
	s_cbranch_execz .LBB235_13
; %bb.8:
	s_ashr_i32 s1, s25, 31
	v_bfe_u32 v6, v0, 3, 3
	s_add_u32 s0, s12, s25
	v_mov_b32_e32 v3, 0
	s_addc_u32 s1, s13, s1
	v_lshlrev_b32_e32 v4, 4, v6
	v_mov_b32_e32 v5, v3
	v_lshl_add_u64 v[4:5], s[0:1], 0, v[4:5]
	s_sub_i32 s37, 1, s30
	v_lshl_or_b32 v15, v1, 3, v6
	v_lshlrev_b32_e32 v6, 2, v6
	s_lshl_b64 s[0:1], s[28:29], 2
	v_lshl_or_b32 v6, v1, 5, v6
	s_add_u32 s0, s26, s0
	v_mbcnt_hi_u32_b32 v11, -1, v8
	v_add_u32_e32 v16, 0x210, v6
	v_and_b32_e32 v6, 60, v10
	v_mov_b32_e32 v7, v3
	s_addc_u32 s1, s27, s1
	v_and_b32_e32 v8, 64, v11
	s_mov_b32 s36, s17
	v_lshlrev_b32_e32 v14, 6, v2
	v_cmp_eq_u32_e32 vcc, 0, v2
	v_cmp_neq_f32_e64 s[2:3], s33, 0
	v_lshl_add_u64 v[6:7], s[0:1], 0, v[6:7]
	s_mov_b64 s[12:13], 0
	v_mov_b32_e32 v13, 0xff7fffff
	v_add_u32_e32 v12, 64, v8
	v_xor_b32_e32 v17, 4, v11
	v_xor_b32_e32 v18, 2, v11
	;; [unrolled: 1-line block ×3, first 2 shown]
	v_mov_b32_e32 v20, v1
	s_branch .LBB235_10
.LBB235_9:                              ;   in Loop: Header=BB235_10 Depth=1
	s_or_b64 exec, exec, s[18:19]
	v_add_u32_e32 v20, 2, v20
	v_cmp_le_i32_e64 s[0:1], s16, v20
	v_add_u32_e32 v15, 16, v15
	v_add_u32_e32 v16, 64, v16
	s_or_b64 s[12:13], s[0:1], s[12:13]
	v_lshl_add_u64 v[6:7], v[6:7], 0, 8
	s_andn2_b64 exec, exec, s[12:13]
	s_cbranch_execz .LBB235_12
.LBB235_10:                             ; =>This Inner Loop Header: Depth=1
	global_load_dword v8, v[6:7], off
	s_waitcnt vmcnt(0) lgkmcnt(0)
	v_mad_i64_i32 v[8:9], s[0:1], v8, s36, v[4:5]
	v_lshl_add_u64 v[8:9], v[8:9], 0, v[2:3]
	global_load_ubyte v37, v[8:9], off
	global_load_ubyte v40, v[8:9], off offset:8
	global_load_ubyte v39, v[8:9], off offset:128
	;; [unrolled: 1-line block ×4, first 2 shown]
	s_waitcnt lgkmcnt(0)
	global_load_dword v21, v3, s[8:9]
	global_load_ubyte v36, v[8:9], off offset:264
	global_load_ubyte v35, v[8:9], off offset:384
	;; [unrolled: 1-line block ×16, first 2 shown]
	ds_read_u16 v44, v14
	global_load_ubyte v45, v[8:9], off offset:1288
	global_load_ubyte v46, v[8:9], off offset:1408
	;; [unrolled: 1-line block ×11, first 2 shown]
	s_waitcnt lgkmcnt(0)
	;;#ASMSTART
	v_cvt_f32_f16 v9, v44;
	;;#ASMEND
	v_cmp_lt_i32_e64 s[0:1], v17, v12
	s_waitcnt vmcnt(32)
	v_cvt_f32_fp8_sdwa v8, v37 src0_sel:BYTE_0
	s_waitcnt vmcnt(31)
	v_cvt_f32_fp8_sdwa v37, v40 src0_sel:BYTE_0
	;; [unrolled: 2-line block ×5, first 2 shown]
	s_waitcnt vmcnt(27)
	v_fma_mixlo_f16 v8, v21, v8, 0
	v_and_b32_e32 v8, 0xffff, v8
	;;#ASMSTART
	v_cvt_f32_f16 v41, v8;
	;;#ASMEND
	ds_read_u16 v8, v14 offset:2
	v_fma_mixlo_f16 v37, v21, v37, 0
	s_waitcnt vmcnt(26)
	v_cvt_f32_fp8_sdwa v36, v36 src0_sel:BYTE_0
	v_and_b32_e32 v37, 0xffff, v37
	s_waitcnt lgkmcnt(0)
	;;#ASMSTART
	v_cvt_f32_f16 v8, v8;
	;;#ASMEND
	s_waitcnt vmcnt(25)
	v_cvt_f32_fp8_sdwa v35, v35 src0_sel:BYTE_0
	;;#ASMSTART
	v_cvt_f32_f16 v37, v37;
	;;#ASMEND
	v_fma_mixlo_f16 v39, v21, v39, 0
	v_mul_f32_e32 v8, v8, v37
	ds_read_u16 v44, v14 offset:4
	s_waitcnt vmcnt(24)
	v_cvt_f32_fp8_sdwa v34, v34 src0_sel:BYTE_0
	v_and_b32_e32 v39, 0xffff, v39
	v_fma_mixlo_f16 v40, v21, v40, 0
	v_fmac_f32_e32 v8, v9, v41
	s_waitcnt vmcnt(23)
	v_cvt_f32_fp8_sdwa v33, v33 src0_sel:BYTE_0
	s_waitcnt lgkmcnt(0)
	;;#ASMSTART
	v_cvt_f32_f16 v44, v44;
	;;#ASMEND
	;;#ASMSTART
	v_cvt_f32_f16 v39, v39;
	;;#ASMEND
	ds_read_u16 v55, v14 offset:6
	v_and_b32_e32 v40, 0xffff, v40
	v_fma_mixlo_f16 v38, v21, v38, 0
	v_fmac_f32_e32 v8, v44, v39
	s_waitcnt vmcnt(22)
	v_cvt_f32_fp8_sdwa v32, v32 src0_sel:BYTE_0
	s_waitcnt lgkmcnt(0)
	;;#ASMSTART
	v_cvt_f32_f16 v55, v55;
	;;#ASMEND
	;;#ASMSTART
	v_cvt_f32_f16 v40, v40;
	;;#ASMEND
	ds_read_u16 v56, v14 offset:8
	;; [unrolled: 13-line block ×4, first 2 shown]
	v_and_b32_e32 v35, 0xffff, v35
	v_fma_mixlo_f16 v34, v21, v34, 0
	v_fmac_f32_e32 v8, v57, v36
	s_waitcnt vmcnt(19)
	v_cvt_f32_fp8_sdwa v29, v29 src0_sel:BYTE_0
	s_waitcnt lgkmcnt(0)
	;;#ASMSTART
	v_cvt_f32_f16 v58, v58;
	;;#ASMEND
	;;#ASMSTART
	v_cvt_f32_f16 v35, v35;
	;;#ASMEND
	v_and_b32_e32 v34, 0xffff, v34
	v_fma_mixlo_f16 v33, v21, v33, 0
	v_fmac_f32_e32 v8, v58, v35
	s_waitcnt vmcnt(18)
	v_cvt_f32_fp8_sdwa v28, v28 src0_sel:BYTE_0
	ds_read_u16 v59, v14 offset:14
	s_waitcnt lgkmcnt(0)
	;;#ASMSTART
	v_cvt_f32_f16 v37, v59;
	;;#ASMEND
	;;#ASMSTART
	v_cvt_f32_f16 v34, v34;
	;;#ASMEND
	v_and_b32_e32 v33, 0xffff, v33
	v_fma_mixlo_f16 v32, v21, v32, 0
	v_fmac_f32_e32 v8, v37, v34
	s_waitcnt vmcnt(17)
	v_cvt_f32_fp8_sdwa v27, v27 src0_sel:BYTE_0
	ds_read_u16 v59, v14 offset:16
	s_waitcnt lgkmcnt(0)
	;;#ASMSTART
	v_cvt_f32_f16 v9, v59;
	;;#ASMEND
	;;#ASMSTART
	v_cvt_f32_f16 v33, v33;
	;;#ASMEND
	ds_read_u16 v41, v14 offset:18
	v_and_b32_e32 v32, 0xffff, v32
	v_fma_mixlo_f16 v31, v21, v31, 0
	v_fmac_f32_e32 v8, v9, v33
	s_waitcnt vmcnt(16)
	v_cvt_f32_fp8_sdwa v26, v26 src0_sel:BYTE_0
	s_waitcnt lgkmcnt(0)
	;;#ASMSTART
	v_cvt_f32_f16 v41, v41;
	;;#ASMEND
	;;#ASMSTART
	v_cvt_f32_f16 v32, v32;
	;;#ASMEND
	v_and_b32_e32 v31, 0xffff, v31
	v_fma_mixlo_f16 v30, v21, v30, 0
	v_fmac_f32_e32 v8, v41, v32
	s_waitcnt vmcnt(15)
	v_cvt_f32_fp8_sdwa v25, v25 src0_sel:BYTE_0
	ds_read_u16 v59, v14 offset:20
	s_waitcnt lgkmcnt(0)
	;;#ASMSTART
	v_cvt_f32_f16 v39, v59;
	;;#ASMEND
	;;#ASMSTART
	v_cvt_f32_f16 v31, v31;
	;;#ASMEND
	ds_read_u16 v44, v14 offset:22
	v_and_b32_e32 v30, 0xffff, v30
	v_fma_mixlo_f16 v29, v21, v29, 0
	v_fmac_f32_e32 v8, v39, v31
	s_waitcnt vmcnt(14)
	v_cvt_f32_fp8_sdwa v24, v24 src0_sel:BYTE_0
	;; [unrolled: 26-line block ×4, first 2 shown]
	s_waitcnt lgkmcnt(0)
	;;#ASMSTART
	v_cvt_f32_f16 v56, v56;
	;;#ASMEND
	;;#ASMSTART
	v_cvt_f32_f16 v26, v26;
	;;#ASMEND
	v_and_b32_e32 v25, 0xffff, v25
	v_fma_mixlo_f16 v24, v21, v24, 0
	v_fmac_f32_e32 v8, v56, v26
	s_waitcnt vmcnt(9)
	v_cvt_f32_fp8_sdwa v46, v46 src0_sel:BYTE_0
	ds_read_u16 v59, v14 offset:32
	s_waitcnt lgkmcnt(0)
	;;#ASMSTART
	v_cvt_f32_f16 v36, v59;
	;;#ASMEND
	;;#ASMSTART
	v_cvt_f32_f16 v25, v25;
	;;#ASMEND
	ds_read_u16 v57, v14 offset:34
	v_fma_mixlo_f16 v23, v21, v23, 0
	v_and_b32_e32 v24, 0xffff, v24
	v_fmac_f32_e32 v8, v36, v25
	s_waitcnt vmcnt(8)
	v_cvt_f32_fp8_sdwa v47, v47 src0_sel:BYTE_0
	s_waitcnt vmcnt(7)
	v_cvt_f32_fp8_sdwa v48, v48 src0_sel:BYTE_0
	s_waitcnt vmcnt(6)
	v_cvt_f32_fp8_sdwa v49, v49 src0_sel:BYTE_0
	s_waitcnt vmcnt(5)
	v_cvt_f32_fp8_sdwa v50, v50 src0_sel:BYTE_0
	s_waitcnt vmcnt(4)
	v_cvt_f32_fp8_sdwa v51, v51 src0_sel:BYTE_0
	s_waitcnt vmcnt(3)
	v_cvt_f32_fp8_sdwa v52, v52 src0_sel:BYTE_0
	s_waitcnt vmcnt(2)
	v_cvt_f32_fp8_sdwa v53, v53 src0_sel:BYTE_0
	s_waitcnt vmcnt(1)
	v_cvt_f32_fp8_sdwa v54, v54 src0_sel:BYTE_0
	s_waitcnt vmcnt(0)
	v_cvt_f32_fp8_sdwa v42, v42 src0_sel:BYTE_0
	s_waitcnt lgkmcnt(0)
	;;#ASMSTART
	v_cvt_f32_f16 v57, v57;
	;;#ASMEND
	;;#ASMSTART
	v_cvt_f32_f16 v24, v24;
	;;#ASMEND
	v_fma_mixlo_f16 v22, v21, v22, 0
	v_and_b32_e32 v23, 0xffff, v23
	v_fmac_f32_e32 v8, v57, v24
	ds_read_u16 v59, v14 offset:36
	v_fma_mixlo_f16 v43, v21, v43, 0
	s_waitcnt lgkmcnt(0)
	;;#ASMSTART
	v_cvt_f32_f16 v35, v59;
	;;#ASMEND
	;;#ASMSTART
	v_cvt_f32_f16 v23, v23;
	;;#ASMEND
	ds_read_u16 v58, v14 offset:38
	v_and_b32_e32 v22, 0xffff, v22
	v_fmac_f32_e32 v8, v35, v23
	v_fma_mixlo_f16 v45, v21, v45, 0
	s_waitcnt lgkmcnt(0)
	;;#ASMSTART
	v_cvt_f32_f16 v58, v58;
	;;#ASMEND
	;;#ASMSTART
	v_cvt_f32_f16 v22, v22;
	;;#ASMEND
	v_and_b32_e32 v43, 0xffff, v43
	v_fmac_f32_e32 v8, v58, v22
	v_fma_mixlo_f16 v46, v21, v46, 0
	ds_read_u16 v59, v14 offset:40
	s_waitcnt lgkmcnt(0)
	;;#ASMSTART
	v_cvt_f32_f16 v34, v59;
	;;#ASMEND
	;;#ASMSTART
	v_cvt_f32_f16 v37, v43;
	;;#ASMEND
	ds_read_u16 v43, v14 offset:42
	v_and_b32_e32 v45, 0xffff, v45
	v_fmac_f32_e32 v8, v34, v37
	v_fma_mixlo_f16 v47, v21, v47, 0
	v_fma_mixlo_f16 v48, v21, v48, 0
	;; [unrolled: 1-line block ×6, first 2 shown]
	s_waitcnt lgkmcnt(0)
	;;#ASMSTART
	v_cvt_f32_f16 v43, v43;
	;;#ASMEND
	;;#ASMSTART
	v_cvt_f32_f16 v45, v45;
	;;#ASMEND
	v_fma_mixlo_f16 v53, v21, v53, 0
	v_fma_mixlo_f16 v54, v21, v54, 0
	;; [unrolled: 1-line block ×3, first 2 shown]
	v_and_b32_e32 v42, 0xffff, v46
	v_fmac_f32_e32 v8, v43, v45
	ds_read_u16 v59, v14 offset:44
	s_waitcnt lgkmcnt(0)
	;;#ASMSTART
	v_cvt_f32_f16 v46, v59;
	;;#ASMEND
	;;#ASMSTART
	v_cvt_f32_f16 v42, v42;
	;;#ASMEND
	v_and_b32_e32 v47, 0xffff, v47
	v_fmac_f32_e32 v8, v46, v42
	ds_read_u16 v59, v14 offset:46
	s_waitcnt lgkmcnt(0)
	;;#ASMSTART
	v_cvt_f32_f16 v9, v59;
	;;#ASMEND
	;;#ASMSTART
	v_cvt_f32_f16 v33, v47;
	;;#ASMEND
	ds_read_u16 v47, v14 offset:48
	v_and_b32_e32 v48, 0xffff, v48
	v_fmac_f32_e32 v8, v9, v33
	s_waitcnt lgkmcnt(0)
	;;#ASMSTART
	v_cvt_f32_f16 v32, v47;
	;;#ASMEND
	;;#ASMSTART
	v_cvt_f32_f16 v41, v48;
	;;#ASMEND
	ds_read_u16 v47, v14 offset:50
	v_and_b32_e32 v48, 0xffff, v49
	v_fmac_f32_e32 v8, v32, v41
	s_waitcnt lgkmcnt(0)
	;;#ASMSTART
	v_cvt_f32_f16 v47, v47;
	;;#ASMEND
	;;#ASMSTART
	v_cvt_f32_f16 v48, v48;
	;;#ASMEND
	v_and_b32_e32 v49, 0xffff, v50
	v_fmac_f32_e32 v8, v47, v48
	v_and_b32_e32 v50, 0xffff, v51
	v_and_b32_e32 v51, 0xffff, v52
	ds_read_u16 v52, v14 offset:52
	s_waitcnt lgkmcnt(0)
	;;#ASMSTART
	v_cvt_f32_f16 v31, v52;
	;;#ASMEND
	;;#ASMSTART
	v_cvt_f32_f16 v39, v49;
	;;#ASMEND
	ds_read_u16 v49, v14 offset:54
	v_fmac_f32_e32 v8, v31, v39
	s_waitcnt lgkmcnt(0)
	;;#ASMSTART
	v_cvt_f32_f16 v27, v49;
	;;#ASMEND
	;;#ASMSTART
	v_cvt_f32_f16 v28, v50;
	;;#ASMEND
	ds_read_u16 v29, v14 offset:56
	v_fmac_f32_e32 v8, v27, v28
	;; [unrolled: 9-line block ×3, first 2 shown]
	v_and_b32_e32 v53, 0xffff, v53
	s_waitcnt lgkmcnt(0)
	;;#ASMSTART
	v_cvt_f32_f16 v22, v25;
	;;#ASMEND
	;;#ASMSTART
	v_cvt_f32_f16 v25, v53;
	;;#ASMEND
	ds_read_u16 v26, v14 offset:60
	v_fmac_f32_e32 v8, v22, v25
	v_cndmask_b32_e64 v59, v11, v17, s[0:1]
	v_and_b32_e32 v54, 0xffff, v54
	v_and_b32_e32 v21, 0xffff, v21
	s_waitcnt lgkmcnt(0)
	;;#ASMSTART
	v_cvt_f32_f16 v9, v26;
	;;#ASMEND
	;;#ASMSTART
	v_cvt_f32_f16 v26, v54;
	;;#ASMEND
	v_lshlrev_b32_e32 v59, 2, v59
	v_fmac_f32_e32 v8, v9, v26
	ds_read_u16 v29, v14 offset:62
	s_waitcnt lgkmcnt(0)
	;;#ASMSTART
	v_cvt_f32_f16 v9, v29;
	;;#ASMEND
	;;#ASMSTART
	v_cvt_f32_f16 v21, v21;
	;;#ASMEND
	v_cmp_lt_i32_e64 s[0:1], v18, v12
	v_fmac_f32_e32 v8, v9, v21
	ds_bpermute_b32 v9, v59, v8
	v_cndmask_b32_e64 v21, v11, v18, s[0:1]
	v_lshlrev_b32_e32 v21, 2, v21
	v_cmp_lt_i32_e64 s[0:1], v19, v12
	s_waitcnt lgkmcnt(0)
	v_add_f32_e32 v8, v8, v9
	ds_bpermute_b32 v9, v21, v8
	v_cndmask_b32_e64 v21, v11, v19, s[0:1]
	s_waitcnt lgkmcnt(0)
	v_add_f32_e32 v8, v8, v9
	v_lshlrev_b32_e32 v9, 2, v21
	ds_bpermute_b32 v9, v9, v8
	s_and_saveexec_b64 s[18:19], vcc
	s_cbranch_execz .LBB235_9
; %bb.11:                               ;   in Loop: Header=BB235_10 Depth=1
	v_add_u32_e32 v21, s37, v15
	v_cvt_f32_i32_e32 v21, v21
	s_waitcnt lgkmcnt(0)
	v_add_f32_e32 v8, v8, v9
	v_cmp_gt_i32_e64 s[0:1], s30, v15
	v_max_f32_e32 v9, v13, v13
	v_mul_f32_e32 v21, s33, v21
	v_cndmask_b32_e64 v21, 0, v21, s[2:3]
	v_fmac_f32_e32 v21, s31, v8
	v_cndmask_b32_e64 v8, 0, v21, s[0:1]
	ds_write_b32 v16, v8
	v_max_f32_e32 v8, v9, v21
	v_cndmask_b32_e64 v13, v13, v8, s[0:1]
	s_branch .LBB235_9
.LBB235_12:
	s_or_b64 exec, exec, s[12:13]
.LBB235_13:
	s_or_b64 exec, exec, s[34:35]
	v_xor_b32_e32 v2, 32, v11
	v_cmp_lt_i32_e32 vcc, v2, v12
	v_xor_b32_e32 v5, 16, v11
	v_max_f32_e32 v4, v13, v13
	v_cndmask_b32_e32 v2, v11, v2, vcc
	v_lshlrev_b32_e32 v3, 2, v2
	ds_bpermute_b32 v2, v3, v13
	v_cmp_lt_i32_e32 vcc, v5, v12
	v_xor_b32_e32 v6, 8, v11
	v_and_b32_e32 v15, 63, v0
	s_waitcnt lgkmcnt(0)
	v_max_f32_e32 v2, v2, v2
	v_max_f32_e32 v2, v4, v2
	v_cndmask_b32_e32 v4, v11, v5, vcc
	v_lshlrev_b32_e32 v5, 2, v4
	ds_bpermute_b32 v4, v5, v2
	v_cmp_lt_i32_e32 vcc, v6, v12
	s_waitcnt lgkmcnt(0)
	v_max_f32_e32 v4, v4, v4
	v_max_f32_e32 v4, v2, v4
	v_cndmask_b32_e32 v2, v11, v6, vcc
	v_lshlrev_b32_e32 v7, 2, v2
	ds_bpermute_b32 v6, v7, v4
	v_cmp_eq_u32_e32 vcc, 0, v15
	v_lshlrev_b32_e32 v2, 2, v1
	s_and_saveexec_b64 s[0:1], vcc
	s_cbranch_execz .LBB235_15
; %bb.14:
	s_waitcnt lgkmcnt(0)
	v_max_f32_e32 v6, v6, v6
	v_max_f32_e32 v4, v4, v4
	;; [unrolled: 1-line block ×3, first 2 shown]
	ds_write_b32 v2, v4 offset:512
.LBB235_15:
	s_or_b64 exec, exec, s[0:1]
	v_cmp_gt_u32_e64 s[0:1], 2, v15
	v_mov_b32_e32 v8, 0xff7fffff
	v_lshlrev_b32_e32 v4, 2, v15
	s_waitcnt lgkmcnt(0)
	s_barrier
	s_and_saveexec_b64 s[2:3], s[0:1]
	s_cbranch_execz .LBB235_17
; %bb.16:
	ds_read_b32 v8, v4 offset:512
.LBB235_17:
	s_or_b64 exec, exec, s[2:3]
	v_xor_b32_e32 v6, 1, v11
	v_cmp_lt_i32_e64 s[2:3], v6, v12
	v_lshlrev_b32_e32 v13, 2, v11
	s_nop 0
	v_cndmask_b32_e64 v6, v11, v6, s[2:3]
	v_lshlrev_b32_e32 v6, 2, v6
	s_waitcnt lgkmcnt(0)
	ds_bpermute_b32 v9, v6, v8
	v_max_f32_e32 v8, v8, v8
	s_lshl_b32 s2, s16, 3
	s_min_i32 s31, s2, s30
	v_cmp_gt_i32_e64 s[2:3], s31, v0
	s_waitcnt lgkmcnt(0)
	v_max_f32_e32 v9, v9, v9
	v_max_f32_e32 v9, v8, v9
	v_and_b32_e32 v8, 0xffffff00, v13
	ds_bpermute_b32 v13, v8, v9
	v_mov_b32_e32 v9, 0
	s_and_saveexec_b64 s[12:13], s[2:3]
	s_cbranch_execz .LBB235_21
; %bb.18:
	v_mov_b32_e32 v9, 0x210
	v_lshl_add_u32 v14, v0, 2, v9
	s_mov_b64 s[18:19], 0
	v_mov_b32_e32 v9, 0
	v_mov_b32_e32 v16, v0
.LBB235_19:                             ; =>This Inner Loop Header: Depth=1
	ds_read_b32 v17, v14
	v_add_u32_e32 v16, 0x80, v16
	v_cmp_le_i32_e64 s[8:9], s31, v16
	s_or_b64 s[18:19], s[8:9], s[18:19]
	s_waitcnt lgkmcnt(0)
	v_sub_f32_e32 v17, v17, v13
	v_mul_f32_e32 v17, 0x3fb8aa3b, v17
	v_exp_f32_e32 v17, v17
	ds_write_b32 v14, v17
	v_add_f32_e32 v9, v9, v17
	v_add_u32_e32 v14, 0x200, v14
	s_andn2_b64 exec, exec, s[18:19]
	s_cbranch_execnz .LBB235_19
; %bb.20:
	s_or_b64 exec, exec, s[18:19]
.LBB235_21:
	s_or_b64 exec, exec, s[12:13]
	ds_bpermute_b32 v3, v3, v9
	s_waitcnt lgkmcnt(0)
	v_add_f32_e32 v3, v9, v3
	ds_bpermute_b32 v5, v5, v3
	s_waitcnt lgkmcnt(0)
	v_add_f32_e32 v3, v3, v5
	ds_bpermute_b32 v5, v7, v3
	v_xor_b32_e32 v7, 4, v11
	v_cmp_lt_i32_e64 s[8:9], v7, v12
	s_waitcnt lgkmcnt(0)
	v_add_f32_e32 v3, v3, v5
	v_cndmask_b32_e64 v7, v11, v7, s[8:9]
	v_lshlrev_b32_e32 v7, 2, v7
	ds_bpermute_b32 v5, v7, v3
	v_xor_b32_e32 v7, 2, v11
	v_cmp_lt_i32_e64 s[8:9], v7, v12
	s_waitcnt lgkmcnt(0)
	v_add_f32_e32 v3, v3, v5
	v_cndmask_b32_e64 v7, v11, v7, s[8:9]
	v_lshlrev_b32_e32 v5, 2, v7
	ds_bpermute_b32 v5, v5, v3
	s_waitcnt lgkmcnt(0)
	v_add_f32_e32 v3, v3, v5
	ds_bpermute_b32 v5, v6, v3
	s_waitcnt lgkmcnt(0)
	v_add_f32_e32 v3, v3, v5
	s_and_saveexec_b64 s[8:9], vcc
	s_cbranch_execz .LBB235_23
; %bb.22:
	ds_write_b32 v2, v3 offset:520
.LBB235_23:
	s_or_b64 exec, exec, s[8:9]
	s_waitcnt lgkmcnt(0)
	s_barrier
	s_and_saveexec_b64 s[8:9], s[0:1]
	s_cbranch_execz .LBB235_25
; %bb.24:
	ds_read_b32 v3, v4 offset:520
.LBB235_25:
	s_or_b64 exec, exec, s[8:9]
	s_waitcnt lgkmcnt(0)
	ds_bpermute_b32 v2, v6, v3
	s_waitcnt lgkmcnt(0)
	v_add_f32_e32 v2, v3, v2
	ds_bpermute_b32 v2, v8, v2
	s_and_saveexec_b64 s[0:1], s[2:3]
	s_cbranch_execz .LBB235_38
; %bb.26:
	s_waitcnt lgkmcnt(0)
	v_add_f32_e32 v2, 0x358637bd, v2
	v_div_scale_f32 v3, s[2:3], v2, v2, 1.0
	v_rcp_f32_e32 v4, v3
	v_div_scale_f32 v5, vcc, 1.0, v2, 1.0
	s_movk_i32 s2, 0x7f
	v_fma_f32 v6, -v3, v4, 1.0
	v_fmac_f32_e32 v4, v6, v4
	v_mul_f32_e32 v6, v5, v4
	v_fma_f32 v7, -v3, v6, v5
	v_fmac_f32_e32 v6, v7, v4
	v_fma_f32 v3, -v3, v6, v5
	v_div_fmas_f32 v3, v3, v4, v6
	v_xad_u32 v4, v0, -1, s31
	v_div_fixup_f32 v2, v3, v2, 1.0
	v_cmp_lt_u32_e32 vcc, s2, v4
	s_mov_b64 s[8:9], -1
	v_mov_b32_e32 v3, v0
	s_and_saveexec_b64 s[2:3], vcc
	s_cbranch_execz .LBB235_35
; %bb.27:
	v_lshrrev_b32_e32 v4, 7, v4
	v_add_u32_e32 v6, -1, v4
	v_lshrrev_b32_e32 v5, 1, v6
	v_mov_b32_e32 v3, v2
	v_add_u32_e32 v5, 1, v5
	v_cmp_lt_u32_e32 vcc, 13, v6
	v_mov_b32_e32 v8, 0
	s_and_saveexec_b64 s[8:9], vcc
	s_cbranch_execz .LBB235_31
; %bb.28:
	v_mov_b32_e32 v7, 0x210
	v_and_b32_e32 v6, -8, v5
	v_lshl_add_u32 v7, v0, 2, v7
	s_mov_b32 s18, 0
	s_mov_b64 s[12:13], 0
.LBB235_29:                             ; =>This Inner Loop Header: Depth=1
	ds_read2st64_b32 v[8:9], v7 offset1:2
	ds_read2st64_b32 v[12:13], v7 offset0:4 offset1:6
	ds_read2st64_b32 v[16:17], v7 offset0:8 offset1:10
	ds_read2st64_b32 v[18:19], v7 offset0:12 offset1:14
	v_add_u32_e32 v6, -8, v6
	s_waitcnt lgkmcnt(3)
	v_pk_mul_f32 v[8:9], v[2:3], v[8:9]
	s_waitcnt lgkmcnt(2)
	v_pk_mul_f32 v[12:13], v[2:3], v[12:13]
	ds_write2st64_b32 v7, v8, v9 offset1:2
	ds_write2st64_b32 v7, v12, v13 offset0:4 offset1:6
	ds_read2st64_b32 v[12:13], v7 offset0:16 offset1:18
	s_waitcnt lgkmcnt(4)
	v_pk_mul_f32 v[8:9], v[2:3], v[16:17]
	ds_write2st64_b32 v7, v8, v9 offset0:8 offset1:10
	s_waitcnt lgkmcnt(4)
	v_pk_mul_f32 v[8:9], v[2:3], v[18:19]
	ds_write2st64_b32 v7, v8, v9 offset0:12 offset1:14
	ds_read2st64_b32 v[8:9], v7 offset0:20 offset1:22
	s_waitcnt lgkmcnt(3)
	v_pk_mul_f32 v[12:13], v[2:3], v[12:13]
	ds_read2st64_b32 v[16:17], v7 offset0:24 offset1:26
	ds_write2st64_b32 v7, v12, v13 offset0:16 offset1:18
	ds_read2st64_b32 v[12:13], v7 offset0:28 offset1:30
	s_waitcnt lgkmcnt(3)
	v_pk_mul_f32 v[8:9], v[2:3], v[8:9]
	ds_write2st64_b32 v7, v8, v9 offset0:20 offset1:22
	s_waitcnt lgkmcnt(3)
	v_pk_mul_f32 v[8:9], v[2:3], v[16:17]
	ds_write2st64_b32 v7, v8, v9 offset0:24 offset1:26
	s_waitcnt lgkmcnt(2)
	v_pk_mul_f32 v[8:9], v[2:3], v[12:13]
	s_add_i32 s18, s18, 16
	v_cmp_eq_u32_e32 vcc, 0, v6
	ds_write2st64_b32 v7, v8, v9 offset0:28 offset1:30
	v_add_u32_e32 v7, 0x2000, v7
	s_or_b64 s[12:13], vcc, s[12:13]
	v_mov_b32_e32 v8, s18
	s_andn2_b64 exec, exec, s[12:13]
	s_cbranch_execnz .LBB235_29
; %bb.30:
	s_or_b64 exec, exec, s[12:13]
.LBB235_31:
	s_or_b64 exec, exec, s[8:9]
	v_and_b32_e32 v5, 7, v5
	v_cmp_ne_u32_e32 vcc, 0, v5
	s_and_saveexec_b64 s[8:9], vcc
	s_cbranch_execz .LBB235_34
; %bb.32:
	v_lshlrev_b32_e32 v6, 9, v8
	v_lshlrev_b32_e32 v7, 2, v0
	s_movk_i32 s12, 0x210
	v_add3_u32 v6, v6, v7, s12
	s_mov_b64 s[12:13], 0
.LBB235_33:                             ; =>This Inner Loop Header: Depth=1
	ds_read2st64_b32 v[8:9], v6 offset1:2
	v_add_u32_e32 v5, -1, v5
	v_cmp_eq_u32_e32 vcc, 0, v5
	s_or_b64 s[12:13], vcc, s[12:13]
	s_waitcnt lgkmcnt(0)
	v_pk_mul_f32 v[8:9], v[2:3], v[8:9]
	ds_write2st64_b32 v6, v8, v9 offset1:2
	v_add_u32_e32 v6, 0x400, v6
	s_andn2_b64 exec, exec, s[12:13]
	s_cbranch_execnz .LBB235_33
.LBB235_34:
	s_or_b64 exec, exec, s[8:9]
	v_add_u32_e32 v4, 1, v4
	v_and_b32_e32 v5, 0x3fffffe, v4
	v_cmp_ne_u32_e32 vcc, v4, v5
	v_lshl_add_u32 v3, v5, 7, v0
	s_orn2_b64 s[8:9], vcc, exec
.LBB235_35:
	s_or_b64 exec, exec, s[2:3]
	s_and_b64 exec, exec, s[8:9]
	s_cbranch_execz .LBB235_38
; %bb.36:
	v_mov_b32_e32 v4, 0x210
	v_lshl_add_u32 v4, v3, 2, v4
	s_mov_b64 s[2:3], 0
.LBB235_37:                             ; =>This Inner Loop Header: Depth=1
	ds_read_b32 v5, v4
	v_add_u32_e32 v3, 0x80, v3
	v_cmp_le_i32_e32 vcc, s31, v3
	s_or_b64 s[2:3], vcc, s[2:3]
	s_waitcnt lgkmcnt(0)
	v_mul_f32_e32 v5, v2, v5
	ds_write_b32 v4, v5
	v_add_u32_e32 v4, 0x200, v4
	s_andn2_b64 exec, exec, s[2:3]
	s_cbranch_execnz .LBB235_37
.LBB235_38:
	s_or_b64 exec, exec, s[0:1]
	s_mov_b32 s0, 0
	s_mov_b32 s2, s0
	;; [unrolled: 1-line block ×4, first 2 shown]
	s_waitcnt lgkmcnt(0)
	v_mov_b64_e32 v[4:5], s[2:3]
	v_mov_b64_e32 v[2:3], s[0:1]
	s_barrier
	s_and_saveexec_b64 s[2:3], s[6:7]
	s_cbranch_execz .LBB235_306
; %bb.39:
	s_ashr_i32 s1, s25, 31
	s_add_u32 s0, s14, s25
	s_addc_u32 s1, s15, s1
	v_lshlrev_b32_e32 v6, 3, v15
	v_mov_b32_e32 v7, 0
	s_add_i32 s18, s16, -1
	v_lshl_add_u64 v[8:9], s[0:1], 0, v[6:7]
	s_lshl_b64 s[0:1], s[28:29], 2
	s_add_u32 s0, s26, s0
	v_mov_b32_e32 v2, 0x210
	v_and_b32_e32 v6, 60, v10
	s_addc_u32 s1, s27, s1
	s_mov_b32 s19, s30
	v_lshlrev_b32_e32 v22, 3, v1
	v_lshl_add_u32 v23, v1, 5, v2
	v_lshl_add_u64 v[10:11], s[0:1], 0, v[6:7]
	s_mov_b64 s[6:7], 0
	s_movk_i32 s25, 0x7f
	s_movk_i32 s26, 0x80
	s_mov_b32 s27, 0x8000
	s_movk_i32 s28, 0x380
	s_mov_b32 s29, 0x3020706
	s_mov_b32 s31, 0x1000504
	;; [unrolled: 1-line block ×3, first 2 shown]
	v_mov_b32_e32 v24, 0x1c00
	v_mov_b32_e32 v2, 0
	;; [unrolled: 1-line block ×5, first 2 shown]
	s_branch .LBB235_41
.LBB235_40:                             ;   in Loop: Header=BB235_41 Depth=1
	s_or_b64 exec, exec, s[0:1]
	;;#ASMSTART
	v_pk_mul_f16 v12, v32, v12;

	;;#ASMEND
	;;#ASMSTART
	v_pk_mul_f16 v6, v33, v6;

	;;#ASMEND
	;; [unrolled: 4-line block ×4, first 2 shown]
	v_add_f32_e32 v16, v36, v37
	;;#ASMSTART
	v_pk_add_f16 v6, v12, v6;

	;;#ASMEND
	v_add_f32_e32 v2, v2, v16
	;;#ASMSTART
	v_pk_add_f16 v6, v6, v13;

	;;#ASMEND
	;; [unrolled: 5-line block ×3, first 2 shown]
	v_add_u32_e32 v1, 2, v1
	v_lshrrev_b32_e32 v12, 16, v6
	v_and_b32_e32 v6, 0xffff, v6
	;;#ASMSTART
	v_cvt_f32_f16 v6, v6;
	;;#ASMEND
	v_add_f32_e32 v3, v3, v16
	v_add_f32_e32 v16, v20, v21
	;;#ASMSTART
	v_cvt_f32_f16 v12, v12;
	;;#ASMEND
	v_cmp_le_i32_e32 vcc, s16, v1
	v_add_f32_e32 v6, v6, v12
	v_add_f32_e32 v4, v4, v16
	;; [unrolled: 1-line block ×3, first 2 shown]
	v_add_u32_e32 v22, 16, v22
	v_add_u32_e32 v23, 64, v23
	s_or_b64 s[6:7], vcc, s[6:7]
	v_lshl_add_u64 v[10:11], v[10:11], 0, 8
	s_andn2_b64 exec, exec, s[6:7]
	s_cbranch_execz .LBB235_305
.LBB235_41:                             ; =>This Inner Loop Header: Depth=1
	ds_read2_b64 v[16:19], v23 offset1:1
	ds_read2_b64 v[26:29], v23 offset0:2 offset1:3
                                        ; implicit-def: $sgpr14
	s_waitcnt lgkmcnt(1)
	;;#ASMSTART
	v_cvt_f16_f32 v32, v16;

	;;#ASMEND
	;;#ASMSTART
	v_cvt_f16_f32 v33, v17;

	;;#ASMEND
	;;#ASMSTART
	v_cvt_f16_f32 v34, v18;

	;;#ASMEND
	;;#ASMSTART
	v_cvt_f16_f32 v35, v19;

	;;#ASMEND
	s_waitcnt lgkmcnt(0)
	;;#ASMSTART
	v_cvt_f16_f32 v36, v26;

	;;#ASMEND
	;;#ASMSTART
	v_cvt_f16_f32 v37, v27;

	;;#ASMEND
	;; [unrolled: 4-line block ×4, first 2 shown]
	global_load_dword v6, v[10:11], off
	s_waitcnt vmcnt(0)
	v_mad_i64_i32 v[12:13], s[0:1], v6, s17, v[8:9]
	global_load_dwordx2 v[16:17], v[12:13], off
	global_load_dword v14, v7, s[10:11]
	s_mov_b64 s[0:1], 0
	s_waitcnt vmcnt(1)
	v_cmp_gt_i16_sdwa s[8:9], v16, s25 src0_sel:BYTE_0 src1_sel:DWORD
	s_and_saveexec_b64 s[12:13], s[8:9]
	s_xor_b64 s[8:9], exec, s[12:13]
	s_cbranch_execnz .LBB235_177
; %bb.42:                               ;   in Loop: Header=BB235_41 Depth=1
	s_or_saveexec_b64 s[8:9], s[8:9]
	v_mov_b32_e32 v18, s14
	s_xor_b64 exec, exec, s[8:9]
	s_cbranch_execnz .LBB235_180
.LBB235_43:                             ;   in Loop: Header=BB235_41 Depth=1
	s_or_b64 exec, exec, s[8:9]
	s_and_saveexec_b64 s[8:9], s[0:1]
	s_cbranch_execz .LBB235_45
.LBB235_44:                             ;   in Loop: Header=BB235_41 Depth=1
	v_and_b32_e32 v6, 7, v16
	v_ffbh_u32_e32 v6, v6
	v_bfe_u32 v18, v16, 3, 4
	v_min_u32_e32 v6, 32, v6
	v_subrev_u32_e32 v19, 28, v6
	v_sub_u32_e32 v6, 29, v6
	v_cmp_eq_u32_e32 vcc, 0, v18
	s_nop 1
	v_cndmask_b32_e32 v6, v18, v6, vcc
	v_cndmask_b32_e32 v18, 0, v19, vcc
	v_lshlrev_b64 v[18:19], v18, v[16:17]
	v_lshlrev_b32_e32 v19, 8, v16
	v_lshl_add_u32 v6, v6, 10, v24
	v_lshlrev_b32_e32 v18, 7, v18
	v_and_or_b32 v6, v19, s27, v6
	v_and_or_b32 v6, v18, s28, v6
	v_cvt_f32_f16_e32 v18, v6
.LBB235_45:                             ;   in Loop: Header=BB235_41 Depth=1
	s_or_b64 exec, exec, s[8:9]
	v_lshrrev_b16_e32 v6, 8, v16
	v_cmp_lt_i16_e32 vcc, s25, v6
	s_mov_b64 s[0:1], 0
                                        ; implicit-def: $sgpr14
	s_and_saveexec_b64 s[8:9], vcc
	s_xor_b64 s[8:9], exec, s[8:9]
	s_cbranch_execnz .LBB235_181
; %bb.46:                               ;   in Loop: Header=BB235_41 Depth=1
	s_or_saveexec_b64 s[8:9], s[8:9]
	v_mov_b32_e32 v20, s14
	s_xor_b64 exec, exec, s[8:9]
	s_cbranch_execnz .LBB235_184
.LBB235_47:                             ;   in Loop: Header=BB235_41 Depth=1
	s_or_b64 exec, exec, s[8:9]
	s_and_saveexec_b64 s[8:9], s[0:1]
	s_cbranch_execz .LBB235_49
.LBB235_48:                             ;   in Loop: Header=BB235_41 Depth=1
	v_and_b32_e32 v19, 7, v6
	v_ffbh_u32_e32 v20, v19
	v_min_u32_e32 v26, 32, v20
	v_subrev_u32_e32 v20, 28, v26
	v_bfe_u32 v25, v6, 3, 4
	v_lshlrev_b64 v[20:21], v20, v[6:7]
	v_sub_u32_e32 v21, 29, v26
	v_cmp_eq_u32_e32 vcc, 0, v25
	v_and_b32_e32 v20, 7, v20
	v_lshlrev_b32_e32 v6, 8, v6
	v_cndmask_b32_e32 v21, v25, v21, vcc
	v_cndmask_b32_e32 v19, v19, v20, vcc
	v_lshl_add_u32 v20, v21, 10, v24
	v_and_or_b32 v6, v6, s27, v20
	v_lshl_or_b32 v6, v19, 7, v6
	v_cvt_f32_f16_e32 v20, v6
.LBB235_49:                             ;   in Loop: Header=BB235_41 Depth=1
	s_or_b64 exec, exec, s[8:9]
	v_lshrrev_b32_e32 v6, 16, v16
	v_cmp_gt_i16_sdwa s[8:9], v6, s25 src0_sel:BYTE_0 src1_sel:DWORD
	s_mov_b64 s[0:1], 0
                                        ; implicit-def: $sgpr14
	s_and_saveexec_b64 s[12:13], s[8:9]
	s_xor_b64 s[8:9], exec, s[12:13]
	s_cbranch_execnz .LBB235_185
; %bb.50:                               ;   in Loop: Header=BB235_41 Depth=1
	s_or_saveexec_b64 s[8:9], s[8:9]
	v_mov_b32_e32 v19, s14
	s_xor_b64 exec, exec, s[8:9]
	s_cbranch_execnz .LBB235_188
.LBB235_51:                             ;   in Loop: Header=BB235_41 Depth=1
	s_or_b64 exec, exec, s[8:9]
	s_and_saveexec_b64 s[8:9], s[0:1]
	s_cbranch_execz .LBB235_53
.LBB235_52:                             ;   in Loop: Header=BB235_41 Depth=1
	v_bfe_u32 v19, v16, 16, 3
	v_ffbh_u32_e32 v25, v19
	v_bfe_u32 v21, v16, 19, 4
	v_min_u32_e32 v25, 32, v25
	v_subrev_u32_e32 v26, 28, v25
	v_sub_u32_e32 v25, 29, v25
	v_cmp_eq_u32_e32 vcc, 0, v21
	v_lshlrev_b64 v[26:27], v26, v[6:7]
	v_and_b32_e32 v26, 7, v26
	v_cndmask_b32_e32 v21, v21, v25, vcc
	v_lshlrev_b32_e32 v6, 8, v6
	v_lshl_add_u32 v21, v21, 10, v24
	v_cndmask_b32_e32 v19, v19, v26, vcc
	v_and_or_b32 v6, v6, s27, v21
	v_lshl_or_b32 v6, v19, 7, v6
	v_cvt_f32_f16_e32 v19, v6
.LBB235_53:                             ;   in Loop: Header=BB235_41 Depth=1
	s_or_b64 exec, exec, s[8:9]
	v_lshrrev_b32_e32 v6, 24, v16
	v_cmp_lt_i16_e32 vcc, s25, v6
	s_mov_b64 s[0:1], 0
                                        ; implicit-def: $sgpr14
	s_and_saveexec_b64 s[8:9], vcc
	s_xor_b64 s[8:9], exec, s[8:9]
	s_cbranch_execnz .LBB235_189
; %bb.54:                               ;   in Loop: Header=BB235_41 Depth=1
	s_or_saveexec_b64 s[8:9], s[8:9]
	v_mov_b32_e32 v21, s14
	s_xor_b64 exec, exec, s[8:9]
	s_cbranch_execnz .LBB235_192
.LBB235_55:                             ;   in Loop: Header=BB235_41 Depth=1
	s_or_b64 exec, exec, s[8:9]
	s_and_saveexec_b64 s[8:9], s[0:1]
	s_cbranch_execz .LBB235_57
.LBB235_56:                             ;   in Loop: Header=BB235_41 Depth=1
	v_bfe_u32 v21, v16, 24, 3
	v_ffbh_u32_e32 v25, v21
	v_bfe_u32 v16, v16, 27, 4
	v_min_u32_e32 v25, 32, v25
	v_subrev_u32_e32 v26, 28, v25
	v_sub_u32_e32 v25, 29, v25
	v_cmp_eq_u32_e32 vcc, 0, v16
	v_lshlrev_b64 v[26:27], v26, v[6:7]
	v_and_b32_e32 v26, 7, v26
	v_cndmask_b32_e32 v16, v16, v25, vcc
	v_lshlrev_b32_e32 v6, 8, v6
	v_lshl_add_u32 v16, v16, 10, v24
	v_cndmask_b32_e32 v21, v21, v26, vcc
	v_and_or_b32 v6, v6, s27, v16
	v_lshl_or_b32 v6, v21, 7, v6
	v_cvt_f32_f16_e32 v21, v6
.LBB235_57:                             ;   in Loop: Header=BB235_41 Depth=1
	s_or_b64 exec, exec, s[8:9]
	v_cmp_gt_i16_sdwa s[8:9], v17, s25 src0_sel:BYTE_0 src1_sel:DWORD
	s_mov_b64 s[0:1], 0
                                        ; implicit-def: $sgpr14
	s_and_saveexec_b64 s[12:13], s[8:9]
	s_xor_b64 s[8:9], exec, s[12:13]
	s_cbranch_execnz .LBB235_193
; %bb.58:                               ;   in Loop: Header=BB235_41 Depth=1
	s_or_saveexec_b64 s[8:9], s[8:9]
	v_mov_b32_e32 v16, s14
	s_xor_b64 exec, exec, s[8:9]
	s_cbranch_execnz .LBB235_196
.LBB235_59:                             ;   in Loop: Header=BB235_41 Depth=1
	s_or_b64 exec, exec, s[8:9]
	v_mov_b32_e32 v6, v17
	s_and_saveexec_b64 s[8:9], s[0:1]
	s_cbranch_execz .LBB235_61
.LBB235_60:                             ;   in Loop: Header=BB235_41 Depth=1
	v_and_b32_e32 v16, 7, v17
	v_ffbh_u32_e32 v16, v16
	v_bfe_u32 v25, v17, 3, 4
	v_min_u32_e32 v16, 32, v16
	v_subrev_u32_e32 v26, 28, v16
	v_sub_u32_e32 v16, 29, v16
	v_cmp_eq_u32_e32 vcc, 0, v25
	s_nop 1
	v_cndmask_b32_e32 v16, v25, v16, vcc
	v_cndmask_b32_e32 v25, 0, v26, vcc
	v_lshlrev_b64 v[26:27], v25, v[6:7]
	v_lshlrev_b32_e32 v25, 7, v26
	v_lshlrev_b32_e32 v26, 8, v17
	v_lshl_add_u32 v16, v16, 10, v24
	v_and_or_b32 v16, v26, s27, v16
	v_and_or_b32 v16, v25, s28, v16
	v_cvt_f32_f16_e32 v16, v16
.LBB235_61:                             ;   in Loop: Header=BB235_41 Depth=1
	s_or_b64 exec, exec, s[8:9]
	v_lshrrev_b16_e32 v6, 8, v6
	v_cmp_lt_i16_e32 vcc, s25, v6
	s_mov_b64 s[0:1], 0
                                        ; implicit-def: $sgpr14
	s_and_saveexec_b64 s[8:9], vcc
	s_xor_b64 s[8:9], exec, s[8:9]
	s_cbranch_execnz .LBB235_197
; %bb.62:                               ;   in Loop: Header=BB235_41 Depth=1
	s_or_saveexec_b64 s[8:9], s[8:9]
	v_mov_b32_e32 v25, s14
	s_xor_b64 exec, exec, s[8:9]
	s_cbranch_execnz .LBB235_200
.LBB235_63:                             ;   in Loop: Header=BB235_41 Depth=1
	s_or_b64 exec, exec, s[8:9]
	s_and_saveexec_b64 s[8:9], s[0:1]
	s_cbranch_execz .LBB235_65
.LBB235_64:                             ;   in Loop: Header=BB235_41 Depth=1
	v_and_b32_e32 v25, 7, v6
	v_ffbh_u32_e32 v26, v25
	v_min_u32_e32 v29, 32, v26
	v_subrev_u32_e32 v26, 28, v29
	v_bfe_u32 v28, v6, 3, 4
	v_lshlrev_b64 v[26:27], v26, v[6:7]
	v_sub_u32_e32 v27, 29, v29
	v_cmp_eq_u32_e32 vcc, 0, v28
	v_and_b32_e32 v26, 7, v26
	v_lshlrev_b32_e32 v6, 8, v6
	v_cndmask_b32_e32 v27, v28, v27, vcc
	v_cndmask_b32_e32 v25, v25, v26, vcc
	v_lshl_add_u32 v26, v27, 10, v24
	v_and_or_b32 v6, v6, s27, v26
	v_lshl_or_b32 v6, v25, 7, v6
	v_cvt_f32_f16_e32 v25, v6
.LBB235_65:                             ;   in Loop: Header=BB235_41 Depth=1
	s_or_b64 exec, exec, s[8:9]
	v_lshrrev_b32_e32 v6, 16, v17
	v_cmp_gt_i16_sdwa s[8:9], v6, s25 src0_sel:BYTE_0 src1_sel:DWORD
	s_mov_b64 s[0:1], 0
                                        ; implicit-def: $sgpr14
	s_and_saveexec_b64 s[12:13], s[8:9]
	s_xor_b64 s[8:9], exec, s[12:13]
	s_cbranch_execnz .LBB235_201
; %bb.66:                               ;   in Loop: Header=BB235_41 Depth=1
	s_or_saveexec_b64 s[8:9], s[8:9]
	v_mov_b32_e32 v26, s14
	s_xor_b64 exec, exec, s[8:9]
	s_cbranch_execnz .LBB235_204
.LBB235_67:                             ;   in Loop: Header=BB235_41 Depth=1
	s_or_b64 exec, exec, s[8:9]
	s_and_saveexec_b64 s[8:9], s[0:1]
	s_cbranch_execz .LBB235_69
.LBB235_68:                             ;   in Loop: Header=BB235_41 Depth=1
	v_bfe_u32 v28, v17, 16, 3
	v_ffbh_u32_e32 v26, v28
	v_min_u32_e32 v30, 32, v26
	v_subrev_u32_e32 v26, 28, v30
	v_bfe_u32 v29, v17, 19, 4
	v_lshlrev_b64 v[26:27], v26, v[6:7]
	v_sub_u32_e32 v27, 29, v30
	v_cmp_eq_u32_e32 vcc, 0, v29
	v_and_b32_e32 v26, 7, v26
	v_lshlrev_b32_e32 v6, 8, v6
	v_cndmask_b32_e32 v27, v29, v27, vcc
	v_lshl_add_u32 v27, v27, 10, v24
	v_cndmask_b32_e32 v26, v28, v26, vcc
	v_and_or_b32 v6, v6, s27, v27
	v_lshl_or_b32 v6, v26, 7, v6
	v_cvt_f32_f16_e32 v26, v6
.LBB235_69:                             ;   in Loop: Header=BB235_41 Depth=1
	s_or_b64 exec, exec, s[8:9]
	v_lshrrev_b32_e32 v6, 24, v17
	v_cmp_lt_i16_e32 vcc, s25, v6
	s_mov_b64 s[0:1], 0
                                        ; implicit-def: $sgpr14
	s_and_saveexec_b64 s[8:9], vcc
	s_xor_b64 s[8:9], exec, s[8:9]
	s_cbranch_execnz .LBB235_205
; %bb.70:                               ;   in Loop: Header=BB235_41 Depth=1
	s_or_saveexec_b64 s[8:9], s[8:9]
	v_mov_b32_e32 v27, s14
	s_xor_b64 exec, exec, s[8:9]
	s_cbranch_execnz .LBB235_208
.LBB235_71:                             ;   in Loop: Header=BB235_41 Depth=1
	s_or_b64 exec, exec, s[8:9]
	s_and_saveexec_b64 s[8:9], s[0:1]
	s_cbranch_execz .LBB235_73
.LBB235_72:                             ;   in Loop: Header=BB235_41 Depth=1
	v_bfe_u32 v27, v17, 24, 3
	v_ffbh_u32_e32 v28, v27
	v_min_u32_e32 v30, 32, v28
	v_subrev_u32_e32 v28, 28, v30
	v_bfe_u32 v17, v17, 27, 4
	v_lshlrev_b64 v[28:29], v28, v[6:7]
	v_sub_u32_e32 v29, 29, v30
	v_cmp_eq_u32_e32 vcc, 0, v17
	v_and_b32_e32 v28, 7, v28
	v_lshlrev_b32_e32 v6, 8, v6
	v_cndmask_b32_e32 v17, v17, v29, vcc
	v_lshl_add_u32 v17, v17, 10, v24
	v_cndmask_b32_e32 v27, v27, v28, vcc
	v_and_or_b32 v6, v6, s27, v17
	v_lshl_or_b32 v6, v27, 7, v6
	v_cvt_f32_f16_e32 v27, v6
.LBB235_73:                             ;   in Loop: Header=BB235_41 Depth=1
	s_or_b64 exec, exec, s[8:9]
	s_waitcnt vmcnt(0)
	v_pk_mul_f32 v[20:21], v[14:15], v[20:21] op_sel_hi:[0,1]
	v_pk_mul_f32 v[18:19], v[14:15], v[18:19] op_sel_hi:[0,1]
	v_cvt_f16_f32_e32 v6, v21
	v_cvt_f16_f32_e32 v17, v20
	;; [unrolled: 1-line block ×4, first 2 shown]
	v_fma_mixlo_f16 v16, v14, v16, 0
	v_pack_b32_f16 v17, v17, v6
	v_cmp_eq_u32_e32 vcc, s18, v1
	v_pack_b32_f16 v18, v18, v19
	v_perm_b32 v6, v18, v17, s29
	v_perm_b32 v17, v18, v17, s31
	v_fma_mixlo_f16 v18, v14, v25, 0
	v_lshlrev_b32_e32 v18, 16, v18
	v_or_b32_sdwa v16, v18, v16 dst_sel:DWORD dst_unused:UNUSED_PAD src0_sel:DWORD src1_sel:WORD_0
	v_fma_mixlo_f16 v18, v14, v26, 0
	v_fma_mixlo_f16 v14, v14, v27, 0
	v_lshlrev_b32_e32 v14, 16, v14
	v_or_b32_sdwa v14, v14, v18 dst_sel:DWORD dst_unused:UNUSED_PAD src0_sel:DWORD src1_sel:WORD_0
	v_add_u32_e32 v31, 1, v22
	v_or_b32_e32 v30, 3, v22
	v_or_b32_e32 v29, 2, v22
	;; [unrolled: 1-line block ×6, first 2 shown]
	s_and_saveexec_b64 s[8:9], vcc
	s_cbranch_execz .LBB235_75
; %bb.74:                               ;   in Loop: Header=BB235_41 Depth=1
	v_lshrrev_b32_e32 v19, 16, v17
	v_cmp_gt_i32_e64 s[0:1], s19, v31
	v_lshrrev_b32_e32 v14, 16, v14
	s_nop 0
	v_cndmask_b32_e64 v19, 0, v19, s[0:1]
	v_cmp_gt_i32_e64 s[0:1], s30, v22
	s_nop 1
	v_cndmask_b32_e64 v17, 0, v17, s[0:1]
	v_perm_b32 v17, v19, v17, s33
	v_lshrrev_b32_e32 v19, 16, v6
	v_cmp_gt_i32_e64 s[0:1], s19, v30
	s_nop 1
	v_cndmask_b32_e64 v19, 0, v19, s[0:1]
	v_cmp_gt_i32_e64 s[0:1], s30, v29
	s_nop 1
	v_cndmask_b32_e64 v6, 0, v6, s[0:1]
	v_perm_b32 v6, v19, v6, s33
	v_lshrrev_b32_e32 v19, 16, v16
	v_cmp_gt_i32_e64 s[0:1], s19, v28
	s_nop 1
	v_cndmask_b32_e64 v19, 0, v19, s[0:1]
	v_cmp_gt_i32_e64 s[0:1], s30, v27
	s_nop 1
	v_cndmask_b32_e64 v16, 0, v16, s[0:1]
	v_cmp_gt_i32_e64 s[0:1], s19, v26
	v_perm_b32 v16, v19, v16, s33
	s_nop 0
	v_cndmask_b32_e64 v14, 0, v14, s[0:1]
	v_cmp_gt_i32_e64 s[0:1], s30, v25
	s_nop 1
	v_cndmask_b32_e64 v18, 0, v18, s[0:1]
	v_perm_b32 v14, v14, v18, s33
.LBB235_75:                             ;   in Loop: Header=BB235_41 Depth=1
	s_or_b64 exec, exec, s[8:9]
	v_and_b32_e32 v18, 0xffff, v32
	v_lshl_or_b32 v32, v33, 16, v18
	v_and_b32_e32 v18, 0xffff, v34
	v_lshl_or_b32 v33, v35, 16, v18
	v_and_b32_e32 v18, 0xffff, v36
	v_lshl_or_b32 v34, v37, 16, v18
	v_and_b32_e32 v18, 0xffff, v38
	;;#ASMSTART
	v_pk_mul_f16 v17, v32, v17;

	;;#ASMEND
	;;#ASMSTART
	v_pk_mul_f16 v6, v33, v6;

	;;#ASMEND
	v_lshl_or_b32 v35, v39, 16, v18
	;;#ASMSTART
	v_pk_mul_f16 v16, v34, v16;

	;;#ASMEND
	;;#ASMSTART
	v_pk_mul_f16 v14, v35, v14;

	;;#ASMEND
	;;#ASMSTART
	v_pk_add_f16 v6, v17, v6;

	;;#ASMEND
	s_mov_b64 s[0:1], 0
	;;#ASMSTART
	v_pk_add_f16 v6, v6, v16;

	;;#ASMEND
                                        ; implicit-def: $sgpr14
	s_nop 0
	;;#ASMSTART
	v_pk_add_f16 v6, v6, v14;

	;;#ASMEND
	s_nop 0
	v_lshrrev_b32_e32 v14, 16, v6
	v_and_b32_e32 v6, 0xffff, v6
	;;#ASMSTART
	v_cvt_f32_f16 v36, v6;
	;;#ASMEND
	;;#ASMSTART
	v_cvt_f32_f16 v37, v14;
	;;#ASMEND
	global_load_dwordx2 v[16:17], v[12:13], off offset:512
	global_load_dword v14, v7, s[10:11]
	s_waitcnt vmcnt(1)
	v_cmp_gt_i16_sdwa s[8:9], v16, s25 src0_sel:BYTE_0 src1_sel:DWORD
	s_and_saveexec_b64 s[12:13], s[8:9]
	s_xor_b64 s[8:9], exec, s[12:13]
	s_cbranch_execnz .LBB235_209
; %bb.76:                               ;   in Loop: Header=BB235_41 Depth=1
	s_or_saveexec_b64 s[8:9], s[8:9]
	v_mov_b32_e32 v18, s14
	s_xor_b64 exec, exec, s[8:9]
	s_cbranch_execnz .LBB235_212
.LBB235_77:                             ;   in Loop: Header=BB235_41 Depth=1
	s_or_b64 exec, exec, s[8:9]
	s_and_saveexec_b64 s[8:9], s[0:1]
	s_cbranch_execz .LBB235_79
.LBB235_78:                             ;   in Loop: Header=BB235_41 Depth=1
	v_and_b32_e32 v6, 7, v16
	v_ffbh_u32_e32 v6, v6
	v_bfe_u32 v18, v16, 3, 4
	v_min_u32_e32 v6, 32, v6
	v_subrev_u32_e32 v19, 28, v6
	v_sub_u32_e32 v6, 29, v6
	v_cmp_eq_u32_e64 s[0:1], 0, v18
	s_nop 1
	v_cndmask_b32_e64 v6, v18, v6, s[0:1]
	v_cndmask_b32_e64 v18, 0, v19, s[0:1]
	v_lshlrev_b64 v[18:19], v18, v[16:17]
	v_lshlrev_b32_e32 v19, 8, v16
	v_lshl_add_u32 v6, v6, 10, v24
	v_lshlrev_b32_e32 v18, 7, v18
	v_and_or_b32 v6, v19, s27, v6
	v_and_or_b32 v6, v18, s28, v6
	v_cvt_f32_f16_e32 v18, v6
.LBB235_79:                             ;   in Loop: Header=BB235_41 Depth=1
	s_or_b64 exec, exec, s[8:9]
	v_lshrrev_b16_e32 v6, 8, v16
	v_cmp_lt_i16_e64 s[0:1], s25, v6
	s_mov_b64 s[8:9], 0
                                        ; implicit-def: $sgpr34
	s_and_saveexec_b64 s[12:13], s[0:1]
	s_xor_b64 s[12:13], exec, s[12:13]
	s_cbranch_execnz .LBB235_213
; %bb.80:                               ;   in Loop: Header=BB235_41 Depth=1
	s_or_saveexec_b64 s[12:13], s[12:13]
	v_mov_b32_e32 v20, s34
	s_xor_b64 exec, exec, s[12:13]
	s_cbranch_execnz .LBB235_216
.LBB235_81:                             ;   in Loop: Header=BB235_41 Depth=1
	s_or_b64 exec, exec, s[12:13]
	s_and_saveexec_b64 s[12:13], s[8:9]
	s_cbranch_execz .LBB235_83
.LBB235_82:                             ;   in Loop: Header=BB235_41 Depth=1
	v_and_b32_e32 v19, 7, v6
	v_ffbh_u32_e32 v20, v19
	v_min_u32_e32 v39, 32, v20
	v_subrev_u32_e32 v20, 28, v39
	v_bfe_u32 v38, v6, 3, 4
	v_lshlrev_b64 v[20:21], v20, v[6:7]
	v_sub_u32_e32 v21, 29, v39
	v_cmp_eq_u32_e64 s[0:1], 0, v38
	v_and_b32_e32 v20, 7, v20
	v_lshlrev_b32_e32 v6, 8, v6
	v_cndmask_b32_e64 v21, v38, v21, s[0:1]
	v_cndmask_b32_e64 v19, v19, v20, s[0:1]
	v_lshl_add_u32 v20, v21, 10, v24
	v_and_or_b32 v6, v6, s27, v20
	v_lshl_or_b32 v6, v19, 7, v6
	v_cvt_f32_f16_e32 v20, v6
.LBB235_83:                             ;   in Loop: Header=BB235_41 Depth=1
	s_or_b64 exec, exec, s[12:13]
	v_lshrrev_b32_e32 v6, 16, v16
	v_cmp_gt_i16_sdwa s[8:9], v6, s25 src0_sel:BYTE_0 src1_sel:DWORD
	s_mov_b64 s[0:1], 0
                                        ; implicit-def: $sgpr14
	s_and_saveexec_b64 s[12:13], s[8:9]
	s_xor_b64 s[8:9], exec, s[12:13]
	s_cbranch_execnz .LBB235_217
; %bb.84:                               ;   in Loop: Header=BB235_41 Depth=1
	s_or_saveexec_b64 s[8:9], s[8:9]
	v_mov_b32_e32 v19, s14
	s_xor_b64 exec, exec, s[8:9]
	s_cbranch_execnz .LBB235_220
.LBB235_85:                             ;   in Loop: Header=BB235_41 Depth=1
	s_or_b64 exec, exec, s[8:9]
	s_and_saveexec_b64 s[8:9], s[0:1]
	s_cbranch_execz .LBB235_87
.LBB235_86:                             ;   in Loop: Header=BB235_41 Depth=1
	v_bfe_u32 v19, v16, 16, 3
	v_ffbh_u32_e32 v38, v19
	v_min_u32_e32 v40, 32, v38
	v_subrev_u32_e32 v38, 28, v40
	v_bfe_u32 v21, v16, 19, 4
	v_lshlrev_b64 v[38:39], v38, v[6:7]
	v_sub_u32_e32 v39, 29, v40
	v_cmp_eq_u32_e64 s[0:1], 0, v21
	v_and_b32_e32 v38, 7, v38
	v_lshlrev_b32_e32 v6, 8, v6
	v_cndmask_b32_e64 v21, v21, v39, s[0:1]
	v_lshl_add_u32 v21, v21, 10, v24
	v_cndmask_b32_e64 v19, v19, v38, s[0:1]
	v_and_or_b32 v6, v6, s27, v21
	v_lshl_or_b32 v6, v19, 7, v6
	v_cvt_f32_f16_e32 v19, v6
.LBB235_87:                             ;   in Loop: Header=BB235_41 Depth=1
	s_or_b64 exec, exec, s[8:9]
	v_lshrrev_b32_e32 v6, 24, v16
	v_cmp_lt_i16_e64 s[0:1], s25, v6
	s_mov_b64 s[8:9], 0
                                        ; implicit-def: $sgpr34
	s_and_saveexec_b64 s[12:13], s[0:1]
	s_xor_b64 s[12:13], exec, s[12:13]
	s_cbranch_execnz .LBB235_221
; %bb.88:                               ;   in Loop: Header=BB235_41 Depth=1
	s_or_saveexec_b64 s[12:13], s[12:13]
	v_mov_b32_e32 v21, s34
	s_xor_b64 exec, exec, s[12:13]
	s_cbranch_execnz .LBB235_224
.LBB235_89:                             ;   in Loop: Header=BB235_41 Depth=1
	s_or_b64 exec, exec, s[12:13]
	s_and_saveexec_b64 s[12:13], s[8:9]
	s_cbranch_execz .LBB235_91
.LBB235_90:                             ;   in Loop: Header=BB235_41 Depth=1
	v_bfe_u32 v21, v16, 24, 3
	v_ffbh_u32_e32 v38, v21
	v_min_u32_e32 v40, 32, v38
	v_subrev_u32_e32 v38, 28, v40
	v_bfe_u32 v16, v16, 27, 4
	v_lshlrev_b64 v[38:39], v38, v[6:7]
	v_sub_u32_e32 v39, 29, v40
	v_cmp_eq_u32_e64 s[0:1], 0, v16
	v_and_b32_e32 v38, 7, v38
	v_lshlrev_b32_e32 v6, 8, v6
	v_cndmask_b32_e64 v16, v16, v39, s[0:1]
	v_lshl_add_u32 v16, v16, 10, v24
	v_cndmask_b32_e64 v21, v21, v38, s[0:1]
	v_and_or_b32 v6, v6, s27, v16
	v_lshl_or_b32 v6, v21, 7, v6
	v_cvt_f32_f16_e32 v21, v6
.LBB235_91:                             ;   in Loop: Header=BB235_41 Depth=1
	s_or_b64 exec, exec, s[12:13]
	v_cmp_gt_i16_sdwa s[8:9], v17, s25 src0_sel:BYTE_0 src1_sel:DWORD
	s_mov_b64 s[0:1], 0
                                        ; implicit-def: $sgpr14
	s_and_saveexec_b64 s[12:13], s[8:9]
	s_xor_b64 s[8:9], exec, s[12:13]
	s_cbranch_execnz .LBB235_225
; %bb.92:                               ;   in Loop: Header=BB235_41 Depth=1
	s_or_saveexec_b64 s[8:9], s[8:9]
	v_mov_b32_e32 v16, s14
	s_xor_b64 exec, exec, s[8:9]
	s_cbranch_execnz .LBB235_228
.LBB235_93:                             ;   in Loop: Header=BB235_41 Depth=1
	s_or_b64 exec, exec, s[8:9]
	v_mov_b32_e32 v6, v17
	s_and_saveexec_b64 s[8:9], s[0:1]
	s_cbranch_execz .LBB235_95
.LBB235_94:                             ;   in Loop: Header=BB235_41 Depth=1
	v_and_b32_e32 v16, 7, v17
	v_ffbh_u32_e32 v16, v16
	v_bfe_u32 v38, v17, 3, 4
	v_min_u32_e32 v16, 32, v16
	v_subrev_u32_e32 v39, 28, v16
	v_sub_u32_e32 v16, 29, v16
	v_cmp_eq_u32_e64 s[0:1], 0, v38
	s_nop 1
	v_cndmask_b32_e64 v16, v38, v16, s[0:1]
	v_cndmask_b32_e64 v38, 0, v39, s[0:1]
	v_lshlrev_b64 v[38:39], v38, v[6:7]
	v_lshlrev_b32_e32 v39, 8, v17
	v_lshl_add_u32 v16, v16, 10, v24
	v_lshlrev_b32_e32 v38, 7, v38
	v_and_or_b32 v16, v39, s27, v16
	v_and_or_b32 v16, v38, s28, v16
	v_cvt_f32_f16_e32 v16, v16
.LBB235_95:                             ;   in Loop: Header=BB235_41 Depth=1
	s_or_b64 exec, exec, s[8:9]
	v_lshrrev_b16_e32 v6, 8, v6
	v_cmp_lt_i16_e64 s[0:1], s25, v6
	s_mov_b64 s[8:9], 0
                                        ; implicit-def: $sgpr34
	s_and_saveexec_b64 s[12:13], s[0:1]
	s_xor_b64 s[12:13], exec, s[12:13]
	s_cbranch_execnz .LBB235_229
; %bb.96:                               ;   in Loop: Header=BB235_41 Depth=1
	s_or_saveexec_b64 s[12:13], s[12:13]
	v_mov_b32_e32 v38, s34
	s_xor_b64 exec, exec, s[12:13]
	s_cbranch_execnz .LBB235_232
.LBB235_97:                             ;   in Loop: Header=BB235_41 Depth=1
	s_or_b64 exec, exec, s[12:13]
	s_and_saveexec_b64 s[12:13], s[8:9]
	s_cbranch_execz .LBB235_99
.LBB235_98:                             ;   in Loop: Header=BB235_41 Depth=1
	v_and_b32_e32 v40, 7, v6
	v_ffbh_u32_e32 v38, v40
	v_min_u32_e32 v42, 32, v38
	v_subrev_u32_e32 v38, 28, v42
	v_bfe_u32 v41, v6, 3, 4
	v_lshlrev_b64 v[38:39], v38, v[6:7]
	v_sub_u32_e32 v39, 29, v42
	v_cmp_eq_u32_e64 s[0:1], 0, v41
	v_and_b32_e32 v38, 7, v38
	v_lshlrev_b32_e32 v6, 8, v6
	v_cndmask_b32_e64 v39, v41, v39, s[0:1]
	v_lshl_add_u32 v39, v39, 10, v24
	v_cndmask_b32_e64 v38, v40, v38, s[0:1]
	v_and_or_b32 v6, v6, s27, v39
	v_lshl_or_b32 v6, v38, 7, v6
	v_cvt_f32_f16_e32 v38, v6
.LBB235_99:                             ;   in Loop: Header=BB235_41 Depth=1
	s_or_b64 exec, exec, s[12:13]
	v_lshrrev_b32_e32 v6, 16, v17
	v_cmp_gt_i16_sdwa s[8:9], v6, s25 src0_sel:BYTE_0 src1_sel:DWORD
	s_mov_b64 s[0:1], 0
                                        ; implicit-def: $sgpr14
	s_and_saveexec_b64 s[12:13], s[8:9]
	s_xor_b64 s[8:9], exec, s[12:13]
	s_cbranch_execnz .LBB235_233
; %bb.100:                              ;   in Loop: Header=BB235_41 Depth=1
	s_or_saveexec_b64 s[8:9], s[8:9]
	v_mov_b32_e32 v39, s14
	s_xor_b64 exec, exec, s[8:9]
	s_cbranch_execnz .LBB235_236
.LBB235_101:                            ;   in Loop: Header=BB235_41 Depth=1
	s_or_b64 exec, exec, s[8:9]
	s_and_saveexec_b64 s[8:9], s[0:1]
	s_cbranch_execz .LBB235_103
.LBB235_102:                            ;   in Loop: Header=BB235_41 Depth=1
	v_bfe_u32 v39, v17, 16, 3
	v_ffbh_u32_e32 v40, v39
	v_min_u32_e32 v43, 32, v40
	v_subrev_u32_e32 v40, 28, v43
	v_bfe_u32 v42, v17, 19, 4
	v_lshlrev_b64 v[40:41], v40, v[6:7]
	v_sub_u32_e32 v41, 29, v43
	v_cmp_eq_u32_e64 s[0:1], 0, v42
	v_and_b32_e32 v40, 7, v40
	v_lshlrev_b32_e32 v6, 8, v6
	v_cndmask_b32_e64 v41, v42, v41, s[0:1]
	v_cndmask_b32_e64 v39, v39, v40, s[0:1]
	v_lshl_add_u32 v40, v41, 10, v24
	v_and_or_b32 v6, v6, s27, v40
	v_lshl_or_b32 v6, v39, 7, v6
	v_cvt_f32_f16_e32 v39, v6
.LBB235_103:                            ;   in Loop: Header=BB235_41 Depth=1
	s_or_b64 exec, exec, s[8:9]
	v_lshrrev_b32_e32 v6, 24, v17
	v_cmp_lt_i16_e64 s[0:1], s25, v6
	s_mov_b64 s[8:9], 0
                                        ; implicit-def: $sgpr34
	s_and_saveexec_b64 s[12:13], s[0:1]
	s_xor_b64 s[12:13], exec, s[12:13]
	s_cbranch_execnz .LBB235_237
; %bb.104:                              ;   in Loop: Header=BB235_41 Depth=1
	s_or_saveexec_b64 s[12:13], s[12:13]
	v_mov_b32_e32 v40, s34
	s_xor_b64 exec, exec, s[12:13]
	s_cbranch_execnz .LBB235_240
.LBB235_105:                            ;   in Loop: Header=BB235_41 Depth=1
	s_or_b64 exec, exec, s[12:13]
	s_and_saveexec_b64 s[12:13], s[8:9]
	s_cbranch_execz .LBB235_107
.LBB235_106:                            ;   in Loop: Header=BB235_41 Depth=1
	v_bfe_u32 v42, v17, 24, 3
	v_ffbh_u32_e32 v40, v42
	v_min_u32_e32 v43, 32, v40
	v_subrev_u32_e32 v40, 28, v43
	v_bfe_u32 v17, v17, 27, 4
	v_lshlrev_b64 v[40:41], v40, v[6:7]
	v_sub_u32_e32 v41, 29, v43
	v_cmp_eq_u32_e64 s[0:1], 0, v17
	v_and_b32_e32 v40, 7, v40
	v_lshlrev_b32_e32 v6, 8, v6
	v_cndmask_b32_e64 v17, v17, v41, s[0:1]
	v_lshl_add_u32 v17, v17, 10, v24
	v_cndmask_b32_e64 v40, v42, v40, s[0:1]
	v_and_or_b32 v6, v6, s27, v17
	v_lshl_or_b32 v6, v40, 7, v6
	v_cvt_f32_f16_e32 v40, v6
.LBB235_107:                            ;   in Loop: Header=BB235_41 Depth=1
	s_or_b64 exec, exec, s[12:13]
	s_waitcnt vmcnt(0)
	v_pk_mul_f32 v[20:21], v[14:15], v[20:21] op_sel_hi:[0,1]
	v_pk_mul_f32 v[18:19], v[14:15], v[18:19] op_sel_hi:[0,1]
	v_cvt_f16_f32_e32 v6, v21
	v_cvt_f16_f32_e32 v17, v20
	;; [unrolled: 1-line block ×4, first 2 shown]
	v_fma_mixlo_f16 v16, v14, v16, 0
	v_pack_b32_f16 v17, v17, v6
	v_pack_b32_f16 v18, v18, v19
	v_perm_b32 v6, v18, v17, s29
	v_perm_b32 v17, v18, v17, s31
	v_fma_mixlo_f16 v18, v14, v38, 0
	v_lshlrev_b32_e32 v18, 16, v18
	v_or_b32_sdwa v16, v18, v16 dst_sel:DWORD dst_unused:UNUSED_PAD src0_sel:DWORD src1_sel:WORD_0
	v_fma_mixlo_f16 v18, v14, v39, 0
	v_fma_mixlo_f16 v14, v14, v40, 0
	v_lshlrev_b32_e32 v14, 16, v14
	v_or_b32_sdwa v14, v14, v18 dst_sel:DWORD dst_unused:UNUSED_PAD src0_sel:DWORD src1_sel:WORD_0
	s_and_saveexec_b64 s[8:9], vcc
	s_cbranch_execz .LBB235_109
; %bb.108:                              ;   in Loop: Header=BB235_41 Depth=1
	v_lshrrev_b32_e32 v19, 16, v17
	v_cmp_gt_i32_e64 s[0:1], s19, v31
	v_lshrrev_b32_e32 v14, 16, v14
	s_nop 0
	v_cndmask_b32_e64 v19, 0, v19, s[0:1]
	v_cmp_gt_i32_e64 s[0:1], s30, v22
	s_nop 1
	v_cndmask_b32_e64 v17, 0, v17, s[0:1]
	v_perm_b32 v17, v19, v17, s33
	v_lshrrev_b32_e32 v19, 16, v6
	v_cmp_gt_i32_e64 s[0:1], s19, v30
	s_nop 1
	v_cndmask_b32_e64 v19, 0, v19, s[0:1]
	v_cmp_gt_i32_e64 s[0:1], s30, v29
	s_nop 1
	v_cndmask_b32_e64 v6, 0, v6, s[0:1]
	v_perm_b32 v6, v19, v6, s33
	v_lshrrev_b32_e32 v19, 16, v16
	v_cmp_gt_i32_e64 s[0:1], s19, v28
	s_nop 1
	v_cndmask_b32_e64 v19, 0, v19, s[0:1]
	v_cmp_gt_i32_e64 s[0:1], s30, v27
	s_nop 1
	v_cndmask_b32_e64 v16, 0, v16, s[0:1]
	v_cmp_gt_i32_e64 s[0:1], s19, v26
	v_perm_b32 v16, v19, v16, s33
	s_nop 0
	v_cndmask_b32_e64 v14, 0, v14, s[0:1]
	v_cmp_gt_i32_e64 s[0:1], s30, v25
	s_nop 1
	v_cndmask_b32_e64 v18, 0, v18, s[0:1]
	v_perm_b32 v14, v14, v18, s33
.LBB235_109:                            ;   in Loop: Header=BB235_41 Depth=1
	s_or_b64 exec, exec, s[8:9]
	;;#ASMSTART
	v_pk_mul_f16 v17, v32, v17;

	;;#ASMEND
	;;#ASMSTART
	v_pk_mul_f16 v6, v33, v6;

	;;#ASMEND
	;; [unrolled: 4-line block ×4, first 2 shown]
	s_mov_b64 s[0:1], 0
	;;#ASMSTART
	v_pk_add_f16 v6, v17, v6;

	;;#ASMEND
                                        ; implicit-def: $sgpr14
	s_nop 0
	;;#ASMSTART
	v_pk_add_f16 v6, v6, v16;

	;;#ASMEND
	s_nop 0
	;;#ASMSTART
	v_pk_add_f16 v6, v6, v14;

	;;#ASMEND
	s_nop 0
	v_lshrrev_b32_e32 v14, 16, v6
	v_and_b32_e32 v6, 0xffff, v6
	;;#ASMSTART
	v_cvt_f32_f16 v38, v6;
	;;#ASMEND
	;;#ASMSTART
	v_cvt_f32_f16 v39, v14;
	;;#ASMEND
	global_load_dwordx2 v[16:17], v[12:13], off offset:1024
	global_load_dword v14, v7, s[10:11]
	s_waitcnt vmcnt(1)
	v_cmp_gt_i16_sdwa s[8:9], v16, s25 src0_sel:BYTE_0 src1_sel:DWORD
	s_and_saveexec_b64 s[12:13], s[8:9]
	s_xor_b64 s[8:9], exec, s[12:13]
	s_cbranch_execnz .LBB235_241
; %bb.110:                              ;   in Loop: Header=BB235_41 Depth=1
	s_or_saveexec_b64 s[8:9], s[8:9]
	v_mov_b32_e32 v18, s14
	s_xor_b64 exec, exec, s[8:9]
	s_cbranch_execnz .LBB235_244
.LBB235_111:                            ;   in Loop: Header=BB235_41 Depth=1
	s_or_b64 exec, exec, s[8:9]
	s_and_saveexec_b64 s[8:9], s[0:1]
	s_cbranch_execz .LBB235_113
.LBB235_112:                            ;   in Loop: Header=BB235_41 Depth=1
	v_and_b32_e32 v6, 7, v16
	v_ffbh_u32_e32 v6, v6
	v_bfe_u32 v18, v16, 3, 4
	v_min_u32_e32 v6, 32, v6
	v_subrev_u32_e32 v19, 28, v6
	v_sub_u32_e32 v6, 29, v6
	v_cmp_eq_u32_e64 s[0:1], 0, v18
	s_nop 1
	v_cndmask_b32_e64 v6, v18, v6, s[0:1]
	v_cndmask_b32_e64 v18, 0, v19, s[0:1]
	v_lshlrev_b64 v[18:19], v18, v[16:17]
	v_lshlrev_b32_e32 v19, 8, v16
	v_lshl_add_u32 v6, v6, 10, v24
	v_lshlrev_b32_e32 v18, 7, v18
	v_and_or_b32 v6, v19, s27, v6
	v_and_or_b32 v6, v18, s28, v6
	v_cvt_f32_f16_e32 v18, v6
.LBB235_113:                            ;   in Loop: Header=BB235_41 Depth=1
	s_or_b64 exec, exec, s[8:9]
	v_lshrrev_b16_e32 v6, 8, v16
	v_cmp_lt_i16_e64 s[0:1], s25, v6
	s_mov_b64 s[8:9], 0
                                        ; implicit-def: $sgpr34
	s_and_saveexec_b64 s[12:13], s[0:1]
	s_xor_b64 s[12:13], exec, s[12:13]
	s_cbranch_execnz .LBB235_245
; %bb.114:                              ;   in Loop: Header=BB235_41 Depth=1
	s_or_saveexec_b64 s[12:13], s[12:13]
	v_mov_b32_e32 v20, s34
	s_xor_b64 exec, exec, s[12:13]
	s_cbranch_execnz .LBB235_248
.LBB235_115:                            ;   in Loop: Header=BB235_41 Depth=1
	s_or_b64 exec, exec, s[12:13]
	s_and_saveexec_b64 s[12:13], s[8:9]
	s_cbranch_execz .LBB235_117
.LBB235_116:                            ;   in Loop: Header=BB235_41 Depth=1
	v_and_b32_e32 v19, 7, v6
	v_ffbh_u32_e32 v20, v19
	v_min_u32_e32 v41, 32, v20
	v_subrev_u32_e32 v20, 28, v41
	v_bfe_u32 v40, v6, 3, 4
	v_lshlrev_b64 v[20:21], v20, v[6:7]
	v_sub_u32_e32 v21, 29, v41
	v_cmp_eq_u32_e64 s[0:1], 0, v40
	v_and_b32_e32 v20, 7, v20
	v_lshlrev_b32_e32 v6, 8, v6
	v_cndmask_b32_e64 v21, v40, v21, s[0:1]
	v_cndmask_b32_e64 v19, v19, v20, s[0:1]
	v_lshl_add_u32 v20, v21, 10, v24
	v_and_or_b32 v6, v6, s27, v20
	v_lshl_or_b32 v6, v19, 7, v6
	v_cvt_f32_f16_e32 v20, v6
.LBB235_117:                            ;   in Loop: Header=BB235_41 Depth=1
	s_or_b64 exec, exec, s[12:13]
	v_lshrrev_b32_e32 v6, 16, v16
	v_cmp_gt_i16_sdwa s[8:9], v6, s25 src0_sel:BYTE_0 src1_sel:DWORD
	s_mov_b64 s[0:1], 0
                                        ; implicit-def: $sgpr14
	s_and_saveexec_b64 s[12:13], s[8:9]
	s_xor_b64 s[8:9], exec, s[12:13]
	s_cbranch_execnz .LBB235_249
; %bb.118:                              ;   in Loop: Header=BB235_41 Depth=1
	s_or_saveexec_b64 s[8:9], s[8:9]
	v_mov_b32_e32 v19, s14
	s_xor_b64 exec, exec, s[8:9]
	s_cbranch_execnz .LBB235_252
.LBB235_119:                            ;   in Loop: Header=BB235_41 Depth=1
	s_or_b64 exec, exec, s[8:9]
	s_and_saveexec_b64 s[8:9], s[0:1]
	s_cbranch_execz .LBB235_121
.LBB235_120:                            ;   in Loop: Header=BB235_41 Depth=1
	v_bfe_u32 v19, v16, 16, 3
	v_ffbh_u32_e32 v40, v19
	v_min_u32_e32 v42, 32, v40
	v_subrev_u32_e32 v40, 28, v42
	v_bfe_u32 v21, v16, 19, 4
	v_lshlrev_b64 v[40:41], v40, v[6:7]
	v_sub_u32_e32 v41, 29, v42
	v_cmp_eq_u32_e64 s[0:1], 0, v21
	v_and_b32_e32 v40, 7, v40
	v_lshlrev_b32_e32 v6, 8, v6
	v_cndmask_b32_e64 v21, v21, v41, s[0:1]
	v_lshl_add_u32 v21, v21, 10, v24
	v_cndmask_b32_e64 v19, v19, v40, s[0:1]
	v_and_or_b32 v6, v6, s27, v21
	v_lshl_or_b32 v6, v19, 7, v6
	v_cvt_f32_f16_e32 v19, v6
.LBB235_121:                            ;   in Loop: Header=BB235_41 Depth=1
	s_or_b64 exec, exec, s[8:9]
	v_lshrrev_b32_e32 v6, 24, v16
	v_cmp_lt_i16_e64 s[0:1], s25, v6
	s_mov_b64 s[8:9], 0
                                        ; implicit-def: $sgpr34
	s_and_saveexec_b64 s[12:13], s[0:1]
	s_xor_b64 s[12:13], exec, s[12:13]
	s_cbranch_execnz .LBB235_253
; %bb.122:                              ;   in Loop: Header=BB235_41 Depth=1
	s_or_saveexec_b64 s[12:13], s[12:13]
	v_mov_b32_e32 v21, s34
	s_xor_b64 exec, exec, s[12:13]
	s_cbranch_execnz .LBB235_256
.LBB235_123:                            ;   in Loop: Header=BB235_41 Depth=1
	s_or_b64 exec, exec, s[12:13]
	s_and_saveexec_b64 s[12:13], s[8:9]
	s_cbranch_execz .LBB235_125
.LBB235_124:                            ;   in Loop: Header=BB235_41 Depth=1
	v_bfe_u32 v21, v16, 24, 3
	v_ffbh_u32_e32 v40, v21
	v_min_u32_e32 v42, 32, v40
	v_subrev_u32_e32 v40, 28, v42
	v_bfe_u32 v16, v16, 27, 4
	v_lshlrev_b64 v[40:41], v40, v[6:7]
	v_sub_u32_e32 v41, 29, v42
	v_cmp_eq_u32_e64 s[0:1], 0, v16
	v_and_b32_e32 v40, 7, v40
	v_lshlrev_b32_e32 v6, 8, v6
	v_cndmask_b32_e64 v16, v16, v41, s[0:1]
	v_lshl_add_u32 v16, v16, 10, v24
	v_cndmask_b32_e64 v21, v21, v40, s[0:1]
	v_and_or_b32 v6, v6, s27, v16
	v_lshl_or_b32 v6, v21, 7, v6
	v_cvt_f32_f16_e32 v21, v6
.LBB235_125:                            ;   in Loop: Header=BB235_41 Depth=1
	s_or_b64 exec, exec, s[12:13]
	v_cmp_gt_i16_sdwa s[8:9], v17, s25 src0_sel:BYTE_0 src1_sel:DWORD
	s_mov_b64 s[0:1], 0
                                        ; implicit-def: $sgpr14
	s_and_saveexec_b64 s[12:13], s[8:9]
	s_xor_b64 s[8:9], exec, s[12:13]
	s_cbranch_execnz .LBB235_257
; %bb.126:                              ;   in Loop: Header=BB235_41 Depth=1
	s_or_saveexec_b64 s[8:9], s[8:9]
	v_mov_b32_e32 v16, s14
	s_xor_b64 exec, exec, s[8:9]
	s_cbranch_execnz .LBB235_260
.LBB235_127:                            ;   in Loop: Header=BB235_41 Depth=1
	s_or_b64 exec, exec, s[8:9]
	v_mov_b32_e32 v6, v17
	s_and_saveexec_b64 s[8:9], s[0:1]
	s_cbranch_execz .LBB235_129
.LBB235_128:                            ;   in Loop: Header=BB235_41 Depth=1
	v_and_b32_e32 v16, 7, v17
	v_ffbh_u32_e32 v16, v16
	v_bfe_u32 v40, v17, 3, 4
	v_min_u32_e32 v16, 32, v16
	v_subrev_u32_e32 v41, 28, v16
	v_sub_u32_e32 v16, 29, v16
	v_cmp_eq_u32_e64 s[0:1], 0, v40
	s_nop 1
	v_cndmask_b32_e64 v16, v40, v16, s[0:1]
	v_cndmask_b32_e64 v40, 0, v41, s[0:1]
	v_lshlrev_b64 v[40:41], v40, v[6:7]
	v_lshlrev_b32_e32 v41, 8, v17
	v_lshl_add_u32 v16, v16, 10, v24
	v_lshlrev_b32_e32 v40, 7, v40
	v_and_or_b32 v16, v41, s27, v16
	v_and_or_b32 v16, v40, s28, v16
	v_cvt_f32_f16_e32 v16, v16
.LBB235_129:                            ;   in Loop: Header=BB235_41 Depth=1
	s_or_b64 exec, exec, s[8:9]
	v_lshrrev_b16_e32 v6, 8, v6
	v_cmp_lt_i16_e64 s[0:1], s25, v6
	s_mov_b64 s[8:9], 0
                                        ; implicit-def: $sgpr34
	s_and_saveexec_b64 s[12:13], s[0:1]
	s_xor_b64 s[12:13], exec, s[12:13]
	s_cbranch_execnz .LBB235_261
; %bb.130:                              ;   in Loop: Header=BB235_41 Depth=1
	s_or_saveexec_b64 s[12:13], s[12:13]
	v_mov_b32_e32 v40, s34
	s_xor_b64 exec, exec, s[12:13]
	s_cbranch_execnz .LBB235_264
.LBB235_131:                            ;   in Loop: Header=BB235_41 Depth=1
	s_or_b64 exec, exec, s[12:13]
	s_and_saveexec_b64 s[12:13], s[8:9]
	s_cbranch_execz .LBB235_133
.LBB235_132:                            ;   in Loop: Header=BB235_41 Depth=1
	v_and_b32_e32 v42, 7, v6
	v_ffbh_u32_e32 v40, v42
	v_min_u32_e32 v44, 32, v40
	v_subrev_u32_e32 v40, 28, v44
	v_bfe_u32 v43, v6, 3, 4
	v_lshlrev_b64 v[40:41], v40, v[6:7]
	v_sub_u32_e32 v41, 29, v44
	v_cmp_eq_u32_e64 s[0:1], 0, v43
	v_and_b32_e32 v40, 7, v40
	v_lshlrev_b32_e32 v6, 8, v6
	v_cndmask_b32_e64 v41, v43, v41, s[0:1]
	v_lshl_add_u32 v41, v41, 10, v24
	v_cndmask_b32_e64 v40, v42, v40, s[0:1]
	v_and_or_b32 v6, v6, s27, v41
	v_lshl_or_b32 v6, v40, 7, v6
	v_cvt_f32_f16_e32 v40, v6
.LBB235_133:                            ;   in Loop: Header=BB235_41 Depth=1
	s_or_b64 exec, exec, s[12:13]
	v_lshrrev_b32_e32 v6, 16, v17
	v_cmp_gt_i16_sdwa s[8:9], v6, s25 src0_sel:BYTE_0 src1_sel:DWORD
	s_mov_b64 s[0:1], 0
                                        ; implicit-def: $sgpr14
	s_and_saveexec_b64 s[12:13], s[8:9]
	s_xor_b64 s[8:9], exec, s[12:13]
	s_cbranch_execnz .LBB235_265
; %bb.134:                              ;   in Loop: Header=BB235_41 Depth=1
	s_or_saveexec_b64 s[8:9], s[8:9]
	v_mov_b32_e32 v41, s14
	s_xor_b64 exec, exec, s[8:9]
	s_cbranch_execnz .LBB235_268
.LBB235_135:                            ;   in Loop: Header=BB235_41 Depth=1
	s_or_b64 exec, exec, s[8:9]
	s_and_saveexec_b64 s[8:9], s[0:1]
	s_cbranch_execz .LBB235_137
.LBB235_136:                            ;   in Loop: Header=BB235_41 Depth=1
	v_bfe_u32 v41, v17, 16, 3
	v_ffbh_u32_e32 v42, v41
	v_min_u32_e32 v45, 32, v42
	v_subrev_u32_e32 v42, 28, v45
	v_bfe_u32 v44, v17, 19, 4
	v_lshlrev_b64 v[42:43], v42, v[6:7]
	v_sub_u32_e32 v43, 29, v45
	v_cmp_eq_u32_e64 s[0:1], 0, v44
	v_and_b32_e32 v42, 7, v42
	v_lshlrev_b32_e32 v6, 8, v6
	v_cndmask_b32_e64 v43, v44, v43, s[0:1]
	v_cndmask_b32_e64 v41, v41, v42, s[0:1]
	v_lshl_add_u32 v42, v43, 10, v24
	v_and_or_b32 v6, v6, s27, v42
	v_lshl_or_b32 v6, v41, 7, v6
	v_cvt_f32_f16_e32 v41, v6
.LBB235_137:                            ;   in Loop: Header=BB235_41 Depth=1
	s_or_b64 exec, exec, s[8:9]
	v_lshrrev_b32_e32 v6, 24, v17
	v_cmp_lt_i16_e64 s[0:1], s25, v6
	s_mov_b64 s[8:9], 0
                                        ; implicit-def: $sgpr34
	s_and_saveexec_b64 s[12:13], s[0:1]
	s_xor_b64 s[12:13], exec, s[12:13]
	s_cbranch_execnz .LBB235_269
; %bb.138:                              ;   in Loop: Header=BB235_41 Depth=1
	s_or_saveexec_b64 s[12:13], s[12:13]
	v_mov_b32_e32 v42, s34
	s_xor_b64 exec, exec, s[12:13]
	s_cbranch_execnz .LBB235_272
.LBB235_139:                            ;   in Loop: Header=BB235_41 Depth=1
	s_or_b64 exec, exec, s[12:13]
	s_and_saveexec_b64 s[12:13], s[8:9]
	s_cbranch_execz .LBB235_141
.LBB235_140:                            ;   in Loop: Header=BB235_41 Depth=1
	v_bfe_u32 v44, v17, 24, 3
	v_ffbh_u32_e32 v42, v44
	v_min_u32_e32 v45, 32, v42
	v_subrev_u32_e32 v42, 28, v45
	v_bfe_u32 v17, v17, 27, 4
	v_lshlrev_b64 v[42:43], v42, v[6:7]
	v_sub_u32_e32 v43, 29, v45
	v_cmp_eq_u32_e64 s[0:1], 0, v17
	v_and_b32_e32 v42, 7, v42
	v_lshlrev_b32_e32 v6, 8, v6
	v_cndmask_b32_e64 v17, v17, v43, s[0:1]
	v_lshl_add_u32 v17, v17, 10, v24
	v_cndmask_b32_e64 v42, v44, v42, s[0:1]
	v_and_or_b32 v6, v6, s27, v17
	v_lshl_or_b32 v6, v42, 7, v6
	v_cvt_f32_f16_e32 v42, v6
.LBB235_141:                            ;   in Loop: Header=BB235_41 Depth=1
	s_or_b64 exec, exec, s[12:13]
	s_waitcnt vmcnt(0)
	v_pk_mul_f32 v[20:21], v[14:15], v[20:21] op_sel_hi:[0,1]
	v_pk_mul_f32 v[18:19], v[14:15], v[18:19] op_sel_hi:[0,1]
	v_cvt_f16_f32_e32 v6, v21
	v_cvt_f16_f32_e32 v17, v20
	;; [unrolled: 1-line block ×4, first 2 shown]
	v_fma_mixlo_f16 v16, v14, v16, 0
	v_pack_b32_f16 v17, v17, v6
	v_pack_b32_f16 v18, v18, v19
	v_perm_b32 v6, v18, v17, s29
	v_perm_b32 v17, v18, v17, s31
	v_fma_mixlo_f16 v18, v14, v40, 0
	v_lshlrev_b32_e32 v18, 16, v18
	v_or_b32_sdwa v16, v18, v16 dst_sel:DWORD dst_unused:UNUSED_PAD src0_sel:DWORD src1_sel:WORD_0
	v_fma_mixlo_f16 v18, v14, v41, 0
	v_fma_mixlo_f16 v14, v14, v42, 0
	v_lshlrev_b32_e32 v14, 16, v14
	v_or_b32_sdwa v14, v14, v18 dst_sel:DWORD dst_unused:UNUSED_PAD src0_sel:DWORD src1_sel:WORD_0
	s_and_saveexec_b64 s[8:9], vcc
	s_cbranch_execz .LBB235_143
; %bb.142:                              ;   in Loop: Header=BB235_41 Depth=1
	v_lshrrev_b32_e32 v19, 16, v17
	v_cmp_gt_i32_e64 s[0:1], s19, v31
	v_lshrrev_b32_e32 v14, 16, v14
	s_nop 0
	v_cndmask_b32_e64 v19, 0, v19, s[0:1]
	v_cmp_gt_i32_e64 s[0:1], s30, v22
	s_nop 1
	v_cndmask_b32_e64 v17, 0, v17, s[0:1]
	v_perm_b32 v17, v19, v17, s33
	v_lshrrev_b32_e32 v19, 16, v6
	v_cmp_gt_i32_e64 s[0:1], s19, v30
	s_nop 1
	v_cndmask_b32_e64 v19, 0, v19, s[0:1]
	v_cmp_gt_i32_e64 s[0:1], s30, v29
	s_nop 1
	v_cndmask_b32_e64 v6, 0, v6, s[0:1]
	v_perm_b32 v6, v19, v6, s33
	v_lshrrev_b32_e32 v19, 16, v16
	v_cmp_gt_i32_e64 s[0:1], s19, v28
	s_nop 1
	v_cndmask_b32_e64 v19, 0, v19, s[0:1]
	v_cmp_gt_i32_e64 s[0:1], s30, v27
	s_nop 1
	v_cndmask_b32_e64 v16, 0, v16, s[0:1]
	v_cmp_gt_i32_e64 s[0:1], s19, v26
	v_perm_b32 v16, v19, v16, s33
	s_nop 0
	v_cndmask_b32_e64 v14, 0, v14, s[0:1]
	v_cmp_gt_i32_e64 s[0:1], s30, v25
	s_nop 1
	v_cndmask_b32_e64 v18, 0, v18, s[0:1]
	v_perm_b32 v14, v14, v18, s33
.LBB235_143:                            ;   in Loop: Header=BB235_41 Depth=1
	s_or_b64 exec, exec, s[8:9]
	;;#ASMSTART
	v_pk_mul_f16 v17, v32, v17;

	;;#ASMEND
	;;#ASMSTART
	v_pk_mul_f16 v6, v33, v6;

	;;#ASMEND
	;; [unrolled: 4-line block ×4, first 2 shown]
	s_mov_b64 s[0:1], 0
	;;#ASMSTART
	v_pk_add_f16 v6, v17, v6;

	;;#ASMEND
                                        ; implicit-def: $sgpr14
	s_nop 0
	;;#ASMSTART
	v_pk_add_f16 v6, v6, v16;

	;;#ASMEND
	s_nop 0
	;;#ASMSTART
	v_pk_add_f16 v6, v6, v14;

	;;#ASMEND
	s_nop 0
	v_lshrrev_b32_e32 v14, 16, v6
	v_and_b32_e32 v6, 0xffff, v6
	;;#ASMSTART
	v_cvt_f32_f16 v20, v6;
	;;#ASMEND
	;;#ASMSTART
	v_cvt_f32_f16 v21, v14;
	;;#ASMEND
	global_load_dwordx2 v[16:17], v[12:13], off offset:1536
	global_load_dword v14, v7, s[10:11]
	s_waitcnt vmcnt(1)
	v_cmp_gt_i16_sdwa s[8:9], v16, s25 src0_sel:BYTE_0 src1_sel:DWORD
	s_and_saveexec_b64 s[12:13], s[8:9]
	s_xor_b64 s[8:9], exec, s[12:13]
	s_cbranch_execnz .LBB235_273
; %bb.144:                              ;   in Loop: Header=BB235_41 Depth=1
	s_or_saveexec_b64 s[8:9], s[8:9]
	v_mov_b32_e32 v12, s14
	s_xor_b64 exec, exec, s[8:9]
	s_cbranch_execnz .LBB235_276
.LBB235_145:                            ;   in Loop: Header=BB235_41 Depth=1
	s_or_b64 exec, exec, s[8:9]
	s_and_saveexec_b64 s[8:9], s[0:1]
	s_cbranch_execz .LBB235_147
.LBB235_146:                            ;   in Loop: Header=BB235_41 Depth=1
	v_and_b32_e32 v6, 7, v16
	v_ffbh_u32_e32 v6, v6
	v_bfe_u32 v12, v16, 3, 4
	v_min_u32_e32 v6, 32, v6
	v_subrev_u32_e32 v13, 28, v6
	v_sub_u32_e32 v6, 29, v6
	v_cmp_eq_u32_e64 s[0:1], 0, v12
	s_nop 1
	v_cndmask_b32_e64 v6, v12, v6, s[0:1]
	v_cndmask_b32_e64 v12, 0, v13, s[0:1]
	v_lshlrev_b64 v[12:13], v12, v[16:17]
	v_lshlrev_b32_e32 v13, 8, v16
	v_lshl_add_u32 v6, v6, 10, v24
	v_lshlrev_b32_e32 v12, 7, v12
	v_and_or_b32 v6, v13, s27, v6
	v_and_or_b32 v6, v12, s28, v6
	v_cvt_f32_f16_e32 v12, v6
.LBB235_147:                            ;   in Loop: Header=BB235_41 Depth=1
	s_or_b64 exec, exec, s[8:9]
	v_lshrrev_b16_e32 v6, 8, v16
	v_cmp_lt_i16_e64 s[0:1], s25, v6
	s_mov_b64 s[8:9], 0
                                        ; implicit-def: $sgpr34
	s_and_saveexec_b64 s[12:13], s[0:1]
	s_xor_b64 s[12:13], exec, s[12:13]
	s_cbranch_execnz .LBB235_277
; %bb.148:                              ;   in Loop: Header=BB235_41 Depth=1
	s_or_saveexec_b64 s[12:13], s[12:13]
	v_mov_b32_e32 v18, s34
	s_xor_b64 exec, exec, s[12:13]
	s_cbranch_execnz .LBB235_280
.LBB235_149:                            ;   in Loop: Header=BB235_41 Depth=1
	s_or_b64 exec, exec, s[12:13]
	s_and_saveexec_b64 s[12:13], s[8:9]
	s_cbranch_execz .LBB235_151
.LBB235_150:                            ;   in Loop: Header=BB235_41 Depth=1
	v_and_b32_e32 v13, 7, v6
	v_ffbh_u32_e32 v18, v13
	v_min_u32_e32 v41, 32, v18
	v_subrev_u32_e32 v18, 28, v41
	v_bfe_u32 v40, v6, 3, 4
	v_lshlrev_b64 v[18:19], v18, v[6:7]
	v_sub_u32_e32 v19, 29, v41
	v_cmp_eq_u32_e64 s[0:1], 0, v40
	v_and_b32_e32 v18, 7, v18
	v_lshlrev_b32_e32 v6, 8, v6
	v_cndmask_b32_e64 v19, v40, v19, s[0:1]
	v_cndmask_b32_e64 v13, v13, v18, s[0:1]
	v_lshl_add_u32 v18, v19, 10, v24
	v_and_or_b32 v6, v6, s27, v18
	v_lshl_or_b32 v6, v13, 7, v6
	v_cvt_f32_f16_e32 v18, v6
.LBB235_151:                            ;   in Loop: Header=BB235_41 Depth=1
	s_or_b64 exec, exec, s[12:13]
	v_lshrrev_b32_e32 v6, 16, v16
	v_cmp_gt_i16_sdwa s[8:9], v6, s25 src0_sel:BYTE_0 src1_sel:DWORD
	s_mov_b64 s[0:1], 0
                                        ; implicit-def: $sgpr14
	s_and_saveexec_b64 s[12:13], s[8:9]
	s_xor_b64 s[8:9], exec, s[12:13]
	s_cbranch_execnz .LBB235_281
; %bb.152:                              ;   in Loop: Header=BB235_41 Depth=1
	s_or_saveexec_b64 s[8:9], s[8:9]
	v_mov_b32_e32 v13, s14
	s_xor_b64 exec, exec, s[8:9]
	s_cbranch_execnz .LBB235_284
.LBB235_153:                            ;   in Loop: Header=BB235_41 Depth=1
	s_or_b64 exec, exec, s[8:9]
	s_and_saveexec_b64 s[8:9], s[0:1]
	s_cbranch_execz .LBB235_155
.LBB235_154:                            ;   in Loop: Header=BB235_41 Depth=1
	v_bfe_u32 v13, v16, 16, 3
	v_ffbh_u32_e32 v40, v13
	v_min_u32_e32 v42, 32, v40
	v_subrev_u32_e32 v40, 28, v42
	v_bfe_u32 v19, v16, 19, 4
	v_lshlrev_b64 v[40:41], v40, v[6:7]
	v_sub_u32_e32 v41, 29, v42
	v_cmp_eq_u32_e64 s[0:1], 0, v19
	v_and_b32_e32 v40, 7, v40
	v_lshlrev_b32_e32 v6, 8, v6
	v_cndmask_b32_e64 v19, v19, v41, s[0:1]
	v_lshl_add_u32 v19, v19, 10, v24
	v_cndmask_b32_e64 v13, v13, v40, s[0:1]
	v_and_or_b32 v6, v6, s27, v19
	v_lshl_or_b32 v6, v13, 7, v6
	v_cvt_f32_f16_e32 v13, v6
.LBB235_155:                            ;   in Loop: Header=BB235_41 Depth=1
	s_or_b64 exec, exec, s[8:9]
	v_lshrrev_b32_e32 v6, 24, v16
	v_cmp_lt_i16_e64 s[0:1], s25, v6
	s_mov_b64 s[8:9], 0
                                        ; implicit-def: $sgpr34
	s_and_saveexec_b64 s[12:13], s[0:1]
	s_xor_b64 s[12:13], exec, s[12:13]
	s_cbranch_execnz .LBB235_285
; %bb.156:                              ;   in Loop: Header=BB235_41 Depth=1
	s_or_saveexec_b64 s[12:13], s[12:13]
	v_mov_b32_e32 v19, s34
	s_xor_b64 exec, exec, s[12:13]
	s_cbranch_execnz .LBB235_288
.LBB235_157:                            ;   in Loop: Header=BB235_41 Depth=1
	s_or_b64 exec, exec, s[12:13]
	s_and_saveexec_b64 s[12:13], s[8:9]
	s_cbranch_execz .LBB235_159
.LBB235_158:                            ;   in Loop: Header=BB235_41 Depth=1
	v_bfe_u32 v19, v16, 24, 3
	v_ffbh_u32_e32 v40, v19
	v_min_u32_e32 v42, 32, v40
	v_subrev_u32_e32 v40, 28, v42
	v_bfe_u32 v16, v16, 27, 4
	v_lshlrev_b64 v[40:41], v40, v[6:7]
	v_sub_u32_e32 v41, 29, v42
	v_cmp_eq_u32_e64 s[0:1], 0, v16
	v_and_b32_e32 v40, 7, v40
	v_lshlrev_b32_e32 v6, 8, v6
	v_cndmask_b32_e64 v16, v16, v41, s[0:1]
	v_lshl_add_u32 v16, v16, 10, v24
	v_cndmask_b32_e64 v19, v19, v40, s[0:1]
	v_and_or_b32 v6, v6, s27, v16
	v_lshl_or_b32 v6, v19, 7, v6
	v_cvt_f32_f16_e32 v19, v6
.LBB235_159:                            ;   in Loop: Header=BB235_41 Depth=1
	s_or_b64 exec, exec, s[12:13]
	v_cmp_gt_i16_sdwa s[8:9], v17, s25 src0_sel:BYTE_0 src1_sel:DWORD
	s_mov_b64 s[0:1], 0
                                        ; implicit-def: $sgpr14
	s_and_saveexec_b64 s[12:13], s[8:9]
	s_xor_b64 s[8:9], exec, s[12:13]
	s_cbranch_execnz .LBB235_289
; %bb.160:                              ;   in Loop: Header=BB235_41 Depth=1
	s_or_saveexec_b64 s[8:9], s[8:9]
	v_mov_b32_e32 v16, s14
	s_xor_b64 exec, exec, s[8:9]
	s_cbranch_execnz .LBB235_292
.LBB235_161:                            ;   in Loop: Header=BB235_41 Depth=1
	s_or_b64 exec, exec, s[8:9]
	v_mov_b32_e32 v6, v17
	s_and_saveexec_b64 s[8:9], s[0:1]
	s_cbranch_execz .LBB235_163
.LBB235_162:                            ;   in Loop: Header=BB235_41 Depth=1
	v_and_b32_e32 v16, 7, v17
	v_ffbh_u32_e32 v16, v16
	v_bfe_u32 v40, v17, 3, 4
	v_min_u32_e32 v16, 32, v16
	v_subrev_u32_e32 v41, 28, v16
	v_sub_u32_e32 v16, 29, v16
	v_cmp_eq_u32_e64 s[0:1], 0, v40
	s_nop 1
	v_cndmask_b32_e64 v16, v40, v16, s[0:1]
	v_cndmask_b32_e64 v40, 0, v41, s[0:1]
	v_lshlrev_b64 v[40:41], v40, v[6:7]
	v_lshlrev_b32_e32 v41, 8, v17
	v_lshl_add_u32 v16, v16, 10, v24
	v_lshlrev_b32_e32 v40, 7, v40
	v_and_or_b32 v16, v41, s27, v16
	v_and_or_b32 v16, v40, s28, v16
	v_cvt_f32_f16_e32 v16, v16
.LBB235_163:                            ;   in Loop: Header=BB235_41 Depth=1
	s_or_b64 exec, exec, s[8:9]
	v_lshrrev_b16_e32 v6, 8, v6
	v_cmp_lt_i16_e64 s[0:1], s25, v6
	s_mov_b64 s[8:9], 0
                                        ; implicit-def: $sgpr34
	s_and_saveexec_b64 s[12:13], s[0:1]
	s_xor_b64 s[12:13], exec, s[12:13]
	s_cbranch_execnz .LBB235_293
; %bb.164:                              ;   in Loop: Header=BB235_41 Depth=1
	s_or_saveexec_b64 s[12:13], s[12:13]
	v_mov_b32_e32 v40, s34
	s_xor_b64 exec, exec, s[12:13]
	s_cbranch_execnz .LBB235_296
.LBB235_165:                            ;   in Loop: Header=BB235_41 Depth=1
	s_or_b64 exec, exec, s[12:13]
	s_and_saveexec_b64 s[12:13], s[8:9]
	s_cbranch_execz .LBB235_167
.LBB235_166:                            ;   in Loop: Header=BB235_41 Depth=1
	v_and_b32_e32 v42, 7, v6
	v_ffbh_u32_e32 v40, v42
	v_min_u32_e32 v44, 32, v40
	v_subrev_u32_e32 v40, 28, v44
	v_bfe_u32 v43, v6, 3, 4
	v_lshlrev_b64 v[40:41], v40, v[6:7]
	v_sub_u32_e32 v41, 29, v44
	v_cmp_eq_u32_e64 s[0:1], 0, v43
	v_and_b32_e32 v40, 7, v40
	v_lshlrev_b32_e32 v6, 8, v6
	v_cndmask_b32_e64 v41, v43, v41, s[0:1]
	v_lshl_add_u32 v41, v41, 10, v24
	v_cndmask_b32_e64 v40, v42, v40, s[0:1]
	v_and_or_b32 v6, v6, s27, v41
	v_lshl_or_b32 v6, v40, 7, v6
	v_cvt_f32_f16_e32 v40, v6
.LBB235_167:                            ;   in Loop: Header=BB235_41 Depth=1
	s_or_b64 exec, exec, s[12:13]
	v_lshrrev_b32_e32 v6, 16, v17
	v_cmp_gt_i16_sdwa s[8:9], v6, s25 src0_sel:BYTE_0 src1_sel:DWORD
	s_mov_b64 s[0:1], 0
                                        ; implicit-def: $sgpr14
	s_and_saveexec_b64 s[12:13], s[8:9]
	s_xor_b64 s[8:9], exec, s[12:13]
	s_cbranch_execnz .LBB235_297
; %bb.168:                              ;   in Loop: Header=BB235_41 Depth=1
	s_or_saveexec_b64 s[8:9], s[8:9]
	v_mov_b32_e32 v41, s14
	s_xor_b64 exec, exec, s[8:9]
	s_cbranch_execnz .LBB235_300
.LBB235_169:                            ;   in Loop: Header=BB235_41 Depth=1
	s_or_b64 exec, exec, s[8:9]
	s_and_saveexec_b64 s[8:9], s[0:1]
	s_cbranch_execz .LBB235_171
.LBB235_170:                            ;   in Loop: Header=BB235_41 Depth=1
	v_bfe_u32 v41, v17, 16, 3
	v_ffbh_u32_e32 v42, v41
	v_min_u32_e32 v45, 32, v42
	v_subrev_u32_e32 v42, 28, v45
	v_bfe_u32 v44, v17, 19, 4
	v_lshlrev_b64 v[42:43], v42, v[6:7]
	v_sub_u32_e32 v43, 29, v45
	v_cmp_eq_u32_e64 s[0:1], 0, v44
	v_and_b32_e32 v42, 7, v42
	v_lshlrev_b32_e32 v6, 8, v6
	v_cndmask_b32_e64 v43, v44, v43, s[0:1]
	v_cndmask_b32_e64 v41, v41, v42, s[0:1]
	v_lshl_add_u32 v42, v43, 10, v24
	v_and_or_b32 v6, v6, s27, v42
	v_lshl_or_b32 v6, v41, 7, v6
	v_cvt_f32_f16_e32 v41, v6
.LBB235_171:                            ;   in Loop: Header=BB235_41 Depth=1
	s_or_b64 exec, exec, s[8:9]
	v_lshrrev_b32_e32 v6, 24, v17
	v_cmp_lt_i16_e64 s[0:1], s25, v6
	s_mov_b64 s[8:9], 0
                                        ; implicit-def: $sgpr34
	s_and_saveexec_b64 s[12:13], s[0:1]
	s_xor_b64 s[12:13], exec, s[12:13]
	s_cbranch_execnz .LBB235_301
; %bb.172:                              ;   in Loop: Header=BB235_41 Depth=1
	s_or_saveexec_b64 s[12:13], s[12:13]
	v_mov_b32_e32 v42, s34
	s_xor_b64 exec, exec, s[12:13]
	s_cbranch_execnz .LBB235_304
.LBB235_173:                            ;   in Loop: Header=BB235_41 Depth=1
	s_or_b64 exec, exec, s[12:13]
	s_and_saveexec_b64 s[12:13], s[8:9]
	s_cbranch_execz .LBB235_175
.LBB235_174:                            ;   in Loop: Header=BB235_41 Depth=1
	v_bfe_u32 v44, v17, 24, 3
	v_ffbh_u32_e32 v42, v44
	v_min_u32_e32 v45, 32, v42
	v_subrev_u32_e32 v42, 28, v45
	v_bfe_u32 v17, v17, 27, 4
	v_lshlrev_b64 v[42:43], v42, v[6:7]
	v_sub_u32_e32 v43, 29, v45
	v_cmp_eq_u32_e64 s[0:1], 0, v17
	v_and_b32_e32 v42, 7, v42
	v_lshlrev_b32_e32 v6, 8, v6
	v_cndmask_b32_e64 v17, v17, v43, s[0:1]
	v_lshl_add_u32 v17, v17, 10, v24
	v_cndmask_b32_e64 v42, v44, v42, s[0:1]
	v_and_or_b32 v6, v6, s27, v17
	v_lshl_or_b32 v6, v42, 7, v6
	v_cvt_f32_f16_e32 v42, v6
.LBB235_175:                            ;   in Loop: Header=BB235_41 Depth=1
	s_or_b64 exec, exec, s[12:13]
	s_waitcnt vmcnt(0)
	v_pk_mul_f32 v[12:13], v[14:15], v[12:13] op_sel_hi:[0,1]
	v_cvt_f16_f32_e32 v13, v13
	v_cvt_f16_f32_e32 v12, v12
	v_pk_mul_f32 v[18:19], v[14:15], v[18:19] op_sel_hi:[0,1]
	v_cvt_f16_f32_e32 v6, v19
	v_cvt_f16_f32_e32 v17, v18
	v_pack_b32_f16 v12, v12, v13
	v_fma_mixlo_f16 v13, v14, v40, 0
	v_lshlrev_b32_e32 v13, 16, v13
	v_fma_mixlo_f16 v16, v14, v16, 0
	v_or_b32_sdwa v13, v13, v16 dst_sel:DWORD dst_unused:UNUSED_PAD src0_sel:DWORD src1_sel:WORD_0
	v_fma_mixlo_f16 v16, v14, v41, 0
	v_fma_mixlo_f16 v14, v14, v42, 0
	v_pack_b32_f16 v17, v17, v6
	v_lshlrev_b32_e32 v14, 16, v14
	v_perm_b32 v6, v12, v17, s29
	v_perm_b32 v12, v12, v17, s31
	v_or_b32_sdwa v14, v14, v16 dst_sel:DWORD dst_unused:UNUSED_PAD src0_sel:DWORD src1_sel:WORD_0
	s_and_saveexec_b64 s[0:1], vcc
	s_cbranch_execz .LBB235_40
; %bb.176:                              ;   in Loop: Header=BB235_41 Depth=1
	v_lshrrev_b32_e32 v17, 16, v12
	v_cmp_gt_i32_e32 vcc, s19, v31
	v_lshrrev_b32_e32 v14, 16, v14
	s_nop 0
	v_cndmask_b32_e32 v17, 0, v17, vcc
	v_cmp_gt_i32_e32 vcc, s30, v22
	s_nop 1
	v_cndmask_b32_e32 v12, 0, v12, vcc
	v_perm_b32 v12, v17, v12, s33
	v_lshrrev_b32_e32 v17, 16, v6
	v_cmp_gt_i32_e32 vcc, s19, v30
	s_nop 1
	v_cndmask_b32_e32 v17, 0, v17, vcc
	v_cmp_gt_i32_e32 vcc, s30, v29
	s_nop 1
	v_cndmask_b32_e32 v6, 0, v6, vcc
	v_perm_b32 v6, v17, v6, s33
	v_lshrrev_b32_e32 v17, 16, v13
	v_cmp_gt_i32_e32 vcc, s19, v28
	s_nop 1
	v_cndmask_b32_e32 v17, 0, v17, vcc
	v_cmp_gt_i32_e32 vcc, s30, v27
	s_nop 1
	v_cndmask_b32_e32 v13, 0, v13, vcc
	v_cmp_gt_i32_e32 vcc, s19, v26
	v_perm_b32 v13, v17, v13, s33
	s_nop 0
	v_cndmask_b32_e32 v14, 0, v14, vcc
	v_cmp_gt_i32_e32 vcc, s30, v25
	s_nop 1
	v_cndmask_b32_e32 v16, 0, v16, vcc
	v_perm_b32 v14, v14, v16, s33
	s_branch .LBB235_40
.LBB235_177:                            ;   in Loop: Header=BB235_41 Depth=1
	v_cmp_eq_u16_sdwa s[34:35], v16, s26 src0_sel:BYTE_0 src1_sel:DWORD
	s_mov_b64 s[0:1], -1
                                        ; implicit-def: $sgpr14
	s_and_saveexec_b64 s[12:13], s[34:35]
; %bb.178:                              ;   in Loop: Header=BB235_41 Depth=1
	s_mov_b32 s14, 0x7fc02000
	s_xor_b64 s[0:1], exec, -1
; %bb.179:                              ;   in Loop: Header=BB235_41 Depth=1
	s_or_b64 exec, exec, s[12:13]
	s_and_b64 s[0:1], s[0:1], exec
	s_or_saveexec_b64 s[8:9], s[8:9]
	v_mov_b32_e32 v18, s14
	s_xor_b64 exec, exec, s[8:9]
	s_cbranch_execz .LBB235_43
.LBB235_180:                            ;   in Loop: Header=BB235_41 Depth=1
	v_cmp_ne_u16_sdwa s[12:13], v16, v7 src0_sel:BYTE_0 src1_sel:DWORD
	s_andn2_b64 s[0:1], s[0:1], exec
	s_and_b64 s[12:13], s[12:13], exec
	v_mov_b32_e32 v18, 0
	s_or_b64 s[0:1], s[0:1], s[12:13]
	s_or_b64 exec, exec, s[8:9]
	s_and_saveexec_b64 s[8:9], s[0:1]
	s_cbranch_execnz .LBB235_44
	s_branch .LBB235_45
.LBB235_181:                            ;   in Loop: Header=BB235_41 Depth=1
	v_cmp_eq_u16_e32 vcc, s26, v6
	s_mov_b64 s[0:1], -1
                                        ; implicit-def: $sgpr14
	s_and_saveexec_b64 s[12:13], vcc
; %bb.182:                              ;   in Loop: Header=BB235_41 Depth=1
	s_mov_b32 s14, 0x7fc02000
	s_xor_b64 s[0:1], exec, -1
; %bb.183:                              ;   in Loop: Header=BB235_41 Depth=1
	s_or_b64 exec, exec, s[12:13]
	s_and_b64 s[0:1], s[0:1], exec
	s_or_saveexec_b64 s[8:9], s[8:9]
	v_mov_b32_e32 v20, s14
	s_xor_b64 exec, exec, s[8:9]
	s_cbranch_execz .LBB235_47
.LBB235_184:                            ;   in Loop: Header=BB235_41 Depth=1
	v_cmp_ne_u16_e32 vcc, 0, v6
	s_andn2_b64 s[0:1], s[0:1], exec
	s_and_b64 s[12:13], vcc, exec
	v_mov_b32_e32 v20, 0
	s_or_b64 s[0:1], s[0:1], s[12:13]
	s_or_b64 exec, exec, s[8:9]
	s_and_saveexec_b64 s[8:9], s[0:1]
	s_cbranch_execnz .LBB235_48
	s_branch .LBB235_49
.LBB235_185:                            ;   in Loop: Header=BB235_41 Depth=1
	v_cmp_eq_u16_sdwa s[34:35], v6, s26 src0_sel:BYTE_0 src1_sel:DWORD
	s_mov_b64 s[0:1], -1
                                        ; implicit-def: $sgpr14
	s_and_saveexec_b64 s[12:13], s[34:35]
; %bb.186:                              ;   in Loop: Header=BB235_41 Depth=1
	s_mov_b32 s14, 0x7fc02000
	s_xor_b64 s[0:1], exec, -1
; %bb.187:                              ;   in Loop: Header=BB235_41 Depth=1
	s_or_b64 exec, exec, s[12:13]
	s_and_b64 s[0:1], s[0:1], exec
	s_or_saveexec_b64 s[8:9], s[8:9]
	v_mov_b32_e32 v19, s14
	s_xor_b64 exec, exec, s[8:9]
	s_cbranch_execz .LBB235_51
.LBB235_188:                            ;   in Loop: Header=BB235_41 Depth=1
	v_cmp_ne_u16_sdwa s[12:13], v6, v7 src0_sel:BYTE_0 src1_sel:DWORD
	s_andn2_b64 s[0:1], s[0:1], exec
	s_and_b64 s[12:13], s[12:13], exec
	v_mov_b32_e32 v19, 0
	s_or_b64 s[0:1], s[0:1], s[12:13]
	s_or_b64 exec, exec, s[8:9]
	s_and_saveexec_b64 s[8:9], s[0:1]
	s_cbranch_execnz .LBB235_52
	s_branch .LBB235_53
.LBB235_189:                            ;   in Loop: Header=BB235_41 Depth=1
	v_cmp_eq_u16_e32 vcc, s26, v6
	s_mov_b64 s[0:1], -1
                                        ; implicit-def: $sgpr14
	s_and_saveexec_b64 s[12:13], vcc
; %bb.190:                              ;   in Loop: Header=BB235_41 Depth=1
	s_mov_b32 s14, 0x7fc02000
	s_xor_b64 s[0:1], exec, -1
; %bb.191:                              ;   in Loop: Header=BB235_41 Depth=1
	s_or_b64 exec, exec, s[12:13]
	s_and_b64 s[0:1], s[0:1], exec
	s_or_saveexec_b64 s[8:9], s[8:9]
	v_mov_b32_e32 v21, s14
	s_xor_b64 exec, exec, s[8:9]
	s_cbranch_execz .LBB235_55
.LBB235_192:                            ;   in Loop: Header=BB235_41 Depth=1
	v_cmp_ne_u16_e32 vcc, 0, v6
	s_andn2_b64 s[0:1], s[0:1], exec
	s_and_b64 s[12:13], vcc, exec
	v_mov_b32_e32 v21, 0
	s_or_b64 s[0:1], s[0:1], s[12:13]
	s_or_b64 exec, exec, s[8:9]
	s_and_saveexec_b64 s[8:9], s[0:1]
	s_cbranch_execnz .LBB235_56
	s_branch .LBB235_57
.LBB235_193:                            ;   in Loop: Header=BB235_41 Depth=1
	v_cmp_eq_u16_sdwa s[34:35], v17, s26 src0_sel:BYTE_0 src1_sel:DWORD
	s_mov_b64 s[0:1], -1
                                        ; implicit-def: $sgpr14
	s_and_saveexec_b64 s[12:13], s[34:35]
; %bb.194:                              ;   in Loop: Header=BB235_41 Depth=1
	s_mov_b32 s14, 0x7fc02000
	s_xor_b64 s[0:1], exec, -1
; %bb.195:                              ;   in Loop: Header=BB235_41 Depth=1
	s_or_b64 exec, exec, s[12:13]
	s_and_b64 s[0:1], s[0:1], exec
	s_or_saveexec_b64 s[8:9], s[8:9]
	v_mov_b32_e32 v16, s14
	s_xor_b64 exec, exec, s[8:9]
	s_cbranch_execz .LBB235_59
.LBB235_196:                            ;   in Loop: Header=BB235_41 Depth=1
	v_cmp_ne_u16_sdwa s[12:13], v17, v7 src0_sel:BYTE_0 src1_sel:DWORD
	s_andn2_b64 s[0:1], s[0:1], exec
	s_and_b64 s[12:13], s[12:13], exec
	v_mov_b32_e32 v16, 0
	s_or_b64 s[0:1], s[0:1], s[12:13]
	s_or_b64 exec, exec, s[8:9]
	v_mov_b32_e32 v6, v17
	s_and_saveexec_b64 s[8:9], s[0:1]
	s_cbranch_execnz .LBB235_60
	s_branch .LBB235_61
.LBB235_197:                            ;   in Loop: Header=BB235_41 Depth=1
	v_cmp_eq_u16_e32 vcc, s26, v6
	s_mov_b64 s[0:1], -1
                                        ; implicit-def: $sgpr14
	s_and_saveexec_b64 s[12:13], vcc
; %bb.198:                              ;   in Loop: Header=BB235_41 Depth=1
	s_mov_b32 s14, 0x7fc02000
	s_xor_b64 s[0:1], exec, -1
; %bb.199:                              ;   in Loop: Header=BB235_41 Depth=1
	s_or_b64 exec, exec, s[12:13]
	s_and_b64 s[0:1], s[0:1], exec
	s_or_saveexec_b64 s[8:9], s[8:9]
	v_mov_b32_e32 v25, s14
	s_xor_b64 exec, exec, s[8:9]
	s_cbranch_execz .LBB235_63
.LBB235_200:                            ;   in Loop: Header=BB235_41 Depth=1
	v_cmp_ne_u16_e32 vcc, 0, v6
	s_andn2_b64 s[0:1], s[0:1], exec
	s_and_b64 s[12:13], vcc, exec
	v_mov_b32_e32 v25, 0
	s_or_b64 s[0:1], s[0:1], s[12:13]
	s_or_b64 exec, exec, s[8:9]
	s_and_saveexec_b64 s[8:9], s[0:1]
	s_cbranch_execnz .LBB235_64
	s_branch .LBB235_65
.LBB235_201:                            ;   in Loop: Header=BB235_41 Depth=1
	v_cmp_eq_u16_sdwa s[34:35], v6, s26 src0_sel:BYTE_0 src1_sel:DWORD
	s_mov_b64 s[0:1], -1
                                        ; implicit-def: $sgpr14
	s_and_saveexec_b64 s[12:13], s[34:35]
; %bb.202:                              ;   in Loop: Header=BB235_41 Depth=1
	s_mov_b32 s14, 0x7fc02000
	s_xor_b64 s[0:1], exec, -1
; %bb.203:                              ;   in Loop: Header=BB235_41 Depth=1
	s_or_b64 exec, exec, s[12:13]
	s_and_b64 s[0:1], s[0:1], exec
	s_or_saveexec_b64 s[8:9], s[8:9]
	v_mov_b32_e32 v26, s14
	s_xor_b64 exec, exec, s[8:9]
	s_cbranch_execz .LBB235_67
.LBB235_204:                            ;   in Loop: Header=BB235_41 Depth=1
	v_cmp_ne_u16_sdwa s[12:13], v6, v7 src0_sel:BYTE_0 src1_sel:DWORD
	s_andn2_b64 s[0:1], s[0:1], exec
	s_and_b64 s[12:13], s[12:13], exec
	v_mov_b32_e32 v26, 0
	s_or_b64 s[0:1], s[0:1], s[12:13]
	s_or_b64 exec, exec, s[8:9]
	s_and_saveexec_b64 s[8:9], s[0:1]
	s_cbranch_execnz .LBB235_68
	s_branch .LBB235_69
.LBB235_205:                            ;   in Loop: Header=BB235_41 Depth=1
	v_cmp_eq_u16_e32 vcc, s26, v6
	s_mov_b64 s[0:1], -1
                                        ; implicit-def: $sgpr14
	s_and_saveexec_b64 s[12:13], vcc
; %bb.206:                              ;   in Loop: Header=BB235_41 Depth=1
	s_mov_b32 s14, 0x7fc02000
	s_xor_b64 s[0:1], exec, -1
; %bb.207:                              ;   in Loop: Header=BB235_41 Depth=1
	s_or_b64 exec, exec, s[12:13]
	s_and_b64 s[0:1], s[0:1], exec
	s_or_saveexec_b64 s[8:9], s[8:9]
	v_mov_b32_e32 v27, s14
	s_xor_b64 exec, exec, s[8:9]
	s_cbranch_execz .LBB235_71
.LBB235_208:                            ;   in Loop: Header=BB235_41 Depth=1
	v_cmp_ne_u16_e32 vcc, 0, v6
	s_andn2_b64 s[0:1], s[0:1], exec
	s_and_b64 s[12:13], vcc, exec
	v_mov_b32_e32 v27, 0
	s_or_b64 s[0:1], s[0:1], s[12:13]
	s_or_b64 exec, exec, s[8:9]
	s_and_saveexec_b64 s[8:9], s[0:1]
	s_cbranch_execnz .LBB235_72
	s_branch .LBB235_73
.LBB235_209:                            ;   in Loop: Header=BB235_41 Depth=1
	v_cmp_eq_u16_sdwa s[34:35], v16, s26 src0_sel:BYTE_0 src1_sel:DWORD
	s_mov_b64 s[0:1], -1
                                        ; implicit-def: $sgpr14
	s_and_saveexec_b64 s[12:13], s[34:35]
; %bb.210:                              ;   in Loop: Header=BB235_41 Depth=1
	s_mov_b32 s14, 0x7fc02000
	s_xor_b64 s[0:1], exec, -1
; %bb.211:                              ;   in Loop: Header=BB235_41 Depth=1
	s_or_b64 exec, exec, s[12:13]
	s_and_b64 s[0:1], s[0:1], exec
	s_or_saveexec_b64 s[8:9], s[8:9]
	v_mov_b32_e32 v18, s14
	s_xor_b64 exec, exec, s[8:9]
	s_cbranch_execz .LBB235_77
.LBB235_212:                            ;   in Loop: Header=BB235_41 Depth=1
	v_cmp_ne_u16_sdwa s[12:13], v16, v7 src0_sel:BYTE_0 src1_sel:DWORD
	s_andn2_b64 s[0:1], s[0:1], exec
	s_and_b64 s[12:13], s[12:13], exec
	v_mov_b32_e32 v18, 0
	s_or_b64 s[0:1], s[0:1], s[12:13]
	s_or_b64 exec, exec, s[8:9]
	s_and_saveexec_b64 s[8:9], s[0:1]
	s_cbranch_execnz .LBB235_78
	s_branch .LBB235_79
.LBB235_213:                            ;   in Loop: Header=BB235_41 Depth=1
	v_cmp_eq_u16_e64 s[0:1], s26, v6
	s_mov_b64 s[8:9], -1
                                        ; implicit-def: $sgpr34
	s_and_saveexec_b64 s[14:15], s[0:1]
; %bb.214:                              ;   in Loop: Header=BB235_41 Depth=1
	s_mov_b32 s34, 0x7fc02000
	s_xor_b64 s[8:9], exec, -1
; %bb.215:                              ;   in Loop: Header=BB235_41 Depth=1
	s_or_b64 exec, exec, s[14:15]
	s_and_b64 s[8:9], s[8:9], exec
	s_or_saveexec_b64 s[12:13], s[12:13]
	v_mov_b32_e32 v20, s34
	s_xor_b64 exec, exec, s[12:13]
	s_cbranch_execz .LBB235_81
.LBB235_216:                            ;   in Loop: Header=BB235_41 Depth=1
	v_cmp_ne_u16_e64 s[0:1], 0, v6
	s_andn2_b64 s[8:9], s[8:9], exec
	s_and_b64 s[0:1], s[0:1], exec
	v_mov_b32_e32 v20, 0
	s_or_b64 s[8:9], s[8:9], s[0:1]
	s_or_b64 exec, exec, s[12:13]
	s_and_saveexec_b64 s[12:13], s[8:9]
	s_cbranch_execnz .LBB235_82
	s_branch .LBB235_83
.LBB235_217:                            ;   in Loop: Header=BB235_41 Depth=1
	v_cmp_eq_u16_sdwa s[34:35], v6, s26 src0_sel:BYTE_0 src1_sel:DWORD
	s_mov_b64 s[0:1], -1
                                        ; implicit-def: $sgpr14
	s_and_saveexec_b64 s[12:13], s[34:35]
; %bb.218:                              ;   in Loop: Header=BB235_41 Depth=1
	s_mov_b32 s14, 0x7fc02000
	s_xor_b64 s[0:1], exec, -1
; %bb.219:                              ;   in Loop: Header=BB235_41 Depth=1
	s_or_b64 exec, exec, s[12:13]
	s_and_b64 s[0:1], s[0:1], exec
	s_or_saveexec_b64 s[8:9], s[8:9]
	v_mov_b32_e32 v19, s14
	s_xor_b64 exec, exec, s[8:9]
	s_cbranch_execz .LBB235_85
.LBB235_220:                            ;   in Loop: Header=BB235_41 Depth=1
	v_cmp_ne_u16_sdwa s[12:13], v6, v7 src0_sel:BYTE_0 src1_sel:DWORD
	s_andn2_b64 s[0:1], s[0:1], exec
	s_and_b64 s[12:13], s[12:13], exec
	v_mov_b32_e32 v19, 0
	s_or_b64 s[0:1], s[0:1], s[12:13]
	s_or_b64 exec, exec, s[8:9]
	s_and_saveexec_b64 s[8:9], s[0:1]
	s_cbranch_execnz .LBB235_86
	s_branch .LBB235_87
.LBB235_221:                            ;   in Loop: Header=BB235_41 Depth=1
	v_cmp_eq_u16_e64 s[0:1], s26, v6
	s_mov_b64 s[8:9], -1
                                        ; implicit-def: $sgpr34
	s_and_saveexec_b64 s[14:15], s[0:1]
; %bb.222:                              ;   in Loop: Header=BB235_41 Depth=1
	s_mov_b32 s34, 0x7fc02000
	s_xor_b64 s[8:9], exec, -1
; %bb.223:                              ;   in Loop: Header=BB235_41 Depth=1
	s_or_b64 exec, exec, s[14:15]
	s_and_b64 s[8:9], s[8:9], exec
	s_or_saveexec_b64 s[12:13], s[12:13]
	v_mov_b32_e32 v21, s34
	s_xor_b64 exec, exec, s[12:13]
	s_cbranch_execz .LBB235_89
.LBB235_224:                            ;   in Loop: Header=BB235_41 Depth=1
	v_cmp_ne_u16_e64 s[0:1], 0, v6
	s_andn2_b64 s[8:9], s[8:9], exec
	s_and_b64 s[0:1], s[0:1], exec
	v_mov_b32_e32 v21, 0
	s_or_b64 s[8:9], s[8:9], s[0:1]
	s_or_b64 exec, exec, s[12:13]
	s_and_saveexec_b64 s[12:13], s[8:9]
	s_cbranch_execnz .LBB235_90
	s_branch .LBB235_91
.LBB235_225:                            ;   in Loop: Header=BB235_41 Depth=1
	v_cmp_eq_u16_sdwa s[34:35], v17, s26 src0_sel:BYTE_0 src1_sel:DWORD
	s_mov_b64 s[0:1], -1
                                        ; implicit-def: $sgpr14
	s_and_saveexec_b64 s[12:13], s[34:35]
; %bb.226:                              ;   in Loop: Header=BB235_41 Depth=1
	s_mov_b32 s14, 0x7fc02000
	s_xor_b64 s[0:1], exec, -1
; %bb.227:                              ;   in Loop: Header=BB235_41 Depth=1
	s_or_b64 exec, exec, s[12:13]
	s_and_b64 s[0:1], s[0:1], exec
	s_or_saveexec_b64 s[8:9], s[8:9]
	v_mov_b32_e32 v16, s14
	s_xor_b64 exec, exec, s[8:9]
	s_cbranch_execz .LBB235_93
.LBB235_228:                            ;   in Loop: Header=BB235_41 Depth=1
	v_cmp_ne_u16_sdwa s[12:13], v17, v7 src0_sel:BYTE_0 src1_sel:DWORD
	s_andn2_b64 s[0:1], s[0:1], exec
	s_and_b64 s[12:13], s[12:13], exec
	v_mov_b32_e32 v16, 0
	s_or_b64 s[0:1], s[0:1], s[12:13]
	s_or_b64 exec, exec, s[8:9]
	v_mov_b32_e32 v6, v17
	s_and_saveexec_b64 s[8:9], s[0:1]
	s_cbranch_execnz .LBB235_94
	s_branch .LBB235_95
.LBB235_229:                            ;   in Loop: Header=BB235_41 Depth=1
	v_cmp_eq_u16_e64 s[0:1], s26, v6
	s_mov_b64 s[8:9], -1
                                        ; implicit-def: $sgpr34
	s_and_saveexec_b64 s[14:15], s[0:1]
; %bb.230:                              ;   in Loop: Header=BB235_41 Depth=1
	s_mov_b32 s34, 0x7fc02000
	s_xor_b64 s[8:9], exec, -1
; %bb.231:                              ;   in Loop: Header=BB235_41 Depth=1
	s_or_b64 exec, exec, s[14:15]
	s_and_b64 s[8:9], s[8:9], exec
	s_or_saveexec_b64 s[12:13], s[12:13]
	v_mov_b32_e32 v38, s34
	s_xor_b64 exec, exec, s[12:13]
	s_cbranch_execz .LBB235_97
.LBB235_232:                            ;   in Loop: Header=BB235_41 Depth=1
	v_cmp_ne_u16_e64 s[0:1], 0, v6
	s_andn2_b64 s[8:9], s[8:9], exec
	s_and_b64 s[0:1], s[0:1], exec
	v_mov_b32_e32 v38, 0
	s_or_b64 s[8:9], s[8:9], s[0:1]
	s_or_b64 exec, exec, s[12:13]
	s_and_saveexec_b64 s[12:13], s[8:9]
	s_cbranch_execnz .LBB235_98
	s_branch .LBB235_99
.LBB235_233:                            ;   in Loop: Header=BB235_41 Depth=1
	v_cmp_eq_u16_sdwa s[34:35], v6, s26 src0_sel:BYTE_0 src1_sel:DWORD
	s_mov_b64 s[0:1], -1
                                        ; implicit-def: $sgpr14
	s_and_saveexec_b64 s[12:13], s[34:35]
; %bb.234:                              ;   in Loop: Header=BB235_41 Depth=1
	s_mov_b32 s14, 0x7fc02000
	s_xor_b64 s[0:1], exec, -1
; %bb.235:                              ;   in Loop: Header=BB235_41 Depth=1
	s_or_b64 exec, exec, s[12:13]
	s_and_b64 s[0:1], s[0:1], exec
	s_or_saveexec_b64 s[8:9], s[8:9]
	v_mov_b32_e32 v39, s14
	s_xor_b64 exec, exec, s[8:9]
	s_cbranch_execz .LBB235_101
.LBB235_236:                            ;   in Loop: Header=BB235_41 Depth=1
	v_cmp_ne_u16_sdwa s[12:13], v6, v7 src0_sel:BYTE_0 src1_sel:DWORD
	s_andn2_b64 s[0:1], s[0:1], exec
	s_and_b64 s[12:13], s[12:13], exec
	v_mov_b32_e32 v39, 0
	s_or_b64 s[0:1], s[0:1], s[12:13]
	s_or_b64 exec, exec, s[8:9]
	s_and_saveexec_b64 s[8:9], s[0:1]
	s_cbranch_execnz .LBB235_102
	s_branch .LBB235_103
.LBB235_237:                            ;   in Loop: Header=BB235_41 Depth=1
	v_cmp_eq_u16_e64 s[0:1], s26, v6
	s_mov_b64 s[8:9], -1
                                        ; implicit-def: $sgpr34
	s_and_saveexec_b64 s[14:15], s[0:1]
; %bb.238:                              ;   in Loop: Header=BB235_41 Depth=1
	s_mov_b32 s34, 0x7fc02000
	s_xor_b64 s[8:9], exec, -1
; %bb.239:                              ;   in Loop: Header=BB235_41 Depth=1
	s_or_b64 exec, exec, s[14:15]
	s_and_b64 s[8:9], s[8:9], exec
	s_or_saveexec_b64 s[12:13], s[12:13]
	v_mov_b32_e32 v40, s34
	s_xor_b64 exec, exec, s[12:13]
	s_cbranch_execz .LBB235_105
.LBB235_240:                            ;   in Loop: Header=BB235_41 Depth=1
	v_cmp_ne_u16_e64 s[0:1], 0, v6
	s_andn2_b64 s[8:9], s[8:9], exec
	s_and_b64 s[0:1], s[0:1], exec
	v_mov_b32_e32 v40, 0
	s_or_b64 s[8:9], s[8:9], s[0:1]
	s_or_b64 exec, exec, s[12:13]
	s_and_saveexec_b64 s[12:13], s[8:9]
	s_cbranch_execnz .LBB235_106
	s_branch .LBB235_107
.LBB235_241:                            ;   in Loop: Header=BB235_41 Depth=1
	v_cmp_eq_u16_sdwa s[34:35], v16, s26 src0_sel:BYTE_0 src1_sel:DWORD
	s_mov_b64 s[0:1], -1
                                        ; implicit-def: $sgpr14
	s_and_saveexec_b64 s[12:13], s[34:35]
; %bb.242:                              ;   in Loop: Header=BB235_41 Depth=1
	s_mov_b32 s14, 0x7fc02000
	s_xor_b64 s[0:1], exec, -1
; %bb.243:                              ;   in Loop: Header=BB235_41 Depth=1
	s_or_b64 exec, exec, s[12:13]
	s_and_b64 s[0:1], s[0:1], exec
	s_or_saveexec_b64 s[8:9], s[8:9]
	v_mov_b32_e32 v18, s14
	s_xor_b64 exec, exec, s[8:9]
	s_cbranch_execz .LBB235_111
.LBB235_244:                            ;   in Loop: Header=BB235_41 Depth=1
	v_cmp_ne_u16_sdwa s[12:13], v16, v7 src0_sel:BYTE_0 src1_sel:DWORD
	s_andn2_b64 s[0:1], s[0:1], exec
	s_and_b64 s[12:13], s[12:13], exec
	v_mov_b32_e32 v18, 0
	s_or_b64 s[0:1], s[0:1], s[12:13]
	s_or_b64 exec, exec, s[8:9]
	s_and_saveexec_b64 s[8:9], s[0:1]
	s_cbranch_execnz .LBB235_112
	s_branch .LBB235_113
.LBB235_245:                            ;   in Loop: Header=BB235_41 Depth=1
	v_cmp_eq_u16_e64 s[0:1], s26, v6
	s_mov_b64 s[8:9], -1
                                        ; implicit-def: $sgpr34
	s_and_saveexec_b64 s[14:15], s[0:1]
; %bb.246:                              ;   in Loop: Header=BB235_41 Depth=1
	s_mov_b32 s34, 0x7fc02000
	s_xor_b64 s[8:9], exec, -1
; %bb.247:                              ;   in Loop: Header=BB235_41 Depth=1
	s_or_b64 exec, exec, s[14:15]
	s_and_b64 s[8:9], s[8:9], exec
	s_or_saveexec_b64 s[12:13], s[12:13]
	v_mov_b32_e32 v20, s34
	s_xor_b64 exec, exec, s[12:13]
	s_cbranch_execz .LBB235_115
.LBB235_248:                            ;   in Loop: Header=BB235_41 Depth=1
	v_cmp_ne_u16_e64 s[0:1], 0, v6
	s_andn2_b64 s[8:9], s[8:9], exec
	s_and_b64 s[0:1], s[0:1], exec
	v_mov_b32_e32 v20, 0
	s_or_b64 s[8:9], s[8:9], s[0:1]
	s_or_b64 exec, exec, s[12:13]
	s_and_saveexec_b64 s[12:13], s[8:9]
	s_cbranch_execnz .LBB235_116
	s_branch .LBB235_117
.LBB235_249:                            ;   in Loop: Header=BB235_41 Depth=1
	v_cmp_eq_u16_sdwa s[34:35], v6, s26 src0_sel:BYTE_0 src1_sel:DWORD
	s_mov_b64 s[0:1], -1
                                        ; implicit-def: $sgpr14
	s_and_saveexec_b64 s[12:13], s[34:35]
; %bb.250:                              ;   in Loop: Header=BB235_41 Depth=1
	s_mov_b32 s14, 0x7fc02000
	s_xor_b64 s[0:1], exec, -1
; %bb.251:                              ;   in Loop: Header=BB235_41 Depth=1
	s_or_b64 exec, exec, s[12:13]
	s_and_b64 s[0:1], s[0:1], exec
	s_or_saveexec_b64 s[8:9], s[8:9]
	v_mov_b32_e32 v19, s14
	s_xor_b64 exec, exec, s[8:9]
	s_cbranch_execz .LBB235_119
.LBB235_252:                            ;   in Loop: Header=BB235_41 Depth=1
	v_cmp_ne_u16_sdwa s[12:13], v6, v7 src0_sel:BYTE_0 src1_sel:DWORD
	s_andn2_b64 s[0:1], s[0:1], exec
	s_and_b64 s[12:13], s[12:13], exec
	v_mov_b32_e32 v19, 0
	s_or_b64 s[0:1], s[0:1], s[12:13]
	s_or_b64 exec, exec, s[8:9]
	s_and_saveexec_b64 s[8:9], s[0:1]
	s_cbranch_execnz .LBB235_120
	s_branch .LBB235_121
.LBB235_253:                            ;   in Loop: Header=BB235_41 Depth=1
	v_cmp_eq_u16_e64 s[0:1], s26, v6
	s_mov_b64 s[8:9], -1
                                        ; implicit-def: $sgpr34
	s_and_saveexec_b64 s[14:15], s[0:1]
; %bb.254:                              ;   in Loop: Header=BB235_41 Depth=1
	s_mov_b32 s34, 0x7fc02000
	s_xor_b64 s[8:9], exec, -1
; %bb.255:                              ;   in Loop: Header=BB235_41 Depth=1
	s_or_b64 exec, exec, s[14:15]
	s_and_b64 s[8:9], s[8:9], exec
	s_or_saveexec_b64 s[12:13], s[12:13]
	v_mov_b32_e32 v21, s34
	s_xor_b64 exec, exec, s[12:13]
	s_cbranch_execz .LBB235_123
.LBB235_256:                            ;   in Loop: Header=BB235_41 Depth=1
	v_cmp_ne_u16_e64 s[0:1], 0, v6
	s_andn2_b64 s[8:9], s[8:9], exec
	s_and_b64 s[0:1], s[0:1], exec
	v_mov_b32_e32 v21, 0
	s_or_b64 s[8:9], s[8:9], s[0:1]
	s_or_b64 exec, exec, s[12:13]
	s_and_saveexec_b64 s[12:13], s[8:9]
	s_cbranch_execnz .LBB235_124
	s_branch .LBB235_125
.LBB235_257:                            ;   in Loop: Header=BB235_41 Depth=1
	v_cmp_eq_u16_sdwa s[34:35], v17, s26 src0_sel:BYTE_0 src1_sel:DWORD
	s_mov_b64 s[0:1], -1
                                        ; implicit-def: $sgpr14
	s_and_saveexec_b64 s[12:13], s[34:35]
; %bb.258:                              ;   in Loop: Header=BB235_41 Depth=1
	s_mov_b32 s14, 0x7fc02000
	s_xor_b64 s[0:1], exec, -1
; %bb.259:                              ;   in Loop: Header=BB235_41 Depth=1
	s_or_b64 exec, exec, s[12:13]
	s_and_b64 s[0:1], s[0:1], exec
	s_or_saveexec_b64 s[8:9], s[8:9]
	v_mov_b32_e32 v16, s14
	s_xor_b64 exec, exec, s[8:9]
	s_cbranch_execz .LBB235_127
.LBB235_260:                            ;   in Loop: Header=BB235_41 Depth=1
	v_cmp_ne_u16_sdwa s[12:13], v17, v7 src0_sel:BYTE_0 src1_sel:DWORD
	s_andn2_b64 s[0:1], s[0:1], exec
	s_and_b64 s[12:13], s[12:13], exec
	v_mov_b32_e32 v16, 0
	s_or_b64 s[0:1], s[0:1], s[12:13]
	s_or_b64 exec, exec, s[8:9]
	v_mov_b32_e32 v6, v17
	s_and_saveexec_b64 s[8:9], s[0:1]
	s_cbranch_execnz .LBB235_128
	s_branch .LBB235_129
.LBB235_261:                            ;   in Loop: Header=BB235_41 Depth=1
	v_cmp_eq_u16_e64 s[0:1], s26, v6
	s_mov_b64 s[8:9], -1
                                        ; implicit-def: $sgpr34
	s_and_saveexec_b64 s[14:15], s[0:1]
; %bb.262:                              ;   in Loop: Header=BB235_41 Depth=1
	s_mov_b32 s34, 0x7fc02000
	s_xor_b64 s[8:9], exec, -1
; %bb.263:                              ;   in Loop: Header=BB235_41 Depth=1
	s_or_b64 exec, exec, s[14:15]
	s_and_b64 s[8:9], s[8:9], exec
	s_or_saveexec_b64 s[12:13], s[12:13]
	v_mov_b32_e32 v40, s34
	s_xor_b64 exec, exec, s[12:13]
	s_cbranch_execz .LBB235_131
.LBB235_264:                            ;   in Loop: Header=BB235_41 Depth=1
	v_cmp_ne_u16_e64 s[0:1], 0, v6
	s_andn2_b64 s[8:9], s[8:9], exec
	s_and_b64 s[0:1], s[0:1], exec
	v_mov_b32_e32 v40, 0
	s_or_b64 s[8:9], s[8:9], s[0:1]
	s_or_b64 exec, exec, s[12:13]
	s_and_saveexec_b64 s[12:13], s[8:9]
	s_cbranch_execnz .LBB235_132
	s_branch .LBB235_133
.LBB235_265:                            ;   in Loop: Header=BB235_41 Depth=1
	v_cmp_eq_u16_sdwa s[34:35], v6, s26 src0_sel:BYTE_0 src1_sel:DWORD
	s_mov_b64 s[0:1], -1
                                        ; implicit-def: $sgpr14
	s_and_saveexec_b64 s[12:13], s[34:35]
; %bb.266:                              ;   in Loop: Header=BB235_41 Depth=1
	s_mov_b32 s14, 0x7fc02000
	s_xor_b64 s[0:1], exec, -1
; %bb.267:                              ;   in Loop: Header=BB235_41 Depth=1
	s_or_b64 exec, exec, s[12:13]
	s_and_b64 s[0:1], s[0:1], exec
	s_or_saveexec_b64 s[8:9], s[8:9]
	v_mov_b32_e32 v41, s14
	s_xor_b64 exec, exec, s[8:9]
	s_cbranch_execz .LBB235_135
.LBB235_268:                            ;   in Loop: Header=BB235_41 Depth=1
	v_cmp_ne_u16_sdwa s[12:13], v6, v7 src0_sel:BYTE_0 src1_sel:DWORD
	s_andn2_b64 s[0:1], s[0:1], exec
	s_and_b64 s[12:13], s[12:13], exec
	v_mov_b32_e32 v41, 0
	s_or_b64 s[0:1], s[0:1], s[12:13]
	s_or_b64 exec, exec, s[8:9]
	s_and_saveexec_b64 s[8:9], s[0:1]
	s_cbranch_execnz .LBB235_136
	s_branch .LBB235_137
.LBB235_269:                            ;   in Loop: Header=BB235_41 Depth=1
	v_cmp_eq_u16_e64 s[0:1], s26, v6
	s_mov_b64 s[8:9], -1
                                        ; implicit-def: $sgpr34
	s_and_saveexec_b64 s[14:15], s[0:1]
; %bb.270:                              ;   in Loop: Header=BB235_41 Depth=1
	s_mov_b32 s34, 0x7fc02000
	s_xor_b64 s[8:9], exec, -1
; %bb.271:                              ;   in Loop: Header=BB235_41 Depth=1
	s_or_b64 exec, exec, s[14:15]
	s_and_b64 s[8:9], s[8:9], exec
	s_or_saveexec_b64 s[12:13], s[12:13]
	v_mov_b32_e32 v42, s34
	s_xor_b64 exec, exec, s[12:13]
	s_cbranch_execz .LBB235_139
.LBB235_272:                            ;   in Loop: Header=BB235_41 Depth=1
	v_cmp_ne_u16_e64 s[0:1], 0, v6
	s_andn2_b64 s[8:9], s[8:9], exec
	s_and_b64 s[0:1], s[0:1], exec
	v_mov_b32_e32 v42, 0
	s_or_b64 s[8:9], s[8:9], s[0:1]
	s_or_b64 exec, exec, s[12:13]
	s_and_saveexec_b64 s[12:13], s[8:9]
	s_cbranch_execnz .LBB235_140
	s_branch .LBB235_141
.LBB235_273:                            ;   in Loop: Header=BB235_41 Depth=1
	v_cmp_eq_u16_sdwa s[34:35], v16, s26 src0_sel:BYTE_0 src1_sel:DWORD
	s_mov_b64 s[0:1], -1
                                        ; implicit-def: $sgpr14
	s_and_saveexec_b64 s[12:13], s[34:35]
; %bb.274:                              ;   in Loop: Header=BB235_41 Depth=1
	s_mov_b32 s14, 0x7fc02000
	s_xor_b64 s[0:1], exec, -1
; %bb.275:                              ;   in Loop: Header=BB235_41 Depth=1
	s_or_b64 exec, exec, s[12:13]
	s_and_b64 s[0:1], s[0:1], exec
	s_or_saveexec_b64 s[8:9], s[8:9]
	v_mov_b32_e32 v12, s14
	s_xor_b64 exec, exec, s[8:9]
	s_cbranch_execz .LBB235_145
.LBB235_276:                            ;   in Loop: Header=BB235_41 Depth=1
	v_cmp_ne_u16_sdwa s[12:13], v16, v7 src0_sel:BYTE_0 src1_sel:DWORD
	s_andn2_b64 s[0:1], s[0:1], exec
	s_and_b64 s[12:13], s[12:13], exec
	v_mov_b32_e32 v12, 0
	s_or_b64 s[0:1], s[0:1], s[12:13]
	s_or_b64 exec, exec, s[8:9]
	s_and_saveexec_b64 s[8:9], s[0:1]
	s_cbranch_execnz .LBB235_146
	s_branch .LBB235_147
.LBB235_277:                            ;   in Loop: Header=BB235_41 Depth=1
	v_cmp_eq_u16_e64 s[0:1], s26, v6
	s_mov_b64 s[8:9], -1
                                        ; implicit-def: $sgpr34
	s_and_saveexec_b64 s[14:15], s[0:1]
; %bb.278:                              ;   in Loop: Header=BB235_41 Depth=1
	s_mov_b32 s34, 0x7fc02000
	s_xor_b64 s[8:9], exec, -1
; %bb.279:                              ;   in Loop: Header=BB235_41 Depth=1
	s_or_b64 exec, exec, s[14:15]
	s_and_b64 s[8:9], s[8:9], exec
	s_or_saveexec_b64 s[12:13], s[12:13]
	v_mov_b32_e32 v18, s34
	s_xor_b64 exec, exec, s[12:13]
	s_cbranch_execz .LBB235_149
.LBB235_280:                            ;   in Loop: Header=BB235_41 Depth=1
	v_cmp_ne_u16_e64 s[0:1], 0, v6
	s_andn2_b64 s[8:9], s[8:9], exec
	s_and_b64 s[0:1], s[0:1], exec
	v_mov_b32_e32 v18, 0
	s_or_b64 s[8:9], s[8:9], s[0:1]
	s_or_b64 exec, exec, s[12:13]
	s_and_saveexec_b64 s[12:13], s[8:9]
	s_cbranch_execnz .LBB235_150
	s_branch .LBB235_151
.LBB235_281:                            ;   in Loop: Header=BB235_41 Depth=1
	v_cmp_eq_u16_sdwa s[34:35], v6, s26 src0_sel:BYTE_0 src1_sel:DWORD
	s_mov_b64 s[0:1], -1
                                        ; implicit-def: $sgpr14
	s_and_saveexec_b64 s[12:13], s[34:35]
; %bb.282:                              ;   in Loop: Header=BB235_41 Depth=1
	s_mov_b32 s14, 0x7fc02000
	s_xor_b64 s[0:1], exec, -1
; %bb.283:                              ;   in Loop: Header=BB235_41 Depth=1
	s_or_b64 exec, exec, s[12:13]
	s_and_b64 s[0:1], s[0:1], exec
	s_or_saveexec_b64 s[8:9], s[8:9]
	v_mov_b32_e32 v13, s14
	s_xor_b64 exec, exec, s[8:9]
	s_cbranch_execz .LBB235_153
.LBB235_284:                            ;   in Loop: Header=BB235_41 Depth=1
	v_cmp_ne_u16_sdwa s[12:13], v6, v7 src0_sel:BYTE_0 src1_sel:DWORD
	s_andn2_b64 s[0:1], s[0:1], exec
	s_and_b64 s[12:13], s[12:13], exec
	v_mov_b32_e32 v13, 0
	s_or_b64 s[0:1], s[0:1], s[12:13]
	s_or_b64 exec, exec, s[8:9]
	s_and_saveexec_b64 s[8:9], s[0:1]
	s_cbranch_execnz .LBB235_154
	s_branch .LBB235_155
.LBB235_285:                            ;   in Loop: Header=BB235_41 Depth=1
	v_cmp_eq_u16_e64 s[0:1], s26, v6
	s_mov_b64 s[8:9], -1
                                        ; implicit-def: $sgpr34
	s_and_saveexec_b64 s[14:15], s[0:1]
; %bb.286:                              ;   in Loop: Header=BB235_41 Depth=1
	s_mov_b32 s34, 0x7fc02000
	s_xor_b64 s[8:9], exec, -1
; %bb.287:                              ;   in Loop: Header=BB235_41 Depth=1
	s_or_b64 exec, exec, s[14:15]
	s_and_b64 s[8:9], s[8:9], exec
	s_or_saveexec_b64 s[12:13], s[12:13]
	v_mov_b32_e32 v19, s34
	s_xor_b64 exec, exec, s[12:13]
	s_cbranch_execz .LBB235_157
.LBB235_288:                            ;   in Loop: Header=BB235_41 Depth=1
	v_cmp_ne_u16_e64 s[0:1], 0, v6
	s_andn2_b64 s[8:9], s[8:9], exec
	s_and_b64 s[0:1], s[0:1], exec
	v_mov_b32_e32 v19, 0
	s_or_b64 s[8:9], s[8:9], s[0:1]
	s_or_b64 exec, exec, s[12:13]
	s_and_saveexec_b64 s[12:13], s[8:9]
	s_cbranch_execnz .LBB235_158
	s_branch .LBB235_159
.LBB235_289:                            ;   in Loop: Header=BB235_41 Depth=1
	v_cmp_eq_u16_sdwa s[34:35], v17, s26 src0_sel:BYTE_0 src1_sel:DWORD
	s_mov_b64 s[0:1], -1
                                        ; implicit-def: $sgpr14
	s_and_saveexec_b64 s[12:13], s[34:35]
; %bb.290:                              ;   in Loop: Header=BB235_41 Depth=1
	s_mov_b32 s14, 0x7fc02000
	s_xor_b64 s[0:1], exec, -1
; %bb.291:                              ;   in Loop: Header=BB235_41 Depth=1
	s_or_b64 exec, exec, s[12:13]
	s_and_b64 s[0:1], s[0:1], exec
	s_or_saveexec_b64 s[8:9], s[8:9]
	v_mov_b32_e32 v16, s14
	s_xor_b64 exec, exec, s[8:9]
	s_cbranch_execz .LBB235_161
.LBB235_292:                            ;   in Loop: Header=BB235_41 Depth=1
	v_cmp_ne_u16_sdwa s[12:13], v17, v7 src0_sel:BYTE_0 src1_sel:DWORD
	s_andn2_b64 s[0:1], s[0:1], exec
	s_and_b64 s[12:13], s[12:13], exec
	v_mov_b32_e32 v16, 0
	s_or_b64 s[0:1], s[0:1], s[12:13]
	s_or_b64 exec, exec, s[8:9]
	v_mov_b32_e32 v6, v17
	s_and_saveexec_b64 s[8:9], s[0:1]
	s_cbranch_execnz .LBB235_162
	s_branch .LBB235_163
.LBB235_293:                            ;   in Loop: Header=BB235_41 Depth=1
	v_cmp_eq_u16_e64 s[0:1], s26, v6
	s_mov_b64 s[8:9], -1
                                        ; implicit-def: $sgpr34
	s_and_saveexec_b64 s[14:15], s[0:1]
; %bb.294:                              ;   in Loop: Header=BB235_41 Depth=1
	s_mov_b32 s34, 0x7fc02000
	s_xor_b64 s[8:9], exec, -1
; %bb.295:                              ;   in Loop: Header=BB235_41 Depth=1
	s_or_b64 exec, exec, s[14:15]
	s_and_b64 s[8:9], s[8:9], exec
	s_or_saveexec_b64 s[12:13], s[12:13]
	v_mov_b32_e32 v40, s34
	s_xor_b64 exec, exec, s[12:13]
	s_cbranch_execz .LBB235_165
.LBB235_296:                            ;   in Loop: Header=BB235_41 Depth=1
	v_cmp_ne_u16_e64 s[0:1], 0, v6
	s_andn2_b64 s[8:9], s[8:9], exec
	s_and_b64 s[0:1], s[0:1], exec
	v_mov_b32_e32 v40, 0
	s_or_b64 s[8:9], s[8:9], s[0:1]
	s_or_b64 exec, exec, s[12:13]
	s_and_saveexec_b64 s[12:13], s[8:9]
	s_cbranch_execnz .LBB235_166
	s_branch .LBB235_167
.LBB235_297:                            ;   in Loop: Header=BB235_41 Depth=1
	v_cmp_eq_u16_sdwa s[34:35], v6, s26 src0_sel:BYTE_0 src1_sel:DWORD
	s_mov_b64 s[0:1], -1
                                        ; implicit-def: $sgpr14
	s_and_saveexec_b64 s[12:13], s[34:35]
; %bb.298:                              ;   in Loop: Header=BB235_41 Depth=1
	s_mov_b32 s14, 0x7fc02000
	s_xor_b64 s[0:1], exec, -1
; %bb.299:                              ;   in Loop: Header=BB235_41 Depth=1
	s_or_b64 exec, exec, s[12:13]
	s_and_b64 s[0:1], s[0:1], exec
	s_or_saveexec_b64 s[8:9], s[8:9]
	v_mov_b32_e32 v41, s14
	s_xor_b64 exec, exec, s[8:9]
	s_cbranch_execz .LBB235_169
.LBB235_300:                            ;   in Loop: Header=BB235_41 Depth=1
	v_cmp_ne_u16_sdwa s[12:13], v6, v7 src0_sel:BYTE_0 src1_sel:DWORD
	s_andn2_b64 s[0:1], s[0:1], exec
	s_and_b64 s[12:13], s[12:13], exec
	v_mov_b32_e32 v41, 0
	s_or_b64 s[0:1], s[0:1], s[12:13]
	s_or_b64 exec, exec, s[8:9]
	s_and_saveexec_b64 s[8:9], s[0:1]
	s_cbranch_execnz .LBB235_170
	s_branch .LBB235_171
.LBB235_301:                            ;   in Loop: Header=BB235_41 Depth=1
	v_cmp_eq_u16_e64 s[0:1], s26, v6
	s_mov_b64 s[8:9], -1
                                        ; implicit-def: $sgpr34
	s_and_saveexec_b64 s[14:15], s[0:1]
; %bb.302:                              ;   in Loop: Header=BB235_41 Depth=1
	s_mov_b32 s34, 0x7fc02000
	s_xor_b64 s[8:9], exec, -1
; %bb.303:                              ;   in Loop: Header=BB235_41 Depth=1
	s_or_b64 exec, exec, s[14:15]
	s_and_b64 s[8:9], s[8:9], exec
	s_or_saveexec_b64 s[12:13], s[12:13]
	v_mov_b32_e32 v42, s34
	s_xor_b64 exec, exec, s[12:13]
	s_cbranch_execz .LBB235_173
.LBB235_304:                            ;   in Loop: Header=BB235_41 Depth=1
	v_cmp_ne_u16_e64 s[0:1], 0, v6
	s_andn2_b64 s[8:9], s[8:9], exec
	s_and_b64 s[0:1], s[0:1], exec
	v_mov_b32_e32 v42, 0
	s_or_b64 s[8:9], s[8:9], s[0:1]
	s_or_b64 exec, exec, s[12:13]
	s_and_saveexec_b64 s[12:13], s[8:9]
	s_cbranch_execnz .LBB235_174
	s_branch .LBB235_175
.LBB235_305:
	s_or_b64 exec, exec, s[6:7]
.LBB235_306:
	s_or_b64 exec, exec, s[2:3]
	v_and_b32_e32 v1, 0x3c0, v0
	v_cmp_eq_u32_e32 vcc, 64, v1
	s_barrier
	s_and_saveexec_b64 s[0:1], vcc
	s_cbranch_execz .LBB235_308
; %bb.307:
	v_lshlrev_b32_e32 v1, 2, v0
	v_mov_b32_e32 v7, 0x210
	v_or_b32_e32 v6, 0x300, v1
	v_lshl_add_u32 v7, v15, 2, v7
	v_add_u32_e32 v6, 0x210, v6
	v_add_u32_e32 v1, 0x210, v1
	ds_write_b32 v7, v2
	ds_write_b32 v1, v3
	ds_write_b32 v7, v4 offset:512
	ds_write_b32 v6, v5
.LBB235_308:
	s_or_b64 exec, exec, s[0:1]
	v_cmp_gt_u32_e32 vcc, 64, v0
	s_waitcnt lgkmcnt(0)
	s_barrier
	s_and_saveexec_b64 s[0:1], vcc
	s_cbranch_execz .LBB235_310
; %bb.309:
	v_mov_b32_e32 v1, 0x210
	v_lshl_add_u32 v1, v0, 2, v1
	ds_read2st64_b32 v[6:7], v1 offset0:2 offset1:3
	ds_read2st64_b32 v[8:9], v1 offset1:1
	s_waitcnt lgkmcnt(1)
	v_pk_add_f32 v[4:5], v[4:5], v[6:7]
	s_waitcnt lgkmcnt(0)
	v_pk_add_f32 v[2:3], v[2:3], v[8:9]
.LBB235_310:
	s_or_b64 exec, exec, s[0:1]
	s_barrier
	s_and_saveexec_b64 s[0:1], vcc
	s_cbranch_execz .LBB235_312
; %bb.311:
	s_mul_i32 s0, s20, s21
	s_mul_i32 s0, s0, s5
	s_lshl_b32 s0, s0, 8
	s_ashr_i32 s1, s0, 31
	s_lshl_b64 s[0:1], s[0:1], 1
	s_add_u32 s2, s22, s0
	s_mul_i32 s0, s21, s24
	s_addc_u32 s3, s23, s1
	s_ashr_i32 s1, s0, 31
	s_lshl_b64 s[0:1], s[0:1], 1
	s_add_u32 s2, s2, s0
	s_addc_u32 s3, s3, s1
	s_lshl_b32 s0, s4, 8
	s_ashr_i32 s1, s0, 31
	s_lshl_b64 s[0:1], s[0:1], 1
	s_add_u32 s0, s2, s0
	s_addc_u32 s1, s3, s1
	v_lshlrev_b32_e32 v0, 1, v0
	;;#ASMSTART
	v_cvt_f16_f32 v1, v2;

	;;#ASMEND
	global_store_short v0, v1, s[0:1]
	;;#ASMSTART
	v_cvt_f16_f32 v1, v3;

	;;#ASMEND
	global_store_short v0, v1, s[0:1] offset:128
	;;#ASMSTART
	v_cvt_f16_f32 v1, v4;

	;;#ASMEND
	global_store_short v0, v1, s[0:1] offset:256
	;; [unrolled: 5-line block ×3, first 2 shown]
.LBB235_312:
	s_endpgm
	.section	.rodata,"a",@progbits
	.p2align	6, 0x0
	.amdhsa_kernel _ZN4vllm25paged_attention_v1_kernelIthLi256ELi8ELi128ELNS_18Fp8KVCacheDataTypeE1ELb0EEEvPT_PKS2_PKT0_S8_ifPKiSA_iPKfiiiSC_SC_iiiii
		.amdhsa_group_segment_fixed_size 528
		.amdhsa_private_segment_fixed_size 0
		.amdhsa_kernarg_size 384
		.amdhsa_user_sgpr_count 2
		.amdhsa_user_sgpr_dispatch_ptr 0
		.amdhsa_user_sgpr_queue_ptr 0
		.amdhsa_user_sgpr_kernarg_segment_ptr 1
		.amdhsa_user_sgpr_dispatch_id 0
		.amdhsa_user_sgpr_kernarg_preload_length 0
		.amdhsa_user_sgpr_kernarg_preload_offset 0
		.amdhsa_user_sgpr_private_segment_size 0
		.amdhsa_uses_dynamic_stack 0
		.amdhsa_enable_private_segment 0
		.amdhsa_system_sgpr_workgroup_id_x 1
		.amdhsa_system_sgpr_workgroup_id_y 1
		.amdhsa_system_sgpr_workgroup_id_z 1
		.amdhsa_system_sgpr_workgroup_info 0
		.amdhsa_system_vgpr_workitem_id 0
		.amdhsa_next_free_vgpr 60
		.amdhsa_next_free_sgpr 38
		.amdhsa_accum_offset 60
		.amdhsa_reserve_vcc 1
		.amdhsa_float_round_mode_32 0
		.amdhsa_float_round_mode_16_64 0
		.amdhsa_float_denorm_mode_32 3
		.amdhsa_float_denorm_mode_16_64 3
		.amdhsa_dx10_clamp 1
		.amdhsa_ieee_mode 1
		.amdhsa_fp16_overflow 0
		.amdhsa_tg_split 0
		.amdhsa_exception_fp_ieee_invalid_op 0
		.amdhsa_exception_fp_denorm_src 0
		.amdhsa_exception_fp_ieee_div_zero 0
		.amdhsa_exception_fp_ieee_overflow 0
		.amdhsa_exception_fp_ieee_underflow 0
		.amdhsa_exception_fp_ieee_inexact 0
		.amdhsa_exception_int_div_zero 0
	.end_amdhsa_kernel
	.section	.text._ZN4vllm25paged_attention_v1_kernelIthLi256ELi8ELi128ELNS_18Fp8KVCacheDataTypeE1ELb0EEEvPT_PKS2_PKT0_S8_ifPKiSA_iPKfiiiSC_SC_iiiii,"axG",@progbits,_ZN4vllm25paged_attention_v1_kernelIthLi256ELi8ELi128ELNS_18Fp8KVCacheDataTypeE1ELb0EEEvPT_PKS2_PKT0_S8_ifPKiSA_iPKfiiiSC_SC_iiiii,comdat
.Lfunc_end235:
	.size	_ZN4vllm25paged_attention_v1_kernelIthLi256ELi8ELi128ELNS_18Fp8KVCacheDataTypeE1ELb0EEEvPT_PKS2_PKT0_S8_ifPKiSA_iPKfiiiSC_SC_iiiii, .Lfunc_end235-_ZN4vllm25paged_attention_v1_kernelIthLi256ELi8ELi128ELNS_18Fp8KVCacheDataTypeE1ELb0EEEvPT_PKS2_PKT0_S8_ifPKiSA_iPKfiiiSC_SC_iiiii
                                        ; -- End function
	.section	.AMDGPU.csdata,"",@progbits
; Kernel info:
; codeLenInByte = 15100
; NumSgprs: 44
; NumVgprs: 60
; NumAgprs: 0
; TotalNumVgprs: 60
; ScratchSize: 0
; MemoryBound: 0
; FloatMode: 240
; IeeeMode: 1
; LDSByteSize: 528 bytes/workgroup (compile time only)
; SGPRBlocks: 5
; VGPRBlocks: 7
; NumSGPRsForWavesPerEU: 44
; NumVGPRsForWavesPerEU: 60
; AccumOffset: 60
; Occupancy: 8
; WaveLimiterHint : 1
; COMPUTE_PGM_RSRC2:SCRATCH_EN: 0
; COMPUTE_PGM_RSRC2:USER_SGPR: 2
; COMPUTE_PGM_RSRC2:TRAP_HANDLER: 0
; COMPUTE_PGM_RSRC2:TGID_X_EN: 1
; COMPUTE_PGM_RSRC2:TGID_Y_EN: 1
; COMPUTE_PGM_RSRC2:TGID_Z_EN: 1
; COMPUTE_PGM_RSRC2:TIDIG_COMP_CNT: 0
; COMPUTE_PGM_RSRC3_GFX90A:ACCUM_OFFSET: 14
; COMPUTE_PGM_RSRC3_GFX90A:TG_SPLIT: 0
	.section	.text._ZN4vllm25paged_attention_v1_kernelIthLi32ELi16ELi128ELNS_18Fp8KVCacheDataTypeE1ELb1EEEvPT_PKS2_PKT0_S8_ifPKiSA_iPKfiiiSC_SC_iiiii,"axG",@progbits,_ZN4vllm25paged_attention_v1_kernelIthLi32ELi16ELi128ELNS_18Fp8KVCacheDataTypeE1ELb1EEEvPT_PKS2_PKT0_S8_ifPKiSA_iPKfiiiSC_SC_iiiii,comdat
	.protected	_ZN4vllm25paged_attention_v1_kernelIthLi32ELi16ELi128ELNS_18Fp8KVCacheDataTypeE1ELb1EEEvPT_PKS2_PKT0_S8_ifPKiSA_iPKfiiiSC_SC_iiiii ; -- Begin function _ZN4vllm25paged_attention_v1_kernelIthLi32ELi16ELi128ELNS_18Fp8KVCacheDataTypeE1ELb1EEEvPT_PKS2_PKT0_S8_ifPKiSA_iPKfiiiSC_SC_iiiii
	.globl	_ZN4vllm25paged_attention_v1_kernelIthLi32ELi16ELi128ELNS_18Fp8KVCacheDataTypeE1ELb1EEEvPT_PKS2_PKT0_S8_ifPKiSA_iPKfiiiSC_SC_iiiii
	.p2align	8
	.type	_ZN4vllm25paged_attention_v1_kernelIthLi32ELi16ELi128ELNS_18Fp8KVCacheDataTypeE1ELb1EEEvPT_PKS2_PKT0_S8_ifPKiSA_iPKfiiiSC_SC_iiiii,@function
_ZN4vllm25paged_attention_v1_kernelIthLi32ELi16ELi128ELNS_18Fp8KVCacheDataTypeE1ELb1EEEvPT_PKS2_PKT0_S8_ifPKiSA_iPKfiiiSC_SC_iiiii: ; @_ZN4vllm25paged_attention_v1_kernelIthLi32ELi16ELi128ELNS_18Fp8KVCacheDataTypeE1ELb1EEEvPT_PKS2_PKT0_S8_ifPKiSA_iPKfiiiSC_SC_iiiii
; %bb.0:
	s_load_dword s5, s[0:1], 0x80
	s_load_dwordx2 s[6:7], s[0:1], 0x30
	s_load_dwordx2 s[36:37], s[0:1], 0x20
	s_mov_b32 s10, s3
	s_ashr_i32 s11, s3, 31
	s_lshl_b64 s[8:9], s[10:11], 2
	s_waitcnt lgkmcnt(0)
	s_add_u32 s6, s6, s8
	s_addc_u32 s7, s7, s9
	s_abs_i32 s3, s36
	v_cvt_f32_u32_e32 v1, s3
	s_sub_i32 s11, 0, s3
	s_abs_i32 s9, s5
	s_xor_b32 s8, s5, s36
	v_rcp_iflag_f32_e32 v1, v1
	s_ashr_i32 s8, s8, 31
	s_mov_b32 s48, 0
	v_mul_f32_e32 v1, 0x4f7ffffe, v1
	v_cvt_u32_f32_e32 v1, v1
	s_nop 0
	v_readfirstlane_b32 s12, v1
	s_mul_i32 s11, s11, s12
	s_mul_hi_u32 s11, s12, s11
	s_add_i32 s12, s12, s11
	s_mul_hi_u32 s11, s9, s12
	s_mul_i32 s12, s11, s3
	s_sub_i32 s9, s9, s12
	s_add_i32 s12, s11, 1
	s_sub_i32 s13, s9, s3
	s_cmp_ge_u32 s9, s3
	s_cselect_b32 s11, s12, s11
	s_cselect_b32 s9, s13, s9
	s_add_i32 s12, s11, 1
	s_cmp_ge_u32 s9, s3
	s_cselect_b32 s3, s12, s11
	s_xor_b32 s3, s3, s8
	s_sub_i32 s15, s3, s8
	s_abs_i32 s12, s15
	v_cvt_f32_u32_e32 v1, s12
	s_load_dwordx2 s[8:9], s[0:1], 0x40
	s_sub_i32 s3, 0, s12
	s_abs_i32 s13, s2
	v_rcp_iflag_f32_e32 v1, v1
	s_nop 0
	v_mul_f32_e32 v1, 0x4f7ffffe, v1
	v_cvt_u32_f32_e32 v1, v1
	s_nop 0
	v_readfirstlane_b32 s11, v1
	s_mul_i32 s3, s3, s11
	s_mul_hi_u32 s3, s11, s3
	s_add_i32 s11, s11, s3
	s_waitcnt lgkmcnt(0)
	s_cmp_eq_u64 s[8:9], 0
	s_mul_hi_u32 s14, s13, s11
	s_cbranch_scc1 .LBB236_2
; %bb.1:
	s_ashr_i32 s3, s2, 31
	s_lshl_b64 s[16:17], s[2:3], 2
	s_add_u32 s8, s8, s16
	s_addc_u32 s9, s9, s17
	s_load_dword s48, s[8:9], 0x0
.LBB236_2:
	s_load_dword s11, s[6:7], 0x0
	s_load_dwordx4 s[16:19], s[0:1], 0x48
	s_ashr_i32 s8, s2, 31
	s_ashr_i32 s9, s15, 31
	v_and_b32_e32 v7, 3, v0
	s_lshl_b32 s24, s2, 5
	v_cmp_gt_u32_e32 vcc, 16, v0
	s_and_saveexec_b64 s[6:7], vcc
	s_cbranch_execz .LBB236_4
; %bb.3:
	s_load_dwordx2 s[20:21], s[0:1], 0x8
	s_waitcnt lgkmcnt(0)
	s_mul_i32 s22, s10, s16
	s_ashr_i32 s23, s22, 31
	s_lshl_b64 s[22:23], s[22:23], 1
	v_lshlrev_b32_e32 v1, 2, v0
	s_add_u32 s3, s20, s22
	s_addc_u32 s15, s21, s23
	s_ashr_i32 s25, s24, 31
	s_lshl_b64 s[20:21], s[24:25], 1
	s_add_u32 s20, s3, s20
	s_addc_u32 s21, s15, s21
	global_load_dword v1, v1, s[20:21]
	v_and_b32_e32 v2, 0x3fc, v0
	v_lshl_add_u32 v2, v7, 4, v2
	s_waitcnt vmcnt(0)
	ds_write_b32 v2, v1
.LBB236_4:
	s_or_b64 exec, exec, s[6:7]
	s_mul_i32 s7, s14, s12
	s_sub_i32 s7, s13, s7
	s_xor_b32 s6, s8, s9
	s_add_i32 s8, s14, 1
	s_sub_i32 s9, s7, s12
	s_load_dwordx4 s[20:23], s[0:1], 0x68
	s_load_dword s3, s[0:1], 0x78
	s_cmp_ge_u32 s7, s12
	s_cselect_b32 s8, s8, s14
	s_cselect_b32 s7, s9, s7
	s_add_i32 s9, s8, 1
	s_cmp_ge_u32 s7, s12
	s_cselect_b32 s7, s9, s8
	s_waitcnt lgkmcnt(0)
	s_abs_i32 s25, s23
	v_cvt_f32_u32_e32 v1, s25
	s_xor_b32 s7, s7, s6
	s_sub_i32 s47, s7, s6
	s_sub_i32 s6, 0, s25
	v_rcp_iflag_f32_e32 v1, v1
	s_add_i32 s12, s11, -1
	s_abs_i32 s8, s12
	v_mul_f32_e32 v1, 0x4f7ffffe, v1
	v_cvt_u32_f32_e32 v1, v1
	s_barrier
	v_readfirstlane_b32 s33, v1
	s_mul_i32 s6, s6, s33
	s_mul_hi_u32 s6, s33, s6
	s_add_i32 s33, s33, s6
	s_cmp_lt_i32 s3, 0
	s_mul_hi_u32 s9, s8, s33
	s_cbranch_scc0 .LBB236_6
; %bb.5:
	s_mul_i32 s6, s20, s36
	s_add_i32 s6, s47, s6
	s_mul_i32 s6, s6, s3
	s_sub_i32 s36, 1, s6
	s_mov_b64 s[6:7], 0
	s_branch .LBB236_7
.LBB236_6:
	s_mov_b64 s[6:7], -1
                                        ; implicit-def: $sgpr36
.LBB236_7:
	s_load_dwordx2 s[28:29], s[0:1], 0x28
	s_ashr_i32 s16, s12, 31
	s_andn2_b64 vcc, exec, s[6:7]
	s_ashr_i32 s23, s23, 31
	s_cbranch_vccnz .LBB236_9
; %bb.8:
	s_mul_i32 s6, s5, s20
	s_add_i32 s2, s6, s2
	s_mul_i32 s2, s2, s3
	s_add_i32 s36, s2, 1
.LBB236_9:
	s_load_dword s2, s[0:1], 0x38
	s_load_dwordx2 s[26:27], s[0:1], 0x0
	s_load_dwordx2 s[34:35], s[0:1], 0x18
	s_load_dword s20, s[0:1], 0x88
	s_load_dwordx4 s[12:15], s[0:1], 0x58
	s_mul_i32 s3, s9, s25
	s_waitcnt lgkmcnt(0)
	s_mul_i32 s30, s10, s2
	s_sub_i32 s3, s8, s3
	s_ashr_i32 s31, s30, 31
	s_xor_b32 s2, s16, s23
	s_add_i32 s6, s9, 1
	s_sub_i32 s7, s3, s25
	s_cmp_ge_u32 s3, s25
	s_cselect_b32 s6, s6, s9
	s_cselect_b32 s3, s7, s3
	s_add_i32 s7, s6, 1
	s_cmp_ge_u32 s3, s25
	s_cselect_b32 s3, s7, s6
	s_xor_b32 s3, s3, s2
	s_sub_i32 s16, s3, s2
	s_add_i32 s2, s11, 15
	s_ashr_i32 s3, s2, 31
	s_lshr_b32 s3, s3, 28
	s_add_i32 s2, s2, s3
	s_ashr_i32 s46, s2, 4
	v_lshrrev_b32_e32 v1, 6, v0
	v_cmp_gt_i32_e64 s[6:7], s46, v1
	v_mov_b32_e32 v17, 0xff7fffff
	s_mul_i32 s47, s47, s18
	v_lshrrev_b32_e32 v12, 4, v0
	v_lshlrev_b32_e32 v16, 4, v1
	v_mbcnt_lo_u32_b32 v13, -1, 0
	s_and_saveexec_b64 s[18:19], s[6:7]
	s_cbranch_execz .LBB236_83
; %bb.10:
	s_load_dwordx2 s[0:1], s[0:1], 0x10
	s_sub_i32 s49, s16, s21
	s_ashr_i32 s2, s47, 31
	v_bfe_u32 v14, v0, 2, 4
	v_lshlrev_b32_e32 v2, 4, v14
	s_waitcnt lgkmcnt(0)
	s_add_u32 s0, s0, s47
	s_addc_u32 s1, s1, s2
	s_abs_i32 s50, s22
	v_cvt_f32_u32_e32 v4, s50
	v_mov_b32_e32 v3, 0
	v_cmp_eq_u32_e32 vcc, 0, v7
	s_mov_b32 s51, s17
	v_rcp_iflag_f32_e32 v8, v4
	v_lshl_add_u64 v[4:5], s[0:1], 0, v[2:3]
	s_sub_i32 s0, 0, s50
	v_lshlrev_b32_e32 v6, 1, v7
	v_mul_f32_e32 v2, 0x4f7ffffe, v8
	v_cvt_u32_f32_e32 v2, v2
	v_lshlrev_b32_e32 v15, 4, v7
	v_cmp_neq_f32_e64 s[2:3], s48, 0
	v_mov_b32_e32 v7, v3
	v_mul_lo_u32 v8, s0, v2
	s_lshl_b64 s[0:1], s[30:31], 2
	v_mul_hi_u32 v8, v2, v8
	s_add_u32 s0, s28, s0
	v_add_u32_e32 v18, v2, v8
	v_and_b32_e32 v2, 60, v12
	s_addc_u32 s1, s29, s1
	v_lshl_add_u64 v[8:9], s[0:1], 0, v[2:3]
	v_lshlrev_b32_e32 v2, 2, v14
	v_lshl_or_b32 v2, v1, 6, v2
	v_add_u32_e32 v20, 0x50, v2
	v_subrev_u32_e32 v2, s11, v14
	v_lshlrev_b32_e32 v19, 4, v1
	v_add_u32_e32 v21, 1, v2
	s_mov_b64 s[38:39], 0
	v_mov_b32_e32 v22, 0xff7fffff
	s_movk_i32 s52, 0x7f
	s_movk_i32 s53, 0x80
	s_mov_b32 s54, 0x8000
	v_mov_b32_e32 v23, 0x1c00
	v_mbcnt_hi_u32_b32 v24, -1, v13
	v_mov_b32_e32 v17, 0xff7fffff
	v_mov_b32_e32 v25, v1
	s_branch .LBB236_13
.LBB236_11:                             ;   in Loop: Header=BB236_13 Depth=1
	s_or_b64 exec, exec, s[40:41]
.LBB236_12:                             ;   in Loop: Header=BB236_13 Depth=1
	s_or_b64 exec, exec, s[8:9]
	v_add_u32_e32 v25, 2, v25
	v_cmp_le_i32_e64 s[0:1], s46, v25
	v_lshl_add_u64 v[8:9], v[8:9], 0, 8
	v_add_u32_e32 v19, 32, v19
	s_or_b64 s[38:39], s[0:1], s[38:39]
	v_add_u32_e32 v20, 0x80, v20
	s_andn2_b64 exec, exec, s[38:39]
	s_cbranch_execz .LBB236_82
.LBB236_13:                             ; =>This Inner Loop Header: Depth=1
	v_mul_hi_u32 v2, v19, s33
	s_waitcnt lgkmcnt(0)
	v_mul_lo_u32 v10, v2, s25
	v_sub_u32_e32 v10, v19, v10
	v_add_u32_e32 v11, 1, v2
	v_cmp_le_u32_e64 s[0:1], s25, v10
	s_nop 1
	v_cndmask_b32_e64 v2, v2, v11, s[0:1]
	v_subrev_u32_e32 v11, s25, v10
	v_cndmask_b32_e64 v10, v10, v11, s[0:1]
	v_add_u32_e32 v11, 1, v2
	v_cmp_le_u32_e64 s[0:1], s25, v10
	s_nop 1
	v_cndmask_b32_e64 v2, v2, v11, s[0:1]
	v_xor_b32_e32 v2, s23, v2
	v_subrev_u32_e32 v2, s23, v2
	v_add_u32_e32 v10, s36, v2
	v_sub_u32_e32 v26, 0, v10
	v_ashrrev_i32_e32 v11, 31, v10
	v_max_i32_e32 v10, v10, v26
	v_mul_hi_u32 v26, v10, v18
	v_mul_lo_u32 v26, v26, s50
	v_sub_u32_e32 v10, v10, v26
	v_subrev_u32_e32 v26, s50, v10
	v_cmp_le_u32_e64 s[0:1], s50, v10
	v_cmp_ge_i32_e64 s[8:9], s49, v2
	s_nop 0
	v_cndmask_b32_e64 v10, v10, v26, s[0:1]
	v_subrev_u32_e32 v26, s50, v10
	v_cmp_le_u32_e64 s[0:1], s50, v10
	s_nop 1
	v_cndmask_b32_e64 v10, v10, v26, s[0:1]
	v_xor_b32_e32 v10, v10, v11
	v_sub_u32_e32 v10, v10, v11
	v_cmp_ne_u32_e64 s[0:1], 0, v10
	s_and_b64 s[0:1], s[0:1], s[8:9]
	s_and_b64 s[40:41], vcc, s[0:1]
	s_and_saveexec_b64 s[8:9], s[40:41]
	s_cbranch_execz .LBB236_15
; %bb.14:                               ;   in Loop: Header=BB236_13 Depth=1
	ds_write_b32 v20, v22
.LBB236_15:                             ;   in Loop: Header=BB236_13 Depth=1
	s_or_b64 exec, exec, s[8:9]
	s_xor_b64 s[0:1], s[0:1], -1
	s_and_saveexec_b64 s[8:9], s[0:1]
	s_cbranch_execz .LBB236_12
; %bb.16:                               ;   in Loop: Header=BB236_13 Depth=1
	global_load_dword v2, v[8:9], off
                                        ; implicit-def: $sgpr44
	s_waitcnt vmcnt(0)
	v_mad_i64_i32 v[10:11], s[0:1], v2, s51, v[4:5]
	v_lshl_add_u64 v[10:11], v[10:11], 0, v[6:7]
	global_load_ushort v2, v[10:11], off
	global_load_dword v26, v3, s[12:13]
	s_mov_b64 s[0:1], 0
	s_waitcnt vmcnt(1)
	v_cmp_gt_i16_sdwa s[40:41], v2, s52 src0_sel:BYTE_0 src1_sel:DWORD
	s_and_saveexec_b64 s[42:43], s[40:41]
	s_xor_b64 s[40:41], exec, s[42:43]
	s_cbranch_execnz .LBB236_50
; %bb.17:                               ;   in Loop: Header=BB236_13 Depth=1
	s_or_saveexec_b64 s[40:41], s[40:41]
	v_mov_b32_e32 v27, s44
	s_xor_b64 exec, exec, s[40:41]
	s_cbranch_execnz .LBB236_53
.LBB236_18:                             ;   in Loop: Header=BB236_13 Depth=1
	s_or_b64 exec, exec, s[40:41]
	v_and_b32_e32 v2, 0xffff, v2
	s_and_saveexec_b64 s[40:41], s[0:1]
	s_cbranch_execz .LBB236_20
.LBB236_19:                             ;   in Loop: Header=BB236_13 Depth=1
	v_and_b32_e32 v27, 7, v2
	v_ffbh_u32_e32 v28, v27
	v_min_u32_e32 v31, 32, v28
	v_subrev_u32_e32 v28, 28, v31
	v_bfe_u32 v30, v2, 3, 4
	v_lshlrev_b64 v[28:29], v28, v[2:3]
	v_sub_u32_e32 v29, 29, v31
	v_cmp_eq_u32_e64 s[0:1], 0, v30
	v_and_b32_e32 v28, 7, v28
	s_nop 0
	v_cndmask_b32_e64 v29, v30, v29, s[0:1]
	v_cndmask_b32_e64 v27, v27, v28, s[0:1]
	v_lshlrev_b32_e32 v28, 8, v2
	v_lshl_add_u32 v29, v29, 10, v23
	v_and_or_b32 v28, v28, s54, v29
	v_lshl_or_b32 v27, v27, 7, v28
	v_cvt_f32_f16_e32 v27, v27
.LBB236_20:                             ;   in Loop: Header=BB236_13 Depth=1
	s_or_b64 exec, exec, s[40:41]
	v_lshrrev_b16_e32 v2, 8, v2
	v_cmp_lt_i16_e64 s[0:1], s52, v2
	s_mov_b64 s[40:41], 0
                                        ; implicit-def: $sgpr55
	s_and_saveexec_b64 s[42:43], s[0:1]
	s_xor_b64 s[42:43], exec, s[42:43]
	s_cbranch_execnz .LBB236_54
; %bb.21:                               ;   in Loop: Header=BB236_13 Depth=1
	s_or_saveexec_b64 s[42:43], s[42:43]
	v_mov_b32_e32 v28, s55
	s_xor_b64 exec, exec, s[42:43]
	s_cbranch_execnz .LBB236_57
.LBB236_22:                             ;   in Loop: Header=BB236_13 Depth=1
	s_or_b64 exec, exec, s[42:43]
	s_and_saveexec_b64 s[42:43], s[40:41]
	s_cbranch_execz .LBB236_24
.LBB236_23:                             ;   in Loop: Header=BB236_13 Depth=1
	v_and_b32_e32 v30, 7, v2
	v_ffbh_u32_e32 v28, v30
	v_min_u32_e32 v32, 32, v28
	v_subrev_u32_e32 v28, 28, v32
	v_bfe_u32 v31, v2, 3, 4
	v_lshlrev_b64 v[28:29], v28, v[2:3]
	v_sub_u32_e32 v29, 29, v32
	v_cmp_eq_u32_e64 s[0:1], 0, v31
	v_and_b32_e32 v28, 7, v28
	v_lshlrev_b32_e32 v2, 8, v2
	v_cndmask_b32_e64 v29, v31, v29, s[0:1]
	v_lshl_add_u32 v29, v29, 10, v23
	v_cndmask_b32_e64 v28, v30, v28, s[0:1]
	v_and_or_b32 v2, v2, s54, v29
	v_lshl_or_b32 v2, v28, 7, v2
	v_cvt_f32_f16_e32 v28, v2
.LBB236_24:                             ;   in Loop: Header=BB236_13 Depth=1
	s_or_b64 exec, exec, s[42:43]
	global_load_ushort v2, v[10:11], off offset:8
	s_mov_b64 s[0:1], 0
                                        ; implicit-def: $sgpr44
	s_waitcnt vmcnt(0)
	v_cmp_gt_i16_sdwa s[40:41], v2, s52 src0_sel:BYTE_0 src1_sel:DWORD
	s_and_saveexec_b64 s[42:43], s[40:41]
	s_xor_b64 s[40:41], exec, s[42:43]
	s_cbranch_execnz .LBB236_58
; %bb.25:                               ;   in Loop: Header=BB236_13 Depth=1
	s_or_saveexec_b64 s[40:41], s[40:41]
	v_mov_b32_e32 v29, s44
	s_xor_b64 exec, exec, s[40:41]
	s_cbranch_execnz .LBB236_61
.LBB236_26:                             ;   in Loop: Header=BB236_13 Depth=1
	s_or_b64 exec, exec, s[40:41]
	v_and_b32_e32 v2, 0xffff, v2
	s_and_saveexec_b64 s[40:41], s[0:1]
	s_cbranch_execz .LBB236_28
.LBB236_27:                             ;   in Loop: Header=BB236_13 Depth=1
	v_and_b32_e32 v29, 7, v2
	v_ffbh_u32_e32 v30, v29
	v_min_u32_e32 v33, 32, v30
	v_subrev_u32_e32 v30, 28, v33
	v_bfe_u32 v32, v2, 3, 4
	v_lshlrev_b64 v[30:31], v30, v[2:3]
	v_sub_u32_e32 v31, 29, v33
	v_cmp_eq_u32_e64 s[0:1], 0, v32
	v_and_b32_e32 v30, 7, v30
	s_nop 0
	v_cndmask_b32_e64 v31, v32, v31, s[0:1]
	v_cndmask_b32_e64 v29, v29, v30, s[0:1]
	v_lshlrev_b32_e32 v30, 8, v2
	v_lshl_add_u32 v31, v31, 10, v23
	v_and_or_b32 v30, v30, s54, v31
	v_lshl_or_b32 v29, v29, 7, v30
	v_cvt_f32_f16_e32 v29, v29
.LBB236_28:                             ;   in Loop: Header=BB236_13 Depth=1
	s_or_b64 exec, exec, s[40:41]
	v_lshrrev_b16_e32 v2, 8, v2
	v_cmp_lt_i16_e64 s[0:1], s52, v2
	s_mov_b64 s[40:41], 0
                                        ; implicit-def: $sgpr55
	s_and_saveexec_b64 s[42:43], s[0:1]
	s_xor_b64 s[42:43], exec, s[42:43]
	s_cbranch_execnz .LBB236_62
; %bb.29:                               ;   in Loop: Header=BB236_13 Depth=1
	s_or_saveexec_b64 s[42:43], s[42:43]
	v_mov_b32_e32 v30, s55
	s_xor_b64 exec, exec, s[42:43]
	s_cbranch_execnz .LBB236_65
.LBB236_30:                             ;   in Loop: Header=BB236_13 Depth=1
	s_or_b64 exec, exec, s[42:43]
	s_and_saveexec_b64 s[42:43], s[40:41]
	s_cbranch_execz .LBB236_32
.LBB236_31:                             ;   in Loop: Header=BB236_13 Depth=1
	v_and_b32_e32 v32, 7, v2
	v_ffbh_u32_e32 v30, v32
	v_min_u32_e32 v34, 32, v30
	v_subrev_u32_e32 v30, 28, v34
	v_bfe_u32 v33, v2, 3, 4
	v_lshlrev_b64 v[30:31], v30, v[2:3]
	v_sub_u32_e32 v31, 29, v34
	v_cmp_eq_u32_e64 s[0:1], 0, v33
	v_and_b32_e32 v30, 7, v30
	v_lshlrev_b32_e32 v2, 8, v2
	v_cndmask_b32_e64 v31, v33, v31, s[0:1]
	v_lshl_add_u32 v31, v31, 10, v23
	v_cndmask_b32_e64 v30, v32, v30, s[0:1]
	v_and_or_b32 v2, v2, s54, v31
	v_lshl_or_b32 v2, v30, 7, v2
	v_cvt_f32_f16_e32 v30, v2
.LBB236_32:                             ;   in Loop: Header=BB236_13 Depth=1
	s_or_b64 exec, exec, s[42:43]
	global_load_ushort v2, v[10:11], off offset:256
	s_mov_b64 s[0:1], 0
                                        ; implicit-def: $sgpr44
	s_waitcnt vmcnt(0)
	v_cmp_gt_i16_sdwa s[40:41], v2, s52 src0_sel:BYTE_0 src1_sel:DWORD
	s_and_saveexec_b64 s[42:43], s[40:41]
	s_xor_b64 s[40:41], exec, s[42:43]
	s_cbranch_execnz .LBB236_66
; %bb.33:                               ;   in Loop: Header=BB236_13 Depth=1
	s_or_saveexec_b64 s[40:41], s[40:41]
	v_mov_b32_e32 v31, s44
	s_xor_b64 exec, exec, s[40:41]
	s_cbranch_execnz .LBB236_69
.LBB236_34:                             ;   in Loop: Header=BB236_13 Depth=1
	s_or_b64 exec, exec, s[40:41]
	v_and_b32_e32 v2, 0xffff, v2
	s_and_saveexec_b64 s[40:41], s[0:1]
	s_cbranch_execz .LBB236_36
.LBB236_35:                             ;   in Loop: Header=BB236_13 Depth=1
	v_and_b32_e32 v31, 7, v2
	v_ffbh_u32_e32 v32, v31
	v_min_u32_e32 v35, 32, v32
	v_subrev_u32_e32 v32, 28, v35
	v_bfe_u32 v34, v2, 3, 4
	v_lshlrev_b64 v[32:33], v32, v[2:3]
	v_sub_u32_e32 v33, 29, v35
	v_cmp_eq_u32_e64 s[0:1], 0, v34
	v_and_b32_e32 v32, 7, v32
	s_nop 0
	v_cndmask_b32_e64 v33, v34, v33, s[0:1]
	v_cndmask_b32_e64 v31, v31, v32, s[0:1]
	v_lshlrev_b32_e32 v32, 8, v2
	v_lshl_add_u32 v33, v33, 10, v23
	v_and_or_b32 v32, v32, s54, v33
	v_lshl_or_b32 v31, v31, 7, v32
	v_cvt_f32_f16_e32 v31, v31
.LBB236_36:                             ;   in Loop: Header=BB236_13 Depth=1
	s_or_b64 exec, exec, s[40:41]
	v_lshrrev_b16_e32 v2, 8, v2
	v_cmp_lt_i16_e64 s[0:1], s52, v2
	s_mov_b64 s[40:41], 0
                                        ; implicit-def: $sgpr55
	s_and_saveexec_b64 s[42:43], s[0:1]
	s_xor_b64 s[42:43], exec, s[42:43]
	s_cbranch_execnz .LBB236_70
; %bb.37:                               ;   in Loop: Header=BB236_13 Depth=1
	s_or_saveexec_b64 s[42:43], s[42:43]
	v_mov_b32_e32 v32, s55
	s_xor_b64 exec, exec, s[42:43]
	s_cbranch_execnz .LBB236_73
.LBB236_38:                             ;   in Loop: Header=BB236_13 Depth=1
	s_or_b64 exec, exec, s[42:43]
	s_and_saveexec_b64 s[42:43], s[40:41]
	s_cbranch_execz .LBB236_40
.LBB236_39:                             ;   in Loop: Header=BB236_13 Depth=1
	v_and_b32_e32 v34, 7, v2
	v_ffbh_u32_e32 v32, v34
	v_min_u32_e32 v36, 32, v32
	v_subrev_u32_e32 v32, 28, v36
	v_bfe_u32 v35, v2, 3, 4
	v_lshlrev_b64 v[32:33], v32, v[2:3]
	v_sub_u32_e32 v33, 29, v36
	v_cmp_eq_u32_e64 s[0:1], 0, v35
	v_and_b32_e32 v32, 7, v32
	v_lshlrev_b32_e32 v2, 8, v2
	v_cndmask_b32_e64 v33, v35, v33, s[0:1]
	v_lshl_add_u32 v33, v33, 10, v23
	v_cndmask_b32_e64 v32, v34, v32, s[0:1]
	v_and_or_b32 v2, v2, s54, v33
	v_lshl_or_b32 v2, v32, 7, v2
	v_cvt_f32_f16_e32 v32, v2
.LBB236_40:                             ;   in Loop: Header=BB236_13 Depth=1
	s_or_b64 exec, exec, s[42:43]
	global_load_ushort v2, v[10:11], off offset:264
	s_mov_b64 s[0:1], 0
                                        ; implicit-def: $sgpr44
	s_waitcnt vmcnt(0)
	v_cmp_gt_i16_sdwa s[40:41], v2, s52 src0_sel:BYTE_0 src1_sel:DWORD
	s_and_saveexec_b64 s[42:43], s[40:41]
	s_xor_b64 s[40:41], exec, s[42:43]
	s_cbranch_execnz .LBB236_74
; %bb.41:                               ;   in Loop: Header=BB236_13 Depth=1
	s_or_saveexec_b64 s[40:41], s[40:41]
	v_mov_b32_e32 v10, s44
	s_xor_b64 exec, exec, s[40:41]
	s_cbranch_execnz .LBB236_77
.LBB236_42:                             ;   in Loop: Header=BB236_13 Depth=1
	s_or_b64 exec, exec, s[40:41]
	v_and_b32_e32 v2, 0xffff, v2
	s_and_saveexec_b64 s[40:41], s[0:1]
	s_cbranch_execz .LBB236_44
.LBB236_43:                             ;   in Loop: Header=BB236_13 Depth=1
	v_and_b32_e32 v33, 7, v2
	v_ffbh_u32_e32 v10, v33
	v_min_u32_e32 v35, 32, v10
	v_subrev_u32_e32 v10, 28, v35
	v_bfe_u32 v34, v2, 3, 4
	v_lshlrev_b64 v[10:11], v10, v[2:3]
	v_sub_u32_e32 v11, 29, v35
	v_cmp_eq_u32_e64 s[0:1], 0, v34
	v_and_b32_e32 v10, 7, v10
	s_nop 0
	v_cndmask_b32_e64 v11, v34, v11, s[0:1]
	v_cndmask_b32_e64 v10, v33, v10, s[0:1]
	v_lshlrev_b32_e32 v33, 8, v2
	v_lshl_add_u32 v11, v11, 10, v23
	v_and_or_b32 v11, v33, s54, v11
	v_lshl_or_b32 v10, v10, 7, v11
	v_cvt_f32_f16_e32 v10, v10
.LBB236_44:                             ;   in Loop: Header=BB236_13 Depth=1
	s_or_b64 exec, exec, s[40:41]
	v_lshrrev_b16_e32 v2, 8, v2
	v_cmp_lt_i16_e64 s[0:1], s52, v2
	s_mov_b64 s[40:41], 0
                                        ; implicit-def: $sgpr55
	s_and_saveexec_b64 s[42:43], s[0:1]
	s_xor_b64 s[42:43], exec, s[42:43]
	s_cbranch_execnz .LBB236_78
; %bb.45:                               ;   in Loop: Header=BB236_13 Depth=1
	s_or_saveexec_b64 s[42:43], s[42:43]
	v_mov_b32_e32 v11, s55
	s_xor_b64 exec, exec, s[42:43]
	s_cbranch_execnz .LBB236_81
.LBB236_46:                             ;   in Loop: Header=BB236_13 Depth=1
	s_or_b64 exec, exec, s[42:43]
	s_and_saveexec_b64 s[42:43], s[40:41]
	s_cbranch_execz .LBB236_48
.LBB236_47:                             ;   in Loop: Header=BB236_13 Depth=1
	v_and_b32_e32 v11, 7, v2
	v_ffbh_u32_e32 v34, v11
	v_min_u32_e32 v36, 32, v34
	v_subrev_u32_e32 v34, 28, v36
	v_bfe_u32 v33, v2, 3, 4
	v_lshlrev_b64 v[34:35], v34, v[2:3]
	v_sub_u32_e32 v35, 29, v36
	v_cmp_eq_u32_e64 s[0:1], 0, v33
	v_and_b32_e32 v34, 7, v34
	v_lshlrev_b32_e32 v2, 8, v2
	v_cndmask_b32_e64 v33, v33, v35, s[0:1]
	v_lshl_add_u32 v33, v33, 10, v23
	v_cndmask_b32_e64 v11, v11, v34, s[0:1]
	v_and_or_b32 v2, v2, s54, v33
	v_lshl_or_b32 v2, v11, 7, v2
	v_cvt_f32_f16_e32 v11, v2
.LBB236_48:                             ;   in Loop: Header=BB236_13 Depth=1
	s_or_b64 exec, exec, s[42:43]
	ds_read_b32 v2, v15
	v_fma_mixlo_f16 v27, v26, v27, 0
	v_fma_mixlo_f16 v28, v26, v28, 0
	v_and_b32_e32 v27, 0xffff, v27
	v_and_b32_e32 v28, 0xffff, v28
	s_waitcnt lgkmcnt(0)
	v_lshrrev_b32_e32 v33, 16, v2
	v_and_b32_e32 v2, 0xffff, v2
	;;#ASMSTART
	v_cvt_f32_f16 v2, v2;
	;;#ASMEND
	;;#ASMSTART
	v_cvt_f32_f16 v33, v33;
	;;#ASMEND
	;; [unrolled: 3-line block ×4, first 2 shown]
	ds_read_b32 v34, v15 offset:4
	v_fma_mixlo_f16 v29, v26, v29, 0
	v_fma_mixlo_f16 v30, v26, v30, 0
	v_and_b32_e32 v29, 0xffff, v29
	v_and_b32_e32 v30, 0xffff, v30
	s_waitcnt lgkmcnt(0)
	v_lshrrev_b32_e32 v35, 16, v34
	v_and_b32_e32 v34, 0xffff, v34
	;;#ASMSTART
	v_cvt_f32_f16 v34, v34;
	;;#ASMEND
	;;#ASMSTART
	v_cvt_f32_f16 v35, v35;
	;;#ASMEND
	;; [unrolled: 3-line block ×4, first 2 shown]
	ds_read_b32 v36, v15 offset:8
	v_fma_mixlo_f16 v31, v26, v31, 0
	v_fma_mixlo_f16 v32, v26, v32, 0
	;; [unrolled: 1-line block ×4, first 2 shown]
	v_mul_f32_e32 v26, v34, v29
	v_fmac_f32_e32 v26, v2, v27
	s_waitcnt lgkmcnt(0)
	v_lshrrev_b32_e32 v2, 16, v36
	v_and_b32_e32 v27, 0xffff, v36
	v_and_b32_e32 v29, 0xffff, v31
	;; [unrolled: 1-line block ×3, first 2 shown]
	;;#ASMSTART
	v_cvt_f32_f16 v27, v27;
	;;#ASMEND
	;;#ASMSTART
	v_cvt_f32_f16 v2, v2;
	;;#ASMEND
	;; [unrolled: 3-line block ×4, first 2 shown]
	ds_read_b32 v32, v15 offset:12
	v_mul_f32_e32 v30, v35, v30
	v_fmac_f32_e32 v30, v33, v28
	v_fmac_f32_e32 v26, v27, v29
	;; [unrolled: 1-line block ×3, first 2 shown]
	s_waitcnt lgkmcnt(0)
	v_lshrrev_b32_e32 v2, 16, v32
	v_and_b32_e32 v27, 0xffff, v32
	v_and_b32_e32 v10, 0xffff, v10
	;;#ASMSTART
	v_cvt_f32_f16 v27, v27;
	;;#ASMEND
	;;#ASMSTART
	v_cvt_f32_f16 v2, v2;
	;;#ASMEND
	;; [unrolled: 3-line block ×3, first 2 shown]
	v_and_b32_e32 v11, 0xffff, v11
	;;#ASMSTART
	v_cvt_f32_f16 v11, v11;
	;;#ASMEND
	v_fmac_f32_e32 v26, v27, v10
	v_and_b32_e32 v10, 64, v24
	v_fmac_f32_e32 v30, v2, v11
	v_add_u32_e32 v10, 64, v10
	v_xor_b32_e32 v11, 2, v24
	v_cmp_lt_i32_e64 s[0:1], v11, v10
	v_add_f32_e32 v2, v26, v30
	s_nop 0
	v_cndmask_b32_e64 v11, v24, v11, s[0:1]
	v_lshlrev_b32_e32 v11, 2, v11
	ds_bpermute_b32 v11, v11, v2
	s_waitcnt lgkmcnt(0)
	v_add_f32_e32 v2, v2, v11
	v_xor_b32_e32 v11, 1, v24
	v_cmp_lt_i32_e64 s[0:1], v11, v10
	s_nop 1
	v_cndmask_b32_e64 v10, v24, v11, s[0:1]
	v_lshlrev_b32_e32 v10, 2, v10
	ds_bpermute_b32 v10, v10, v2
	s_and_saveexec_b64 s[40:41], vcc
	s_cbranch_execz .LBB236_11
; %bb.49:                               ;   in Loop: Header=BB236_13 Depth=1
	v_add_u32_e32 v11, v21, v19
	v_cvt_f32_i32_e32 v11, v11
	s_waitcnt lgkmcnt(0)
	v_add_f32_e32 v2, v2, v10
	v_add_u32_e32 v26, v14, v19
	v_cmp_gt_i32_e64 s[0:1], s11, v26
	v_mul_f32_e32 v10, s48, v11
	v_cndmask_b32_e64 v10, 0, v10, s[2:3]
	v_fmac_f32_e32 v10, s37, v2
	v_cndmask_b32_e64 v2, 0, v10, s[0:1]
	ds_write_b32 v20, v2
	v_max_f32_e32 v2, v17, v17
	v_max_f32_e32 v2, v2, v10
	v_cndmask_b32_e64 v17, v17, v2, s[0:1]
	s_branch .LBB236_11
.LBB236_50:                             ;   in Loop: Header=BB236_13 Depth=1
	v_cmp_eq_u16_sdwa s[56:57], v2, s53 src0_sel:BYTE_0 src1_sel:DWORD
	s_mov_b64 s[0:1], -1
                                        ; implicit-def: $sgpr44
	s_and_saveexec_b64 s[42:43], s[56:57]
; %bb.51:                               ;   in Loop: Header=BB236_13 Depth=1
	s_mov_b32 s44, 0x7fc02000
	s_xor_b64 s[0:1], exec, -1
; %bb.52:                               ;   in Loop: Header=BB236_13 Depth=1
	s_or_b64 exec, exec, s[42:43]
	s_and_b64 s[0:1], s[0:1], exec
	s_or_saveexec_b64 s[40:41], s[40:41]
	v_mov_b32_e32 v27, s44
	s_xor_b64 exec, exec, s[40:41]
	s_cbranch_execz .LBB236_18
.LBB236_53:                             ;   in Loop: Header=BB236_13 Depth=1
	v_cmp_ne_u16_sdwa s[42:43], v2, v3 src0_sel:BYTE_0 src1_sel:DWORD
	s_andn2_b64 s[0:1], s[0:1], exec
	s_and_b64 s[42:43], s[42:43], exec
	v_mov_b32_e32 v27, 0
	s_or_b64 s[0:1], s[0:1], s[42:43]
	s_or_b64 exec, exec, s[40:41]
	v_and_b32_e32 v2, 0xffff, v2
	s_and_saveexec_b64 s[40:41], s[0:1]
	s_cbranch_execnz .LBB236_19
	s_branch .LBB236_20
.LBB236_54:                             ;   in Loop: Header=BB236_13 Depth=1
	v_cmp_eq_u16_e64 s[0:1], s53, v2
	s_mov_b64 s[40:41], -1
                                        ; implicit-def: $sgpr55
	s_and_saveexec_b64 s[44:45], s[0:1]
; %bb.55:                               ;   in Loop: Header=BB236_13 Depth=1
	s_mov_b32 s55, 0x7fc02000
	s_xor_b64 s[40:41], exec, -1
; %bb.56:                               ;   in Loop: Header=BB236_13 Depth=1
	s_or_b64 exec, exec, s[44:45]
	s_and_b64 s[40:41], s[40:41], exec
	s_or_saveexec_b64 s[42:43], s[42:43]
	v_mov_b32_e32 v28, s55
	s_xor_b64 exec, exec, s[42:43]
	s_cbranch_execz .LBB236_22
.LBB236_57:                             ;   in Loop: Header=BB236_13 Depth=1
	v_cmp_ne_u16_e64 s[0:1], 0, v2
	s_andn2_b64 s[40:41], s[40:41], exec
	s_and_b64 s[0:1], s[0:1], exec
	v_mov_b32_e32 v28, 0
	s_or_b64 s[40:41], s[40:41], s[0:1]
	s_or_b64 exec, exec, s[42:43]
	s_and_saveexec_b64 s[42:43], s[40:41]
	s_cbranch_execnz .LBB236_23
	s_branch .LBB236_24
.LBB236_58:                             ;   in Loop: Header=BB236_13 Depth=1
	v_cmp_eq_u16_sdwa s[56:57], v2, s53 src0_sel:BYTE_0 src1_sel:DWORD
	s_mov_b64 s[0:1], -1
                                        ; implicit-def: $sgpr44
	s_and_saveexec_b64 s[42:43], s[56:57]
; %bb.59:                               ;   in Loop: Header=BB236_13 Depth=1
	s_mov_b32 s44, 0x7fc02000
	s_xor_b64 s[0:1], exec, -1
; %bb.60:                               ;   in Loop: Header=BB236_13 Depth=1
	s_or_b64 exec, exec, s[42:43]
	s_and_b64 s[0:1], s[0:1], exec
	s_or_saveexec_b64 s[40:41], s[40:41]
	v_mov_b32_e32 v29, s44
	s_xor_b64 exec, exec, s[40:41]
	s_cbranch_execz .LBB236_26
.LBB236_61:                             ;   in Loop: Header=BB236_13 Depth=1
	v_cmp_ne_u16_sdwa s[42:43], v2, v3 src0_sel:BYTE_0 src1_sel:DWORD
	s_andn2_b64 s[0:1], s[0:1], exec
	s_and_b64 s[42:43], s[42:43], exec
	v_mov_b32_e32 v29, 0
	s_or_b64 s[0:1], s[0:1], s[42:43]
	s_or_b64 exec, exec, s[40:41]
	v_and_b32_e32 v2, 0xffff, v2
	s_and_saveexec_b64 s[40:41], s[0:1]
	s_cbranch_execnz .LBB236_27
	s_branch .LBB236_28
.LBB236_62:                             ;   in Loop: Header=BB236_13 Depth=1
	v_cmp_eq_u16_e64 s[0:1], s53, v2
	s_mov_b64 s[40:41], -1
                                        ; implicit-def: $sgpr55
	s_and_saveexec_b64 s[44:45], s[0:1]
; %bb.63:                               ;   in Loop: Header=BB236_13 Depth=1
	s_mov_b32 s55, 0x7fc02000
	s_xor_b64 s[40:41], exec, -1
; %bb.64:                               ;   in Loop: Header=BB236_13 Depth=1
	s_or_b64 exec, exec, s[44:45]
	s_and_b64 s[40:41], s[40:41], exec
	s_or_saveexec_b64 s[42:43], s[42:43]
	v_mov_b32_e32 v30, s55
	s_xor_b64 exec, exec, s[42:43]
	s_cbranch_execz .LBB236_30
.LBB236_65:                             ;   in Loop: Header=BB236_13 Depth=1
	v_cmp_ne_u16_e64 s[0:1], 0, v2
	s_andn2_b64 s[40:41], s[40:41], exec
	s_and_b64 s[0:1], s[0:1], exec
	v_mov_b32_e32 v30, 0
	s_or_b64 s[40:41], s[40:41], s[0:1]
	s_or_b64 exec, exec, s[42:43]
	s_and_saveexec_b64 s[42:43], s[40:41]
	s_cbranch_execnz .LBB236_31
	s_branch .LBB236_32
.LBB236_66:                             ;   in Loop: Header=BB236_13 Depth=1
	v_cmp_eq_u16_sdwa s[56:57], v2, s53 src0_sel:BYTE_0 src1_sel:DWORD
	s_mov_b64 s[0:1], -1
                                        ; implicit-def: $sgpr44
	s_and_saveexec_b64 s[42:43], s[56:57]
; %bb.67:                               ;   in Loop: Header=BB236_13 Depth=1
	s_mov_b32 s44, 0x7fc02000
	s_xor_b64 s[0:1], exec, -1
; %bb.68:                               ;   in Loop: Header=BB236_13 Depth=1
	s_or_b64 exec, exec, s[42:43]
	s_and_b64 s[0:1], s[0:1], exec
	s_or_saveexec_b64 s[40:41], s[40:41]
	v_mov_b32_e32 v31, s44
	s_xor_b64 exec, exec, s[40:41]
	s_cbranch_execz .LBB236_34
.LBB236_69:                             ;   in Loop: Header=BB236_13 Depth=1
	v_cmp_ne_u16_sdwa s[42:43], v2, v3 src0_sel:BYTE_0 src1_sel:DWORD
	s_andn2_b64 s[0:1], s[0:1], exec
	s_and_b64 s[42:43], s[42:43], exec
	v_mov_b32_e32 v31, 0
	s_or_b64 s[0:1], s[0:1], s[42:43]
	s_or_b64 exec, exec, s[40:41]
	v_and_b32_e32 v2, 0xffff, v2
	s_and_saveexec_b64 s[40:41], s[0:1]
	s_cbranch_execnz .LBB236_35
	s_branch .LBB236_36
.LBB236_70:                             ;   in Loop: Header=BB236_13 Depth=1
	v_cmp_eq_u16_e64 s[0:1], s53, v2
	s_mov_b64 s[40:41], -1
                                        ; implicit-def: $sgpr55
	s_and_saveexec_b64 s[44:45], s[0:1]
; %bb.71:                               ;   in Loop: Header=BB236_13 Depth=1
	s_mov_b32 s55, 0x7fc02000
	s_xor_b64 s[40:41], exec, -1
; %bb.72:                               ;   in Loop: Header=BB236_13 Depth=1
	s_or_b64 exec, exec, s[44:45]
	s_and_b64 s[40:41], s[40:41], exec
	s_or_saveexec_b64 s[42:43], s[42:43]
	v_mov_b32_e32 v32, s55
	s_xor_b64 exec, exec, s[42:43]
	s_cbranch_execz .LBB236_38
.LBB236_73:                             ;   in Loop: Header=BB236_13 Depth=1
	v_cmp_ne_u16_e64 s[0:1], 0, v2
	s_andn2_b64 s[40:41], s[40:41], exec
	s_and_b64 s[0:1], s[0:1], exec
	v_mov_b32_e32 v32, 0
	s_or_b64 s[40:41], s[40:41], s[0:1]
	s_or_b64 exec, exec, s[42:43]
	s_and_saveexec_b64 s[42:43], s[40:41]
	s_cbranch_execnz .LBB236_39
	s_branch .LBB236_40
.LBB236_74:                             ;   in Loop: Header=BB236_13 Depth=1
	v_cmp_eq_u16_sdwa s[56:57], v2, s53 src0_sel:BYTE_0 src1_sel:DWORD
	s_mov_b64 s[0:1], -1
                                        ; implicit-def: $sgpr44
	s_and_saveexec_b64 s[42:43], s[56:57]
; %bb.75:                               ;   in Loop: Header=BB236_13 Depth=1
	s_mov_b32 s44, 0x7fc02000
	s_xor_b64 s[0:1], exec, -1
; %bb.76:                               ;   in Loop: Header=BB236_13 Depth=1
	s_or_b64 exec, exec, s[42:43]
	s_and_b64 s[0:1], s[0:1], exec
	s_or_saveexec_b64 s[40:41], s[40:41]
	v_mov_b32_e32 v10, s44
	s_xor_b64 exec, exec, s[40:41]
	s_cbranch_execz .LBB236_42
.LBB236_77:                             ;   in Loop: Header=BB236_13 Depth=1
	v_cmp_ne_u16_sdwa s[42:43], v2, v3 src0_sel:BYTE_0 src1_sel:DWORD
	s_andn2_b64 s[0:1], s[0:1], exec
	s_and_b64 s[42:43], s[42:43], exec
	v_mov_b32_e32 v10, 0
	s_or_b64 s[0:1], s[0:1], s[42:43]
	s_or_b64 exec, exec, s[40:41]
	v_and_b32_e32 v2, 0xffff, v2
	s_and_saveexec_b64 s[40:41], s[0:1]
	s_cbranch_execnz .LBB236_43
	s_branch .LBB236_44
.LBB236_78:                             ;   in Loop: Header=BB236_13 Depth=1
	v_cmp_eq_u16_e64 s[0:1], s53, v2
	s_mov_b64 s[40:41], -1
                                        ; implicit-def: $sgpr55
	s_and_saveexec_b64 s[44:45], s[0:1]
; %bb.79:                               ;   in Loop: Header=BB236_13 Depth=1
	s_mov_b32 s55, 0x7fc02000
	s_xor_b64 s[40:41], exec, -1
; %bb.80:                               ;   in Loop: Header=BB236_13 Depth=1
	s_or_b64 exec, exec, s[44:45]
	s_and_b64 s[40:41], s[40:41], exec
	s_or_saveexec_b64 s[42:43], s[42:43]
	v_mov_b32_e32 v11, s55
	s_xor_b64 exec, exec, s[42:43]
	s_cbranch_execz .LBB236_46
.LBB236_81:                             ;   in Loop: Header=BB236_13 Depth=1
	v_cmp_ne_u16_e64 s[0:1], 0, v2
	s_andn2_b64 s[40:41], s[40:41], exec
	s_and_b64 s[0:1], s[0:1], exec
	v_mov_b32_e32 v11, 0
	s_or_b64 s[40:41], s[40:41], s[0:1]
	s_or_b64 exec, exec, s[42:43]
	s_and_saveexec_b64 s[42:43], s[40:41]
	s_cbranch_execnz .LBB236_47
	s_branch .LBB236_48
.LBB236_82:
	s_or_b64 exec, exec, s[38:39]
.LBB236_83:
	s_or_b64 exec, exec, s[18:19]
	v_mbcnt_hi_u32_b32 v2, -1, v13
	v_and_b32_e32 v3, 64, v2
	v_add_u32_e32 v3, 64, v3
	v_xor_b32_e32 v4, 32, v2
	v_cmp_lt_i32_e32 vcc, v4, v3
	v_xor_b32_e32 v7, 16, v2
	v_max_f32_e32 v6, v17, v17
	v_cndmask_b32_e32 v4, v2, v4, vcc
	v_lshlrev_b32_e32 v4, 2, v4
	ds_bpermute_b32 v5, v4, v17
	v_cmp_lt_i32_e32 vcc, v7, v3
	v_xor_b32_e32 v8, 8, v2
	v_xor_b32_e32 v9, 4, v2
	s_waitcnt lgkmcnt(0)
	v_max_f32_e32 v5, v5, v5
	v_max_f32_e32 v6, v6, v5
	v_cndmask_b32_e32 v5, v2, v7, vcc
	v_lshlrev_b32_e32 v5, 2, v5
	ds_bpermute_b32 v7, v5, v6
	v_cmp_lt_i32_e32 vcc, v8, v3
	s_waitcnt lgkmcnt(0)
	v_max_f32_e32 v7, v7, v7
	v_max_f32_e32 v6, v6, v7
	v_cndmask_b32_e32 v7, v2, v8, vcc
	v_lshlrev_b32_e32 v8, 2, v7
	ds_bpermute_b32 v7, v8, v6
	v_cmp_lt_i32_e32 vcc, v9, v3
	s_waitcnt lgkmcnt(0)
	v_max_f32_e32 v7, v7, v7
	v_max_f32_e32 v7, v6, v7
	v_cndmask_b32_e32 v6, v2, v9, vcc
	v_lshlrev_b32_e32 v10, 2, v6
	ds_bpermute_b32 v11, v10, v7
	v_and_b32_e32 v9, 63, v0
	v_cmp_eq_u32_e32 vcc, 0, v9
	v_lshlrev_b32_e32 v6, 2, v1
	s_and_saveexec_b64 s[0:1], vcc
	s_cbranch_execz .LBB236_85
; %bb.84:
	s_waitcnt lgkmcnt(0)
	v_max_f32_e32 v11, v11, v11
	v_max_f32_e32 v7, v7, v7
	;; [unrolled: 1-line block ×3, first 2 shown]
	ds_write_b32 v6, v7 offset:64
.LBB236_85:
	s_or_b64 exec, exec, s[0:1]
	v_cmp_gt_u32_e64 s[0:1], 2, v9
	s_waitcnt lgkmcnt(0)
	v_mov_b32_e32 v11, 0xff7fffff
	v_lshlrev_b32_e32 v7, 2, v9
	s_barrier
	s_and_saveexec_b64 s[2:3], s[0:1]
	s_cbranch_execz .LBB236_87
; %bb.86:
	ds_read_b32 v11, v7 offset:64
.LBB236_87:
	s_or_b64 exec, exec, s[2:3]
	v_xor_b32_e32 v13, 1, v2
	v_cmp_lt_i32_e64 s[2:3], v13, v3
	v_lshlrev_b32_e32 v14, 2, v2
	s_nop 0
	v_cndmask_b32_e64 v13, v2, v13, s[2:3]
	v_lshlrev_b32_e32 v17, 2, v13
	s_waitcnt lgkmcnt(0)
	ds_bpermute_b32 v13, v17, v11
	v_max_f32_e32 v11, v11, v11
	s_lshl_b32 s2, s46, 4
	s_min_i32 s37, s2, s11
	v_cmp_gt_i32_e64 s[2:3], s37, v0
	s_waitcnt lgkmcnt(0)
	v_max_f32_e32 v13, v13, v13
	v_max_f32_e32 v13, v11, v13
	v_and_b32_e32 v11, 0x100, v14
	ds_bpermute_b32 v14, v11, v13
	v_mov_b32_e32 v13, 0
	s_and_saveexec_b64 s[12:13], s[2:3]
	s_cbranch_execz .LBB236_91
; %bb.88:
	v_mov_b32_e32 v13, 0x50
	v_lshl_add_u32 v15, v0, 2, v13
	s_mov_b64 s[18:19], 0
	v_mov_b32_e32 v13, 0
	v_mov_b32_e32 v18, v0
.LBB236_89:                             ; =>This Inner Loop Header: Depth=1
	ds_read_b32 v19, v15
	v_add_u32_e32 v18, 0x80, v18
	v_cmp_le_i32_e64 s[8:9], s37, v18
	s_or_b64 s[18:19], s[8:9], s[18:19]
	s_waitcnt lgkmcnt(0)
	v_sub_f32_e32 v19, v19, v14
	v_mul_f32_e32 v19, 0x3fb8aa3b, v19
	v_exp_f32_e32 v19, v19
	ds_write_b32 v15, v19
	v_add_f32_e32 v13, v13, v19
	v_add_u32_e32 v15, 0x200, v15
	s_andn2_b64 exec, exec, s[18:19]
	s_cbranch_execnz .LBB236_89
; %bb.90:
	s_or_b64 exec, exec, s[18:19]
.LBB236_91:
	s_or_b64 exec, exec, s[12:13]
	ds_bpermute_b32 v4, v4, v13
	s_waitcnt lgkmcnt(0)
	v_add_f32_e32 v4, v13, v4
	ds_bpermute_b32 v5, v5, v4
	s_waitcnt lgkmcnt(0)
	v_add_f32_e32 v4, v4, v5
	ds_bpermute_b32 v5, v8, v4
	v_xor_b32_e32 v8, 2, v2
	v_cmp_lt_i32_e64 s[8:9], v8, v3
	s_waitcnt lgkmcnt(0)
	v_add_f32_e32 v4, v4, v5
	ds_bpermute_b32 v5, v10, v4
	v_cndmask_b32_e64 v2, v2, v8, s[8:9]
	v_lshlrev_b32_e32 v2, 2, v2
	s_waitcnt lgkmcnt(0)
	v_add_f32_e32 v3, v4, v5
	ds_bpermute_b32 v2, v2, v3
	s_waitcnt lgkmcnt(0)
	v_add_f32_e32 v2, v3, v2
	ds_bpermute_b32 v3, v17, v2
	s_waitcnt lgkmcnt(0)
	v_add_f32_e32 v2, v2, v3
	s_and_saveexec_b64 s[8:9], vcc
	s_cbranch_execz .LBB236_93
; %bb.92:
	ds_write_b32 v6, v2 offset:72
.LBB236_93:
	s_or_b64 exec, exec, s[8:9]
	s_waitcnt lgkmcnt(0)
	s_barrier
	s_and_saveexec_b64 s[8:9], s[0:1]
	s_cbranch_execz .LBB236_95
; %bb.94:
	ds_read_b32 v2, v7 offset:72
.LBB236_95:
	s_or_b64 exec, exec, s[8:9]
	s_waitcnt lgkmcnt(0)
	ds_bpermute_b32 v3, v17, v2
	s_waitcnt lgkmcnt(0)
	v_add_f32_e32 v2, v2, v3
	ds_bpermute_b32 v2, v11, v2
	s_and_saveexec_b64 s[0:1], s[2:3]
	s_cbranch_execz .LBB236_108
; %bb.96:
	s_waitcnt lgkmcnt(0)
	v_add_f32_e32 v2, 0x358637bd, v2
	v_div_scale_f32 v3, s[2:3], v2, v2, 1.0
	v_rcp_f32_e32 v4, v3
	v_div_scale_f32 v5, vcc, 1.0, v2, 1.0
	s_movk_i32 s2, 0x7f
	v_fma_f32 v6, -v3, v4, 1.0
	v_fmac_f32_e32 v4, v6, v4
	v_mul_f32_e32 v6, v5, v4
	v_fma_f32 v7, -v3, v6, v5
	v_fmac_f32_e32 v6, v7, v4
	v_fma_f32 v3, -v3, v6, v5
	v_div_fmas_f32 v3, v3, v4, v6
	v_xad_u32 v4, v0, -1, s37
	v_div_fixup_f32 v2, v3, v2, 1.0
	v_cmp_lt_u32_e32 vcc, s2, v4
	s_mov_b64 s[8:9], -1
	v_mov_b32_e32 v3, v0
	s_and_saveexec_b64 s[2:3], vcc
	s_cbranch_execz .LBB236_105
; %bb.97:
	v_lshrrev_b32_e32 v4, 7, v4
	v_add_u32_e32 v6, -1, v4
	v_lshrrev_b32_e32 v5, 1, v6
	v_mov_b32_e32 v3, v2
	v_add_u32_e32 v5, 1, v5
	v_cmp_lt_u32_e32 vcc, 13, v6
	v_mov_b32_e32 v8, 0
	s_and_saveexec_b64 s[8:9], vcc
	s_cbranch_execz .LBB236_101
; %bb.98:
	v_mov_b32_e32 v7, 0x50
	v_and_b32_e32 v6, -8, v5
	v_lshl_add_u32 v7, v0, 2, v7
	s_mov_b32 s18, 0
	s_mov_b64 s[12:13], 0
.LBB236_99:                             ; =>This Inner Loop Header: Depth=1
	ds_read2st64_b32 v[10:11], v7 offset1:2
	ds_read2st64_b32 v[14:15], v7 offset0:4 offset1:6
	ds_read2st64_b32 v[18:19], v7 offset0:8 offset1:10
	;; [unrolled: 1-line block ×3, first 2 shown]
	v_add_u32_e32 v6, -8, v6
	s_waitcnt lgkmcnt(3)
	v_pk_mul_f32 v[10:11], v[2:3], v[10:11]
	s_waitcnt lgkmcnt(2)
	v_pk_mul_f32 v[14:15], v[2:3], v[14:15]
	ds_write2st64_b32 v7, v10, v11 offset1:2
	ds_write2st64_b32 v7, v14, v15 offset0:4 offset1:6
	ds_read2st64_b32 v[14:15], v7 offset0:16 offset1:18
	s_waitcnt lgkmcnt(4)
	v_pk_mul_f32 v[10:11], v[2:3], v[18:19]
	ds_write2st64_b32 v7, v10, v11 offset0:8 offset1:10
	s_waitcnt lgkmcnt(4)
	v_pk_mul_f32 v[10:11], v[2:3], v[20:21]
	ds_write2st64_b32 v7, v10, v11 offset0:12 offset1:14
	ds_read2st64_b32 v[10:11], v7 offset0:20 offset1:22
	s_waitcnt lgkmcnt(3)
	v_pk_mul_f32 v[14:15], v[2:3], v[14:15]
	ds_read2st64_b32 v[18:19], v7 offset0:24 offset1:26
	ds_write2st64_b32 v7, v14, v15 offset0:16 offset1:18
	ds_read2st64_b32 v[14:15], v7 offset0:28 offset1:30
	s_waitcnt lgkmcnt(3)
	v_pk_mul_f32 v[10:11], v[2:3], v[10:11]
	ds_write2st64_b32 v7, v10, v11 offset0:20 offset1:22
	s_waitcnt lgkmcnt(3)
	v_pk_mul_f32 v[10:11], v[2:3], v[18:19]
	ds_write2st64_b32 v7, v10, v11 offset0:24 offset1:26
	s_waitcnt lgkmcnt(2)
	v_pk_mul_f32 v[10:11], v[2:3], v[14:15]
	s_add_i32 s18, s18, 16
	v_cmp_eq_u32_e32 vcc, 0, v6
	ds_write2st64_b32 v7, v10, v11 offset0:28 offset1:30
	v_add_u32_e32 v7, 0x2000, v7
	s_or_b64 s[12:13], vcc, s[12:13]
	v_mov_b32_e32 v8, s18
	s_andn2_b64 exec, exec, s[12:13]
	s_cbranch_execnz .LBB236_99
; %bb.100:
	s_or_b64 exec, exec, s[12:13]
.LBB236_101:
	s_or_b64 exec, exec, s[8:9]
	v_and_b32_e32 v5, 7, v5
	v_cmp_ne_u32_e32 vcc, 0, v5
	s_and_saveexec_b64 s[8:9], vcc
	s_cbranch_execz .LBB236_104
; %bb.102:
	v_lshlrev_b32_e32 v6, 9, v8
	v_lshlrev_b32_e32 v7, 2, v0
	s_movk_i32 s12, 0x50
	v_add3_u32 v6, v6, v7, s12
	s_mov_b64 s[12:13], 0
.LBB236_103:                            ; =>This Inner Loop Header: Depth=1
	ds_read2st64_b32 v[10:11], v6 offset1:2
	v_add_u32_e32 v5, -1, v5
	v_cmp_eq_u32_e32 vcc, 0, v5
	s_or_b64 s[12:13], vcc, s[12:13]
	s_waitcnt lgkmcnt(0)
	v_pk_mul_f32 v[10:11], v[2:3], v[10:11]
	ds_write2st64_b32 v6, v10, v11 offset1:2
	v_add_u32_e32 v6, 0x400, v6
	s_andn2_b64 exec, exec, s[12:13]
	s_cbranch_execnz .LBB236_103
.LBB236_104:
	s_or_b64 exec, exec, s[8:9]
	v_add_u32_e32 v4, 1, v4
	v_and_b32_e32 v5, 0x3fffffe, v4
	v_cmp_ne_u32_e32 vcc, v4, v5
	v_lshl_add_u32 v3, v5, 7, v0
	s_orn2_b64 s[8:9], vcc, exec
.LBB236_105:
	s_or_b64 exec, exec, s[2:3]
	s_and_b64 exec, exec, s[8:9]
	s_cbranch_execz .LBB236_108
; %bb.106:
	v_mov_b32_e32 v4, 0x50
	v_lshl_add_u32 v4, v3, 2, v4
	s_mov_b64 s[2:3], 0
.LBB236_107:                            ; =>This Inner Loop Header: Depth=1
	ds_read_b32 v5, v4
	v_add_u32_e32 v3, 0x80, v3
	v_cmp_le_i32_e32 vcc, s37, v3
	s_or_b64 s[2:3], vcc, s[2:3]
	s_waitcnt lgkmcnt(0)
	v_mul_f32_e32 v5, v2, v5
	ds_write_b32 v4, v5
	v_add_u32_e32 v4, 0x200, v4
	s_andn2_b64 exec, exec, s[2:3]
	s_cbranch_execnz .LBB236_107
.LBB236_108:
	s_or_b64 exec, exec, s[0:1]
	v_mov_b32_e32 v20, 0
	s_waitcnt lgkmcnt(0)
	s_barrier
	s_and_saveexec_b64 s[2:3], s[6:7]
	s_cbranch_execz .LBB236_180
; %bb.109:
	s_sub_i32 s18, s16, s21
	s_ashr_i32 s1, s47, 31
	s_add_u32 s0, s34, s47
	s_addc_u32 s1, s35, s1
	s_abs_i32 s19, s22
	v_cvt_f32_u32_e32 v2, s19
	v_lshlrev_b32_e32 v3, 3, v0
	v_and_b32_e32 v18, 8, v3
	s_add_i32 s22, s46, -1
	v_rcp_iflag_f32_e32 v6, v2
	v_and_b32_e32 v2, 0x1f8, v3
	v_mov_b32_e32 v3, 0
	v_lshl_add_u64 v[4:5], s[0:1], 0, v[2:3]
	v_mul_f32_e32 v2, 0x4f7ffffe, v6
	v_cvt_u32_f32_e32 v2, v2
	s_sub_i32 s0, 0, s19
	s_mov_b32 s21, s17
	s_mov_b32 s34, s11
	v_mul_lo_u32 v6, s0, v2
	s_lshl_b64 s[0:1], s[30:31], 2
	v_mul_hi_u32 v6, v2, v6
	s_add_u32 s0, s28, s0
	v_add_u32_e32 v19, v2, v6
	v_and_b32_e32 v2, 60, v12
	s_addc_u32 s1, s29, s1
	v_lshl_add_u64 v[6:7], s[0:1], 0, v[2:3]
	v_and_b32_e32 v2, 1, v0
	v_lshlrev_b32_e32 v2, 5, v2
	v_lshl_or_b32 v2, v1, 6, v2
	v_add_u32_e32 v21, 0x50, v2
	s_mov_b64 s[6:7], 0
	s_movk_i32 s28, 0x7f
	s_movk_i32 s29, 0x80
	s_mov_b32 s30, 0x8000
	s_movk_i32 s31, 0x380
	s_mov_b32 s35, 0x3020706
	s_mov_b32 s37, 0x1000504
	;; [unrolled: 1-line block ×3, first 2 shown]
	v_mov_b32_e32 v22, 0x1c00
	v_mov_b32_e32 v20, 0
	s_branch .LBB236_112
.LBB236_110:                            ;   in Loop: Header=BB236_112 Depth=1
	s_or_b64 exec, exec, s[8:9]
	v_and_b32_e32 v12, 0xffff, v23
	v_and_b32_e32 v13, 0xffff, v25
	v_lshl_or_b32 v12, v24, 16, v12
	v_lshl_or_b32 v13, v26, 16, v13
	v_and_b32_e32 v14, 0xffff, v27
	v_and_b32_e32 v15, 0xffff, v29
	;;#ASMSTART
	v_pk_mul_f16 v11, v12, v11;

	;;#ASMEND
	;;#ASMSTART
	v_pk_mul_f16 v2, v13, v2;

	;;#ASMEND
	v_lshl_or_b32 v14, v28, 16, v14
	v_lshl_or_b32 v15, v30, 16, v15
	;;#ASMSTART
	v_pk_mul_f16 v10, v14, v10;

	;;#ASMEND
	;;#ASMSTART
	v_pk_mul_f16 v8, v15, v8;

	;;#ASMEND
	;;#ASMSTART
	v_pk_add_f16 v2, v11, v2;

	;;#ASMEND
	s_nop 0
	;;#ASMSTART
	v_pk_add_f16 v2, v2, v10;

	;;#ASMEND
	s_nop 0
	;; [unrolled: 5-line block ×3, first 2 shown]
	v_lshrrev_b32_e32 v8, 16, v2
	v_and_b32_e32 v2, 0xffff, v2
	;;#ASMSTART
	v_cvt_f32_f16 v2, v2;
	;;#ASMEND
	;;#ASMSTART
	v_cvt_f32_f16 v8, v8;
	;;#ASMEND
	s_nop 0
	v_add_f32_e32 v2, v2, v8
	v_add_f32_e32 v20, v20, v2
.LBB236_111:                            ;   in Loop: Header=BB236_112 Depth=1
	s_or_b64 exec, exec, s[0:1]
	v_add_u32_e32 v1, 2, v1
	v_cmp_le_i32_e32 vcc, s46, v1
	v_lshl_add_u64 v[6:7], v[6:7], 0, 8
	v_add_u32_e32 v16, 32, v16
	s_or_b64 s[6:7], vcc, s[6:7]
	v_add_u32_e32 v21, 0x80, v21
	s_andn2_b64 exec, exec, s[6:7]
	s_cbranch_execz .LBB236_179
.LBB236_112:                            ; =>This Inner Loop Header: Depth=1
	v_mul_hi_u32 v2, v16, s33
	v_mul_lo_u32 v8, v2, s25
	v_sub_u32_e32 v8, v16, v8
	v_add_u32_e32 v10, 1, v2
	v_cmp_le_u32_e32 vcc, s25, v8
	s_nop 1
	v_cndmask_b32_e32 v2, v2, v10, vcc
	v_subrev_u32_e32 v10, s25, v8
	v_cndmask_b32_e32 v8, v8, v10, vcc
	v_add_u32_e32 v10, 1, v2
	v_cmp_le_u32_e32 vcc, s25, v8
	s_nop 1
	v_cndmask_b32_e32 v2, v2, v10, vcc
	v_xor_b32_e32 v2, s23, v2
	v_subrev_u32_e32 v2, s23, v2
	v_add_u32_e32 v8, s36, v2
	v_sub_u32_e32 v11, 0, v8
	v_ashrrev_i32_e32 v10, 31, v8
	v_max_i32_e32 v8, v8, v11
	v_mul_hi_u32 v11, v8, v19
	v_mul_lo_u32 v11, v11, s19
	v_sub_u32_e32 v8, v8, v11
	v_subrev_u32_e32 v11, s19, v8
	v_cmp_le_u32_e32 vcc, s19, v8
	v_cmp_lt_i32_e64 s[0:1], s18, v2
	s_nop 0
	v_cndmask_b32_e32 v8, v8, v11, vcc
	v_subrev_u32_e32 v11, s19, v8
	v_cmp_le_u32_e32 vcc, s19, v8
	s_nop 1
	v_cndmask_b32_e32 v8, v8, v11, vcc
	v_xor_b32_e32 v8, v8, v10
	v_sub_u32_e32 v8, v8, v10
	v_cmp_eq_u32_e32 vcc, 0, v8
	s_or_b64 s[8:9], vcc, s[0:1]
	s_and_saveexec_b64 s[0:1], s[8:9]
	s_cbranch_execz .LBB236_111
; %bb.113:                              ;   in Loop: Header=BB236_112 Depth=1
	ds_read2_b64 v[10:13], v21 offset1:1
	ds_read2_b64 v[28:31], v21 offset0:2 offset1:3
                                        ; implicit-def: $sgpr39
	s_waitcnt lgkmcnt(1)
	;;#ASMSTART
	v_cvt_f16_f32 v23, v10;

	;;#ASMEND
	;;#ASMSTART
	v_cvt_f16_f32 v24, v11;

	;;#ASMEND
	;; [unrolled: 4-line block ×4, first 2 shown]
	s_waitcnt lgkmcnt(0)
	;;#ASMSTART
	v_cvt_f16_f32 v27, v28;

	;;#ASMEND
	;;#ASMSTART
	v_cvt_f16_f32 v28, v29;

	;;#ASMEND
	;; [unrolled: 4-line block ×4, first 2 shown]
	global_load_dword v2, v[6:7], off
	s_waitcnt vmcnt(0)
	v_mad_i64_i32 v[12:13], s[8:9], v2, s21, v[4:5]
	global_load_dwordx2 v[10:11], v[12:13], off
	global_load_dword v8, v3, s[14:15]
	s_mov_b64 s[8:9], 0
	s_waitcnt vmcnt(1)
	v_cmp_gt_i16_sdwa s[12:13], v10, s28 src0_sel:BYTE_0 src1_sel:DWORD
	s_and_saveexec_b64 s[16:17], s[12:13]
	s_xor_b64 s[12:13], exec, s[16:17]
	s_cbranch_execnz .LBB236_147
; %bb.114:                              ;   in Loop: Header=BB236_112 Depth=1
	s_or_saveexec_b64 s[12:13], s[12:13]
	v_mov_b32_e32 v12, s39
	s_xor_b64 exec, exec, s[12:13]
	s_cbranch_execnz .LBB236_150
.LBB236_115:                            ;   in Loop: Header=BB236_112 Depth=1
	s_or_b64 exec, exec, s[12:13]
	s_and_saveexec_b64 s[12:13], s[8:9]
	s_cbranch_execz .LBB236_117
.LBB236_116:                            ;   in Loop: Header=BB236_112 Depth=1
	v_and_b32_e32 v2, 7, v10
	v_ffbh_u32_e32 v2, v2
	v_bfe_u32 v12, v10, 3, 4
	v_min_u32_e32 v2, 32, v2
	v_subrev_u32_e32 v13, 28, v2
	v_sub_u32_e32 v2, 29, v2
	v_cmp_eq_u32_e32 vcc, 0, v12
	s_nop 1
	v_cndmask_b32_e32 v2, v12, v2, vcc
	v_cndmask_b32_e32 v12, 0, v13, vcc
	v_lshlrev_b64 v[12:13], v12, v[10:11]
	v_lshlrev_b32_e32 v13, 8, v10
	v_lshl_add_u32 v2, v2, 10, v22
	v_lshlrev_b32_e32 v12, 7, v12
	v_and_or_b32 v2, v13, s30, v2
	v_and_or_b32 v2, v12, s31, v2
	v_cvt_f32_f16_e32 v12, v2
.LBB236_117:                            ;   in Loop: Header=BB236_112 Depth=1
	s_or_b64 exec, exec, s[12:13]
	v_lshrrev_b16_e32 v2, 8, v10
	v_cmp_lt_i16_e32 vcc, s28, v2
	s_mov_b64 s[8:9], 0
                                        ; implicit-def: $sgpr39
	s_and_saveexec_b64 s[12:13], vcc
	s_xor_b64 s[12:13], exec, s[12:13]
	s_cbranch_execnz .LBB236_151
; %bb.118:                              ;   in Loop: Header=BB236_112 Depth=1
	s_or_saveexec_b64 s[12:13], s[12:13]
	v_mov_b32_e32 v14, s39
	s_xor_b64 exec, exec, s[12:13]
	s_cbranch_execnz .LBB236_154
.LBB236_119:                            ;   in Loop: Header=BB236_112 Depth=1
	s_or_b64 exec, exec, s[12:13]
	s_and_saveexec_b64 s[12:13], s[8:9]
	s_cbranch_execz .LBB236_121
.LBB236_120:                            ;   in Loop: Header=BB236_112 Depth=1
	v_and_b32_e32 v13, 7, v2
	v_ffbh_u32_e32 v14, v13
	v_min_u32_e32 v32, 32, v14
	v_subrev_u32_e32 v14, 28, v32
	v_bfe_u32 v31, v2, 3, 4
	v_lshlrev_b64 v[14:15], v14, v[2:3]
	v_sub_u32_e32 v15, 29, v32
	v_cmp_eq_u32_e32 vcc, 0, v31
	v_and_b32_e32 v14, 7, v14
	v_lshlrev_b32_e32 v2, 8, v2
	v_cndmask_b32_e32 v15, v31, v15, vcc
	v_cndmask_b32_e32 v13, v13, v14, vcc
	v_lshl_add_u32 v14, v15, 10, v22
	v_and_or_b32 v2, v2, s30, v14
	v_lshl_or_b32 v2, v13, 7, v2
	v_cvt_f32_f16_e32 v14, v2
.LBB236_121:                            ;   in Loop: Header=BB236_112 Depth=1
	s_or_b64 exec, exec, s[12:13]
	v_lshrrev_b32_e32 v2, 16, v10
	v_cmp_gt_i16_sdwa s[12:13], v2, s28 src0_sel:BYTE_0 src1_sel:DWORD
	s_mov_b64 s[8:9], 0
                                        ; implicit-def: $sgpr39
	s_and_saveexec_b64 s[16:17], s[12:13]
	s_xor_b64 s[12:13], exec, s[16:17]
	s_cbranch_execnz .LBB236_155
; %bb.122:                              ;   in Loop: Header=BB236_112 Depth=1
	s_or_saveexec_b64 s[12:13], s[12:13]
	v_mov_b32_e32 v13, s39
	s_xor_b64 exec, exec, s[12:13]
	s_cbranch_execnz .LBB236_158
.LBB236_123:                            ;   in Loop: Header=BB236_112 Depth=1
	s_or_b64 exec, exec, s[12:13]
	s_and_saveexec_b64 s[12:13], s[8:9]
	s_cbranch_execz .LBB236_125
.LBB236_124:                            ;   in Loop: Header=BB236_112 Depth=1
	v_bfe_u32 v13, v10, 16, 3
	v_ffbh_u32_e32 v31, v13
	v_bfe_u32 v15, v10, 19, 4
	v_min_u32_e32 v31, 32, v31
	v_subrev_u32_e32 v32, 28, v31
	v_sub_u32_e32 v31, 29, v31
	v_cmp_eq_u32_e32 vcc, 0, v15
	v_lshlrev_b64 v[32:33], v32, v[2:3]
	v_and_b32_e32 v32, 7, v32
	v_cndmask_b32_e32 v15, v15, v31, vcc
	v_lshlrev_b32_e32 v2, 8, v2
	v_lshl_add_u32 v15, v15, 10, v22
	v_cndmask_b32_e32 v13, v13, v32, vcc
	v_and_or_b32 v2, v2, s30, v15
	v_lshl_or_b32 v2, v13, 7, v2
	v_cvt_f32_f16_e32 v13, v2
.LBB236_125:                            ;   in Loop: Header=BB236_112 Depth=1
	s_or_b64 exec, exec, s[12:13]
	v_lshrrev_b32_e32 v2, 24, v10
	v_cmp_lt_i16_e32 vcc, s28, v2
	s_mov_b64 s[8:9], 0
                                        ; implicit-def: $sgpr39
	s_and_saveexec_b64 s[12:13], vcc
	s_xor_b64 s[12:13], exec, s[12:13]
	s_cbranch_execnz .LBB236_159
; %bb.126:                              ;   in Loop: Header=BB236_112 Depth=1
	s_or_saveexec_b64 s[12:13], s[12:13]
	v_mov_b32_e32 v15, s39
	s_xor_b64 exec, exec, s[12:13]
	s_cbranch_execnz .LBB236_162
.LBB236_127:                            ;   in Loop: Header=BB236_112 Depth=1
	s_or_b64 exec, exec, s[12:13]
	s_and_saveexec_b64 s[12:13], s[8:9]
	s_cbranch_execz .LBB236_129
.LBB236_128:                            ;   in Loop: Header=BB236_112 Depth=1
	v_bfe_u32 v15, v10, 24, 3
	v_ffbh_u32_e32 v31, v15
	v_bfe_u32 v10, v10, 27, 4
	v_min_u32_e32 v31, 32, v31
	v_subrev_u32_e32 v32, 28, v31
	v_sub_u32_e32 v31, 29, v31
	v_cmp_eq_u32_e32 vcc, 0, v10
	v_lshlrev_b64 v[32:33], v32, v[2:3]
	v_and_b32_e32 v32, 7, v32
	v_cndmask_b32_e32 v10, v10, v31, vcc
	v_lshlrev_b32_e32 v2, 8, v2
	v_lshl_add_u32 v10, v10, 10, v22
	v_cndmask_b32_e32 v15, v15, v32, vcc
	v_and_or_b32 v2, v2, s30, v10
	v_lshl_or_b32 v2, v15, 7, v2
	v_cvt_f32_f16_e32 v15, v2
.LBB236_129:                            ;   in Loop: Header=BB236_112 Depth=1
	s_or_b64 exec, exec, s[12:13]
	v_cmp_gt_i16_sdwa s[12:13], v11, s28 src0_sel:BYTE_0 src1_sel:DWORD
	s_mov_b64 s[8:9], 0
                                        ; implicit-def: $sgpr39
	s_and_saveexec_b64 s[16:17], s[12:13]
	s_xor_b64 s[12:13], exec, s[16:17]
	s_cbranch_execnz .LBB236_163
; %bb.130:                              ;   in Loop: Header=BB236_112 Depth=1
	s_or_saveexec_b64 s[12:13], s[12:13]
	v_mov_b32_e32 v10, s39
	s_xor_b64 exec, exec, s[12:13]
	s_cbranch_execnz .LBB236_166
.LBB236_131:                            ;   in Loop: Header=BB236_112 Depth=1
	s_or_b64 exec, exec, s[12:13]
	v_mov_b32_e32 v2, v11
	s_and_saveexec_b64 s[12:13], s[8:9]
	s_cbranch_execz .LBB236_133
.LBB236_132:                            ;   in Loop: Header=BB236_112 Depth=1
	v_and_b32_e32 v10, 7, v11
	v_ffbh_u32_e32 v10, v10
	v_bfe_u32 v31, v11, 3, 4
	v_min_u32_e32 v10, 32, v10
	v_subrev_u32_e32 v32, 28, v10
	v_sub_u32_e32 v10, 29, v10
	v_cmp_eq_u32_e32 vcc, 0, v31
	s_nop 1
	v_cndmask_b32_e32 v10, v31, v10, vcc
	v_cndmask_b32_e32 v31, 0, v32, vcc
	v_lshlrev_b64 v[32:33], v31, v[2:3]
	v_lshlrev_b32_e32 v31, 7, v32
	v_lshlrev_b32_e32 v32, 8, v11
	v_lshl_add_u32 v10, v10, 10, v22
	v_and_or_b32 v10, v32, s30, v10
	v_and_or_b32 v10, v31, s31, v10
	v_cvt_f32_f16_e32 v10, v10
.LBB236_133:                            ;   in Loop: Header=BB236_112 Depth=1
	s_or_b64 exec, exec, s[12:13]
	v_lshrrev_b16_e32 v2, 8, v2
	v_cmp_lt_i16_e32 vcc, s28, v2
	s_mov_b64 s[8:9], 0
                                        ; implicit-def: $sgpr39
	s_and_saveexec_b64 s[12:13], vcc
	s_xor_b64 s[12:13], exec, s[12:13]
	s_cbranch_execnz .LBB236_167
; %bb.134:                              ;   in Loop: Header=BB236_112 Depth=1
	s_or_saveexec_b64 s[12:13], s[12:13]
	v_mov_b32_e32 v31, s39
	s_xor_b64 exec, exec, s[12:13]
	s_cbranch_execnz .LBB236_170
.LBB236_135:                            ;   in Loop: Header=BB236_112 Depth=1
	s_or_b64 exec, exec, s[12:13]
	s_and_saveexec_b64 s[12:13], s[8:9]
	s_cbranch_execz .LBB236_137
.LBB236_136:                            ;   in Loop: Header=BB236_112 Depth=1
	v_and_b32_e32 v31, 7, v2
	v_ffbh_u32_e32 v32, v31
	v_min_u32_e32 v35, 32, v32
	v_subrev_u32_e32 v32, 28, v35
	v_bfe_u32 v34, v2, 3, 4
	v_lshlrev_b64 v[32:33], v32, v[2:3]
	v_sub_u32_e32 v33, 29, v35
	v_cmp_eq_u32_e32 vcc, 0, v34
	v_and_b32_e32 v32, 7, v32
	v_lshlrev_b32_e32 v2, 8, v2
	v_cndmask_b32_e32 v33, v34, v33, vcc
	v_cndmask_b32_e32 v31, v31, v32, vcc
	v_lshl_add_u32 v32, v33, 10, v22
	v_and_or_b32 v2, v2, s30, v32
	v_lshl_or_b32 v2, v31, 7, v2
	v_cvt_f32_f16_e32 v31, v2
.LBB236_137:                            ;   in Loop: Header=BB236_112 Depth=1
	s_or_b64 exec, exec, s[12:13]
	v_lshrrev_b32_e32 v2, 16, v11
	v_cmp_gt_i16_sdwa s[12:13], v2, s28 src0_sel:BYTE_0 src1_sel:DWORD
	s_mov_b64 s[8:9], 0
                                        ; implicit-def: $sgpr39
	s_and_saveexec_b64 s[16:17], s[12:13]
	s_xor_b64 s[12:13], exec, s[16:17]
	s_cbranch_execnz .LBB236_171
; %bb.138:                              ;   in Loop: Header=BB236_112 Depth=1
	s_or_saveexec_b64 s[12:13], s[12:13]
	v_mov_b32_e32 v32, s39
	s_xor_b64 exec, exec, s[12:13]
	s_cbranch_execnz .LBB236_174
.LBB236_139:                            ;   in Loop: Header=BB236_112 Depth=1
	s_or_b64 exec, exec, s[12:13]
	s_and_saveexec_b64 s[12:13], s[8:9]
	s_cbranch_execz .LBB236_141
.LBB236_140:                            ;   in Loop: Header=BB236_112 Depth=1
	v_bfe_u32 v34, v11, 16, 3
	v_ffbh_u32_e32 v32, v34
	v_min_u32_e32 v36, 32, v32
	v_subrev_u32_e32 v32, 28, v36
	v_bfe_u32 v35, v11, 19, 4
	v_lshlrev_b64 v[32:33], v32, v[2:3]
	v_sub_u32_e32 v33, 29, v36
	v_cmp_eq_u32_e32 vcc, 0, v35
	v_and_b32_e32 v32, 7, v32
	v_lshlrev_b32_e32 v2, 8, v2
	v_cndmask_b32_e32 v33, v35, v33, vcc
	v_lshl_add_u32 v33, v33, 10, v22
	v_cndmask_b32_e32 v32, v34, v32, vcc
	v_and_or_b32 v2, v2, s30, v33
	v_lshl_or_b32 v2, v32, 7, v2
	v_cvt_f32_f16_e32 v32, v2
.LBB236_141:                            ;   in Loop: Header=BB236_112 Depth=1
	s_or_b64 exec, exec, s[12:13]
	v_lshrrev_b32_e32 v2, 24, v11
	v_cmp_lt_i16_e32 vcc, s28, v2
	s_mov_b64 s[8:9], 0
                                        ; implicit-def: $sgpr39
	s_and_saveexec_b64 s[12:13], vcc
	s_xor_b64 s[12:13], exec, s[12:13]
	s_cbranch_execnz .LBB236_175
; %bb.142:                              ;   in Loop: Header=BB236_112 Depth=1
	s_or_saveexec_b64 s[12:13], s[12:13]
	v_mov_b32_e32 v33, s39
	s_xor_b64 exec, exec, s[12:13]
	s_cbranch_execnz .LBB236_178
.LBB236_143:                            ;   in Loop: Header=BB236_112 Depth=1
	s_or_b64 exec, exec, s[12:13]
	s_and_saveexec_b64 s[12:13], s[8:9]
	s_cbranch_execz .LBB236_145
.LBB236_144:                            ;   in Loop: Header=BB236_112 Depth=1
	v_bfe_u32 v33, v11, 24, 3
	v_ffbh_u32_e32 v34, v33
	v_min_u32_e32 v36, 32, v34
	v_subrev_u32_e32 v34, 28, v36
	v_bfe_u32 v11, v11, 27, 4
	v_lshlrev_b64 v[34:35], v34, v[2:3]
	v_sub_u32_e32 v35, 29, v36
	v_cmp_eq_u32_e32 vcc, 0, v11
	v_and_b32_e32 v34, 7, v34
	v_lshlrev_b32_e32 v2, 8, v2
	v_cndmask_b32_e32 v11, v11, v35, vcc
	v_lshl_add_u32 v11, v11, 10, v22
	v_cndmask_b32_e32 v33, v33, v34, vcc
	v_and_or_b32 v2, v2, s30, v11
	v_lshl_or_b32 v2, v33, 7, v2
	v_cvt_f32_f16_e32 v33, v2
.LBB236_145:                            ;   in Loop: Header=BB236_112 Depth=1
	s_or_b64 exec, exec, s[12:13]
	s_waitcnt vmcnt(0)
	v_pk_mul_f32 v[14:15], v[8:9], v[14:15] op_sel_hi:[0,1]
	v_pk_mul_f32 v[12:13], v[8:9], v[12:13] op_sel_hi:[0,1]
	v_cvt_f16_f32_e32 v2, v15
	v_cvt_f16_f32_e32 v11, v14
	;; [unrolled: 1-line block ×4, first 2 shown]
	v_fma_mixlo_f16 v10, v8, v10, 0
	v_pack_b32_f16 v11, v11, v2
	v_cmp_eq_u32_e32 vcc, s22, v1
	v_pack_b32_f16 v12, v12, v13
	v_perm_b32 v2, v12, v11, s35
	v_perm_b32 v11, v12, v11, s37
	v_fma_mixlo_f16 v12, v8, v31, 0
	v_lshlrev_b32_e32 v12, 16, v12
	v_or_b32_sdwa v10, v12, v10 dst_sel:DWORD dst_unused:UNUSED_PAD src0_sel:DWORD src1_sel:WORD_0
	v_fma_mixlo_f16 v12, v8, v32, 0
	v_fma_mixlo_f16 v8, v8, v33, 0
	v_lshlrev_b32_e32 v8, 16, v8
	v_or_b32_sdwa v8, v8, v12 dst_sel:DWORD dst_unused:UNUSED_PAD src0_sel:DWORD src1_sel:WORD_0
	s_and_saveexec_b64 s[8:9], vcc
	s_cbranch_execz .LBB236_110
; %bb.146:                              ;   in Loop: Header=BB236_112 Depth=1
	v_add_u32_e32 v13, v18, v16
	v_add_u32_e32 v14, 1, v13
	v_lshrrev_b32_e32 v15, 16, v11
	v_cmp_gt_i32_e32 vcc, s34, v14
	v_lshrrev_b32_e32 v31, 16, v2
	v_lshrrev_b32_e32 v8, 16, v8
	v_cndmask_b32_e32 v14, 0, v15, vcc
	v_cmp_gt_i32_e32 vcc, s11, v13
	v_or_b32_e32 v15, 2, v13
	s_nop 0
	v_cndmask_b32_e32 v11, 0, v11, vcc
	v_perm_b32 v11, v14, v11, s38
	v_or_b32_e32 v14, 3, v13
	v_cmp_gt_i32_e32 vcc, s34, v14
	s_nop 1
	v_cndmask_b32_e32 v14, 0, v31, vcc
	v_cmp_gt_i32_e32 vcc, s11, v15
	v_or_b32_e32 v15, 4, v13
	v_lshrrev_b32_e32 v31, 16, v10
	v_cndmask_b32_e32 v2, 0, v2, vcc
	v_perm_b32 v2, v14, v2, s38
	v_or_b32_e32 v14, 5, v13
	v_cmp_gt_i32_e32 vcc, s34, v14
	s_nop 1
	v_cndmask_b32_e32 v14, 0, v31, vcc
	v_cmp_gt_i32_e32 vcc, s11, v15
	s_nop 1
	v_cndmask_b32_e32 v10, 0, v10, vcc
	v_perm_b32 v10, v14, v10, s38
	v_or_b32_e32 v14, 7, v13
	v_or_b32_e32 v13, 6, v13
	v_cmp_gt_i32_e32 vcc, s34, v14
	s_nop 1
	v_cndmask_b32_e32 v8, 0, v8, vcc
	v_cmp_gt_i32_e32 vcc, s11, v13
	s_nop 1
	v_cndmask_b32_e32 v12, 0, v12, vcc
	v_perm_b32 v8, v8, v12, s38
	s_branch .LBB236_110
.LBB236_147:                            ;   in Loop: Header=BB236_112 Depth=1
	v_cmp_eq_u16_sdwa s[40:41], v10, s29 src0_sel:BYTE_0 src1_sel:DWORD
	s_mov_b64 s[8:9], -1
                                        ; implicit-def: $sgpr39
	s_and_saveexec_b64 s[16:17], s[40:41]
; %bb.148:                              ;   in Loop: Header=BB236_112 Depth=1
	s_mov_b32 s39, 0x7fc02000
	s_xor_b64 s[8:9], exec, -1
; %bb.149:                              ;   in Loop: Header=BB236_112 Depth=1
	s_or_b64 exec, exec, s[16:17]
	s_and_b64 s[8:9], s[8:9], exec
	s_or_saveexec_b64 s[12:13], s[12:13]
	v_mov_b32_e32 v12, s39
	s_xor_b64 exec, exec, s[12:13]
	s_cbranch_execz .LBB236_115
.LBB236_150:                            ;   in Loop: Header=BB236_112 Depth=1
	v_cmp_ne_u16_sdwa s[16:17], v10, v3 src0_sel:BYTE_0 src1_sel:DWORD
	s_andn2_b64 s[8:9], s[8:9], exec
	s_and_b64 s[16:17], s[16:17], exec
	v_mov_b32_e32 v12, 0
	s_or_b64 s[8:9], s[8:9], s[16:17]
	s_or_b64 exec, exec, s[12:13]
	s_and_saveexec_b64 s[12:13], s[8:9]
	s_cbranch_execnz .LBB236_116
	s_branch .LBB236_117
.LBB236_151:                            ;   in Loop: Header=BB236_112 Depth=1
	v_cmp_eq_u16_e32 vcc, s29, v2
	s_mov_b64 s[8:9], -1
                                        ; implicit-def: $sgpr39
	s_and_saveexec_b64 s[16:17], vcc
; %bb.152:                              ;   in Loop: Header=BB236_112 Depth=1
	s_mov_b32 s39, 0x7fc02000
	s_xor_b64 s[8:9], exec, -1
; %bb.153:                              ;   in Loop: Header=BB236_112 Depth=1
	s_or_b64 exec, exec, s[16:17]
	s_and_b64 s[8:9], s[8:9], exec
	s_or_saveexec_b64 s[12:13], s[12:13]
	v_mov_b32_e32 v14, s39
	s_xor_b64 exec, exec, s[12:13]
	s_cbranch_execz .LBB236_119
.LBB236_154:                            ;   in Loop: Header=BB236_112 Depth=1
	v_cmp_ne_u16_e32 vcc, 0, v2
	s_andn2_b64 s[8:9], s[8:9], exec
	s_and_b64 s[16:17], vcc, exec
	v_mov_b32_e32 v14, 0
	s_or_b64 s[8:9], s[8:9], s[16:17]
	s_or_b64 exec, exec, s[12:13]
	s_and_saveexec_b64 s[12:13], s[8:9]
	s_cbranch_execnz .LBB236_120
	s_branch .LBB236_121
.LBB236_155:                            ;   in Loop: Header=BB236_112 Depth=1
	v_cmp_eq_u16_sdwa s[40:41], v2, s29 src0_sel:BYTE_0 src1_sel:DWORD
	s_mov_b64 s[8:9], -1
                                        ; implicit-def: $sgpr39
	s_and_saveexec_b64 s[16:17], s[40:41]
; %bb.156:                              ;   in Loop: Header=BB236_112 Depth=1
	s_mov_b32 s39, 0x7fc02000
	s_xor_b64 s[8:9], exec, -1
; %bb.157:                              ;   in Loop: Header=BB236_112 Depth=1
	s_or_b64 exec, exec, s[16:17]
	s_and_b64 s[8:9], s[8:9], exec
	s_or_saveexec_b64 s[12:13], s[12:13]
	v_mov_b32_e32 v13, s39
	s_xor_b64 exec, exec, s[12:13]
	s_cbranch_execz .LBB236_123
.LBB236_158:                            ;   in Loop: Header=BB236_112 Depth=1
	v_cmp_ne_u16_sdwa s[16:17], v2, v3 src0_sel:BYTE_0 src1_sel:DWORD
	s_andn2_b64 s[8:9], s[8:9], exec
	s_and_b64 s[16:17], s[16:17], exec
	v_mov_b32_e32 v13, 0
	s_or_b64 s[8:9], s[8:9], s[16:17]
	s_or_b64 exec, exec, s[12:13]
	s_and_saveexec_b64 s[12:13], s[8:9]
	s_cbranch_execnz .LBB236_124
	s_branch .LBB236_125
.LBB236_159:                            ;   in Loop: Header=BB236_112 Depth=1
	v_cmp_eq_u16_e32 vcc, s29, v2
	s_mov_b64 s[8:9], -1
                                        ; implicit-def: $sgpr39
	s_and_saveexec_b64 s[16:17], vcc
; %bb.160:                              ;   in Loop: Header=BB236_112 Depth=1
	s_mov_b32 s39, 0x7fc02000
	s_xor_b64 s[8:9], exec, -1
; %bb.161:                              ;   in Loop: Header=BB236_112 Depth=1
	s_or_b64 exec, exec, s[16:17]
	s_and_b64 s[8:9], s[8:9], exec
	s_or_saveexec_b64 s[12:13], s[12:13]
	v_mov_b32_e32 v15, s39
	s_xor_b64 exec, exec, s[12:13]
	s_cbranch_execz .LBB236_127
.LBB236_162:                            ;   in Loop: Header=BB236_112 Depth=1
	v_cmp_ne_u16_e32 vcc, 0, v2
	s_andn2_b64 s[8:9], s[8:9], exec
	s_and_b64 s[16:17], vcc, exec
	v_mov_b32_e32 v15, 0
	s_or_b64 s[8:9], s[8:9], s[16:17]
	s_or_b64 exec, exec, s[12:13]
	s_and_saveexec_b64 s[12:13], s[8:9]
	s_cbranch_execnz .LBB236_128
	s_branch .LBB236_129
.LBB236_163:                            ;   in Loop: Header=BB236_112 Depth=1
	v_cmp_eq_u16_sdwa s[40:41], v11, s29 src0_sel:BYTE_0 src1_sel:DWORD
	s_mov_b64 s[8:9], -1
                                        ; implicit-def: $sgpr39
	s_and_saveexec_b64 s[16:17], s[40:41]
; %bb.164:                              ;   in Loop: Header=BB236_112 Depth=1
	s_mov_b32 s39, 0x7fc02000
	s_xor_b64 s[8:9], exec, -1
; %bb.165:                              ;   in Loop: Header=BB236_112 Depth=1
	s_or_b64 exec, exec, s[16:17]
	s_and_b64 s[8:9], s[8:9], exec
	s_or_saveexec_b64 s[12:13], s[12:13]
	v_mov_b32_e32 v10, s39
	s_xor_b64 exec, exec, s[12:13]
	s_cbranch_execz .LBB236_131
.LBB236_166:                            ;   in Loop: Header=BB236_112 Depth=1
	v_cmp_ne_u16_sdwa s[16:17], v11, v3 src0_sel:BYTE_0 src1_sel:DWORD
	s_andn2_b64 s[8:9], s[8:9], exec
	s_and_b64 s[16:17], s[16:17], exec
	v_mov_b32_e32 v10, 0
	s_or_b64 s[8:9], s[8:9], s[16:17]
	s_or_b64 exec, exec, s[12:13]
	v_mov_b32_e32 v2, v11
	s_and_saveexec_b64 s[12:13], s[8:9]
	s_cbranch_execnz .LBB236_132
	s_branch .LBB236_133
.LBB236_167:                            ;   in Loop: Header=BB236_112 Depth=1
	v_cmp_eq_u16_e32 vcc, s29, v2
	s_mov_b64 s[8:9], -1
                                        ; implicit-def: $sgpr39
	s_and_saveexec_b64 s[16:17], vcc
; %bb.168:                              ;   in Loop: Header=BB236_112 Depth=1
	s_mov_b32 s39, 0x7fc02000
	s_xor_b64 s[8:9], exec, -1
; %bb.169:                              ;   in Loop: Header=BB236_112 Depth=1
	s_or_b64 exec, exec, s[16:17]
	s_and_b64 s[8:9], s[8:9], exec
	s_or_saveexec_b64 s[12:13], s[12:13]
	v_mov_b32_e32 v31, s39
	s_xor_b64 exec, exec, s[12:13]
	s_cbranch_execz .LBB236_135
.LBB236_170:                            ;   in Loop: Header=BB236_112 Depth=1
	v_cmp_ne_u16_e32 vcc, 0, v2
	s_andn2_b64 s[8:9], s[8:9], exec
	s_and_b64 s[16:17], vcc, exec
	v_mov_b32_e32 v31, 0
	s_or_b64 s[8:9], s[8:9], s[16:17]
	s_or_b64 exec, exec, s[12:13]
	s_and_saveexec_b64 s[12:13], s[8:9]
	s_cbranch_execnz .LBB236_136
	s_branch .LBB236_137
.LBB236_171:                            ;   in Loop: Header=BB236_112 Depth=1
	v_cmp_eq_u16_sdwa s[40:41], v2, s29 src0_sel:BYTE_0 src1_sel:DWORD
	s_mov_b64 s[8:9], -1
                                        ; implicit-def: $sgpr39
	s_and_saveexec_b64 s[16:17], s[40:41]
; %bb.172:                              ;   in Loop: Header=BB236_112 Depth=1
	s_mov_b32 s39, 0x7fc02000
	s_xor_b64 s[8:9], exec, -1
; %bb.173:                              ;   in Loop: Header=BB236_112 Depth=1
	s_or_b64 exec, exec, s[16:17]
	s_and_b64 s[8:9], s[8:9], exec
	s_or_saveexec_b64 s[12:13], s[12:13]
	v_mov_b32_e32 v32, s39
	s_xor_b64 exec, exec, s[12:13]
	s_cbranch_execz .LBB236_139
.LBB236_174:                            ;   in Loop: Header=BB236_112 Depth=1
	v_cmp_ne_u16_sdwa s[16:17], v2, v3 src0_sel:BYTE_0 src1_sel:DWORD
	s_andn2_b64 s[8:9], s[8:9], exec
	s_and_b64 s[16:17], s[16:17], exec
	v_mov_b32_e32 v32, 0
	s_or_b64 s[8:9], s[8:9], s[16:17]
	s_or_b64 exec, exec, s[12:13]
	s_and_saveexec_b64 s[12:13], s[8:9]
	s_cbranch_execnz .LBB236_140
	s_branch .LBB236_141
.LBB236_175:                            ;   in Loop: Header=BB236_112 Depth=1
	v_cmp_eq_u16_e32 vcc, s29, v2
	s_mov_b64 s[8:9], -1
                                        ; implicit-def: $sgpr39
	s_and_saveexec_b64 s[16:17], vcc
; %bb.176:                              ;   in Loop: Header=BB236_112 Depth=1
	s_mov_b32 s39, 0x7fc02000
	s_xor_b64 s[8:9], exec, -1
; %bb.177:                              ;   in Loop: Header=BB236_112 Depth=1
	s_or_b64 exec, exec, s[16:17]
	s_and_b64 s[8:9], s[8:9], exec
	s_or_saveexec_b64 s[12:13], s[12:13]
	v_mov_b32_e32 v33, s39
	s_xor_b64 exec, exec, s[12:13]
	s_cbranch_execz .LBB236_143
.LBB236_178:                            ;   in Loop: Header=BB236_112 Depth=1
	v_cmp_ne_u16_e32 vcc, 0, v2
	s_andn2_b64 s[8:9], s[8:9], exec
	s_and_b64 s[16:17], vcc, exec
	v_mov_b32_e32 v33, 0
	s_or_b64 s[8:9], s[8:9], s[16:17]
	s_or_b64 exec, exec, s[12:13]
	s_and_saveexec_b64 s[12:13], s[8:9]
	s_cbranch_execnz .LBB236_144
	s_branch .LBB236_145
.LBB236_179:
	s_or_b64 exec, exec, s[6:7]
.LBB236_180:
	s_or_b64 exec, exec, s[2:3]
	ds_bpermute_b32 v1, v17, v20
	v_and_b32_e32 v2, 0x3c1, v0
	v_cmp_eq_u32_e32 vcc, 64, v2
	s_waitcnt lgkmcnt(0)
	s_barrier
	v_add_f32_e32 v1, v20, v1
	s_and_saveexec_b64 s[0:1], vcc
	s_cbranch_execz .LBB236_182
; %bb.181:
	v_mov_b32_e32 v3, 0x50
	v_lshl_add_u32 v3, v9, 1, v3
	ds_write_b32 v3, v1
.LBB236_182:
	s_or_b64 exec, exec, s[0:1]
	v_cmp_eq_u32_e32 vcc, 0, v2
	s_waitcnt lgkmcnt(0)
	s_barrier
	s_and_saveexec_b64 s[0:1], vcc
	s_cbranch_execz .LBB236_184
; %bb.183:
	v_mov_b32_e32 v2, 0x50
	v_lshl_add_u32 v2, v0, 1, v2
	ds_read_b32 v2, v2
	s_waitcnt lgkmcnt(0)
	v_add_f32_e32 v1, v1, v2
.LBB236_184:
	s_or_b64 exec, exec, s[0:1]
	s_barrier
	s_and_saveexec_b64 s[0:1], vcc
	s_cbranch_execz .LBB236_186
; %bb.185:
	s_mul_i32 s0, s10, s20
	s_mul_i32 s0, s0, s5
	s_lshl_b32 s0, s0, 5
	s_ashr_i32 s1, s0, 31
	s_lshl_b64 s[0:1], s[0:1], 1
	s_add_u32 s2, s26, s0
	s_mul_i32 s0, s20, s24
	s_addc_u32 s3, s27, s1
	s_ashr_i32 s1, s0, 31
	s_lshl_b64 s[0:1], s[0:1], 1
	s_add_u32 s2, s2, s0
	s_addc_u32 s3, s3, s1
	s_lshl_b32 s0, s4, 5
	s_ashr_i32 s1, s0, 31
	s_lshl_b64 s[0:1], s[0:1], 1
	s_add_u32 s0, s2, s0
	s_addc_u32 s1, s3, s1
	;;#ASMSTART
	v_cvt_f16_f32 v1, v1;

	;;#ASMEND
	global_store_short v0, v1, s[0:1]
.LBB236_186:
	s_endpgm
	.section	.rodata,"a",@progbits
	.p2align	6, 0x0
	.amdhsa_kernel _ZN4vllm25paged_attention_v1_kernelIthLi32ELi16ELi128ELNS_18Fp8KVCacheDataTypeE1ELb1EEEvPT_PKS2_PKT0_S8_ifPKiSA_iPKfiiiSC_SC_iiiii
		.amdhsa_group_segment_fixed_size 80
		.amdhsa_private_segment_fixed_size 0
		.amdhsa_kernarg_size 384
		.amdhsa_user_sgpr_count 2
		.amdhsa_user_sgpr_dispatch_ptr 0
		.amdhsa_user_sgpr_queue_ptr 0
		.amdhsa_user_sgpr_kernarg_segment_ptr 1
		.amdhsa_user_sgpr_dispatch_id 0
		.amdhsa_user_sgpr_kernarg_preload_length 0
		.amdhsa_user_sgpr_kernarg_preload_offset 0
		.amdhsa_user_sgpr_private_segment_size 0
		.amdhsa_uses_dynamic_stack 0
		.amdhsa_enable_private_segment 0
		.amdhsa_system_sgpr_workgroup_id_x 1
		.amdhsa_system_sgpr_workgroup_id_y 1
		.amdhsa_system_sgpr_workgroup_id_z 1
		.amdhsa_system_sgpr_workgroup_info 0
		.amdhsa_system_vgpr_workitem_id 0
		.amdhsa_next_free_vgpr 37
		.amdhsa_next_free_sgpr 58
		.amdhsa_accum_offset 40
		.amdhsa_reserve_vcc 1
		.amdhsa_float_round_mode_32 0
		.amdhsa_float_round_mode_16_64 0
		.amdhsa_float_denorm_mode_32 3
		.amdhsa_float_denorm_mode_16_64 3
		.amdhsa_dx10_clamp 1
		.amdhsa_ieee_mode 1
		.amdhsa_fp16_overflow 0
		.amdhsa_tg_split 0
		.amdhsa_exception_fp_ieee_invalid_op 0
		.amdhsa_exception_fp_denorm_src 0
		.amdhsa_exception_fp_ieee_div_zero 0
		.amdhsa_exception_fp_ieee_overflow 0
		.amdhsa_exception_fp_ieee_underflow 0
		.amdhsa_exception_fp_ieee_inexact 0
		.amdhsa_exception_int_div_zero 0
	.end_amdhsa_kernel
	.section	.text._ZN4vllm25paged_attention_v1_kernelIthLi32ELi16ELi128ELNS_18Fp8KVCacheDataTypeE1ELb1EEEvPT_PKS2_PKT0_S8_ifPKiSA_iPKfiiiSC_SC_iiiii,"axG",@progbits,_ZN4vllm25paged_attention_v1_kernelIthLi32ELi16ELi128ELNS_18Fp8KVCacheDataTypeE1ELb1EEEvPT_PKS2_PKT0_S8_ifPKiSA_iPKfiiiSC_SC_iiiii,comdat
.Lfunc_end236:
	.size	_ZN4vllm25paged_attention_v1_kernelIthLi32ELi16ELi128ELNS_18Fp8KVCacheDataTypeE1ELb1EEEvPT_PKS2_PKT0_S8_ifPKiSA_iPKfiiiSC_SC_iiiii, .Lfunc_end236-_ZN4vllm25paged_attention_v1_kernelIthLi32ELi16ELi128ELNS_18Fp8KVCacheDataTypeE1ELb1EEEvPT_PKS2_PKT0_S8_ifPKiSA_iPKfiiiSC_SC_iiiii
                                        ; -- End function
	.section	.AMDGPU.csdata,"",@progbits
; Kernel info:
; codeLenInByte = 8516
; NumSgprs: 64
; NumVgprs: 37
; NumAgprs: 0
; TotalNumVgprs: 37
; ScratchSize: 0
; MemoryBound: 0
; FloatMode: 240
; IeeeMode: 1
; LDSByteSize: 80 bytes/workgroup (compile time only)
; SGPRBlocks: 7
; VGPRBlocks: 4
; NumSGPRsForWavesPerEU: 64
; NumVGPRsForWavesPerEU: 37
; AccumOffset: 40
; Occupancy: 8
; WaveLimiterHint : 1
; COMPUTE_PGM_RSRC2:SCRATCH_EN: 0
; COMPUTE_PGM_RSRC2:USER_SGPR: 2
; COMPUTE_PGM_RSRC2:TRAP_HANDLER: 0
; COMPUTE_PGM_RSRC2:TGID_X_EN: 1
; COMPUTE_PGM_RSRC2:TGID_Y_EN: 1
; COMPUTE_PGM_RSRC2:TGID_Z_EN: 1
; COMPUTE_PGM_RSRC2:TIDIG_COMP_CNT: 0
; COMPUTE_PGM_RSRC3_GFX90A:ACCUM_OFFSET: 9
; COMPUTE_PGM_RSRC3_GFX90A:TG_SPLIT: 0
	.section	.text._ZN4vllm25paged_attention_v1_kernelIthLi64ELi16ELi128ELNS_18Fp8KVCacheDataTypeE1ELb1EEEvPT_PKS2_PKT0_S8_ifPKiSA_iPKfiiiSC_SC_iiiii,"axG",@progbits,_ZN4vllm25paged_attention_v1_kernelIthLi64ELi16ELi128ELNS_18Fp8KVCacheDataTypeE1ELb1EEEvPT_PKS2_PKT0_S8_ifPKiSA_iPKfiiiSC_SC_iiiii,comdat
	.protected	_ZN4vllm25paged_attention_v1_kernelIthLi64ELi16ELi128ELNS_18Fp8KVCacheDataTypeE1ELb1EEEvPT_PKS2_PKT0_S8_ifPKiSA_iPKfiiiSC_SC_iiiii ; -- Begin function _ZN4vllm25paged_attention_v1_kernelIthLi64ELi16ELi128ELNS_18Fp8KVCacheDataTypeE1ELb1EEEvPT_PKS2_PKT0_S8_ifPKiSA_iPKfiiiSC_SC_iiiii
	.globl	_ZN4vllm25paged_attention_v1_kernelIthLi64ELi16ELi128ELNS_18Fp8KVCacheDataTypeE1ELb1EEEvPT_PKS2_PKT0_S8_ifPKiSA_iPKfiiiSC_SC_iiiii
	.p2align	8
	.type	_ZN4vllm25paged_attention_v1_kernelIthLi64ELi16ELi128ELNS_18Fp8KVCacheDataTypeE1ELb1EEEvPT_PKS2_PKT0_S8_ifPKiSA_iPKfiiiSC_SC_iiiii,@function
_ZN4vllm25paged_attention_v1_kernelIthLi64ELi16ELi128ELNS_18Fp8KVCacheDataTypeE1ELb1EEEvPT_PKS2_PKT0_S8_ifPKiSA_iPKfiiiSC_SC_iiiii: ; @_ZN4vllm25paged_attention_v1_kernelIthLi64ELi16ELi128ELNS_18Fp8KVCacheDataTypeE1ELb1EEEvPT_PKS2_PKT0_S8_ifPKiSA_iPKfiiiSC_SC_iiiii
; %bb.0:
	s_load_dword s5, s[0:1], 0x80
	s_load_dwordx2 s[6:7], s[0:1], 0x30
	s_load_dwordx2 s[36:37], s[0:1], 0x20
	s_mov_b32 s10, s3
	s_ashr_i32 s11, s3, 31
	s_lshl_b64 s[8:9], s[10:11], 2
	s_waitcnt lgkmcnt(0)
	s_add_u32 s6, s6, s8
	s_addc_u32 s7, s7, s9
	s_abs_i32 s3, s36
	v_cvt_f32_u32_e32 v1, s3
	s_sub_i32 s11, 0, s3
	s_abs_i32 s9, s5
	s_xor_b32 s8, s5, s36
	v_rcp_iflag_f32_e32 v1, v1
	s_ashr_i32 s8, s8, 31
	s_mov_b32 s48, 0
	v_mul_f32_e32 v1, 0x4f7ffffe, v1
	v_cvt_u32_f32_e32 v1, v1
	s_nop 0
	v_readfirstlane_b32 s12, v1
	s_mul_i32 s11, s11, s12
	s_mul_hi_u32 s11, s12, s11
	s_add_i32 s12, s12, s11
	s_mul_hi_u32 s11, s9, s12
	s_mul_i32 s12, s11, s3
	s_sub_i32 s9, s9, s12
	s_add_i32 s12, s11, 1
	s_sub_i32 s13, s9, s3
	s_cmp_ge_u32 s9, s3
	s_cselect_b32 s11, s12, s11
	s_cselect_b32 s9, s13, s9
	s_add_i32 s12, s11, 1
	s_cmp_ge_u32 s9, s3
	s_cselect_b32 s3, s12, s11
	s_xor_b32 s3, s3, s8
	s_sub_i32 s15, s3, s8
	s_abs_i32 s12, s15
	v_cvt_f32_u32_e32 v1, s12
	s_load_dwordx2 s[8:9], s[0:1], 0x40
	s_sub_i32 s3, 0, s12
	s_abs_i32 s13, s2
	v_rcp_iflag_f32_e32 v1, v1
	s_nop 0
	v_mul_f32_e32 v1, 0x4f7ffffe, v1
	v_cvt_u32_f32_e32 v1, v1
	s_nop 0
	v_readfirstlane_b32 s11, v1
	s_mul_i32 s3, s3, s11
	s_mul_hi_u32 s3, s11, s3
	s_add_i32 s11, s11, s3
	s_waitcnt lgkmcnt(0)
	s_cmp_eq_u64 s[8:9], 0
	s_mul_hi_u32 s14, s13, s11
	s_cbranch_scc1 .LBB237_2
; %bb.1:
	s_ashr_i32 s3, s2, 31
	s_lshl_b64 s[16:17], s[2:3], 2
	s_add_u32 s8, s8, s16
	s_addc_u32 s9, s9, s17
	s_load_dword s48, s[8:9], 0x0
.LBB237_2:
	s_load_dword s11, s[6:7], 0x0
	s_load_dwordx4 s[16:19], s[0:1], 0x48
	s_ashr_i32 s8, s2, 31
	s_ashr_i32 s9, s15, 31
	v_and_b32_e32 v7, 3, v0
	s_lshl_b32 s24, s2, 6
	v_cmp_gt_u32_e32 vcc, 32, v0
	s_and_saveexec_b64 s[6:7], vcc
	s_cbranch_execz .LBB237_4
; %bb.3:
	s_load_dwordx2 s[20:21], s[0:1], 0x8
	s_waitcnt lgkmcnt(0)
	s_mul_i32 s22, s10, s16
	s_ashr_i32 s23, s22, 31
	s_lshl_b64 s[22:23], s[22:23], 1
	v_lshlrev_b32_e32 v1, 2, v0
	s_add_u32 s3, s20, s22
	s_addc_u32 s15, s21, s23
	s_ashr_i32 s25, s24, 31
	s_lshl_b64 s[20:21], s[24:25], 1
	s_add_u32 s20, s3, s20
	s_addc_u32 s21, s15, s21
	global_load_dword v1, v1, s[20:21]
	v_and_b32_e32 v2, 0x3fc, v0
	v_lshl_add_u32 v2, v7, 5, v2
	s_waitcnt vmcnt(0)
	ds_write_b32 v2, v1
.LBB237_4:
	s_or_b64 exec, exec, s[6:7]
	s_mul_i32 s7, s14, s12
	s_sub_i32 s7, s13, s7
	s_xor_b32 s6, s8, s9
	s_add_i32 s8, s14, 1
	s_sub_i32 s9, s7, s12
	s_load_dwordx4 s[20:23], s[0:1], 0x68
	s_load_dword s3, s[0:1], 0x78
	s_cmp_ge_u32 s7, s12
	s_cselect_b32 s8, s8, s14
	s_cselect_b32 s7, s9, s7
	s_add_i32 s9, s8, 1
	s_cmp_ge_u32 s7, s12
	s_cselect_b32 s7, s9, s8
	s_waitcnt lgkmcnt(0)
	s_abs_i32 s25, s23
	v_cvt_f32_u32_e32 v1, s25
	s_xor_b32 s7, s7, s6
	s_sub_i32 s47, s7, s6
	s_sub_i32 s6, 0, s25
	v_rcp_iflag_f32_e32 v1, v1
	s_add_i32 s12, s11, -1
	s_abs_i32 s8, s12
	v_mul_f32_e32 v1, 0x4f7ffffe, v1
	v_cvt_u32_f32_e32 v1, v1
	s_barrier
	v_readfirstlane_b32 s33, v1
	s_mul_i32 s6, s6, s33
	s_mul_hi_u32 s6, s33, s6
	s_add_i32 s33, s33, s6
	s_cmp_lt_i32 s3, 0
	s_mul_hi_u32 s9, s8, s33
	s_cbranch_scc0 .LBB237_6
; %bb.5:
	s_mul_i32 s6, s20, s36
	s_add_i32 s6, s47, s6
	s_mul_i32 s6, s6, s3
	s_sub_i32 s36, 1, s6
	s_mov_b64 s[6:7], 0
	s_branch .LBB237_7
.LBB237_6:
	s_mov_b64 s[6:7], -1
                                        ; implicit-def: $sgpr36
.LBB237_7:
	s_load_dwordx2 s[28:29], s[0:1], 0x28
	s_ashr_i32 s16, s12, 31
	s_andn2_b64 vcc, exec, s[6:7]
	s_ashr_i32 s23, s23, 31
	s_cbranch_vccnz .LBB237_9
; %bb.8:
	s_mul_i32 s6, s5, s20
	s_add_i32 s2, s6, s2
	s_mul_i32 s2, s2, s3
	s_add_i32 s36, s2, 1
.LBB237_9:
	s_load_dword s2, s[0:1], 0x38
	s_load_dwordx2 s[26:27], s[0:1], 0x0
	s_load_dwordx2 s[34:35], s[0:1], 0x18
	s_load_dword s20, s[0:1], 0x88
	s_load_dwordx4 s[12:15], s[0:1], 0x58
	s_mul_i32 s3, s9, s25
	s_waitcnt lgkmcnt(0)
	s_mul_i32 s30, s10, s2
	s_sub_i32 s3, s8, s3
	s_ashr_i32 s31, s30, 31
	s_xor_b32 s2, s16, s23
	s_add_i32 s6, s9, 1
	s_sub_i32 s7, s3, s25
	s_cmp_ge_u32 s3, s25
	s_cselect_b32 s6, s6, s9
	s_cselect_b32 s3, s7, s3
	s_add_i32 s7, s6, 1
	s_cmp_ge_u32 s3, s25
	s_cselect_b32 s3, s7, s6
	s_xor_b32 s3, s3, s2
	s_sub_i32 s16, s3, s2
	s_add_i32 s2, s11, 15
	s_ashr_i32 s3, s2, 31
	s_lshr_b32 s3, s3, 28
	s_add_i32 s2, s2, s3
	s_ashr_i32 s46, s2, 4
	v_lshrrev_b32_e32 v1, 6, v0
	v_cmp_gt_i32_e64 s[6:7], s46, v1
	v_mov_b32_e32 v17, 0xff7fffff
	s_mul_i32 s47, s47, s18
	v_lshrrev_b32_e32 v12, 4, v0
	v_lshlrev_b32_e32 v13, 4, v1
	v_mbcnt_lo_u32_b32 v14, -1, 0
	s_and_saveexec_b64 s[18:19], s[6:7]
	s_cbranch_execz .LBB237_147
; %bb.10:
	s_load_dwordx2 s[0:1], s[0:1], 0x10
	s_sub_i32 s49, s16, s21
	s_ashr_i32 s2, s47, 31
	v_bfe_u32 v15, v0, 2, 4
	v_lshlrev_b32_e32 v2, 4, v15
	s_waitcnt lgkmcnt(0)
	s_add_u32 s0, s0, s47
	s_addc_u32 s1, s1, s2
	s_abs_i32 s50, s22
	v_cvt_f32_u32_e32 v4, s50
	v_mov_b32_e32 v3, 0
	v_cmp_eq_u32_e32 vcc, 0, v7
	s_mov_b32 s51, s17
	v_rcp_iflag_f32_e32 v8, v4
	v_lshl_add_u64 v[4:5], s[0:1], 0, v[2:3]
	s_sub_i32 s0, 0, s50
	v_lshlrev_b32_e32 v6, 1, v7
	v_mul_f32_e32 v2, 0x4f7ffffe, v8
	v_cvt_u32_f32_e32 v2, v2
	v_lshlrev_b32_e32 v16, 5, v7
	v_cmp_neq_f32_e64 s[2:3], s48, 0
	v_mov_b32_e32 v7, v3
	v_mul_lo_u32 v8, s0, v2
	s_lshl_b64 s[0:1], s[30:31], 2
	v_mul_hi_u32 v8, v2, v8
	s_add_u32 s0, s28, s0
	v_add_u32_e32 v18, v2, v8
	v_and_b32_e32 v2, 60, v12
	s_addc_u32 s1, s29, s1
	v_lshl_add_u64 v[8:9], s[0:1], 0, v[2:3]
	v_lshlrev_b32_e32 v2, 2, v15
	v_lshl_or_b32 v2, v1, 6, v2
	v_add_u32_e32 v20, 0x90, v2
	v_subrev_u32_e32 v2, s11, v15
	v_lshlrev_b32_e32 v19, 4, v1
	v_add_u32_e32 v21, 1, v2
	s_mov_b64 s[38:39], 0
	v_mov_b32_e32 v22, 0xff7fffff
	s_movk_i32 s52, 0x7f
	s_movk_i32 s53, 0x80
	s_mov_b32 s54, 0x8000
	v_mov_b32_e32 v23, 0x1c00
	v_mbcnt_hi_u32_b32 v24, -1, v14
	v_mov_b32_e32 v17, 0xff7fffff
	v_mov_b32_e32 v25, v1
	s_branch .LBB237_13
.LBB237_11:                             ;   in Loop: Header=BB237_13 Depth=1
	s_or_b64 exec, exec, s[40:41]
.LBB237_12:                             ;   in Loop: Header=BB237_13 Depth=1
	s_or_b64 exec, exec, s[8:9]
	v_add_u32_e32 v25, 2, v25
	v_cmp_le_i32_e64 s[0:1], s46, v25
	v_lshl_add_u64 v[8:9], v[8:9], 0, 8
	v_add_u32_e32 v19, 32, v19
	s_or_b64 s[38:39], s[0:1], s[38:39]
	v_add_u32_e32 v20, 0x80, v20
	s_andn2_b64 exec, exec, s[38:39]
	s_cbranch_execz .LBB237_146
.LBB237_13:                             ; =>This Inner Loop Header: Depth=1
	v_mul_hi_u32 v2, v19, s33
	s_waitcnt lgkmcnt(0)
	v_mul_lo_u32 v10, v2, s25
	v_sub_u32_e32 v10, v19, v10
	v_add_u32_e32 v11, 1, v2
	v_cmp_le_u32_e64 s[0:1], s25, v10
	s_nop 1
	v_cndmask_b32_e64 v2, v2, v11, s[0:1]
	v_subrev_u32_e32 v11, s25, v10
	v_cndmask_b32_e64 v10, v10, v11, s[0:1]
	v_add_u32_e32 v11, 1, v2
	v_cmp_le_u32_e64 s[0:1], s25, v10
	s_nop 1
	v_cndmask_b32_e64 v2, v2, v11, s[0:1]
	v_xor_b32_e32 v2, s23, v2
	v_subrev_u32_e32 v2, s23, v2
	v_add_u32_e32 v10, s36, v2
	v_sub_u32_e32 v26, 0, v10
	v_ashrrev_i32_e32 v11, 31, v10
	v_max_i32_e32 v10, v10, v26
	v_mul_hi_u32 v26, v10, v18
	v_mul_lo_u32 v26, v26, s50
	v_sub_u32_e32 v10, v10, v26
	v_subrev_u32_e32 v26, s50, v10
	v_cmp_le_u32_e64 s[0:1], s50, v10
	v_cmp_ge_i32_e64 s[8:9], s49, v2
	s_nop 0
	v_cndmask_b32_e64 v10, v10, v26, s[0:1]
	v_subrev_u32_e32 v26, s50, v10
	v_cmp_le_u32_e64 s[0:1], s50, v10
	s_nop 1
	v_cndmask_b32_e64 v10, v10, v26, s[0:1]
	v_xor_b32_e32 v10, v10, v11
	v_sub_u32_e32 v10, v10, v11
	v_cmp_ne_u32_e64 s[0:1], 0, v10
	s_and_b64 s[0:1], s[0:1], s[8:9]
	s_and_b64 s[40:41], vcc, s[0:1]
	s_and_saveexec_b64 s[8:9], s[40:41]
	s_cbranch_execz .LBB237_15
; %bb.14:                               ;   in Loop: Header=BB237_13 Depth=1
	ds_write_b32 v20, v22
.LBB237_15:                             ;   in Loop: Header=BB237_13 Depth=1
	s_or_b64 exec, exec, s[8:9]
	s_xor_b64 s[0:1], s[0:1], -1
	s_and_saveexec_b64 s[8:9], s[0:1]
	s_cbranch_execz .LBB237_12
; %bb.16:                               ;   in Loop: Header=BB237_13 Depth=1
	global_load_dword v2, v[8:9], off
                                        ; implicit-def: $sgpr44
	s_waitcnt vmcnt(0)
	v_mad_i64_i32 v[10:11], s[0:1], v2, s51, v[4:5]
	v_lshl_add_u64 v[10:11], v[10:11], 0, v[6:7]
	global_load_ushort v2, v[10:11], off
	global_load_dword v26, v3, s[12:13]
	s_mov_b64 s[0:1], 0
	s_waitcnt vmcnt(1)
	v_cmp_gt_i16_sdwa s[40:41], v2, s52 src0_sel:BYTE_0 src1_sel:DWORD
	s_and_saveexec_b64 s[42:43], s[40:41]
	s_xor_b64 s[40:41], exec, s[42:43]
	s_cbranch_execnz .LBB237_82
; %bb.17:                               ;   in Loop: Header=BB237_13 Depth=1
	s_or_saveexec_b64 s[40:41], s[40:41]
	v_mov_b32_e32 v27, s44
	s_xor_b64 exec, exec, s[40:41]
	s_cbranch_execnz .LBB237_85
.LBB237_18:                             ;   in Loop: Header=BB237_13 Depth=1
	s_or_b64 exec, exec, s[40:41]
	v_and_b32_e32 v2, 0xffff, v2
	s_and_saveexec_b64 s[40:41], s[0:1]
	s_cbranch_execz .LBB237_20
.LBB237_19:                             ;   in Loop: Header=BB237_13 Depth=1
	v_and_b32_e32 v27, 7, v2
	v_ffbh_u32_e32 v28, v27
	v_min_u32_e32 v31, 32, v28
	v_subrev_u32_e32 v28, 28, v31
	v_bfe_u32 v30, v2, 3, 4
	v_lshlrev_b64 v[28:29], v28, v[2:3]
	v_sub_u32_e32 v29, 29, v31
	v_cmp_eq_u32_e64 s[0:1], 0, v30
	v_and_b32_e32 v28, 7, v28
	s_nop 0
	v_cndmask_b32_e64 v29, v30, v29, s[0:1]
	v_cndmask_b32_e64 v27, v27, v28, s[0:1]
	v_lshlrev_b32_e32 v28, 8, v2
	v_lshl_add_u32 v29, v29, 10, v23
	v_and_or_b32 v28, v28, s54, v29
	v_lshl_or_b32 v27, v27, 7, v28
	v_cvt_f32_f16_e32 v27, v27
.LBB237_20:                             ;   in Loop: Header=BB237_13 Depth=1
	s_or_b64 exec, exec, s[40:41]
	v_lshrrev_b16_e32 v2, 8, v2
	v_cmp_lt_i16_e64 s[0:1], s52, v2
	s_mov_b64 s[40:41], 0
                                        ; implicit-def: $sgpr55
	s_and_saveexec_b64 s[42:43], s[0:1]
	s_xor_b64 s[42:43], exec, s[42:43]
	s_cbranch_execnz .LBB237_86
; %bb.21:                               ;   in Loop: Header=BB237_13 Depth=1
	s_or_saveexec_b64 s[42:43], s[42:43]
	v_mov_b32_e32 v28, s55
	s_xor_b64 exec, exec, s[42:43]
	s_cbranch_execnz .LBB237_89
.LBB237_22:                             ;   in Loop: Header=BB237_13 Depth=1
	s_or_b64 exec, exec, s[42:43]
	s_and_saveexec_b64 s[42:43], s[40:41]
	s_cbranch_execz .LBB237_24
.LBB237_23:                             ;   in Loop: Header=BB237_13 Depth=1
	v_and_b32_e32 v30, 7, v2
	v_ffbh_u32_e32 v28, v30
	v_min_u32_e32 v32, 32, v28
	v_subrev_u32_e32 v28, 28, v32
	v_bfe_u32 v31, v2, 3, 4
	v_lshlrev_b64 v[28:29], v28, v[2:3]
	v_sub_u32_e32 v29, 29, v32
	v_cmp_eq_u32_e64 s[0:1], 0, v31
	v_and_b32_e32 v28, 7, v28
	v_lshlrev_b32_e32 v2, 8, v2
	v_cndmask_b32_e64 v29, v31, v29, s[0:1]
	v_lshl_add_u32 v29, v29, 10, v23
	v_cndmask_b32_e64 v28, v30, v28, s[0:1]
	v_and_or_b32 v2, v2, s54, v29
	v_lshl_or_b32 v2, v28, 7, v2
	v_cvt_f32_f16_e32 v28, v2
.LBB237_24:                             ;   in Loop: Header=BB237_13 Depth=1
	s_or_b64 exec, exec, s[42:43]
	global_load_ushort v2, v[10:11], off offset:8
	s_mov_b64 s[0:1], 0
                                        ; implicit-def: $sgpr44
	s_waitcnt vmcnt(0)
	v_cmp_gt_i16_sdwa s[40:41], v2, s52 src0_sel:BYTE_0 src1_sel:DWORD
	s_and_saveexec_b64 s[42:43], s[40:41]
	s_xor_b64 s[40:41], exec, s[42:43]
	s_cbranch_execnz .LBB237_90
; %bb.25:                               ;   in Loop: Header=BB237_13 Depth=1
	s_or_saveexec_b64 s[40:41], s[40:41]
	v_mov_b32_e32 v29, s44
	s_xor_b64 exec, exec, s[40:41]
	s_cbranch_execnz .LBB237_93
.LBB237_26:                             ;   in Loop: Header=BB237_13 Depth=1
	s_or_b64 exec, exec, s[40:41]
	v_and_b32_e32 v2, 0xffff, v2
	s_and_saveexec_b64 s[40:41], s[0:1]
	s_cbranch_execz .LBB237_28
.LBB237_27:                             ;   in Loop: Header=BB237_13 Depth=1
	v_and_b32_e32 v29, 7, v2
	v_ffbh_u32_e32 v30, v29
	v_min_u32_e32 v33, 32, v30
	v_subrev_u32_e32 v30, 28, v33
	v_bfe_u32 v32, v2, 3, 4
	v_lshlrev_b64 v[30:31], v30, v[2:3]
	v_sub_u32_e32 v31, 29, v33
	v_cmp_eq_u32_e64 s[0:1], 0, v32
	v_and_b32_e32 v30, 7, v30
	s_nop 0
	v_cndmask_b32_e64 v31, v32, v31, s[0:1]
	v_cndmask_b32_e64 v29, v29, v30, s[0:1]
	v_lshlrev_b32_e32 v30, 8, v2
	v_lshl_add_u32 v31, v31, 10, v23
	v_and_or_b32 v30, v30, s54, v31
	v_lshl_or_b32 v29, v29, 7, v30
	v_cvt_f32_f16_e32 v29, v29
.LBB237_28:                             ;   in Loop: Header=BB237_13 Depth=1
	s_or_b64 exec, exec, s[40:41]
	v_lshrrev_b16_e32 v2, 8, v2
	v_cmp_lt_i16_e64 s[0:1], s52, v2
	s_mov_b64 s[40:41], 0
                                        ; implicit-def: $sgpr55
	s_and_saveexec_b64 s[42:43], s[0:1]
	s_xor_b64 s[42:43], exec, s[42:43]
	s_cbranch_execnz .LBB237_94
; %bb.29:                               ;   in Loop: Header=BB237_13 Depth=1
	s_or_saveexec_b64 s[42:43], s[42:43]
	v_mov_b32_e32 v30, s55
	s_xor_b64 exec, exec, s[42:43]
	s_cbranch_execnz .LBB237_97
.LBB237_30:                             ;   in Loop: Header=BB237_13 Depth=1
	s_or_b64 exec, exec, s[42:43]
	s_and_saveexec_b64 s[42:43], s[40:41]
	s_cbranch_execz .LBB237_32
.LBB237_31:                             ;   in Loop: Header=BB237_13 Depth=1
	v_and_b32_e32 v32, 7, v2
	v_ffbh_u32_e32 v30, v32
	v_min_u32_e32 v34, 32, v30
	v_subrev_u32_e32 v30, 28, v34
	v_bfe_u32 v33, v2, 3, 4
	v_lshlrev_b64 v[30:31], v30, v[2:3]
	v_sub_u32_e32 v31, 29, v34
	v_cmp_eq_u32_e64 s[0:1], 0, v33
	v_and_b32_e32 v30, 7, v30
	v_lshlrev_b32_e32 v2, 8, v2
	v_cndmask_b32_e64 v31, v33, v31, s[0:1]
	v_lshl_add_u32 v31, v31, 10, v23
	v_cndmask_b32_e64 v30, v32, v30, s[0:1]
	v_and_or_b32 v2, v2, s54, v31
	v_lshl_or_b32 v2, v30, 7, v2
	v_cvt_f32_f16_e32 v30, v2
.LBB237_32:                             ;   in Loop: Header=BB237_13 Depth=1
	s_or_b64 exec, exec, s[42:43]
	global_load_ushort v2, v[10:11], off offset:256
	s_mov_b64 s[0:1], 0
                                        ; implicit-def: $sgpr44
	s_waitcnt vmcnt(0)
	v_cmp_gt_i16_sdwa s[40:41], v2, s52 src0_sel:BYTE_0 src1_sel:DWORD
	s_and_saveexec_b64 s[42:43], s[40:41]
	s_xor_b64 s[40:41], exec, s[42:43]
	s_cbranch_execnz .LBB237_98
; %bb.33:                               ;   in Loop: Header=BB237_13 Depth=1
	s_or_saveexec_b64 s[40:41], s[40:41]
	v_mov_b32_e32 v31, s44
	s_xor_b64 exec, exec, s[40:41]
	s_cbranch_execnz .LBB237_101
.LBB237_34:                             ;   in Loop: Header=BB237_13 Depth=1
	s_or_b64 exec, exec, s[40:41]
	v_and_b32_e32 v2, 0xffff, v2
	s_and_saveexec_b64 s[40:41], s[0:1]
	s_cbranch_execz .LBB237_36
.LBB237_35:                             ;   in Loop: Header=BB237_13 Depth=1
	v_and_b32_e32 v31, 7, v2
	v_ffbh_u32_e32 v32, v31
	v_min_u32_e32 v35, 32, v32
	v_subrev_u32_e32 v32, 28, v35
	v_bfe_u32 v34, v2, 3, 4
	v_lshlrev_b64 v[32:33], v32, v[2:3]
	v_sub_u32_e32 v33, 29, v35
	v_cmp_eq_u32_e64 s[0:1], 0, v34
	v_and_b32_e32 v32, 7, v32
	s_nop 0
	v_cndmask_b32_e64 v33, v34, v33, s[0:1]
	v_cndmask_b32_e64 v31, v31, v32, s[0:1]
	v_lshlrev_b32_e32 v32, 8, v2
	v_lshl_add_u32 v33, v33, 10, v23
	v_and_or_b32 v32, v32, s54, v33
	v_lshl_or_b32 v31, v31, 7, v32
	v_cvt_f32_f16_e32 v31, v31
.LBB237_36:                             ;   in Loop: Header=BB237_13 Depth=1
	s_or_b64 exec, exec, s[40:41]
	v_lshrrev_b16_e32 v2, 8, v2
	v_cmp_lt_i16_e64 s[0:1], s52, v2
	s_mov_b64 s[40:41], 0
                                        ; implicit-def: $sgpr55
	s_and_saveexec_b64 s[42:43], s[0:1]
	s_xor_b64 s[42:43], exec, s[42:43]
	s_cbranch_execnz .LBB237_102
; %bb.37:                               ;   in Loop: Header=BB237_13 Depth=1
	s_or_saveexec_b64 s[42:43], s[42:43]
	v_mov_b32_e32 v32, s55
	s_xor_b64 exec, exec, s[42:43]
	s_cbranch_execnz .LBB237_105
.LBB237_38:                             ;   in Loop: Header=BB237_13 Depth=1
	s_or_b64 exec, exec, s[42:43]
	s_and_saveexec_b64 s[42:43], s[40:41]
	s_cbranch_execz .LBB237_40
.LBB237_39:                             ;   in Loop: Header=BB237_13 Depth=1
	v_and_b32_e32 v34, 7, v2
	v_ffbh_u32_e32 v32, v34
	v_min_u32_e32 v36, 32, v32
	v_subrev_u32_e32 v32, 28, v36
	v_bfe_u32 v35, v2, 3, 4
	v_lshlrev_b64 v[32:33], v32, v[2:3]
	v_sub_u32_e32 v33, 29, v36
	v_cmp_eq_u32_e64 s[0:1], 0, v35
	v_and_b32_e32 v32, 7, v32
	v_lshlrev_b32_e32 v2, 8, v2
	v_cndmask_b32_e64 v33, v35, v33, s[0:1]
	v_lshl_add_u32 v33, v33, 10, v23
	v_cndmask_b32_e64 v32, v34, v32, s[0:1]
	v_and_or_b32 v2, v2, s54, v33
	v_lshl_or_b32 v2, v32, 7, v2
	v_cvt_f32_f16_e32 v32, v2
.LBB237_40:                             ;   in Loop: Header=BB237_13 Depth=1
	s_or_b64 exec, exec, s[42:43]
	global_load_ushort v2, v[10:11], off offset:264
	s_mov_b64 s[0:1], 0
                                        ; implicit-def: $sgpr44
	s_waitcnt vmcnt(0)
	v_cmp_gt_i16_sdwa s[40:41], v2, s52 src0_sel:BYTE_0 src1_sel:DWORD
	s_and_saveexec_b64 s[42:43], s[40:41]
	s_xor_b64 s[40:41], exec, s[42:43]
	s_cbranch_execnz .LBB237_106
; %bb.41:                               ;   in Loop: Header=BB237_13 Depth=1
	s_or_saveexec_b64 s[40:41], s[40:41]
	v_mov_b32_e32 v33, s44
	s_xor_b64 exec, exec, s[40:41]
	s_cbranch_execnz .LBB237_109
.LBB237_42:                             ;   in Loop: Header=BB237_13 Depth=1
	s_or_b64 exec, exec, s[40:41]
	v_and_b32_e32 v2, 0xffff, v2
	s_and_saveexec_b64 s[40:41], s[0:1]
	s_cbranch_execz .LBB237_44
.LBB237_43:                             ;   in Loop: Header=BB237_13 Depth=1
	v_and_b32_e32 v33, 7, v2
	v_ffbh_u32_e32 v34, v33
	v_min_u32_e32 v37, 32, v34
	v_subrev_u32_e32 v34, 28, v37
	v_bfe_u32 v36, v2, 3, 4
	v_lshlrev_b64 v[34:35], v34, v[2:3]
	v_sub_u32_e32 v35, 29, v37
	v_cmp_eq_u32_e64 s[0:1], 0, v36
	v_and_b32_e32 v34, 7, v34
	s_nop 0
	v_cndmask_b32_e64 v35, v36, v35, s[0:1]
	v_cndmask_b32_e64 v33, v33, v34, s[0:1]
	v_lshlrev_b32_e32 v34, 8, v2
	v_lshl_add_u32 v35, v35, 10, v23
	v_and_or_b32 v34, v34, s54, v35
	v_lshl_or_b32 v33, v33, 7, v34
	v_cvt_f32_f16_e32 v33, v33
.LBB237_44:                             ;   in Loop: Header=BB237_13 Depth=1
	s_or_b64 exec, exec, s[40:41]
	v_lshrrev_b16_e32 v2, 8, v2
	v_cmp_lt_i16_e64 s[0:1], s52, v2
	s_mov_b64 s[40:41], 0
                                        ; implicit-def: $sgpr55
	s_and_saveexec_b64 s[42:43], s[0:1]
	s_xor_b64 s[42:43], exec, s[42:43]
	s_cbranch_execnz .LBB237_110
; %bb.45:                               ;   in Loop: Header=BB237_13 Depth=1
	s_or_saveexec_b64 s[42:43], s[42:43]
	v_mov_b32_e32 v34, s55
	s_xor_b64 exec, exec, s[42:43]
	s_cbranch_execnz .LBB237_113
.LBB237_46:                             ;   in Loop: Header=BB237_13 Depth=1
	s_or_b64 exec, exec, s[42:43]
	s_and_saveexec_b64 s[42:43], s[40:41]
	s_cbranch_execz .LBB237_48
.LBB237_47:                             ;   in Loop: Header=BB237_13 Depth=1
	v_and_b32_e32 v36, 7, v2
	v_ffbh_u32_e32 v34, v36
	v_min_u32_e32 v38, 32, v34
	v_subrev_u32_e32 v34, 28, v38
	v_bfe_u32 v37, v2, 3, 4
	v_lshlrev_b64 v[34:35], v34, v[2:3]
	v_sub_u32_e32 v35, 29, v38
	v_cmp_eq_u32_e64 s[0:1], 0, v37
	v_and_b32_e32 v34, 7, v34
	v_lshlrev_b32_e32 v2, 8, v2
	v_cndmask_b32_e64 v35, v37, v35, s[0:1]
	v_lshl_add_u32 v35, v35, 10, v23
	v_cndmask_b32_e64 v34, v36, v34, s[0:1]
	v_and_or_b32 v2, v2, s54, v35
	v_lshl_or_b32 v2, v34, 7, v2
	v_cvt_f32_f16_e32 v34, v2
.LBB237_48:                             ;   in Loop: Header=BB237_13 Depth=1
	s_or_b64 exec, exec, s[42:43]
	global_load_ushort v2, v[10:11], off offset:512
	s_mov_b64 s[0:1], 0
                                        ; implicit-def: $sgpr44
	s_waitcnt vmcnt(0)
	v_cmp_gt_i16_sdwa s[40:41], v2, s52 src0_sel:BYTE_0 src1_sel:DWORD
	s_and_saveexec_b64 s[42:43], s[40:41]
	s_xor_b64 s[40:41], exec, s[42:43]
	s_cbranch_execnz .LBB237_114
; %bb.49:                               ;   in Loop: Header=BB237_13 Depth=1
	s_or_saveexec_b64 s[40:41], s[40:41]
	v_mov_b32_e32 v35, s44
	s_xor_b64 exec, exec, s[40:41]
	s_cbranch_execnz .LBB237_117
.LBB237_50:                             ;   in Loop: Header=BB237_13 Depth=1
	s_or_b64 exec, exec, s[40:41]
	v_and_b32_e32 v2, 0xffff, v2
	s_and_saveexec_b64 s[40:41], s[0:1]
	s_cbranch_execz .LBB237_52
.LBB237_51:                             ;   in Loop: Header=BB237_13 Depth=1
	v_and_b32_e32 v35, 7, v2
	v_ffbh_u32_e32 v36, v35
	v_min_u32_e32 v39, 32, v36
	v_subrev_u32_e32 v36, 28, v39
	v_bfe_u32 v38, v2, 3, 4
	v_lshlrev_b64 v[36:37], v36, v[2:3]
	v_sub_u32_e32 v37, 29, v39
	v_cmp_eq_u32_e64 s[0:1], 0, v38
	v_and_b32_e32 v36, 7, v36
	s_nop 0
	v_cndmask_b32_e64 v37, v38, v37, s[0:1]
	v_cndmask_b32_e64 v35, v35, v36, s[0:1]
	v_lshlrev_b32_e32 v36, 8, v2
	v_lshl_add_u32 v37, v37, 10, v23
	v_and_or_b32 v36, v36, s54, v37
	v_lshl_or_b32 v35, v35, 7, v36
	v_cvt_f32_f16_e32 v35, v35
.LBB237_52:                             ;   in Loop: Header=BB237_13 Depth=1
	s_or_b64 exec, exec, s[40:41]
	v_lshrrev_b16_e32 v2, 8, v2
	v_cmp_lt_i16_e64 s[0:1], s52, v2
	s_mov_b64 s[40:41], 0
                                        ; implicit-def: $sgpr55
	s_and_saveexec_b64 s[42:43], s[0:1]
	s_xor_b64 s[42:43], exec, s[42:43]
	s_cbranch_execnz .LBB237_118
; %bb.53:                               ;   in Loop: Header=BB237_13 Depth=1
	s_or_saveexec_b64 s[42:43], s[42:43]
	v_mov_b32_e32 v36, s55
	s_xor_b64 exec, exec, s[42:43]
	s_cbranch_execnz .LBB237_121
.LBB237_54:                             ;   in Loop: Header=BB237_13 Depth=1
	s_or_b64 exec, exec, s[42:43]
	s_and_saveexec_b64 s[42:43], s[40:41]
	s_cbranch_execz .LBB237_56
.LBB237_55:                             ;   in Loop: Header=BB237_13 Depth=1
	v_and_b32_e32 v38, 7, v2
	v_ffbh_u32_e32 v36, v38
	v_min_u32_e32 v40, 32, v36
	v_subrev_u32_e32 v36, 28, v40
	v_bfe_u32 v39, v2, 3, 4
	v_lshlrev_b64 v[36:37], v36, v[2:3]
	v_sub_u32_e32 v37, 29, v40
	v_cmp_eq_u32_e64 s[0:1], 0, v39
	v_and_b32_e32 v36, 7, v36
	v_lshlrev_b32_e32 v2, 8, v2
	v_cndmask_b32_e64 v37, v39, v37, s[0:1]
	v_lshl_add_u32 v37, v37, 10, v23
	v_cndmask_b32_e64 v36, v38, v36, s[0:1]
	v_and_or_b32 v2, v2, s54, v37
	v_lshl_or_b32 v2, v36, 7, v2
	v_cvt_f32_f16_e32 v36, v2
.LBB237_56:                             ;   in Loop: Header=BB237_13 Depth=1
	s_or_b64 exec, exec, s[42:43]
	global_load_ushort v2, v[10:11], off offset:520
	s_mov_b64 s[0:1], 0
                                        ; implicit-def: $sgpr44
	s_waitcnt vmcnt(0)
	v_cmp_gt_i16_sdwa s[40:41], v2, s52 src0_sel:BYTE_0 src1_sel:DWORD
	s_and_saveexec_b64 s[42:43], s[40:41]
	s_xor_b64 s[40:41], exec, s[42:43]
	s_cbranch_execnz .LBB237_122
; %bb.57:                               ;   in Loop: Header=BB237_13 Depth=1
	s_or_saveexec_b64 s[40:41], s[40:41]
	v_mov_b32_e32 v37, s44
	s_xor_b64 exec, exec, s[40:41]
	s_cbranch_execnz .LBB237_125
.LBB237_58:                             ;   in Loop: Header=BB237_13 Depth=1
	s_or_b64 exec, exec, s[40:41]
	v_and_b32_e32 v2, 0xffff, v2
	s_and_saveexec_b64 s[40:41], s[0:1]
	s_cbranch_execz .LBB237_60
.LBB237_59:                             ;   in Loop: Header=BB237_13 Depth=1
	v_and_b32_e32 v37, 7, v2
	v_ffbh_u32_e32 v38, v37
	v_min_u32_e32 v41, 32, v38
	v_subrev_u32_e32 v38, 28, v41
	v_bfe_u32 v40, v2, 3, 4
	v_lshlrev_b64 v[38:39], v38, v[2:3]
	v_sub_u32_e32 v39, 29, v41
	v_cmp_eq_u32_e64 s[0:1], 0, v40
	v_and_b32_e32 v38, 7, v38
	s_nop 0
	v_cndmask_b32_e64 v39, v40, v39, s[0:1]
	v_cndmask_b32_e64 v37, v37, v38, s[0:1]
	v_lshlrev_b32_e32 v38, 8, v2
	v_lshl_add_u32 v39, v39, 10, v23
	v_and_or_b32 v38, v38, s54, v39
	v_lshl_or_b32 v37, v37, 7, v38
	v_cvt_f32_f16_e32 v37, v37
.LBB237_60:                             ;   in Loop: Header=BB237_13 Depth=1
	s_or_b64 exec, exec, s[40:41]
	v_lshrrev_b16_e32 v2, 8, v2
	v_cmp_lt_i16_e64 s[0:1], s52, v2
	s_mov_b64 s[40:41], 0
                                        ; implicit-def: $sgpr55
	s_and_saveexec_b64 s[42:43], s[0:1]
	s_xor_b64 s[42:43], exec, s[42:43]
	s_cbranch_execnz .LBB237_126
; %bb.61:                               ;   in Loop: Header=BB237_13 Depth=1
	s_or_saveexec_b64 s[42:43], s[42:43]
	v_mov_b32_e32 v38, s55
	s_xor_b64 exec, exec, s[42:43]
	s_cbranch_execnz .LBB237_129
.LBB237_62:                             ;   in Loop: Header=BB237_13 Depth=1
	s_or_b64 exec, exec, s[42:43]
	s_and_saveexec_b64 s[42:43], s[40:41]
	s_cbranch_execz .LBB237_64
.LBB237_63:                             ;   in Loop: Header=BB237_13 Depth=1
	v_and_b32_e32 v40, 7, v2
	v_ffbh_u32_e32 v38, v40
	v_min_u32_e32 v42, 32, v38
	v_subrev_u32_e32 v38, 28, v42
	v_bfe_u32 v41, v2, 3, 4
	v_lshlrev_b64 v[38:39], v38, v[2:3]
	v_sub_u32_e32 v39, 29, v42
	v_cmp_eq_u32_e64 s[0:1], 0, v41
	v_and_b32_e32 v38, 7, v38
	v_lshlrev_b32_e32 v2, 8, v2
	v_cndmask_b32_e64 v39, v41, v39, s[0:1]
	v_lshl_add_u32 v39, v39, 10, v23
	v_cndmask_b32_e64 v38, v40, v38, s[0:1]
	v_and_or_b32 v2, v2, s54, v39
	v_lshl_or_b32 v2, v38, 7, v2
	v_cvt_f32_f16_e32 v38, v2
.LBB237_64:                             ;   in Loop: Header=BB237_13 Depth=1
	s_or_b64 exec, exec, s[42:43]
	global_load_ushort v2, v[10:11], off offset:768
	s_mov_b64 s[0:1], 0
                                        ; implicit-def: $sgpr44
	s_waitcnt vmcnt(0)
	v_cmp_gt_i16_sdwa s[40:41], v2, s52 src0_sel:BYTE_0 src1_sel:DWORD
	s_and_saveexec_b64 s[42:43], s[40:41]
	s_xor_b64 s[40:41], exec, s[42:43]
	s_cbranch_execnz .LBB237_130
; %bb.65:                               ;   in Loop: Header=BB237_13 Depth=1
	s_or_saveexec_b64 s[40:41], s[40:41]
	v_mov_b32_e32 v39, s44
	s_xor_b64 exec, exec, s[40:41]
	s_cbranch_execnz .LBB237_133
.LBB237_66:                             ;   in Loop: Header=BB237_13 Depth=1
	s_or_b64 exec, exec, s[40:41]
	v_and_b32_e32 v2, 0xffff, v2
	s_and_saveexec_b64 s[40:41], s[0:1]
	s_cbranch_execz .LBB237_68
.LBB237_67:                             ;   in Loop: Header=BB237_13 Depth=1
	v_and_b32_e32 v39, 7, v2
	v_ffbh_u32_e32 v40, v39
	v_min_u32_e32 v43, 32, v40
	v_subrev_u32_e32 v40, 28, v43
	v_bfe_u32 v42, v2, 3, 4
	v_lshlrev_b64 v[40:41], v40, v[2:3]
	v_sub_u32_e32 v41, 29, v43
	v_cmp_eq_u32_e64 s[0:1], 0, v42
	v_and_b32_e32 v40, 7, v40
	s_nop 0
	v_cndmask_b32_e64 v41, v42, v41, s[0:1]
	v_cndmask_b32_e64 v39, v39, v40, s[0:1]
	v_lshlrev_b32_e32 v40, 8, v2
	v_lshl_add_u32 v41, v41, 10, v23
	v_and_or_b32 v40, v40, s54, v41
	v_lshl_or_b32 v39, v39, 7, v40
	v_cvt_f32_f16_e32 v39, v39
.LBB237_68:                             ;   in Loop: Header=BB237_13 Depth=1
	s_or_b64 exec, exec, s[40:41]
	v_lshrrev_b16_e32 v2, 8, v2
	v_cmp_lt_i16_e64 s[0:1], s52, v2
	s_mov_b64 s[40:41], 0
                                        ; implicit-def: $sgpr55
	s_and_saveexec_b64 s[42:43], s[0:1]
	s_xor_b64 s[42:43], exec, s[42:43]
	s_cbranch_execnz .LBB237_134
; %bb.69:                               ;   in Loop: Header=BB237_13 Depth=1
	s_or_saveexec_b64 s[42:43], s[42:43]
	v_mov_b32_e32 v40, s55
	s_xor_b64 exec, exec, s[42:43]
	s_cbranch_execnz .LBB237_137
.LBB237_70:                             ;   in Loop: Header=BB237_13 Depth=1
	s_or_b64 exec, exec, s[42:43]
	s_and_saveexec_b64 s[42:43], s[40:41]
	s_cbranch_execz .LBB237_72
.LBB237_71:                             ;   in Loop: Header=BB237_13 Depth=1
	v_and_b32_e32 v42, 7, v2
	v_ffbh_u32_e32 v40, v42
	v_min_u32_e32 v44, 32, v40
	v_subrev_u32_e32 v40, 28, v44
	v_bfe_u32 v43, v2, 3, 4
	v_lshlrev_b64 v[40:41], v40, v[2:3]
	v_sub_u32_e32 v41, 29, v44
	v_cmp_eq_u32_e64 s[0:1], 0, v43
	v_and_b32_e32 v40, 7, v40
	v_lshlrev_b32_e32 v2, 8, v2
	v_cndmask_b32_e64 v41, v43, v41, s[0:1]
	v_lshl_add_u32 v41, v41, 10, v23
	v_cndmask_b32_e64 v40, v42, v40, s[0:1]
	v_and_or_b32 v2, v2, s54, v41
	v_lshl_or_b32 v2, v40, 7, v2
	v_cvt_f32_f16_e32 v40, v2
.LBB237_72:                             ;   in Loop: Header=BB237_13 Depth=1
	s_or_b64 exec, exec, s[42:43]
	global_load_ushort v2, v[10:11], off offset:776
	s_mov_b64 s[0:1], 0
                                        ; implicit-def: $sgpr44
	s_waitcnt vmcnt(0)
	v_cmp_gt_i16_sdwa s[40:41], v2, s52 src0_sel:BYTE_0 src1_sel:DWORD
	s_and_saveexec_b64 s[42:43], s[40:41]
	s_xor_b64 s[40:41], exec, s[42:43]
	s_cbranch_execnz .LBB237_138
; %bb.73:                               ;   in Loop: Header=BB237_13 Depth=1
	s_or_saveexec_b64 s[40:41], s[40:41]
	v_mov_b32_e32 v10, s44
	s_xor_b64 exec, exec, s[40:41]
	s_cbranch_execnz .LBB237_141
.LBB237_74:                             ;   in Loop: Header=BB237_13 Depth=1
	s_or_b64 exec, exec, s[40:41]
	v_and_b32_e32 v2, 0xffff, v2
	s_and_saveexec_b64 s[40:41], s[0:1]
	s_cbranch_execz .LBB237_76
.LBB237_75:                             ;   in Loop: Header=BB237_13 Depth=1
	v_and_b32_e32 v41, 7, v2
	v_ffbh_u32_e32 v10, v41
	v_min_u32_e32 v43, 32, v10
	v_subrev_u32_e32 v10, 28, v43
	v_bfe_u32 v42, v2, 3, 4
	v_lshlrev_b64 v[10:11], v10, v[2:3]
	v_sub_u32_e32 v11, 29, v43
	v_cmp_eq_u32_e64 s[0:1], 0, v42
	v_and_b32_e32 v10, 7, v10
	s_nop 0
	v_cndmask_b32_e64 v11, v42, v11, s[0:1]
	v_cndmask_b32_e64 v10, v41, v10, s[0:1]
	v_lshlrev_b32_e32 v41, 8, v2
	v_lshl_add_u32 v11, v11, 10, v23
	v_and_or_b32 v11, v41, s54, v11
	v_lshl_or_b32 v10, v10, 7, v11
	v_cvt_f32_f16_e32 v10, v10
.LBB237_76:                             ;   in Loop: Header=BB237_13 Depth=1
	s_or_b64 exec, exec, s[40:41]
	v_lshrrev_b16_e32 v2, 8, v2
	v_cmp_lt_i16_e64 s[0:1], s52, v2
	s_mov_b64 s[40:41], 0
                                        ; implicit-def: $sgpr55
	s_and_saveexec_b64 s[42:43], s[0:1]
	s_xor_b64 s[42:43], exec, s[42:43]
	s_cbranch_execnz .LBB237_142
; %bb.77:                               ;   in Loop: Header=BB237_13 Depth=1
	s_or_saveexec_b64 s[42:43], s[42:43]
	v_mov_b32_e32 v11, s55
	s_xor_b64 exec, exec, s[42:43]
	s_cbranch_execnz .LBB237_145
.LBB237_78:                             ;   in Loop: Header=BB237_13 Depth=1
	s_or_b64 exec, exec, s[42:43]
	s_and_saveexec_b64 s[42:43], s[40:41]
	s_cbranch_execz .LBB237_80
.LBB237_79:                             ;   in Loop: Header=BB237_13 Depth=1
	v_and_b32_e32 v11, 7, v2
	v_ffbh_u32_e32 v42, v11
	v_min_u32_e32 v44, 32, v42
	v_subrev_u32_e32 v42, 28, v44
	v_bfe_u32 v41, v2, 3, 4
	v_lshlrev_b64 v[42:43], v42, v[2:3]
	v_sub_u32_e32 v43, 29, v44
	v_cmp_eq_u32_e64 s[0:1], 0, v41
	v_and_b32_e32 v42, 7, v42
	v_lshlrev_b32_e32 v2, 8, v2
	v_cndmask_b32_e64 v41, v41, v43, s[0:1]
	v_lshl_add_u32 v41, v41, 10, v23
	v_cndmask_b32_e64 v11, v11, v42, s[0:1]
	v_and_or_b32 v2, v2, s54, v41
	v_lshl_or_b32 v2, v11, 7, v2
	v_cvt_f32_f16_e32 v11, v2
.LBB237_80:                             ;   in Loop: Header=BB237_13 Depth=1
	s_or_b64 exec, exec, s[42:43]
	ds_read_b32 v2, v16
	v_fma_mixlo_f16 v27, v26, v27, 0
	v_fma_mixlo_f16 v28, v26, v28, 0
	v_and_b32_e32 v27, 0xffff, v27
	v_and_b32_e32 v28, 0xffff, v28
	s_waitcnt lgkmcnt(0)
	v_lshrrev_b32_e32 v41, 16, v2
	v_and_b32_e32 v2, 0xffff, v2
	;;#ASMSTART
	v_cvt_f32_f16 v2, v2;
	;;#ASMEND
	;;#ASMSTART
	v_cvt_f32_f16 v41, v41;
	;;#ASMEND
	;;#ASMSTART
	v_cvt_f32_f16 v27, v27;
	;;#ASMEND
	;;#ASMSTART
	v_cvt_f32_f16 v28, v28;
	;;#ASMEND
	ds_read_b32 v42, v16 offset:4
	v_fma_mixlo_f16 v29, v26, v29, 0
	v_fma_mixlo_f16 v30, v26, v30, 0
	v_and_b32_e32 v29, 0xffff, v29
	v_and_b32_e32 v30, 0xffff, v30
	s_waitcnt lgkmcnt(0)
	v_lshrrev_b32_e32 v43, 16, v42
	v_and_b32_e32 v42, 0xffff, v42
	;;#ASMSTART
	v_cvt_f32_f16 v42, v42;
	;;#ASMEND
	;;#ASMSTART
	v_cvt_f32_f16 v43, v43;
	;;#ASMEND
	;;#ASMSTART
	v_cvt_f32_f16 v29, v29;
	;;#ASMEND
	;;#ASMSTART
	v_cvt_f32_f16 v30, v30;
	;;#ASMEND
	ds_read_b32 v44, v16 offset:8
	;; [unrolled: 20-line block ×4, first 2 shown]
	v_fma_mixlo_f16 v39, v26, v39, 0
	v_fma_mixlo_f16 v40, v26, v40, 0
	v_fma_mixlo_f16 v37, v26, v37, 0
	v_fma_mixlo_f16 v38, v26, v38, 0
	v_fma_mixlo_f16 v35, v26, v35, 0
	v_fma_mixlo_f16 v36, v26, v36, 0
	v_fma_mixlo_f16 v10, v26, v10, 0
	v_fma_mixlo_f16 v11, v26, v11, 0
	v_mul_f32_e32 v26, v42, v29
	v_fmac_f32_e32 v26, v2, v27
	s_waitcnt lgkmcnt(0)
	v_lshrrev_b32_e32 v2, 16, v48
	v_and_b32_e32 v27, 0xffff, v48
	v_and_b32_e32 v29, 0xffff, v35
	;; [unrolled: 1-line block ×3, first 2 shown]
	;;#ASMSTART
	v_cvt_f32_f16 v27, v27;
	;;#ASMEND
	;;#ASMSTART
	v_cvt_f32_f16 v2, v2;
	;;#ASMEND
	;; [unrolled: 3-line block ×4, first 2 shown]
	ds_read_b32 v36, v16 offset:20
	v_mul_f32_e32 v30, v43, v30
	v_fmac_f32_e32 v30, v41, v28
	v_fmac_f32_e32 v26, v44, v31
	;; [unrolled: 1-line block ×3, first 2 shown]
	s_waitcnt lgkmcnt(0)
	v_lshrrev_b32_e32 v28, 16, v36
	v_and_b32_e32 v31, 0xffff, v36
	v_and_b32_e32 v32, 0xffff, v37
	;; [unrolled: 1-line block ×3, first 2 shown]
	;;#ASMSTART
	v_cvt_f32_f16 v31, v31;
	;;#ASMEND
	;;#ASMSTART
	v_cvt_f32_f16 v28, v28;
	;;#ASMEND
	;; [unrolled: 3-line block ×4, first 2 shown]
	ds_read_b32 v37, v16 offset:24
	v_fmac_f32_e32 v26, v46, v33
	v_fmac_f32_e32 v30, v47, v34
	;; [unrolled: 1-line block ×4, first 2 shown]
	s_waitcnt lgkmcnt(0)
	v_lshrrev_b32_e32 v2, 16, v37
	v_and_b32_e32 v27, 0xffff, v37
	v_and_b32_e32 v29, 0xffff, v39
	;; [unrolled: 1-line block ×3, first 2 shown]
	;;#ASMSTART
	v_cvt_f32_f16 v27, v27;
	;;#ASMEND
	;;#ASMSTART
	v_cvt_f32_f16 v2, v2;
	;;#ASMEND
	;; [unrolled: 3-line block ×4, first 2 shown]
	ds_read_b32 v34, v16 offset:28
	v_fmac_f32_e32 v26, v31, v32
	v_fmac_f32_e32 v30, v28, v36
	;; [unrolled: 1-line block ×4, first 2 shown]
	s_waitcnt lgkmcnt(0)
	v_lshrrev_b32_e32 v2, 16, v34
	v_and_b32_e32 v27, 0xffff, v34
	v_and_b32_e32 v10, 0xffff, v10
	;;#ASMSTART
	v_cvt_f32_f16 v27, v27;
	;;#ASMEND
	;;#ASMSTART
	v_cvt_f32_f16 v2, v2;
	;;#ASMEND
	;; [unrolled: 3-line block ×3, first 2 shown]
	v_and_b32_e32 v11, 0xffff, v11
	;;#ASMSTART
	v_cvt_f32_f16 v11, v11;
	;;#ASMEND
	v_fmac_f32_e32 v26, v27, v10
	v_and_b32_e32 v10, 64, v24
	v_fmac_f32_e32 v30, v2, v11
	v_add_u32_e32 v10, 64, v10
	v_xor_b32_e32 v11, 2, v24
	v_cmp_lt_i32_e64 s[0:1], v11, v10
	v_add_f32_e32 v2, v26, v30
	s_nop 0
	v_cndmask_b32_e64 v11, v24, v11, s[0:1]
	v_lshlrev_b32_e32 v11, 2, v11
	ds_bpermute_b32 v11, v11, v2
	s_waitcnt lgkmcnt(0)
	v_add_f32_e32 v2, v2, v11
	v_xor_b32_e32 v11, 1, v24
	v_cmp_lt_i32_e64 s[0:1], v11, v10
	s_nop 1
	v_cndmask_b32_e64 v10, v24, v11, s[0:1]
	v_lshlrev_b32_e32 v10, 2, v10
	ds_bpermute_b32 v10, v10, v2
	s_and_saveexec_b64 s[40:41], vcc
	s_cbranch_execz .LBB237_11
; %bb.81:                               ;   in Loop: Header=BB237_13 Depth=1
	v_add_u32_e32 v11, v21, v19
	v_cvt_f32_i32_e32 v11, v11
	s_waitcnt lgkmcnt(0)
	v_add_f32_e32 v2, v2, v10
	v_add_u32_e32 v26, v15, v19
	v_cmp_gt_i32_e64 s[0:1], s11, v26
	v_mul_f32_e32 v10, s48, v11
	v_cndmask_b32_e64 v10, 0, v10, s[2:3]
	v_fmac_f32_e32 v10, s37, v2
	v_cndmask_b32_e64 v2, 0, v10, s[0:1]
	ds_write_b32 v20, v2
	v_max_f32_e32 v2, v17, v17
	v_max_f32_e32 v2, v2, v10
	v_cndmask_b32_e64 v17, v17, v2, s[0:1]
	s_branch .LBB237_11
.LBB237_82:                             ;   in Loop: Header=BB237_13 Depth=1
	v_cmp_eq_u16_sdwa s[56:57], v2, s53 src0_sel:BYTE_0 src1_sel:DWORD
	s_mov_b64 s[0:1], -1
                                        ; implicit-def: $sgpr44
	s_and_saveexec_b64 s[42:43], s[56:57]
; %bb.83:                               ;   in Loop: Header=BB237_13 Depth=1
	s_mov_b32 s44, 0x7fc02000
	s_xor_b64 s[0:1], exec, -1
; %bb.84:                               ;   in Loop: Header=BB237_13 Depth=1
	s_or_b64 exec, exec, s[42:43]
	s_and_b64 s[0:1], s[0:1], exec
	s_or_saveexec_b64 s[40:41], s[40:41]
	v_mov_b32_e32 v27, s44
	s_xor_b64 exec, exec, s[40:41]
	s_cbranch_execz .LBB237_18
.LBB237_85:                             ;   in Loop: Header=BB237_13 Depth=1
	v_cmp_ne_u16_sdwa s[42:43], v2, v3 src0_sel:BYTE_0 src1_sel:DWORD
	s_andn2_b64 s[0:1], s[0:1], exec
	s_and_b64 s[42:43], s[42:43], exec
	v_mov_b32_e32 v27, 0
	s_or_b64 s[0:1], s[0:1], s[42:43]
	s_or_b64 exec, exec, s[40:41]
	v_and_b32_e32 v2, 0xffff, v2
	s_and_saveexec_b64 s[40:41], s[0:1]
	s_cbranch_execnz .LBB237_19
	s_branch .LBB237_20
.LBB237_86:                             ;   in Loop: Header=BB237_13 Depth=1
	v_cmp_eq_u16_e64 s[0:1], s53, v2
	s_mov_b64 s[40:41], -1
                                        ; implicit-def: $sgpr55
	s_and_saveexec_b64 s[44:45], s[0:1]
; %bb.87:                               ;   in Loop: Header=BB237_13 Depth=1
	s_mov_b32 s55, 0x7fc02000
	s_xor_b64 s[40:41], exec, -1
; %bb.88:                               ;   in Loop: Header=BB237_13 Depth=1
	s_or_b64 exec, exec, s[44:45]
	s_and_b64 s[40:41], s[40:41], exec
	s_or_saveexec_b64 s[42:43], s[42:43]
	v_mov_b32_e32 v28, s55
	s_xor_b64 exec, exec, s[42:43]
	s_cbranch_execz .LBB237_22
.LBB237_89:                             ;   in Loop: Header=BB237_13 Depth=1
	v_cmp_ne_u16_e64 s[0:1], 0, v2
	s_andn2_b64 s[40:41], s[40:41], exec
	s_and_b64 s[0:1], s[0:1], exec
	v_mov_b32_e32 v28, 0
	s_or_b64 s[40:41], s[40:41], s[0:1]
	s_or_b64 exec, exec, s[42:43]
	s_and_saveexec_b64 s[42:43], s[40:41]
	s_cbranch_execnz .LBB237_23
	s_branch .LBB237_24
.LBB237_90:                             ;   in Loop: Header=BB237_13 Depth=1
	v_cmp_eq_u16_sdwa s[56:57], v2, s53 src0_sel:BYTE_0 src1_sel:DWORD
	s_mov_b64 s[0:1], -1
                                        ; implicit-def: $sgpr44
	s_and_saveexec_b64 s[42:43], s[56:57]
; %bb.91:                               ;   in Loop: Header=BB237_13 Depth=1
	s_mov_b32 s44, 0x7fc02000
	s_xor_b64 s[0:1], exec, -1
; %bb.92:                               ;   in Loop: Header=BB237_13 Depth=1
	s_or_b64 exec, exec, s[42:43]
	s_and_b64 s[0:1], s[0:1], exec
	s_or_saveexec_b64 s[40:41], s[40:41]
	v_mov_b32_e32 v29, s44
	s_xor_b64 exec, exec, s[40:41]
	s_cbranch_execz .LBB237_26
.LBB237_93:                             ;   in Loop: Header=BB237_13 Depth=1
	v_cmp_ne_u16_sdwa s[42:43], v2, v3 src0_sel:BYTE_0 src1_sel:DWORD
	s_andn2_b64 s[0:1], s[0:1], exec
	s_and_b64 s[42:43], s[42:43], exec
	v_mov_b32_e32 v29, 0
	s_or_b64 s[0:1], s[0:1], s[42:43]
	s_or_b64 exec, exec, s[40:41]
	v_and_b32_e32 v2, 0xffff, v2
	s_and_saveexec_b64 s[40:41], s[0:1]
	s_cbranch_execnz .LBB237_27
	s_branch .LBB237_28
.LBB237_94:                             ;   in Loop: Header=BB237_13 Depth=1
	v_cmp_eq_u16_e64 s[0:1], s53, v2
	s_mov_b64 s[40:41], -1
                                        ; implicit-def: $sgpr55
	s_and_saveexec_b64 s[44:45], s[0:1]
; %bb.95:                               ;   in Loop: Header=BB237_13 Depth=1
	s_mov_b32 s55, 0x7fc02000
	s_xor_b64 s[40:41], exec, -1
; %bb.96:                               ;   in Loop: Header=BB237_13 Depth=1
	s_or_b64 exec, exec, s[44:45]
	s_and_b64 s[40:41], s[40:41], exec
	s_or_saveexec_b64 s[42:43], s[42:43]
	v_mov_b32_e32 v30, s55
	s_xor_b64 exec, exec, s[42:43]
	s_cbranch_execz .LBB237_30
.LBB237_97:                             ;   in Loop: Header=BB237_13 Depth=1
	v_cmp_ne_u16_e64 s[0:1], 0, v2
	s_andn2_b64 s[40:41], s[40:41], exec
	s_and_b64 s[0:1], s[0:1], exec
	v_mov_b32_e32 v30, 0
	s_or_b64 s[40:41], s[40:41], s[0:1]
	s_or_b64 exec, exec, s[42:43]
	s_and_saveexec_b64 s[42:43], s[40:41]
	s_cbranch_execnz .LBB237_31
	s_branch .LBB237_32
.LBB237_98:                             ;   in Loop: Header=BB237_13 Depth=1
	v_cmp_eq_u16_sdwa s[56:57], v2, s53 src0_sel:BYTE_0 src1_sel:DWORD
	s_mov_b64 s[0:1], -1
                                        ; implicit-def: $sgpr44
	s_and_saveexec_b64 s[42:43], s[56:57]
; %bb.99:                               ;   in Loop: Header=BB237_13 Depth=1
	s_mov_b32 s44, 0x7fc02000
	s_xor_b64 s[0:1], exec, -1
; %bb.100:                              ;   in Loop: Header=BB237_13 Depth=1
	s_or_b64 exec, exec, s[42:43]
	s_and_b64 s[0:1], s[0:1], exec
	s_or_saveexec_b64 s[40:41], s[40:41]
	v_mov_b32_e32 v31, s44
	s_xor_b64 exec, exec, s[40:41]
	s_cbranch_execz .LBB237_34
.LBB237_101:                            ;   in Loop: Header=BB237_13 Depth=1
	v_cmp_ne_u16_sdwa s[42:43], v2, v3 src0_sel:BYTE_0 src1_sel:DWORD
	s_andn2_b64 s[0:1], s[0:1], exec
	s_and_b64 s[42:43], s[42:43], exec
	v_mov_b32_e32 v31, 0
	s_or_b64 s[0:1], s[0:1], s[42:43]
	s_or_b64 exec, exec, s[40:41]
	v_and_b32_e32 v2, 0xffff, v2
	s_and_saveexec_b64 s[40:41], s[0:1]
	s_cbranch_execnz .LBB237_35
	s_branch .LBB237_36
.LBB237_102:                            ;   in Loop: Header=BB237_13 Depth=1
	v_cmp_eq_u16_e64 s[0:1], s53, v2
	s_mov_b64 s[40:41], -1
                                        ; implicit-def: $sgpr55
	s_and_saveexec_b64 s[44:45], s[0:1]
; %bb.103:                              ;   in Loop: Header=BB237_13 Depth=1
	s_mov_b32 s55, 0x7fc02000
	s_xor_b64 s[40:41], exec, -1
; %bb.104:                              ;   in Loop: Header=BB237_13 Depth=1
	s_or_b64 exec, exec, s[44:45]
	s_and_b64 s[40:41], s[40:41], exec
	s_or_saveexec_b64 s[42:43], s[42:43]
	v_mov_b32_e32 v32, s55
	s_xor_b64 exec, exec, s[42:43]
	s_cbranch_execz .LBB237_38
.LBB237_105:                            ;   in Loop: Header=BB237_13 Depth=1
	v_cmp_ne_u16_e64 s[0:1], 0, v2
	s_andn2_b64 s[40:41], s[40:41], exec
	s_and_b64 s[0:1], s[0:1], exec
	v_mov_b32_e32 v32, 0
	s_or_b64 s[40:41], s[40:41], s[0:1]
	s_or_b64 exec, exec, s[42:43]
	s_and_saveexec_b64 s[42:43], s[40:41]
	s_cbranch_execnz .LBB237_39
	s_branch .LBB237_40
.LBB237_106:                            ;   in Loop: Header=BB237_13 Depth=1
	v_cmp_eq_u16_sdwa s[56:57], v2, s53 src0_sel:BYTE_0 src1_sel:DWORD
	s_mov_b64 s[0:1], -1
                                        ; implicit-def: $sgpr44
	s_and_saveexec_b64 s[42:43], s[56:57]
; %bb.107:                              ;   in Loop: Header=BB237_13 Depth=1
	s_mov_b32 s44, 0x7fc02000
	s_xor_b64 s[0:1], exec, -1
; %bb.108:                              ;   in Loop: Header=BB237_13 Depth=1
	s_or_b64 exec, exec, s[42:43]
	s_and_b64 s[0:1], s[0:1], exec
	s_or_saveexec_b64 s[40:41], s[40:41]
	v_mov_b32_e32 v33, s44
	s_xor_b64 exec, exec, s[40:41]
	s_cbranch_execz .LBB237_42
.LBB237_109:                            ;   in Loop: Header=BB237_13 Depth=1
	v_cmp_ne_u16_sdwa s[42:43], v2, v3 src0_sel:BYTE_0 src1_sel:DWORD
	s_andn2_b64 s[0:1], s[0:1], exec
	s_and_b64 s[42:43], s[42:43], exec
	v_mov_b32_e32 v33, 0
	s_or_b64 s[0:1], s[0:1], s[42:43]
	s_or_b64 exec, exec, s[40:41]
	v_and_b32_e32 v2, 0xffff, v2
	s_and_saveexec_b64 s[40:41], s[0:1]
	s_cbranch_execnz .LBB237_43
	s_branch .LBB237_44
.LBB237_110:                            ;   in Loop: Header=BB237_13 Depth=1
	v_cmp_eq_u16_e64 s[0:1], s53, v2
	s_mov_b64 s[40:41], -1
                                        ; implicit-def: $sgpr55
	s_and_saveexec_b64 s[44:45], s[0:1]
; %bb.111:                              ;   in Loop: Header=BB237_13 Depth=1
	s_mov_b32 s55, 0x7fc02000
	s_xor_b64 s[40:41], exec, -1
; %bb.112:                              ;   in Loop: Header=BB237_13 Depth=1
	s_or_b64 exec, exec, s[44:45]
	s_and_b64 s[40:41], s[40:41], exec
	s_or_saveexec_b64 s[42:43], s[42:43]
	v_mov_b32_e32 v34, s55
	s_xor_b64 exec, exec, s[42:43]
	s_cbranch_execz .LBB237_46
.LBB237_113:                            ;   in Loop: Header=BB237_13 Depth=1
	v_cmp_ne_u16_e64 s[0:1], 0, v2
	s_andn2_b64 s[40:41], s[40:41], exec
	s_and_b64 s[0:1], s[0:1], exec
	v_mov_b32_e32 v34, 0
	s_or_b64 s[40:41], s[40:41], s[0:1]
	s_or_b64 exec, exec, s[42:43]
	s_and_saveexec_b64 s[42:43], s[40:41]
	s_cbranch_execnz .LBB237_47
	s_branch .LBB237_48
.LBB237_114:                            ;   in Loop: Header=BB237_13 Depth=1
	v_cmp_eq_u16_sdwa s[56:57], v2, s53 src0_sel:BYTE_0 src1_sel:DWORD
	s_mov_b64 s[0:1], -1
                                        ; implicit-def: $sgpr44
	s_and_saveexec_b64 s[42:43], s[56:57]
; %bb.115:                              ;   in Loop: Header=BB237_13 Depth=1
	s_mov_b32 s44, 0x7fc02000
	s_xor_b64 s[0:1], exec, -1
; %bb.116:                              ;   in Loop: Header=BB237_13 Depth=1
	s_or_b64 exec, exec, s[42:43]
	s_and_b64 s[0:1], s[0:1], exec
	s_or_saveexec_b64 s[40:41], s[40:41]
	v_mov_b32_e32 v35, s44
	s_xor_b64 exec, exec, s[40:41]
	s_cbranch_execz .LBB237_50
.LBB237_117:                            ;   in Loop: Header=BB237_13 Depth=1
	v_cmp_ne_u16_sdwa s[42:43], v2, v3 src0_sel:BYTE_0 src1_sel:DWORD
	s_andn2_b64 s[0:1], s[0:1], exec
	s_and_b64 s[42:43], s[42:43], exec
	v_mov_b32_e32 v35, 0
	s_or_b64 s[0:1], s[0:1], s[42:43]
	s_or_b64 exec, exec, s[40:41]
	v_and_b32_e32 v2, 0xffff, v2
	s_and_saveexec_b64 s[40:41], s[0:1]
	s_cbranch_execnz .LBB237_51
	s_branch .LBB237_52
.LBB237_118:                            ;   in Loop: Header=BB237_13 Depth=1
	v_cmp_eq_u16_e64 s[0:1], s53, v2
	s_mov_b64 s[40:41], -1
                                        ; implicit-def: $sgpr55
	s_and_saveexec_b64 s[44:45], s[0:1]
; %bb.119:                              ;   in Loop: Header=BB237_13 Depth=1
	s_mov_b32 s55, 0x7fc02000
	s_xor_b64 s[40:41], exec, -1
; %bb.120:                              ;   in Loop: Header=BB237_13 Depth=1
	s_or_b64 exec, exec, s[44:45]
	s_and_b64 s[40:41], s[40:41], exec
	s_or_saveexec_b64 s[42:43], s[42:43]
	v_mov_b32_e32 v36, s55
	s_xor_b64 exec, exec, s[42:43]
	s_cbranch_execz .LBB237_54
.LBB237_121:                            ;   in Loop: Header=BB237_13 Depth=1
	v_cmp_ne_u16_e64 s[0:1], 0, v2
	s_andn2_b64 s[40:41], s[40:41], exec
	s_and_b64 s[0:1], s[0:1], exec
	v_mov_b32_e32 v36, 0
	s_or_b64 s[40:41], s[40:41], s[0:1]
	s_or_b64 exec, exec, s[42:43]
	s_and_saveexec_b64 s[42:43], s[40:41]
	s_cbranch_execnz .LBB237_55
	s_branch .LBB237_56
.LBB237_122:                            ;   in Loop: Header=BB237_13 Depth=1
	v_cmp_eq_u16_sdwa s[56:57], v2, s53 src0_sel:BYTE_0 src1_sel:DWORD
	s_mov_b64 s[0:1], -1
                                        ; implicit-def: $sgpr44
	s_and_saveexec_b64 s[42:43], s[56:57]
; %bb.123:                              ;   in Loop: Header=BB237_13 Depth=1
	s_mov_b32 s44, 0x7fc02000
	s_xor_b64 s[0:1], exec, -1
; %bb.124:                              ;   in Loop: Header=BB237_13 Depth=1
	s_or_b64 exec, exec, s[42:43]
	s_and_b64 s[0:1], s[0:1], exec
	s_or_saveexec_b64 s[40:41], s[40:41]
	v_mov_b32_e32 v37, s44
	s_xor_b64 exec, exec, s[40:41]
	s_cbranch_execz .LBB237_58
.LBB237_125:                            ;   in Loop: Header=BB237_13 Depth=1
	v_cmp_ne_u16_sdwa s[42:43], v2, v3 src0_sel:BYTE_0 src1_sel:DWORD
	s_andn2_b64 s[0:1], s[0:1], exec
	s_and_b64 s[42:43], s[42:43], exec
	v_mov_b32_e32 v37, 0
	s_or_b64 s[0:1], s[0:1], s[42:43]
	s_or_b64 exec, exec, s[40:41]
	v_and_b32_e32 v2, 0xffff, v2
	s_and_saveexec_b64 s[40:41], s[0:1]
	s_cbranch_execnz .LBB237_59
	s_branch .LBB237_60
.LBB237_126:                            ;   in Loop: Header=BB237_13 Depth=1
	v_cmp_eq_u16_e64 s[0:1], s53, v2
	s_mov_b64 s[40:41], -1
                                        ; implicit-def: $sgpr55
	s_and_saveexec_b64 s[44:45], s[0:1]
; %bb.127:                              ;   in Loop: Header=BB237_13 Depth=1
	s_mov_b32 s55, 0x7fc02000
	s_xor_b64 s[40:41], exec, -1
; %bb.128:                              ;   in Loop: Header=BB237_13 Depth=1
	s_or_b64 exec, exec, s[44:45]
	s_and_b64 s[40:41], s[40:41], exec
	s_or_saveexec_b64 s[42:43], s[42:43]
	v_mov_b32_e32 v38, s55
	s_xor_b64 exec, exec, s[42:43]
	s_cbranch_execz .LBB237_62
.LBB237_129:                            ;   in Loop: Header=BB237_13 Depth=1
	v_cmp_ne_u16_e64 s[0:1], 0, v2
	s_andn2_b64 s[40:41], s[40:41], exec
	s_and_b64 s[0:1], s[0:1], exec
	v_mov_b32_e32 v38, 0
	s_or_b64 s[40:41], s[40:41], s[0:1]
	s_or_b64 exec, exec, s[42:43]
	s_and_saveexec_b64 s[42:43], s[40:41]
	s_cbranch_execnz .LBB237_63
	s_branch .LBB237_64
.LBB237_130:                            ;   in Loop: Header=BB237_13 Depth=1
	v_cmp_eq_u16_sdwa s[56:57], v2, s53 src0_sel:BYTE_0 src1_sel:DWORD
	s_mov_b64 s[0:1], -1
                                        ; implicit-def: $sgpr44
	s_and_saveexec_b64 s[42:43], s[56:57]
; %bb.131:                              ;   in Loop: Header=BB237_13 Depth=1
	s_mov_b32 s44, 0x7fc02000
	s_xor_b64 s[0:1], exec, -1
; %bb.132:                              ;   in Loop: Header=BB237_13 Depth=1
	s_or_b64 exec, exec, s[42:43]
	s_and_b64 s[0:1], s[0:1], exec
	s_or_saveexec_b64 s[40:41], s[40:41]
	v_mov_b32_e32 v39, s44
	s_xor_b64 exec, exec, s[40:41]
	s_cbranch_execz .LBB237_66
.LBB237_133:                            ;   in Loop: Header=BB237_13 Depth=1
	v_cmp_ne_u16_sdwa s[42:43], v2, v3 src0_sel:BYTE_0 src1_sel:DWORD
	s_andn2_b64 s[0:1], s[0:1], exec
	s_and_b64 s[42:43], s[42:43], exec
	v_mov_b32_e32 v39, 0
	s_or_b64 s[0:1], s[0:1], s[42:43]
	s_or_b64 exec, exec, s[40:41]
	v_and_b32_e32 v2, 0xffff, v2
	s_and_saveexec_b64 s[40:41], s[0:1]
	s_cbranch_execnz .LBB237_67
	s_branch .LBB237_68
.LBB237_134:                            ;   in Loop: Header=BB237_13 Depth=1
	v_cmp_eq_u16_e64 s[0:1], s53, v2
	s_mov_b64 s[40:41], -1
                                        ; implicit-def: $sgpr55
	s_and_saveexec_b64 s[44:45], s[0:1]
; %bb.135:                              ;   in Loop: Header=BB237_13 Depth=1
	s_mov_b32 s55, 0x7fc02000
	s_xor_b64 s[40:41], exec, -1
; %bb.136:                              ;   in Loop: Header=BB237_13 Depth=1
	s_or_b64 exec, exec, s[44:45]
	s_and_b64 s[40:41], s[40:41], exec
	s_or_saveexec_b64 s[42:43], s[42:43]
	v_mov_b32_e32 v40, s55
	s_xor_b64 exec, exec, s[42:43]
	s_cbranch_execz .LBB237_70
.LBB237_137:                            ;   in Loop: Header=BB237_13 Depth=1
	v_cmp_ne_u16_e64 s[0:1], 0, v2
	s_andn2_b64 s[40:41], s[40:41], exec
	s_and_b64 s[0:1], s[0:1], exec
	v_mov_b32_e32 v40, 0
	s_or_b64 s[40:41], s[40:41], s[0:1]
	s_or_b64 exec, exec, s[42:43]
	s_and_saveexec_b64 s[42:43], s[40:41]
	s_cbranch_execnz .LBB237_71
	s_branch .LBB237_72
.LBB237_138:                            ;   in Loop: Header=BB237_13 Depth=1
	v_cmp_eq_u16_sdwa s[56:57], v2, s53 src0_sel:BYTE_0 src1_sel:DWORD
	s_mov_b64 s[0:1], -1
                                        ; implicit-def: $sgpr44
	s_and_saveexec_b64 s[42:43], s[56:57]
; %bb.139:                              ;   in Loop: Header=BB237_13 Depth=1
	s_mov_b32 s44, 0x7fc02000
	s_xor_b64 s[0:1], exec, -1
; %bb.140:                              ;   in Loop: Header=BB237_13 Depth=1
	s_or_b64 exec, exec, s[42:43]
	s_and_b64 s[0:1], s[0:1], exec
	s_or_saveexec_b64 s[40:41], s[40:41]
	v_mov_b32_e32 v10, s44
	s_xor_b64 exec, exec, s[40:41]
	s_cbranch_execz .LBB237_74
.LBB237_141:                            ;   in Loop: Header=BB237_13 Depth=1
	v_cmp_ne_u16_sdwa s[42:43], v2, v3 src0_sel:BYTE_0 src1_sel:DWORD
	s_andn2_b64 s[0:1], s[0:1], exec
	s_and_b64 s[42:43], s[42:43], exec
	v_mov_b32_e32 v10, 0
	s_or_b64 s[0:1], s[0:1], s[42:43]
	s_or_b64 exec, exec, s[40:41]
	v_and_b32_e32 v2, 0xffff, v2
	s_and_saveexec_b64 s[40:41], s[0:1]
	s_cbranch_execnz .LBB237_75
	s_branch .LBB237_76
.LBB237_142:                            ;   in Loop: Header=BB237_13 Depth=1
	v_cmp_eq_u16_e64 s[0:1], s53, v2
	s_mov_b64 s[40:41], -1
                                        ; implicit-def: $sgpr55
	s_and_saveexec_b64 s[44:45], s[0:1]
; %bb.143:                              ;   in Loop: Header=BB237_13 Depth=1
	s_mov_b32 s55, 0x7fc02000
	s_xor_b64 s[40:41], exec, -1
; %bb.144:                              ;   in Loop: Header=BB237_13 Depth=1
	s_or_b64 exec, exec, s[44:45]
	s_and_b64 s[40:41], s[40:41], exec
	s_or_saveexec_b64 s[42:43], s[42:43]
	v_mov_b32_e32 v11, s55
	s_xor_b64 exec, exec, s[42:43]
	s_cbranch_execz .LBB237_78
.LBB237_145:                            ;   in Loop: Header=BB237_13 Depth=1
	v_cmp_ne_u16_e64 s[0:1], 0, v2
	s_andn2_b64 s[40:41], s[40:41], exec
	s_and_b64 s[0:1], s[0:1], exec
	v_mov_b32_e32 v11, 0
	s_or_b64 s[40:41], s[40:41], s[0:1]
	s_or_b64 exec, exec, s[42:43]
	s_and_saveexec_b64 s[42:43], s[40:41]
	s_cbranch_execnz .LBB237_79
	s_branch .LBB237_80
.LBB237_146:
	s_or_b64 exec, exec, s[38:39]
.LBB237_147:
	s_or_b64 exec, exec, s[18:19]
	v_mbcnt_hi_u32_b32 v2, -1, v14
	v_and_b32_e32 v3, 64, v2
	v_add_u32_e32 v3, 64, v3
	v_xor_b32_e32 v4, 32, v2
	v_cmp_lt_i32_e32 vcc, v4, v3
	v_xor_b32_e32 v7, 16, v2
	v_max_f32_e32 v6, v17, v17
	v_cndmask_b32_e32 v4, v2, v4, vcc
	v_lshlrev_b32_e32 v4, 2, v4
	ds_bpermute_b32 v5, v4, v17
	v_cmp_lt_i32_e32 vcc, v7, v3
	v_xor_b32_e32 v8, 8, v2
	v_xor_b32_e32 v9, 4, v2
	v_and_b32_e32 v20, 63, v0
	s_waitcnt lgkmcnt(0)
	v_max_f32_e32 v5, v5, v5
	v_max_f32_e32 v6, v6, v5
	v_cndmask_b32_e32 v5, v2, v7, vcc
	v_lshlrev_b32_e32 v5, 2, v5
	ds_bpermute_b32 v7, v5, v6
	v_cmp_lt_i32_e32 vcc, v8, v3
	s_waitcnt lgkmcnt(0)
	v_max_f32_e32 v7, v7, v7
	v_max_f32_e32 v6, v6, v7
	v_cndmask_b32_e32 v7, v2, v8, vcc
	v_lshlrev_b32_e32 v8, 2, v7
	ds_bpermute_b32 v7, v8, v6
	v_cmp_lt_i32_e32 vcc, v9, v3
	s_waitcnt lgkmcnt(0)
	v_max_f32_e32 v7, v7, v7
	v_max_f32_e32 v7, v6, v7
	v_cndmask_b32_e32 v6, v2, v9, vcc
	v_lshlrev_b32_e32 v9, 2, v6
	ds_bpermute_b32 v10, v9, v7
	v_cmp_eq_u32_e32 vcc, 0, v20
	v_lshlrev_b32_e32 v6, 2, v1
	s_and_saveexec_b64 s[0:1], vcc
	s_cbranch_execz .LBB237_149
; %bb.148:
	s_waitcnt lgkmcnt(0)
	v_max_f32_e32 v10, v10, v10
	v_max_f32_e32 v7, v7, v7
	v_max_f32_e32 v7, v7, v10
	ds_write_b32 v6, v7 offset:128
.LBB237_149:
	s_or_b64 exec, exec, s[0:1]
	v_cmp_gt_u32_e64 s[0:1], 2, v20
	s_waitcnt lgkmcnt(0)
	v_mov_b32_e32 v10, 0xff7fffff
	v_lshlrev_b32_e32 v7, 2, v20
	s_barrier
	s_and_saveexec_b64 s[2:3], s[0:1]
	s_cbranch_execz .LBB237_151
; %bb.150:
	ds_read_b32 v10, v7 offset:128
.LBB237_151:
	s_or_b64 exec, exec, s[2:3]
	v_xor_b32_e32 v11, 1, v2
	v_cmp_lt_i32_e64 s[2:3], v11, v3
	v_lshlrev_b32_e32 v14, 2, v2
	s_nop 0
	v_cndmask_b32_e64 v11, v2, v11, s[2:3]
	v_lshlrev_b32_e32 v21, 2, v11
	s_waitcnt lgkmcnt(0)
	ds_bpermute_b32 v11, v21, v10
	v_max_f32_e32 v10, v10, v10
	s_lshl_b32 s2, s46, 4
	s_min_i32 s37, s2, s11
	v_cmp_gt_i32_e64 s[2:3], s37, v0
	s_waitcnt lgkmcnt(0)
	v_max_f32_e32 v11, v11, v11
	v_max_f32_e32 v11, v10, v11
	v_and_b32_e32 v10, 0x100, v14
	ds_bpermute_b32 v14, v10, v11
	v_mov_b32_e32 v11, 0
	s_and_saveexec_b64 s[12:13], s[2:3]
	s_cbranch_execz .LBB237_155
; %bb.152:
	v_mov_b32_e32 v11, 0x90
	v_lshl_add_u32 v15, v0, 2, v11
	s_mov_b64 s[18:19], 0
	v_mov_b32_e32 v11, 0
	v_mov_b32_e32 v16, v0
.LBB237_153:                            ; =>This Inner Loop Header: Depth=1
	ds_read_b32 v17, v15
	v_add_u32_e32 v16, 0x80, v16
	v_cmp_le_i32_e64 s[8:9], s37, v16
	s_or_b64 s[18:19], s[8:9], s[18:19]
	s_waitcnt lgkmcnt(0)
	v_sub_f32_e32 v17, v17, v14
	v_mul_f32_e32 v17, 0x3fb8aa3b, v17
	v_exp_f32_e32 v17, v17
	ds_write_b32 v15, v17
	v_add_f32_e32 v11, v11, v17
	v_add_u32_e32 v15, 0x200, v15
	s_andn2_b64 exec, exec, s[18:19]
	s_cbranch_execnz .LBB237_153
; %bb.154:
	s_or_b64 exec, exec, s[18:19]
.LBB237_155:
	s_or_b64 exec, exec, s[12:13]
	ds_bpermute_b32 v4, v4, v11
	s_waitcnt lgkmcnt(0)
	v_add_f32_e32 v4, v11, v4
	ds_bpermute_b32 v5, v5, v4
	s_waitcnt lgkmcnt(0)
	v_add_f32_e32 v4, v4, v5
	ds_bpermute_b32 v5, v8, v4
	v_xor_b32_e32 v8, 2, v2
	v_cmp_lt_i32_e64 s[8:9], v8, v3
	s_waitcnt lgkmcnt(0)
	v_add_f32_e32 v4, v4, v5
	ds_bpermute_b32 v5, v9, v4
	v_cndmask_b32_e64 v2, v2, v8, s[8:9]
	v_lshlrev_b32_e32 v2, 2, v2
	s_waitcnt lgkmcnt(0)
	v_add_f32_e32 v3, v4, v5
	ds_bpermute_b32 v2, v2, v3
	s_waitcnt lgkmcnt(0)
	v_add_f32_e32 v2, v3, v2
	ds_bpermute_b32 v3, v21, v2
	s_waitcnt lgkmcnt(0)
	v_add_f32_e32 v2, v2, v3
	s_and_saveexec_b64 s[8:9], vcc
	s_cbranch_execz .LBB237_157
; %bb.156:
	ds_write_b32 v6, v2 offset:136
.LBB237_157:
	s_or_b64 exec, exec, s[8:9]
	s_waitcnt lgkmcnt(0)
	s_barrier
	s_and_saveexec_b64 s[8:9], s[0:1]
	s_cbranch_execz .LBB237_159
; %bb.158:
	ds_read_b32 v2, v7 offset:136
.LBB237_159:
	s_or_b64 exec, exec, s[8:9]
	s_waitcnt lgkmcnt(0)
	ds_bpermute_b32 v3, v21, v2
	s_waitcnt lgkmcnt(0)
	v_add_f32_e32 v2, v2, v3
	ds_bpermute_b32 v2, v10, v2
	s_and_saveexec_b64 s[0:1], s[2:3]
	s_cbranch_execz .LBB237_172
; %bb.160:
	s_waitcnt lgkmcnt(0)
	v_add_f32_e32 v2, 0x358637bd, v2
	v_div_scale_f32 v3, s[2:3], v2, v2, 1.0
	v_rcp_f32_e32 v4, v3
	v_div_scale_f32 v5, vcc, 1.0, v2, 1.0
	s_movk_i32 s2, 0x7f
	v_fma_f32 v6, -v3, v4, 1.0
	v_fmac_f32_e32 v4, v6, v4
	v_mul_f32_e32 v6, v5, v4
	v_fma_f32 v7, -v3, v6, v5
	v_fmac_f32_e32 v6, v7, v4
	v_fma_f32 v3, -v3, v6, v5
	v_div_fmas_f32 v3, v3, v4, v6
	v_xad_u32 v4, v0, -1, s37
	v_div_fixup_f32 v2, v3, v2, 1.0
	v_cmp_lt_u32_e32 vcc, s2, v4
	s_mov_b64 s[8:9], -1
	v_mov_b32_e32 v3, v0
	s_and_saveexec_b64 s[2:3], vcc
	s_cbranch_execz .LBB237_169
; %bb.161:
	v_lshrrev_b32_e32 v4, 7, v4
	v_add_u32_e32 v6, -1, v4
	v_lshrrev_b32_e32 v5, 1, v6
	v_mov_b32_e32 v3, v2
	v_add_u32_e32 v5, 1, v5
	v_cmp_lt_u32_e32 vcc, 13, v6
	v_mov_b32_e32 v8, 0
	s_and_saveexec_b64 s[8:9], vcc
	s_cbranch_execz .LBB237_165
; %bb.162:
	v_mov_b32_e32 v7, 0x90
	v_and_b32_e32 v6, -8, v5
	v_lshl_add_u32 v7, v0, 2, v7
	s_mov_b32 s18, 0
	s_mov_b64 s[12:13], 0
.LBB237_163:                            ; =>This Inner Loop Header: Depth=1
	ds_read2st64_b32 v[8:9], v7 offset1:2
	ds_read2st64_b32 v[10:11], v7 offset0:4 offset1:6
	ds_read2st64_b32 v[14:15], v7 offset0:8 offset1:10
	;; [unrolled: 1-line block ×3, first 2 shown]
	v_add_u32_e32 v6, -8, v6
	s_waitcnt lgkmcnt(3)
	v_pk_mul_f32 v[8:9], v[2:3], v[8:9]
	s_waitcnt lgkmcnt(2)
	v_pk_mul_f32 v[10:11], v[2:3], v[10:11]
	ds_write2st64_b32 v7, v8, v9 offset1:2
	ds_write2st64_b32 v7, v10, v11 offset0:4 offset1:6
	ds_read2st64_b32 v[10:11], v7 offset0:16 offset1:18
	s_waitcnt lgkmcnt(4)
	v_pk_mul_f32 v[8:9], v[2:3], v[14:15]
	ds_write2st64_b32 v7, v8, v9 offset0:8 offset1:10
	s_waitcnt lgkmcnt(4)
	v_pk_mul_f32 v[8:9], v[2:3], v[16:17]
	ds_write2st64_b32 v7, v8, v9 offset0:12 offset1:14
	ds_read2st64_b32 v[8:9], v7 offset0:20 offset1:22
	s_waitcnt lgkmcnt(3)
	v_pk_mul_f32 v[10:11], v[2:3], v[10:11]
	ds_read2st64_b32 v[14:15], v7 offset0:24 offset1:26
	ds_write2st64_b32 v7, v10, v11 offset0:16 offset1:18
	ds_read2st64_b32 v[10:11], v7 offset0:28 offset1:30
	s_waitcnt lgkmcnt(3)
	v_pk_mul_f32 v[8:9], v[2:3], v[8:9]
	ds_write2st64_b32 v7, v8, v9 offset0:20 offset1:22
	s_waitcnt lgkmcnt(3)
	v_pk_mul_f32 v[8:9], v[2:3], v[14:15]
	ds_write2st64_b32 v7, v8, v9 offset0:24 offset1:26
	s_waitcnt lgkmcnt(2)
	v_pk_mul_f32 v[8:9], v[2:3], v[10:11]
	s_add_i32 s18, s18, 16
	v_cmp_eq_u32_e32 vcc, 0, v6
	ds_write2st64_b32 v7, v8, v9 offset0:28 offset1:30
	v_add_u32_e32 v7, 0x2000, v7
	s_or_b64 s[12:13], vcc, s[12:13]
	v_mov_b32_e32 v8, s18
	s_andn2_b64 exec, exec, s[12:13]
	s_cbranch_execnz .LBB237_163
; %bb.164:
	s_or_b64 exec, exec, s[12:13]
.LBB237_165:
	s_or_b64 exec, exec, s[8:9]
	v_and_b32_e32 v5, 7, v5
	v_cmp_ne_u32_e32 vcc, 0, v5
	s_and_saveexec_b64 s[8:9], vcc
	s_cbranch_execz .LBB237_168
; %bb.166:
	v_lshlrev_b32_e32 v6, 9, v8
	v_lshlrev_b32_e32 v7, 2, v0
	s_movk_i32 s12, 0x90
	v_add3_u32 v6, v6, v7, s12
	s_mov_b64 s[12:13], 0
.LBB237_167:                            ; =>This Inner Loop Header: Depth=1
	ds_read2st64_b32 v[8:9], v6 offset1:2
	v_add_u32_e32 v5, -1, v5
	v_cmp_eq_u32_e32 vcc, 0, v5
	s_or_b64 s[12:13], vcc, s[12:13]
	s_waitcnt lgkmcnt(0)
	v_pk_mul_f32 v[8:9], v[2:3], v[8:9]
	ds_write2st64_b32 v6, v8, v9 offset1:2
	v_add_u32_e32 v6, 0x400, v6
	s_andn2_b64 exec, exec, s[12:13]
	s_cbranch_execnz .LBB237_167
.LBB237_168:
	s_or_b64 exec, exec, s[8:9]
	v_add_u32_e32 v4, 1, v4
	v_and_b32_e32 v5, 0x3fffffe, v4
	v_cmp_ne_u32_e32 vcc, v4, v5
	v_lshl_add_u32 v3, v5, 7, v0
	s_orn2_b64 s[8:9], vcc, exec
.LBB237_169:
	s_or_b64 exec, exec, s[2:3]
	s_and_b64 exec, exec, s[8:9]
	s_cbranch_execz .LBB237_172
; %bb.170:
	v_mov_b32_e32 v4, 0x90
	v_lshl_add_u32 v4, v3, 2, v4
	s_mov_b64 s[2:3], 0
.LBB237_171:                            ; =>This Inner Loop Header: Depth=1
	ds_read_b32 v5, v4
	v_add_u32_e32 v3, 0x80, v3
	v_cmp_le_i32_e32 vcc, s37, v3
	s_or_b64 s[2:3], vcc, s[2:3]
	s_waitcnt lgkmcnt(0)
	v_mul_f32_e32 v5, v2, v5
	ds_write_b32 v4, v5
	v_add_u32_e32 v4, 0x200, v4
	s_andn2_b64 exec, exec, s[2:3]
	s_cbranch_execnz .LBB237_171
.LBB237_172:
	s_or_b64 exec, exec, s[0:1]
	v_mov_b32_e32 v5, 0
	v_and_b32_e32 v22, 1, v0
	v_mov_b32_e32 v4, 0
	s_waitcnt lgkmcnt(0)
	s_barrier
	s_and_saveexec_b64 s[2:3], s[6:7]
	s_cbranch_execz .LBB237_310
; %bb.173:
	s_sub_i32 s21, s16, s21
	s_ashr_i32 s1, s47, 31
	s_add_u32 s0, s34, s47
	s_addc_u32 s1, s35, s1
	s_abs_i32 s22, s22
	v_cvt_f32_u32_e32 v2, s22
	v_lshlrev_b32_e32 v3, 3, v0
	v_and_b32_e32 v23, 8, v3
	s_add_i32 s35, s46, -1
	v_rcp_iflag_f32_e32 v4, v2
	v_and_b32_e32 v2, 0x1f8, v3
	s_sub_i32 s6, 0, s22
	s_mov_b32 s34, s17
	v_mul_f32_e32 v3, 0x4f7ffffe, v4
	v_cvt_u32_f32_e32 v4, v3
	v_mov_b32_e32 v3, 0
	v_lshl_add_u64 v[6:7], s[0:1], 0, v[2:3]
	s_lshl_b64 s[0:1], s[30:31], 2
	s_add_u32 s0, s28, s0
	v_and_b32_e32 v2, 60, v12
	s_addc_u32 s1, s29, s1
	v_mul_lo_u32 v5, s6, v4
	v_lshl_add_u64 v[8:9], s[0:1], 0, v[2:3]
	v_lshlrev_b32_e32 v2, 5, v22
	v_mul_hi_u32 v5, v4, v5
	v_lshl_or_b32 v2, v1, 6, v2
	s_mov_b32 s37, s11
	v_add_u32_e32 v24, v4, v5
	v_add_u32_e32 v25, 0x90, v2
	s_mov_b64 s[6:7], 0
	s_movk_i32 s28, 0x7f
	s_movk_i32 s29, 0x80
	s_mov_b32 s30, 0x8000
	s_movk_i32 s31, 0x380
	s_mov_b32 s38, 0x3020706
	s_mov_b32 s39, 0x1000504
	;; [unrolled: 1-line block ×3, first 2 shown]
	v_mov_b32_e32 v26, 0x1c00
	v_mov_b32_e32 v4, 0
	v_mov_b32_e32 v5, 0
	s_branch .LBB237_176
.LBB237_174:                            ;   in Loop: Header=BB237_176 Depth=1
	s_or_b64 exec, exec, s[0:1]
	;;#ASMSTART
	v_pk_mul_f16 v11, v36, v11;

	;;#ASMEND
	;;#ASMSTART
	v_pk_mul_f16 v2, v35, v2;

	;;#ASMEND
	;; [unrolled: 4-line block ×4, first 2 shown]
	v_add_f32_e32 v14, v37, v38
	;;#ASMSTART
	v_pk_add_f16 v2, v11, v2;

	;;#ASMEND
	v_add_f32_e32 v4, v4, v14
	;;#ASMSTART
	v_pk_add_f16 v2, v2, v10;

	;;#ASMEND
	s_nop 0
	;;#ASMSTART
	v_pk_add_f16 v2, v2, v12;

	;;#ASMEND
	s_nop 0
	v_lshrrev_b32_e32 v10, 16, v2
	v_and_b32_e32 v2, 0xffff, v2
	;;#ASMSTART
	v_cvt_f32_f16 v2, v2;
	;;#ASMEND
	;;#ASMSTART
	v_cvt_f32_f16 v10, v10;
	;;#ASMEND
	s_nop 0
	v_add_f32_e32 v2, v2, v10
	v_add_f32_e32 v5, v5, v2
.LBB237_175:                            ;   in Loop: Header=BB237_176 Depth=1
	s_or_b64 exec, exec, s[8:9]
	v_add_u32_e32 v1, 2, v1
	v_cmp_le_i32_e32 vcc, s46, v1
	v_lshl_add_u64 v[8:9], v[8:9], 0, 8
	v_add_u32_e32 v13, 32, v13
	s_or_b64 s[6:7], vcc, s[6:7]
	v_add_u32_e32 v25, 0x80, v25
	s_andn2_b64 exec, exec, s[6:7]
	s_cbranch_execz .LBB237_309
.LBB237_176:                            ; =>This Inner Loop Header: Depth=1
	v_mul_hi_u32 v2, v13, s33
	v_mul_lo_u32 v10, v2, s25
	v_sub_u32_e32 v10, v13, v10
	v_add_u32_e32 v11, 1, v2
	v_cmp_le_u32_e32 vcc, s25, v10
	s_nop 1
	v_cndmask_b32_e32 v2, v2, v11, vcc
	v_subrev_u32_e32 v11, s25, v10
	v_cndmask_b32_e32 v10, v10, v11, vcc
	v_add_u32_e32 v11, 1, v2
	v_cmp_le_u32_e32 vcc, s25, v10
	s_nop 1
	v_cndmask_b32_e32 v2, v2, v11, vcc
	v_xor_b32_e32 v2, s23, v2
	v_subrev_u32_e32 v2, s23, v2
	v_add_u32_e32 v10, s36, v2
	v_sub_u32_e32 v12, 0, v10
	v_ashrrev_i32_e32 v11, 31, v10
	v_max_i32_e32 v10, v10, v12
	v_mul_hi_u32 v12, v10, v24
	v_mul_lo_u32 v12, v12, s22
	v_sub_u32_e32 v10, v10, v12
	v_subrev_u32_e32 v12, s22, v10
	v_cmp_le_u32_e32 vcc, s22, v10
	v_cmp_lt_i32_e64 s[0:1], s21, v2
	s_nop 0
	v_cndmask_b32_e32 v10, v10, v12, vcc
	v_subrev_u32_e32 v12, s22, v10
	v_cmp_le_u32_e32 vcc, s22, v10
	s_nop 1
	v_cndmask_b32_e32 v10, v10, v12, vcc
	v_xor_b32_e32 v10, v10, v11
	v_sub_u32_e32 v10, v10, v11
	v_cmp_eq_u32_e32 vcc, 0, v10
	s_or_b64 s[0:1], vcc, s[0:1]
	s_and_saveexec_b64 s[8:9], s[0:1]
	s_cbranch_execz .LBB237_175
; %bb.177:                              ;   in Loop: Header=BB237_176 Depth=1
	ds_read2_b64 v[14:17], v25 offset1:1
	ds_read2_b64 v[28:31], v25 offset0:2 offset1:3
                                        ; implicit-def: $sgpr18
	s_waitcnt lgkmcnt(1)
	;;#ASMSTART
	v_cvt_f16_f32 v33, v14;

	;;#ASMEND
	;;#ASMSTART
	v_cvt_f16_f32 v34, v15;

	;;#ASMEND
	;; [unrolled: 4-line block ×4, first 2 shown]
	s_waitcnt lgkmcnt(0)
	;;#ASMSTART
	v_cvt_f16_f32 v38, v28;

	;;#ASMEND
	;;#ASMSTART
	v_cvt_f16_f32 v39, v29;

	;;#ASMEND
	;;#ASMSTART
	v_cvt_f16_f32 v40, v30;

	;;#ASMEND
	;;#ASMSTART
	v_cvt_f16_f32 v41, v31;

	;;#ASMEND
	global_load_dword v2, v[8:9], off
	s_waitcnt vmcnt(0)
	v_mad_i64_i32 v[10:11], s[0:1], v2, s34, v[6:7]
	global_load_dwordx2 v[14:15], v[10:11], off
	global_load_dword v12, v3, s[14:15]
	s_mov_b64 s[0:1], 0
	s_waitcnt vmcnt(1)
	v_cmp_gt_i16_sdwa s[12:13], v14, s28 src0_sel:BYTE_0 src1_sel:DWORD
	s_and_saveexec_b64 s[16:17], s[12:13]
	s_xor_b64 s[12:13], exec, s[16:17]
	s_cbranch_execnz .LBB237_245
; %bb.178:                              ;   in Loop: Header=BB237_176 Depth=1
	s_or_saveexec_b64 s[12:13], s[12:13]
	v_mov_b32_e32 v16, s18
	s_xor_b64 exec, exec, s[12:13]
	s_cbranch_execnz .LBB237_248
.LBB237_179:                            ;   in Loop: Header=BB237_176 Depth=1
	s_or_b64 exec, exec, s[12:13]
	s_and_saveexec_b64 s[12:13], s[0:1]
	s_cbranch_execz .LBB237_181
.LBB237_180:                            ;   in Loop: Header=BB237_176 Depth=1
	v_and_b32_e32 v2, 7, v14
	v_ffbh_u32_e32 v2, v2
	v_bfe_u32 v16, v14, 3, 4
	v_min_u32_e32 v2, 32, v2
	v_subrev_u32_e32 v17, 28, v2
	v_sub_u32_e32 v2, 29, v2
	v_cmp_eq_u32_e32 vcc, 0, v16
	s_nop 1
	v_cndmask_b32_e32 v2, v16, v2, vcc
	v_cndmask_b32_e32 v16, 0, v17, vcc
	v_lshlrev_b64 v[16:17], v16, v[14:15]
	v_lshlrev_b32_e32 v17, 8, v14
	v_lshl_add_u32 v2, v2, 10, v26
	v_lshlrev_b32_e32 v16, 7, v16
	v_and_or_b32 v2, v17, s30, v2
	v_and_or_b32 v2, v16, s31, v2
	v_cvt_f32_f16_e32 v16, v2
.LBB237_181:                            ;   in Loop: Header=BB237_176 Depth=1
	s_or_b64 exec, exec, s[12:13]
	v_lshrrev_b16_e32 v2, 8, v14
	v_cmp_lt_i16_e32 vcc, s28, v2
	s_mov_b64 s[0:1], 0
                                        ; implicit-def: $sgpr18
	s_and_saveexec_b64 s[12:13], vcc
	s_xor_b64 s[12:13], exec, s[12:13]
	s_cbranch_execnz .LBB237_249
; %bb.182:                              ;   in Loop: Header=BB237_176 Depth=1
	s_or_saveexec_b64 s[12:13], s[12:13]
	v_mov_b32_e32 v18, s18
	s_xor_b64 exec, exec, s[12:13]
	s_cbranch_execnz .LBB237_252
.LBB237_183:                            ;   in Loop: Header=BB237_176 Depth=1
	s_or_b64 exec, exec, s[12:13]
	s_and_saveexec_b64 s[12:13], s[0:1]
	s_cbranch_execz .LBB237_185
.LBB237_184:                            ;   in Loop: Header=BB237_176 Depth=1
	v_and_b32_e32 v17, 7, v2
	v_ffbh_u32_e32 v18, v17
	v_min_u32_e32 v28, 32, v18
	v_subrev_u32_e32 v18, 28, v28
	v_bfe_u32 v27, v2, 3, 4
	v_lshlrev_b64 v[18:19], v18, v[2:3]
	v_sub_u32_e32 v19, 29, v28
	v_cmp_eq_u32_e32 vcc, 0, v27
	v_and_b32_e32 v18, 7, v18
	v_lshlrev_b32_e32 v2, 8, v2
	v_cndmask_b32_e32 v19, v27, v19, vcc
	v_cndmask_b32_e32 v17, v17, v18, vcc
	v_lshl_add_u32 v18, v19, 10, v26
	v_and_or_b32 v2, v2, s30, v18
	v_lshl_or_b32 v2, v17, 7, v2
	v_cvt_f32_f16_e32 v18, v2
.LBB237_185:                            ;   in Loop: Header=BB237_176 Depth=1
	s_or_b64 exec, exec, s[12:13]
	v_lshrrev_b32_e32 v2, 16, v14
	v_cmp_gt_i16_sdwa s[12:13], v2, s28 src0_sel:BYTE_0 src1_sel:DWORD
	s_mov_b64 s[0:1], 0
                                        ; implicit-def: $sgpr18
	s_and_saveexec_b64 s[16:17], s[12:13]
	s_xor_b64 s[12:13], exec, s[16:17]
	s_cbranch_execnz .LBB237_253
; %bb.186:                              ;   in Loop: Header=BB237_176 Depth=1
	s_or_saveexec_b64 s[12:13], s[12:13]
	v_mov_b32_e32 v17, s18
	s_xor_b64 exec, exec, s[12:13]
	s_cbranch_execnz .LBB237_256
.LBB237_187:                            ;   in Loop: Header=BB237_176 Depth=1
	s_or_b64 exec, exec, s[12:13]
	s_and_saveexec_b64 s[12:13], s[0:1]
	s_cbranch_execz .LBB237_189
.LBB237_188:                            ;   in Loop: Header=BB237_176 Depth=1
	v_bfe_u32 v17, v14, 16, 3
	v_ffbh_u32_e32 v27, v17
	v_bfe_u32 v19, v14, 19, 4
	v_min_u32_e32 v27, 32, v27
	v_subrev_u32_e32 v28, 28, v27
	v_sub_u32_e32 v27, 29, v27
	v_cmp_eq_u32_e32 vcc, 0, v19
	v_lshlrev_b64 v[28:29], v28, v[2:3]
	v_and_b32_e32 v28, 7, v28
	v_cndmask_b32_e32 v19, v19, v27, vcc
	v_lshlrev_b32_e32 v2, 8, v2
	v_lshl_add_u32 v19, v19, 10, v26
	v_cndmask_b32_e32 v17, v17, v28, vcc
	v_and_or_b32 v2, v2, s30, v19
	v_lshl_or_b32 v2, v17, 7, v2
	v_cvt_f32_f16_e32 v17, v2
.LBB237_189:                            ;   in Loop: Header=BB237_176 Depth=1
	s_or_b64 exec, exec, s[12:13]
	v_lshrrev_b32_e32 v2, 24, v14
	v_cmp_lt_i16_e32 vcc, s28, v2
	s_mov_b64 s[0:1], 0
                                        ; implicit-def: $sgpr18
	s_and_saveexec_b64 s[12:13], vcc
	s_xor_b64 s[12:13], exec, s[12:13]
	s_cbranch_execnz .LBB237_257
; %bb.190:                              ;   in Loop: Header=BB237_176 Depth=1
	s_or_saveexec_b64 s[12:13], s[12:13]
	v_mov_b32_e32 v19, s18
	s_xor_b64 exec, exec, s[12:13]
	s_cbranch_execnz .LBB237_260
.LBB237_191:                            ;   in Loop: Header=BB237_176 Depth=1
	s_or_b64 exec, exec, s[12:13]
	s_and_saveexec_b64 s[12:13], s[0:1]
	s_cbranch_execz .LBB237_193
.LBB237_192:                            ;   in Loop: Header=BB237_176 Depth=1
	v_bfe_u32 v19, v14, 24, 3
	v_ffbh_u32_e32 v27, v19
	v_bfe_u32 v14, v14, 27, 4
	v_min_u32_e32 v27, 32, v27
	v_subrev_u32_e32 v28, 28, v27
	v_sub_u32_e32 v27, 29, v27
	v_cmp_eq_u32_e32 vcc, 0, v14
	v_lshlrev_b64 v[28:29], v28, v[2:3]
	v_and_b32_e32 v28, 7, v28
	v_cndmask_b32_e32 v14, v14, v27, vcc
	v_lshlrev_b32_e32 v2, 8, v2
	v_lshl_add_u32 v14, v14, 10, v26
	v_cndmask_b32_e32 v19, v19, v28, vcc
	v_and_or_b32 v2, v2, s30, v14
	v_lshl_or_b32 v2, v19, 7, v2
	v_cvt_f32_f16_e32 v19, v2
.LBB237_193:                            ;   in Loop: Header=BB237_176 Depth=1
	s_or_b64 exec, exec, s[12:13]
	v_cmp_gt_i16_sdwa s[12:13], v15, s28 src0_sel:BYTE_0 src1_sel:DWORD
	s_mov_b64 s[0:1], 0
                                        ; implicit-def: $sgpr18
	s_and_saveexec_b64 s[16:17], s[12:13]
	s_xor_b64 s[12:13], exec, s[16:17]
	s_cbranch_execnz .LBB237_261
; %bb.194:                              ;   in Loop: Header=BB237_176 Depth=1
	s_or_saveexec_b64 s[12:13], s[12:13]
	v_mov_b32_e32 v14, s18
	s_xor_b64 exec, exec, s[12:13]
	s_cbranch_execnz .LBB237_264
.LBB237_195:                            ;   in Loop: Header=BB237_176 Depth=1
	s_or_b64 exec, exec, s[12:13]
	v_mov_b32_e32 v2, v15
	s_and_saveexec_b64 s[12:13], s[0:1]
	s_cbranch_execz .LBB237_197
.LBB237_196:                            ;   in Loop: Header=BB237_176 Depth=1
	v_and_b32_e32 v14, 7, v15
	v_ffbh_u32_e32 v14, v14
	v_bfe_u32 v27, v15, 3, 4
	v_min_u32_e32 v14, 32, v14
	v_subrev_u32_e32 v28, 28, v14
	v_sub_u32_e32 v14, 29, v14
	v_cmp_eq_u32_e32 vcc, 0, v27
	s_nop 1
	v_cndmask_b32_e32 v14, v27, v14, vcc
	v_cndmask_b32_e32 v27, 0, v28, vcc
	v_lshlrev_b64 v[28:29], v27, v[2:3]
	v_lshlrev_b32_e32 v27, 7, v28
	v_lshlrev_b32_e32 v28, 8, v15
	v_lshl_add_u32 v14, v14, 10, v26
	v_and_or_b32 v14, v28, s30, v14
	v_and_or_b32 v14, v27, s31, v14
	v_cvt_f32_f16_e32 v14, v14
.LBB237_197:                            ;   in Loop: Header=BB237_176 Depth=1
	s_or_b64 exec, exec, s[12:13]
	v_lshrrev_b16_e32 v2, 8, v2
	v_cmp_lt_i16_e32 vcc, s28, v2
	s_mov_b64 s[0:1], 0
                                        ; implicit-def: $sgpr18
	s_and_saveexec_b64 s[12:13], vcc
	s_xor_b64 s[12:13], exec, s[12:13]
	s_cbranch_execnz .LBB237_265
; %bb.198:                              ;   in Loop: Header=BB237_176 Depth=1
	s_or_saveexec_b64 s[12:13], s[12:13]
	v_mov_b32_e32 v28, s18
	s_xor_b64 exec, exec, s[12:13]
	s_cbranch_execnz .LBB237_268
.LBB237_199:                            ;   in Loop: Header=BB237_176 Depth=1
	s_or_b64 exec, exec, s[12:13]
	s_and_saveexec_b64 s[12:13], s[0:1]
	s_cbranch_execz .LBB237_201
.LBB237_200:                            ;   in Loop: Header=BB237_176 Depth=1
	v_and_b32_e32 v27, 7, v2
	v_ffbh_u32_e32 v28, v27
	v_min_u32_e32 v31, 32, v28
	v_subrev_u32_e32 v28, 28, v31
	v_bfe_u32 v30, v2, 3, 4
	v_lshlrev_b64 v[28:29], v28, v[2:3]
	v_sub_u32_e32 v29, 29, v31
	v_cmp_eq_u32_e32 vcc, 0, v30
	v_and_b32_e32 v28, 7, v28
	v_lshlrev_b32_e32 v2, 8, v2
	v_cndmask_b32_e32 v29, v30, v29, vcc
	v_cndmask_b32_e32 v27, v27, v28, vcc
	v_lshl_add_u32 v28, v29, 10, v26
	v_and_or_b32 v2, v2, s30, v28
	v_lshl_or_b32 v2, v27, 7, v2
	v_cvt_f32_f16_e32 v28, v2
.LBB237_201:                            ;   in Loop: Header=BB237_176 Depth=1
	s_or_b64 exec, exec, s[12:13]
	v_lshrrev_b32_e32 v2, 16, v15
	v_cmp_gt_i16_sdwa s[12:13], v2, s28 src0_sel:BYTE_0 src1_sel:DWORD
	s_mov_b64 s[0:1], 0
                                        ; implicit-def: $sgpr18
	s_and_saveexec_b64 s[16:17], s[12:13]
	s_xor_b64 s[12:13], exec, s[16:17]
	s_cbranch_execnz .LBB237_269
; %bb.202:                              ;   in Loop: Header=BB237_176 Depth=1
	s_or_saveexec_b64 s[12:13], s[12:13]
	v_mov_b32_e32 v29, s18
	s_xor_b64 exec, exec, s[12:13]
	s_cbranch_execnz .LBB237_272
.LBB237_203:                            ;   in Loop: Header=BB237_176 Depth=1
	s_or_b64 exec, exec, s[12:13]
	s_and_saveexec_b64 s[12:13], s[0:1]
	s_cbranch_execz .LBB237_205
.LBB237_204:                            ;   in Loop: Header=BB237_176 Depth=1
	v_bfe_u32 v27, v15, 16, 3
	v_ffbh_u32_e32 v30, v27
	v_min_u32_e32 v32, 32, v30
	v_subrev_u32_e32 v30, 28, v32
	v_bfe_u32 v29, v15, 19, 4
	v_lshlrev_b64 v[30:31], v30, v[2:3]
	v_sub_u32_e32 v31, 29, v32
	v_cmp_eq_u32_e32 vcc, 0, v29
	v_and_b32_e32 v30, 7, v30
	v_lshlrev_b32_e32 v2, 8, v2
	v_cndmask_b32_e32 v29, v29, v31, vcc
	v_lshl_add_u32 v29, v29, 10, v26
	v_cndmask_b32_e32 v27, v27, v30, vcc
	v_and_or_b32 v2, v2, s30, v29
	v_lshl_or_b32 v2, v27, 7, v2
	v_cvt_f32_f16_e32 v29, v2
.LBB237_205:                            ;   in Loop: Header=BB237_176 Depth=1
	s_or_b64 exec, exec, s[12:13]
	v_lshrrev_b32_e32 v2, 24, v15
	v_cmp_lt_i16_e32 vcc, s28, v2
	s_mov_b64 s[0:1], 0
                                        ; implicit-def: $sgpr18
	s_and_saveexec_b64 s[12:13], vcc
	s_xor_b64 s[12:13], exec, s[12:13]
	s_cbranch_execnz .LBB237_273
; %bb.206:                              ;   in Loop: Header=BB237_176 Depth=1
	s_or_saveexec_b64 s[12:13], s[12:13]
	v_mov_b32_e32 v30, s18
	s_xor_b64 exec, exec, s[12:13]
	s_cbranch_execnz .LBB237_276
.LBB237_207:                            ;   in Loop: Header=BB237_176 Depth=1
	s_or_b64 exec, exec, s[12:13]
	s_and_saveexec_b64 s[12:13], s[0:1]
	s_cbranch_execz .LBB237_209
.LBB237_208:                            ;   in Loop: Header=BB237_176 Depth=1
	v_bfe_u32 v27, v15, 24, 3
	v_ffbh_u32_e32 v30, v27
	v_min_u32_e32 v32, 32, v30
	v_subrev_u32_e32 v30, 28, v32
	v_bfe_u32 v15, v15, 27, 4
	v_lshlrev_b64 v[30:31], v30, v[2:3]
	v_sub_u32_e32 v31, 29, v32
	v_cmp_eq_u32_e32 vcc, 0, v15
	v_and_b32_e32 v30, 7, v30
	v_lshlrev_b32_e32 v2, 8, v2
	v_cndmask_b32_e32 v15, v15, v31, vcc
	v_lshl_add_u32 v15, v15, 10, v26
	v_cndmask_b32_e32 v27, v27, v30, vcc
	v_and_or_b32 v2, v2, s30, v15
	v_lshl_or_b32 v2, v27, 7, v2
	v_cvt_f32_f16_e32 v30, v2
.LBB237_209:                            ;   in Loop: Header=BB237_176 Depth=1
	s_or_b64 exec, exec, s[12:13]
	s_waitcnt vmcnt(0)
	v_pk_mul_f32 v[18:19], v[12:13], v[18:19] op_sel_hi:[0,1]
	v_pk_mul_f32 v[16:17], v[12:13], v[16:17] op_sel_hi:[0,1]
	v_cvt_f16_f32_e32 v2, v19
	v_cvt_f16_f32_e32 v15, v18
	;; [unrolled: 1-line block ×4, first 2 shown]
	v_fma_mixlo_f16 v14, v12, v14, 0
	v_pack_b32_f16 v15, v15, v2
	v_add_u32_e32 v27, v23, v13
	v_pack_b32_f16 v16, v16, v17
	v_perm_b32 v2, v16, v15, s38
	v_perm_b32 v15, v16, v15, s39
	v_fma_mixlo_f16 v16, v12, v28, 0
	v_lshlrev_b32_e32 v16, 16, v16
	v_or_b32_sdwa v14, v16, v14 dst_sel:DWORD dst_unused:UNUSED_PAD src0_sel:DWORD src1_sel:WORD_0
	v_fma_mixlo_f16 v16, v12, v29, 0
	v_fma_mixlo_f16 v12, v12, v30, 0
	v_lshlrev_b32_e32 v12, 16, v12
	v_cmp_eq_u32_e32 vcc, s35, v1
	v_or_b32_sdwa v12, v12, v16 dst_sel:DWORD dst_unused:UNUSED_PAD src0_sel:DWORD src1_sel:WORD_0
	v_add_u32_e32 v32, 1, v27
	v_or_b32_e32 v31, 3, v27
	v_or_b32_e32 v30, 2, v27
	;; [unrolled: 1-line block ×6, first 2 shown]
	s_and_saveexec_b64 s[12:13], vcc
	s_cbranch_execz .LBB237_211
; %bb.210:                              ;   in Loop: Header=BB237_176 Depth=1
	v_lshrrev_b32_e32 v17, 16, v15
	v_cmp_gt_i32_e64 s[0:1], s37, v32
	v_lshrrev_b32_e32 v12, 16, v12
	s_nop 0
	v_cndmask_b32_e64 v17, 0, v17, s[0:1]
	v_cmp_gt_i32_e64 s[0:1], s11, v27
	s_nop 1
	v_cndmask_b32_e64 v15, 0, v15, s[0:1]
	v_perm_b32 v15, v17, v15, s40
	v_lshrrev_b32_e32 v17, 16, v2
	v_cmp_gt_i32_e64 s[0:1], s37, v31
	s_nop 1
	v_cndmask_b32_e64 v17, 0, v17, s[0:1]
	v_cmp_gt_i32_e64 s[0:1], s11, v30
	s_nop 1
	v_cndmask_b32_e64 v2, 0, v2, s[0:1]
	v_perm_b32 v2, v17, v2, s40
	v_lshrrev_b32_e32 v17, 16, v14
	v_cmp_gt_i32_e64 s[0:1], s37, v29
	s_nop 1
	v_cndmask_b32_e64 v17, 0, v17, s[0:1]
	v_cmp_gt_i32_e64 s[0:1], s11, v28
	s_nop 1
	v_cndmask_b32_e64 v14, 0, v14, s[0:1]
	v_cmp_gt_i32_e64 s[0:1], s37, v19
	v_perm_b32 v14, v17, v14, s40
	s_nop 0
	v_cndmask_b32_e64 v12, 0, v12, s[0:1]
	v_cmp_gt_i32_e64 s[0:1], s11, v18
	s_nop 1
	v_cndmask_b32_e64 v16, 0, v16, s[0:1]
	v_perm_b32 v12, v12, v16, s40
.LBB237_211:                            ;   in Loop: Header=BB237_176 Depth=1
	s_or_b64 exec, exec, s[12:13]
	v_and_b32_e32 v16, 0xffff, v33
	v_lshl_or_b32 v36, v34, 16, v16
	v_and_b32_e32 v16, 0xffff, v35
	v_lshl_or_b32 v35, v37, 16, v16
	;; [unrolled: 2-line block ×3, first 2 shown]
	v_and_b32_e32 v16, 0xffff, v40
	;;#ASMSTART
	v_pk_mul_f16 v15, v36, v15;

	;;#ASMEND
	;;#ASMSTART
	v_pk_mul_f16 v2, v35, v2;

	;;#ASMEND
	v_lshl_or_b32 v33, v41, 16, v16
	;;#ASMSTART
	v_pk_mul_f16 v14, v34, v14;

	;;#ASMEND
	;;#ASMSTART
	v_pk_mul_f16 v12, v33, v12;

	;;#ASMEND
	;;#ASMSTART
	v_pk_add_f16 v2, v15, v2;

	;;#ASMEND
	s_mov_b64 s[0:1], 0
	;;#ASMSTART
	v_pk_add_f16 v2, v2, v14;

	;;#ASMEND
                                        ; implicit-def: $sgpr18
	s_nop 0
	;;#ASMSTART
	v_pk_add_f16 v2, v2, v12;

	;;#ASMEND
	s_nop 0
	v_lshrrev_b32_e32 v12, 16, v2
	v_and_b32_e32 v2, 0xffff, v2
	;;#ASMSTART
	v_cvt_f32_f16 v37, v2;
	;;#ASMEND
	;;#ASMSTART
	v_cvt_f32_f16 v38, v12;
	;;#ASMEND
	global_load_dwordx2 v[14:15], v[10:11], off offset:512
	global_load_dword v12, v3, s[14:15]
	s_waitcnt vmcnt(1)
	v_cmp_gt_i16_sdwa s[12:13], v14, s28 src0_sel:BYTE_0 src1_sel:DWORD
	s_and_saveexec_b64 s[16:17], s[12:13]
	s_xor_b64 s[12:13], exec, s[16:17]
	s_cbranch_execnz .LBB237_277
; %bb.212:                              ;   in Loop: Header=BB237_176 Depth=1
	s_or_saveexec_b64 s[12:13], s[12:13]
	v_mov_b32_e32 v10, s18
	s_xor_b64 exec, exec, s[12:13]
	s_cbranch_execnz .LBB237_280
.LBB237_213:                            ;   in Loop: Header=BB237_176 Depth=1
	s_or_b64 exec, exec, s[12:13]
	s_and_saveexec_b64 s[12:13], s[0:1]
	s_cbranch_execz .LBB237_215
.LBB237_214:                            ;   in Loop: Header=BB237_176 Depth=1
	v_and_b32_e32 v2, 7, v14
	v_ffbh_u32_e32 v2, v2
	v_bfe_u32 v10, v14, 3, 4
	v_min_u32_e32 v2, 32, v2
	v_subrev_u32_e32 v11, 28, v2
	v_sub_u32_e32 v2, 29, v2
	v_cmp_eq_u32_e64 s[0:1], 0, v10
	s_nop 1
	v_cndmask_b32_e64 v2, v10, v2, s[0:1]
	v_cndmask_b32_e64 v10, 0, v11, s[0:1]
	v_lshlrev_b64 v[10:11], v10, v[14:15]
	v_lshlrev_b32_e32 v11, 8, v14
	v_lshl_add_u32 v2, v2, 10, v26
	v_lshlrev_b32_e32 v10, 7, v10
	v_and_or_b32 v2, v11, s30, v2
	v_and_or_b32 v2, v10, s31, v2
	v_cvt_f32_f16_e32 v10, v2
.LBB237_215:                            ;   in Loop: Header=BB237_176 Depth=1
	s_or_b64 exec, exec, s[12:13]
	v_lshrrev_b16_e32 v2, 8, v14
	v_cmp_lt_i16_e64 s[0:1], s28, v2
	s_mov_b64 s[12:13], 0
                                        ; implicit-def: $sgpr41
	s_and_saveexec_b64 s[16:17], s[0:1]
	s_xor_b64 s[16:17], exec, s[16:17]
	s_cbranch_execnz .LBB237_281
; %bb.216:                              ;   in Loop: Header=BB237_176 Depth=1
	s_or_saveexec_b64 s[16:17], s[16:17]
	v_mov_b32_e32 v16, s41
	s_xor_b64 exec, exec, s[16:17]
	s_cbranch_execnz .LBB237_284
.LBB237_217:                            ;   in Loop: Header=BB237_176 Depth=1
	s_or_b64 exec, exec, s[16:17]
	s_and_saveexec_b64 s[16:17], s[12:13]
	s_cbranch_execz .LBB237_219
.LBB237_218:                            ;   in Loop: Header=BB237_176 Depth=1
	v_and_b32_e32 v11, 7, v2
	v_ffbh_u32_e32 v16, v11
	v_min_u32_e32 v40, 32, v16
	v_subrev_u32_e32 v16, 28, v40
	v_bfe_u32 v39, v2, 3, 4
	v_lshlrev_b64 v[16:17], v16, v[2:3]
	v_sub_u32_e32 v17, 29, v40
	v_cmp_eq_u32_e64 s[0:1], 0, v39
	v_and_b32_e32 v16, 7, v16
	v_lshlrev_b32_e32 v2, 8, v2
	v_cndmask_b32_e64 v17, v39, v17, s[0:1]
	v_cndmask_b32_e64 v11, v11, v16, s[0:1]
	v_lshl_add_u32 v16, v17, 10, v26
	v_and_or_b32 v2, v2, s30, v16
	v_lshl_or_b32 v2, v11, 7, v2
	v_cvt_f32_f16_e32 v16, v2
.LBB237_219:                            ;   in Loop: Header=BB237_176 Depth=1
	s_or_b64 exec, exec, s[16:17]
	v_lshrrev_b32_e32 v2, 16, v14
	v_cmp_gt_i16_sdwa s[12:13], v2, s28 src0_sel:BYTE_0 src1_sel:DWORD
	s_mov_b64 s[0:1], 0
                                        ; implicit-def: $sgpr18
	s_and_saveexec_b64 s[16:17], s[12:13]
	s_xor_b64 s[12:13], exec, s[16:17]
	s_cbranch_execnz .LBB237_285
; %bb.220:                              ;   in Loop: Header=BB237_176 Depth=1
	s_or_saveexec_b64 s[12:13], s[12:13]
	v_mov_b32_e32 v11, s18
	s_xor_b64 exec, exec, s[12:13]
	s_cbranch_execnz .LBB237_288
.LBB237_221:                            ;   in Loop: Header=BB237_176 Depth=1
	s_or_b64 exec, exec, s[12:13]
	s_and_saveexec_b64 s[12:13], s[0:1]
	s_cbranch_execz .LBB237_223
.LBB237_222:                            ;   in Loop: Header=BB237_176 Depth=1
	v_bfe_u32 v11, v14, 16, 3
	v_ffbh_u32_e32 v39, v11
	v_bfe_u32 v17, v14, 19, 4
	v_min_u32_e32 v39, 32, v39
	v_subrev_u32_e32 v40, 28, v39
	v_sub_u32_e32 v39, 29, v39
	v_cmp_eq_u32_e64 s[0:1], 0, v17
	v_lshlrev_b64 v[40:41], v40, v[2:3]
	v_and_b32_e32 v40, 7, v40
	v_cndmask_b32_e64 v17, v17, v39, s[0:1]
	v_lshlrev_b32_e32 v2, 8, v2
	v_lshl_add_u32 v17, v17, 10, v26
	v_cndmask_b32_e64 v11, v11, v40, s[0:1]
	v_and_or_b32 v2, v2, s30, v17
	v_lshl_or_b32 v2, v11, 7, v2
	v_cvt_f32_f16_e32 v11, v2
.LBB237_223:                            ;   in Loop: Header=BB237_176 Depth=1
	s_or_b64 exec, exec, s[12:13]
	v_lshrrev_b32_e32 v2, 24, v14
	v_cmp_lt_i16_e64 s[0:1], s28, v2
	s_mov_b64 s[12:13], 0
                                        ; implicit-def: $sgpr41
	s_and_saveexec_b64 s[16:17], s[0:1]
	s_xor_b64 s[16:17], exec, s[16:17]
	s_cbranch_execnz .LBB237_289
; %bb.224:                              ;   in Loop: Header=BB237_176 Depth=1
	s_or_saveexec_b64 s[16:17], s[16:17]
	v_mov_b32_e32 v17, s41
	s_xor_b64 exec, exec, s[16:17]
	s_cbranch_execnz .LBB237_292
.LBB237_225:                            ;   in Loop: Header=BB237_176 Depth=1
	s_or_b64 exec, exec, s[16:17]
	s_and_saveexec_b64 s[16:17], s[12:13]
	s_cbranch_execz .LBB237_227
.LBB237_226:                            ;   in Loop: Header=BB237_176 Depth=1
	v_bfe_u32 v17, v14, 24, 3
	v_ffbh_u32_e32 v39, v17
	v_bfe_u32 v14, v14, 27, 4
	v_min_u32_e32 v39, 32, v39
	v_subrev_u32_e32 v40, 28, v39
	v_sub_u32_e32 v39, 29, v39
	v_cmp_eq_u32_e64 s[0:1], 0, v14
	v_lshlrev_b64 v[40:41], v40, v[2:3]
	v_and_b32_e32 v40, 7, v40
	v_cndmask_b32_e64 v14, v14, v39, s[0:1]
	v_lshlrev_b32_e32 v2, 8, v2
	v_lshl_add_u32 v14, v14, 10, v26
	v_cndmask_b32_e64 v17, v17, v40, s[0:1]
	v_and_or_b32 v2, v2, s30, v14
	v_lshl_or_b32 v2, v17, 7, v2
	v_cvt_f32_f16_e32 v17, v2
.LBB237_227:                            ;   in Loop: Header=BB237_176 Depth=1
	s_or_b64 exec, exec, s[16:17]
	v_cmp_gt_i16_sdwa s[12:13], v15, s28 src0_sel:BYTE_0 src1_sel:DWORD
	s_mov_b64 s[0:1], 0
                                        ; implicit-def: $sgpr18
	s_and_saveexec_b64 s[16:17], s[12:13]
	s_xor_b64 s[12:13], exec, s[16:17]
	s_cbranch_execnz .LBB237_293
; %bb.228:                              ;   in Loop: Header=BB237_176 Depth=1
	s_or_saveexec_b64 s[12:13], s[12:13]
	v_mov_b32_e32 v14, s18
	s_xor_b64 exec, exec, s[12:13]
	s_cbranch_execnz .LBB237_296
.LBB237_229:                            ;   in Loop: Header=BB237_176 Depth=1
	s_or_b64 exec, exec, s[12:13]
	v_mov_b32_e32 v2, v15
	s_and_saveexec_b64 s[12:13], s[0:1]
	s_cbranch_execz .LBB237_231
.LBB237_230:                            ;   in Loop: Header=BB237_176 Depth=1
	v_and_b32_e32 v14, 7, v15
	v_ffbh_u32_e32 v14, v14
	v_bfe_u32 v39, v15, 3, 4
	v_min_u32_e32 v14, 32, v14
	v_subrev_u32_e32 v40, 28, v14
	v_sub_u32_e32 v14, 29, v14
	v_cmp_eq_u32_e64 s[0:1], 0, v39
	s_nop 1
	v_cndmask_b32_e64 v14, v39, v14, s[0:1]
	v_cndmask_b32_e64 v39, 0, v40, s[0:1]
	v_lshlrev_b64 v[40:41], v39, v[2:3]
	v_lshlrev_b32_e32 v39, 7, v40
	v_lshlrev_b32_e32 v40, 8, v15
	v_lshl_add_u32 v14, v14, 10, v26
	v_and_or_b32 v14, v40, s30, v14
	v_and_or_b32 v14, v39, s31, v14
	v_cvt_f32_f16_e32 v14, v14
.LBB237_231:                            ;   in Loop: Header=BB237_176 Depth=1
	s_or_b64 exec, exec, s[12:13]
	v_lshrrev_b16_e32 v2, 8, v2
	v_cmp_lt_i16_e64 s[0:1], s28, v2
	s_mov_b64 s[12:13], 0
                                        ; implicit-def: $sgpr41
	s_and_saveexec_b64 s[16:17], s[0:1]
	s_xor_b64 s[16:17], exec, s[16:17]
	s_cbranch_execnz .LBB237_297
; %bb.232:                              ;   in Loop: Header=BB237_176 Depth=1
	s_or_saveexec_b64 s[16:17], s[16:17]
	v_mov_b32_e32 v39, s41
	s_xor_b64 exec, exec, s[16:17]
	s_cbranch_execnz .LBB237_300
.LBB237_233:                            ;   in Loop: Header=BB237_176 Depth=1
	s_or_b64 exec, exec, s[16:17]
	s_and_saveexec_b64 s[16:17], s[12:13]
	s_cbranch_execz .LBB237_235
.LBB237_234:                            ;   in Loop: Header=BB237_176 Depth=1
	v_and_b32_e32 v39, 7, v2
	v_ffbh_u32_e32 v40, v39
	v_min_u32_e32 v43, 32, v40
	v_subrev_u32_e32 v40, 28, v43
	v_bfe_u32 v42, v2, 3, 4
	v_lshlrev_b64 v[40:41], v40, v[2:3]
	v_sub_u32_e32 v41, 29, v43
	v_cmp_eq_u32_e64 s[0:1], 0, v42
	v_and_b32_e32 v40, 7, v40
	v_lshlrev_b32_e32 v2, 8, v2
	v_cndmask_b32_e64 v41, v42, v41, s[0:1]
	v_cndmask_b32_e64 v39, v39, v40, s[0:1]
	v_lshl_add_u32 v40, v41, 10, v26
	v_and_or_b32 v2, v2, s30, v40
	v_lshl_or_b32 v2, v39, 7, v2
	v_cvt_f32_f16_e32 v39, v2
.LBB237_235:                            ;   in Loop: Header=BB237_176 Depth=1
	s_or_b64 exec, exec, s[16:17]
	v_lshrrev_b32_e32 v2, 16, v15
	v_cmp_gt_i16_sdwa s[12:13], v2, s28 src0_sel:BYTE_0 src1_sel:DWORD
	s_mov_b64 s[0:1], 0
                                        ; implicit-def: $sgpr18
	s_and_saveexec_b64 s[16:17], s[12:13]
	s_xor_b64 s[12:13], exec, s[16:17]
	s_cbranch_execnz .LBB237_301
; %bb.236:                              ;   in Loop: Header=BB237_176 Depth=1
	s_or_saveexec_b64 s[12:13], s[12:13]
	v_mov_b32_e32 v40, s18
	s_xor_b64 exec, exec, s[12:13]
	s_cbranch_execnz .LBB237_304
.LBB237_237:                            ;   in Loop: Header=BB237_176 Depth=1
	s_or_b64 exec, exec, s[12:13]
	s_and_saveexec_b64 s[12:13], s[0:1]
	s_cbranch_execz .LBB237_239
.LBB237_238:                            ;   in Loop: Header=BB237_176 Depth=1
	v_bfe_u32 v42, v15, 16, 3
	v_ffbh_u32_e32 v40, v42
	v_min_u32_e32 v44, 32, v40
	v_subrev_u32_e32 v40, 28, v44
	v_bfe_u32 v43, v15, 19, 4
	v_lshlrev_b64 v[40:41], v40, v[2:3]
	v_sub_u32_e32 v41, 29, v44
	v_cmp_eq_u32_e64 s[0:1], 0, v43
	v_and_b32_e32 v40, 7, v40
	v_lshlrev_b32_e32 v2, 8, v2
	v_cndmask_b32_e64 v41, v43, v41, s[0:1]
	v_lshl_add_u32 v41, v41, 10, v26
	v_cndmask_b32_e64 v40, v42, v40, s[0:1]
	v_and_or_b32 v2, v2, s30, v41
	v_lshl_or_b32 v2, v40, 7, v2
	v_cvt_f32_f16_e32 v40, v2
.LBB237_239:                            ;   in Loop: Header=BB237_176 Depth=1
	s_or_b64 exec, exec, s[12:13]
	v_lshrrev_b32_e32 v2, 24, v15
	v_cmp_lt_i16_e64 s[0:1], s28, v2
	s_mov_b64 s[12:13], 0
                                        ; implicit-def: $sgpr41
	s_and_saveexec_b64 s[16:17], s[0:1]
	s_xor_b64 s[16:17], exec, s[16:17]
	s_cbranch_execnz .LBB237_305
; %bb.240:                              ;   in Loop: Header=BB237_176 Depth=1
	s_or_saveexec_b64 s[16:17], s[16:17]
	v_mov_b32_e32 v41, s41
	s_xor_b64 exec, exec, s[16:17]
	s_cbranch_execnz .LBB237_308
.LBB237_241:                            ;   in Loop: Header=BB237_176 Depth=1
	s_or_b64 exec, exec, s[16:17]
	s_and_saveexec_b64 s[16:17], s[12:13]
	s_cbranch_execz .LBB237_243
.LBB237_242:                            ;   in Loop: Header=BB237_176 Depth=1
	v_bfe_u32 v41, v15, 24, 3
	v_ffbh_u32_e32 v42, v41
	v_min_u32_e32 v44, 32, v42
	v_subrev_u32_e32 v42, 28, v44
	v_bfe_u32 v15, v15, 27, 4
	v_lshlrev_b64 v[42:43], v42, v[2:3]
	v_sub_u32_e32 v43, 29, v44
	v_cmp_eq_u32_e64 s[0:1], 0, v15
	v_and_b32_e32 v42, 7, v42
	v_lshlrev_b32_e32 v2, 8, v2
	v_cndmask_b32_e64 v15, v15, v43, s[0:1]
	v_lshl_add_u32 v15, v15, 10, v26
	v_cndmask_b32_e64 v41, v41, v42, s[0:1]
	v_and_or_b32 v2, v2, s30, v15
	v_lshl_or_b32 v2, v41, 7, v2
	v_cvt_f32_f16_e32 v41, v2
.LBB237_243:                            ;   in Loop: Header=BB237_176 Depth=1
	s_or_b64 exec, exec, s[16:17]
	s_waitcnt vmcnt(0)
	v_pk_mul_f32 v[16:17], v[12:13], v[16:17] op_sel_hi:[0,1]
	v_pk_mul_f32 v[10:11], v[12:13], v[10:11] op_sel_hi:[0,1]
	v_cvt_f16_f32_e32 v2, v17
	v_cvt_f16_f32_e32 v15, v16
	;; [unrolled: 1-line block ×4, first 2 shown]
	v_fma_mixlo_f16 v14, v12, v14, 0
	v_pack_b32_f16 v15, v15, v2
	v_pack_b32_f16 v10, v10, v11
	v_perm_b32 v2, v10, v15, s38
	v_perm_b32 v11, v10, v15, s39
	v_fma_mixlo_f16 v10, v12, v39, 0
	v_lshlrev_b32_e32 v10, 16, v10
	v_or_b32_sdwa v10, v10, v14 dst_sel:DWORD dst_unused:UNUSED_PAD src0_sel:DWORD src1_sel:WORD_0
	v_fma_mixlo_f16 v14, v12, v40, 0
	v_fma_mixlo_f16 v12, v12, v41, 0
	v_lshlrev_b32_e32 v12, 16, v12
	v_or_b32_sdwa v12, v12, v14 dst_sel:DWORD dst_unused:UNUSED_PAD src0_sel:DWORD src1_sel:WORD_0
	s_and_saveexec_b64 s[0:1], vcc
	s_cbranch_execz .LBB237_174
; %bb.244:                              ;   in Loop: Header=BB237_176 Depth=1
	v_lshrrev_b32_e32 v15, 16, v11
	v_cmp_gt_i32_e32 vcc, s37, v32
	v_lshrrev_b32_e32 v12, 16, v12
	s_nop 0
	v_cndmask_b32_e32 v15, 0, v15, vcc
	v_cmp_gt_i32_e32 vcc, s11, v27
	s_nop 1
	v_cndmask_b32_e32 v11, 0, v11, vcc
	v_perm_b32 v11, v15, v11, s40
	v_lshrrev_b32_e32 v15, 16, v2
	v_cmp_gt_i32_e32 vcc, s37, v31
	s_nop 1
	v_cndmask_b32_e32 v15, 0, v15, vcc
	v_cmp_gt_i32_e32 vcc, s11, v30
	s_nop 1
	v_cndmask_b32_e32 v2, 0, v2, vcc
	v_perm_b32 v2, v15, v2, s40
	v_lshrrev_b32_e32 v15, 16, v10
	v_cmp_gt_i32_e32 vcc, s37, v29
	s_nop 1
	v_cndmask_b32_e32 v15, 0, v15, vcc
	v_cmp_gt_i32_e32 vcc, s11, v28
	s_nop 1
	v_cndmask_b32_e32 v10, 0, v10, vcc
	v_cmp_gt_i32_e32 vcc, s37, v19
	v_perm_b32 v10, v15, v10, s40
	s_nop 0
	v_cndmask_b32_e32 v12, 0, v12, vcc
	v_cmp_gt_i32_e32 vcc, s11, v18
	s_nop 1
	v_cndmask_b32_e32 v14, 0, v14, vcc
	v_perm_b32 v12, v12, v14, s40
	s_branch .LBB237_174
.LBB237_245:                            ;   in Loop: Header=BB237_176 Depth=1
	v_cmp_eq_u16_sdwa s[42:43], v14, s29 src0_sel:BYTE_0 src1_sel:DWORD
	s_mov_b64 s[0:1], -1
                                        ; implicit-def: $sgpr18
	s_and_saveexec_b64 s[16:17], s[42:43]
; %bb.246:                              ;   in Loop: Header=BB237_176 Depth=1
	s_mov_b32 s18, 0x7fc02000
	s_xor_b64 s[0:1], exec, -1
; %bb.247:                              ;   in Loop: Header=BB237_176 Depth=1
	s_or_b64 exec, exec, s[16:17]
	s_and_b64 s[0:1], s[0:1], exec
	s_or_saveexec_b64 s[12:13], s[12:13]
	v_mov_b32_e32 v16, s18
	s_xor_b64 exec, exec, s[12:13]
	s_cbranch_execz .LBB237_179
.LBB237_248:                            ;   in Loop: Header=BB237_176 Depth=1
	v_cmp_ne_u16_sdwa s[16:17], v14, v3 src0_sel:BYTE_0 src1_sel:DWORD
	s_andn2_b64 s[0:1], s[0:1], exec
	s_and_b64 s[16:17], s[16:17], exec
	v_mov_b32_e32 v16, 0
	s_or_b64 s[0:1], s[0:1], s[16:17]
	s_or_b64 exec, exec, s[12:13]
	s_and_saveexec_b64 s[12:13], s[0:1]
	s_cbranch_execnz .LBB237_180
	s_branch .LBB237_181
.LBB237_249:                            ;   in Loop: Header=BB237_176 Depth=1
	v_cmp_eq_u16_e32 vcc, s29, v2
	s_mov_b64 s[0:1], -1
                                        ; implicit-def: $sgpr18
	s_and_saveexec_b64 s[16:17], vcc
; %bb.250:                              ;   in Loop: Header=BB237_176 Depth=1
	s_mov_b32 s18, 0x7fc02000
	s_xor_b64 s[0:1], exec, -1
; %bb.251:                              ;   in Loop: Header=BB237_176 Depth=1
	s_or_b64 exec, exec, s[16:17]
	s_and_b64 s[0:1], s[0:1], exec
	s_or_saveexec_b64 s[12:13], s[12:13]
	v_mov_b32_e32 v18, s18
	s_xor_b64 exec, exec, s[12:13]
	s_cbranch_execz .LBB237_183
.LBB237_252:                            ;   in Loop: Header=BB237_176 Depth=1
	v_cmp_ne_u16_e32 vcc, 0, v2
	s_andn2_b64 s[0:1], s[0:1], exec
	s_and_b64 s[16:17], vcc, exec
	v_mov_b32_e32 v18, 0
	s_or_b64 s[0:1], s[0:1], s[16:17]
	s_or_b64 exec, exec, s[12:13]
	s_and_saveexec_b64 s[12:13], s[0:1]
	s_cbranch_execnz .LBB237_184
	s_branch .LBB237_185
.LBB237_253:                            ;   in Loop: Header=BB237_176 Depth=1
	v_cmp_eq_u16_sdwa s[42:43], v2, s29 src0_sel:BYTE_0 src1_sel:DWORD
	s_mov_b64 s[0:1], -1
                                        ; implicit-def: $sgpr18
	s_and_saveexec_b64 s[16:17], s[42:43]
; %bb.254:                              ;   in Loop: Header=BB237_176 Depth=1
	s_mov_b32 s18, 0x7fc02000
	s_xor_b64 s[0:1], exec, -1
; %bb.255:                              ;   in Loop: Header=BB237_176 Depth=1
	s_or_b64 exec, exec, s[16:17]
	s_and_b64 s[0:1], s[0:1], exec
	s_or_saveexec_b64 s[12:13], s[12:13]
	v_mov_b32_e32 v17, s18
	s_xor_b64 exec, exec, s[12:13]
	s_cbranch_execz .LBB237_187
.LBB237_256:                            ;   in Loop: Header=BB237_176 Depth=1
	v_cmp_ne_u16_sdwa s[16:17], v2, v3 src0_sel:BYTE_0 src1_sel:DWORD
	s_andn2_b64 s[0:1], s[0:1], exec
	s_and_b64 s[16:17], s[16:17], exec
	v_mov_b32_e32 v17, 0
	s_or_b64 s[0:1], s[0:1], s[16:17]
	s_or_b64 exec, exec, s[12:13]
	s_and_saveexec_b64 s[12:13], s[0:1]
	s_cbranch_execnz .LBB237_188
	s_branch .LBB237_189
.LBB237_257:                            ;   in Loop: Header=BB237_176 Depth=1
	v_cmp_eq_u16_e32 vcc, s29, v2
	s_mov_b64 s[0:1], -1
                                        ; implicit-def: $sgpr18
	s_and_saveexec_b64 s[16:17], vcc
; %bb.258:                              ;   in Loop: Header=BB237_176 Depth=1
	s_mov_b32 s18, 0x7fc02000
	s_xor_b64 s[0:1], exec, -1
; %bb.259:                              ;   in Loop: Header=BB237_176 Depth=1
	s_or_b64 exec, exec, s[16:17]
	s_and_b64 s[0:1], s[0:1], exec
	s_or_saveexec_b64 s[12:13], s[12:13]
	v_mov_b32_e32 v19, s18
	s_xor_b64 exec, exec, s[12:13]
	s_cbranch_execz .LBB237_191
.LBB237_260:                            ;   in Loop: Header=BB237_176 Depth=1
	v_cmp_ne_u16_e32 vcc, 0, v2
	s_andn2_b64 s[0:1], s[0:1], exec
	s_and_b64 s[16:17], vcc, exec
	v_mov_b32_e32 v19, 0
	s_or_b64 s[0:1], s[0:1], s[16:17]
	s_or_b64 exec, exec, s[12:13]
	s_and_saveexec_b64 s[12:13], s[0:1]
	s_cbranch_execnz .LBB237_192
	s_branch .LBB237_193
.LBB237_261:                            ;   in Loop: Header=BB237_176 Depth=1
	v_cmp_eq_u16_sdwa s[42:43], v15, s29 src0_sel:BYTE_0 src1_sel:DWORD
	s_mov_b64 s[0:1], -1
                                        ; implicit-def: $sgpr18
	s_and_saveexec_b64 s[16:17], s[42:43]
; %bb.262:                              ;   in Loop: Header=BB237_176 Depth=1
	s_mov_b32 s18, 0x7fc02000
	s_xor_b64 s[0:1], exec, -1
; %bb.263:                              ;   in Loop: Header=BB237_176 Depth=1
	s_or_b64 exec, exec, s[16:17]
	s_and_b64 s[0:1], s[0:1], exec
	s_or_saveexec_b64 s[12:13], s[12:13]
	v_mov_b32_e32 v14, s18
	s_xor_b64 exec, exec, s[12:13]
	s_cbranch_execz .LBB237_195
.LBB237_264:                            ;   in Loop: Header=BB237_176 Depth=1
	v_cmp_ne_u16_sdwa s[16:17], v15, v3 src0_sel:BYTE_0 src1_sel:DWORD
	s_andn2_b64 s[0:1], s[0:1], exec
	s_and_b64 s[16:17], s[16:17], exec
	v_mov_b32_e32 v14, 0
	s_or_b64 s[0:1], s[0:1], s[16:17]
	s_or_b64 exec, exec, s[12:13]
	v_mov_b32_e32 v2, v15
	s_and_saveexec_b64 s[12:13], s[0:1]
	s_cbranch_execnz .LBB237_196
	s_branch .LBB237_197
.LBB237_265:                            ;   in Loop: Header=BB237_176 Depth=1
	v_cmp_eq_u16_e32 vcc, s29, v2
	s_mov_b64 s[0:1], -1
                                        ; implicit-def: $sgpr18
	s_and_saveexec_b64 s[16:17], vcc
; %bb.266:                              ;   in Loop: Header=BB237_176 Depth=1
	s_mov_b32 s18, 0x7fc02000
	s_xor_b64 s[0:1], exec, -1
; %bb.267:                              ;   in Loop: Header=BB237_176 Depth=1
	s_or_b64 exec, exec, s[16:17]
	s_and_b64 s[0:1], s[0:1], exec
	s_or_saveexec_b64 s[12:13], s[12:13]
	v_mov_b32_e32 v28, s18
	s_xor_b64 exec, exec, s[12:13]
	s_cbranch_execz .LBB237_199
.LBB237_268:                            ;   in Loop: Header=BB237_176 Depth=1
	v_cmp_ne_u16_e32 vcc, 0, v2
	s_andn2_b64 s[0:1], s[0:1], exec
	s_and_b64 s[16:17], vcc, exec
	v_mov_b32_e32 v28, 0
	s_or_b64 s[0:1], s[0:1], s[16:17]
	s_or_b64 exec, exec, s[12:13]
	s_and_saveexec_b64 s[12:13], s[0:1]
	s_cbranch_execnz .LBB237_200
	s_branch .LBB237_201
.LBB237_269:                            ;   in Loop: Header=BB237_176 Depth=1
	v_cmp_eq_u16_sdwa s[42:43], v2, s29 src0_sel:BYTE_0 src1_sel:DWORD
	s_mov_b64 s[0:1], -1
                                        ; implicit-def: $sgpr18
	s_and_saveexec_b64 s[16:17], s[42:43]
; %bb.270:                              ;   in Loop: Header=BB237_176 Depth=1
	s_mov_b32 s18, 0x7fc02000
	s_xor_b64 s[0:1], exec, -1
; %bb.271:                              ;   in Loop: Header=BB237_176 Depth=1
	s_or_b64 exec, exec, s[16:17]
	s_and_b64 s[0:1], s[0:1], exec
	s_or_saveexec_b64 s[12:13], s[12:13]
	v_mov_b32_e32 v29, s18
	s_xor_b64 exec, exec, s[12:13]
	s_cbranch_execz .LBB237_203
.LBB237_272:                            ;   in Loop: Header=BB237_176 Depth=1
	v_cmp_ne_u16_sdwa s[16:17], v2, v3 src0_sel:BYTE_0 src1_sel:DWORD
	s_andn2_b64 s[0:1], s[0:1], exec
	s_and_b64 s[16:17], s[16:17], exec
	v_mov_b32_e32 v29, 0
	s_or_b64 s[0:1], s[0:1], s[16:17]
	s_or_b64 exec, exec, s[12:13]
	s_and_saveexec_b64 s[12:13], s[0:1]
	s_cbranch_execnz .LBB237_204
	s_branch .LBB237_205
.LBB237_273:                            ;   in Loop: Header=BB237_176 Depth=1
	v_cmp_eq_u16_e32 vcc, s29, v2
	s_mov_b64 s[0:1], -1
                                        ; implicit-def: $sgpr18
	s_and_saveexec_b64 s[16:17], vcc
; %bb.274:                              ;   in Loop: Header=BB237_176 Depth=1
	s_mov_b32 s18, 0x7fc02000
	s_xor_b64 s[0:1], exec, -1
; %bb.275:                              ;   in Loop: Header=BB237_176 Depth=1
	s_or_b64 exec, exec, s[16:17]
	s_and_b64 s[0:1], s[0:1], exec
	s_or_saveexec_b64 s[12:13], s[12:13]
	v_mov_b32_e32 v30, s18
	s_xor_b64 exec, exec, s[12:13]
	s_cbranch_execz .LBB237_207
.LBB237_276:                            ;   in Loop: Header=BB237_176 Depth=1
	v_cmp_ne_u16_e32 vcc, 0, v2
	s_andn2_b64 s[0:1], s[0:1], exec
	s_and_b64 s[16:17], vcc, exec
	v_mov_b32_e32 v30, 0
	s_or_b64 s[0:1], s[0:1], s[16:17]
	s_or_b64 exec, exec, s[12:13]
	s_and_saveexec_b64 s[12:13], s[0:1]
	s_cbranch_execnz .LBB237_208
	s_branch .LBB237_209
.LBB237_277:                            ;   in Loop: Header=BB237_176 Depth=1
	v_cmp_eq_u16_sdwa s[42:43], v14, s29 src0_sel:BYTE_0 src1_sel:DWORD
	s_mov_b64 s[0:1], -1
                                        ; implicit-def: $sgpr18
	s_and_saveexec_b64 s[16:17], s[42:43]
; %bb.278:                              ;   in Loop: Header=BB237_176 Depth=1
	s_mov_b32 s18, 0x7fc02000
	s_xor_b64 s[0:1], exec, -1
; %bb.279:                              ;   in Loop: Header=BB237_176 Depth=1
	s_or_b64 exec, exec, s[16:17]
	s_and_b64 s[0:1], s[0:1], exec
	s_or_saveexec_b64 s[12:13], s[12:13]
	v_mov_b32_e32 v10, s18
	s_xor_b64 exec, exec, s[12:13]
	s_cbranch_execz .LBB237_213
.LBB237_280:                            ;   in Loop: Header=BB237_176 Depth=1
	v_cmp_ne_u16_sdwa s[16:17], v14, v3 src0_sel:BYTE_0 src1_sel:DWORD
	s_andn2_b64 s[0:1], s[0:1], exec
	s_and_b64 s[16:17], s[16:17], exec
	v_mov_b32_e32 v10, 0
	s_or_b64 s[0:1], s[0:1], s[16:17]
	s_or_b64 exec, exec, s[12:13]
	s_and_saveexec_b64 s[12:13], s[0:1]
	s_cbranch_execnz .LBB237_214
	s_branch .LBB237_215
.LBB237_281:                            ;   in Loop: Header=BB237_176 Depth=1
	v_cmp_eq_u16_e64 s[0:1], s29, v2
	s_mov_b64 s[12:13], -1
                                        ; implicit-def: $sgpr41
	s_and_saveexec_b64 s[18:19], s[0:1]
; %bb.282:                              ;   in Loop: Header=BB237_176 Depth=1
	s_mov_b32 s41, 0x7fc02000
	s_xor_b64 s[12:13], exec, -1
; %bb.283:                              ;   in Loop: Header=BB237_176 Depth=1
	s_or_b64 exec, exec, s[18:19]
	s_and_b64 s[12:13], s[12:13], exec
	s_or_saveexec_b64 s[16:17], s[16:17]
	v_mov_b32_e32 v16, s41
	s_xor_b64 exec, exec, s[16:17]
	s_cbranch_execz .LBB237_217
.LBB237_284:                            ;   in Loop: Header=BB237_176 Depth=1
	v_cmp_ne_u16_e64 s[0:1], 0, v2
	s_andn2_b64 s[12:13], s[12:13], exec
	s_and_b64 s[0:1], s[0:1], exec
	v_mov_b32_e32 v16, 0
	s_or_b64 s[12:13], s[12:13], s[0:1]
	s_or_b64 exec, exec, s[16:17]
	s_and_saveexec_b64 s[16:17], s[12:13]
	s_cbranch_execnz .LBB237_218
	s_branch .LBB237_219
.LBB237_285:                            ;   in Loop: Header=BB237_176 Depth=1
	v_cmp_eq_u16_sdwa s[42:43], v2, s29 src0_sel:BYTE_0 src1_sel:DWORD
	s_mov_b64 s[0:1], -1
                                        ; implicit-def: $sgpr18
	s_and_saveexec_b64 s[16:17], s[42:43]
; %bb.286:                              ;   in Loop: Header=BB237_176 Depth=1
	s_mov_b32 s18, 0x7fc02000
	s_xor_b64 s[0:1], exec, -1
; %bb.287:                              ;   in Loop: Header=BB237_176 Depth=1
	s_or_b64 exec, exec, s[16:17]
	s_and_b64 s[0:1], s[0:1], exec
	s_or_saveexec_b64 s[12:13], s[12:13]
	v_mov_b32_e32 v11, s18
	s_xor_b64 exec, exec, s[12:13]
	s_cbranch_execz .LBB237_221
.LBB237_288:                            ;   in Loop: Header=BB237_176 Depth=1
	v_cmp_ne_u16_sdwa s[16:17], v2, v3 src0_sel:BYTE_0 src1_sel:DWORD
	s_andn2_b64 s[0:1], s[0:1], exec
	s_and_b64 s[16:17], s[16:17], exec
	v_mov_b32_e32 v11, 0
	s_or_b64 s[0:1], s[0:1], s[16:17]
	s_or_b64 exec, exec, s[12:13]
	s_and_saveexec_b64 s[12:13], s[0:1]
	s_cbranch_execnz .LBB237_222
	s_branch .LBB237_223
.LBB237_289:                            ;   in Loop: Header=BB237_176 Depth=1
	v_cmp_eq_u16_e64 s[0:1], s29, v2
	s_mov_b64 s[12:13], -1
                                        ; implicit-def: $sgpr41
	s_and_saveexec_b64 s[18:19], s[0:1]
; %bb.290:                              ;   in Loop: Header=BB237_176 Depth=1
	s_mov_b32 s41, 0x7fc02000
	s_xor_b64 s[12:13], exec, -1
; %bb.291:                              ;   in Loop: Header=BB237_176 Depth=1
	s_or_b64 exec, exec, s[18:19]
	s_and_b64 s[12:13], s[12:13], exec
	s_or_saveexec_b64 s[16:17], s[16:17]
	v_mov_b32_e32 v17, s41
	s_xor_b64 exec, exec, s[16:17]
	s_cbranch_execz .LBB237_225
.LBB237_292:                            ;   in Loop: Header=BB237_176 Depth=1
	v_cmp_ne_u16_e64 s[0:1], 0, v2
	s_andn2_b64 s[12:13], s[12:13], exec
	s_and_b64 s[0:1], s[0:1], exec
	v_mov_b32_e32 v17, 0
	s_or_b64 s[12:13], s[12:13], s[0:1]
	s_or_b64 exec, exec, s[16:17]
	s_and_saveexec_b64 s[16:17], s[12:13]
	s_cbranch_execnz .LBB237_226
	s_branch .LBB237_227
.LBB237_293:                            ;   in Loop: Header=BB237_176 Depth=1
	v_cmp_eq_u16_sdwa s[42:43], v15, s29 src0_sel:BYTE_0 src1_sel:DWORD
	s_mov_b64 s[0:1], -1
                                        ; implicit-def: $sgpr18
	s_and_saveexec_b64 s[16:17], s[42:43]
; %bb.294:                              ;   in Loop: Header=BB237_176 Depth=1
	s_mov_b32 s18, 0x7fc02000
	s_xor_b64 s[0:1], exec, -1
; %bb.295:                              ;   in Loop: Header=BB237_176 Depth=1
	s_or_b64 exec, exec, s[16:17]
	s_and_b64 s[0:1], s[0:1], exec
	s_or_saveexec_b64 s[12:13], s[12:13]
	v_mov_b32_e32 v14, s18
	s_xor_b64 exec, exec, s[12:13]
	s_cbranch_execz .LBB237_229
.LBB237_296:                            ;   in Loop: Header=BB237_176 Depth=1
	v_cmp_ne_u16_sdwa s[16:17], v15, v3 src0_sel:BYTE_0 src1_sel:DWORD
	s_andn2_b64 s[0:1], s[0:1], exec
	s_and_b64 s[16:17], s[16:17], exec
	v_mov_b32_e32 v14, 0
	s_or_b64 s[0:1], s[0:1], s[16:17]
	s_or_b64 exec, exec, s[12:13]
	v_mov_b32_e32 v2, v15
	s_and_saveexec_b64 s[12:13], s[0:1]
	s_cbranch_execnz .LBB237_230
	s_branch .LBB237_231
.LBB237_297:                            ;   in Loop: Header=BB237_176 Depth=1
	v_cmp_eq_u16_e64 s[0:1], s29, v2
	s_mov_b64 s[12:13], -1
                                        ; implicit-def: $sgpr41
	s_and_saveexec_b64 s[18:19], s[0:1]
; %bb.298:                              ;   in Loop: Header=BB237_176 Depth=1
	s_mov_b32 s41, 0x7fc02000
	s_xor_b64 s[12:13], exec, -1
; %bb.299:                              ;   in Loop: Header=BB237_176 Depth=1
	s_or_b64 exec, exec, s[18:19]
	s_and_b64 s[12:13], s[12:13], exec
	s_or_saveexec_b64 s[16:17], s[16:17]
	v_mov_b32_e32 v39, s41
	s_xor_b64 exec, exec, s[16:17]
	s_cbranch_execz .LBB237_233
.LBB237_300:                            ;   in Loop: Header=BB237_176 Depth=1
	v_cmp_ne_u16_e64 s[0:1], 0, v2
	s_andn2_b64 s[12:13], s[12:13], exec
	s_and_b64 s[0:1], s[0:1], exec
	v_mov_b32_e32 v39, 0
	s_or_b64 s[12:13], s[12:13], s[0:1]
	s_or_b64 exec, exec, s[16:17]
	s_and_saveexec_b64 s[16:17], s[12:13]
	s_cbranch_execnz .LBB237_234
	s_branch .LBB237_235
.LBB237_301:                            ;   in Loop: Header=BB237_176 Depth=1
	v_cmp_eq_u16_sdwa s[42:43], v2, s29 src0_sel:BYTE_0 src1_sel:DWORD
	s_mov_b64 s[0:1], -1
                                        ; implicit-def: $sgpr18
	s_and_saveexec_b64 s[16:17], s[42:43]
; %bb.302:                              ;   in Loop: Header=BB237_176 Depth=1
	s_mov_b32 s18, 0x7fc02000
	s_xor_b64 s[0:1], exec, -1
; %bb.303:                              ;   in Loop: Header=BB237_176 Depth=1
	s_or_b64 exec, exec, s[16:17]
	s_and_b64 s[0:1], s[0:1], exec
	s_or_saveexec_b64 s[12:13], s[12:13]
	v_mov_b32_e32 v40, s18
	s_xor_b64 exec, exec, s[12:13]
	s_cbranch_execz .LBB237_237
.LBB237_304:                            ;   in Loop: Header=BB237_176 Depth=1
	v_cmp_ne_u16_sdwa s[16:17], v2, v3 src0_sel:BYTE_0 src1_sel:DWORD
	s_andn2_b64 s[0:1], s[0:1], exec
	s_and_b64 s[16:17], s[16:17], exec
	v_mov_b32_e32 v40, 0
	s_or_b64 s[0:1], s[0:1], s[16:17]
	s_or_b64 exec, exec, s[12:13]
	s_and_saveexec_b64 s[12:13], s[0:1]
	s_cbranch_execnz .LBB237_238
	s_branch .LBB237_239
.LBB237_305:                            ;   in Loop: Header=BB237_176 Depth=1
	v_cmp_eq_u16_e64 s[0:1], s29, v2
	s_mov_b64 s[12:13], -1
                                        ; implicit-def: $sgpr41
	s_and_saveexec_b64 s[18:19], s[0:1]
; %bb.306:                              ;   in Loop: Header=BB237_176 Depth=1
	s_mov_b32 s41, 0x7fc02000
	s_xor_b64 s[12:13], exec, -1
; %bb.307:                              ;   in Loop: Header=BB237_176 Depth=1
	s_or_b64 exec, exec, s[18:19]
	s_and_b64 s[12:13], s[12:13], exec
	s_or_saveexec_b64 s[16:17], s[16:17]
	v_mov_b32_e32 v41, s41
	s_xor_b64 exec, exec, s[16:17]
	s_cbranch_execz .LBB237_241
.LBB237_308:                            ;   in Loop: Header=BB237_176 Depth=1
	v_cmp_ne_u16_e64 s[0:1], 0, v2
	s_andn2_b64 s[12:13], s[12:13], exec
	s_and_b64 s[0:1], s[0:1], exec
	v_mov_b32_e32 v41, 0
	s_or_b64 s[12:13], s[12:13], s[0:1]
	s_or_b64 exec, exec, s[16:17]
	s_and_saveexec_b64 s[16:17], s[12:13]
	s_cbranch_execnz .LBB237_242
	s_branch .LBB237_243
.LBB237_309:
	s_or_b64 exec, exec, s[6:7]
.LBB237_310:
	s_or_b64 exec, exec, s[2:3]
	ds_bpermute_b32 v2, v21, v4
	ds_bpermute_b32 v3, v21, v5
	v_and_b32_e32 v1, 0x3c1, v0
	v_cmp_eq_u32_e32 vcc, 64, v1
	s_waitcnt lgkmcnt(0)
	s_barrier
	v_pk_add_f32 v[2:3], v[4:5], v[2:3]
	s_and_saveexec_b64 s[0:1], vcc
	s_cbranch_execz .LBB237_312
; %bb.311:
	v_mov_b32_e32 v4, 0x90
	v_lshl_add_u32 v4, v20, 1, v4
	ds_write2_b32 v4, v2, v3 offset1:32
.LBB237_312:
	s_or_b64 exec, exec, s[0:1]
	v_cmp_gt_u32_e32 vcc, 64, v0
	s_waitcnt lgkmcnt(0)
	s_barrier
	s_and_saveexec_b64 s[0:1], vcc
	s_cbranch_execz .LBB237_318
; %bb.313:
	v_cmp_eq_u32_e32 vcc, 0, v22
	v_lshrrev_b32_e32 v4, 1, v0
	s_and_saveexec_b64 s[2:3], vcc
	s_cbranch_execz .LBB237_315
; %bb.314:
	v_mov_b32_e32 v5, 0x90
	v_lshl_add_u32 v5, v4, 2, v5
	ds_read_b32 v5, v5
	s_waitcnt lgkmcnt(0)
	v_add_f32_e32 v2, v2, v5
.LBB237_315:
	s_or_b64 exec, exec, s[2:3]
	s_and_saveexec_b64 s[2:3], vcc
	s_cbranch_execz .LBB237_317
; %bb.316:
	v_mov_b32_e32 v5, 0x90
	v_lshl_add_u32 v4, v4, 2, v5
	ds_read_b32 v4, v4 offset:128
	s_waitcnt lgkmcnt(0)
	v_add_f32_e32 v3, v3, v4
.LBB237_317:
	s_or_b64 exec, exec, s[2:3]
.LBB237_318:
	s_or_b64 exec, exec, s[0:1]
	v_cmp_eq_u32_e32 vcc, 0, v1
	s_barrier
	s_and_saveexec_b64 s[0:1], vcc
	s_cbranch_execz .LBB237_320
; %bb.319:
	s_mul_i32 s0, s10, s20
	s_mul_i32 s0, s0, s5
	s_lshl_b32 s0, s0, 6
	s_ashr_i32 s1, s0, 31
	s_lshl_b64 s[0:1], s[0:1], 1
	s_add_u32 s2, s26, s0
	s_mul_i32 s0, s20, s24
	s_addc_u32 s3, s27, s1
	s_ashr_i32 s1, s0, 31
	s_lshl_b64 s[0:1], s[0:1], 1
	s_add_u32 s2, s2, s0
	s_addc_u32 s3, s3, s1
	s_lshl_b32 s0, s4, 6
	s_ashr_i32 s1, s0, 31
	s_lshl_b64 s[0:1], s[0:1], 1
	s_add_u32 s0, s2, s0
	s_addc_u32 s1, s3, s1
	;;#ASMSTART
	v_cvt_f16_f32 v1, v2;

	;;#ASMEND
	global_store_short v0, v1, s[0:1]
	;;#ASMSTART
	v_cvt_f16_f32 v1, v3;

	;;#ASMEND
	global_store_short v0, v1, s[0:1] offset:64
.LBB237_320:
	s_endpgm
	.section	.rodata,"a",@progbits
	.p2align	6, 0x0
	.amdhsa_kernel _ZN4vllm25paged_attention_v1_kernelIthLi64ELi16ELi128ELNS_18Fp8KVCacheDataTypeE1ELb1EEEvPT_PKS2_PKT0_S8_ifPKiSA_iPKfiiiSC_SC_iiiii
		.amdhsa_group_segment_fixed_size 144
		.amdhsa_private_segment_fixed_size 0
		.amdhsa_kernarg_size 384
		.amdhsa_user_sgpr_count 2
		.amdhsa_user_sgpr_dispatch_ptr 0
		.amdhsa_user_sgpr_queue_ptr 0
		.amdhsa_user_sgpr_kernarg_segment_ptr 1
		.amdhsa_user_sgpr_dispatch_id 0
		.amdhsa_user_sgpr_kernarg_preload_length 0
		.amdhsa_user_sgpr_kernarg_preload_offset 0
		.amdhsa_user_sgpr_private_segment_size 0
		.amdhsa_uses_dynamic_stack 0
		.amdhsa_enable_private_segment 0
		.amdhsa_system_sgpr_workgroup_id_x 1
		.amdhsa_system_sgpr_workgroup_id_y 1
		.amdhsa_system_sgpr_workgroup_id_z 1
		.amdhsa_system_sgpr_workgroup_info 0
		.amdhsa_system_vgpr_workitem_id 0
		.amdhsa_next_free_vgpr 49
		.amdhsa_next_free_sgpr 58
		.amdhsa_accum_offset 52
		.amdhsa_reserve_vcc 1
		.amdhsa_float_round_mode_32 0
		.amdhsa_float_round_mode_16_64 0
		.amdhsa_float_denorm_mode_32 3
		.amdhsa_float_denorm_mode_16_64 3
		.amdhsa_dx10_clamp 1
		.amdhsa_ieee_mode 1
		.amdhsa_fp16_overflow 0
		.amdhsa_tg_split 0
		.amdhsa_exception_fp_ieee_invalid_op 0
		.amdhsa_exception_fp_denorm_src 0
		.amdhsa_exception_fp_ieee_div_zero 0
		.amdhsa_exception_fp_ieee_overflow 0
		.amdhsa_exception_fp_ieee_underflow 0
		.amdhsa_exception_fp_ieee_inexact 0
		.amdhsa_exception_int_div_zero 0
	.end_amdhsa_kernel
	.section	.text._ZN4vllm25paged_attention_v1_kernelIthLi64ELi16ELi128ELNS_18Fp8KVCacheDataTypeE1ELb1EEEvPT_PKS2_PKT0_S8_ifPKiSA_iPKfiiiSC_SC_iiiii,"axG",@progbits,_ZN4vllm25paged_attention_v1_kernelIthLi64ELi16ELi128ELNS_18Fp8KVCacheDataTypeE1ELb1EEEvPT_PKS2_PKT0_S8_ifPKiSA_iPKfiiiSC_SC_iiiii,comdat
.Lfunc_end237:
	.size	_ZN4vllm25paged_attention_v1_kernelIthLi64ELi16ELi128ELNS_18Fp8KVCacheDataTypeE1ELb1EEEvPT_PKS2_PKT0_S8_ifPKiSA_iPKfiiiSC_SC_iiiii, .Lfunc_end237-_ZN4vllm25paged_attention_v1_kernelIthLi64ELi16ELi128ELNS_18Fp8KVCacheDataTypeE1ELb1EEEvPT_PKS2_PKT0_S8_ifPKiSA_iPKfiiiSC_SC_iiiii
                                        ; -- End function
	.section	.AMDGPU.csdata,"",@progbits
; Kernel info:
; codeLenInByte = 13576
; NumSgprs: 64
; NumVgprs: 49
; NumAgprs: 0
; TotalNumVgprs: 49
; ScratchSize: 0
; MemoryBound: 0
; FloatMode: 240
; IeeeMode: 1
; LDSByteSize: 144 bytes/workgroup (compile time only)
; SGPRBlocks: 7
; VGPRBlocks: 6
; NumSGPRsForWavesPerEU: 64
; NumVGPRsForWavesPerEU: 49
; AccumOffset: 52
; Occupancy: 8
; WaveLimiterHint : 1
; COMPUTE_PGM_RSRC2:SCRATCH_EN: 0
; COMPUTE_PGM_RSRC2:USER_SGPR: 2
; COMPUTE_PGM_RSRC2:TRAP_HANDLER: 0
; COMPUTE_PGM_RSRC2:TGID_X_EN: 1
; COMPUTE_PGM_RSRC2:TGID_Y_EN: 1
; COMPUTE_PGM_RSRC2:TGID_Z_EN: 1
; COMPUTE_PGM_RSRC2:TIDIG_COMP_CNT: 0
; COMPUTE_PGM_RSRC3_GFX90A:ACCUM_OFFSET: 12
; COMPUTE_PGM_RSRC3_GFX90A:TG_SPLIT: 0
	.section	.text._ZN4vllm25paged_attention_v1_kernelIthLi80ELi16ELi128ELNS_18Fp8KVCacheDataTypeE1ELb1EEEvPT_PKS2_PKT0_S8_ifPKiSA_iPKfiiiSC_SC_iiiii,"axG",@progbits,_ZN4vllm25paged_attention_v1_kernelIthLi80ELi16ELi128ELNS_18Fp8KVCacheDataTypeE1ELb1EEEvPT_PKS2_PKT0_S8_ifPKiSA_iPKfiiiSC_SC_iiiii,comdat
	.protected	_ZN4vllm25paged_attention_v1_kernelIthLi80ELi16ELi128ELNS_18Fp8KVCacheDataTypeE1ELb1EEEvPT_PKS2_PKT0_S8_ifPKiSA_iPKfiiiSC_SC_iiiii ; -- Begin function _ZN4vllm25paged_attention_v1_kernelIthLi80ELi16ELi128ELNS_18Fp8KVCacheDataTypeE1ELb1EEEvPT_PKS2_PKT0_S8_ifPKiSA_iPKfiiiSC_SC_iiiii
	.globl	_ZN4vllm25paged_attention_v1_kernelIthLi80ELi16ELi128ELNS_18Fp8KVCacheDataTypeE1ELb1EEEvPT_PKS2_PKT0_S8_ifPKiSA_iPKfiiiSC_SC_iiiii
	.p2align	8
	.type	_ZN4vllm25paged_attention_v1_kernelIthLi80ELi16ELi128ELNS_18Fp8KVCacheDataTypeE1ELb1EEEvPT_PKS2_PKT0_S8_ifPKiSA_iPKfiiiSC_SC_iiiii,@function
_ZN4vllm25paged_attention_v1_kernelIthLi80ELi16ELi128ELNS_18Fp8KVCacheDataTypeE1ELb1EEEvPT_PKS2_PKT0_S8_ifPKiSA_iPKfiiiSC_SC_iiiii: ; @_ZN4vllm25paged_attention_v1_kernelIthLi80ELi16ELi128ELNS_18Fp8KVCacheDataTypeE1ELb1EEEvPT_PKS2_PKT0_S8_ifPKiSA_iPKfiiiSC_SC_iiiii
; %bb.0:
	s_load_dword s5, s[0:1], 0x80
	s_load_dwordx2 s[6:7], s[0:1], 0x30
	s_load_dwordx2 s[36:37], s[0:1], 0x20
	s_mov_b32 s10, s3
	s_ashr_i32 s11, s3, 31
	s_lshl_b64 s[8:9], s[10:11], 2
	s_waitcnt lgkmcnt(0)
	s_add_u32 s6, s6, s8
	s_addc_u32 s7, s7, s9
	s_abs_i32 s3, s36
	v_cvt_f32_u32_e32 v1, s3
	s_sub_i32 s11, 0, s3
	s_abs_i32 s9, s5
	s_xor_b32 s8, s5, s36
	v_rcp_iflag_f32_e32 v1, v1
	s_ashr_i32 s8, s8, 31
	s_mov_b32 s49, 0
	v_mul_f32_e32 v1, 0x4f7ffffe, v1
	v_cvt_u32_f32_e32 v1, v1
	s_nop 0
	v_readfirstlane_b32 s12, v1
	s_mul_i32 s11, s11, s12
	s_mul_hi_u32 s11, s12, s11
	s_add_i32 s12, s12, s11
	s_mul_hi_u32 s11, s9, s12
	s_mul_i32 s12, s11, s3
	s_sub_i32 s9, s9, s12
	s_add_i32 s12, s11, 1
	s_sub_i32 s13, s9, s3
	s_cmp_ge_u32 s9, s3
	s_cselect_b32 s11, s12, s11
	s_cselect_b32 s9, s13, s9
	s_add_i32 s12, s11, 1
	s_cmp_ge_u32 s9, s3
	s_cselect_b32 s3, s12, s11
	s_xor_b32 s3, s3, s8
	s_sub_i32 s14, s3, s8
	s_abs_i32 s11, s14
	v_cvt_f32_u32_e32 v1, s11
	s_load_dwordx2 s[8:9], s[0:1], 0x40
	s_sub_i32 s3, 0, s11
	s_abs_i32 s12, s2
	v_rcp_iflag_f32_e32 v1, v1
	s_nop 0
	v_mul_f32_e32 v1, 0x4f7ffffe, v1
	v_cvt_u32_f32_e32 v1, v1
	s_nop 0
	v_readfirstlane_b32 s13, v1
	s_mul_i32 s3, s3, s13
	s_mul_hi_u32 s3, s13, s3
	s_add_i32 s13, s13, s3
	s_waitcnt lgkmcnt(0)
	s_cmp_eq_u64 s[8:9], 0
	s_mul_hi_u32 s13, s12, s13
	s_cbranch_scc1 .LBB238_2
; %bb.1:
	s_ashr_i32 s3, s2, 31
	s_lshl_b64 s[16:17], s[2:3], 2
	s_add_u32 s8, s8, s16
	s_addc_u32 s9, s9, s17
	s_load_dword s49, s[8:9], 0x0
.LBB238_2:
	s_load_dword s33, s[6:7], 0x0
	s_load_dwordx4 s[16:19], s[0:1], 0x48
	s_ashr_i32 s3, s2, 31
	s_ashr_i32 s9, s14, 31
	v_and_b32_e32 v7, 3, v0
	s_mul_i32 s24, s2, 0x50
	v_cmp_gt_u32_e32 vcc, 40, v0
	s_and_saveexec_b64 s[6:7], vcc
	s_cbranch_execz .LBB238_4
; %bb.3:
	s_load_dwordx2 s[14:15], s[0:1], 0x8
	s_waitcnt lgkmcnt(0)
	s_mul_i32 s20, s10, s16
	s_ashr_i32 s21, s20, 31
	s_lshl_b64 s[20:21], s[20:21], 1
	v_lshlrev_b32_e32 v1, 2, v0
	s_add_u32 s8, s14, s20
	s_addc_u32 s16, s15, s21
	s_ashr_i32 s25, s24, 31
	s_lshl_b64 s[14:15], s[24:25], 1
	s_add_u32 s14, s8, s14
	s_addc_u32 s15, s16, s15
	global_load_dword v1, v1, s[14:15]
	v_and_b32_e32 v2, 0x3fc, v0
	v_mad_u32_u24 v2, v7, 40, v2
	s_waitcnt vmcnt(0)
	ds_write_b32 v2, v1
.LBB238_4:
	s_or_b64 exec, exec, s[6:7]
	s_mul_i32 s6, s13, s11
	s_sub_i32 s6, s12, s6
	s_xor_b32 s3, s3, s9
	s_add_i32 s7, s13, 1
	s_sub_i32 s9, s6, s11
	s_load_dwordx4 s[20:23], s[0:1], 0x68
	s_load_dword s8, s[0:1], 0x78
	s_cmp_ge_u32 s6, s11
	s_cselect_b32 s7, s7, s13
	s_cselect_b32 s6, s9, s6
	s_add_i32 s9, s7, 1
	s_cmp_ge_u32 s6, s11
	s_cselect_b32 s6, s9, s7
	s_waitcnt lgkmcnt(0)
	s_abs_i32 s25, s23
	v_cvt_f32_u32_e32 v1, s25
	s_xor_b32 s6, s6, s3
	s_sub_i32 s3, s6, s3
	s_sub_i32 s6, 0, s25
	v_rcp_iflag_f32_e32 v1, v1
	s_add_i32 s11, s33, -1
	s_abs_i32 s9, s11
	v_mul_f32_e32 v1, 0x4f7ffffe, v1
	v_cvt_u32_f32_e32 v1, v1
	s_barrier
	v_readfirstlane_b32 s46, v1
	s_mul_i32 s6, s6, s46
	s_mul_hi_u32 s6, s46, s6
	s_add_i32 s46, s46, s6
	s_cmp_lt_i32 s8, 0
	s_mul_hi_u32 s16, s9, s46
	s_cbranch_scc0 .LBB238_6
; %bb.5:
	s_mul_i32 s6, s20, s36
	s_add_i32 s6, s3, s6
	s_mul_i32 s6, s6, s8
	s_sub_i32 s36, 1, s6
	s_mov_b64 s[6:7], 0
	s_branch .LBB238_7
.LBB238_6:
	s_mov_b64 s[6:7], -1
                                        ; implicit-def: $sgpr36
.LBB238_7:
	s_load_dwordx2 s[28:29], s[0:1], 0x28
	s_ashr_i32 s19, s11, 31
	s_andn2_b64 vcc, exec, s[6:7]
	s_ashr_i32 s47, s23, 31
	s_cbranch_vccnz .LBB238_9
; %bb.8:
	s_mul_i32 s6, s5, s20
	s_add_i32 s2, s6, s2
	s_mul_i32 s2, s2, s8
	s_add_i32 s36, s2, 1
.LBB238_9:
	s_load_dword s2, s[0:1], 0x38
	s_load_dwordx2 s[26:27], s[0:1], 0x0
	s_load_dwordx2 s[34:35], s[0:1], 0x18
	s_load_dword s11, s[0:1], 0x88
	s_load_dwordx4 s[12:15], s[0:1], 0x58
	s_mul_i32 s6, s16, s25
	s_waitcnt lgkmcnt(0)
	s_mul_i32 s30, s10, s2
	s_sub_i32 s6, s9, s6
	s_ashr_i32 s31, s30, 31
	s_xor_b32 s2, s19, s47
	s_add_i32 s7, s16, 1
	s_sub_i32 s8, s6, s25
	s_cmp_ge_u32 s6, s25
	s_cselect_b32 s7, s7, s16
	s_cselect_b32 s6, s8, s6
	s_add_i32 s8, s7, 1
	s_cmp_ge_u32 s6, s25
	s_cselect_b32 s6, s8, s7
	s_xor_b32 s6, s6, s2
	s_sub_i32 s16, s6, s2
	s_add_i32 s2, s33, 15
	s_ashr_i32 s6, s2, 31
	s_lshr_b32 s6, s6, 28
	s_add_i32 s2, s2, s6
	s_ashr_i32 s48, s2, 4
	v_lshrrev_b32_e32 v1, 6, v0
	v_cmp_gt_i32_e64 s[6:7], s48, v1
	v_mov_b32_e32 v16, 0xff7fffff
	s_mul_i32 s20, s3, s18
	v_lshrrev_b32_e32 v12, 4, v0
	v_lshlrev_b32_e32 v26, 4, v1
	v_mbcnt_lo_u32_b32 v13, -1, 0
	s_and_saveexec_b64 s[18:19], s[6:7]
	s_cbranch_execz .LBB238_179
; %bb.10:
	s_load_dwordx2 s[0:1], s[0:1], 0x10
	s_sub_i32 s23, s16, s21
	s_ashr_i32 s2, s20, 31
	v_bfe_u32 v14, v0, 2, 4
	v_lshlrev_b32_e32 v2, 4, v14
	s_waitcnt lgkmcnt(0)
	s_add_u32 s0, s0, s20
	s_addc_u32 s1, s1, s2
	s_abs_i32 s50, s22
	v_cvt_f32_u32_e32 v4, s50
	v_mov_b32_e32 v3, 0
	v_cmp_eq_u32_e32 vcc, 0, v7
	s_mov_b32 s51, s17
	v_rcp_iflag_f32_e32 v8, v4
	v_lshl_add_u64 v[4:5], s[0:1], 0, v[2:3]
	s_sub_i32 s0, 0, s50
	v_lshlrev_b32_e32 v6, 1, v7
	v_mul_f32_e32 v2, 0x4f7ffffe, v8
	v_cvt_u32_f32_e32 v2, v2
	v_mul_u32_u24_e32 v15, 40, v7
	v_cmp_neq_f32_e64 s[2:3], s49, 0
	v_mov_b32_e32 v7, v3
	v_mul_lo_u32 v8, s0, v2
	s_lshl_b64 s[0:1], s[30:31], 2
	v_mul_hi_u32 v8, v2, v8
	s_add_u32 s0, s28, s0
	v_add_u32_e32 v17, v2, v8
	v_and_b32_e32 v2, 60, v12
	s_addc_u32 s1, s29, s1
	v_lshl_add_u64 v[8:9], s[0:1], 0, v[2:3]
	v_lshlrev_b32_e32 v2, 2, v14
	v_lshl_or_b32 v2, v1, 6, v2
	v_add_u32_e32 v19, 0xb0, v2
	v_subrev_u32_e32 v2, s33, v14
	v_lshlrev_b32_e32 v18, 4, v1
	v_add_u32_e32 v20, 1, v2
	s_mov_b64 s[38:39], 0
	v_mov_b32_e32 v21, 0xff7fffff
	s_movk_i32 s52, 0x7f
	s_movk_i32 s53, 0x80
	s_mov_b32 s54, 0x8000
	v_mov_b32_e32 v22, 0x1c00
	v_mbcnt_hi_u32_b32 v23, -1, v13
	v_mov_b32_e32 v16, 0xff7fffff
	v_mov_b32_e32 v24, v1
	s_branch .LBB238_13
.LBB238_11:                             ;   in Loop: Header=BB238_13 Depth=1
	s_or_b64 exec, exec, s[40:41]
.LBB238_12:                             ;   in Loop: Header=BB238_13 Depth=1
	s_or_b64 exec, exec, s[8:9]
	v_add_u32_e32 v24, 2, v24
	v_cmp_le_i32_e64 s[0:1], s48, v24
	v_lshl_add_u64 v[8:9], v[8:9], 0, 8
	v_add_u32_e32 v18, 32, v18
	s_or_b64 s[38:39], s[0:1], s[38:39]
	v_add_u32_e32 v19, 0x80, v19
	s_andn2_b64 exec, exec, s[38:39]
	s_cbranch_execz .LBB238_178
.LBB238_13:                             ; =>This Inner Loop Header: Depth=1
	v_mul_hi_u32 v2, v18, s46
	s_waitcnt lgkmcnt(0)
	v_mul_lo_u32 v10, v2, s25
	v_sub_u32_e32 v10, v18, v10
	v_add_u32_e32 v11, 1, v2
	v_cmp_le_u32_e64 s[0:1], s25, v10
	s_nop 1
	v_cndmask_b32_e64 v2, v2, v11, s[0:1]
	v_subrev_u32_e32 v11, s25, v10
	v_cndmask_b32_e64 v10, v10, v11, s[0:1]
	v_add_u32_e32 v11, 1, v2
	v_cmp_le_u32_e64 s[0:1], s25, v10
	s_nop 1
	v_cndmask_b32_e64 v2, v2, v11, s[0:1]
	v_xor_b32_e32 v2, s47, v2
	v_subrev_u32_e32 v2, s47, v2
	v_add_u32_e32 v10, s36, v2
	v_sub_u32_e32 v25, 0, v10
	v_ashrrev_i32_e32 v11, 31, v10
	v_max_i32_e32 v10, v10, v25
	v_mul_hi_u32 v25, v10, v17
	v_mul_lo_u32 v25, v25, s50
	v_sub_u32_e32 v10, v10, v25
	v_subrev_u32_e32 v25, s50, v10
	v_cmp_le_u32_e64 s[0:1], s50, v10
	v_cmp_ge_i32_e64 s[8:9], s23, v2
	s_nop 0
	v_cndmask_b32_e64 v10, v10, v25, s[0:1]
	v_subrev_u32_e32 v25, s50, v10
	v_cmp_le_u32_e64 s[0:1], s50, v10
	s_nop 1
	v_cndmask_b32_e64 v10, v10, v25, s[0:1]
	v_xor_b32_e32 v10, v10, v11
	v_sub_u32_e32 v10, v10, v11
	v_cmp_ne_u32_e64 s[0:1], 0, v10
	s_and_b64 s[0:1], s[0:1], s[8:9]
	s_and_b64 s[40:41], vcc, s[0:1]
	s_and_saveexec_b64 s[8:9], s[40:41]
	s_cbranch_execz .LBB238_15
; %bb.14:                               ;   in Loop: Header=BB238_13 Depth=1
	ds_write_b32 v19, v21
.LBB238_15:                             ;   in Loop: Header=BB238_13 Depth=1
	s_or_b64 exec, exec, s[8:9]
	s_xor_b64 s[0:1], s[0:1], -1
	s_and_saveexec_b64 s[8:9], s[0:1]
	s_cbranch_execz .LBB238_12
; %bb.16:                               ;   in Loop: Header=BB238_13 Depth=1
	global_load_dword v2, v[8:9], off
                                        ; implicit-def: $sgpr44
	s_waitcnt vmcnt(0)
	v_mad_i64_i32 v[10:11], s[0:1], v2, s51, v[4:5]
	v_lshl_add_u64 v[10:11], v[10:11], 0, v[6:7]
	global_load_ushort v2, v[10:11], off
	global_load_dword v25, v3, s[12:13]
	s_mov_b64 s[0:1], 0
	s_waitcnt vmcnt(1)
	v_cmp_gt_i16_sdwa s[40:41], v2, s52 src0_sel:BYTE_0 src1_sel:DWORD
	s_and_saveexec_b64 s[42:43], s[40:41]
	s_xor_b64 s[40:41], exec, s[42:43]
	s_cbranch_execnz .LBB238_98
; %bb.17:                               ;   in Loop: Header=BB238_13 Depth=1
	s_or_saveexec_b64 s[40:41], s[40:41]
	v_mov_b32_e32 v27, s44
	s_xor_b64 exec, exec, s[40:41]
	s_cbranch_execnz .LBB238_101
.LBB238_18:                             ;   in Loop: Header=BB238_13 Depth=1
	s_or_b64 exec, exec, s[40:41]
	v_and_b32_e32 v2, 0xffff, v2
	s_and_saveexec_b64 s[40:41], s[0:1]
	s_cbranch_execz .LBB238_20
.LBB238_19:                             ;   in Loop: Header=BB238_13 Depth=1
	v_and_b32_e32 v27, 7, v2
	v_ffbh_u32_e32 v28, v27
	v_min_u32_e32 v31, 32, v28
	v_subrev_u32_e32 v28, 28, v31
	v_bfe_u32 v30, v2, 3, 4
	v_lshlrev_b64 v[28:29], v28, v[2:3]
	v_sub_u32_e32 v29, 29, v31
	v_cmp_eq_u32_e64 s[0:1], 0, v30
	v_and_b32_e32 v28, 7, v28
	s_nop 0
	v_cndmask_b32_e64 v29, v30, v29, s[0:1]
	v_cndmask_b32_e64 v27, v27, v28, s[0:1]
	v_lshlrev_b32_e32 v28, 8, v2
	v_lshl_add_u32 v29, v29, 10, v22
	v_and_or_b32 v28, v28, s54, v29
	v_lshl_or_b32 v27, v27, 7, v28
	v_cvt_f32_f16_e32 v27, v27
.LBB238_20:                             ;   in Loop: Header=BB238_13 Depth=1
	s_or_b64 exec, exec, s[40:41]
	v_lshrrev_b16_e32 v2, 8, v2
	v_cmp_lt_i16_e64 s[0:1], s52, v2
	s_mov_b64 s[40:41], 0
                                        ; implicit-def: $sgpr55
	s_and_saveexec_b64 s[42:43], s[0:1]
	s_xor_b64 s[42:43], exec, s[42:43]
	s_cbranch_execnz .LBB238_102
; %bb.21:                               ;   in Loop: Header=BB238_13 Depth=1
	s_or_saveexec_b64 s[42:43], s[42:43]
	v_mov_b32_e32 v28, s55
	s_xor_b64 exec, exec, s[42:43]
	s_cbranch_execnz .LBB238_105
.LBB238_22:                             ;   in Loop: Header=BB238_13 Depth=1
	s_or_b64 exec, exec, s[42:43]
	s_and_saveexec_b64 s[42:43], s[40:41]
	s_cbranch_execz .LBB238_24
.LBB238_23:                             ;   in Loop: Header=BB238_13 Depth=1
	v_and_b32_e32 v30, 7, v2
	v_ffbh_u32_e32 v28, v30
	v_min_u32_e32 v32, 32, v28
	v_subrev_u32_e32 v28, 28, v32
	v_bfe_u32 v31, v2, 3, 4
	v_lshlrev_b64 v[28:29], v28, v[2:3]
	v_sub_u32_e32 v29, 29, v32
	v_cmp_eq_u32_e64 s[0:1], 0, v31
	v_and_b32_e32 v28, 7, v28
	v_lshlrev_b32_e32 v2, 8, v2
	v_cndmask_b32_e64 v29, v31, v29, s[0:1]
	v_lshl_add_u32 v29, v29, 10, v22
	v_cndmask_b32_e64 v28, v30, v28, s[0:1]
	v_and_or_b32 v2, v2, s54, v29
	v_lshl_or_b32 v2, v28, 7, v2
	v_cvt_f32_f16_e32 v28, v2
.LBB238_24:                             ;   in Loop: Header=BB238_13 Depth=1
	s_or_b64 exec, exec, s[42:43]
	global_load_ushort v2, v[10:11], off offset:8
	s_mov_b64 s[0:1], 0
                                        ; implicit-def: $sgpr44
	s_waitcnt vmcnt(0)
	v_cmp_gt_i16_sdwa s[40:41], v2, s52 src0_sel:BYTE_0 src1_sel:DWORD
	s_and_saveexec_b64 s[42:43], s[40:41]
	s_xor_b64 s[40:41], exec, s[42:43]
	s_cbranch_execnz .LBB238_106
; %bb.25:                               ;   in Loop: Header=BB238_13 Depth=1
	s_or_saveexec_b64 s[40:41], s[40:41]
	v_mov_b32_e32 v29, s44
	s_xor_b64 exec, exec, s[40:41]
	s_cbranch_execnz .LBB238_109
.LBB238_26:                             ;   in Loop: Header=BB238_13 Depth=1
	s_or_b64 exec, exec, s[40:41]
	v_and_b32_e32 v2, 0xffff, v2
	s_and_saveexec_b64 s[40:41], s[0:1]
	s_cbranch_execz .LBB238_28
.LBB238_27:                             ;   in Loop: Header=BB238_13 Depth=1
	v_and_b32_e32 v29, 7, v2
	v_ffbh_u32_e32 v30, v29
	v_min_u32_e32 v33, 32, v30
	v_subrev_u32_e32 v30, 28, v33
	v_bfe_u32 v32, v2, 3, 4
	v_lshlrev_b64 v[30:31], v30, v[2:3]
	v_sub_u32_e32 v31, 29, v33
	v_cmp_eq_u32_e64 s[0:1], 0, v32
	v_and_b32_e32 v30, 7, v30
	s_nop 0
	v_cndmask_b32_e64 v31, v32, v31, s[0:1]
	v_cndmask_b32_e64 v29, v29, v30, s[0:1]
	v_lshlrev_b32_e32 v30, 8, v2
	v_lshl_add_u32 v31, v31, 10, v22
	v_and_or_b32 v30, v30, s54, v31
	v_lshl_or_b32 v29, v29, 7, v30
	v_cvt_f32_f16_e32 v29, v29
.LBB238_28:                             ;   in Loop: Header=BB238_13 Depth=1
	s_or_b64 exec, exec, s[40:41]
	v_lshrrev_b16_e32 v2, 8, v2
	v_cmp_lt_i16_e64 s[0:1], s52, v2
	s_mov_b64 s[40:41], 0
                                        ; implicit-def: $sgpr55
	s_and_saveexec_b64 s[42:43], s[0:1]
	s_xor_b64 s[42:43], exec, s[42:43]
	s_cbranch_execnz .LBB238_110
; %bb.29:                               ;   in Loop: Header=BB238_13 Depth=1
	s_or_saveexec_b64 s[42:43], s[42:43]
	v_mov_b32_e32 v30, s55
	s_xor_b64 exec, exec, s[42:43]
	s_cbranch_execnz .LBB238_113
.LBB238_30:                             ;   in Loop: Header=BB238_13 Depth=1
	s_or_b64 exec, exec, s[42:43]
	s_and_saveexec_b64 s[42:43], s[40:41]
	s_cbranch_execz .LBB238_32
.LBB238_31:                             ;   in Loop: Header=BB238_13 Depth=1
	v_and_b32_e32 v32, 7, v2
	v_ffbh_u32_e32 v30, v32
	v_min_u32_e32 v34, 32, v30
	v_subrev_u32_e32 v30, 28, v34
	v_bfe_u32 v33, v2, 3, 4
	v_lshlrev_b64 v[30:31], v30, v[2:3]
	v_sub_u32_e32 v31, 29, v34
	v_cmp_eq_u32_e64 s[0:1], 0, v33
	v_and_b32_e32 v30, 7, v30
	v_lshlrev_b32_e32 v2, 8, v2
	v_cndmask_b32_e64 v31, v33, v31, s[0:1]
	v_lshl_add_u32 v31, v31, 10, v22
	v_cndmask_b32_e64 v30, v32, v30, s[0:1]
	v_and_or_b32 v2, v2, s54, v31
	v_lshl_or_b32 v2, v30, 7, v2
	v_cvt_f32_f16_e32 v30, v2
.LBB238_32:                             ;   in Loop: Header=BB238_13 Depth=1
	s_or_b64 exec, exec, s[42:43]
	global_load_ushort v2, v[10:11], off offset:256
	s_mov_b64 s[0:1], 0
                                        ; implicit-def: $sgpr44
	s_waitcnt vmcnt(0)
	v_cmp_gt_i16_sdwa s[40:41], v2, s52 src0_sel:BYTE_0 src1_sel:DWORD
	s_and_saveexec_b64 s[42:43], s[40:41]
	s_xor_b64 s[40:41], exec, s[42:43]
	s_cbranch_execnz .LBB238_114
; %bb.33:                               ;   in Loop: Header=BB238_13 Depth=1
	s_or_saveexec_b64 s[40:41], s[40:41]
	v_mov_b32_e32 v31, s44
	s_xor_b64 exec, exec, s[40:41]
	s_cbranch_execnz .LBB238_117
.LBB238_34:                             ;   in Loop: Header=BB238_13 Depth=1
	s_or_b64 exec, exec, s[40:41]
	v_and_b32_e32 v2, 0xffff, v2
	s_and_saveexec_b64 s[40:41], s[0:1]
	s_cbranch_execz .LBB238_36
.LBB238_35:                             ;   in Loop: Header=BB238_13 Depth=1
	v_and_b32_e32 v31, 7, v2
	v_ffbh_u32_e32 v32, v31
	v_min_u32_e32 v35, 32, v32
	v_subrev_u32_e32 v32, 28, v35
	v_bfe_u32 v34, v2, 3, 4
	v_lshlrev_b64 v[32:33], v32, v[2:3]
	v_sub_u32_e32 v33, 29, v35
	v_cmp_eq_u32_e64 s[0:1], 0, v34
	v_and_b32_e32 v32, 7, v32
	s_nop 0
	v_cndmask_b32_e64 v33, v34, v33, s[0:1]
	v_cndmask_b32_e64 v31, v31, v32, s[0:1]
	v_lshlrev_b32_e32 v32, 8, v2
	v_lshl_add_u32 v33, v33, 10, v22
	v_and_or_b32 v32, v32, s54, v33
	v_lshl_or_b32 v31, v31, 7, v32
	v_cvt_f32_f16_e32 v31, v31
.LBB238_36:                             ;   in Loop: Header=BB238_13 Depth=1
	s_or_b64 exec, exec, s[40:41]
	v_lshrrev_b16_e32 v2, 8, v2
	v_cmp_lt_i16_e64 s[0:1], s52, v2
	s_mov_b64 s[40:41], 0
                                        ; implicit-def: $sgpr55
	s_and_saveexec_b64 s[42:43], s[0:1]
	s_xor_b64 s[42:43], exec, s[42:43]
	s_cbranch_execnz .LBB238_118
; %bb.37:                               ;   in Loop: Header=BB238_13 Depth=1
	s_or_saveexec_b64 s[42:43], s[42:43]
	v_mov_b32_e32 v32, s55
	s_xor_b64 exec, exec, s[42:43]
	s_cbranch_execnz .LBB238_121
.LBB238_38:                             ;   in Loop: Header=BB238_13 Depth=1
	s_or_b64 exec, exec, s[42:43]
	s_and_saveexec_b64 s[42:43], s[40:41]
	s_cbranch_execz .LBB238_40
.LBB238_39:                             ;   in Loop: Header=BB238_13 Depth=1
	v_and_b32_e32 v34, 7, v2
	v_ffbh_u32_e32 v32, v34
	v_min_u32_e32 v36, 32, v32
	v_subrev_u32_e32 v32, 28, v36
	v_bfe_u32 v35, v2, 3, 4
	v_lshlrev_b64 v[32:33], v32, v[2:3]
	v_sub_u32_e32 v33, 29, v36
	v_cmp_eq_u32_e64 s[0:1], 0, v35
	v_and_b32_e32 v32, 7, v32
	v_lshlrev_b32_e32 v2, 8, v2
	v_cndmask_b32_e64 v33, v35, v33, s[0:1]
	v_lshl_add_u32 v33, v33, 10, v22
	v_cndmask_b32_e64 v32, v34, v32, s[0:1]
	v_and_or_b32 v2, v2, s54, v33
	v_lshl_or_b32 v2, v32, 7, v2
	v_cvt_f32_f16_e32 v32, v2
.LBB238_40:                             ;   in Loop: Header=BB238_13 Depth=1
	s_or_b64 exec, exec, s[42:43]
	global_load_ushort v2, v[10:11], off offset:264
	s_mov_b64 s[0:1], 0
                                        ; implicit-def: $sgpr44
	s_waitcnt vmcnt(0)
	v_cmp_gt_i16_sdwa s[40:41], v2, s52 src0_sel:BYTE_0 src1_sel:DWORD
	s_and_saveexec_b64 s[42:43], s[40:41]
	s_xor_b64 s[40:41], exec, s[42:43]
	s_cbranch_execnz .LBB238_122
; %bb.41:                               ;   in Loop: Header=BB238_13 Depth=1
	s_or_saveexec_b64 s[40:41], s[40:41]
	v_mov_b32_e32 v33, s44
	s_xor_b64 exec, exec, s[40:41]
	s_cbranch_execnz .LBB238_125
.LBB238_42:                             ;   in Loop: Header=BB238_13 Depth=1
	s_or_b64 exec, exec, s[40:41]
	v_and_b32_e32 v2, 0xffff, v2
	s_and_saveexec_b64 s[40:41], s[0:1]
	s_cbranch_execz .LBB238_44
.LBB238_43:                             ;   in Loop: Header=BB238_13 Depth=1
	v_and_b32_e32 v33, 7, v2
	v_ffbh_u32_e32 v34, v33
	v_min_u32_e32 v37, 32, v34
	v_subrev_u32_e32 v34, 28, v37
	v_bfe_u32 v36, v2, 3, 4
	v_lshlrev_b64 v[34:35], v34, v[2:3]
	v_sub_u32_e32 v35, 29, v37
	v_cmp_eq_u32_e64 s[0:1], 0, v36
	v_and_b32_e32 v34, 7, v34
	s_nop 0
	v_cndmask_b32_e64 v35, v36, v35, s[0:1]
	v_cndmask_b32_e64 v33, v33, v34, s[0:1]
	v_lshlrev_b32_e32 v34, 8, v2
	v_lshl_add_u32 v35, v35, 10, v22
	v_and_or_b32 v34, v34, s54, v35
	v_lshl_or_b32 v33, v33, 7, v34
	v_cvt_f32_f16_e32 v33, v33
.LBB238_44:                             ;   in Loop: Header=BB238_13 Depth=1
	s_or_b64 exec, exec, s[40:41]
	v_lshrrev_b16_e32 v2, 8, v2
	v_cmp_lt_i16_e64 s[0:1], s52, v2
	s_mov_b64 s[40:41], 0
                                        ; implicit-def: $sgpr55
	s_and_saveexec_b64 s[42:43], s[0:1]
	s_xor_b64 s[42:43], exec, s[42:43]
	s_cbranch_execnz .LBB238_126
; %bb.45:                               ;   in Loop: Header=BB238_13 Depth=1
	s_or_saveexec_b64 s[42:43], s[42:43]
	v_mov_b32_e32 v34, s55
	s_xor_b64 exec, exec, s[42:43]
	s_cbranch_execnz .LBB238_129
.LBB238_46:                             ;   in Loop: Header=BB238_13 Depth=1
	s_or_b64 exec, exec, s[42:43]
	s_and_saveexec_b64 s[42:43], s[40:41]
	s_cbranch_execz .LBB238_48
.LBB238_47:                             ;   in Loop: Header=BB238_13 Depth=1
	v_and_b32_e32 v36, 7, v2
	v_ffbh_u32_e32 v34, v36
	v_min_u32_e32 v38, 32, v34
	v_subrev_u32_e32 v34, 28, v38
	v_bfe_u32 v37, v2, 3, 4
	v_lshlrev_b64 v[34:35], v34, v[2:3]
	v_sub_u32_e32 v35, 29, v38
	v_cmp_eq_u32_e64 s[0:1], 0, v37
	v_and_b32_e32 v34, 7, v34
	v_lshlrev_b32_e32 v2, 8, v2
	v_cndmask_b32_e64 v35, v37, v35, s[0:1]
	v_lshl_add_u32 v35, v35, 10, v22
	v_cndmask_b32_e64 v34, v36, v34, s[0:1]
	v_and_or_b32 v2, v2, s54, v35
	v_lshl_or_b32 v2, v34, 7, v2
	v_cvt_f32_f16_e32 v34, v2
.LBB238_48:                             ;   in Loop: Header=BB238_13 Depth=1
	s_or_b64 exec, exec, s[42:43]
	global_load_ushort v2, v[10:11], off offset:512
	s_mov_b64 s[0:1], 0
                                        ; implicit-def: $sgpr44
	s_waitcnt vmcnt(0)
	v_cmp_gt_i16_sdwa s[40:41], v2, s52 src0_sel:BYTE_0 src1_sel:DWORD
	s_and_saveexec_b64 s[42:43], s[40:41]
	s_xor_b64 s[40:41], exec, s[42:43]
	s_cbranch_execnz .LBB238_130
; %bb.49:                               ;   in Loop: Header=BB238_13 Depth=1
	s_or_saveexec_b64 s[40:41], s[40:41]
	v_mov_b32_e32 v35, s44
	s_xor_b64 exec, exec, s[40:41]
	s_cbranch_execnz .LBB238_133
.LBB238_50:                             ;   in Loop: Header=BB238_13 Depth=1
	s_or_b64 exec, exec, s[40:41]
	v_and_b32_e32 v2, 0xffff, v2
	s_and_saveexec_b64 s[40:41], s[0:1]
	s_cbranch_execz .LBB238_52
.LBB238_51:                             ;   in Loop: Header=BB238_13 Depth=1
	v_and_b32_e32 v35, 7, v2
	v_ffbh_u32_e32 v36, v35
	v_min_u32_e32 v39, 32, v36
	v_subrev_u32_e32 v36, 28, v39
	v_bfe_u32 v38, v2, 3, 4
	v_lshlrev_b64 v[36:37], v36, v[2:3]
	v_sub_u32_e32 v37, 29, v39
	v_cmp_eq_u32_e64 s[0:1], 0, v38
	v_and_b32_e32 v36, 7, v36
	s_nop 0
	v_cndmask_b32_e64 v37, v38, v37, s[0:1]
	v_cndmask_b32_e64 v35, v35, v36, s[0:1]
	v_lshlrev_b32_e32 v36, 8, v2
	v_lshl_add_u32 v37, v37, 10, v22
	v_and_or_b32 v36, v36, s54, v37
	v_lshl_or_b32 v35, v35, 7, v36
	v_cvt_f32_f16_e32 v35, v35
.LBB238_52:                             ;   in Loop: Header=BB238_13 Depth=1
	s_or_b64 exec, exec, s[40:41]
	v_lshrrev_b16_e32 v2, 8, v2
	v_cmp_lt_i16_e64 s[0:1], s52, v2
	s_mov_b64 s[40:41], 0
                                        ; implicit-def: $sgpr55
	s_and_saveexec_b64 s[42:43], s[0:1]
	s_xor_b64 s[42:43], exec, s[42:43]
	s_cbranch_execnz .LBB238_134
; %bb.53:                               ;   in Loop: Header=BB238_13 Depth=1
	s_or_saveexec_b64 s[42:43], s[42:43]
	v_mov_b32_e32 v36, s55
	s_xor_b64 exec, exec, s[42:43]
	s_cbranch_execnz .LBB238_137
.LBB238_54:                             ;   in Loop: Header=BB238_13 Depth=1
	s_or_b64 exec, exec, s[42:43]
	s_and_saveexec_b64 s[42:43], s[40:41]
	s_cbranch_execz .LBB238_56
.LBB238_55:                             ;   in Loop: Header=BB238_13 Depth=1
	v_and_b32_e32 v38, 7, v2
	v_ffbh_u32_e32 v36, v38
	v_min_u32_e32 v40, 32, v36
	v_subrev_u32_e32 v36, 28, v40
	v_bfe_u32 v39, v2, 3, 4
	v_lshlrev_b64 v[36:37], v36, v[2:3]
	v_sub_u32_e32 v37, 29, v40
	v_cmp_eq_u32_e64 s[0:1], 0, v39
	v_and_b32_e32 v36, 7, v36
	v_lshlrev_b32_e32 v2, 8, v2
	v_cndmask_b32_e64 v37, v39, v37, s[0:1]
	v_lshl_add_u32 v37, v37, 10, v22
	v_cndmask_b32_e64 v36, v38, v36, s[0:1]
	v_and_or_b32 v2, v2, s54, v37
	v_lshl_or_b32 v2, v36, 7, v2
	v_cvt_f32_f16_e32 v36, v2
.LBB238_56:                             ;   in Loop: Header=BB238_13 Depth=1
	s_or_b64 exec, exec, s[42:43]
	global_load_ushort v2, v[10:11], off offset:520
	s_mov_b64 s[0:1], 0
                                        ; implicit-def: $sgpr44
	s_waitcnt vmcnt(0)
	v_cmp_gt_i16_sdwa s[40:41], v2, s52 src0_sel:BYTE_0 src1_sel:DWORD
	s_and_saveexec_b64 s[42:43], s[40:41]
	s_xor_b64 s[40:41], exec, s[42:43]
	s_cbranch_execnz .LBB238_138
; %bb.57:                               ;   in Loop: Header=BB238_13 Depth=1
	s_or_saveexec_b64 s[40:41], s[40:41]
	v_mov_b32_e32 v37, s44
	s_xor_b64 exec, exec, s[40:41]
	s_cbranch_execnz .LBB238_141
.LBB238_58:                             ;   in Loop: Header=BB238_13 Depth=1
	s_or_b64 exec, exec, s[40:41]
	v_and_b32_e32 v2, 0xffff, v2
	s_and_saveexec_b64 s[40:41], s[0:1]
	s_cbranch_execz .LBB238_60
.LBB238_59:                             ;   in Loop: Header=BB238_13 Depth=1
	v_and_b32_e32 v37, 7, v2
	v_ffbh_u32_e32 v38, v37
	v_min_u32_e32 v41, 32, v38
	v_subrev_u32_e32 v38, 28, v41
	v_bfe_u32 v40, v2, 3, 4
	v_lshlrev_b64 v[38:39], v38, v[2:3]
	v_sub_u32_e32 v39, 29, v41
	v_cmp_eq_u32_e64 s[0:1], 0, v40
	v_and_b32_e32 v38, 7, v38
	s_nop 0
	v_cndmask_b32_e64 v39, v40, v39, s[0:1]
	v_cndmask_b32_e64 v37, v37, v38, s[0:1]
	v_lshlrev_b32_e32 v38, 8, v2
	v_lshl_add_u32 v39, v39, 10, v22
	v_and_or_b32 v38, v38, s54, v39
	v_lshl_or_b32 v37, v37, 7, v38
	v_cvt_f32_f16_e32 v37, v37
.LBB238_60:                             ;   in Loop: Header=BB238_13 Depth=1
	s_or_b64 exec, exec, s[40:41]
	v_lshrrev_b16_e32 v2, 8, v2
	v_cmp_lt_i16_e64 s[0:1], s52, v2
	s_mov_b64 s[40:41], 0
                                        ; implicit-def: $sgpr55
	s_and_saveexec_b64 s[42:43], s[0:1]
	s_xor_b64 s[42:43], exec, s[42:43]
	s_cbranch_execnz .LBB238_142
; %bb.61:                               ;   in Loop: Header=BB238_13 Depth=1
	s_or_saveexec_b64 s[42:43], s[42:43]
	v_mov_b32_e32 v38, s55
	s_xor_b64 exec, exec, s[42:43]
	s_cbranch_execnz .LBB238_145
.LBB238_62:                             ;   in Loop: Header=BB238_13 Depth=1
	s_or_b64 exec, exec, s[42:43]
	s_and_saveexec_b64 s[42:43], s[40:41]
	s_cbranch_execz .LBB238_64
.LBB238_63:                             ;   in Loop: Header=BB238_13 Depth=1
	v_and_b32_e32 v40, 7, v2
	v_ffbh_u32_e32 v38, v40
	v_min_u32_e32 v42, 32, v38
	v_subrev_u32_e32 v38, 28, v42
	v_bfe_u32 v41, v2, 3, 4
	v_lshlrev_b64 v[38:39], v38, v[2:3]
	v_sub_u32_e32 v39, 29, v42
	v_cmp_eq_u32_e64 s[0:1], 0, v41
	v_and_b32_e32 v38, 7, v38
	v_lshlrev_b32_e32 v2, 8, v2
	v_cndmask_b32_e64 v39, v41, v39, s[0:1]
	v_lshl_add_u32 v39, v39, 10, v22
	v_cndmask_b32_e64 v38, v40, v38, s[0:1]
	v_and_or_b32 v2, v2, s54, v39
	v_lshl_or_b32 v2, v38, 7, v2
	v_cvt_f32_f16_e32 v38, v2
.LBB238_64:                             ;   in Loop: Header=BB238_13 Depth=1
	s_or_b64 exec, exec, s[42:43]
	global_load_ushort v2, v[10:11], off offset:768
	s_mov_b64 s[0:1], 0
                                        ; implicit-def: $sgpr44
	s_waitcnt vmcnt(0)
	v_cmp_gt_i16_sdwa s[40:41], v2, s52 src0_sel:BYTE_0 src1_sel:DWORD
	s_and_saveexec_b64 s[42:43], s[40:41]
	s_xor_b64 s[40:41], exec, s[42:43]
	s_cbranch_execnz .LBB238_146
; %bb.65:                               ;   in Loop: Header=BB238_13 Depth=1
	s_or_saveexec_b64 s[40:41], s[40:41]
	v_mov_b32_e32 v39, s44
	s_xor_b64 exec, exec, s[40:41]
	s_cbranch_execnz .LBB238_149
.LBB238_66:                             ;   in Loop: Header=BB238_13 Depth=1
	s_or_b64 exec, exec, s[40:41]
	v_and_b32_e32 v2, 0xffff, v2
	s_and_saveexec_b64 s[40:41], s[0:1]
	s_cbranch_execz .LBB238_68
.LBB238_67:                             ;   in Loop: Header=BB238_13 Depth=1
	v_and_b32_e32 v39, 7, v2
	v_ffbh_u32_e32 v40, v39
	v_min_u32_e32 v43, 32, v40
	v_subrev_u32_e32 v40, 28, v43
	v_bfe_u32 v42, v2, 3, 4
	v_lshlrev_b64 v[40:41], v40, v[2:3]
	v_sub_u32_e32 v41, 29, v43
	v_cmp_eq_u32_e64 s[0:1], 0, v42
	v_and_b32_e32 v40, 7, v40
	s_nop 0
	v_cndmask_b32_e64 v41, v42, v41, s[0:1]
	v_cndmask_b32_e64 v39, v39, v40, s[0:1]
	v_lshlrev_b32_e32 v40, 8, v2
	v_lshl_add_u32 v41, v41, 10, v22
	v_and_or_b32 v40, v40, s54, v41
	v_lshl_or_b32 v39, v39, 7, v40
	v_cvt_f32_f16_e32 v39, v39
.LBB238_68:                             ;   in Loop: Header=BB238_13 Depth=1
	s_or_b64 exec, exec, s[40:41]
	v_lshrrev_b16_e32 v2, 8, v2
	v_cmp_lt_i16_e64 s[0:1], s52, v2
	s_mov_b64 s[40:41], 0
                                        ; implicit-def: $sgpr55
	s_and_saveexec_b64 s[42:43], s[0:1]
	s_xor_b64 s[42:43], exec, s[42:43]
	s_cbranch_execnz .LBB238_150
; %bb.69:                               ;   in Loop: Header=BB238_13 Depth=1
	s_or_saveexec_b64 s[42:43], s[42:43]
	v_mov_b32_e32 v40, s55
	s_xor_b64 exec, exec, s[42:43]
	s_cbranch_execnz .LBB238_153
.LBB238_70:                             ;   in Loop: Header=BB238_13 Depth=1
	s_or_b64 exec, exec, s[42:43]
	s_and_saveexec_b64 s[42:43], s[40:41]
	s_cbranch_execz .LBB238_72
.LBB238_71:                             ;   in Loop: Header=BB238_13 Depth=1
	v_and_b32_e32 v42, 7, v2
	v_ffbh_u32_e32 v40, v42
	v_min_u32_e32 v44, 32, v40
	v_subrev_u32_e32 v40, 28, v44
	v_bfe_u32 v43, v2, 3, 4
	v_lshlrev_b64 v[40:41], v40, v[2:3]
	v_sub_u32_e32 v41, 29, v44
	v_cmp_eq_u32_e64 s[0:1], 0, v43
	v_and_b32_e32 v40, 7, v40
	v_lshlrev_b32_e32 v2, 8, v2
	v_cndmask_b32_e64 v41, v43, v41, s[0:1]
	v_lshl_add_u32 v41, v41, 10, v22
	v_cndmask_b32_e64 v40, v42, v40, s[0:1]
	v_and_or_b32 v2, v2, s54, v41
	v_lshl_or_b32 v2, v40, 7, v2
	v_cvt_f32_f16_e32 v40, v2
.LBB238_72:                             ;   in Loop: Header=BB238_13 Depth=1
	s_or_b64 exec, exec, s[42:43]
	global_load_ushort v2, v[10:11], off offset:776
	s_mov_b64 s[0:1], 0
                                        ; implicit-def: $sgpr44
	s_waitcnt vmcnt(0)
	v_cmp_gt_i16_sdwa s[40:41], v2, s52 src0_sel:BYTE_0 src1_sel:DWORD
	s_and_saveexec_b64 s[42:43], s[40:41]
	s_xor_b64 s[40:41], exec, s[42:43]
	s_cbranch_execnz .LBB238_154
; %bb.73:                               ;   in Loop: Header=BB238_13 Depth=1
	s_or_saveexec_b64 s[40:41], s[40:41]
	v_mov_b32_e32 v41, s44
	s_xor_b64 exec, exec, s[40:41]
	s_cbranch_execnz .LBB238_157
.LBB238_74:                             ;   in Loop: Header=BB238_13 Depth=1
	s_or_b64 exec, exec, s[40:41]
	v_and_b32_e32 v2, 0xffff, v2
	s_and_saveexec_b64 s[40:41], s[0:1]
	s_cbranch_execz .LBB238_76
.LBB238_75:                             ;   in Loop: Header=BB238_13 Depth=1
	v_and_b32_e32 v41, 7, v2
	v_ffbh_u32_e32 v42, v41
	v_min_u32_e32 v45, 32, v42
	v_subrev_u32_e32 v42, 28, v45
	v_bfe_u32 v44, v2, 3, 4
	v_lshlrev_b64 v[42:43], v42, v[2:3]
	v_sub_u32_e32 v43, 29, v45
	v_cmp_eq_u32_e64 s[0:1], 0, v44
	v_and_b32_e32 v42, 7, v42
	s_nop 0
	v_cndmask_b32_e64 v43, v44, v43, s[0:1]
	v_cndmask_b32_e64 v41, v41, v42, s[0:1]
	v_lshlrev_b32_e32 v42, 8, v2
	v_lshl_add_u32 v43, v43, 10, v22
	v_and_or_b32 v42, v42, s54, v43
	v_lshl_or_b32 v41, v41, 7, v42
	v_cvt_f32_f16_e32 v41, v41
.LBB238_76:                             ;   in Loop: Header=BB238_13 Depth=1
	s_or_b64 exec, exec, s[40:41]
	v_lshrrev_b16_e32 v2, 8, v2
	v_cmp_lt_i16_e64 s[0:1], s52, v2
	s_mov_b64 s[40:41], 0
                                        ; implicit-def: $sgpr55
	s_and_saveexec_b64 s[42:43], s[0:1]
	s_xor_b64 s[42:43], exec, s[42:43]
	s_cbranch_execnz .LBB238_158
; %bb.77:                               ;   in Loop: Header=BB238_13 Depth=1
	s_or_saveexec_b64 s[42:43], s[42:43]
	v_mov_b32_e32 v42, s55
	s_xor_b64 exec, exec, s[42:43]
	s_cbranch_execnz .LBB238_161
.LBB238_78:                             ;   in Loop: Header=BB238_13 Depth=1
	s_or_b64 exec, exec, s[42:43]
	s_and_saveexec_b64 s[42:43], s[40:41]
	s_cbranch_execz .LBB238_80
.LBB238_79:                             ;   in Loop: Header=BB238_13 Depth=1
	v_and_b32_e32 v44, 7, v2
	v_ffbh_u32_e32 v42, v44
	v_min_u32_e32 v46, 32, v42
	v_subrev_u32_e32 v42, 28, v46
	v_bfe_u32 v45, v2, 3, 4
	v_lshlrev_b64 v[42:43], v42, v[2:3]
	v_sub_u32_e32 v43, 29, v46
	v_cmp_eq_u32_e64 s[0:1], 0, v45
	v_and_b32_e32 v42, 7, v42
	v_lshlrev_b32_e32 v2, 8, v2
	v_cndmask_b32_e64 v43, v45, v43, s[0:1]
	v_lshl_add_u32 v43, v43, 10, v22
	v_cndmask_b32_e64 v42, v44, v42, s[0:1]
	v_and_or_b32 v2, v2, s54, v43
	v_lshl_or_b32 v2, v42, 7, v2
	v_cvt_f32_f16_e32 v42, v2
.LBB238_80:                             ;   in Loop: Header=BB238_13 Depth=1
	s_or_b64 exec, exec, s[42:43]
	global_load_ushort v2, v[10:11], off offset:1024
	s_mov_b64 s[0:1], 0
                                        ; implicit-def: $sgpr44
	s_waitcnt vmcnt(0)
	v_cmp_gt_i16_sdwa s[40:41], v2, s52 src0_sel:BYTE_0 src1_sel:DWORD
	s_and_saveexec_b64 s[42:43], s[40:41]
	s_xor_b64 s[40:41], exec, s[42:43]
	s_cbranch_execnz .LBB238_162
; %bb.81:                               ;   in Loop: Header=BB238_13 Depth=1
	s_or_saveexec_b64 s[40:41], s[40:41]
	v_mov_b32_e32 v43, s44
	s_xor_b64 exec, exec, s[40:41]
	s_cbranch_execnz .LBB238_165
.LBB238_82:                             ;   in Loop: Header=BB238_13 Depth=1
	s_or_b64 exec, exec, s[40:41]
	v_and_b32_e32 v2, 0xffff, v2
	s_and_saveexec_b64 s[40:41], s[0:1]
	s_cbranch_execz .LBB238_84
.LBB238_83:                             ;   in Loop: Header=BB238_13 Depth=1
	v_and_b32_e32 v43, 7, v2
	v_ffbh_u32_e32 v44, v43
	v_min_u32_e32 v47, 32, v44
	v_subrev_u32_e32 v44, 28, v47
	v_bfe_u32 v46, v2, 3, 4
	v_lshlrev_b64 v[44:45], v44, v[2:3]
	v_sub_u32_e32 v45, 29, v47
	v_cmp_eq_u32_e64 s[0:1], 0, v46
	v_and_b32_e32 v44, 7, v44
	s_nop 0
	v_cndmask_b32_e64 v45, v46, v45, s[0:1]
	v_cndmask_b32_e64 v43, v43, v44, s[0:1]
	v_lshlrev_b32_e32 v44, 8, v2
	v_lshl_add_u32 v45, v45, 10, v22
	v_and_or_b32 v44, v44, s54, v45
	v_lshl_or_b32 v43, v43, 7, v44
	v_cvt_f32_f16_e32 v43, v43
.LBB238_84:                             ;   in Loop: Header=BB238_13 Depth=1
	s_or_b64 exec, exec, s[40:41]
	v_lshrrev_b16_e32 v2, 8, v2
	v_cmp_lt_i16_e64 s[0:1], s52, v2
	s_mov_b64 s[40:41], 0
                                        ; implicit-def: $sgpr55
	s_and_saveexec_b64 s[42:43], s[0:1]
	s_xor_b64 s[42:43], exec, s[42:43]
	s_cbranch_execnz .LBB238_166
; %bb.85:                               ;   in Loop: Header=BB238_13 Depth=1
	s_or_saveexec_b64 s[42:43], s[42:43]
	v_mov_b32_e32 v44, s55
	s_xor_b64 exec, exec, s[42:43]
	s_cbranch_execnz .LBB238_169
.LBB238_86:                             ;   in Loop: Header=BB238_13 Depth=1
	s_or_b64 exec, exec, s[42:43]
	s_and_saveexec_b64 s[42:43], s[40:41]
	s_cbranch_execz .LBB238_88
.LBB238_87:                             ;   in Loop: Header=BB238_13 Depth=1
	v_and_b32_e32 v46, 7, v2
	v_ffbh_u32_e32 v44, v46
	v_min_u32_e32 v48, 32, v44
	v_subrev_u32_e32 v44, 28, v48
	v_bfe_u32 v47, v2, 3, 4
	v_lshlrev_b64 v[44:45], v44, v[2:3]
	v_sub_u32_e32 v45, 29, v48
	v_cmp_eq_u32_e64 s[0:1], 0, v47
	v_and_b32_e32 v44, 7, v44
	v_lshlrev_b32_e32 v2, 8, v2
	v_cndmask_b32_e64 v45, v47, v45, s[0:1]
	v_lshl_add_u32 v45, v45, 10, v22
	v_cndmask_b32_e64 v44, v46, v44, s[0:1]
	v_and_or_b32 v2, v2, s54, v45
	v_lshl_or_b32 v2, v44, 7, v2
	v_cvt_f32_f16_e32 v44, v2
.LBB238_88:                             ;   in Loop: Header=BB238_13 Depth=1
	s_or_b64 exec, exec, s[42:43]
	global_load_ushort v2, v[10:11], off offset:1032
	s_mov_b64 s[0:1], 0
                                        ; implicit-def: $sgpr44
	s_waitcnt vmcnt(0)
	v_cmp_gt_i16_sdwa s[40:41], v2, s52 src0_sel:BYTE_0 src1_sel:DWORD
	s_and_saveexec_b64 s[42:43], s[40:41]
	s_xor_b64 s[40:41], exec, s[42:43]
	s_cbranch_execnz .LBB238_170
; %bb.89:                               ;   in Loop: Header=BB238_13 Depth=1
	s_or_saveexec_b64 s[40:41], s[40:41]
	v_mov_b32_e32 v10, s44
	s_xor_b64 exec, exec, s[40:41]
	s_cbranch_execnz .LBB238_173
.LBB238_90:                             ;   in Loop: Header=BB238_13 Depth=1
	s_or_b64 exec, exec, s[40:41]
	v_and_b32_e32 v2, 0xffff, v2
	s_and_saveexec_b64 s[40:41], s[0:1]
	s_cbranch_execz .LBB238_92
.LBB238_91:                             ;   in Loop: Header=BB238_13 Depth=1
	v_and_b32_e32 v45, 7, v2
	v_ffbh_u32_e32 v10, v45
	v_min_u32_e32 v47, 32, v10
	v_subrev_u32_e32 v10, 28, v47
	v_bfe_u32 v46, v2, 3, 4
	v_lshlrev_b64 v[10:11], v10, v[2:3]
	v_sub_u32_e32 v11, 29, v47
	v_cmp_eq_u32_e64 s[0:1], 0, v46
	v_and_b32_e32 v10, 7, v10
	s_nop 0
	v_cndmask_b32_e64 v11, v46, v11, s[0:1]
	v_cndmask_b32_e64 v10, v45, v10, s[0:1]
	v_lshlrev_b32_e32 v45, 8, v2
	v_lshl_add_u32 v11, v11, 10, v22
	v_and_or_b32 v11, v45, s54, v11
	v_lshl_or_b32 v10, v10, 7, v11
	v_cvt_f32_f16_e32 v10, v10
.LBB238_92:                             ;   in Loop: Header=BB238_13 Depth=1
	s_or_b64 exec, exec, s[40:41]
	v_lshrrev_b16_e32 v2, 8, v2
	v_cmp_lt_i16_e64 s[0:1], s52, v2
	s_mov_b64 s[40:41], 0
                                        ; implicit-def: $sgpr55
	s_and_saveexec_b64 s[42:43], s[0:1]
	s_xor_b64 s[42:43], exec, s[42:43]
	s_cbranch_execnz .LBB238_174
; %bb.93:                               ;   in Loop: Header=BB238_13 Depth=1
	s_or_saveexec_b64 s[42:43], s[42:43]
	v_mov_b32_e32 v11, s55
	s_xor_b64 exec, exec, s[42:43]
	s_cbranch_execnz .LBB238_177
.LBB238_94:                             ;   in Loop: Header=BB238_13 Depth=1
	s_or_b64 exec, exec, s[42:43]
	s_and_saveexec_b64 s[42:43], s[40:41]
	s_cbranch_execz .LBB238_96
.LBB238_95:                             ;   in Loop: Header=BB238_13 Depth=1
	v_and_b32_e32 v11, 7, v2
	v_ffbh_u32_e32 v46, v11
	v_min_u32_e32 v48, 32, v46
	v_subrev_u32_e32 v46, 28, v48
	v_bfe_u32 v45, v2, 3, 4
	v_lshlrev_b64 v[46:47], v46, v[2:3]
	v_sub_u32_e32 v47, 29, v48
	v_cmp_eq_u32_e64 s[0:1], 0, v45
	v_and_b32_e32 v46, 7, v46
	v_lshlrev_b32_e32 v2, 8, v2
	v_cndmask_b32_e64 v45, v45, v47, s[0:1]
	v_lshl_add_u32 v45, v45, 10, v22
	v_cndmask_b32_e64 v11, v11, v46, s[0:1]
	v_and_or_b32 v2, v2, s54, v45
	v_lshl_or_b32 v2, v11, 7, v2
	v_cvt_f32_f16_e32 v11, v2
.LBB238_96:                             ;   in Loop: Header=BB238_13 Depth=1
	s_or_b64 exec, exec, s[42:43]
	ds_read_b32 v2, v15
	v_fma_mixlo_f16 v27, v25, v27, 0
	v_fma_mixlo_f16 v28, v25, v28, 0
	v_and_b32_e32 v27, 0xffff, v27
	v_and_b32_e32 v28, 0xffff, v28
	s_waitcnt lgkmcnt(0)
	v_lshrrev_b32_e32 v45, 16, v2
	v_and_b32_e32 v2, 0xffff, v2
	;;#ASMSTART
	v_cvt_f32_f16 v2, v2;
	;;#ASMEND
	;;#ASMSTART
	v_cvt_f32_f16 v45, v45;
	;;#ASMEND
	;;#ASMSTART
	v_cvt_f32_f16 v27, v27;
	;;#ASMEND
	;;#ASMSTART
	v_cvt_f32_f16 v28, v28;
	;;#ASMEND
	ds_read_b32 v46, v15 offset:4
	v_fma_mixlo_f16 v29, v25, v29, 0
	v_fma_mixlo_f16 v30, v25, v30, 0
	v_and_b32_e32 v29, 0xffff, v29
	v_and_b32_e32 v30, 0xffff, v30
	s_waitcnt lgkmcnt(0)
	v_lshrrev_b32_e32 v47, 16, v46
	v_and_b32_e32 v46, 0xffff, v46
	;;#ASMSTART
	v_cvt_f32_f16 v46, v46;
	;;#ASMEND
	;;#ASMSTART
	v_cvt_f32_f16 v47, v47;
	;;#ASMEND
	;;#ASMSTART
	v_cvt_f32_f16 v29, v29;
	;;#ASMEND
	;;#ASMSTART
	v_cvt_f32_f16 v30, v30;
	;;#ASMEND
	ds_read_b32 v48, v15 offset:8
	;; [unrolled: 20-line block ×5, first 2 shown]
	v_fma_mixlo_f16 v43, v25, v43, 0
	v_fma_mixlo_f16 v44, v25, v44, 0
	;; [unrolled: 1-line block ×10, first 2 shown]
	v_mul_f32_e32 v25, v46, v29
	v_fmac_f32_e32 v25, v2, v27
	s_waitcnt lgkmcnt(0)
	v_lshrrev_b32_e32 v2, 16, v54
	v_and_b32_e32 v27, 0xffff, v54
	v_and_b32_e32 v29, 0xffff, v37
	;; [unrolled: 1-line block ×3, first 2 shown]
	;;#ASMSTART
	v_cvt_f32_f16 v27, v27;
	;;#ASMEND
	;;#ASMSTART
	v_cvt_f32_f16 v2, v2;
	;;#ASMEND
	;; [unrolled: 3-line block ×4, first 2 shown]
	ds_read_b32 v38, v15 offset:24
	v_mul_f32_e32 v30, v47, v30
	v_fmac_f32_e32 v30, v45, v28
	v_fmac_f32_e32 v25, v48, v31
	;; [unrolled: 1-line block ×3, first 2 shown]
	s_waitcnt lgkmcnt(0)
	v_lshrrev_b32_e32 v28, 16, v38
	v_and_b32_e32 v31, 0xffff, v38
	v_and_b32_e32 v32, 0xffff, v39
	;; [unrolled: 1-line block ×3, first 2 shown]
	;;#ASMSTART
	v_cvt_f32_f16 v31, v31;
	;;#ASMEND
	;;#ASMSTART
	v_cvt_f32_f16 v28, v28;
	;;#ASMEND
	;;#ASMSTART
	v_cvt_f32_f16 v32, v32;
	;;#ASMEND
	;;#ASMSTART
	v_cvt_f32_f16 v38, v38;
	;;#ASMEND
	ds_read_b32 v39, v15 offset:28
	v_fmac_f32_e32 v25, v50, v33
	v_fmac_f32_e32 v30, v51, v34
	;; [unrolled: 1-line block ×4, first 2 shown]
	s_waitcnt lgkmcnt(0)
	v_lshrrev_b32_e32 v33, 16, v39
	v_and_b32_e32 v34, 0xffff, v39
	v_and_b32_e32 v35, 0xffff, v41
	;; [unrolled: 1-line block ×3, first 2 shown]
	;;#ASMSTART
	v_cvt_f32_f16 v34, v34;
	;;#ASMEND
	;;#ASMSTART
	v_cvt_f32_f16 v33, v33;
	;;#ASMEND
	;; [unrolled: 3-line block ×4, first 2 shown]
	ds_read_b32 v39, v15 offset:32
	v_fmac_f32_e32 v30, v2, v37
	v_fmac_f32_e32 v25, v27, v29
	v_fmac_f32_e32 v30, v28, v38
	v_and_b32_e32 v28, 0xffff, v43
	s_waitcnt lgkmcnt(0)
	v_lshrrev_b32_e32 v2, 16, v39
	v_and_b32_e32 v27, 0xffff, v39
	v_and_b32_e32 v29, 0xffff, v44
	v_fmac_f32_e32 v25, v31, v32
	;;#ASMSTART
	v_cvt_f32_f16 v27, v27;
	;;#ASMEND
	;;#ASMSTART
	v_cvt_f32_f16 v2, v2;
	;;#ASMEND
	;; [unrolled: 3-line block ×4, first 2 shown]
	ds_read_b32 v31, v15 offset:36
	v_fmac_f32_e32 v25, v34, v35
	v_fmac_f32_e32 v30, v33, v36
	;; [unrolled: 1-line block ×4, first 2 shown]
	s_waitcnt lgkmcnt(0)
	v_lshrrev_b32_e32 v2, 16, v31
	v_and_b32_e32 v27, 0xffff, v31
	v_and_b32_e32 v10, 0xffff, v10
	;;#ASMSTART
	v_cvt_f32_f16 v27, v27;
	;;#ASMEND
	;;#ASMSTART
	v_cvt_f32_f16 v2, v2;
	;;#ASMEND
	;; [unrolled: 3-line block ×3, first 2 shown]
	v_and_b32_e32 v11, 0xffff, v11
	;;#ASMSTART
	v_cvt_f32_f16 v11, v11;
	;;#ASMEND
	v_fmac_f32_e32 v25, v27, v10
	v_and_b32_e32 v10, 64, v23
	v_fmac_f32_e32 v30, v2, v11
	v_add_u32_e32 v10, 64, v10
	v_xor_b32_e32 v11, 2, v23
	v_cmp_lt_i32_e64 s[0:1], v11, v10
	v_add_f32_e32 v2, v25, v30
	s_nop 0
	v_cndmask_b32_e64 v11, v23, v11, s[0:1]
	v_lshlrev_b32_e32 v11, 2, v11
	ds_bpermute_b32 v11, v11, v2
	s_waitcnt lgkmcnt(0)
	v_add_f32_e32 v2, v2, v11
	v_xor_b32_e32 v11, 1, v23
	v_cmp_lt_i32_e64 s[0:1], v11, v10
	s_nop 1
	v_cndmask_b32_e64 v10, v23, v11, s[0:1]
	v_lshlrev_b32_e32 v10, 2, v10
	ds_bpermute_b32 v10, v10, v2
	s_and_saveexec_b64 s[40:41], vcc
	s_cbranch_execz .LBB238_11
; %bb.97:                               ;   in Loop: Header=BB238_13 Depth=1
	v_add_u32_e32 v11, v20, v18
	v_cvt_f32_i32_e32 v11, v11
	s_waitcnt lgkmcnt(0)
	v_add_f32_e32 v2, v2, v10
	v_add_u32_e32 v25, v14, v18
	v_cmp_gt_i32_e64 s[0:1], s33, v25
	v_mul_f32_e32 v10, s49, v11
	v_cndmask_b32_e64 v10, 0, v10, s[2:3]
	v_fmac_f32_e32 v10, s37, v2
	v_cndmask_b32_e64 v2, 0, v10, s[0:1]
	ds_write_b32 v19, v2
	v_max_f32_e32 v2, v16, v16
	v_max_f32_e32 v2, v2, v10
	v_cndmask_b32_e64 v16, v16, v2, s[0:1]
	s_branch .LBB238_11
.LBB238_98:                             ;   in Loop: Header=BB238_13 Depth=1
	v_cmp_eq_u16_sdwa s[56:57], v2, s53 src0_sel:BYTE_0 src1_sel:DWORD
	s_mov_b64 s[0:1], -1
                                        ; implicit-def: $sgpr44
	s_and_saveexec_b64 s[42:43], s[56:57]
; %bb.99:                               ;   in Loop: Header=BB238_13 Depth=1
	s_mov_b32 s44, 0x7fc02000
	s_xor_b64 s[0:1], exec, -1
; %bb.100:                              ;   in Loop: Header=BB238_13 Depth=1
	s_or_b64 exec, exec, s[42:43]
	s_and_b64 s[0:1], s[0:1], exec
	s_or_saveexec_b64 s[40:41], s[40:41]
	v_mov_b32_e32 v27, s44
	s_xor_b64 exec, exec, s[40:41]
	s_cbranch_execz .LBB238_18
.LBB238_101:                            ;   in Loop: Header=BB238_13 Depth=1
	v_cmp_ne_u16_sdwa s[42:43], v2, v3 src0_sel:BYTE_0 src1_sel:DWORD
	s_andn2_b64 s[0:1], s[0:1], exec
	s_and_b64 s[42:43], s[42:43], exec
	v_mov_b32_e32 v27, 0
	s_or_b64 s[0:1], s[0:1], s[42:43]
	s_or_b64 exec, exec, s[40:41]
	v_and_b32_e32 v2, 0xffff, v2
	s_and_saveexec_b64 s[40:41], s[0:1]
	s_cbranch_execnz .LBB238_19
	s_branch .LBB238_20
.LBB238_102:                            ;   in Loop: Header=BB238_13 Depth=1
	v_cmp_eq_u16_e64 s[0:1], s53, v2
	s_mov_b64 s[40:41], -1
                                        ; implicit-def: $sgpr55
	s_and_saveexec_b64 s[44:45], s[0:1]
; %bb.103:                              ;   in Loop: Header=BB238_13 Depth=1
	s_mov_b32 s55, 0x7fc02000
	s_xor_b64 s[40:41], exec, -1
; %bb.104:                              ;   in Loop: Header=BB238_13 Depth=1
	s_or_b64 exec, exec, s[44:45]
	s_and_b64 s[40:41], s[40:41], exec
	s_or_saveexec_b64 s[42:43], s[42:43]
	v_mov_b32_e32 v28, s55
	s_xor_b64 exec, exec, s[42:43]
	s_cbranch_execz .LBB238_22
.LBB238_105:                            ;   in Loop: Header=BB238_13 Depth=1
	v_cmp_ne_u16_e64 s[0:1], 0, v2
	s_andn2_b64 s[40:41], s[40:41], exec
	s_and_b64 s[0:1], s[0:1], exec
	v_mov_b32_e32 v28, 0
	s_or_b64 s[40:41], s[40:41], s[0:1]
	s_or_b64 exec, exec, s[42:43]
	s_and_saveexec_b64 s[42:43], s[40:41]
	s_cbranch_execnz .LBB238_23
	s_branch .LBB238_24
.LBB238_106:                            ;   in Loop: Header=BB238_13 Depth=1
	v_cmp_eq_u16_sdwa s[56:57], v2, s53 src0_sel:BYTE_0 src1_sel:DWORD
	s_mov_b64 s[0:1], -1
                                        ; implicit-def: $sgpr44
	s_and_saveexec_b64 s[42:43], s[56:57]
; %bb.107:                              ;   in Loop: Header=BB238_13 Depth=1
	s_mov_b32 s44, 0x7fc02000
	s_xor_b64 s[0:1], exec, -1
; %bb.108:                              ;   in Loop: Header=BB238_13 Depth=1
	s_or_b64 exec, exec, s[42:43]
	s_and_b64 s[0:1], s[0:1], exec
	s_or_saveexec_b64 s[40:41], s[40:41]
	v_mov_b32_e32 v29, s44
	s_xor_b64 exec, exec, s[40:41]
	s_cbranch_execz .LBB238_26
.LBB238_109:                            ;   in Loop: Header=BB238_13 Depth=1
	v_cmp_ne_u16_sdwa s[42:43], v2, v3 src0_sel:BYTE_0 src1_sel:DWORD
	s_andn2_b64 s[0:1], s[0:1], exec
	s_and_b64 s[42:43], s[42:43], exec
	v_mov_b32_e32 v29, 0
	s_or_b64 s[0:1], s[0:1], s[42:43]
	s_or_b64 exec, exec, s[40:41]
	v_and_b32_e32 v2, 0xffff, v2
	s_and_saveexec_b64 s[40:41], s[0:1]
	s_cbranch_execnz .LBB238_27
	s_branch .LBB238_28
.LBB238_110:                            ;   in Loop: Header=BB238_13 Depth=1
	v_cmp_eq_u16_e64 s[0:1], s53, v2
	s_mov_b64 s[40:41], -1
                                        ; implicit-def: $sgpr55
	s_and_saveexec_b64 s[44:45], s[0:1]
; %bb.111:                              ;   in Loop: Header=BB238_13 Depth=1
	s_mov_b32 s55, 0x7fc02000
	s_xor_b64 s[40:41], exec, -1
; %bb.112:                              ;   in Loop: Header=BB238_13 Depth=1
	s_or_b64 exec, exec, s[44:45]
	s_and_b64 s[40:41], s[40:41], exec
	s_or_saveexec_b64 s[42:43], s[42:43]
	v_mov_b32_e32 v30, s55
	s_xor_b64 exec, exec, s[42:43]
	s_cbranch_execz .LBB238_30
.LBB238_113:                            ;   in Loop: Header=BB238_13 Depth=1
	v_cmp_ne_u16_e64 s[0:1], 0, v2
	s_andn2_b64 s[40:41], s[40:41], exec
	s_and_b64 s[0:1], s[0:1], exec
	v_mov_b32_e32 v30, 0
	s_or_b64 s[40:41], s[40:41], s[0:1]
	s_or_b64 exec, exec, s[42:43]
	s_and_saveexec_b64 s[42:43], s[40:41]
	s_cbranch_execnz .LBB238_31
	s_branch .LBB238_32
.LBB238_114:                            ;   in Loop: Header=BB238_13 Depth=1
	v_cmp_eq_u16_sdwa s[56:57], v2, s53 src0_sel:BYTE_0 src1_sel:DWORD
	s_mov_b64 s[0:1], -1
                                        ; implicit-def: $sgpr44
	s_and_saveexec_b64 s[42:43], s[56:57]
; %bb.115:                              ;   in Loop: Header=BB238_13 Depth=1
	s_mov_b32 s44, 0x7fc02000
	s_xor_b64 s[0:1], exec, -1
; %bb.116:                              ;   in Loop: Header=BB238_13 Depth=1
	s_or_b64 exec, exec, s[42:43]
	s_and_b64 s[0:1], s[0:1], exec
	s_or_saveexec_b64 s[40:41], s[40:41]
	v_mov_b32_e32 v31, s44
	s_xor_b64 exec, exec, s[40:41]
	s_cbranch_execz .LBB238_34
.LBB238_117:                            ;   in Loop: Header=BB238_13 Depth=1
	v_cmp_ne_u16_sdwa s[42:43], v2, v3 src0_sel:BYTE_0 src1_sel:DWORD
	s_andn2_b64 s[0:1], s[0:1], exec
	s_and_b64 s[42:43], s[42:43], exec
	v_mov_b32_e32 v31, 0
	s_or_b64 s[0:1], s[0:1], s[42:43]
	s_or_b64 exec, exec, s[40:41]
	v_and_b32_e32 v2, 0xffff, v2
	s_and_saveexec_b64 s[40:41], s[0:1]
	s_cbranch_execnz .LBB238_35
	s_branch .LBB238_36
.LBB238_118:                            ;   in Loop: Header=BB238_13 Depth=1
	v_cmp_eq_u16_e64 s[0:1], s53, v2
	s_mov_b64 s[40:41], -1
                                        ; implicit-def: $sgpr55
	s_and_saveexec_b64 s[44:45], s[0:1]
; %bb.119:                              ;   in Loop: Header=BB238_13 Depth=1
	s_mov_b32 s55, 0x7fc02000
	s_xor_b64 s[40:41], exec, -1
; %bb.120:                              ;   in Loop: Header=BB238_13 Depth=1
	s_or_b64 exec, exec, s[44:45]
	s_and_b64 s[40:41], s[40:41], exec
	s_or_saveexec_b64 s[42:43], s[42:43]
	v_mov_b32_e32 v32, s55
	s_xor_b64 exec, exec, s[42:43]
	s_cbranch_execz .LBB238_38
.LBB238_121:                            ;   in Loop: Header=BB238_13 Depth=1
	v_cmp_ne_u16_e64 s[0:1], 0, v2
	s_andn2_b64 s[40:41], s[40:41], exec
	s_and_b64 s[0:1], s[0:1], exec
	v_mov_b32_e32 v32, 0
	s_or_b64 s[40:41], s[40:41], s[0:1]
	s_or_b64 exec, exec, s[42:43]
	s_and_saveexec_b64 s[42:43], s[40:41]
	s_cbranch_execnz .LBB238_39
	s_branch .LBB238_40
.LBB238_122:                            ;   in Loop: Header=BB238_13 Depth=1
	v_cmp_eq_u16_sdwa s[56:57], v2, s53 src0_sel:BYTE_0 src1_sel:DWORD
	s_mov_b64 s[0:1], -1
                                        ; implicit-def: $sgpr44
	s_and_saveexec_b64 s[42:43], s[56:57]
; %bb.123:                              ;   in Loop: Header=BB238_13 Depth=1
	s_mov_b32 s44, 0x7fc02000
	s_xor_b64 s[0:1], exec, -1
; %bb.124:                              ;   in Loop: Header=BB238_13 Depth=1
	s_or_b64 exec, exec, s[42:43]
	s_and_b64 s[0:1], s[0:1], exec
	s_or_saveexec_b64 s[40:41], s[40:41]
	v_mov_b32_e32 v33, s44
	s_xor_b64 exec, exec, s[40:41]
	s_cbranch_execz .LBB238_42
.LBB238_125:                            ;   in Loop: Header=BB238_13 Depth=1
	v_cmp_ne_u16_sdwa s[42:43], v2, v3 src0_sel:BYTE_0 src1_sel:DWORD
	s_andn2_b64 s[0:1], s[0:1], exec
	s_and_b64 s[42:43], s[42:43], exec
	v_mov_b32_e32 v33, 0
	s_or_b64 s[0:1], s[0:1], s[42:43]
	s_or_b64 exec, exec, s[40:41]
	v_and_b32_e32 v2, 0xffff, v2
	s_and_saveexec_b64 s[40:41], s[0:1]
	s_cbranch_execnz .LBB238_43
	s_branch .LBB238_44
.LBB238_126:                            ;   in Loop: Header=BB238_13 Depth=1
	v_cmp_eq_u16_e64 s[0:1], s53, v2
	s_mov_b64 s[40:41], -1
                                        ; implicit-def: $sgpr55
	s_and_saveexec_b64 s[44:45], s[0:1]
; %bb.127:                              ;   in Loop: Header=BB238_13 Depth=1
	s_mov_b32 s55, 0x7fc02000
	s_xor_b64 s[40:41], exec, -1
; %bb.128:                              ;   in Loop: Header=BB238_13 Depth=1
	s_or_b64 exec, exec, s[44:45]
	s_and_b64 s[40:41], s[40:41], exec
	s_or_saveexec_b64 s[42:43], s[42:43]
	v_mov_b32_e32 v34, s55
	s_xor_b64 exec, exec, s[42:43]
	s_cbranch_execz .LBB238_46
.LBB238_129:                            ;   in Loop: Header=BB238_13 Depth=1
	v_cmp_ne_u16_e64 s[0:1], 0, v2
	s_andn2_b64 s[40:41], s[40:41], exec
	s_and_b64 s[0:1], s[0:1], exec
	v_mov_b32_e32 v34, 0
	s_or_b64 s[40:41], s[40:41], s[0:1]
	s_or_b64 exec, exec, s[42:43]
	s_and_saveexec_b64 s[42:43], s[40:41]
	s_cbranch_execnz .LBB238_47
	s_branch .LBB238_48
.LBB238_130:                            ;   in Loop: Header=BB238_13 Depth=1
	v_cmp_eq_u16_sdwa s[56:57], v2, s53 src0_sel:BYTE_0 src1_sel:DWORD
	s_mov_b64 s[0:1], -1
                                        ; implicit-def: $sgpr44
	s_and_saveexec_b64 s[42:43], s[56:57]
; %bb.131:                              ;   in Loop: Header=BB238_13 Depth=1
	s_mov_b32 s44, 0x7fc02000
	s_xor_b64 s[0:1], exec, -1
; %bb.132:                              ;   in Loop: Header=BB238_13 Depth=1
	s_or_b64 exec, exec, s[42:43]
	s_and_b64 s[0:1], s[0:1], exec
	s_or_saveexec_b64 s[40:41], s[40:41]
	v_mov_b32_e32 v35, s44
	s_xor_b64 exec, exec, s[40:41]
	s_cbranch_execz .LBB238_50
.LBB238_133:                            ;   in Loop: Header=BB238_13 Depth=1
	v_cmp_ne_u16_sdwa s[42:43], v2, v3 src0_sel:BYTE_0 src1_sel:DWORD
	s_andn2_b64 s[0:1], s[0:1], exec
	s_and_b64 s[42:43], s[42:43], exec
	v_mov_b32_e32 v35, 0
	s_or_b64 s[0:1], s[0:1], s[42:43]
	s_or_b64 exec, exec, s[40:41]
	v_and_b32_e32 v2, 0xffff, v2
	s_and_saveexec_b64 s[40:41], s[0:1]
	s_cbranch_execnz .LBB238_51
	s_branch .LBB238_52
.LBB238_134:                            ;   in Loop: Header=BB238_13 Depth=1
	v_cmp_eq_u16_e64 s[0:1], s53, v2
	s_mov_b64 s[40:41], -1
                                        ; implicit-def: $sgpr55
	s_and_saveexec_b64 s[44:45], s[0:1]
; %bb.135:                              ;   in Loop: Header=BB238_13 Depth=1
	s_mov_b32 s55, 0x7fc02000
	s_xor_b64 s[40:41], exec, -1
; %bb.136:                              ;   in Loop: Header=BB238_13 Depth=1
	s_or_b64 exec, exec, s[44:45]
	s_and_b64 s[40:41], s[40:41], exec
	s_or_saveexec_b64 s[42:43], s[42:43]
	v_mov_b32_e32 v36, s55
	s_xor_b64 exec, exec, s[42:43]
	s_cbranch_execz .LBB238_54
.LBB238_137:                            ;   in Loop: Header=BB238_13 Depth=1
	v_cmp_ne_u16_e64 s[0:1], 0, v2
	s_andn2_b64 s[40:41], s[40:41], exec
	s_and_b64 s[0:1], s[0:1], exec
	v_mov_b32_e32 v36, 0
	s_or_b64 s[40:41], s[40:41], s[0:1]
	s_or_b64 exec, exec, s[42:43]
	s_and_saveexec_b64 s[42:43], s[40:41]
	s_cbranch_execnz .LBB238_55
	s_branch .LBB238_56
.LBB238_138:                            ;   in Loop: Header=BB238_13 Depth=1
	v_cmp_eq_u16_sdwa s[56:57], v2, s53 src0_sel:BYTE_0 src1_sel:DWORD
	s_mov_b64 s[0:1], -1
                                        ; implicit-def: $sgpr44
	s_and_saveexec_b64 s[42:43], s[56:57]
; %bb.139:                              ;   in Loop: Header=BB238_13 Depth=1
	s_mov_b32 s44, 0x7fc02000
	s_xor_b64 s[0:1], exec, -1
; %bb.140:                              ;   in Loop: Header=BB238_13 Depth=1
	s_or_b64 exec, exec, s[42:43]
	s_and_b64 s[0:1], s[0:1], exec
	s_or_saveexec_b64 s[40:41], s[40:41]
	v_mov_b32_e32 v37, s44
	s_xor_b64 exec, exec, s[40:41]
	s_cbranch_execz .LBB238_58
.LBB238_141:                            ;   in Loop: Header=BB238_13 Depth=1
	v_cmp_ne_u16_sdwa s[42:43], v2, v3 src0_sel:BYTE_0 src1_sel:DWORD
	s_andn2_b64 s[0:1], s[0:1], exec
	s_and_b64 s[42:43], s[42:43], exec
	v_mov_b32_e32 v37, 0
	s_or_b64 s[0:1], s[0:1], s[42:43]
	s_or_b64 exec, exec, s[40:41]
	v_and_b32_e32 v2, 0xffff, v2
	s_and_saveexec_b64 s[40:41], s[0:1]
	s_cbranch_execnz .LBB238_59
	s_branch .LBB238_60
.LBB238_142:                            ;   in Loop: Header=BB238_13 Depth=1
	v_cmp_eq_u16_e64 s[0:1], s53, v2
	s_mov_b64 s[40:41], -1
                                        ; implicit-def: $sgpr55
	s_and_saveexec_b64 s[44:45], s[0:1]
; %bb.143:                              ;   in Loop: Header=BB238_13 Depth=1
	s_mov_b32 s55, 0x7fc02000
	s_xor_b64 s[40:41], exec, -1
; %bb.144:                              ;   in Loop: Header=BB238_13 Depth=1
	s_or_b64 exec, exec, s[44:45]
	s_and_b64 s[40:41], s[40:41], exec
	s_or_saveexec_b64 s[42:43], s[42:43]
	v_mov_b32_e32 v38, s55
	s_xor_b64 exec, exec, s[42:43]
	s_cbranch_execz .LBB238_62
.LBB238_145:                            ;   in Loop: Header=BB238_13 Depth=1
	v_cmp_ne_u16_e64 s[0:1], 0, v2
	s_andn2_b64 s[40:41], s[40:41], exec
	s_and_b64 s[0:1], s[0:1], exec
	v_mov_b32_e32 v38, 0
	s_or_b64 s[40:41], s[40:41], s[0:1]
	s_or_b64 exec, exec, s[42:43]
	s_and_saveexec_b64 s[42:43], s[40:41]
	s_cbranch_execnz .LBB238_63
	s_branch .LBB238_64
.LBB238_146:                            ;   in Loop: Header=BB238_13 Depth=1
	v_cmp_eq_u16_sdwa s[56:57], v2, s53 src0_sel:BYTE_0 src1_sel:DWORD
	s_mov_b64 s[0:1], -1
                                        ; implicit-def: $sgpr44
	s_and_saveexec_b64 s[42:43], s[56:57]
; %bb.147:                              ;   in Loop: Header=BB238_13 Depth=1
	s_mov_b32 s44, 0x7fc02000
	s_xor_b64 s[0:1], exec, -1
; %bb.148:                              ;   in Loop: Header=BB238_13 Depth=1
	s_or_b64 exec, exec, s[42:43]
	s_and_b64 s[0:1], s[0:1], exec
	s_or_saveexec_b64 s[40:41], s[40:41]
	v_mov_b32_e32 v39, s44
	s_xor_b64 exec, exec, s[40:41]
	s_cbranch_execz .LBB238_66
.LBB238_149:                            ;   in Loop: Header=BB238_13 Depth=1
	v_cmp_ne_u16_sdwa s[42:43], v2, v3 src0_sel:BYTE_0 src1_sel:DWORD
	s_andn2_b64 s[0:1], s[0:1], exec
	s_and_b64 s[42:43], s[42:43], exec
	v_mov_b32_e32 v39, 0
	s_or_b64 s[0:1], s[0:1], s[42:43]
	s_or_b64 exec, exec, s[40:41]
	v_and_b32_e32 v2, 0xffff, v2
	s_and_saveexec_b64 s[40:41], s[0:1]
	s_cbranch_execnz .LBB238_67
	s_branch .LBB238_68
.LBB238_150:                            ;   in Loop: Header=BB238_13 Depth=1
	v_cmp_eq_u16_e64 s[0:1], s53, v2
	s_mov_b64 s[40:41], -1
                                        ; implicit-def: $sgpr55
	s_and_saveexec_b64 s[44:45], s[0:1]
; %bb.151:                              ;   in Loop: Header=BB238_13 Depth=1
	s_mov_b32 s55, 0x7fc02000
	s_xor_b64 s[40:41], exec, -1
; %bb.152:                              ;   in Loop: Header=BB238_13 Depth=1
	s_or_b64 exec, exec, s[44:45]
	s_and_b64 s[40:41], s[40:41], exec
	s_or_saveexec_b64 s[42:43], s[42:43]
	v_mov_b32_e32 v40, s55
	s_xor_b64 exec, exec, s[42:43]
	s_cbranch_execz .LBB238_70
.LBB238_153:                            ;   in Loop: Header=BB238_13 Depth=1
	v_cmp_ne_u16_e64 s[0:1], 0, v2
	s_andn2_b64 s[40:41], s[40:41], exec
	s_and_b64 s[0:1], s[0:1], exec
	v_mov_b32_e32 v40, 0
	s_or_b64 s[40:41], s[40:41], s[0:1]
	s_or_b64 exec, exec, s[42:43]
	s_and_saveexec_b64 s[42:43], s[40:41]
	s_cbranch_execnz .LBB238_71
	s_branch .LBB238_72
.LBB238_154:                            ;   in Loop: Header=BB238_13 Depth=1
	v_cmp_eq_u16_sdwa s[56:57], v2, s53 src0_sel:BYTE_0 src1_sel:DWORD
	s_mov_b64 s[0:1], -1
                                        ; implicit-def: $sgpr44
	s_and_saveexec_b64 s[42:43], s[56:57]
; %bb.155:                              ;   in Loop: Header=BB238_13 Depth=1
	s_mov_b32 s44, 0x7fc02000
	s_xor_b64 s[0:1], exec, -1
; %bb.156:                              ;   in Loop: Header=BB238_13 Depth=1
	s_or_b64 exec, exec, s[42:43]
	s_and_b64 s[0:1], s[0:1], exec
	s_or_saveexec_b64 s[40:41], s[40:41]
	v_mov_b32_e32 v41, s44
	s_xor_b64 exec, exec, s[40:41]
	s_cbranch_execz .LBB238_74
.LBB238_157:                            ;   in Loop: Header=BB238_13 Depth=1
	v_cmp_ne_u16_sdwa s[42:43], v2, v3 src0_sel:BYTE_0 src1_sel:DWORD
	s_andn2_b64 s[0:1], s[0:1], exec
	s_and_b64 s[42:43], s[42:43], exec
	v_mov_b32_e32 v41, 0
	s_or_b64 s[0:1], s[0:1], s[42:43]
	s_or_b64 exec, exec, s[40:41]
	v_and_b32_e32 v2, 0xffff, v2
	s_and_saveexec_b64 s[40:41], s[0:1]
	s_cbranch_execnz .LBB238_75
	s_branch .LBB238_76
.LBB238_158:                            ;   in Loop: Header=BB238_13 Depth=1
	v_cmp_eq_u16_e64 s[0:1], s53, v2
	s_mov_b64 s[40:41], -1
                                        ; implicit-def: $sgpr55
	s_and_saveexec_b64 s[44:45], s[0:1]
; %bb.159:                              ;   in Loop: Header=BB238_13 Depth=1
	s_mov_b32 s55, 0x7fc02000
	s_xor_b64 s[40:41], exec, -1
; %bb.160:                              ;   in Loop: Header=BB238_13 Depth=1
	s_or_b64 exec, exec, s[44:45]
	s_and_b64 s[40:41], s[40:41], exec
	s_or_saveexec_b64 s[42:43], s[42:43]
	v_mov_b32_e32 v42, s55
	s_xor_b64 exec, exec, s[42:43]
	s_cbranch_execz .LBB238_78
.LBB238_161:                            ;   in Loop: Header=BB238_13 Depth=1
	v_cmp_ne_u16_e64 s[0:1], 0, v2
	s_andn2_b64 s[40:41], s[40:41], exec
	s_and_b64 s[0:1], s[0:1], exec
	v_mov_b32_e32 v42, 0
	s_or_b64 s[40:41], s[40:41], s[0:1]
	s_or_b64 exec, exec, s[42:43]
	s_and_saveexec_b64 s[42:43], s[40:41]
	s_cbranch_execnz .LBB238_79
	s_branch .LBB238_80
.LBB238_162:                            ;   in Loop: Header=BB238_13 Depth=1
	v_cmp_eq_u16_sdwa s[56:57], v2, s53 src0_sel:BYTE_0 src1_sel:DWORD
	s_mov_b64 s[0:1], -1
                                        ; implicit-def: $sgpr44
	s_and_saveexec_b64 s[42:43], s[56:57]
; %bb.163:                              ;   in Loop: Header=BB238_13 Depth=1
	s_mov_b32 s44, 0x7fc02000
	s_xor_b64 s[0:1], exec, -1
; %bb.164:                              ;   in Loop: Header=BB238_13 Depth=1
	s_or_b64 exec, exec, s[42:43]
	s_and_b64 s[0:1], s[0:1], exec
	s_or_saveexec_b64 s[40:41], s[40:41]
	v_mov_b32_e32 v43, s44
	s_xor_b64 exec, exec, s[40:41]
	s_cbranch_execz .LBB238_82
.LBB238_165:                            ;   in Loop: Header=BB238_13 Depth=1
	v_cmp_ne_u16_sdwa s[42:43], v2, v3 src0_sel:BYTE_0 src1_sel:DWORD
	s_andn2_b64 s[0:1], s[0:1], exec
	s_and_b64 s[42:43], s[42:43], exec
	v_mov_b32_e32 v43, 0
	s_or_b64 s[0:1], s[0:1], s[42:43]
	s_or_b64 exec, exec, s[40:41]
	v_and_b32_e32 v2, 0xffff, v2
	s_and_saveexec_b64 s[40:41], s[0:1]
	s_cbranch_execnz .LBB238_83
	s_branch .LBB238_84
.LBB238_166:                            ;   in Loop: Header=BB238_13 Depth=1
	v_cmp_eq_u16_e64 s[0:1], s53, v2
	s_mov_b64 s[40:41], -1
                                        ; implicit-def: $sgpr55
	s_and_saveexec_b64 s[44:45], s[0:1]
; %bb.167:                              ;   in Loop: Header=BB238_13 Depth=1
	s_mov_b32 s55, 0x7fc02000
	s_xor_b64 s[40:41], exec, -1
; %bb.168:                              ;   in Loop: Header=BB238_13 Depth=1
	s_or_b64 exec, exec, s[44:45]
	s_and_b64 s[40:41], s[40:41], exec
	s_or_saveexec_b64 s[42:43], s[42:43]
	v_mov_b32_e32 v44, s55
	s_xor_b64 exec, exec, s[42:43]
	s_cbranch_execz .LBB238_86
.LBB238_169:                            ;   in Loop: Header=BB238_13 Depth=1
	v_cmp_ne_u16_e64 s[0:1], 0, v2
	s_andn2_b64 s[40:41], s[40:41], exec
	s_and_b64 s[0:1], s[0:1], exec
	v_mov_b32_e32 v44, 0
	s_or_b64 s[40:41], s[40:41], s[0:1]
	s_or_b64 exec, exec, s[42:43]
	s_and_saveexec_b64 s[42:43], s[40:41]
	s_cbranch_execnz .LBB238_87
	s_branch .LBB238_88
.LBB238_170:                            ;   in Loop: Header=BB238_13 Depth=1
	v_cmp_eq_u16_sdwa s[56:57], v2, s53 src0_sel:BYTE_0 src1_sel:DWORD
	s_mov_b64 s[0:1], -1
                                        ; implicit-def: $sgpr44
	s_and_saveexec_b64 s[42:43], s[56:57]
; %bb.171:                              ;   in Loop: Header=BB238_13 Depth=1
	s_mov_b32 s44, 0x7fc02000
	s_xor_b64 s[0:1], exec, -1
; %bb.172:                              ;   in Loop: Header=BB238_13 Depth=1
	s_or_b64 exec, exec, s[42:43]
	s_and_b64 s[0:1], s[0:1], exec
	s_or_saveexec_b64 s[40:41], s[40:41]
	v_mov_b32_e32 v10, s44
	s_xor_b64 exec, exec, s[40:41]
	s_cbranch_execz .LBB238_90
.LBB238_173:                            ;   in Loop: Header=BB238_13 Depth=1
	v_cmp_ne_u16_sdwa s[42:43], v2, v3 src0_sel:BYTE_0 src1_sel:DWORD
	s_andn2_b64 s[0:1], s[0:1], exec
	s_and_b64 s[42:43], s[42:43], exec
	v_mov_b32_e32 v10, 0
	s_or_b64 s[0:1], s[0:1], s[42:43]
	s_or_b64 exec, exec, s[40:41]
	v_and_b32_e32 v2, 0xffff, v2
	s_and_saveexec_b64 s[40:41], s[0:1]
	s_cbranch_execnz .LBB238_91
	s_branch .LBB238_92
.LBB238_174:                            ;   in Loop: Header=BB238_13 Depth=1
	v_cmp_eq_u16_e64 s[0:1], s53, v2
	s_mov_b64 s[40:41], -1
                                        ; implicit-def: $sgpr55
	s_and_saveexec_b64 s[44:45], s[0:1]
; %bb.175:                              ;   in Loop: Header=BB238_13 Depth=1
	s_mov_b32 s55, 0x7fc02000
	s_xor_b64 s[40:41], exec, -1
; %bb.176:                              ;   in Loop: Header=BB238_13 Depth=1
	s_or_b64 exec, exec, s[44:45]
	s_and_b64 s[40:41], s[40:41], exec
	s_or_saveexec_b64 s[42:43], s[42:43]
	v_mov_b32_e32 v11, s55
	s_xor_b64 exec, exec, s[42:43]
	s_cbranch_execz .LBB238_94
.LBB238_177:                            ;   in Loop: Header=BB238_13 Depth=1
	v_cmp_ne_u16_e64 s[0:1], 0, v2
	s_andn2_b64 s[40:41], s[40:41], exec
	s_and_b64 s[0:1], s[0:1], exec
	v_mov_b32_e32 v11, 0
	s_or_b64 s[40:41], s[40:41], s[0:1]
	s_or_b64 exec, exec, s[42:43]
	s_and_saveexec_b64 s[42:43], s[40:41]
	s_cbranch_execnz .LBB238_95
	s_branch .LBB238_96
.LBB238_178:
	s_or_b64 exec, exec, s[38:39]
.LBB238_179:
	s_or_b64 exec, exec, s[18:19]
	v_mbcnt_hi_u32_b32 v2, -1, v13
	v_and_b32_e32 v3, 64, v2
	v_add_u32_e32 v3, 64, v3
	v_xor_b32_e32 v4, 32, v2
	v_cmp_lt_i32_e32 vcc, v4, v3
	v_xor_b32_e32 v7, 16, v2
	v_max_f32_e32 v6, v16, v16
	v_cndmask_b32_e32 v4, v2, v4, vcc
	v_lshlrev_b32_e32 v4, 2, v4
	ds_bpermute_b32 v5, v4, v16
	v_cmp_lt_i32_e32 vcc, v7, v3
	v_xor_b32_e32 v8, 8, v2
	s_waitcnt lgkmcnt(0)
	v_max_f32_e32 v5, v5, v5
	v_max_f32_e32 v5, v6, v5
	v_cndmask_b32_e32 v6, v2, v7, vcc
	v_lshlrev_b32_e32 v7, 2, v6
	ds_bpermute_b32 v6, v7, v5
	v_cmp_lt_i32_e32 vcc, v8, v3
	s_waitcnt lgkmcnt(0)
	v_max_f32_e32 v6, v6, v6
	v_max_f32_e32 v5, v5, v6
	v_cndmask_b32_e32 v6, v2, v8, vcc
	v_lshlrev_b32_e32 v10, 2, v6
	ds_bpermute_b32 v6, v10, v5
	v_xor_b32_e32 v8, 4, v2
	v_cmp_lt_i32_e32 vcc, v8, v3
	s_waitcnt lgkmcnt(0)
	v_max_f32_e32 v6, v6, v6
	v_max_f32_e32 v5, v5, v6
	v_cndmask_b32_e32 v6, v2, v8, vcc
	v_lshlrev_b32_e32 v11, 2, v6
	ds_bpermute_b32 v9, v11, v5
	v_and_b32_e32 v6, 63, v0
	v_cmp_eq_u32_e32 vcc, 0, v6
	v_lshlrev_b32_e32 v8, 2, v1
	s_and_saveexec_b64 s[0:1], vcc
	s_cbranch_execz .LBB238_181
; %bb.180:
	s_waitcnt lgkmcnt(0)
	v_max_f32_e32 v9, v9, v9
	v_max_f32_e32 v5, v5, v5
	;; [unrolled: 1-line block ×3, first 2 shown]
	ds_write_b32 v8, v5 offset:160
.LBB238_181:
	s_or_b64 exec, exec, s[0:1]
	v_cmp_gt_u32_e64 s[0:1], 2, v6
	v_mov_b32_e32 v13, 0xff7fffff
	s_waitcnt lgkmcnt(0)
	v_lshlrev_b32_e32 v9, 2, v6
	s_barrier
	s_and_saveexec_b64 s[2:3], s[0:1]
	s_cbranch_execz .LBB238_183
; %bb.182:
	ds_read_b32 v13, v9 offset:160
.LBB238_183:
	s_or_b64 exec, exec, s[2:3]
	v_xor_b32_e32 v5, 1, v2
	v_cmp_lt_i32_e64 s[2:3], v5, v3
	v_lshlrev_b32_e32 v15, 2, v2
	s_nop 0
	v_cndmask_b32_e64 v5, v2, v5, s[2:3]
	v_lshlrev_b32_e32 v5, 2, v5
	s_waitcnt lgkmcnt(0)
	ds_bpermute_b32 v14, v5, v13
	v_max_f32_e32 v13, v13, v13
	s_lshl_b32 s2, s48, 4
	s_min_i32 s23, s2, s33
	v_cmp_gt_i32_e64 s[2:3], s23, v0
	s_waitcnt lgkmcnt(0)
	v_max_f32_e32 v14, v14, v14
	v_max_f32_e32 v14, v13, v14
	v_and_b32_e32 v13, 0x100, v15
	ds_bpermute_b32 v15, v13, v14
	v_mov_b32_e32 v14, 0
	s_and_saveexec_b64 s[12:13], s[2:3]
	s_cbranch_execz .LBB238_187
; %bb.184:
	v_mov_b32_e32 v14, 0xb0
	v_lshl_add_u32 v16, v0, 2, v14
	s_mov_b64 s[18:19], 0
	v_mov_b32_e32 v14, 0
	v_mov_b32_e32 v17, v0
.LBB238_185:                            ; =>This Inner Loop Header: Depth=1
	ds_read_b32 v18, v16
	v_add_u32_e32 v17, 0x80, v17
	v_cmp_le_i32_e64 s[8:9], s23, v17
	s_or_b64 s[18:19], s[8:9], s[18:19]
	s_waitcnt lgkmcnt(0)
	v_sub_f32_e32 v18, v18, v15
	v_mul_f32_e32 v18, 0x3fb8aa3b, v18
	v_exp_f32_e32 v18, v18
	ds_write_b32 v16, v18
	v_add_f32_e32 v14, v14, v18
	v_add_u32_e32 v16, 0x200, v16
	s_andn2_b64 exec, exec, s[18:19]
	s_cbranch_execnz .LBB238_185
; %bb.186:
	s_or_b64 exec, exec, s[18:19]
.LBB238_187:
	s_or_b64 exec, exec, s[12:13]
	ds_bpermute_b32 v4, v4, v14
	s_waitcnt lgkmcnt(0)
	v_add_f32_e32 v4, v14, v4
	ds_bpermute_b32 v7, v7, v4
	s_waitcnt lgkmcnt(0)
	v_add_f32_e32 v4, v4, v7
	ds_bpermute_b32 v7, v10, v4
	v_xor_b32_e32 v10, 2, v2
	v_cmp_lt_i32_e64 s[8:9], v10, v3
	s_waitcnt lgkmcnt(0)
	v_add_f32_e32 v4, v4, v7
	ds_bpermute_b32 v7, v11, v4
	v_cndmask_b32_e64 v2, v2, v10, s[8:9]
	v_lshlrev_b32_e32 v2, 2, v2
	s_waitcnt lgkmcnt(0)
	v_add_f32_e32 v3, v4, v7
	ds_bpermute_b32 v2, v2, v3
	s_waitcnt lgkmcnt(0)
	v_add_f32_e32 v2, v3, v2
	ds_bpermute_b32 v3, v5, v2
	s_waitcnt lgkmcnt(0)
	v_add_f32_e32 v2, v2, v3
	s_and_saveexec_b64 s[8:9], vcc
	s_cbranch_execz .LBB238_189
; %bb.188:
	ds_write_b32 v8, v2 offset:168
.LBB238_189:
	s_or_b64 exec, exec, s[8:9]
	s_waitcnt lgkmcnt(0)
	s_barrier
	s_and_saveexec_b64 s[8:9], s[0:1]
	s_cbranch_execz .LBB238_191
; %bb.190:
	ds_read_b32 v2, v9 offset:168
.LBB238_191:
	s_or_b64 exec, exec, s[8:9]
	s_waitcnt lgkmcnt(0)
	ds_bpermute_b32 v3, v5, v2
	s_waitcnt lgkmcnt(0)
	v_add_f32_e32 v2, v2, v3
	ds_bpermute_b32 v2, v13, v2
	s_and_saveexec_b64 s[0:1], s[2:3]
	s_cbranch_execz .LBB238_204
; %bb.192:
	s_waitcnt lgkmcnt(0)
	v_add_f32_e32 v2, 0x358637bd, v2
	v_div_scale_f32 v3, s[2:3], v2, v2, 1.0
	v_rcp_f32_e32 v4, v3
	v_div_scale_f32 v7, vcc, 1.0, v2, 1.0
	s_movk_i32 s2, 0x7f
	v_fma_f32 v8, -v3, v4, 1.0
	v_fmac_f32_e32 v4, v8, v4
	v_mul_f32_e32 v8, v7, v4
	v_fma_f32 v9, -v3, v8, v7
	v_fmac_f32_e32 v8, v9, v4
	v_fma_f32 v3, -v3, v8, v7
	v_div_fmas_f32 v3, v3, v4, v8
	v_xad_u32 v4, v0, -1, s23
	v_div_fixup_f32 v2, v3, v2, 1.0
	v_cmp_lt_u32_e32 vcc, s2, v4
	s_mov_b64 s[8:9], -1
	v_mov_b32_e32 v3, v0
	s_and_saveexec_b64 s[2:3], vcc
	s_cbranch_execz .LBB238_201
; %bb.193:
	v_lshrrev_b32_e32 v4, 7, v4
	v_add_u32_e32 v8, -1, v4
	v_lshrrev_b32_e32 v7, 1, v8
	v_mov_b32_e32 v3, v2
	v_add_u32_e32 v7, 1, v7
	v_cmp_lt_u32_e32 vcc, 13, v8
	v_mov_b32_e32 v10, 0
	s_and_saveexec_b64 s[8:9], vcc
	s_cbranch_execz .LBB238_197
; %bb.194:
	v_mov_b32_e32 v9, 0xb0
	v_and_b32_e32 v8, -8, v7
	v_lshl_add_u32 v9, v0, 2, v9
	s_mov_b32 s18, 0
	s_mov_b64 s[12:13], 0
.LBB238_195:                            ; =>This Inner Loop Header: Depth=1
	ds_read2st64_b32 v[10:11], v9 offset1:2
	ds_read2st64_b32 v[14:15], v9 offset0:4 offset1:6
	ds_read2st64_b32 v[16:17], v9 offset0:8 offset1:10
	;; [unrolled: 1-line block ×3, first 2 shown]
	v_add_u32_e32 v8, -8, v8
	s_waitcnt lgkmcnt(3)
	v_pk_mul_f32 v[10:11], v[2:3], v[10:11]
	s_waitcnt lgkmcnt(2)
	v_pk_mul_f32 v[14:15], v[2:3], v[14:15]
	ds_write2st64_b32 v9, v10, v11 offset1:2
	ds_write2st64_b32 v9, v14, v15 offset0:4 offset1:6
	ds_read2st64_b32 v[14:15], v9 offset0:16 offset1:18
	s_waitcnt lgkmcnt(4)
	v_pk_mul_f32 v[10:11], v[2:3], v[16:17]
	ds_write2st64_b32 v9, v10, v11 offset0:8 offset1:10
	s_waitcnt lgkmcnt(4)
	v_pk_mul_f32 v[10:11], v[2:3], v[18:19]
	ds_write2st64_b32 v9, v10, v11 offset0:12 offset1:14
	ds_read2st64_b32 v[10:11], v9 offset0:20 offset1:22
	s_waitcnt lgkmcnt(3)
	v_pk_mul_f32 v[14:15], v[2:3], v[14:15]
	ds_read2st64_b32 v[16:17], v9 offset0:24 offset1:26
	ds_write2st64_b32 v9, v14, v15 offset0:16 offset1:18
	ds_read2st64_b32 v[14:15], v9 offset0:28 offset1:30
	s_waitcnt lgkmcnt(3)
	v_pk_mul_f32 v[10:11], v[2:3], v[10:11]
	ds_write2st64_b32 v9, v10, v11 offset0:20 offset1:22
	s_waitcnt lgkmcnt(3)
	v_pk_mul_f32 v[10:11], v[2:3], v[16:17]
	ds_write2st64_b32 v9, v10, v11 offset0:24 offset1:26
	s_waitcnt lgkmcnt(2)
	v_pk_mul_f32 v[10:11], v[2:3], v[14:15]
	s_add_i32 s18, s18, 16
	v_cmp_eq_u32_e32 vcc, 0, v8
	ds_write2st64_b32 v9, v10, v11 offset0:28 offset1:30
	v_add_u32_e32 v9, 0x2000, v9
	s_or_b64 s[12:13], vcc, s[12:13]
	v_mov_b32_e32 v10, s18
	s_andn2_b64 exec, exec, s[12:13]
	s_cbranch_execnz .LBB238_195
; %bb.196:
	s_or_b64 exec, exec, s[12:13]
.LBB238_197:
	s_or_b64 exec, exec, s[8:9]
	v_and_b32_e32 v7, 7, v7
	v_cmp_ne_u32_e32 vcc, 0, v7
	s_and_saveexec_b64 s[8:9], vcc
	s_cbranch_execz .LBB238_200
; %bb.198:
	v_lshlrev_b32_e32 v8, 9, v10
	v_lshlrev_b32_e32 v9, 2, v0
	s_movk_i32 s12, 0xb0
	v_add3_u32 v8, v8, v9, s12
	s_mov_b64 s[12:13], 0
.LBB238_199:                            ; =>This Inner Loop Header: Depth=1
	ds_read2st64_b32 v[10:11], v8 offset1:2
	v_add_u32_e32 v7, -1, v7
	v_cmp_eq_u32_e32 vcc, 0, v7
	s_or_b64 s[12:13], vcc, s[12:13]
	s_waitcnt lgkmcnt(0)
	v_pk_mul_f32 v[10:11], v[2:3], v[10:11]
	ds_write2st64_b32 v8, v10, v11 offset1:2
	v_add_u32_e32 v8, 0x400, v8
	s_andn2_b64 exec, exec, s[12:13]
	s_cbranch_execnz .LBB238_199
.LBB238_200:
	s_or_b64 exec, exec, s[8:9]
	v_add_u32_e32 v4, 1, v4
	v_and_b32_e32 v7, 0x3fffffe, v4
	v_cmp_ne_u32_e32 vcc, v4, v7
	v_lshl_add_u32 v3, v7, 7, v0
	s_orn2_b64 s[8:9], vcc, exec
.LBB238_201:
	s_or_b64 exec, exec, s[2:3]
	s_and_b64 exec, exec, s[8:9]
	s_cbranch_execz .LBB238_204
; %bb.202:
	v_mov_b32_e32 v4, 0xb0
	v_lshl_add_u32 v4, v3, 2, v4
	s_mov_b64 s[2:3], 0
.LBB238_203:                            ; =>This Inner Loop Header: Depth=1
	ds_read_b32 v7, v4
	v_add_u32_e32 v3, 0x80, v3
	v_cmp_le_i32_e32 vcc, s23, v3
	s_or_b64 s[2:3], vcc, s[2:3]
	s_waitcnt lgkmcnt(0)
	v_mul_f32_e32 v7, v2, v7
	ds_write_b32 v4, v7
	v_add_u32_e32 v4, 0x200, v4
	s_andn2_b64 exec, exec, s[2:3]
	s_cbranch_execnz .LBB238_203
.LBB238_204:
	s_or_b64 exec, exec, s[0:1]
	s_mov_b32 s0, 0
	v_mov_b32_e32 v4, 0
	v_lshrrev_b32_e32 v28, 1, v6
	v_and_b32_e32 v27, 1, v0
	v_mov_b32_e32 v3, 0
	s_waitcnt lgkmcnt(0)
	v_mov_b32_e32 v2, 0
	s_barrier
	s_and_saveexec_b64 s[8:9], s[6:7]
	s_cbranch_execz .LBB238_410
; %bb.205:
	s_sub_i32 s37, s16, s21
	s_ashr_i32 s1, s20, 31
	s_add_u32 s6, s34, s20
	v_lshlrev_b32_e32 v2, 3, v0
	s_addc_u32 s7, s35, s1
	s_abs_i32 s35, s22
	v_and_b32_e32 v29, 8, v2
	v_cvt_f32_u32_e32 v2, s35
	v_or_b32_e32 v3, 64, v28
	s_movk_i32 s1, 0x50
	v_cmp_gt_u32_e32 vcc, s1, v3
	v_rcp_iflag_f32_e32 v2, v2
	s_sub_i32 s1, 0, s35
	s_add_i32 s34, s48, -1
	v_lshl_or_b32 v10, v3, 4, v29
	v_mul_f32_e32 v2, 0x4f7ffffe, v2
	v_cvt_u32_f32_e32 v2, v2
	s_lshl_b64 s[2:3], s[30:31], 2
	s_add_u32 s2, s28, s2
	v_mov_b32_e32 v9, 0
	v_mul_lo_u32 v3, s1, v2
	v_mul_hi_u32 v3, v2, v3
	v_add_u32_e32 v30, v2, v3
	v_and_b32_e32 v8, 60, v12
	s_addc_u32 s3, s29, s3
	v_lshlrev_b32_e32 v2, 5, v27
	v_lshl_add_u64 v[12:13], s[2:3], 0, v[8:9]
	v_lshl_or_b32 v2, v1, 6, v2
	s_mov_b32 s2, s0
	v_add_u32_e32 v31, 0xb0, v2
	s_mov_b32 s1, s0
	v_mov_b32_e32 v4, s2
	s_mov_b32 s38, s17
	v_lshl_or_b32 v6, v28, 4, v29
	v_mov_b32_e32 v7, v9
	v_mov_b32_e32 v11, v9
	s_mov_b32 s39, s33
	s_mov_b64 s[12:13], 0
	v_mov_b32_e32 v3, s1
	v_mov_b32_e32 v2, s0
	s_movk_i32 s30, 0x7f
	s_movk_i32 s31, 0x80
	s_mov_b32 s40, 0x8000
	s_movk_i32 s41, 0x380
	s_mov_b32 s42, 0x3020706
	s_mov_b32 s43, 0x1000504
	;; [unrolled: 1-line block ×3, first 2 shown]
	v_mov_b32_e32 v32, 0x1c00
	s_branch .LBB238_209
.LBB238_206:                            ;   in Loop: Header=BB238_209 Depth=1
	s_or_b64 exec, exec, s[2:3]
	;;#ASMSTART
	v_pk_mul_f16 v16, v35, v17;

	;;#ASMEND
	;;#ASMSTART
	v_pk_mul_f16 v8, v34, v8;

	;;#ASMEND
	;; [unrolled: 4-line block ×4, first 2 shown]
	s_nop 0
	;;#ASMSTART
	v_pk_add_f16 v8, v16, v8;

	;;#ASMEND
	s_nop 0
	;;#ASMSTART
	v_pk_add_f16 v8, v8, v15;

	;;#ASMEND
	;; [unrolled: 5-line block ×3, first 2 shown]
	s_nop 0
	v_lshrrev_b32_e32 v14, 16, v8
	v_and_b32_e32 v8, 0xffff, v8
	;;#ASMSTART
	v_cvt_f32_f16 v8, v8;
	;;#ASMEND
	;;#ASMSTART
	v_cvt_f32_f16 v14, v14;
	;;#ASMEND
	s_nop 0
	v_add_f32_e32 v8, v8, v14
	v_add_f32_e32 v4, v4, v8
.LBB238_207:                            ;   in Loop: Header=BB238_209 Depth=1
	s_or_b64 exec, exec, s[18:19]
.LBB238_208:                            ;   in Loop: Header=BB238_209 Depth=1
	s_or_b64 exec, exec, s[16:17]
	v_add_u32_e32 v1, 2, v1
	v_cmp_le_i32_e64 s[0:1], s48, v1
	v_lshl_add_u64 v[12:13], v[12:13], 0, 8
	v_add_u32_e32 v26, 32, v26
	s_or_b64 s[12:13], s[0:1], s[12:13]
	v_add_u32_e32 v31, 0x80, v31
	s_andn2_b64 exec, exec, s[12:13]
	s_cbranch_execz .LBB238_409
.LBB238_209:                            ; =>This Inner Loop Header: Depth=1
	v_mul_hi_u32 v8, v26, s46
	v_mul_lo_u32 v14, v8, s25
	v_sub_u32_e32 v14, v26, v14
	v_add_u32_e32 v15, 1, v8
	v_cmp_le_u32_e64 s[0:1], s25, v14
	s_nop 1
	v_cndmask_b32_e64 v8, v8, v15, s[0:1]
	v_subrev_u32_e32 v15, s25, v14
	v_cndmask_b32_e64 v14, v14, v15, s[0:1]
	v_add_u32_e32 v15, 1, v8
	v_cmp_le_u32_e64 s[0:1], s25, v14
	s_nop 1
	v_cndmask_b32_e64 v8, v8, v15, s[0:1]
	v_xor_b32_e32 v8, s47, v8
	v_subrev_u32_e32 v8, s47, v8
	v_add_u32_e32 v14, s36, v8
	v_sub_u32_e32 v16, 0, v14
	v_ashrrev_i32_e32 v15, 31, v14
	v_max_i32_e32 v14, v14, v16
	v_mul_hi_u32 v16, v14, v30
	v_mul_lo_u32 v16, v16, s35
	v_sub_u32_e32 v14, v14, v16
	v_subrev_u32_e32 v16, s35, v14
	v_cmp_le_u32_e64 s[0:1], s35, v14
	v_cmp_lt_i32_e64 s[2:3], s37, v8
	s_nop 0
	v_cndmask_b32_e64 v14, v14, v16, s[0:1]
	v_subrev_u32_e32 v16, s35, v14
	v_cmp_le_u32_e64 s[0:1], s35, v14
	s_nop 1
	v_cndmask_b32_e64 v14, v14, v16, s[0:1]
	v_xor_b32_e32 v14, v14, v15
	v_sub_u32_e32 v14, v14, v15
	v_cmp_eq_u32_e64 s[0:1], 0, v14
	s_or_b64 s[0:1], s[0:1], s[2:3]
	s_and_saveexec_b64 s[16:17], s[0:1]
	s_cbranch_execz .LBB238_208
; %bb.210:                              ;   in Loop: Header=BB238_209 Depth=1
	ds_read2_b64 v[14:17], v31 offset1:1
	ds_read2_b64 v[20:23], v31 offset0:2 offset1:3
                                        ; implicit-def: $sgpr20
	s_waitcnt lgkmcnt(1)
	;;#ASMSTART
	v_cvt_f16_f32 v19, v14;

	;;#ASMEND
	;;#ASMSTART
	v_cvt_f16_f32 v33, v15;

	;;#ASMEND
	;; [unrolled: 4-line block ×4, first 2 shown]
	s_waitcnt lgkmcnt(0)
	;;#ASMSTART
	v_cvt_f16_f32 v37, v20;

	;;#ASMEND
	;;#ASMSTART
	v_cvt_f16_f32 v38, v21;

	;;#ASMEND
	;; [unrolled: 4-line block ×4, first 2 shown]
	global_load_dword v8, v[12:13], off
	v_mov_b64_e32 v[14:15], s[6:7]
	s_waitcnt vmcnt(0)
	v_mad_i64_i32 v[14:15], s[0:1], v8, s38, v[14:15]
	v_lshl_add_u64 v[16:17], v[14:15], 0, v[6:7]
	global_load_dwordx2 v[20:21], v[16:17], off
	global_load_dword v18, v9, s[14:15]
	s_mov_b64 s[0:1], 0
	s_waitcnt vmcnt(1)
	v_cmp_gt_i16_sdwa s[2:3], v20, s30 src0_sel:BYTE_0 src1_sel:DWORD
	s_and_saveexec_b64 s[18:19], s[2:3]
	s_xor_b64 s[2:3], exec, s[18:19]
	s_cbranch_execnz .LBB238_313
; %bb.211:                              ;   in Loop: Header=BB238_209 Depth=1
	s_or_saveexec_b64 s[2:3], s[2:3]
	v_mov_b32_e32 v22, s20
	s_xor_b64 exec, exec, s[2:3]
	s_cbranch_execnz .LBB238_316
.LBB238_212:                            ;   in Loop: Header=BB238_209 Depth=1
	s_or_b64 exec, exec, s[2:3]
	s_and_saveexec_b64 s[2:3], s[0:1]
	s_cbranch_execz .LBB238_214
.LBB238_213:                            ;   in Loop: Header=BB238_209 Depth=1
	v_and_b32_e32 v8, 7, v20
	v_ffbh_u32_e32 v8, v8
	v_bfe_u32 v22, v20, 3, 4
	v_min_u32_e32 v8, 32, v8
	v_subrev_u32_e32 v23, 28, v8
	v_sub_u32_e32 v8, 29, v8
	v_cmp_eq_u32_e64 s[0:1], 0, v22
	s_nop 1
	v_cndmask_b32_e64 v8, v22, v8, s[0:1]
	v_cndmask_b32_e64 v22, 0, v23, s[0:1]
	v_lshlrev_b64 v[22:23], v22, v[20:21]
	v_lshlrev_b32_e32 v23, 8, v20
	v_lshl_add_u32 v8, v8, 10, v32
	v_lshlrev_b32_e32 v22, 7, v22
	v_and_or_b32 v8, v23, s40, v8
	v_and_or_b32 v8, v22, s41, v8
	v_cvt_f32_f16_e32 v22, v8
.LBB238_214:                            ;   in Loop: Header=BB238_209 Depth=1
	s_or_b64 exec, exec, s[2:3]
	v_lshrrev_b16_e32 v8, 8, v20
	v_cmp_lt_i16_e64 s[0:1], s30, v8
	s_mov_b64 s[2:3], 0
                                        ; implicit-def: $sgpr22
	s_and_saveexec_b64 s[18:19], s[0:1]
	s_xor_b64 s[18:19], exec, s[18:19]
	s_cbranch_execnz .LBB238_317
; %bb.215:                              ;   in Loop: Header=BB238_209 Depth=1
	s_or_saveexec_b64 s[18:19], s[18:19]
	v_mov_b32_e32 v24, s22
	s_xor_b64 exec, exec, s[18:19]
	s_cbranch_execnz .LBB238_320
.LBB238_216:                            ;   in Loop: Header=BB238_209 Depth=1
	s_or_b64 exec, exec, s[18:19]
	s_and_saveexec_b64 s[18:19], s[2:3]
	s_cbranch_execz .LBB238_218
.LBB238_217:                            ;   in Loop: Header=BB238_209 Depth=1
	v_and_b32_e32 v23, 7, v8
	v_ffbh_u32_e32 v24, v23
	v_min_u32_e32 v41, 32, v24
	v_subrev_u32_e32 v24, 28, v41
	v_bfe_u32 v35, v8, 3, 4
	v_lshlrev_b64 v[24:25], v24, v[8:9]
	v_sub_u32_e32 v25, 29, v41
	v_cmp_eq_u32_e64 s[0:1], 0, v35
	v_and_b32_e32 v24, 7, v24
	v_lshlrev_b32_e32 v8, 8, v8
	v_cndmask_b32_e64 v25, v35, v25, s[0:1]
	v_cndmask_b32_e64 v23, v23, v24, s[0:1]
	v_lshl_add_u32 v24, v25, 10, v32
	v_and_or_b32 v8, v8, s40, v24
	v_lshl_or_b32 v8, v23, 7, v8
	v_cvt_f32_f16_e32 v24, v8
.LBB238_218:                            ;   in Loop: Header=BB238_209 Depth=1
	s_or_b64 exec, exec, s[18:19]
	v_lshrrev_b32_e32 v8, 16, v20
	v_cmp_gt_i16_sdwa s[2:3], v8, s30 src0_sel:BYTE_0 src1_sel:DWORD
	s_mov_b64 s[0:1], 0
                                        ; implicit-def: $sgpr20
	s_and_saveexec_b64 s[18:19], s[2:3]
	s_xor_b64 s[2:3], exec, s[18:19]
	s_cbranch_execnz .LBB238_321
; %bb.219:                              ;   in Loop: Header=BB238_209 Depth=1
	s_or_saveexec_b64 s[2:3], s[2:3]
	v_mov_b32_e32 v23, s20
	s_xor_b64 exec, exec, s[2:3]
	s_cbranch_execnz .LBB238_324
.LBB238_220:                            ;   in Loop: Header=BB238_209 Depth=1
	s_or_b64 exec, exec, s[2:3]
	s_and_saveexec_b64 s[2:3], s[0:1]
	s_cbranch_execz .LBB238_222
.LBB238_221:                            ;   in Loop: Header=BB238_209 Depth=1
	v_bfe_u32 v23, v20, 16, 3
	v_ffbh_u32_e32 v35, v23
	v_bfe_u32 v25, v20, 19, 4
	v_min_u32_e32 v35, 32, v35
	v_subrev_u32_e32 v41, 28, v35
	v_sub_u32_e32 v35, 29, v35
	v_cmp_eq_u32_e64 s[0:1], 0, v25
	v_lshlrev_b64 v[42:43], v41, v[8:9]
	v_and_b32_e32 v41, 7, v42
	v_cndmask_b32_e64 v25, v25, v35, s[0:1]
	v_lshlrev_b32_e32 v8, 8, v8
	v_lshl_add_u32 v25, v25, 10, v32
	v_cndmask_b32_e64 v23, v23, v41, s[0:1]
	v_and_or_b32 v8, v8, s40, v25
	v_lshl_or_b32 v8, v23, 7, v8
	v_cvt_f32_f16_e32 v23, v8
.LBB238_222:                            ;   in Loop: Header=BB238_209 Depth=1
	s_or_b64 exec, exec, s[2:3]
	v_lshrrev_b32_e32 v8, 24, v20
	v_cmp_lt_i16_e64 s[0:1], s30, v8
	s_mov_b64 s[2:3], 0
                                        ; implicit-def: $sgpr22
	s_and_saveexec_b64 s[18:19], s[0:1]
	s_xor_b64 s[18:19], exec, s[18:19]
	s_cbranch_execnz .LBB238_325
; %bb.223:                              ;   in Loop: Header=BB238_209 Depth=1
	s_or_saveexec_b64 s[18:19], s[18:19]
	v_mov_b32_e32 v25, s22
	s_xor_b64 exec, exec, s[18:19]
	s_cbranch_execnz .LBB238_328
.LBB238_224:                            ;   in Loop: Header=BB238_209 Depth=1
	s_or_b64 exec, exec, s[18:19]
	s_and_saveexec_b64 s[18:19], s[2:3]
	s_cbranch_execz .LBB238_226
.LBB238_225:                            ;   in Loop: Header=BB238_209 Depth=1
	v_bfe_u32 v25, v20, 24, 3
	v_ffbh_u32_e32 v35, v25
	v_bfe_u32 v20, v20, 27, 4
	v_min_u32_e32 v35, 32, v35
	v_subrev_u32_e32 v41, 28, v35
	v_sub_u32_e32 v35, 29, v35
	v_cmp_eq_u32_e64 s[0:1], 0, v20
	v_lshlrev_b64 v[42:43], v41, v[8:9]
	v_and_b32_e32 v41, 7, v42
	v_cndmask_b32_e64 v20, v20, v35, s[0:1]
	v_lshlrev_b32_e32 v8, 8, v8
	v_lshl_add_u32 v20, v20, 10, v32
	v_cndmask_b32_e64 v25, v25, v41, s[0:1]
	v_and_or_b32 v8, v8, s40, v20
	v_lshl_or_b32 v8, v25, 7, v8
	v_cvt_f32_f16_e32 v25, v8
.LBB238_226:                            ;   in Loop: Header=BB238_209 Depth=1
	s_or_b64 exec, exec, s[18:19]
	v_cmp_gt_i16_sdwa s[2:3], v21, s30 src0_sel:BYTE_0 src1_sel:DWORD
	s_mov_b64 s[0:1], 0
                                        ; implicit-def: $sgpr20
	s_and_saveexec_b64 s[18:19], s[2:3]
	s_xor_b64 s[2:3], exec, s[18:19]
	s_cbranch_execnz .LBB238_329
; %bb.227:                              ;   in Loop: Header=BB238_209 Depth=1
	s_or_saveexec_b64 s[2:3], s[2:3]
	v_mov_b32_e32 v20, s20
	s_xor_b64 exec, exec, s[2:3]
	s_cbranch_execnz .LBB238_332
.LBB238_228:                            ;   in Loop: Header=BB238_209 Depth=1
	s_or_b64 exec, exec, s[2:3]
	v_mov_b32_e32 v8, v21
	s_and_saveexec_b64 s[2:3], s[0:1]
	s_cbranch_execz .LBB238_230
.LBB238_229:                            ;   in Loop: Header=BB238_209 Depth=1
	v_and_b32_e32 v20, 7, v21
	v_ffbh_u32_e32 v20, v20
	v_bfe_u32 v35, v21, 3, 4
	v_min_u32_e32 v20, 32, v20
	v_subrev_u32_e32 v41, 28, v20
	v_sub_u32_e32 v20, 29, v20
	v_cmp_eq_u32_e64 s[0:1], 0, v35
	s_nop 1
	v_cndmask_b32_e64 v20, v35, v20, s[0:1]
	v_cndmask_b32_e64 v35, 0, v41, s[0:1]
	v_lshlrev_b64 v[42:43], v35, v[8:9]
	v_lshlrev_b32_e32 v41, 8, v21
	v_lshl_add_u32 v20, v20, 10, v32
	v_lshlrev_b32_e32 v35, 7, v42
	v_and_or_b32 v20, v41, s40, v20
	v_and_or_b32 v20, v35, s41, v20
	v_cvt_f32_f16_e32 v20, v20
.LBB238_230:                            ;   in Loop: Header=BB238_209 Depth=1
	s_or_b64 exec, exec, s[2:3]
	v_lshrrev_b16_e32 v8, 8, v8
	v_cmp_lt_i16_e64 s[0:1], s30, v8
	s_mov_b64 s[2:3], 0
                                        ; implicit-def: $sgpr22
	s_and_saveexec_b64 s[18:19], s[0:1]
	s_xor_b64 s[18:19], exec, s[18:19]
	s_cbranch_execnz .LBB238_333
; %bb.231:                              ;   in Loop: Header=BB238_209 Depth=1
	s_or_saveexec_b64 s[18:19], s[18:19]
	v_mov_b32_e32 v35, s22
	s_xor_b64 exec, exec, s[18:19]
	s_cbranch_execnz .LBB238_336
.LBB238_232:                            ;   in Loop: Header=BB238_209 Depth=1
	s_or_b64 exec, exec, s[18:19]
	s_and_saveexec_b64 s[18:19], s[2:3]
	s_cbranch_execz .LBB238_234
.LBB238_233:                            ;   in Loop: Header=BB238_209 Depth=1
	v_and_b32_e32 v35, 7, v8
	v_ffbh_u32_e32 v42, v35
	v_min_u32_e32 v44, 32, v42
	v_subrev_u32_e32 v42, 28, v44
	v_bfe_u32 v41, v8, 3, 4
	v_lshlrev_b64 v[42:43], v42, v[8:9]
	v_sub_u32_e32 v43, 29, v44
	v_cmp_eq_u32_e64 s[0:1], 0, v41
	v_and_b32_e32 v42, 7, v42
	v_lshlrev_b32_e32 v8, 8, v8
	v_cndmask_b32_e64 v41, v41, v43, s[0:1]
	v_lshl_add_u32 v41, v41, 10, v32
	v_cndmask_b32_e64 v35, v35, v42, s[0:1]
	v_and_or_b32 v8, v8, s40, v41
	v_lshl_or_b32 v8, v35, 7, v8
	v_cvt_f32_f16_e32 v35, v8
.LBB238_234:                            ;   in Loop: Header=BB238_209 Depth=1
	s_or_b64 exec, exec, s[18:19]
	v_lshrrev_b32_e32 v8, 16, v21
	v_cmp_gt_i16_sdwa s[2:3], v8, s30 src0_sel:BYTE_0 src1_sel:DWORD
	s_mov_b64 s[0:1], 0
                                        ; implicit-def: $sgpr20
	s_and_saveexec_b64 s[18:19], s[2:3]
	s_xor_b64 s[2:3], exec, s[18:19]
	s_cbranch_execnz .LBB238_337
; %bb.235:                              ;   in Loop: Header=BB238_209 Depth=1
	s_or_saveexec_b64 s[2:3], s[2:3]
	v_mov_b32_e32 v41, s20
	s_xor_b64 exec, exec, s[2:3]
	s_cbranch_execnz .LBB238_340
.LBB238_236:                            ;   in Loop: Header=BB238_209 Depth=1
	s_or_b64 exec, exec, s[2:3]
	s_and_saveexec_b64 s[2:3], s[0:1]
	s_cbranch_execz .LBB238_238
.LBB238_237:                            ;   in Loop: Header=BB238_209 Depth=1
	v_bfe_u32 v41, v21, 16, 3
	v_ffbh_u32_e32 v42, v41
	v_min_u32_e32 v45, 32, v42
	v_subrev_u32_e32 v42, 28, v45
	v_bfe_u32 v44, v21, 19, 4
	v_lshlrev_b64 v[42:43], v42, v[8:9]
	v_sub_u32_e32 v43, 29, v45
	v_cmp_eq_u32_e64 s[0:1], 0, v44
	v_and_b32_e32 v42, 7, v42
	v_lshlrev_b32_e32 v8, 8, v8
	v_cndmask_b32_e64 v43, v44, v43, s[0:1]
	v_cndmask_b32_e64 v41, v41, v42, s[0:1]
	v_lshl_add_u32 v42, v43, 10, v32
	v_and_or_b32 v8, v8, s40, v42
	v_lshl_or_b32 v8, v41, 7, v8
	v_cvt_f32_f16_e32 v41, v8
.LBB238_238:                            ;   in Loop: Header=BB238_209 Depth=1
	s_or_b64 exec, exec, s[2:3]
	v_lshrrev_b32_e32 v8, 24, v21
	v_cmp_lt_i16_e64 s[0:1], s30, v8
	s_mov_b64 s[2:3], 0
                                        ; implicit-def: $sgpr22
	s_and_saveexec_b64 s[18:19], s[0:1]
	s_xor_b64 s[18:19], exec, s[18:19]
	s_cbranch_execnz .LBB238_341
; %bb.239:                              ;   in Loop: Header=BB238_209 Depth=1
	s_or_saveexec_b64 s[18:19], s[18:19]
	v_mov_b32_e32 v42, s22
	s_xor_b64 exec, exec, s[18:19]
	s_cbranch_execnz .LBB238_344
.LBB238_240:                            ;   in Loop: Header=BB238_209 Depth=1
	s_or_b64 exec, exec, s[18:19]
	s_and_saveexec_b64 s[18:19], s[2:3]
	s_cbranch_execz .LBB238_242
.LBB238_241:                            ;   in Loop: Header=BB238_209 Depth=1
	v_bfe_u32 v44, v21, 24, 3
	v_ffbh_u32_e32 v42, v44
	v_min_u32_e32 v45, 32, v42
	v_subrev_u32_e32 v42, 28, v45
	v_bfe_u32 v21, v21, 27, 4
	v_lshlrev_b64 v[42:43], v42, v[8:9]
	v_sub_u32_e32 v43, 29, v45
	v_cmp_eq_u32_e64 s[0:1], 0, v21
	v_and_b32_e32 v42, 7, v42
	v_lshlrev_b32_e32 v8, 8, v8
	v_cndmask_b32_e64 v21, v21, v43, s[0:1]
	v_lshl_add_u32 v21, v21, 10, v32
	v_cndmask_b32_e64 v42, v44, v42, s[0:1]
	v_and_or_b32 v8, v8, s40, v21
	v_lshl_or_b32 v8, v42, 7, v8
	v_cvt_f32_f16_e32 v42, v8
.LBB238_242:                            ;   in Loop: Header=BB238_209 Depth=1
	s_or_b64 exec, exec, s[18:19]
	s_waitcnt vmcnt(0)
	v_pk_mul_f32 v[24:25], v[18:19], v[24:25] op_sel_hi:[0,1]
	v_pk_mul_f32 v[22:23], v[18:19], v[22:23] op_sel_hi:[0,1]
	v_cvt_f16_f32_e32 v8, v25
	v_cvt_f16_f32_e32 v21, v24
	;; [unrolled: 1-line block ×4, first 2 shown]
	v_fma_mixlo_f16 v20, v18, v20, 0
	v_pack_b32_f16 v21, v21, v8
	v_add_u32_e32 v24, v29, v26
	v_pack_b32_f16 v22, v22, v23
	v_perm_b32 v8, v22, v21, s42
	v_perm_b32 v21, v22, v21, s43
	v_fma_mixlo_f16 v22, v18, v35, 0
	v_lshlrev_b32_e32 v22, 16, v22
	v_or_b32_sdwa v20, v22, v20 dst_sel:DWORD dst_unused:UNUSED_PAD src0_sel:DWORD src1_sel:WORD_0
	v_fma_mixlo_f16 v22, v18, v41, 0
	v_fma_mixlo_f16 v18, v18, v42, 0
	v_lshlrev_b32_e32 v18, 16, v18
	v_cmp_eq_u32_e64 s[0:1], s34, v1
	v_or_b32_sdwa v18, v18, v22 dst_sel:DWORD dst_unused:UNUSED_PAD src0_sel:DWORD src1_sel:WORD_0
	s_and_saveexec_b64 s[18:19], s[0:1]
	s_cbranch_execz .LBB238_244
; %bb.243:                              ;   in Loop: Header=BB238_209 Depth=1
	v_add_u32_e32 v23, 1, v24
	v_lshrrev_b32_e32 v25, 16, v21
	v_cmp_gt_i32_e64 s[2:3], s39, v23
	v_lshrrev_b32_e32 v35, 16, v8
	v_lshrrev_b32_e32 v18, 16, v18
	v_cndmask_b32_e64 v23, 0, v25, s[2:3]
	v_cmp_gt_i32_e64 s[2:3], s33, v24
	v_or_b32_e32 v25, 2, v24
	s_nop 0
	v_cndmask_b32_e64 v21, 0, v21, s[2:3]
	v_perm_b32 v21, v23, v21, s44
	v_or_b32_e32 v23, 3, v24
	v_cmp_gt_i32_e64 s[2:3], s39, v23
	s_nop 1
	v_cndmask_b32_e64 v23, 0, v35, s[2:3]
	v_cmp_gt_i32_e64 s[2:3], s33, v25
	v_or_b32_e32 v25, 4, v24
	v_lshrrev_b32_e32 v35, 16, v20
	v_cndmask_b32_e64 v8, 0, v8, s[2:3]
	v_perm_b32 v8, v23, v8, s44
	v_or_b32_e32 v23, 5, v24
	v_cmp_gt_i32_e64 s[2:3], s39, v23
	s_nop 1
	v_cndmask_b32_e64 v23, 0, v35, s[2:3]
	v_cmp_gt_i32_e64 s[2:3], s33, v25
	v_or_b32_e32 v25, 6, v24
	s_nop 0
	v_cndmask_b32_e64 v20, 0, v20, s[2:3]
	v_perm_b32 v20, v23, v20, s44
	v_or_b32_e32 v23, 7, v24
	v_cmp_gt_i32_e64 s[2:3], s39, v23
	s_nop 1
	v_cndmask_b32_e64 v18, 0, v18, s[2:3]
	v_cmp_gt_i32_e64 s[2:3], s33, v25
	s_nop 1
	v_cndmask_b32_e64 v22, 0, v22, s[2:3]
	v_perm_b32 v18, v18, v22, s44
.LBB238_244:                            ;   in Loop: Header=BB238_209 Depth=1
	s_or_b64 exec, exec, s[18:19]
	v_and_b32_e32 v19, 0xffff, v19
	v_lshl_or_b32 v35, v33, 16, v19
	v_and_b32_e32 v19, 0xffff, v34
	v_lshl_or_b32 v34, v36, 16, v19
	;; [unrolled: 2-line block ×4, first 2 shown]
	;;#ASMSTART
	v_pk_mul_f16 v19, v35, v21;

	;;#ASMEND
	;;#ASMSTART
	v_pk_mul_f16 v8, v34, v8;

	;;#ASMEND
	;; [unrolled: 4-line block ×4, first 2 shown]
	s_mov_b64 s[2:3], 0
	;;#ASMSTART
	v_pk_add_f16 v8, v19, v8;

	;;#ASMEND
                                        ; implicit-def: $sgpr22
	s_nop 0
	;;#ASMSTART
	v_pk_add_f16 v8, v8, v20;

	;;#ASMEND
	s_nop 0
	;;#ASMSTART
	v_pk_add_f16 v8, v8, v18;

	;;#ASMEND
	s_nop 0
	v_lshrrev_b32_e32 v18, 16, v8
	v_and_b32_e32 v8, 0xffff, v8
	;;#ASMSTART
	v_cvt_f32_f16 v19, v8;
	;;#ASMEND
	;;#ASMSTART
	v_cvt_f32_f16 v36, v18;
	;;#ASMEND
	global_load_dwordx2 v[20:21], v[16:17], off offset:512
	global_load_dword v18, v9, s[14:15]
	s_waitcnt vmcnt(1)
	v_cmp_gt_i16_sdwa s[18:19], v20, s30 src0_sel:BYTE_0 src1_sel:DWORD
	s_and_saveexec_b64 s[20:21], s[18:19]
	s_xor_b64 s[18:19], exec, s[20:21]
	s_cbranch_execnz .LBB238_345
; %bb.245:                              ;   in Loop: Header=BB238_209 Depth=1
	s_or_saveexec_b64 s[18:19], s[18:19]
	v_mov_b32_e32 v16, s22
	s_xor_b64 exec, exec, s[18:19]
	s_cbranch_execnz .LBB238_348
.LBB238_246:                            ;   in Loop: Header=BB238_209 Depth=1
	s_or_b64 exec, exec, s[18:19]
	s_and_saveexec_b64 s[18:19], s[2:3]
	s_cbranch_execz .LBB238_248
.LBB238_247:                            ;   in Loop: Header=BB238_209 Depth=1
	v_and_b32_e32 v8, 7, v20
	v_ffbh_u32_e32 v8, v8
	v_bfe_u32 v16, v20, 3, 4
	v_min_u32_e32 v8, 32, v8
	v_subrev_u32_e32 v17, 28, v8
	v_sub_u32_e32 v8, 29, v8
	v_cmp_eq_u32_e64 s[2:3], 0, v16
	s_nop 1
	v_cndmask_b32_e64 v8, v16, v8, s[2:3]
	v_cndmask_b32_e64 v16, 0, v17, s[2:3]
	v_lshlrev_b64 v[16:17], v16, v[20:21]
	v_lshlrev_b32_e32 v17, 8, v20
	v_lshl_add_u32 v8, v8, 10, v32
	v_lshlrev_b32_e32 v16, 7, v16
	v_and_or_b32 v8, v17, s40, v8
	v_and_or_b32 v8, v16, s41, v8
	v_cvt_f32_f16_e32 v16, v8
.LBB238_248:                            ;   in Loop: Header=BB238_209 Depth=1
	s_or_b64 exec, exec, s[18:19]
	v_lshrrev_b16_e32 v8, 8, v20
	v_cmp_lt_i16_e64 s[2:3], s30, v8
	s_mov_b64 s[18:19], 0
                                        ; implicit-def: $sgpr28
	s_and_saveexec_b64 s[20:21], s[2:3]
	s_xor_b64 s[20:21], exec, s[20:21]
	s_cbranch_execnz .LBB238_349
; %bb.249:                              ;   in Loop: Header=BB238_209 Depth=1
	s_or_saveexec_b64 s[20:21], s[20:21]
	v_mov_b32_e32 v22, s28
	s_xor_b64 exec, exec, s[20:21]
	s_cbranch_execnz .LBB238_352
.LBB238_250:                            ;   in Loop: Header=BB238_209 Depth=1
	s_or_b64 exec, exec, s[20:21]
	s_and_saveexec_b64 s[20:21], s[18:19]
	s_cbranch_execz .LBB238_252
.LBB238_251:                            ;   in Loop: Header=BB238_209 Depth=1
	v_and_b32_e32 v17, 7, v8
	v_ffbh_u32_e32 v22, v17
	v_min_u32_e32 v38, 32, v22
	v_subrev_u32_e32 v22, 28, v38
	v_bfe_u32 v37, v8, 3, 4
	v_lshlrev_b64 v[22:23], v22, v[8:9]
	v_sub_u32_e32 v23, 29, v38
	v_cmp_eq_u32_e64 s[2:3], 0, v37
	v_and_b32_e32 v22, 7, v22
	v_lshlrev_b32_e32 v8, 8, v8
	v_cndmask_b32_e64 v23, v37, v23, s[2:3]
	v_cndmask_b32_e64 v17, v17, v22, s[2:3]
	v_lshl_add_u32 v22, v23, 10, v32
	v_and_or_b32 v8, v8, s40, v22
	v_lshl_or_b32 v8, v17, 7, v8
	v_cvt_f32_f16_e32 v22, v8
.LBB238_252:                            ;   in Loop: Header=BB238_209 Depth=1
	s_or_b64 exec, exec, s[20:21]
	v_lshrrev_b32_e32 v8, 16, v20
	v_cmp_gt_i16_sdwa s[18:19], v8, s30 src0_sel:BYTE_0 src1_sel:DWORD
	s_mov_b64 s[2:3], 0
                                        ; implicit-def: $sgpr22
	s_and_saveexec_b64 s[20:21], s[18:19]
	s_xor_b64 s[18:19], exec, s[20:21]
	s_cbranch_execnz .LBB238_353
; %bb.253:                              ;   in Loop: Header=BB238_209 Depth=1
	s_or_saveexec_b64 s[18:19], s[18:19]
	v_mov_b32_e32 v17, s22
	s_xor_b64 exec, exec, s[18:19]
	s_cbranch_execnz .LBB238_356
.LBB238_254:                            ;   in Loop: Header=BB238_209 Depth=1
	s_or_b64 exec, exec, s[18:19]
	s_and_saveexec_b64 s[18:19], s[2:3]
	s_cbranch_execz .LBB238_256
.LBB238_255:                            ;   in Loop: Header=BB238_209 Depth=1
	v_bfe_u32 v17, v20, 16, 3
	v_ffbh_u32_e32 v37, v17
	v_bfe_u32 v23, v20, 19, 4
	v_min_u32_e32 v37, 32, v37
	v_subrev_u32_e32 v38, 28, v37
	v_sub_u32_e32 v37, 29, v37
	v_cmp_eq_u32_e64 s[2:3], 0, v23
	v_lshlrev_b64 v[38:39], v38, v[8:9]
	v_and_b32_e32 v38, 7, v38
	v_cndmask_b32_e64 v23, v23, v37, s[2:3]
	v_lshlrev_b32_e32 v8, 8, v8
	v_lshl_add_u32 v23, v23, 10, v32
	v_cndmask_b32_e64 v17, v17, v38, s[2:3]
	v_and_or_b32 v8, v8, s40, v23
	v_lshl_or_b32 v8, v17, 7, v8
	v_cvt_f32_f16_e32 v17, v8
.LBB238_256:                            ;   in Loop: Header=BB238_209 Depth=1
	s_or_b64 exec, exec, s[18:19]
	v_lshrrev_b32_e32 v8, 24, v20
	v_cmp_lt_i16_e64 s[2:3], s30, v8
	s_mov_b64 s[18:19], 0
                                        ; implicit-def: $sgpr28
	s_and_saveexec_b64 s[20:21], s[2:3]
	s_xor_b64 s[20:21], exec, s[20:21]
	s_cbranch_execnz .LBB238_357
; %bb.257:                              ;   in Loop: Header=BB238_209 Depth=1
	s_or_saveexec_b64 s[20:21], s[20:21]
	v_mov_b32_e32 v23, s28
	s_xor_b64 exec, exec, s[20:21]
	s_cbranch_execnz .LBB238_360
.LBB238_258:                            ;   in Loop: Header=BB238_209 Depth=1
	s_or_b64 exec, exec, s[20:21]
	s_and_saveexec_b64 s[20:21], s[18:19]
	s_cbranch_execz .LBB238_260
.LBB238_259:                            ;   in Loop: Header=BB238_209 Depth=1
	v_bfe_u32 v23, v20, 24, 3
	v_ffbh_u32_e32 v37, v23
	v_bfe_u32 v20, v20, 27, 4
	v_min_u32_e32 v37, 32, v37
	v_subrev_u32_e32 v38, 28, v37
	v_sub_u32_e32 v37, 29, v37
	v_cmp_eq_u32_e64 s[2:3], 0, v20
	v_lshlrev_b64 v[38:39], v38, v[8:9]
	v_and_b32_e32 v38, 7, v38
	v_cndmask_b32_e64 v20, v20, v37, s[2:3]
	v_lshlrev_b32_e32 v8, 8, v8
	v_lshl_add_u32 v20, v20, 10, v32
	v_cndmask_b32_e64 v23, v23, v38, s[2:3]
	v_and_or_b32 v8, v8, s40, v20
	v_lshl_or_b32 v8, v23, 7, v8
	v_cvt_f32_f16_e32 v23, v8
.LBB238_260:                            ;   in Loop: Header=BB238_209 Depth=1
	s_or_b64 exec, exec, s[20:21]
	v_cmp_gt_i16_sdwa s[18:19], v21, s30 src0_sel:BYTE_0 src1_sel:DWORD
	s_mov_b64 s[2:3], 0
                                        ; implicit-def: $sgpr22
	s_and_saveexec_b64 s[20:21], s[18:19]
	s_xor_b64 s[18:19], exec, s[20:21]
	s_cbranch_execnz .LBB238_361
; %bb.261:                              ;   in Loop: Header=BB238_209 Depth=1
	s_or_saveexec_b64 s[18:19], s[18:19]
	v_mov_b32_e32 v20, s22
	s_xor_b64 exec, exec, s[18:19]
	s_cbranch_execnz .LBB238_364
.LBB238_262:                            ;   in Loop: Header=BB238_209 Depth=1
	s_or_b64 exec, exec, s[18:19]
	v_mov_b32_e32 v8, v21
	s_and_saveexec_b64 s[18:19], s[2:3]
	s_cbranch_execz .LBB238_264
.LBB238_263:                            ;   in Loop: Header=BB238_209 Depth=1
	v_and_b32_e32 v20, 7, v21
	v_ffbh_u32_e32 v20, v20
	v_bfe_u32 v37, v21, 3, 4
	v_min_u32_e32 v20, 32, v20
	v_subrev_u32_e32 v38, 28, v20
	v_sub_u32_e32 v20, 29, v20
	v_cmp_eq_u32_e64 s[2:3], 0, v37
	s_nop 1
	v_cndmask_b32_e64 v20, v37, v20, s[2:3]
	v_cndmask_b32_e64 v37, 0, v38, s[2:3]
	v_lshlrev_b64 v[38:39], v37, v[8:9]
	v_lshlrev_b32_e32 v37, 7, v38
	v_lshlrev_b32_e32 v38, 8, v21
	v_lshl_add_u32 v20, v20, 10, v32
	v_and_or_b32 v20, v38, s40, v20
	v_and_or_b32 v20, v37, s41, v20
	v_cvt_f32_f16_e32 v20, v20
.LBB238_264:                            ;   in Loop: Header=BB238_209 Depth=1
	s_or_b64 exec, exec, s[18:19]
	v_lshrrev_b16_e32 v8, 8, v8
	v_cmp_lt_i16_e64 s[2:3], s30, v8
	s_mov_b64 s[18:19], 0
                                        ; implicit-def: $sgpr28
	s_and_saveexec_b64 s[20:21], s[2:3]
	s_xor_b64 s[20:21], exec, s[20:21]
	s_cbranch_execnz .LBB238_365
; %bb.265:                              ;   in Loop: Header=BB238_209 Depth=1
	s_or_saveexec_b64 s[20:21], s[20:21]
	v_mov_b32_e32 v37, s28
	s_xor_b64 exec, exec, s[20:21]
	s_cbranch_execnz .LBB238_368
.LBB238_266:                            ;   in Loop: Header=BB238_209 Depth=1
	s_or_b64 exec, exec, s[20:21]
	s_and_saveexec_b64 s[20:21], s[18:19]
	s_cbranch_execz .LBB238_268
.LBB238_267:                            ;   in Loop: Header=BB238_209 Depth=1
	v_and_b32_e32 v37, 7, v8
	v_ffbh_u32_e32 v38, v37
	v_min_u32_e32 v41, 32, v38
	v_subrev_u32_e32 v38, 28, v41
	v_bfe_u32 v40, v8, 3, 4
	v_lshlrev_b64 v[38:39], v38, v[8:9]
	v_sub_u32_e32 v39, 29, v41
	v_cmp_eq_u32_e64 s[2:3], 0, v40
	v_and_b32_e32 v38, 7, v38
	v_lshlrev_b32_e32 v8, 8, v8
	v_cndmask_b32_e64 v39, v40, v39, s[2:3]
	v_cndmask_b32_e64 v37, v37, v38, s[2:3]
	v_lshl_add_u32 v38, v39, 10, v32
	v_and_or_b32 v8, v8, s40, v38
	v_lshl_or_b32 v8, v37, 7, v8
	v_cvt_f32_f16_e32 v37, v8
.LBB238_268:                            ;   in Loop: Header=BB238_209 Depth=1
	s_or_b64 exec, exec, s[20:21]
	v_lshrrev_b32_e32 v8, 16, v21
	v_cmp_gt_i16_sdwa s[18:19], v8, s30 src0_sel:BYTE_0 src1_sel:DWORD
	s_mov_b64 s[2:3], 0
                                        ; implicit-def: $sgpr22
	s_and_saveexec_b64 s[20:21], s[18:19]
	s_xor_b64 s[18:19], exec, s[20:21]
	s_cbranch_execnz .LBB238_369
; %bb.269:                              ;   in Loop: Header=BB238_209 Depth=1
	s_or_saveexec_b64 s[18:19], s[18:19]
	v_mov_b32_e32 v38, s22
	s_xor_b64 exec, exec, s[18:19]
	s_cbranch_execnz .LBB238_372
.LBB238_270:                            ;   in Loop: Header=BB238_209 Depth=1
	s_or_b64 exec, exec, s[18:19]
	s_and_saveexec_b64 s[18:19], s[2:3]
	s_cbranch_execz .LBB238_272
.LBB238_271:                            ;   in Loop: Header=BB238_209 Depth=1
	v_bfe_u32 v40, v21, 16, 3
	v_ffbh_u32_e32 v38, v40
	v_min_u32_e32 v42, 32, v38
	v_subrev_u32_e32 v38, 28, v42
	v_bfe_u32 v41, v21, 19, 4
	v_lshlrev_b64 v[38:39], v38, v[8:9]
	v_sub_u32_e32 v39, 29, v42
	v_cmp_eq_u32_e64 s[2:3], 0, v41
	v_and_b32_e32 v38, 7, v38
	v_lshlrev_b32_e32 v8, 8, v8
	v_cndmask_b32_e64 v39, v41, v39, s[2:3]
	v_lshl_add_u32 v39, v39, 10, v32
	v_cndmask_b32_e64 v38, v40, v38, s[2:3]
	v_and_or_b32 v8, v8, s40, v39
	v_lshl_or_b32 v8, v38, 7, v8
	v_cvt_f32_f16_e32 v38, v8
.LBB238_272:                            ;   in Loop: Header=BB238_209 Depth=1
	s_or_b64 exec, exec, s[18:19]
	v_lshrrev_b32_e32 v8, 24, v21
	v_cmp_lt_i16_e64 s[2:3], s30, v8
	s_mov_b64 s[18:19], 0
                                        ; implicit-def: $sgpr28
	s_and_saveexec_b64 s[20:21], s[2:3]
	s_xor_b64 s[20:21], exec, s[20:21]
	s_cbranch_execnz .LBB238_373
; %bb.273:                              ;   in Loop: Header=BB238_209 Depth=1
	s_or_saveexec_b64 s[20:21], s[20:21]
	v_mov_b32_e32 v39, s28
	s_xor_b64 exec, exec, s[20:21]
	s_cbranch_execnz .LBB238_376
.LBB238_274:                            ;   in Loop: Header=BB238_209 Depth=1
	s_or_b64 exec, exec, s[20:21]
	s_and_saveexec_b64 s[20:21], s[18:19]
	s_cbranch_execz .LBB238_276
.LBB238_275:                            ;   in Loop: Header=BB238_209 Depth=1
	v_bfe_u32 v39, v21, 24, 3
	v_ffbh_u32_e32 v40, v39
	v_min_u32_e32 v42, 32, v40
	v_subrev_u32_e32 v40, 28, v42
	v_bfe_u32 v21, v21, 27, 4
	v_lshlrev_b64 v[40:41], v40, v[8:9]
	v_sub_u32_e32 v41, 29, v42
	v_cmp_eq_u32_e64 s[2:3], 0, v21
	v_and_b32_e32 v40, 7, v40
	v_lshlrev_b32_e32 v8, 8, v8
	v_cndmask_b32_e64 v21, v21, v41, s[2:3]
	v_lshl_add_u32 v21, v21, 10, v32
	v_cndmask_b32_e64 v39, v39, v40, s[2:3]
	v_and_or_b32 v8, v8, s40, v21
	v_lshl_or_b32 v8, v39, 7, v8
	v_cvt_f32_f16_e32 v39, v8
.LBB238_276:                            ;   in Loop: Header=BB238_209 Depth=1
	s_or_b64 exec, exec, s[20:21]
	s_waitcnt vmcnt(0)
	v_pk_mul_f32 v[16:17], v[18:19], v[16:17] op_sel_hi:[0,1]
	v_cvt_f16_f32_e32 v17, v17
	v_cvt_f16_f32_e32 v16, v16
	v_pk_mul_f32 v[22:23], v[18:19], v[22:23] op_sel_hi:[0,1]
	v_cvt_f16_f32_e32 v8, v23
	v_cvt_f16_f32_e32 v21, v22
	v_pack_b32_f16 v16, v16, v17
	v_fma_mixlo_f16 v17, v18, v37, 0
	v_lshlrev_b32_e32 v17, 16, v17
	v_fma_mixlo_f16 v20, v18, v20, 0
	v_or_b32_sdwa v17, v17, v20 dst_sel:DWORD dst_unused:UNUSED_PAD src0_sel:DWORD src1_sel:WORD_0
	v_fma_mixlo_f16 v20, v18, v38, 0
	v_fma_mixlo_f16 v18, v18, v39, 0
	v_pack_b32_f16 v21, v21, v8
	v_lshlrev_b32_e32 v18, 16, v18
	v_perm_b32 v8, v16, v21, s42
	v_perm_b32 v16, v16, v21, s43
	v_or_b32_sdwa v18, v18, v20 dst_sel:DWORD dst_unused:UNUSED_PAD src0_sel:DWORD src1_sel:WORD_0
	s_and_saveexec_b64 s[18:19], s[0:1]
	s_cbranch_execz .LBB238_278
; %bb.277:                              ;   in Loop: Header=BB238_209 Depth=1
	v_add_u32_e32 v21, 1, v24
	v_lshrrev_b32_e32 v22, 16, v16
	v_cmp_gt_i32_e64 s[2:3], s39, v21
	v_lshrrev_b32_e32 v23, 16, v8
	v_lshrrev_b32_e32 v18, 16, v18
	v_cndmask_b32_e64 v21, 0, v22, s[2:3]
	v_cmp_gt_i32_e64 s[2:3], s33, v24
	v_or_b32_e32 v22, 2, v24
	s_nop 0
	v_cndmask_b32_e64 v16, 0, v16, s[2:3]
	v_perm_b32 v16, v21, v16, s44
	v_or_b32_e32 v21, 3, v24
	v_cmp_gt_i32_e64 s[2:3], s39, v21
	s_nop 1
	v_cndmask_b32_e64 v21, 0, v23, s[2:3]
	v_cmp_gt_i32_e64 s[2:3], s33, v22
	v_or_b32_e32 v22, 4, v24
	v_lshrrev_b32_e32 v23, 16, v17
	v_cndmask_b32_e64 v8, 0, v8, s[2:3]
	v_perm_b32 v8, v21, v8, s44
	v_or_b32_e32 v21, 5, v24
	v_cmp_gt_i32_e64 s[2:3], s39, v21
	s_nop 1
	v_cndmask_b32_e64 v21, 0, v23, s[2:3]
	v_cmp_gt_i32_e64 s[2:3], s33, v22
	v_or_b32_e32 v22, 6, v24
	s_nop 0
	v_cndmask_b32_e64 v17, 0, v17, s[2:3]
	v_perm_b32 v17, v21, v17, s44
	v_or_b32_e32 v21, 7, v24
	v_cmp_gt_i32_e64 s[2:3], s39, v21
	s_nop 1
	v_cndmask_b32_e64 v18, 0, v18, s[2:3]
	v_cmp_gt_i32_e64 s[2:3], s33, v22
	s_nop 1
	v_cndmask_b32_e64 v20, 0, v20, s[2:3]
	v_perm_b32 v18, v18, v20, s44
.LBB238_278:                            ;   in Loop: Header=BB238_209 Depth=1
	s_or_b64 exec, exec, s[18:19]
	;;#ASMSTART
	v_pk_mul_f16 v16, v35, v16;

	;;#ASMEND
	;;#ASMSTART
	v_pk_mul_f16 v8, v34, v8;

	;;#ASMEND
	;; [unrolled: 4-line block ×4, first 2 shown]
	v_add_f32_e32 v19, v19, v36
	;;#ASMSTART
	v_pk_add_f16 v8, v16, v8;

	;;#ASMEND
	v_add_f32_e32 v2, v2, v19
	;;#ASMSTART
	v_pk_add_f16 v8, v8, v17;

	;;#ASMEND
	s_nop 0
	;;#ASMSTART
	v_pk_add_f16 v8, v8, v18;

	;;#ASMEND
	s_nop 0
	v_lshrrev_b32_e32 v16, 16, v8
	v_and_b32_e32 v8, 0xffff, v8
	;;#ASMSTART
	v_cvt_f32_f16 v8, v8;
	;;#ASMEND
	;;#ASMSTART
	v_cvt_f32_f16 v16, v16;
	;;#ASMEND
	s_nop 0
	v_add_f32_e32 v8, v8, v16
	v_add_f32_e32 v3, v3, v8
	s_and_saveexec_b64 s[18:19], vcc
	s_cbranch_execz .LBB238_207
; %bb.279:                              ;   in Loop: Header=BB238_209 Depth=1
	v_lshl_add_u64 v[18:19], v[14:15], 0, v[10:11]
	global_load_dwordx2 v[16:17], v[18:19], off
	global_load_dword v14, v9, s[14:15]
	s_mov_b64 s[2:3], 0
                                        ; implicit-def: $sgpr28
	s_waitcnt vmcnt(1)
	v_cmp_gt_i16_sdwa s[20:21], v16, s30 src0_sel:BYTE_0 src1_sel:DWORD
	s_and_saveexec_b64 s[22:23], s[20:21]
	s_xor_b64 s[20:21], exec, s[22:23]
	s_cbranch_execnz .LBB238_377
; %bb.280:                              ;   in Loop: Header=BB238_209 Depth=1
	s_or_saveexec_b64 s[20:21], s[20:21]
	v_mov_b32_e32 v18, s28
	s_xor_b64 exec, exec, s[20:21]
	s_cbranch_execnz .LBB238_380
.LBB238_281:                            ;   in Loop: Header=BB238_209 Depth=1
	s_or_b64 exec, exec, s[20:21]
	s_and_saveexec_b64 s[20:21], s[2:3]
	s_cbranch_execz .LBB238_283
.LBB238_282:                            ;   in Loop: Header=BB238_209 Depth=1
	v_and_b32_e32 v8, 7, v16
	v_ffbh_u32_e32 v8, v8
	v_bfe_u32 v15, v16, 3, 4
	v_min_u32_e32 v8, 32, v8
	v_subrev_u32_e32 v18, 28, v8
	v_sub_u32_e32 v8, 29, v8
	v_cmp_eq_u32_e64 s[2:3], 0, v15
	s_nop 1
	v_cndmask_b32_e64 v8, v15, v8, s[2:3]
	v_cndmask_b32_e64 v15, 0, v18, s[2:3]
	v_lshlrev_b64 v[18:19], v15, v[16:17]
	v_lshlrev_b32_e32 v15, 7, v18
	v_lshlrev_b32_e32 v18, 8, v16
	v_lshl_add_u32 v8, v8, 10, v32
	v_and_or_b32 v8, v18, s40, v8
	v_and_or_b32 v8, v15, s41, v8
	v_cvt_f32_f16_e32 v18, v8
.LBB238_283:                            ;   in Loop: Header=BB238_209 Depth=1
	s_or_b64 exec, exec, s[20:21]
	v_lshrrev_b16_e32 v8, 8, v16
	v_cmp_lt_i16_e64 s[2:3], s30, v8
	s_mov_b64 s[20:21], 0
                                        ; implicit-def: $sgpr45
	s_and_saveexec_b64 s[22:23], s[2:3]
	s_xor_b64 s[22:23], exec, s[22:23]
	s_cbranch_execnz .LBB238_381
; %bb.284:                              ;   in Loop: Header=BB238_209 Depth=1
	s_or_saveexec_b64 s[22:23], s[22:23]
	v_mov_b32_e32 v20, s45
	s_xor_b64 exec, exec, s[22:23]
	s_cbranch_execnz .LBB238_384
.LBB238_285:                            ;   in Loop: Header=BB238_209 Depth=1
	s_or_b64 exec, exec, s[22:23]
	s_and_saveexec_b64 s[22:23], s[20:21]
	s_cbranch_execz .LBB238_287
.LBB238_286:                            ;   in Loop: Header=BB238_209 Depth=1
	v_and_b32_e32 v15, 7, v8
	v_ffbh_u32_e32 v20, v15
	v_min_u32_e32 v22, 32, v20
	v_subrev_u32_e32 v20, 28, v22
	v_bfe_u32 v19, v8, 3, 4
	v_lshlrev_b64 v[20:21], v20, v[8:9]
	v_sub_u32_e32 v21, 29, v22
	v_cmp_eq_u32_e64 s[2:3], 0, v19
	v_and_b32_e32 v20, 7, v20
	v_lshlrev_b32_e32 v8, 8, v8
	v_cndmask_b32_e64 v19, v19, v21, s[2:3]
	v_lshl_add_u32 v19, v19, 10, v32
	v_cndmask_b32_e64 v15, v15, v20, s[2:3]
	v_and_or_b32 v8, v8, s40, v19
	v_lshl_or_b32 v8, v15, 7, v8
	v_cvt_f32_f16_e32 v20, v8
.LBB238_287:                            ;   in Loop: Header=BB238_209 Depth=1
	s_or_b64 exec, exec, s[22:23]
	v_lshrrev_b32_e32 v8, 16, v16
	v_cmp_gt_i16_sdwa s[20:21], v8, s30 src0_sel:BYTE_0 src1_sel:DWORD
	s_mov_b64 s[2:3], 0
                                        ; implicit-def: $sgpr28
	s_and_saveexec_b64 s[22:23], s[20:21]
	s_xor_b64 s[20:21], exec, s[22:23]
	s_cbranch_execnz .LBB238_385
; %bb.288:                              ;   in Loop: Header=BB238_209 Depth=1
	s_or_saveexec_b64 s[20:21], s[20:21]
	v_mov_b32_e32 v19, s28
	s_xor_b64 exec, exec, s[20:21]
	s_cbranch_execnz .LBB238_388
.LBB238_289:                            ;   in Loop: Header=BB238_209 Depth=1
	s_or_b64 exec, exec, s[20:21]
	s_and_saveexec_b64 s[20:21], s[2:3]
	s_cbranch_execz .LBB238_291
.LBB238_290:                            ;   in Loop: Header=BB238_209 Depth=1
	v_bfe_u32 v15, v16, 16, 3
	v_ffbh_u32_e32 v21, v15
	v_bfe_u32 v19, v16, 19, 4
	v_min_u32_e32 v21, 32, v21
	v_subrev_u32_e32 v22, 28, v21
	v_sub_u32_e32 v21, 29, v21
	v_cmp_eq_u32_e64 s[2:3], 0, v19
	v_lshlrev_b64 v[22:23], v22, v[8:9]
	v_and_b32_e32 v22, 7, v22
	v_cndmask_b32_e64 v19, v19, v21, s[2:3]
	v_lshlrev_b32_e32 v8, 8, v8
	v_lshl_add_u32 v19, v19, 10, v32
	v_cndmask_b32_e64 v15, v15, v22, s[2:3]
	v_and_or_b32 v8, v8, s40, v19
	v_lshl_or_b32 v8, v15, 7, v8
	v_cvt_f32_f16_e32 v19, v8
.LBB238_291:                            ;   in Loop: Header=BB238_209 Depth=1
	s_or_b64 exec, exec, s[20:21]
	v_lshrrev_b32_e32 v8, 24, v16
	v_cmp_lt_i16_e64 s[2:3], s30, v8
	s_mov_b64 s[20:21], 0
                                        ; implicit-def: $sgpr45
	s_and_saveexec_b64 s[22:23], s[2:3]
	s_xor_b64 s[22:23], exec, s[22:23]
	s_cbranch_execnz .LBB238_389
; %bb.292:                              ;   in Loop: Header=BB238_209 Depth=1
	s_or_saveexec_b64 s[22:23], s[22:23]
	v_mov_b32_e32 v21, s45
	s_xor_b64 exec, exec, s[22:23]
	s_cbranch_execnz .LBB238_392
.LBB238_293:                            ;   in Loop: Header=BB238_209 Depth=1
	s_or_b64 exec, exec, s[22:23]
	s_and_saveexec_b64 s[22:23], s[20:21]
	s_cbranch_execz .LBB238_295
.LBB238_294:                            ;   in Loop: Header=BB238_209 Depth=1
	v_bfe_u32 v15, v16, 24, 3
	v_ffbh_u32_e32 v21, v15
	v_bfe_u32 v16, v16, 27, 4
	v_min_u32_e32 v21, 32, v21
	v_subrev_u32_e32 v22, 28, v21
	v_sub_u32_e32 v21, 29, v21
	v_cmp_eq_u32_e64 s[2:3], 0, v16
	v_lshlrev_b64 v[22:23], v22, v[8:9]
	v_and_b32_e32 v22, 7, v22
	v_cndmask_b32_e64 v16, v16, v21, s[2:3]
	v_lshlrev_b32_e32 v8, 8, v8
	v_lshl_add_u32 v16, v16, 10, v32
	v_cndmask_b32_e64 v15, v15, v22, s[2:3]
	v_and_or_b32 v8, v8, s40, v16
	v_lshl_or_b32 v8, v15, 7, v8
	v_cvt_f32_f16_e32 v21, v8
.LBB238_295:                            ;   in Loop: Header=BB238_209 Depth=1
	s_or_b64 exec, exec, s[22:23]
	v_cmp_gt_i16_sdwa s[20:21], v17, s30 src0_sel:BYTE_0 src1_sel:DWORD
	s_mov_b64 s[2:3], 0
                                        ; implicit-def: $sgpr28
	s_and_saveexec_b64 s[22:23], s[20:21]
	s_xor_b64 s[20:21], exec, s[22:23]
	s_cbranch_execnz .LBB238_393
; %bb.296:                              ;   in Loop: Header=BB238_209 Depth=1
	s_or_saveexec_b64 s[20:21], s[20:21]
	v_mov_b32_e32 v15, s28
	s_xor_b64 exec, exec, s[20:21]
	s_cbranch_execnz .LBB238_396
.LBB238_297:                            ;   in Loop: Header=BB238_209 Depth=1
	s_or_b64 exec, exec, s[20:21]
	v_mov_b32_e32 v8, v17
	s_and_saveexec_b64 s[20:21], s[2:3]
	s_cbranch_execz .LBB238_299
.LBB238_298:                            ;   in Loop: Header=BB238_209 Depth=1
	v_and_b32_e32 v15, 7, v17
	v_ffbh_u32_e32 v15, v15
	v_bfe_u32 v16, v17, 3, 4
	v_min_u32_e32 v15, 32, v15
	v_subrev_u32_e32 v22, 28, v15
	v_sub_u32_e32 v15, 29, v15
	v_cmp_eq_u32_e64 s[2:3], 0, v16
	s_nop 1
	v_cndmask_b32_e64 v15, v16, v15, s[2:3]
	v_cndmask_b32_e64 v16, 0, v22, s[2:3]
	v_lshlrev_b64 v[22:23], v16, v[8:9]
	v_lshlrev_b32_e32 v16, 7, v22
	v_lshlrev_b32_e32 v22, 8, v17
	v_lshl_add_u32 v15, v15, 10, v32
	v_and_or_b32 v15, v22, s40, v15
	v_and_or_b32 v15, v16, s41, v15
	v_cvt_f32_f16_e32 v15, v15
.LBB238_299:                            ;   in Loop: Header=BB238_209 Depth=1
	s_or_b64 exec, exec, s[20:21]
	v_lshrrev_b16_e32 v8, 8, v8
	v_cmp_lt_i16_e64 s[2:3], s30, v8
	s_mov_b64 s[20:21], 0
                                        ; implicit-def: $sgpr45
	s_and_saveexec_b64 s[22:23], s[2:3]
	s_xor_b64 s[22:23], exec, s[22:23]
	s_cbranch_execnz .LBB238_397
; %bb.300:                              ;   in Loop: Header=BB238_209 Depth=1
	s_or_saveexec_b64 s[22:23], s[22:23]
	v_mov_b32_e32 v16, s45
	s_xor_b64 exec, exec, s[22:23]
	s_cbranch_execnz .LBB238_400
.LBB238_301:                            ;   in Loop: Header=BB238_209 Depth=1
	s_or_b64 exec, exec, s[22:23]
	s_and_saveexec_b64 s[22:23], s[20:21]
	s_cbranch_execz .LBB238_303
.LBB238_302:                            ;   in Loop: Header=BB238_209 Depth=1
	v_and_b32_e32 v16, 7, v8
	v_ffbh_u32_e32 v22, v16
	v_min_u32_e32 v37, 32, v22
	v_subrev_u32_e32 v22, 28, v37
	v_bfe_u32 v36, v8, 3, 4
	v_lshlrev_b64 v[22:23], v22, v[8:9]
	v_sub_u32_e32 v23, 29, v37
	v_cmp_eq_u32_e64 s[2:3], 0, v36
	v_and_b32_e32 v22, 7, v22
	v_lshlrev_b32_e32 v8, 8, v8
	v_cndmask_b32_e64 v23, v36, v23, s[2:3]
	v_cndmask_b32_e64 v16, v16, v22, s[2:3]
	v_lshl_add_u32 v22, v23, 10, v32
	v_and_or_b32 v8, v8, s40, v22
	v_lshl_or_b32 v8, v16, 7, v8
	v_cvt_f32_f16_e32 v16, v8
.LBB238_303:                            ;   in Loop: Header=BB238_209 Depth=1
	s_or_b64 exec, exec, s[22:23]
	v_lshrrev_b32_e32 v8, 16, v17
	v_cmp_gt_i16_sdwa s[20:21], v8, s30 src0_sel:BYTE_0 src1_sel:DWORD
	s_mov_b64 s[2:3], 0
                                        ; implicit-def: $sgpr28
	s_and_saveexec_b64 s[22:23], s[20:21]
	s_xor_b64 s[20:21], exec, s[22:23]
	s_cbranch_execnz .LBB238_401
; %bb.304:                              ;   in Loop: Header=BB238_209 Depth=1
	s_or_saveexec_b64 s[20:21], s[20:21]
	v_mov_b32_e32 v22, s28
	s_xor_b64 exec, exec, s[20:21]
	s_cbranch_execnz .LBB238_404
.LBB238_305:                            ;   in Loop: Header=BB238_209 Depth=1
	s_or_b64 exec, exec, s[20:21]
	s_and_saveexec_b64 s[20:21], s[2:3]
	s_cbranch_execz .LBB238_307
.LBB238_306:                            ;   in Loop: Header=BB238_209 Depth=1
	v_bfe_u32 v36, v17, 16, 3
	v_ffbh_u32_e32 v22, v36
	v_min_u32_e32 v38, 32, v22
	v_subrev_u32_e32 v22, 28, v38
	v_bfe_u32 v37, v17, 19, 4
	v_lshlrev_b64 v[22:23], v22, v[8:9]
	v_sub_u32_e32 v23, 29, v38
	v_cmp_eq_u32_e64 s[2:3], 0, v37
	v_and_b32_e32 v22, 7, v22
	v_lshlrev_b32_e32 v8, 8, v8
	v_cndmask_b32_e64 v23, v37, v23, s[2:3]
	v_lshl_add_u32 v23, v23, 10, v32
	v_cndmask_b32_e64 v22, v36, v22, s[2:3]
	v_and_or_b32 v8, v8, s40, v23
	v_lshl_or_b32 v8, v22, 7, v8
	v_cvt_f32_f16_e32 v22, v8
.LBB238_307:                            ;   in Loop: Header=BB238_209 Depth=1
	s_or_b64 exec, exec, s[20:21]
	v_lshrrev_b32_e32 v8, 24, v17
	v_cmp_lt_i16_e64 s[2:3], s30, v8
	s_mov_b64 s[20:21], 0
                                        ; implicit-def: $sgpr45
	s_and_saveexec_b64 s[22:23], s[2:3]
	s_xor_b64 s[22:23], exec, s[22:23]
	s_cbranch_execnz .LBB238_405
; %bb.308:                              ;   in Loop: Header=BB238_209 Depth=1
	s_or_saveexec_b64 s[22:23], s[22:23]
	v_mov_b32_e32 v23, s45
	s_xor_b64 exec, exec, s[22:23]
	s_cbranch_execnz .LBB238_408
.LBB238_309:                            ;   in Loop: Header=BB238_209 Depth=1
	s_or_b64 exec, exec, s[22:23]
	s_and_saveexec_b64 s[22:23], s[20:21]
	s_cbranch_execz .LBB238_311
.LBB238_310:                            ;   in Loop: Header=BB238_209 Depth=1
	v_bfe_u32 v23, v17, 24, 3
	v_ffbh_u32_e32 v36, v23
	v_min_u32_e32 v38, 32, v36
	v_subrev_u32_e32 v36, 28, v38
	v_bfe_u32 v17, v17, 27, 4
	v_lshlrev_b64 v[36:37], v36, v[8:9]
	v_sub_u32_e32 v37, 29, v38
	v_cmp_eq_u32_e64 s[2:3], 0, v17
	v_and_b32_e32 v36, 7, v36
	v_lshlrev_b32_e32 v8, 8, v8
	v_cndmask_b32_e64 v17, v17, v37, s[2:3]
	v_lshl_add_u32 v17, v17, 10, v32
	v_cndmask_b32_e64 v23, v23, v36, s[2:3]
	v_and_or_b32 v8, v8, s40, v17
	v_lshl_or_b32 v8, v23, 7, v8
	v_cvt_f32_f16_e32 v23, v8
.LBB238_311:                            ;   in Loop: Header=BB238_209 Depth=1
	s_or_b64 exec, exec, s[22:23]
	s_waitcnt vmcnt(0)
	v_pk_mul_f32 v[20:21], v[14:15], v[20:21] op_sel_hi:[0,1]
	v_pk_mul_f32 v[18:19], v[14:15], v[18:19] op_sel_hi:[0,1]
	v_cvt_f16_f32_e32 v8, v21
	v_cvt_f16_f32_e32 v17, v20
	;; [unrolled: 1-line block ×4, first 2 shown]
	v_fma_mixlo_f16 v16, v14, v16, 0
	v_lshlrev_b32_e32 v16, 16, v16
	v_fma_mixlo_f16 v15, v14, v15, 0
	v_or_b32_sdwa v15, v16, v15 dst_sel:DWORD dst_unused:UNUSED_PAD src0_sel:DWORD src1_sel:WORD_0
	v_fma_mixlo_f16 v16, v14, v22, 0
	v_fma_mixlo_f16 v14, v14, v23, 0
	v_pack_b32_f16 v17, v17, v8
	v_pack_b32_f16 v18, v18, v19
	v_lshlrev_b32_e32 v14, 16, v14
	v_perm_b32 v8, v18, v17, s42
	v_perm_b32 v17, v18, v17, s43
	v_or_b32_sdwa v14, v14, v16 dst_sel:DWORD dst_unused:UNUSED_PAD src0_sel:DWORD src1_sel:WORD_0
	s_and_saveexec_b64 s[2:3], s[0:1]
	s_cbranch_execz .LBB238_206
; %bb.312:                              ;   in Loop: Header=BB238_209 Depth=1
	v_add_u32_e32 v18, 1, v24
	v_lshrrev_b32_e32 v19, 16, v17
	v_cmp_gt_i32_e64 s[0:1], s39, v18
	v_lshrrev_b32_e32 v20, 16, v8
	v_lshrrev_b32_e32 v14, 16, v14
	v_cndmask_b32_e64 v18, 0, v19, s[0:1]
	v_cmp_gt_i32_e64 s[0:1], s33, v24
	v_or_b32_e32 v19, 2, v24
	s_nop 0
	v_cndmask_b32_e64 v17, 0, v17, s[0:1]
	v_perm_b32 v17, v18, v17, s44
	v_or_b32_e32 v18, 3, v24
	v_cmp_gt_i32_e64 s[0:1], s39, v18
	s_nop 1
	v_cndmask_b32_e64 v18, 0, v20, s[0:1]
	v_cmp_gt_i32_e64 s[0:1], s33, v19
	v_or_b32_e32 v19, 4, v24
	v_lshrrev_b32_e32 v20, 16, v15
	v_cndmask_b32_e64 v8, 0, v8, s[0:1]
	v_perm_b32 v8, v18, v8, s44
	v_or_b32_e32 v18, 5, v24
	v_cmp_gt_i32_e64 s[0:1], s39, v18
	s_nop 1
	v_cndmask_b32_e64 v18, 0, v20, s[0:1]
	v_cmp_gt_i32_e64 s[0:1], s33, v19
	v_or_b32_e32 v19, 6, v24
	s_nop 0
	v_cndmask_b32_e64 v15, 0, v15, s[0:1]
	v_perm_b32 v15, v18, v15, s44
	v_or_b32_e32 v18, 7, v24
	v_cmp_gt_i32_e64 s[0:1], s39, v18
	s_nop 1
	v_cndmask_b32_e64 v14, 0, v14, s[0:1]
	v_cmp_gt_i32_e64 s[0:1], s33, v19
	s_nop 1
	v_cndmask_b32_e64 v16, 0, v16, s[0:1]
	v_perm_b32 v14, v14, v16, s44
	s_branch .LBB238_206
.LBB238_313:                            ;   in Loop: Header=BB238_209 Depth=1
	v_cmp_eq_u16_sdwa s[22:23], v20, s31 src0_sel:BYTE_0 src1_sel:DWORD
	s_mov_b64 s[0:1], -1
                                        ; implicit-def: $sgpr20
	s_and_saveexec_b64 s[18:19], s[22:23]
; %bb.314:                              ;   in Loop: Header=BB238_209 Depth=1
	s_mov_b32 s20, 0x7fc02000
	s_xor_b64 s[0:1], exec, -1
; %bb.315:                              ;   in Loop: Header=BB238_209 Depth=1
	s_or_b64 exec, exec, s[18:19]
	s_and_b64 s[0:1], s[0:1], exec
	s_or_saveexec_b64 s[2:3], s[2:3]
	v_mov_b32_e32 v22, s20
	s_xor_b64 exec, exec, s[2:3]
	s_cbranch_execz .LBB238_212
.LBB238_316:                            ;   in Loop: Header=BB238_209 Depth=1
	v_cmp_ne_u16_sdwa s[18:19], v20, v9 src0_sel:BYTE_0 src1_sel:DWORD
	s_andn2_b64 s[0:1], s[0:1], exec
	s_and_b64 s[18:19], s[18:19], exec
	v_mov_b32_e32 v22, 0
	s_or_b64 s[0:1], s[0:1], s[18:19]
	s_or_b64 exec, exec, s[2:3]
	s_and_saveexec_b64 s[2:3], s[0:1]
	s_cbranch_execnz .LBB238_213
	s_branch .LBB238_214
.LBB238_317:                            ;   in Loop: Header=BB238_209 Depth=1
	v_cmp_eq_u16_e64 s[0:1], s31, v8
	s_mov_b64 s[2:3], -1
                                        ; implicit-def: $sgpr22
	s_and_saveexec_b64 s[20:21], s[0:1]
; %bb.318:                              ;   in Loop: Header=BB238_209 Depth=1
	s_mov_b32 s22, 0x7fc02000
	s_xor_b64 s[2:3], exec, -1
; %bb.319:                              ;   in Loop: Header=BB238_209 Depth=1
	s_or_b64 exec, exec, s[20:21]
	s_and_b64 s[2:3], s[2:3], exec
	s_or_saveexec_b64 s[18:19], s[18:19]
	v_mov_b32_e32 v24, s22
	s_xor_b64 exec, exec, s[18:19]
	s_cbranch_execz .LBB238_216
.LBB238_320:                            ;   in Loop: Header=BB238_209 Depth=1
	v_cmp_ne_u16_e64 s[0:1], 0, v8
	s_andn2_b64 s[2:3], s[2:3], exec
	s_and_b64 s[0:1], s[0:1], exec
	v_mov_b32_e32 v24, 0
	s_or_b64 s[2:3], s[2:3], s[0:1]
	s_or_b64 exec, exec, s[18:19]
	s_and_saveexec_b64 s[18:19], s[2:3]
	s_cbranch_execnz .LBB238_217
	s_branch .LBB238_218
.LBB238_321:                            ;   in Loop: Header=BB238_209 Depth=1
	v_cmp_eq_u16_sdwa s[22:23], v8, s31 src0_sel:BYTE_0 src1_sel:DWORD
	s_mov_b64 s[0:1], -1
                                        ; implicit-def: $sgpr20
	s_and_saveexec_b64 s[18:19], s[22:23]
; %bb.322:                              ;   in Loop: Header=BB238_209 Depth=1
	s_mov_b32 s20, 0x7fc02000
	s_xor_b64 s[0:1], exec, -1
; %bb.323:                              ;   in Loop: Header=BB238_209 Depth=1
	s_or_b64 exec, exec, s[18:19]
	s_and_b64 s[0:1], s[0:1], exec
	s_or_saveexec_b64 s[2:3], s[2:3]
	v_mov_b32_e32 v23, s20
	s_xor_b64 exec, exec, s[2:3]
	s_cbranch_execz .LBB238_220
.LBB238_324:                            ;   in Loop: Header=BB238_209 Depth=1
	v_cmp_ne_u16_sdwa s[18:19], v8, v9 src0_sel:BYTE_0 src1_sel:DWORD
	s_andn2_b64 s[0:1], s[0:1], exec
	s_and_b64 s[18:19], s[18:19], exec
	v_mov_b32_e32 v23, 0
	s_or_b64 s[0:1], s[0:1], s[18:19]
	s_or_b64 exec, exec, s[2:3]
	s_and_saveexec_b64 s[2:3], s[0:1]
	s_cbranch_execnz .LBB238_221
	s_branch .LBB238_222
.LBB238_325:                            ;   in Loop: Header=BB238_209 Depth=1
	v_cmp_eq_u16_e64 s[0:1], s31, v8
	s_mov_b64 s[2:3], -1
                                        ; implicit-def: $sgpr22
	s_and_saveexec_b64 s[20:21], s[0:1]
; %bb.326:                              ;   in Loop: Header=BB238_209 Depth=1
	s_mov_b32 s22, 0x7fc02000
	s_xor_b64 s[2:3], exec, -1
; %bb.327:                              ;   in Loop: Header=BB238_209 Depth=1
	s_or_b64 exec, exec, s[20:21]
	s_and_b64 s[2:3], s[2:3], exec
	s_or_saveexec_b64 s[18:19], s[18:19]
	v_mov_b32_e32 v25, s22
	s_xor_b64 exec, exec, s[18:19]
	s_cbranch_execz .LBB238_224
.LBB238_328:                            ;   in Loop: Header=BB238_209 Depth=1
	v_cmp_ne_u16_e64 s[0:1], 0, v8
	s_andn2_b64 s[2:3], s[2:3], exec
	s_and_b64 s[0:1], s[0:1], exec
	v_mov_b32_e32 v25, 0
	s_or_b64 s[2:3], s[2:3], s[0:1]
	s_or_b64 exec, exec, s[18:19]
	s_and_saveexec_b64 s[18:19], s[2:3]
	s_cbranch_execnz .LBB238_225
	s_branch .LBB238_226
.LBB238_329:                            ;   in Loop: Header=BB238_209 Depth=1
	v_cmp_eq_u16_sdwa s[22:23], v21, s31 src0_sel:BYTE_0 src1_sel:DWORD
	s_mov_b64 s[0:1], -1
                                        ; implicit-def: $sgpr20
	s_and_saveexec_b64 s[18:19], s[22:23]
; %bb.330:                              ;   in Loop: Header=BB238_209 Depth=1
	s_mov_b32 s20, 0x7fc02000
	s_xor_b64 s[0:1], exec, -1
; %bb.331:                              ;   in Loop: Header=BB238_209 Depth=1
	s_or_b64 exec, exec, s[18:19]
	s_and_b64 s[0:1], s[0:1], exec
	s_or_saveexec_b64 s[2:3], s[2:3]
	v_mov_b32_e32 v20, s20
	s_xor_b64 exec, exec, s[2:3]
	s_cbranch_execz .LBB238_228
.LBB238_332:                            ;   in Loop: Header=BB238_209 Depth=1
	v_cmp_ne_u16_sdwa s[18:19], v21, v9 src0_sel:BYTE_0 src1_sel:DWORD
	s_andn2_b64 s[0:1], s[0:1], exec
	s_and_b64 s[18:19], s[18:19], exec
	v_mov_b32_e32 v20, 0
	s_or_b64 s[0:1], s[0:1], s[18:19]
	s_or_b64 exec, exec, s[2:3]
	v_mov_b32_e32 v8, v21
	s_and_saveexec_b64 s[2:3], s[0:1]
	s_cbranch_execnz .LBB238_229
	s_branch .LBB238_230
.LBB238_333:                            ;   in Loop: Header=BB238_209 Depth=1
	v_cmp_eq_u16_e64 s[0:1], s31, v8
	s_mov_b64 s[2:3], -1
                                        ; implicit-def: $sgpr22
	s_and_saveexec_b64 s[20:21], s[0:1]
; %bb.334:                              ;   in Loop: Header=BB238_209 Depth=1
	s_mov_b32 s22, 0x7fc02000
	s_xor_b64 s[2:3], exec, -1
; %bb.335:                              ;   in Loop: Header=BB238_209 Depth=1
	s_or_b64 exec, exec, s[20:21]
	s_and_b64 s[2:3], s[2:3], exec
	s_or_saveexec_b64 s[18:19], s[18:19]
	v_mov_b32_e32 v35, s22
	s_xor_b64 exec, exec, s[18:19]
	s_cbranch_execz .LBB238_232
.LBB238_336:                            ;   in Loop: Header=BB238_209 Depth=1
	v_cmp_ne_u16_e64 s[0:1], 0, v8
	s_andn2_b64 s[2:3], s[2:3], exec
	s_and_b64 s[0:1], s[0:1], exec
	v_mov_b32_e32 v35, 0
	s_or_b64 s[2:3], s[2:3], s[0:1]
	s_or_b64 exec, exec, s[18:19]
	s_and_saveexec_b64 s[18:19], s[2:3]
	s_cbranch_execnz .LBB238_233
	s_branch .LBB238_234
.LBB238_337:                            ;   in Loop: Header=BB238_209 Depth=1
	v_cmp_eq_u16_sdwa s[22:23], v8, s31 src0_sel:BYTE_0 src1_sel:DWORD
	s_mov_b64 s[0:1], -1
                                        ; implicit-def: $sgpr20
	s_and_saveexec_b64 s[18:19], s[22:23]
; %bb.338:                              ;   in Loop: Header=BB238_209 Depth=1
	s_mov_b32 s20, 0x7fc02000
	s_xor_b64 s[0:1], exec, -1
; %bb.339:                              ;   in Loop: Header=BB238_209 Depth=1
	s_or_b64 exec, exec, s[18:19]
	s_and_b64 s[0:1], s[0:1], exec
	s_or_saveexec_b64 s[2:3], s[2:3]
	v_mov_b32_e32 v41, s20
	s_xor_b64 exec, exec, s[2:3]
	s_cbranch_execz .LBB238_236
.LBB238_340:                            ;   in Loop: Header=BB238_209 Depth=1
	v_cmp_ne_u16_sdwa s[18:19], v8, v9 src0_sel:BYTE_0 src1_sel:DWORD
	s_andn2_b64 s[0:1], s[0:1], exec
	s_and_b64 s[18:19], s[18:19], exec
	v_mov_b32_e32 v41, 0
	s_or_b64 s[0:1], s[0:1], s[18:19]
	s_or_b64 exec, exec, s[2:3]
	s_and_saveexec_b64 s[2:3], s[0:1]
	s_cbranch_execnz .LBB238_237
	s_branch .LBB238_238
.LBB238_341:                            ;   in Loop: Header=BB238_209 Depth=1
	v_cmp_eq_u16_e64 s[0:1], s31, v8
	s_mov_b64 s[2:3], -1
                                        ; implicit-def: $sgpr22
	s_and_saveexec_b64 s[20:21], s[0:1]
; %bb.342:                              ;   in Loop: Header=BB238_209 Depth=1
	s_mov_b32 s22, 0x7fc02000
	s_xor_b64 s[2:3], exec, -1
; %bb.343:                              ;   in Loop: Header=BB238_209 Depth=1
	s_or_b64 exec, exec, s[20:21]
	s_and_b64 s[2:3], s[2:3], exec
	s_or_saveexec_b64 s[18:19], s[18:19]
	v_mov_b32_e32 v42, s22
	s_xor_b64 exec, exec, s[18:19]
	s_cbranch_execz .LBB238_240
.LBB238_344:                            ;   in Loop: Header=BB238_209 Depth=1
	v_cmp_ne_u16_e64 s[0:1], 0, v8
	s_andn2_b64 s[2:3], s[2:3], exec
	s_and_b64 s[0:1], s[0:1], exec
	v_mov_b32_e32 v42, 0
	s_or_b64 s[2:3], s[2:3], s[0:1]
	s_or_b64 exec, exec, s[18:19]
	s_and_saveexec_b64 s[18:19], s[2:3]
	s_cbranch_execnz .LBB238_241
	s_branch .LBB238_242
.LBB238_345:                            ;   in Loop: Header=BB238_209 Depth=1
	v_cmp_eq_u16_sdwa s[28:29], v20, s31 src0_sel:BYTE_0 src1_sel:DWORD
	s_mov_b64 s[2:3], -1
                                        ; implicit-def: $sgpr22
	s_and_saveexec_b64 s[20:21], s[28:29]
; %bb.346:                              ;   in Loop: Header=BB238_209 Depth=1
	s_mov_b32 s22, 0x7fc02000
	s_xor_b64 s[2:3], exec, -1
; %bb.347:                              ;   in Loop: Header=BB238_209 Depth=1
	s_or_b64 exec, exec, s[20:21]
	s_and_b64 s[2:3], s[2:3], exec
	s_or_saveexec_b64 s[18:19], s[18:19]
	v_mov_b32_e32 v16, s22
	s_xor_b64 exec, exec, s[18:19]
	s_cbranch_execz .LBB238_246
.LBB238_348:                            ;   in Loop: Header=BB238_209 Depth=1
	v_cmp_ne_u16_sdwa s[20:21], v20, v9 src0_sel:BYTE_0 src1_sel:DWORD
	s_andn2_b64 s[2:3], s[2:3], exec
	s_and_b64 s[20:21], s[20:21], exec
	v_mov_b32_e32 v16, 0
	s_or_b64 s[2:3], s[2:3], s[20:21]
	s_or_b64 exec, exec, s[18:19]
	s_and_saveexec_b64 s[18:19], s[2:3]
	s_cbranch_execnz .LBB238_247
	s_branch .LBB238_248
.LBB238_349:                            ;   in Loop: Header=BB238_209 Depth=1
	v_cmp_eq_u16_e64 s[2:3], s31, v8
	s_mov_b64 s[18:19], -1
                                        ; implicit-def: $sgpr28
	s_and_saveexec_b64 s[22:23], s[2:3]
; %bb.350:                              ;   in Loop: Header=BB238_209 Depth=1
	s_mov_b32 s28, 0x7fc02000
	s_xor_b64 s[18:19], exec, -1
; %bb.351:                              ;   in Loop: Header=BB238_209 Depth=1
	s_or_b64 exec, exec, s[22:23]
	s_and_b64 s[18:19], s[18:19], exec
	s_or_saveexec_b64 s[20:21], s[20:21]
	v_mov_b32_e32 v22, s28
	s_xor_b64 exec, exec, s[20:21]
	s_cbranch_execz .LBB238_250
.LBB238_352:                            ;   in Loop: Header=BB238_209 Depth=1
	v_cmp_ne_u16_e64 s[2:3], 0, v8
	s_andn2_b64 s[18:19], s[18:19], exec
	s_and_b64 s[2:3], s[2:3], exec
	v_mov_b32_e32 v22, 0
	s_or_b64 s[18:19], s[18:19], s[2:3]
	s_or_b64 exec, exec, s[20:21]
	s_and_saveexec_b64 s[20:21], s[18:19]
	s_cbranch_execnz .LBB238_251
	s_branch .LBB238_252
.LBB238_353:                            ;   in Loop: Header=BB238_209 Depth=1
	v_cmp_eq_u16_sdwa s[28:29], v8, s31 src0_sel:BYTE_0 src1_sel:DWORD
	s_mov_b64 s[2:3], -1
                                        ; implicit-def: $sgpr22
	s_and_saveexec_b64 s[20:21], s[28:29]
; %bb.354:                              ;   in Loop: Header=BB238_209 Depth=1
	s_mov_b32 s22, 0x7fc02000
	s_xor_b64 s[2:3], exec, -1
; %bb.355:                              ;   in Loop: Header=BB238_209 Depth=1
	s_or_b64 exec, exec, s[20:21]
	s_and_b64 s[2:3], s[2:3], exec
	s_or_saveexec_b64 s[18:19], s[18:19]
	v_mov_b32_e32 v17, s22
	s_xor_b64 exec, exec, s[18:19]
	s_cbranch_execz .LBB238_254
.LBB238_356:                            ;   in Loop: Header=BB238_209 Depth=1
	v_cmp_ne_u16_sdwa s[20:21], v8, v9 src0_sel:BYTE_0 src1_sel:DWORD
	s_andn2_b64 s[2:3], s[2:3], exec
	s_and_b64 s[20:21], s[20:21], exec
	v_mov_b32_e32 v17, 0
	s_or_b64 s[2:3], s[2:3], s[20:21]
	s_or_b64 exec, exec, s[18:19]
	s_and_saveexec_b64 s[18:19], s[2:3]
	s_cbranch_execnz .LBB238_255
	s_branch .LBB238_256
.LBB238_357:                            ;   in Loop: Header=BB238_209 Depth=1
	v_cmp_eq_u16_e64 s[2:3], s31, v8
	s_mov_b64 s[18:19], -1
                                        ; implicit-def: $sgpr28
	s_and_saveexec_b64 s[22:23], s[2:3]
; %bb.358:                              ;   in Loop: Header=BB238_209 Depth=1
	s_mov_b32 s28, 0x7fc02000
	s_xor_b64 s[18:19], exec, -1
; %bb.359:                              ;   in Loop: Header=BB238_209 Depth=1
	s_or_b64 exec, exec, s[22:23]
	s_and_b64 s[18:19], s[18:19], exec
	s_or_saveexec_b64 s[20:21], s[20:21]
	v_mov_b32_e32 v23, s28
	s_xor_b64 exec, exec, s[20:21]
	s_cbranch_execz .LBB238_258
.LBB238_360:                            ;   in Loop: Header=BB238_209 Depth=1
	v_cmp_ne_u16_e64 s[2:3], 0, v8
	s_andn2_b64 s[18:19], s[18:19], exec
	s_and_b64 s[2:3], s[2:3], exec
	v_mov_b32_e32 v23, 0
	s_or_b64 s[18:19], s[18:19], s[2:3]
	s_or_b64 exec, exec, s[20:21]
	s_and_saveexec_b64 s[20:21], s[18:19]
	s_cbranch_execnz .LBB238_259
	s_branch .LBB238_260
.LBB238_361:                            ;   in Loop: Header=BB238_209 Depth=1
	v_cmp_eq_u16_sdwa s[28:29], v21, s31 src0_sel:BYTE_0 src1_sel:DWORD
	s_mov_b64 s[2:3], -1
                                        ; implicit-def: $sgpr22
	s_and_saveexec_b64 s[20:21], s[28:29]
; %bb.362:                              ;   in Loop: Header=BB238_209 Depth=1
	s_mov_b32 s22, 0x7fc02000
	s_xor_b64 s[2:3], exec, -1
; %bb.363:                              ;   in Loop: Header=BB238_209 Depth=1
	s_or_b64 exec, exec, s[20:21]
	s_and_b64 s[2:3], s[2:3], exec
	s_or_saveexec_b64 s[18:19], s[18:19]
	v_mov_b32_e32 v20, s22
	s_xor_b64 exec, exec, s[18:19]
	s_cbranch_execz .LBB238_262
.LBB238_364:                            ;   in Loop: Header=BB238_209 Depth=1
	v_cmp_ne_u16_sdwa s[20:21], v21, v9 src0_sel:BYTE_0 src1_sel:DWORD
	s_andn2_b64 s[2:3], s[2:3], exec
	s_and_b64 s[20:21], s[20:21], exec
	v_mov_b32_e32 v20, 0
	s_or_b64 s[2:3], s[2:3], s[20:21]
	s_or_b64 exec, exec, s[18:19]
	v_mov_b32_e32 v8, v21
	s_and_saveexec_b64 s[18:19], s[2:3]
	s_cbranch_execnz .LBB238_263
	s_branch .LBB238_264
.LBB238_365:                            ;   in Loop: Header=BB238_209 Depth=1
	v_cmp_eq_u16_e64 s[2:3], s31, v8
	s_mov_b64 s[18:19], -1
                                        ; implicit-def: $sgpr28
	s_and_saveexec_b64 s[22:23], s[2:3]
; %bb.366:                              ;   in Loop: Header=BB238_209 Depth=1
	s_mov_b32 s28, 0x7fc02000
	s_xor_b64 s[18:19], exec, -1
; %bb.367:                              ;   in Loop: Header=BB238_209 Depth=1
	s_or_b64 exec, exec, s[22:23]
	s_and_b64 s[18:19], s[18:19], exec
	s_or_saveexec_b64 s[20:21], s[20:21]
	v_mov_b32_e32 v37, s28
	s_xor_b64 exec, exec, s[20:21]
	s_cbranch_execz .LBB238_266
.LBB238_368:                            ;   in Loop: Header=BB238_209 Depth=1
	v_cmp_ne_u16_e64 s[2:3], 0, v8
	s_andn2_b64 s[18:19], s[18:19], exec
	s_and_b64 s[2:3], s[2:3], exec
	v_mov_b32_e32 v37, 0
	s_or_b64 s[18:19], s[18:19], s[2:3]
	s_or_b64 exec, exec, s[20:21]
	s_and_saveexec_b64 s[20:21], s[18:19]
	s_cbranch_execnz .LBB238_267
	s_branch .LBB238_268
.LBB238_369:                            ;   in Loop: Header=BB238_209 Depth=1
	v_cmp_eq_u16_sdwa s[28:29], v8, s31 src0_sel:BYTE_0 src1_sel:DWORD
	s_mov_b64 s[2:3], -1
                                        ; implicit-def: $sgpr22
	s_and_saveexec_b64 s[20:21], s[28:29]
; %bb.370:                              ;   in Loop: Header=BB238_209 Depth=1
	s_mov_b32 s22, 0x7fc02000
	s_xor_b64 s[2:3], exec, -1
; %bb.371:                              ;   in Loop: Header=BB238_209 Depth=1
	s_or_b64 exec, exec, s[20:21]
	s_and_b64 s[2:3], s[2:3], exec
	s_or_saveexec_b64 s[18:19], s[18:19]
	v_mov_b32_e32 v38, s22
	s_xor_b64 exec, exec, s[18:19]
	s_cbranch_execz .LBB238_270
.LBB238_372:                            ;   in Loop: Header=BB238_209 Depth=1
	v_cmp_ne_u16_sdwa s[20:21], v8, v9 src0_sel:BYTE_0 src1_sel:DWORD
	s_andn2_b64 s[2:3], s[2:3], exec
	s_and_b64 s[20:21], s[20:21], exec
	v_mov_b32_e32 v38, 0
	s_or_b64 s[2:3], s[2:3], s[20:21]
	s_or_b64 exec, exec, s[18:19]
	s_and_saveexec_b64 s[18:19], s[2:3]
	s_cbranch_execnz .LBB238_271
	s_branch .LBB238_272
.LBB238_373:                            ;   in Loop: Header=BB238_209 Depth=1
	v_cmp_eq_u16_e64 s[2:3], s31, v8
	s_mov_b64 s[18:19], -1
                                        ; implicit-def: $sgpr28
	s_and_saveexec_b64 s[22:23], s[2:3]
; %bb.374:                              ;   in Loop: Header=BB238_209 Depth=1
	s_mov_b32 s28, 0x7fc02000
	s_xor_b64 s[18:19], exec, -1
; %bb.375:                              ;   in Loop: Header=BB238_209 Depth=1
	s_or_b64 exec, exec, s[22:23]
	s_and_b64 s[18:19], s[18:19], exec
	s_or_saveexec_b64 s[20:21], s[20:21]
	v_mov_b32_e32 v39, s28
	s_xor_b64 exec, exec, s[20:21]
	s_cbranch_execz .LBB238_274
.LBB238_376:                            ;   in Loop: Header=BB238_209 Depth=1
	v_cmp_ne_u16_e64 s[2:3], 0, v8
	s_andn2_b64 s[18:19], s[18:19], exec
	s_and_b64 s[2:3], s[2:3], exec
	v_mov_b32_e32 v39, 0
	s_or_b64 s[18:19], s[18:19], s[2:3]
	s_or_b64 exec, exec, s[20:21]
	s_and_saveexec_b64 s[20:21], s[18:19]
	s_cbranch_execnz .LBB238_275
	s_branch .LBB238_276
.LBB238_377:                            ;   in Loop: Header=BB238_209 Depth=1
	v_cmp_eq_u16_sdwa s[50:51], v16, s31 src0_sel:BYTE_0 src1_sel:DWORD
	s_mov_b64 s[2:3], -1
                                        ; implicit-def: $sgpr28
	s_and_saveexec_b64 s[22:23], s[50:51]
; %bb.378:                              ;   in Loop: Header=BB238_209 Depth=1
	s_mov_b32 s28, 0x7fc02000
	s_xor_b64 s[2:3], exec, -1
; %bb.379:                              ;   in Loop: Header=BB238_209 Depth=1
	s_or_b64 exec, exec, s[22:23]
	s_and_b64 s[2:3], s[2:3], exec
	s_or_saveexec_b64 s[20:21], s[20:21]
	v_mov_b32_e32 v18, s28
	s_xor_b64 exec, exec, s[20:21]
	s_cbranch_execz .LBB238_281
.LBB238_380:                            ;   in Loop: Header=BB238_209 Depth=1
	v_cmp_ne_u16_sdwa s[22:23], v16, v9 src0_sel:BYTE_0 src1_sel:DWORD
	s_andn2_b64 s[2:3], s[2:3], exec
	s_and_b64 s[22:23], s[22:23], exec
	v_mov_b32_e32 v18, 0
	s_or_b64 s[2:3], s[2:3], s[22:23]
	s_or_b64 exec, exec, s[20:21]
	s_and_saveexec_b64 s[20:21], s[2:3]
	s_cbranch_execnz .LBB238_282
	s_branch .LBB238_283
.LBB238_381:                            ;   in Loop: Header=BB238_209 Depth=1
	v_cmp_eq_u16_e64 s[2:3], s31, v8
	s_mov_b64 s[20:21], -1
                                        ; implicit-def: $sgpr45
	s_and_saveexec_b64 s[28:29], s[2:3]
; %bb.382:                              ;   in Loop: Header=BB238_209 Depth=1
	s_mov_b32 s45, 0x7fc02000
	s_xor_b64 s[20:21], exec, -1
; %bb.383:                              ;   in Loop: Header=BB238_209 Depth=1
	s_or_b64 exec, exec, s[28:29]
	s_and_b64 s[20:21], s[20:21], exec
	s_or_saveexec_b64 s[22:23], s[22:23]
	v_mov_b32_e32 v20, s45
	s_xor_b64 exec, exec, s[22:23]
	s_cbranch_execz .LBB238_285
.LBB238_384:                            ;   in Loop: Header=BB238_209 Depth=1
	v_cmp_ne_u16_e64 s[2:3], 0, v8
	s_andn2_b64 s[20:21], s[20:21], exec
	s_and_b64 s[2:3], s[2:3], exec
	v_mov_b32_e32 v20, 0
	s_or_b64 s[20:21], s[20:21], s[2:3]
	s_or_b64 exec, exec, s[22:23]
	s_and_saveexec_b64 s[22:23], s[20:21]
	s_cbranch_execnz .LBB238_286
	s_branch .LBB238_287
.LBB238_385:                            ;   in Loop: Header=BB238_209 Depth=1
	v_cmp_eq_u16_sdwa s[50:51], v8, s31 src0_sel:BYTE_0 src1_sel:DWORD
	s_mov_b64 s[2:3], -1
                                        ; implicit-def: $sgpr28
	s_and_saveexec_b64 s[22:23], s[50:51]
; %bb.386:                              ;   in Loop: Header=BB238_209 Depth=1
	s_mov_b32 s28, 0x7fc02000
	s_xor_b64 s[2:3], exec, -1
; %bb.387:                              ;   in Loop: Header=BB238_209 Depth=1
	s_or_b64 exec, exec, s[22:23]
	s_and_b64 s[2:3], s[2:3], exec
	s_or_saveexec_b64 s[20:21], s[20:21]
	v_mov_b32_e32 v19, s28
	s_xor_b64 exec, exec, s[20:21]
	s_cbranch_execz .LBB238_289
.LBB238_388:                            ;   in Loop: Header=BB238_209 Depth=1
	v_cmp_ne_u16_sdwa s[22:23], v8, v9 src0_sel:BYTE_0 src1_sel:DWORD
	s_andn2_b64 s[2:3], s[2:3], exec
	s_and_b64 s[22:23], s[22:23], exec
	v_mov_b32_e32 v19, 0
	s_or_b64 s[2:3], s[2:3], s[22:23]
	s_or_b64 exec, exec, s[20:21]
	s_and_saveexec_b64 s[20:21], s[2:3]
	s_cbranch_execnz .LBB238_290
	s_branch .LBB238_291
.LBB238_389:                            ;   in Loop: Header=BB238_209 Depth=1
	v_cmp_eq_u16_e64 s[2:3], s31, v8
	s_mov_b64 s[20:21], -1
                                        ; implicit-def: $sgpr45
	s_and_saveexec_b64 s[28:29], s[2:3]
; %bb.390:                              ;   in Loop: Header=BB238_209 Depth=1
	s_mov_b32 s45, 0x7fc02000
	s_xor_b64 s[20:21], exec, -1
; %bb.391:                              ;   in Loop: Header=BB238_209 Depth=1
	s_or_b64 exec, exec, s[28:29]
	s_and_b64 s[20:21], s[20:21], exec
	s_or_saveexec_b64 s[22:23], s[22:23]
	v_mov_b32_e32 v21, s45
	s_xor_b64 exec, exec, s[22:23]
	s_cbranch_execz .LBB238_293
.LBB238_392:                            ;   in Loop: Header=BB238_209 Depth=1
	v_cmp_ne_u16_e64 s[2:3], 0, v8
	s_andn2_b64 s[20:21], s[20:21], exec
	s_and_b64 s[2:3], s[2:3], exec
	v_mov_b32_e32 v21, 0
	s_or_b64 s[20:21], s[20:21], s[2:3]
	s_or_b64 exec, exec, s[22:23]
	s_and_saveexec_b64 s[22:23], s[20:21]
	s_cbranch_execnz .LBB238_294
	s_branch .LBB238_295
.LBB238_393:                            ;   in Loop: Header=BB238_209 Depth=1
	v_cmp_eq_u16_sdwa s[50:51], v17, s31 src0_sel:BYTE_0 src1_sel:DWORD
	s_mov_b64 s[2:3], -1
                                        ; implicit-def: $sgpr28
	s_and_saveexec_b64 s[22:23], s[50:51]
; %bb.394:                              ;   in Loop: Header=BB238_209 Depth=1
	s_mov_b32 s28, 0x7fc02000
	s_xor_b64 s[2:3], exec, -1
; %bb.395:                              ;   in Loop: Header=BB238_209 Depth=1
	s_or_b64 exec, exec, s[22:23]
	s_and_b64 s[2:3], s[2:3], exec
	s_or_saveexec_b64 s[20:21], s[20:21]
	v_mov_b32_e32 v15, s28
	s_xor_b64 exec, exec, s[20:21]
	s_cbranch_execz .LBB238_297
.LBB238_396:                            ;   in Loop: Header=BB238_209 Depth=1
	v_cmp_ne_u16_sdwa s[22:23], v17, v9 src0_sel:BYTE_0 src1_sel:DWORD
	s_andn2_b64 s[2:3], s[2:3], exec
	s_and_b64 s[22:23], s[22:23], exec
	v_mov_b32_e32 v15, 0
	s_or_b64 s[2:3], s[2:3], s[22:23]
	s_or_b64 exec, exec, s[20:21]
	v_mov_b32_e32 v8, v17
	s_and_saveexec_b64 s[20:21], s[2:3]
	s_cbranch_execnz .LBB238_298
	s_branch .LBB238_299
.LBB238_397:                            ;   in Loop: Header=BB238_209 Depth=1
	v_cmp_eq_u16_e64 s[2:3], s31, v8
	s_mov_b64 s[20:21], -1
                                        ; implicit-def: $sgpr45
	s_and_saveexec_b64 s[28:29], s[2:3]
; %bb.398:                              ;   in Loop: Header=BB238_209 Depth=1
	s_mov_b32 s45, 0x7fc02000
	s_xor_b64 s[20:21], exec, -1
; %bb.399:                              ;   in Loop: Header=BB238_209 Depth=1
	s_or_b64 exec, exec, s[28:29]
	s_and_b64 s[20:21], s[20:21], exec
	s_or_saveexec_b64 s[22:23], s[22:23]
	v_mov_b32_e32 v16, s45
	s_xor_b64 exec, exec, s[22:23]
	s_cbranch_execz .LBB238_301
.LBB238_400:                            ;   in Loop: Header=BB238_209 Depth=1
	v_cmp_ne_u16_e64 s[2:3], 0, v8
	s_andn2_b64 s[20:21], s[20:21], exec
	s_and_b64 s[2:3], s[2:3], exec
	v_mov_b32_e32 v16, 0
	s_or_b64 s[20:21], s[20:21], s[2:3]
	s_or_b64 exec, exec, s[22:23]
	s_and_saveexec_b64 s[22:23], s[20:21]
	s_cbranch_execnz .LBB238_302
	s_branch .LBB238_303
.LBB238_401:                            ;   in Loop: Header=BB238_209 Depth=1
	v_cmp_eq_u16_sdwa s[50:51], v8, s31 src0_sel:BYTE_0 src1_sel:DWORD
	s_mov_b64 s[2:3], -1
                                        ; implicit-def: $sgpr28
	s_and_saveexec_b64 s[22:23], s[50:51]
; %bb.402:                              ;   in Loop: Header=BB238_209 Depth=1
	s_mov_b32 s28, 0x7fc02000
	s_xor_b64 s[2:3], exec, -1
; %bb.403:                              ;   in Loop: Header=BB238_209 Depth=1
	s_or_b64 exec, exec, s[22:23]
	s_and_b64 s[2:3], s[2:3], exec
	s_or_saveexec_b64 s[20:21], s[20:21]
	v_mov_b32_e32 v22, s28
	s_xor_b64 exec, exec, s[20:21]
	s_cbranch_execz .LBB238_305
.LBB238_404:                            ;   in Loop: Header=BB238_209 Depth=1
	v_cmp_ne_u16_sdwa s[22:23], v8, v9 src0_sel:BYTE_0 src1_sel:DWORD
	s_andn2_b64 s[2:3], s[2:3], exec
	s_and_b64 s[22:23], s[22:23], exec
	v_mov_b32_e32 v22, 0
	s_or_b64 s[2:3], s[2:3], s[22:23]
	s_or_b64 exec, exec, s[20:21]
	s_and_saveexec_b64 s[20:21], s[2:3]
	s_cbranch_execnz .LBB238_306
	s_branch .LBB238_307
.LBB238_405:                            ;   in Loop: Header=BB238_209 Depth=1
	v_cmp_eq_u16_e64 s[2:3], s31, v8
	s_mov_b64 s[20:21], -1
                                        ; implicit-def: $sgpr45
	s_and_saveexec_b64 s[28:29], s[2:3]
; %bb.406:                              ;   in Loop: Header=BB238_209 Depth=1
	s_mov_b32 s45, 0x7fc02000
	s_xor_b64 s[20:21], exec, -1
; %bb.407:                              ;   in Loop: Header=BB238_209 Depth=1
	s_or_b64 exec, exec, s[28:29]
	s_and_b64 s[20:21], s[20:21], exec
	s_or_saveexec_b64 s[22:23], s[22:23]
	v_mov_b32_e32 v23, s45
	s_xor_b64 exec, exec, s[22:23]
	s_cbranch_execz .LBB238_309
.LBB238_408:                            ;   in Loop: Header=BB238_209 Depth=1
	v_cmp_ne_u16_e64 s[2:3], 0, v8
	s_andn2_b64 s[20:21], s[20:21], exec
	s_and_b64 s[2:3], s[2:3], exec
	v_mov_b32_e32 v23, 0
	s_or_b64 s[20:21], s[20:21], s[2:3]
	s_or_b64 exec, exec, s[22:23]
	s_and_saveexec_b64 s[22:23], s[20:21]
	s_cbranch_execnz .LBB238_310
	s_branch .LBB238_311
.LBB238_409:
	s_or_b64 exec, exec, s[12:13]
.LBB238_410:
	s_or_b64 exec, exec, s[8:9]
	ds_bpermute_b32 v1, v5, v4
	ds_bpermute_b32 v6, v5, v2
	;; [unrolled: 1-line block ×3, first 2 shown]
	s_waitcnt lgkmcnt(0)
	s_barrier
	v_add_f32_e32 v1, v4, v1
	v_and_b32_e32 v4, 0x3c0, v0
	v_pk_add_f32 v[2:3], v[2:3], v[6:7]
	v_cmp_eq_u32_e32 vcc, 64, v4
	s_and_saveexec_b64 s[2:3], vcc
	s_cbranch_execz .LBB238_415
; %bb.411:
	v_cmp_eq_u32_e32 vcc, 0, v27
	s_and_saveexec_b64 s[0:1], vcc
	s_cbranch_execz .LBB238_413
; %bb.412:
	v_mov_b32_e32 v4, 0xb0
	v_lshl_add_u32 v4, v28, 2, v4
	ds_write2_b32 v4, v2, v3 offset1:32
.LBB238_413:
	s_or_b64 exec, exec, s[0:1]
	v_or_b32_e32 v4, 64, v28
	s_movk_i32 s0, 0x50
	v_cmp_gt_u32_e64 s[0:1], s0, v4
	s_and_b64 s[0:1], vcc, s[0:1]
	s_and_b64 exec, exec, s[0:1]
	s_cbranch_execz .LBB238_415
; %bb.414:
	v_mov_b32_e32 v4, 0xb0
	v_lshl_add_u32 v4, v28, 2, v4
	ds_write_b32 v4, v1 offset:256
.LBB238_415:
	s_or_b64 exec, exec, s[2:3]
	v_cmp_gt_u32_e32 vcc, 64, v0
	v_lshrrev_b32_e32 v0, 1, v0
	s_waitcnt lgkmcnt(0)
	s_barrier
	s_and_saveexec_b64 s[6:7], vcc
	s_cbranch_execz .LBB238_423
; %bb.416:
	v_cmp_eq_u32_e64 s[0:1], 0, v27
	s_and_saveexec_b64 s[2:3], s[0:1]
	s_cbranch_execz .LBB238_418
; %bb.417:
	v_mov_b32_e32 v4, 0xb0
	v_lshl_add_u32 v4, v0, 2, v4
	ds_read_b32 v4, v4
	s_waitcnt lgkmcnt(0)
	v_add_f32_e32 v2, v2, v4
.LBB238_418:
	s_or_b64 exec, exec, s[2:3]
	s_and_saveexec_b64 s[2:3], s[0:1]
	s_cbranch_execz .LBB238_420
; %bb.419:
	v_mov_b32_e32 v4, 0xb0
	v_lshl_add_u32 v4, v0, 2, v4
	ds_read_b32 v4, v4 offset:128
	s_waitcnt lgkmcnt(0)
	v_add_f32_e32 v3, v3, v4
.LBB238_420:
	s_or_b64 exec, exec, s[2:3]
	v_or_b32_e32 v4, 64, v0
	s_movk_i32 s2, 0x50
	v_cmp_gt_u32_e64 s[2:3], s2, v4
	s_and_b64 s[2:3], s[0:1], s[2:3]
	s_and_saveexec_b64 s[0:1], s[2:3]
	s_cbranch_execz .LBB238_422
; %bb.421:
	v_mov_b32_e32 v4, 0xb0
	v_lshl_add_u32 v4, v0, 2, v4
	ds_read_b32 v4, v4 offset:256
	s_waitcnt lgkmcnt(0)
	v_add_f32_e32 v1, v1, v4
.LBB238_422:
	s_or_b64 exec, exec, s[0:1]
.LBB238_423:
	s_or_b64 exec, exec, s[6:7]
	s_barrier
	s_and_saveexec_b64 s[0:1], vcc
	s_cbranch_execz .LBB238_428
; %bb.424:
	s_mul_i32 s0, s10, s11
	s_mul_i32 s0, s0, s5
	s_mulk_i32 s0, 0x50
	s_ashr_i32 s1, s0, 31
	s_lshl_b64 s[0:1], s[0:1], 1
	s_add_u32 s2, s26, s0
	s_mul_i32 s0, s11, s24
	s_addc_u32 s3, s27, s1
	s_ashr_i32 s1, s0, 31
	s_lshl_b64 s[0:1], s[0:1], 1
	s_add_u32 s2, s2, s0
	s_mul_i32 s0, s4, 0x50
	s_addc_u32 s3, s3, s1
	s_ashr_i32 s1, s0, 31
	s_lshl_b64 s[0:1], s[0:1], 1
	s_add_u32 s2, s2, s0
	s_movk_i32 s5, 0x50
	s_addc_u32 s3, s3, s1
	v_cmp_eq_u32_e32 vcc, 0, v27
	v_lshlrev_b32_e32 v4, 1, v0
	s_and_saveexec_b64 s[0:1], vcc
	s_cbranch_execz .LBB238_426
; %bb.425:
	;;#ASMSTART
	v_cvt_f16_f32 v2, v2;

	;;#ASMEND
	global_store_short v4, v2, s[2:3]
	;;#ASMSTART
	v_cvt_f16_f32 v2, v3;

	;;#ASMEND
	global_store_short v4, v2, s[2:3] offset:64
.LBB238_426:
	s_or_b64 exec, exec, s[0:1]
	v_or_b32_e32 v0, 64, v0
	v_cmp_gt_u32_e64 s[0:1], s5, v0
	s_and_b64 s[0:1], vcc, s[0:1]
	s_and_b64 exec, exec, s[0:1]
	s_cbranch_execz .LBB238_428
; %bb.427:
	;;#ASMSTART
	v_cvt_f16_f32 v0, v1;

	;;#ASMEND
	global_store_short v4, v0, s[2:3] offset:128
.LBB238_428:
	s_endpgm
	.section	.rodata,"a",@progbits
	.p2align	6, 0x0
	.amdhsa_kernel _ZN4vllm25paged_attention_v1_kernelIthLi80ELi16ELi128ELNS_18Fp8KVCacheDataTypeE1ELb1EEEvPT_PKS2_PKT0_S8_ifPKiSA_iPKfiiiSC_SC_iiiii
		.amdhsa_group_segment_fixed_size 176
		.amdhsa_private_segment_fixed_size 0
		.amdhsa_kernarg_size 384
		.amdhsa_user_sgpr_count 2
		.amdhsa_user_sgpr_dispatch_ptr 0
		.amdhsa_user_sgpr_queue_ptr 0
		.amdhsa_user_sgpr_kernarg_segment_ptr 1
		.amdhsa_user_sgpr_dispatch_id 0
		.amdhsa_user_sgpr_kernarg_preload_length 0
		.amdhsa_user_sgpr_kernarg_preload_offset 0
		.amdhsa_user_sgpr_private_segment_size 0
		.amdhsa_uses_dynamic_stack 0
		.amdhsa_enable_private_segment 0
		.amdhsa_system_sgpr_workgroup_id_x 1
		.amdhsa_system_sgpr_workgroup_id_y 1
		.amdhsa_system_sgpr_workgroup_id_z 1
		.amdhsa_system_sgpr_workgroup_info 0
		.amdhsa_system_vgpr_workitem_id 0
		.amdhsa_next_free_vgpr 55
		.amdhsa_next_free_sgpr 58
		.amdhsa_accum_offset 56
		.amdhsa_reserve_vcc 1
		.amdhsa_float_round_mode_32 0
		.amdhsa_float_round_mode_16_64 0
		.amdhsa_float_denorm_mode_32 3
		.amdhsa_float_denorm_mode_16_64 3
		.amdhsa_dx10_clamp 1
		.amdhsa_ieee_mode 1
		.amdhsa_fp16_overflow 0
		.amdhsa_tg_split 0
		.amdhsa_exception_fp_ieee_invalid_op 0
		.amdhsa_exception_fp_denorm_src 0
		.amdhsa_exception_fp_ieee_div_zero 0
		.amdhsa_exception_fp_ieee_overflow 0
		.amdhsa_exception_fp_ieee_underflow 0
		.amdhsa_exception_fp_ieee_inexact 0
		.amdhsa_exception_int_div_zero 0
	.end_amdhsa_kernel
	.section	.text._ZN4vllm25paged_attention_v1_kernelIthLi80ELi16ELi128ELNS_18Fp8KVCacheDataTypeE1ELb1EEEvPT_PKS2_PKT0_S8_ifPKiSA_iPKfiiiSC_SC_iiiii,"axG",@progbits,_ZN4vllm25paged_attention_v1_kernelIthLi80ELi16ELi128ELNS_18Fp8KVCacheDataTypeE1ELb1EEEvPT_PKS2_PKT0_S8_ifPKiSA_iPKfiiiSC_SC_iiiii,comdat
.Lfunc_end238:
	.size	_ZN4vllm25paged_attention_v1_kernelIthLi80ELi16ELi128ELNS_18Fp8KVCacheDataTypeE1ELb1EEEvPT_PKS2_PKT0_S8_ifPKiSA_iPKfiiiSC_SC_iiiii, .Lfunc_end238-_ZN4vllm25paged_attention_v1_kernelIthLi80ELi16ELi128ELNS_18Fp8KVCacheDataTypeE1ELb1EEEvPT_PKS2_PKT0_S8_ifPKiSA_iPKfiiiSC_SC_iiiii
                                        ; -- End function
	.section	.AMDGPU.csdata,"",@progbits
; Kernel info:
; codeLenInByte = 17884
; NumSgprs: 64
; NumVgprs: 55
; NumAgprs: 0
; TotalNumVgprs: 55
; ScratchSize: 0
; MemoryBound: 0
; FloatMode: 240
; IeeeMode: 1
; LDSByteSize: 176 bytes/workgroup (compile time only)
; SGPRBlocks: 7
; VGPRBlocks: 6
; NumSGPRsForWavesPerEU: 64
; NumVGPRsForWavesPerEU: 55
; AccumOffset: 56
; Occupancy: 8
; WaveLimiterHint : 1
; COMPUTE_PGM_RSRC2:SCRATCH_EN: 0
; COMPUTE_PGM_RSRC2:USER_SGPR: 2
; COMPUTE_PGM_RSRC2:TRAP_HANDLER: 0
; COMPUTE_PGM_RSRC2:TGID_X_EN: 1
; COMPUTE_PGM_RSRC2:TGID_Y_EN: 1
; COMPUTE_PGM_RSRC2:TGID_Z_EN: 1
; COMPUTE_PGM_RSRC2:TIDIG_COMP_CNT: 0
; COMPUTE_PGM_RSRC3_GFX90A:ACCUM_OFFSET: 13
; COMPUTE_PGM_RSRC3_GFX90A:TG_SPLIT: 0
	.section	.text._ZN4vllm25paged_attention_v1_kernelIthLi96ELi16ELi128ELNS_18Fp8KVCacheDataTypeE1ELb1EEEvPT_PKS2_PKT0_S8_ifPKiSA_iPKfiiiSC_SC_iiiii,"axG",@progbits,_ZN4vllm25paged_attention_v1_kernelIthLi96ELi16ELi128ELNS_18Fp8KVCacheDataTypeE1ELb1EEEvPT_PKS2_PKT0_S8_ifPKiSA_iPKfiiiSC_SC_iiiii,comdat
	.protected	_ZN4vllm25paged_attention_v1_kernelIthLi96ELi16ELi128ELNS_18Fp8KVCacheDataTypeE1ELb1EEEvPT_PKS2_PKT0_S8_ifPKiSA_iPKfiiiSC_SC_iiiii ; -- Begin function _ZN4vllm25paged_attention_v1_kernelIthLi96ELi16ELi128ELNS_18Fp8KVCacheDataTypeE1ELb1EEEvPT_PKS2_PKT0_S8_ifPKiSA_iPKfiiiSC_SC_iiiii
	.globl	_ZN4vllm25paged_attention_v1_kernelIthLi96ELi16ELi128ELNS_18Fp8KVCacheDataTypeE1ELb1EEEvPT_PKS2_PKT0_S8_ifPKiSA_iPKfiiiSC_SC_iiiii
	.p2align	8
	.type	_ZN4vllm25paged_attention_v1_kernelIthLi96ELi16ELi128ELNS_18Fp8KVCacheDataTypeE1ELb1EEEvPT_PKS2_PKT0_S8_ifPKiSA_iPKfiiiSC_SC_iiiii,@function
_ZN4vllm25paged_attention_v1_kernelIthLi96ELi16ELi128ELNS_18Fp8KVCacheDataTypeE1ELb1EEEvPT_PKS2_PKT0_S8_ifPKiSA_iPKfiiiSC_SC_iiiii: ; @_ZN4vllm25paged_attention_v1_kernelIthLi96ELi16ELi128ELNS_18Fp8KVCacheDataTypeE1ELb1EEEvPT_PKS2_PKT0_S8_ifPKiSA_iPKfiiiSC_SC_iiiii
; %bb.0:
	s_load_dword s5, s[0:1], 0x80
	s_load_dwordx2 s[6:7], s[0:1], 0x30
	s_load_dwordx2 s[36:37], s[0:1], 0x20
	s_mov_b32 s10, s3
	s_ashr_i32 s11, s3, 31
	s_lshl_b64 s[8:9], s[10:11], 2
	s_waitcnt lgkmcnt(0)
	s_add_u32 s6, s6, s8
	s_addc_u32 s7, s7, s9
	s_abs_i32 s3, s36
	v_cvt_f32_u32_e32 v1, s3
	s_sub_i32 s11, 0, s3
	s_abs_i32 s9, s5
	s_xor_b32 s8, s5, s36
	v_rcp_iflag_f32_e32 v1, v1
	s_ashr_i32 s8, s8, 31
	s_mov_b32 s48, 0
	v_mul_f32_e32 v1, 0x4f7ffffe, v1
	v_cvt_u32_f32_e32 v1, v1
	s_nop 0
	v_readfirstlane_b32 s12, v1
	s_mul_i32 s11, s11, s12
	s_mul_hi_u32 s11, s12, s11
	s_add_i32 s12, s12, s11
	s_mul_hi_u32 s11, s9, s12
	s_mul_i32 s12, s11, s3
	s_sub_i32 s9, s9, s12
	s_add_i32 s12, s11, 1
	s_sub_i32 s13, s9, s3
	s_cmp_ge_u32 s9, s3
	s_cselect_b32 s11, s12, s11
	s_cselect_b32 s9, s13, s9
	s_add_i32 s12, s11, 1
	s_cmp_ge_u32 s9, s3
	s_cselect_b32 s3, s12, s11
	s_xor_b32 s3, s3, s8
	s_sub_i32 s14, s3, s8
	s_abs_i32 s11, s14
	v_cvt_f32_u32_e32 v1, s11
	s_load_dwordx2 s[8:9], s[0:1], 0x40
	s_sub_i32 s3, 0, s11
	s_abs_i32 s12, s2
	v_rcp_iflag_f32_e32 v1, v1
	s_nop 0
	v_mul_f32_e32 v1, 0x4f7ffffe, v1
	v_cvt_u32_f32_e32 v1, v1
	s_nop 0
	v_readfirstlane_b32 s13, v1
	s_mul_i32 s3, s3, s13
	s_mul_hi_u32 s3, s13, s3
	s_add_i32 s13, s13, s3
	s_waitcnt lgkmcnt(0)
	s_cmp_eq_u64 s[8:9], 0
	s_mul_hi_u32 s13, s12, s13
	s_cbranch_scc1 .LBB239_2
; %bb.1:
	s_ashr_i32 s3, s2, 31
	s_lshl_b64 s[16:17], s[2:3], 2
	s_add_u32 s8, s8, s16
	s_addc_u32 s9, s9, s17
	s_load_dword s48, s[8:9], 0x0
.LBB239_2:
	s_load_dword s33, s[6:7], 0x0
	s_load_dwordx4 s[16:19], s[0:1], 0x48
	s_ashr_i32 s8, s2, 31
	s_ashr_i32 s9, s14, 31
	v_and_b32_e32 v7, 3, v0
	s_mul_i32 s24, s2, 0x60
	v_cmp_gt_u32_e32 vcc, 48, v0
	s_and_saveexec_b64 s[6:7], vcc
	s_cbranch_execz .LBB239_4
; %bb.3:
	s_load_dwordx2 s[14:15], s[0:1], 0x8
	s_waitcnt lgkmcnt(0)
	s_mul_i32 s20, s10, s16
	s_ashr_i32 s21, s20, 31
	s_lshl_b64 s[20:21], s[20:21], 1
	v_lshlrev_b32_e32 v1, 2, v0
	s_add_u32 s3, s14, s20
	s_addc_u32 s16, s15, s21
	s_ashr_i32 s25, s24, 31
	s_lshl_b64 s[14:15], s[24:25], 1
	s_add_u32 s14, s3, s14
	s_addc_u32 s15, s16, s15
	global_load_dword v1, v1, s[14:15]
	v_and_b32_e32 v2, 0x3fc, v0
	v_mad_u32_u24 v2, v7, 48, v2
	s_waitcnt vmcnt(0)
	ds_write_b32 v2, v1
.LBB239_4:
	s_or_b64 exec, exec, s[6:7]
	s_mul_i32 s7, s13, s11
	s_sub_i32 s7, s12, s7
	s_xor_b32 s6, s8, s9
	s_add_i32 s8, s13, 1
	s_sub_i32 s9, s7, s11
	s_load_dwordx4 s[20:23], s[0:1], 0x68
	s_load_dword s3, s[0:1], 0x78
	s_cmp_ge_u32 s7, s11
	s_cselect_b32 s8, s8, s13
	s_cselect_b32 s7, s9, s7
	s_add_i32 s9, s8, 1
	s_cmp_ge_u32 s7, s11
	s_cselect_b32 s7, s9, s8
	s_waitcnt lgkmcnt(0)
	s_abs_i32 s25, s23
	v_cvt_f32_u32_e32 v1, s25
	s_xor_b32 s7, s7, s6
	s_sub_i32 s47, s7, s6
	s_sub_i32 s6, 0, s25
	v_rcp_iflag_f32_e32 v1, v1
	s_add_i32 s11, s33, -1
	s_abs_i32 s8, s11
	v_mul_f32_e32 v1, 0x4f7ffffe, v1
	v_cvt_u32_f32_e32 v1, v1
	s_barrier
	v_readfirstlane_b32 s46, v1
	s_mul_i32 s6, s6, s46
	s_mul_hi_u32 s6, s46, s6
	s_add_i32 s46, s46, s6
	s_cmp_lt_i32 s3, 0
	s_mul_hi_u32 s9, s8, s46
	s_cbranch_scc0 .LBB239_6
; %bb.5:
	s_mul_i32 s6, s20, s36
	s_add_i32 s6, s47, s6
	s_mul_i32 s6, s6, s3
	s_sub_i32 s36, 1, s6
	s_mov_b64 s[6:7], 0
	s_branch .LBB239_7
.LBB239_6:
	s_mov_b64 s[6:7], -1
                                        ; implicit-def: $sgpr36
.LBB239_7:
	s_load_dwordx2 s[28:29], s[0:1], 0x28
	s_ashr_i32 s16, s11, 31
	s_andn2_b64 vcc, exec, s[6:7]
	s_ashr_i32 s23, s23, 31
	s_cbranch_vccnz .LBB239_9
; %bb.8:
	s_mul_i32 s6, s5, s20
	s_add_i32 s2, s6, s2
	s_mul_i32 s2, s2, s3
	s_add_i32 s36, s2, 1
.LBB239_9:
	s_load_dword s2, s[0:1], 0x38
	s_load_dwordx2 s[26:27], s[0:1], 0x0
	s_load_dwordx2 s[34:35], s[0:1], 0x18
	s_load_dword s11, s[0:1], 0x88
	s_load_dwordx4 s[12:15], s[0:1], 0x58
	s_mul_i32 s3, s9, s25
	s_waitcnt lgkmcnt(0)
	s_mul_i32 s30, s10, s2
	s_sub_i32 s3, s8, s3
	s_ashr_i32 s31, s30, 31
	s_xor_b32 s2, s16, s23
	s_add_i32 s6, s9, 1
	s_sub_i32 s7, s3, s25
	s_cmp_ge_u32 s3, s25
	s_cselect_b32 s6, s6, s9
	s_cselect_b32 s3, s7, s3
	s_add_i32 s7, s6, 1
	s_cmp_ge_u32 s3, s25
	s_cselect_b32 s3, s7, s6
	s_xor_b32 s3, s3, s2
	s_sub_i32 s16, s3, s2
	s_add_i32 s2, s33, 15
	s_ashr_i32 s3, s2, 31
	s_lshr_b32 s3, s3, 28
	s_add_i32 s2, s2, s3
	s_ashr_i32 s20, s2, 4
	v_lshrrev_b32_e32 v1, 6, v0
	v_cmp_gt_i32_e64 s[6:7], s20, v1
	v_mov_b32_e32 v17, 0xff7fffff
	s_mul_i32 s47, s47, s18
	v_lshrrev_b32_e32 v12, 4, v0
	v_lshlrev_b32_e32 v15, 4, v1
	v_mbcnt_lo_u32_b32 v13, -1, 0
	s_and_saveexec_b64 s[18:19], s[6:7]
	s_cbranch_execz .LBB239_211
; %bb.10:
	s_load_dwordx2 s[0:1], s[0:1], 0x10
	s_sub_i32 s49, s16, s21
	s_ashr_i32 s2, s47, 31
	v_bfe_u32 v14, v0, 2, 4
	v_lshlrev_b32_e32 v2, 4, v14
	s_waitcnt lgkmcnt(0)
	s_add_u32 s0, s0, s47
	s_addc_u32 s1, s1, s2
	s_abs_i32 s50, s22
	v_cvt_f32_u32_e32 v4, s50
	v_mov_b32_e32 v3, 0
	v_cmp_eq_u32_e32 vcc, 0, v7
	s_mov_b32 s51, s17
	v_rcp_iflag_f32_e32 v8, v4
	v_lshl_add_u64 v[4:5], s[0:1], 0, v[2:3]
	s_sub_i32 s0, 0, s50
	v_lshlrev_b32_e32 v6, 1, v7
	v_mul_f32_e32 v2, 0x4f7ffffe, v8
	v_cvt_u32_f32_e32 v2, v2
	v_mul_u32_u24_e32 v16, 48, v7
	v_cmp_neq_f32_e64 s[2:3], s48, 0
	v_mov_b32_e32 v7, v3
	v_mul_lo_u32 v8, s0, v2
	s_lshl_b64 s[0:1], s[30:31], 2
	v_mul_hi_u32 v8, v2, v8
	s_add_u32 s0, s28, s0
	v_add_u32_e32 v18, v2, v8
	v_and_b32_e32 v2, 60, v12
	s_addc_u32 s1, s29, s1
	v_lshl_add_u64 v[8:9], s[0:1], 0, v[2:3]
	v_lshlrev_b32_e32 v2, 2, v14
	v_lshl_or_b32 v2, v1, 6, v2
	v_add_u32_e32 v20, 0xd0, v2
	v_subrev_u32_e32 v2, s33, v14
	v_lshlrev_b32_e32 v19, 4, v1
	v_add_u32_e32 v21, 1, v2
	s_mov_b64 s[38:39], 0
	v_mov_b32_e32 v22, 0xff7fffff
	s_movk_i32 s52, 0x7f
	s_movk_i32 s53, 0x80
	s_mov_b32 s54, 0x8000
	v_mov_b32_e32 v23, 0x1c00
	v_mbcnt_hi_u32_b32 v24, -1, v13
	v_mov_b32_e32 v17, 0xff7fffff
	v_mov_b32_e32 v25, v1
	s_branch .LBB239_13
.LBB239_11:                             ;   in Loop: Header=BB239_13 Depth=1
	s_or_b64 exec, exec, s[40:41]
.LBB239_12:                             ;   in Loop: Header=BB239_13 Depth=1
	s_or_b64 exec, exec, s[8:9]
	v_add_u32_e32 v25, 2, v25
	v_cmp_le_i32_e64 s[0:1], s20, v25
	v_lshl_add_u64 v[8:9], v[8:9], 0, 8
	v_add_u32_e32 v19, 32, v19
	s_or_b64 s[38:39], s[0:1], s[38:39]
	v_add_u32_e32 v20, 0x80, v20
	s_andn2_b64 exec, exec, s[38:39]
	s_cbranch_execz .LBB239_210
.LBB239_13:                             ; =>This Inner Loop Header: Depth=1
	v_mul_hi_u32 v2, v19, s46
	s_waitcnt lgkmcnt(0)
	v_mul_lo_u32 v10, v2, s25
	v_sub_u32_e32 v10, v19, v10
	v_add_u32_e32 v11, 1, v2
	v_cmp_le_u32_e64 s[0:1], s25, v10
	s_nop 1
	v_cndmask_b32_e64 v2, v2, v11, s[0:1]
	v_subrev_u32_e32 v11, s25, v10
	v_cndmask_b32_e64 v10, v10, v11, s[0:1]
	v_add_u32_e32 v11, 1, v2
	v_cmp_le_u32_e64 s[0:1], s25, v10
	s_nop 1
	v_cndmask_b32_e64 v2, v2, v11, s[0:1]
	v_xor_b32_e32 v2, s23, v2
	v_subrev_u32_e32 v2, s23, v2
	v_add_u32_e32 v10, s36, v2
	v_sub_u32_e32 v26, 0, v10
	v_ashrrev_i32_e32 v11, 31, v10
	v_max_i32_e32 v10, v10, v26
	v_mul_hi_u32 v26, v10, v18
	v_mul_lo_u32 v26, v26, s50
	v_sub_u32_e32 v10, v10, v26
	v_subrev_u32_e32 v26, s50, v10
	v_cmp_le_u32_e64 s[0:1], s50, v10
	v_cmp_ge_i32_e64 s[8:9], s49, v2
	s_nop 0
	v_cndmask_b32_e64 v10, v10, v26, s[0:1]
	v_subrev_u32_e32 v26, s50, v10
	v_cmp_le_u32_e64 s[0:1], s50, v10
	s_nop 1
	v_cndmask_b32_e64 v10, v10, v26, s[0:1]
	v_xor_b32_e32 v10, v10, v11
	v_sub_u32_e32 v10, v10, v11
	v_cmp_ne_u32_e64 s[0:1], 0, v10
	s_and_b64 s[0:1], s[0:1], s[8:9]
	s_and_b64 s[40:41], vcc, s[0:1]
	s_and_saveexec_b64 s[8:9], s[40:41]
	s_cbranch_execz .LBB239_15
; %bb.14:                               ;   in Loop: Header=BB239_13 Depth=1
	ds_write_b32 v20, v22
.LBB239_15:                             ;   in Loop: Header=BB239_13 Depth=1
	s_or_b64 exec, exec, s[8:9]
	s_xor_b64 s[0:1], s[0:1], -1
	s_and_saveexec_b64 s[8:9], s[0:1]
	s_cbranch_execz .LBB239_12
; %bb.16:                               ;   in Loop: Header=BB239_13 Depth=1
	global_load_dword v2, v[8:9], off
                                        ; implicit-def: $sgpr44
	s_waitcnt vmcnt(0)
	v_mad_i64_i32 v[10:11], s[0:1], v2, s51, v[4:5]
	v_lshl_add_u64 v[10:11], v[10:11], 0, v[6:7]
	global_load_ushort v2, v[10:11], off
	global_load_dword v26, v3, s[12:13]
	s_mov_b64 s[0:1], 0
	s_waitcnt vmcnt(1)
	v_cmp_gt_i16_sdwa s[40:41], v2, s52 src0_sel:BYTE_0 src1_sel:DWORD
	s_and_saveexec_b64 s[42:43], s[40:41]
	s_xor_b64 s[40:41], exec, s[42:43]
	s_cbranch_execnz .LBB239_114
; %bb.17:                               ;   in Loop: Header=BB239_13 Depth=1
	s_or_saveexec_b64 s[40:41], s[40:41]
	v_mov_b32_e32 v27, s44
	s_xor_b64 exec, exec, s[40:41]
	s_cbranch_execnz .LBB239_117
.LBB239_18:                             ;   in Loop: Header=BB239_13 Depth=1
	s_or_b64 exec, exec, s[40:41]
	v_and_b32_e32 v2, 0xffff, v2
	s_and_saveexec_b64 s[40:41], s[0:1]
	s_cbranch_execz .LBB239_20
.LBB239_19:                             ;   in Loop: Header=BB239_13 Depth=1
	v_and_b32_e32 v27, 7, v2
	v_ffbh_u32_e32 v28, v27
	v_min_u32_e32 v31, 32, v28
	v_subrev_u32_e32 v28, 28, v31
	v_bfe_u32 v30, v2, 3, 4
	v_lshlrev_b64 v[28:29], v28, v[2:3]
	v_sub_u32_e32 v29, 29, v31
	v_cmp_eq_u32_e64 s[0:1], 0, v30
	v_and_b32_e32 v28, 7, v28
	s_nop 0
	v_cndmask_b32_e64 v29, v30, v29, s[0:1]
	v_cndmask_b32_e64 v27, v27, v28, s[0:1]
	v_lshlrev_b32_e32 v28, 8, v2
	v_lshl_add_u32 v29, v29, 10, v23
	v_and_or_b32 v28, v28, s54, v29
	v_lshl_or_b32 v27, v27, 7, v28
	v_cvt_f32_f16_e32 v27, v27
.LBB239_20:                             ;   in Loop: Header=BB239_13 Depth=1
	s_or_b64 exec, exec, s[40:41]
	v_lshrrev_b16_e32 v2, 8, v2
	v_cmp_lt_i16_e64 s[0:1], s52, v2
	s_mov_b64 s[40:41], 0
                                        ; implicit-def: $sgpr55
	s_and_saveexec_b64 s[42:43], s[0:1]
	s_xor_b64 s[42:43], exec, s[42:43]
	s_cbranch_execnz .LBB239_118
; %bb.21:                               ;   in Loop: Header=BB239_13 Depth=1
	s_or_saveexec_b64 s[42:43], s[42:43]
	v_mov_b32_e32 v28, s55
	s_xor_b64 exec, exec, s[42:43]
	s_cbranch_execnz .LBB239_121
.LBB239_22:                             ;   in Loop: Header=BB239_13 Depth=1
	s_or_b64 exec, exec, s[42:43]
	s_and_saveexec_b64 s[42:43], s[40:41]
	s_cbranch_execz .LBB239_24
.LBB239_23:                             ;   in Loop: Header=BB239_13 Depth=1
	v_and_b32_e32 v30, 7, v2
	v_ffbh_u32_e32 v28, v30
	v_min_u32_e32 v32, 32, v28
	v_subrev_u32_e32 v28, 28, v32
	v_bfe_u32 v31, v2, 3, 4
	v_lshlrev_b64 v[28:29], v28, v[2:3]
	v_sub_u32_e32 v29, 29, v32
	v_cmp_eq_u32_e64 s[0:1], 0, v31
	v_and_b32_e32 v28, 7, v28
	v_lshlrev_b32_e32 v2, 8, v2
	v_cndmask_b32_e64 v29, v31, v29, s[0:1]
	v_lshl_add_u32 v29, v29, 10, v23
	v_cndmask_b32_e64 v28, v30, v28, s[0:1]
	v_and_or_b32 v2, v2, s54, v29
	v_lshl_or_b32 v2, v28, 7, v2
	v_cvt_f32_f16_e32 v28, v2
.LBB239_24:                             ;   in Loop: Header=BB239_13 Depth=1
	s_or_b64 exec, exec, s[42:43]
	global_load_ushort v2, v[10:11], off offset:8
	s_mov_b64 s[0:1], 0
                                        ; implicit-def: $sgpr44
	s_waitcnt vmcnt(0)
	v_cmp_gt_i16_sdwa s[40:41], v2, s52 src0_sel:BYTE_0 src1_sel:DWORD
	s_and_saveexec_b64 s[42:43], s[40:41]
	s_xor_b64 s[40:41], exec, s[42:43]
	s_cbranch_execnz .LBB239_122
; %bb.25:                               ;   in Loop: Header=BB239_13 Depth=1
	s_or_saveexec_b64 s[40:41], s[40:41]
	v_mov_b32_e32 v29, s44
	s_xor_b64 exec, exec, s[40:41]
	s_cbranch_execnz .LBB239_125
.LBB239_26:                             ;   in Loop: Header=BB239_13 Depth=1
	s_or_b64 exec, exec, s[40:41]
	v_and_b32_e32 v2, 0xffff, v2
	s_and_saveexec_b64 s[40:41], s[0:1]
	s_cbranch_execz .LBB239_28
.LBB239_27:                             ;   in Loop: Header=BB239_13 Depth=1
	v_and_b32_e32 v29, 7, v2
	v_ffbh_u32_e32 v30, v29
	v_min_u32_e32 v33, 32, v30
	v_subrev_u32_e32 v30, 28, v33
	v_bfe_u32 v32, v2, 3, 4
	v_lshlrev_b64 v[30:31], v30, v[2:3]
	v_sub_u32_e32 v31, 29, v33
	v_cmp_eq_u32_e64 s[0:1], 0, v32
	v_and_b32_e32 v30, 7, v30
	s_nop 0
	v_cndmask_b32_e64 v31, v32, v31, s[0:1]
	v_cndmask_b32_e64 v29, v29, v30, s[0:1]
	v_lshlrev_b32_e32 v30, 8, v2
	v_lshl_add_u32 v31, v31, 10, v23
	v_and_or_b32 v30, v30, s54, v31
	v_lshl_or_b32 v29, v29, 7, v30
	v_cvt_f32_f16_e32 v29, v29
.LBB239_28:                             ;   in Loop: Header=BB239_13 Depth=1
	s_or_b64 exec, exec, s[40:41]
	v_lshrrev_b16_e32 v2, 8, v2
	v_cmp_lt_i16_e64 s[0:1], s52, v2
	s_mov_b64 s[40:41], 0
                                        ; implicit-def: $sgpr55
	s_and_saveexec_b64 s[42:43], s[0:1]
	s_xor_b64 s[42:43], exec, s[42:43]
	s_cbranch_execnz .LBB239_126
; %bb.29:                               ;   in Loop: Header=BB239_13 Depth=1
	s_or_saveexec_b64 s[42:43], s[42:43]
	v_mov_b32_e32 v30, s55
	s_xor_b64 exec, exec, s[42:43]
	s_cbranch_execnz .LBB239_129
.LBB239_30:                             ;   in Loop: Header=BB239_13 Depth=1
	s_or_b64 exec, exec, s[42:43]
	s_and_saveexec_b64 s[42:43], s[40:41]
	s_cbranch_execz .LBB239_32
.LBB239_31:                             ;   in Loop: Header=BB239_13 Depth=1
	v_and_b32_e32 v32, 7, v2
	v_ffbh_u32_e32 v30, v32
	v_min_u32_e32 v34, 32, v30
	v_subrev_u32_e32 v30, 28, v34
	v_bfe_u32 v33, v2, 3, 4
	v_lshlrev_b64 v[30:31], v30, v[2:3]
	v_sub_u32_e32 v31, 29, v34
	v_cmp_eq_u32_e64 s[0:1], 0, v33
	v_and_b32_e32 v30, 7, v30
	v_lshlrev_b32_e32 v2, 8, v2
	v_cndmask_b32_e64 v31, v33, v31, s[0:1]
	v_lshl_add_u32 v31, v31, 10, v23
	v_cndmask_b32_e64 v30, v32, v30, s[0:1]
	v_and_or_b32 v2, v2, s54, v31
	v_lshl_or_b32 v2, v30, 7, v2
	v_cvt_f32_f16_e32 v30, v2
.LBB239_32:                             ;   in Loop: Header=BB239_13 Depth=1
	s_or_b64 exec, exec, s[42:43]
	global_load_ushort v2, v[10:11], off offset:256
	s_mov_b64 s[0:1], 0
                                        ; implicit-def: $sgpr44
	s_waitcnt vmcnt(0)
	v_cmp_gt_i16_sdwa s[40:41], v2, s52 src0_sel:BYTE_0 src1_sel:DWORD
	s_and_saveexec_b64 s[42:43], s[40:41]
	s_xor_b64 s[40:41], exec, s[42:43]
	s_cbranch_execnz .LBB239_130
; %bb.33:                               ;   in Loop: Header=BB239_13 Depth=1
	s_or_saveexec_b64 s[40:41], s[40:41]
	v_mov_b32_e32 v31, s44
	s_xor_b64 exec, exec, s[40:41]
	s_cbranch_execnz .LBB239_133
.LBB239_34:                             ;   in Loop: Header=BB239_13 Depth=1
	s_or_b64 exec, exec, s[40:41]
	v_and_b32_e32 v2, 0xffff, v2
	s_and_saveexec_b64 s[40:41], s[0:1]
	s_cbranch_execz .LBB239_36
.LBB239_35:                             ;   in Loop: Header=BB239_13 Depth=1
	v_and_b32_e32 v31, 7, v2
	v_ffbh_u32_e32 v32, v31
	v_min_u32_e32 v35, 32, v32
	v_subrev_u32_e32 v32, 28, v35
	v_bfe_u32 v34, v2, 3, 4
	v_lshlrev_b64 v[32:33], v32, v[2:3]
	v_sub_u32_e32 v33, 29, v35
	v_cmp_eq_u32_e64 s[0:1], 0, v34
	v_and_b32_e32 v32, 7, v32
	s_nop 0
	v_cndmask_b32_e64 v33, v34, v33, s[0:1]
	v_cndmask_b32_e64 v31, v31, v32, s[0:1]
	v_lshlrev_b32_e32 v32, 8, v2
	v_lshl_add_u32 v33, v33, 10, v23
	v_and_or_b32 v32, v32, s54, v33
	v_lshl_or_b32 v31, v31, 7, v32
	v_cvt_f32_f16_e32 v31, v31
.LBB239_36:                             ;   in Loop: Header=BB239_13 Depth=1
	s_or_b64 exec, exec, s[40:41]
	v_lshrrev_b16_e32 v2, 8, v2
	v_cmp_lt_i16_e64 s[0:1], s52, v2
	s_mov_b64 s[40:41], 0
                                        ; implicit-def: $sgpr55
	s_and_saveexec_b64 s[42:43], s[0:1]
	s_xor_b64 s[42:43], exec, s[42:43]
	s_cbranch_execnz .LBB239_134
; %bb.37:                               ;   in Loop: Header=BB239_13 Depth=1
	s_or_saveexec_b64 s[42:43], s[42:43]
	v_mov_b32_e32 v32, s55
	s_xor_b64 exec, exec, s[42:43]
	s_cbranch_execnz .LBB239_137
.LBB239_38:                             ;   in Loop: Header=BB239_13 Depth=1
	s_or_b64 exec, exec, s[42:43]
	s_and_saveexec_b64 s[42:43], s[40:41]
	s_cbranch_execz .LBB239_40
.LBB239_39:                             ;   in Loop: Header=BB239_13 Depth=1
	v_and_b32_e32 v34, 7, v2
	v_ffbh_u32_e32 v32, v34
	v_min_u32_e32 v36, 32, v32
	v_subrev_u32_e32 v32, 28, v36
	v_bfe_u32 v35, v2, 3, 4
	v_lshlrev_b64 v[32:33], v32, v[2:3]
	v_sub_u32_e32 v33, 29, v36
	v_cmp_eq_u32_e64 s[0:1], 0, v35
	v_and_b32_e32 v32, 7, v32
	v_lshlrev_b32_e32 v2, 8, v2
	v_cndmask_b32_e64 v33, v35, v33, s[0:1]
	v_lshl_add_u32 v33, v33, 10, v23
	v_cndmask_b32_e64 v32, v34, v32, s[0:1]
	v_and_or_b32 v2, v2, s54, v33
	v_lshl_or_b32 v2, v32, 7, v2
	v_cvt_f32_f16_e32 v32, v2
.LBB239_40:                             ;   in Loop: Header=BB239_13 Depth=1
	s_or_b64 exec, exec, s[42:43]
	global_load_ushort v2, v[10:11], off offset:264
	s_mov_b64 s[0:1], 0
                                        ; implicit-def: $sgpr44
	s_waitcnt vmcnt(0)
	v_cmp_gt_i16_sdwa s[40:41], v2, s52 src0_sel:BYTE_0 src1_sel:DWORD
	s_and_saveexec_b64 s[42:43], s[40:41]
	s_xor_b64 s[40:41], exec, s[42:43]
	s_cbranch_execnz .LBB239_138
; %bb.41:                               ;   in Loop: Header=BB239_13 Depth=1
	s_or_saveexec_b64 s[40:41], s[40:41]
	v_mov_b32_e32 v33, s44
	s_xor_b64 exec, exec, s[40:41]
	s_cbranch_execnz .LBB239_141
.LBB239_42:                             ;   in Loop: Header=BB239_13 Depth=1
	s_or_b64 exec, exec, s[40:41]
	v_and_b32_e32 v2, 0xffff, v2
	s_and_saveexec_b64 s[40:41], s[0:1]
	s_cbranch_execz .LBB239_44
.LBB239_43:                             ;   in Loop: Header=BB239_13 Depth=1
	v_and_b32_e32 v33, 7, v2
	v_ffbh_u32_e32 v34, v33
	v_min_u32_e32 v37, 32, v34
	v_subrev_u32_e32 v34, 28, v37
	v_bfe_u32 v36, v2, 3, 4
	v_lshlrev_b64 v[34:35], v34, v[2:3]
	v_sub_u32_e32 v35, 29, v37
	v_cmp_eq_u32_e64 s[0:1], 0, v36
	v_and_b32_e32 v34, 7, v34
	s_nop 0
	v_cndmask_b32_e64 v35, v36, v35, s[0:1]
	v_cndmask_b32_e64 v33, v33, v34, s[0:1]
	v_lshlrev_b32_e32 v34, 8, v2
	v_lshl_add_u32 v35, v35, 10, v23
	v_and_or_b32 v34, v34, s54, v35
	v_lshl_or_b32 v33, v33, 7, v34
	v_cvt_f32_f16_e32 v33, v33
.LBB239_44:                             ;   in Loop: Header=BB239_13 Depth=1
	s_or_b64 exec, exec, s[40:41]
	v_lshrrev_b16_e32 v2, 8, v2
	v_cmp_lt_i16_e64 s[0:1], s52, v2
	s_mov_b64 s[40:41], 0
                                        ; implicit-def: $sgpr55
	s_and_saveexec_b64 s[42:43], s[0:1]
	s_xor_b64 s[42:43], exec, s[42:43]
	s_cbranch_execnz .LBB239_142
; %bb.45:                               ;   in Loop: Header=BB239_13 Depth=1
	s_or_saveexec_b64 s[42:43], s[42:43]
	v_mov_b32_e32 v34, s55
	s_xor_b64 exec, exec, s[42:43]
	s_cbranch_execnz .LBB239_145
.LBB239_46:                             ;   in Loop: Header=BB239_13 Depth=1
	s_or_b64 exec, exec, s[42:43]
	s_and_saveexec_b64 s[42:43], s[40:41]
	s_cbranch_execz .LBB239_48
.LBB239_47:                             ;   in Loop: Header=BB239_13 Depth=1
	v_and_b32_e32 v36, 7, v2
	v_ffbh_u32_e32 v34, v36
	v_min_u32_e32 v38, 32, v34
	v_subrev_u32_e32 v34, 28, v38
	v_bfe_u32 v37, v2, 3, 4
	v_lshlrev_b64 v[34:35], v34, v[2:3]
	v_sub_u32_e32 v35, 29, v38
	v_cmp_eq_u32_e64 s[0:1], 0, v37
	v_and_b32_e32 v34, 7, v34
	v_lshlrev_b32_e32 v2, 8, v2
	v_cndmask_b32_e64 v35, v37, v35, s[0:1]
	v_lshl_add_u32 v35, v35, 10, v23
	v_cndmask_b32_e64 v34, v36, v34, s[0:1]
	v_and_or_b32 v2, v2, s54, v35
	v_lshl_or_b32 v2, v34, 7, v2
	v_cvt_f32_f16_e32 v34, v2
.LBB239_48:                             ;   in Loop: Header=BB239_13 Depth=1
	s_or_b64 exec, exec, s[42:43]
	global_load_ushort v2, v[10:11], off offset:512
	s_mov_b64 s[0:1], 0
                                        ; implicit-def: $sgpr44
	s_waitcnt vmcnt(0)
	v_cmp_gt_i16_sdwa s[40:41], v2, s52 src0_sel:BYTE_0 src1_sel:DWORD
	s_and_saveexec_b64 s[42:43], s[40:41]
	s_xor_b64 s[40:41], exec, s[42:43]
	s_cbranch_execnz .LBB239_146
; %bb.49:                               ;   in Loop: Header=BB239_13 Depth=1
	s_or_saveexec_b64 s[40:41], s[40:41]
	v_mov_b32_e32 v35, s44
	s_xor_b64 exec, exec, s[40:41]
	s_cbranch_execnz .LBB239_149
.LBB239_50:                             ;   in Loop: Header=BB239_13 Depth=1
	s_or_b64 exec, exec, s[40:41]
	v_and_b32_e32 v2, 0xffff, v2
	s_and_saveexec_b64 s[40:41], s[0:1]
	s_cbranch_execz .LBB239_52
.LBB239_51:                             ;   in Loop: Header=BB239_13 Depth=1
	v_and_b32_e32 v35, 7, v2
	v_ffbh_u32_e32 v36, v35
	v_min_u32_e32 v39, 32, v36
	v_subrev_u32_e32 v36, 28, v39
	v_bfe_u32 v38, v2, 3, 4
	v_lshlrev_b64 v[36:37], v36, v[2:3]
	v_sub_u32_e32 v37, 29, v39
	v_cmp_eq_u32_e64 s[0:1], 0, v38
	v_and_b32_e32 v36, 7, v36
	s_nop 0
	v_cndmask_b32_e64 v37, v38, v37, s[0:1]
	v_cndmask_b32_e64 v35, v35, v36, s[0:1]
	v_lshlrev_b32_e32 v36, 8, v2
	v_lshl_add_u32 v37, v37, 10, v23
	v_and_or_b32 v36, v36, s54, v37
	v_lshl_or_b32 v35, v35, 7, v36
	v_cvt_f32_f16_e32 v35, v35
.LBB239_52:                             ;   in Loop: Header=BB239_13 Depth=1
	s_or_b64 exec, exec, s[40:41]
	v_lshrrev_b16_e32 v2, 8, v2
	v_cmp_lt_i16_e64 s[0:1], s52, v2
	s_mov_b64 s[40:41], 0
                                        ; implicit-def: $sgpr55
	s_and_saveexec_b64 s[42:43], s[0:1]
	s_xor_b64 s[42:43], exec, s[42:43]
	s_cbranch_execnz .LBB239_150
; %bb.53:                               ;   in Loop: Header=BB239_13 Depth=1
	s_or_saveexec_b64 s[42:43], s[42:43]
	v_mov_b32_e32 v36, s55
	s_xor_b64 exec, exec, s[42:43]
	s_cbranch_execnz .LBB239_153
.LBB239_54:                             ;   in Loop: Header=BB239_13 Depth=1
	s_or_b64 exec, exec, s[42:43]
	s_and_saveexec_b64 s[42:43], s[40:41]
	s_cbranch_execz .LBB239_56
.LBB239_55:                             ;   in Loop: Header=BB239_13 Depth=1
	v_and_b32_e32 v38, 7, v2
	v_ffbh_u32_e32 v36, v38
	v_min_u32_e32 v40, 32, v36
	v_subrev_u32_e32 v36, 28, v40
	v_bfe_u32 v39, v2, 3, 4
	v_lshlrev_b64 v[36:37], v36, v[2:3]
	v_sub_u32_e32 v37, 29, v40
	v_cmp_eq_u32_e64 s[0:1], 0, v39
	v_and_b32_e32 v36, 7, v36
	v_lshlrev_b32_e32 v2, 8, v2
	v_cndmask_b32_e64 v37, v39, v37, s[0:1]
	v_lshl_add_u32 v37, v37, 10, v23
	v_cndmask_b32_e64 v36, v38, v36, s[0:1]
	v_and_or_b32 v2, v2, s54, v37
	v_lshl_or_b32 v2, v36, 7, v2
	v_cvt_f32_f16_e32 v36, v2
.LBB239_56:                             ;   in Loop: Header=BB239_13 Depth=1
	s_or_b64 exec, exec, s[42:43]
	global_load_ushort v2, v[10:11], off offset:520
	s_mov_b64 s[0:1], 0
                                        ; implicit-def: $sgpr44
	s_waitcnt vmcnt(0)
	v_cmp_gt_i16_sdwa s[40:41], v2, s52 src0_sel:BYTE_0 src1_sel:DWORD
	s_and_saveexec_b64 s[42:43], s[40:41]
	s_xor_b64 s[40:41], exec, s[42:43]
	s_cbranch_execnz .LBB239_154
; %bb.57:                               ;   in Loop: Header=BB239_13 Depth=1
	s_or_saveexec_b64 s[40:41], s[40:41]
	v_mov_b32_e32 v37, s44
	s_xor_b64 exec, exec, s[40:41]
	s_cbranch_execnz .LBB239_157
.LBB239_58:                             ;   in Loop: Header=BB239_13 Depth=1
	s_or_b64 exec, exec, s[40:41]
	v_and_b32_e32 v2, 0xffff, v2
	s_and_saveexec_b64 s[40:41], s[0:1]
	s_cbranch_execz .LBB239_60
.LBB239_59:                             ;   in Loop: Header=BB239_13 Depth=1
	v_and_b32_e32 v37, 7, v2
	v_ffbh_u32_e32 v38, v37
	v_min_u32_e32 v41, 32, v38
	v_subrev_u32_e32 v38, 28, v41
	v_bfe_u32 v40, v2, 3, 4
	v_lshlrev_b64 v[38:39], v38, v[2:3]
	v_sub_u32_e32 v39, 29, v41
	v_cmp_eq_u32_e64 s[0:1], 0, v40
	v_and_b32_e32 v38, 7, v38
	s_nop 0
	v_cndmask_b32_e64 v39, v40, v39, s[0:1]
	v_cndmask_b32_e64 v37, v37, v38, s[0:1]
	v_lshlrev_b32_e32 v38, 8, v2
	v_lshl_add_u32 v39, v39, 10, v23
	v_and_or_b32 v38, v38, s54, v39
	v_lshl_or_b32 v37, v37, 7, v38
	v_cvt_f32_f16_e32 v37, v37
.LBB239_60:                             ;   in Loop: Header=BB239_13 Depth=1
	s_or_b64 exec, exec, s[40:41]
	v_lshrrev_b16_e32 v2, 8, v2
	v_cmp_lt_i16_e64 s[0:1], s52, v2
	s_mov_b64 s[40:41], 0
                                        ; implicit-def: $sgpr55
	s_and_saveexec_b64 s[42:43], s[0:1]
	s_xor_b64 s[42:43], exec, s[42:43]
	s_cbranch_execnz .LBB239_158
; %bb.61:                               ;   in Loop: Header=BB239_13 Depth=1
	s_or_saveexec_b64 s[42:43], s[42:43]
	v_mov_b32_e32 v38, s55
	s_xor_b64 exec, exec, s[42:43]
	s_cbranch_execnz .LBB239_161
.LBB239_62:                             ;   in Loop: Header=BB239_13 Depth=1
	s_or_b64 exec, exec, s[42:43]
	s_and_saveexec_b64 s[42:43], s[40:41]
	s_cbranch_execz .LBB239_64
.LBB239_63:                             ;   in Loop: Header=BB239_13 Depth=1
	v_and_b32_e32 v40, 7, v2
	v_ffbh_u32_e32 v38, v40
	v_min_u32_e32 v42, 32, v38
	v_subrev_u32_e32 v38, 28, v42
	v_bfe_u32 v41, v2, 3, 4
	v_lshlrev_b64 v[38:39], v38, v[2:3]
	v_sub_u32_e32 v39, 29, v42
	v_cmp_eq_u32_e64 s[0:1], 0, v41
	v_and_b32_e32 v38, 7, v38
	v_lshlrev_b32_e32 v2, 8, v2
	v_cndmask_b32_e64 v39, v41, v39, s[0:1]
	v_lshl_add_u32 v39, v39, 10, v23
	v_cndmask_b32_e64 v38, v40, v38, s[0:1]
	v_and_or_b32 v2, v2, s54, v39
	v_lshl_or_b32 v2, v38, 7, v2
	v_cvt_f32_f16_e32 v38, v2
.LBB239_64:                             ;   in Loop: Header=BB239_13 Depth=1
	s_or_b64 exec, exec, s[42:43]
	global_load_ushort v2, v[10:11], off offset:768
	s_mov_b64 s[0:1], 0
                                        ; implicit-def: $sgpr44
	s_waitcnt vmcnt(0)
	v_cmp_gt_i16_sdwa s[40:41], v2, s52 src0_sel:BYTE_0 src1_sel:DWORD
	s_and_saveexec_b64 s[42:43], s[40:41]
	s_xor_b64 s[40:41], exec, s[42:43]
	s_cbranch_execnz .LBB239_162
; %bb.65:                               ;   in Loop: Header=BB239_13 Depth=1
	s_or_saveexec_b64 s[40:41], s[40:41]
	v_mov_b32_e32 v39, s44
	s_xor_b64 exec, exec, s[40:41]
	s_cbranch_execnz .LBB239_165
.LBB239_66:                             ;   in Loop: Header=BB239_13 Depth=1
	s_or_b64 exec, exec, s[40:41]
	v_and_b32_e32 v2, 0xffff, v2
	s_and_saveexec_b64 s[40:41], s[0:1]
	s_cbranch_execz .LBB239_68
.LBB239_67:                             ;   in Loop: Header=BB239_13 Depth=1
	v_and_b32_e32 v39, 7, v2
	v_ffbh_u32_e32 v40, v39
	v_min_u32_e32 v43, 32, v40
	v_subrev_u32_e32 v40, 28, v43
	v_bfe_u32 v42, v2, 3, 4
	v_lshlrev_b64 v[40:41], v40, v[2:3]
	v_sub_u32_e32 v41, 29, v43
	v_cmp_eq_u32_e64 s[0:1], 0, v42
	v_and_b32_e32 v40, 7, v40
	s_nop 0
	v_cndmask_b32_e64 v41, v42, v41, s[0:1]
	v_cndmask_b32_e64 v39, v39, v40, s[0:1]
	v_lshlrev_b32_e32 v40, 8, v2
	v_lshl_add_u32 v41, v41, 10, v23
	v_and_or_b32 v40, v40, s54, v41
	v_lshl_or_b32 v39, v39, 7, v40
	v_cvt_f32_f16_e32 v39, v39
.LBB239_68:                             ;   in Loop: Header=BB239_13 Depth=1
	s_or_b64 exec, exec, s[40:41]
	v_lshrrev_b16_e32 v2, 8, v2
	v_cmp_lt_i16_e64 s[0:1], s52, v2
	s_mov_b64 s[40:41], 0
                                        ; implicit-def: $sgpr55
	s_and_saveexec_b64 s[42:43], s[0:1]
	s_xor_b64 s[42:43], exec, s[42:43]
	s_cbranch_execnz .LBB239_166
; %bb.69:                               ;   in Loop: Header=BB239_13 Depth=1
	s_or_saveexec_b64 s[42:43], s[42:43]
	v_mov_b32_e32 v40, s55
	s_xor_b64 exec, exec, s[42:43]
	s_cbranch_execnz .LBB239_169
.LBB239_70:                             ;   in Loop: Header=BB239_13 Depth=1
	s_or_b64 exec, exec, s[42:43]
	s_and_saveexec_b64 s[42:43], s[40:41]
	s_cbranch_execz .LBB239_72
.LBB239_71:                             ;   in Loop: Header=BB239_13 Depth=1
	v_and_b32_e32 v42, 7, v2
	v_ffbh_u32_e32 v40, v42
	v_min_u32_e32 v44, 32, v40
	v_subrev_u32_e32 v40, 28, v44
	v_bfe_u32 v43, v2, 3, 4
	v_lshlrev_b64 v[40:41], v40, v[2:3]
	v_sub_u32_e32 v41, 29, v44
	v_cmp_eq_u32_e64 s[0:1], 0, v43
	v_and_b32_e32 v40, 7, v40
	v_lshlrev_b32_e32 v2, 8, v2
	v_cndmask_b32_e64 v41, v43, v41, s[0:1]
	v_lshl_add_u32 v41, v41, 10, v23
	v_cndmask_b32_e64 v40, v42, v40, s[0:1]
	v_and_or_b32 v2, v2, s54, v41
	v_lshl_or_b32 v2, v40, 7, v2
	v_cvt_f32_f16_e32 v40, v2
.LBB239_72:                             ;   in Loop: Header=BB239_13 Depth=1
	s_or_b64 exec, exec, s[42:43]
	global_load_ushort v2, v[10:11], off offset:776
	s_mov_b64 s[0:1], 0
                                        ; implicit-def: $sgpr44
	s_waitcnt vmcnt(0)
	v_cmp_gt_i16_sdwa s[40:41], v2, s52 src0_sel:BYTE_0 src1_sel:DWORD
	s_and_saveexec_b64 s[42:43], s[40:41]
	s_xor_b64 s[40:41], exec, s[42:43]
	s_cbranch_execnz .LBB239_170
; %bb.73:                               ;   in Loop: Header=BB239_13 Depth=1
	s_or_saveexec_b64 s[40:41], s[40:41]
	v_mov_b32_e32 v41, s44
	s_xor_b64 exec, exec, s[40:41]
	s_cbranch_execnz .LBB239_173
.LBB239_74:                             ;   in Loop: Header=BB239_13 Depth=1
	s_or_b64 exec, exec, s[40:41]
	v_and_b32_e32 v2, 0xffff, v2
	s_and_saveexec_b64 s[40:41], s[0:1]
	s_cbranch_execz .LBB239_76
.LBB239_75:                             ;   in Loop: Header=BB239_13 Depth=1
	v_and_b32_e32 v41, 7, v2
	v_ffbh_u32_e32 v42, v41
	v_min_u32_e32 v45, 32, v42
	v_subrev_u32_e32 v42, 28, v45
	v_bfe_u32 v44, v2, 3, 4
	v_lshlrev_b64 v[42:43], v42, v[2:3]
	v_sub_u32_e32 v43, 29, v45
	v_cmp_eq_u32_e64 s[0:1], 0, v44
	v_and_b32_e32 v42, 7, v42
	s_nop 0
	v_cndmask_b32_e64 v43, v44, v43, s[0:1]
	v_cndmask_b32_e64 v41, v41, v42, s[0:1]
	v_lshlrev_b32_e32 v42, 8, v2
	v_lshl_add_u32 v43, v43, 10, v23
	v_and_or_b32 v42, v42, s54, v43
	v_lshl_or_b32 v41, v41, 7, v42
	v_cvt_f32_f16_e32 v41, v41
.LBB239_76:                             ;   in Loop: Header=BB239_13 Depth=1
	s_or_b64 exec, exec, s[40:41]
	v_lshrrev_b16_e32 v2, 8, v2
	v_cmp_lt_i16_e64 s[0:1], s52, v2
	s_mov_b64 s[40:41], 0
                                        ; implicit-def: $sgpr55
	s_and_saveexec_b64 s[42:43], s[0:1]
	s_xor_b64 s[42:43], exec, s[42:43]
	s_cbranch_execnz .LBB239_174
; %bb.77:                               ;   in Loop: Header=BB239_13 Depth=1
	s_or_saveexec_b64 s[42:43], s[42:43]
	v_mov_b32_e32 v42, s55
	s_xor_b64 exec, exec, s[42:43]
	s_cbranch_execnz .LBB239_177
.LBB239_78:                             ;   in Loop: Header=BB239_13 Depth=1
	s_or_b64 exec, exec, s[42:43]
	s_and_saveexec_b64 s[42:43], s[40:41]
	s_cbranch_execz .LBB239_80
.LBB239_79:                             ;   in Loop: Header=BB239_13 Depth=1
	v_and_b32_e32 v44, 7, v2
	v_ffbh_u32_e32 v42, v44
	v_min_u32_e32 v46, 32, v42
	v_subrev_u32_e32 v42, 28, v46
	v_bfe_u32 v45, v2, 3, 4
	v_lshlrev_b64 v[42:43], v42, v[2:3]
	v_sub_u32_e32 v43, 29, v46
	v_cmp_eq_u32_e64 s[0:1], 0, v45
	v_and_b32_e32 v42, 7, v42
	v_lshlrev_b32_e32 v2, 8, v2
	v_cndmask_b32_e64 v43, v45, v43, s[0:1]
	v_lshl_add_u32 v43, v43, 10, v23
	v_cndmask_b32_e64 v42, v44, v42, s[0:1]
	v_and_or_b32 v2, v2, s54, v43
	v_lshl_or_b32 v2, v42, 7, v2
	v_cvt_f32_f16_e32 v42, v2
.LBB239_80:                             ;   in Loop: Header=BB239_13 Depth=1
	s_or_b64 exec, exec, s[42:43]
	global_load_ushort v2, v[10:11], off offset:1024
	s_mov_b64 s[0:1], 0
                                        ; implicit-def: $sgpr44
	s_waitcnt vmcnt(0)
	v_cmp_gt_i16_sdwa s[40:41], v2, s52 src0_sel:BYTE_0 src1_sel:DWORD
	s_and_saveexec_b64 s[42:43], s[40:41]
	s_xor_b64 s[40:41], exec, s[42:43]
	s_cbranch_execnz .LBB239_178
; %bb.81:                               ;   in Loop: Header=BB239_13 Depth=1
	s_or_saveexec_b64 s[40:41], s[40:41]
	v_mov_b32_e32 v43, s44
	s_xor_b64 exec, exec, s[40:41]
	s_cbranch_execnz .LBB239_181
.LBB239_82:                             ;   in Loop: Header=BB239_13 Depth=1
	s_or_b64 exec, exec, s[40:41]
	v_and_b32_e32 v2, 0xffff, v2
	s_and_saveexec_b64 s[40:41], s[0:1]
	s_cbranch_execz .LBB239_84
.LBB239_83:                             ;   in Loop: Header=BB239_13 Depth=1
	v_and_b32_e32 v43, 7, v2
	v_ffbh_u32_e32 v44, v43
	v_min_u32_e32 v47, 32, v44
	v_subrev_u32_e32 v44, 28, v47
	v_bfe_u32 v46, v2, 3, 4
	v_lshlrev_b64 v[44:45], v44, v[2:3]
	v_sub_u32_e32 v45, 29, v47
	v_cmp_eq_u32_e64 s[0:1], 0, v46
	v_and_b32_e32 v44, 7, v44
	s_nop 0
	v_cndmask_b32_e64 v45, v46, v45, s[0:1]
	v_cndmask_b32_e64 v43, v43, v44, s[0:1]
	v_lshlrev_b32_e32 v44, 8, v2
	v_lshl_add_u32 v45, v45, 10, v23
	v_and_or_b32 v44, v44, s54, v45
	v_lshl_or_b32 v43, v43, 7, v44
	v_cvt_f32_f16_e32 v43, v43
.LBB239_84:                             ;   in Loop: Header=BB239_13 Depth=1
	s_or_b64 exec, exec, s[40:41]
	v_lshrrev_b16_e32 v2, 8, v2
	v_cmp_lt_i16_e64 s[0:1], s52, v2
	s_mov_b64 s[40:41], 0
                                        ; implicit-def: $sgpr55
	s_and_saveexec_b64 s[42:43], s[0:1]
	s_xor_b64 s[42:43], exec, s[42:43]
	s_cbranch_execnz .LBB239_182
; %bb.85:                               ;   in Loop: Header=BB239_13 Depth=1
	s_or_saveexec_b64 s[42:43], s[42:43]
	v_mov_b32_e32 v44, s55
	s_xor_b64 exec, exec, s[42:43]
	s_cbranch_execnz .LBB239_185
.LBB239_86:                             ;   in Loop: Header=BB239_13 Depth=1
	s_or_b64 exec, exec, s[42:43]
	s_and_saveexec_b64 s[42:43], s[40:41]
	s_cbranch_execz .LBB239_88
.LBB239_87:                             ;   in Loop: Header=BB239_13 Depth=1
	v_and_b32_e32 v46, 7, v2
	v_ffbh_u32_e32 v44, v46
	v_min_u32_e32 v48, 32, v44
	v_subrev_u32_e32 v44, 28, v48
	v_bfe_u32 v47, v2, 3, 4
	v_lshlrev_b64 v[44:45], v44, v[2:3]
	v_sub_u32_e32 v45, 29, v48
	v_cmp_eq_u32_e64 s[0:1], 0, v47
	v_and_b32_e32 v44, 7, v44
	v_lshlrev_b32_e32 v2, 8, v2
	v_cndmask_b32_e64 v45, v47, v45, s[0:1]
	v_lshl_add_u32 v45, v45, 10, v23
	v_cndmask_b32_e64 v44, v46, v44, s[0:1]
	v_and_or_b32 v2, v2, s54, v45
	v_lshl_or_b32 v2, v44, 7, v2
	v_cvt_f32_f16_e32 v44, v2
.LBB239_88:                             ;   in Loop: Header=BB239_13 Depth=1
	s_or_b64 exec, exec, s[42:43]
	global_load_ushort v2, v[10:11], off offset:1032
	s_mov_b64 s[0:1], 0
                                        ; implicit-def: $sgpr44
	s_waitcnt vmcnt(0)
	v_cmp_gt_i16_sdwa s[40:41], v2, s52 src0_sel:BYTE_0 src1_sel:DWORD
	s_and_saveexec_b64 s[42:43], s[40:41]
	s_xor_b64 s[40:41], exec, s[42:43]
	s_cbranch_execnz .LBB239_186
; %bb.89:                               ;   in Loop: Header=BB239_13 Depth=1
	s_or_saveexec_b64 s[40:41], s[40:41]
	v_mov_b32_e32 v45, s44
	s_xor_b64 exec, exec, s[40:41]
	s_cbranch_execnz .LBB239_189
.LBB239_90:                             ;   in Loop: Header=BB239_13 Depth=1
	s_or_b64 exec, exec, s[40:41]
	v_and_b32_e32 v2, 0xffff, v2
	s_and_saveexec_b64 s[40:41], s[0:1]
	s_cbranch_execz .LBB239_92
.LBB239_91:                             ;   in Loop: Header=BB239_13 Depth=1
	v_and_b32_e32 v45, 7, v2
	v_ffbh_u32_e32 v46, v45
	v_min_u32_e32 v49, 32, v46
	v_subrev_u32_e32 v46, 28, v49
	v_bfe_u32 v48, v2, 3, 4
	v_lshlrev_b64 v[46:47], v46, v[2:3]
	v_sub_u32_e32 v47, 29, v49
	v_cmp_eq_u32_e64 s[0:1], 0, v48
	v_and_b32_e32 v46, 7, v46
	s_nop 0
	v_cndmask_b32_e64 v47, v48, v47, s[0:1]
	v_cndmask_b32_e64 v45, v45, v46, s[0:1]
	v_lshlrev_b32_e32 v46, 8, v2
	v_lshl_add_u32 v47, v47, 10, v23
	v_and_or_b32 v46, v46, s54, v47
	v_lshl_or_b32 v45, v45, 7, v46
	v_cvt_f32_f16_e32 v45, v45
.LBB239_92:                             ;   in Loop: Header=BB239_13 Depth=1
	s_or_b64 exec, exec, s[40:41]
	v_lshrrev_b16_e32 v2, 8, v2
	v_cmp_lt_i16_e64 s[0:1], s52, v2
	s_mov_b64 s[40:41], 0
                                        ; implicit-def: $sgpr55
	s_and_saveexec_b64 s[42:43], s[0:1]
	s_xor_b64 s[42:43], exec, s[42:43]
	s_cbranch_execnz .LBB239_190
; %bb.93:                               ;   in Loop: Header=BB239_13 Depth=1
	s_or_saveexec_b64 s[42:43], s[42:43]
	v_mov_b32_e32 v46, s55
	s_xor_b64 exec, exec, s[42:43]
	s_cbranch_execnz .LBB239_193
.LBB239_94:                             ;   in Loop: Header=BB239_13 Depth=1
	s_or_b64 exec, exec, s[42:43]
	s_and_saveexec_b64 s[42:43], s[40:41]
	s_cbranch_execz .LBB239_96
.LBB239_95:                             ;   in Loop: Header=BB239_13 Depth=1
	v_and_b32_e32 v48, 7, v2
	v_ffbh_u32_e32 v46, v48
	v_min_u32_e32 v50, 32, v46
	v_subrev_u32_e32 v46, 28, v50
	v_bfe_u32 v49, v2, 3, 4
	v_lshlrev_b64 v[46:47], v46, v[2:3]
	v_sub_u32_e32 v47, 29, v50
	v_cmp_eq_u32_e64 s[0:1], 0, v49
	v_and_b32_e32 v46, 7, v46
	v_lshlrev_b32_e32 v2, 8, v2
	v_cndmask_b32_e64 v47, v49, v47, s[0:1]
	v_lshl_add_u32 v47, v47, 10, v23
	v_cndmask_b32_e64 v46, v48, v46, s[0:1]
	v_and_or_b32 v2, v2, s54, v47
	v_lshl_or_b32 v2, v46, 7, v2
	v_cvt_f32_f16_e32 v46, v2
.LBB239_96:                             ;   in Loop: Header=BB239_13 Depth=1
	s_or_b64 exec, exec, s[42:43]
	global_load_ushort v2, v[10:11], off offset:1280
	s_mov_b64 s[0:1], 0
                                        ; implicit-def: $sgpr44
	s_waitcnt vmcnt(0)
	v_cmp_gt_i16_sdwa s[40:41], v2, s52 src0_sel:BYTE_0 src1_sel:DWORD
	s_and_saveexec_b64 s[42:43], s[40:41]
	s_xor_b64 s[40:41], exec, s[42:43]
	s_cbranch_execnz .LBB239_194
; %bb.97:                               ;   in Loop: Header=BB239_13 Depth=1
	s_or_saveexec_b64 s[40:41], s[40:41]
	v_mov_b32_e32 v47, s44
	s_xor_b64 exec, exec, s[40:41]
	s_cbranch_execnz .LBB239_197
.LBB239_98:                             ;   in Loop: Header=BB239_13 Depth=1
	s_or_b64 exec, exec, s[40:41]
	v_and_b32_e32 v2, 0xffff, v2
	s_and_saveexec_b64 s[40:41], s[0:1]
	s_cbranch_execz .LBB239_100
.LBB239_99:                             ;   in Loop: Header=BB239_13 Depth=1
	v_and_b32_e32 v47, 7, v2
	v_ffbh_u32_e32 v48, v47
	v_min_u32_e32 v51, 32, v48
	v_subrev_u32_e32 v48, 28, v51
	v_bfe_u32 v50, v2, 3, 4
	v_lshlrev_b64 v[48:49], v48, v[2:3]
	v_sub_u32_e32 v49, 29, v51
	v_cmp_eq_u32_e64 s[0:1], 0, v50
	v_and_b32_e32 v48, 7, v48
	s_nop 0
	v_cndmask_b32_e64 v49, v50, v49, s[0:1]
	v_cndmask_b32_e64 v47, v47, v48, s[0:1]
	v_lshlrev_b32_e32 v48, 8, v2
	v_lshl_add_u32 v49, v49, 10, v23
	v_and_or_b32 v48, v48, s54, v49
	v_lshl_or_b32 v47, v47, 7, v48
	v_cvt_f32_f16_e32 v47, v47
.LBB239_100:                            ;   in Loop: Header=BB239_13 Depth=1
	s_or_b64 exec, exec, s[40:41]
	v_lshrrev_b16_e32 v2, 8, v2
	v_cmp_lt_i16_e64 s[0:1], s52, v2
	s_mov_b64 s[40:41], 0
                                        ; implicit-def: $sgpr55
	s_and_saveexec_b64 s[42:43], s[0:1]
	s_xor_b64 s[42:43], exec, s[42:43]
	s_cbranch_execnz .LBB239_198
; %bb.101:                              ;   in Loop: Header=BB239_13 Depth=1
	s_or_saveexec_b64 s[42:43], s[42:43]
	v_mov_b32_e32 v48, s55
	s_xor_b64 exec, exec, s[42:43]
	s_cbranch_execnz .LBB239_201
.LBB239_102:                            ;   in Loop: Header=BB239_13 Depth=1
	s_or_b64 exec, exec, s[42:43]
	s_and_saveexec_b64 s[42:43], s[40:41]
	s_cbranch_execz .LBB239_104
.LBB239_103:                            ;   in Loop: Header=BB239_13 Depth=1
	v_and_b32_e32 v50, 7, v2
	v_ffbh_u32_e32 v48, v50
	v_min_u32_e32 v52, 32, v48
	v_subrev_u32_e32 v48, 28, v52
	v_bfe_u32 v51, v2, 3, 4
	v_lshlrev_b64 v[48:49], v48, v[2:3]
	v_sub_u32_e32 v49, 29, v52
	v_cmp_eq_u32_e64 s[0:1], 0, v51
	v_and_b32_e32 v48, 7, v48
	v_lshlrev_b32_e32 v2, 8, v2
	v_cndmask_b32_e64 v49, v51, v49, s[0:1]
	v_lshl_add_u32 v49, v49, 10, v23
	v_cndmask_b32_e64 v48, v50, v48, s[0:1]
	v_and_or_b32 v2, v2, s54, v49
	v_lshl_or_b32 v2, v48, 7, v2
	v_cvt_f32_f16_e32 v48, v2
.LBB239_104:                            ;   in Loop: Header=BB239_13 Depth=1
	s_or_b64 exec, exec, s[42:43]
	global_load_ushort v2, v[10:11], off offset:1288
	s_mov_b64 s[0:1], 0
                                        ; implicit-def: $sgpr44
	s_waitcnt vmcnt(0)
	v_cmp_gt_i16_sdwa s[40:41], v2, s52 src0_sel:BYTE_0 src1_sel:DWORD
	s_and_saveexec_b64 s[42:43], s[40:41]
	s_xor_b64 s[40:41], exec, s[42:43]
	s_cbranch_execnz .LBB239_202
; %bb.105:                              ;   in Loop: Header=BB239_13 Depth=1
	s_or_saveexec_b64 s[40:41], s[40:41]
	v_mov_b32_e32 v10, s44
	s_xor_b64 exec, exec, s[40:41]
	s_cbranch_execnz .LBB239_205
.LBB239_106:                            ;   in Loop: Header=BB239_13 Depth=1
	s_or_b64 exec, exec, s[40:41]
	v_and_b32_e32 v2, 0xffff, v2
	s_and_saveexec_b64 s[40:41], s[0:1]
	s_cbranch_execz .LBB239_108
.LBB239_107:                            ;   in Loop: Header=BB239_13 Depth=1
	v_and_b32_e32 v49, 7, v2
	v_ffbh_u32_e32 v10, v49
	v_min_u32_e32 v51, 32, v10
	v_subrev_u32_e32 v10, 28, v51
	v_bfe_u32 v50, v2, 3, 4
	v_lshlrev_b64 v[10:11], v10, v[2:3]
	v_sub_u32_e32 v11, 29, v51
	v_cmp_eq_u32_e64 s[0:1], 0, v50
	v_and_b32_e32 v10, 7, v10
	s_nop 0
	v_cndmask_b32_e64 v11, v50, v11, s[0:1]
	v_cndmask_b32_e64 v10, v49, v10, s[0:1]
	v_lshlrev_b32_e32 v49, 8, v2
	v_lshl_add_u32 v11, v11, 10, v23
	v_and_or_b32 v11, v49, s54, v11
	v_lshl_or_b32 v10, v10, 7, v11
	v_cvt_f32_f16_e32 v10, v10
.LBB239_108:                            ;   in Loop: Header=BB239_13 Depth=1
	s_or_b64 exec, exec, s[40:41]
	v_lshrrev_b16_e32 v2, 8, v2
	v_cmp_lt_i16_e64 s[0:1], s52, v2
	s_mov_b64 s[40:41], 0
                                        ; implicit-def: $sgpr55
	s_and_saveexec_b64 s[42:43], s[0:1]
	s_xor_b64 s[42:43], exec, s[42:43]
	s_cbranch_execnz .LBB239_206
; %bb.109:                              ;   in Loop: Header=BB239_13 Depth=1
	s_or_saveexec_b64 s[42:43], s[42:43]
	v_mov_b32_e32 v11, s55
	s_xor_b64 exec, exec, s[42:43]
	s_cbranch_execnz .LBB239_209
.LBB239_110:                            ;   in Loop: Header=BB239_13 Depth=1
	s_or_b64 exec, exec, s[42:43]
	s_and_saveexec_b64 s[42:43], s[40:41]
	s_cbranch_execz .LBB239_112
.LBB239_111:                            ;   in Loop: Header=BB239_13 Depth=1
	v_and_b32_e32 v11, 7, v2
	v_ffbh_u32_e32 v50, v11
	v_min_u32_e32 v52, 32, v50
	v_subrev_u32_e32 v50, 28, v52
	v_bfe_u32 v49, v2, 3, 4
	v_lshlrev_b64 v[50:51], v50, v[2:3]
	v_sub_u32_e32 v51, 29, v52
	v_cmp_eq_u32_e64 s[0:1], 0, v49
	v_and_b32_e32 v50, 7, v50
	v_lshlrev_b32_e32 v2, 8, v2
	v_cndmask_b32_e64 v49, v49, v51, s[0:1]
	v_lshl_add_u32 v49, v49, 10, v23
	v_cndmask_b32_e64 v11, v11, v50, s[0:1]
	v_and_or_b32 v2, v2, s54, v49
	v_lshl_or_b32 v2, v11, 7, v2
	v_cvt_f32_f16_e32 v11, v2
.LBB239_112:                            ;   in Loop: Header=BB239_13 Depth=1
	s_or_b64 exec, exec, s[42:43]
	ds_read_b32 v2, v16
	v_fma_mixlo_f16 v27, v26, v27, 0
	v_fma_mixlo_f16 v28, v26, v28, 0
	v_and_b32_e32 v27, 0xffff, v27
	v_and_b32_e32 v28, 0xffff, v28
	s_waitcnt lgkmcnt(0)
	v_lshrrev_b32_e32 v49, 16, v2
	v_and_b32_e32 v2, 0xffff, v2
	;;#ASMSTART
	v_cvt_f32_f16 v2, v2;
	;;#ASMEND
	;;#ASMSTART
	v_cvt_f32_f16 v49, v49;
	;;#ASMEND
	;;#ASMSTART
	v_cvt_f32_f16 v27, v27;
	;;#ASMEND
	;;#ASMSTART
	v_cvt_f32_f16 v28, v28;
	;;#ASMEND
	ds_read_b32 v50, v16 offset:4
	v_fma_mixlo_f16 v29, v26, v29, 0
	v_fma_mixlo_f16 v30, v26, v30, 0
	v_and_b32_e32 v29, 0xffff, v29
	v_and_b32_e32 v30, 0xffff, v30
	s_waitcnt lgkmcnt(0)
	v_lshrrev_b32_e32 v51, 16, v50
	v_and_b32_e32 v50, 0xffff, v50
	;;#ASMSTART
	v_cvt_f32_f16 v50, v50;
	;;#ASMEND
	;;#ASMSTART
	v_cvt_f32_f16 v51, v51;
	;;#ASMEND
	;;#ASMSTART
	v_cvt_f32_f16 v29, v29;
	;;#ASMEND
	;;#ASMSTART
	v_cvt_f32_f16 v30, v30;
	;;#ASMEND
	ds_read_b32 v52, v16 offset:8
	;; [unrolled: 20-line block ×6, first 2 shown]
	v_fma_mixlo_f16 v47, v26, v47, 0
	v_fma_mixlo_f16 v48, v26, v48, 0
	;; [unrolled: 1-line block ×12, first 2 shown]
	v_mul_f32_e32 v26, v50, v29
	v_fmac_f32_e32 v26, v2, v27
	s_waitcnt lgkmcnt(0)
	v_lshrrev_b32_e32 v2, 16, v60
	v_and_b32_e32 v27, 0xffff, v60
	v_and_b32_e32 v29, 0xffff, v39
	;; [unrolled: 1-line block ×3, first 2 shown]
	;;#ASMSTART
	v_cvt_f32_f16 v27, v27;
	;;#ASMEND
	;;#ASMSTART
	v_cvt_f32_f16 v2, v2;
	;;#ASMEND
	;; [unrolled: 3-line block ×4, first 2 shown]
	ds_read_b32 v40, v16 offset:28
	v_mul_f32_e32 v30, v51, v30
	v_fmac_f32_e32 v30, v49, v28
	v_fmac_f32_e32 v26, v52, v31
	v_fmac_f32_e32 v30, v53, v32
	s_waitcnt lgkmcnt(0)
	v_lshrrev_b32_e32 v28, 16, v40
	v_and_b32_e32 v31, 0xffff, v40
	v_and_b32_e32 v32, 0xffff, v41
	v_and_b32_e32 v40, 0xffff, v42
	;;#ASMSTART
	v_cvt_f32_f16 v31, v31;
	;;#ASMEND
	;;#ASMSTART
	v_cvt_f32_f16 v28, v28;
	;;#ASMEND
	;;#ASMSTART
	v_cvt_f32_f16 v32, v32;
	;;#ASMEND
	;;#ASMSTART
	v_cvt_f32_f16 v40, v40;
	;;#ASMEND
	ds_read_b32 v41, v16 offset:32
	v_fmac_f32_e32 v26, v54, v33
	v_fmac_f32_e32 v30, v55, v34
	v_fmac_f32_e32 v26, v56, v35
	v_fmac_f32_e32 v30, v57, v36
	s_waitcnt lgkmcnt(0)
	v_lshrrev_b32_e32 v33, 16, v41
	v_and_b32_e32 v34, 0xffff, v41
	v_and_b32_e32 v35, 0xffff, v43
	v_and_b32_e32 v36, 0xffff, v44
	;;#ASMSTART
	v_cvt_f32_f16 v34, v34;
	;;#ASMEND
	;;#ASMSTART
	v_cvt_f32_f16 v33, v33;
	;;#ASMEND
	;;#ASMSTART
	v_cvt_f32_f16 v35, v35;
	;;#ASMEND
	;;#ASMSTART
	v_cvt_f32_f16 v36, v36;
	;;#ASMEND
	ds_read_b32 v41, v16 offset:36
	v_fmac_f32_e32 v26, v58, v37
	;; [unrolled: 22-line block ×3, first 2 shown]
	v_fmac_f32_e32 v26, v31, v32
	v_fmac_f32_e32 v30, v33, v36
	v_and_b32_e32 v32, 0xffff, v47
	s_waitcnt lgkmcnt(0)
	v_lshrrev_b32_e32 v28, 16, v38
	v_and_b32_e32 v31, 0xffff, v38
	v_and_b32_e32 v33, 0xffff, v48
	v_fmac_f32_e32 v26, v34, v35
	;;#ASMSTART
	v_cvt_f32_f16 v31, v31;
	;;#ASMEND
	;;#ASMSTART
	v_cvt_f32_f16 v28, v28;
	;;#ASMEND
	;; [unrolled: 3-line block ×4, first 2 shown]
	ds_read_b32 v34, v16 offset:44
	v_fmac_f32_e32 v26, v27, v29
	v_fmac_f32_e32 v30, v2, v37
	v_and_b32_e32 v10, 0xffff, v10
	v_fmac_f32_e32 v26, v31, v32
	s_waitcnt lgkmcnt(0)
	v_lshrrev_b32_e32 v2, 16, v34
	v_and_b32_e32 v27, 0xffff, v34
	;;#ASMSTART
	v_cvt_f32_f16 v27, v27;
	;;#ASMEND
	;;#ASMSTART
	v_cvt_f32_f16 v2, v2;
	;;#ASMEND
	;; [unrolled: 3-line block ×3, first 2 shown]
	v_and_b32_e32 v11, 0xffff, v11
	v_fmac_f32_e32 v30, v28, v33
	;;#ASMSTART
	v_cvt_f32_f16 v11, v11;
	;;#ASMEND
	v_fmac_f32_e32 v26, v27, v10
	v_and_b32_e32 v10, 64, v24
	v_fmac_f32_e32 v30, v2, v11
	v_add_u32_e32 v10, 64, v10
	v_xor_b32_e32 v11, 2, v24
	v_cmp_lt_i32_e64 s[0:1], v11, v10
	v_add_f32_e32 v2, v26, v30
	s_nop 0
	v_cndmask_b32_e64 v11, v24, v11, s[0:1]
	v_lshlrev_b32_e32 v11, 2, v11
	ds_bpermute_b32 v11, v11, v2
	s_waitcnt lgkmcnt(0)
	v_add_f32_e32 v2, v2, v11
	v_xor_b32_e32 v11, 1, v24
	v_cmp_lt_i32_e64 s[0:1], v11, v10
	s_nop 1
	v_cndmask_b32_e64 v10, v24, v11, s[0:1]
	v_lshlrev_b32_e32 v10, 2, v10
	ds_bpermute_b32 v10, v10, v2
	s_and_saveexec_b64 s[40:41], vcc
	s_cbranch_execz .LBB239_11
; %bb.113:                              ;   in Loop: Header=BB239_13 Depth=1
	v_add_u32_e32 v11, v21, v19
	v_cvt_f32_i32_e32 v11, v11
	s_waitcnt lgkmcnt(0)
	v_add_f32_e32 v2, v2, v10
	v_add_u32_e32 v26, v14, v19
	v_cmp_gt_i32_e64 s[0:1], s33, v26
	v_mul_f32_e32 v10, s48, v11
	v_cndmask_b32_e64 v10, 0, v10, s[2:3]
	v_fmac_f32_e32 v10, s37, v2
	v_cndmask_b32_e64 v2, 0, v10, s[0:1]
	ds_write_b32 v20, v2
	v_max_f32_e32 v2, v17, v17
	v_max_f32_e32 v2, v2, v10
	v_cndmask_b32_e64 v17, v17, v2, s[0:1]
	s_branch .LBB239_11
.LBB239_114:                            ;   in Loop: Header=BB239_13 Depth=1
	v_cmp_eq_u16_sdwa s[56:57], v2, s53 src0_sel:BYTE_0 src1_sel:DWORD
	s_mov_b64 s[0:1], -1
                                        ; implicit-def: $sgpr44
	s_and_saveexec_b64 s[42:43], s[56:57]
; %bb.115:                              ;   in Loop: Header=BB239_13 Depth=1
	s_mov_b32 s44, 0x7fc02000
	s_xor_b64 s[0:1], exec, -1
; %bb.116:                              ;   in Loop: Header=BB239_13 Depth=1
	s_or_b64 exec, exec, s[42:43]
	s_and_b64 s[0:1], s[0:1], exec
	s_or_saveexec_b64 s[40:41], s[40:41]
	v_mov_b32_e32 v27, s44
	s_xor_b64 exec, exec, s[40:41]
	s_cbranch_execz .LBB239_18
.LBB239_117:                            ;   in Loop: Header=BB239_13 Depth=1
	v_cmp_ne_u16_sdwa s[42:43], v2, v3 src0_sel:BYTE_0 src1_sel:DWORD
	s_andn2_b64 s[0:1], s[0:1], exec
	s_and_b64 s[42:43], s[42:43], exec
	v_mov_b32_e32 v27, 0
	s_or_b64 s[0:1], s[0:1], s[42:43]
	s_or_b64 exec, exec, s[40:41]
	v_and_b32_e32 v2, 0xffff, v2
	s_and_saveexec_b64 s[40:41], s[0:1]
	s_cbranch_execnz .LBB239_19
	s_branch .LBB239_20
.LBB239_118:                            ;   in Loop: Header=BB239_13 Depth=1
	v_cmp_eq_u16_e64 s[0:1], s53, v2
	s_mov_b64 s[40:41], -1
                                        ; implicit-def: $sgpr55
	s_and_saveexec_b64 s[44:45], s[0:1]
; %bb.119:                              ;   in Loop: Header=BB239_13 Depth=1
	s_mov_b32 s55, 0x7fc02000
	s_xor_b64 s[40:41], exec, -1
; %bb.120:                              ;   in Loop: Header=BB239_13 Depth=1
	s_or_b64 exec, exec, s[44:45]
	s_and_b64 s[40:41], s[40:41], exec
	s_or_saveexec_b64 s[42:43], s[42:43]
	v_mov_b32_e32 v28, s55
	s_xor_b64 exec, exec, s[42:43]
	s_cbranch_execz .LBB239_22
.LBB239_121:                            ;   in Loop: Header=BB239_13 Depth=1
	v_cmp_ne_u16_e64 s[0:1], 0, v2
	s_andn2_b64 s[40:41], s[40:41], exec
	s_and_b64 s[0:1], s[0:1], exec
	v_mov_b32_e32 v28, 0
	s_or_b64 s[40:41], s[40:41], s[0:1]
	s_or_b64 exec, exec, s[42:43]
	s_and_saveexec_b64 s[42:43], s[40:41]
	s_cbranch_execnz .LBB239_23
	s_branch .LBB239_24
.LBB239_122:                            ;   in Loop: Header=BB239_13 Depth=1
	v_cmp_eq_u16_sdwa s[56:57], v2, s53 src0_sel:BYTE_0 src1_sel:DWORD
	s_mov_b64 s[0:1], -1
                                        ; implicit-def: $sgpr44
	s_and_saveexec_b64 s[42:43], s[56:57]
; %bb.123:                              ;   in Loop: Header=BB239_13 Depth=1
	s_mov_b32 s44, 0x7fc02000
	s_xor_b64 s[0:1], exec, -1
; %bb.124:                              ;   in Loop: Header=BB239_13 Depth=1
	s_or_b64 exec, exec, s[42:43]
	s_and_b64 s[0:1], s[0:1], exec
	s_or_saveexec_b64 s[40:41], s[40:41]
	v_mov_b32_e32 v29, s44
	s_xor_b64 exec, exec, s[40:41]
	s_cbranch_execz .LBB239_26
.LBB239_125:                            ;   in Loop: Header=BB239_13 Depth=1
	v_cmp_ne_u16_sdwa s[42:43], v2, v3 src0_sel:BYTE_0 src1_sel:DWORD
	s_andn2_b64 s[0:1], s[0:1], exec
	s_and_b64 s[42:43], s[42:43], exec
	v_mov_b32_e32 v29, 0
	s_or_b64 s[0:1], s[0:1], s[42:43]
	s_or_b64 exec, exec, s[40:41]
	v_and_b32_e32 v2, 0xffff, v2
	s_and_saveexec_b64 s[40:41], s[0:1]
	s_cbranch_execnz .LBB239_27
	s_branch .LBB239_28
.LBB239_126:                            ;   in Loop: Header=BB239_13 Depth=1
	v_cmp_eq_u16_e64 s[0:1], s53, v2
	s_mov_b64 s[40:41], -1
                                        ; implicit-def: $sgpr55
	s_and_saveexec_b64 s[44:45], s[0:1]
; %bb.127:                              ;   in Loop: Header=BB239_13 Depth=1
	s_mov_b32 s55, 0x7fc02000
	s_xor_b64 s[40:41], exec, -1
; %bb.128:                              ;   in Loop: Header=BB239_13 Depth=1
	s_or_b64 exec, exec, s[44:45]
	s_and_b64 s[40:41], s[40:41], exec
	s_or_saveexec_b64 s[42:43], s[42:43]
	v_mov_b32_e32 v30, s55
	s_xor_b64 exec, exec, s[42:43]
	s_cbranch_execz .LBB239_30
.LBB239_129:                            ;   in Loop: Header=BB239_13 Depth=1
	v_cmp_ne_u16_e64 s[0:1], 0, v2
	s_andn2_b64 s[40:41], s[40:41], exec
	s_and_b64 s[0:1], s[0:1], exec
	v_mov_b32_e32 v30, 0
	s_or_b64 s[40:41], s[40:41], s[0:1]
	s_or_b64 exec, exec, s[42:43]
	s_and_saveexec_b64 s[42:43], s[40:41]
	s_cbranch_execnz .LBB239_31
	s_branch .LBB239_32
.LBB239_130:                            ;   in Loop: Header=BB239_13 Depth=1
	v_cmp_eq_u16_sdwa s[56:57], v2, s53 src0_sel:BYTE_0 src1_sel:DWORD
	s_mov_b64 s[0:1], -1
                                        ; implicit-def: $sgpr44
	s_and_saveexec_b64 s[42:43], s[56:57]
; %bb.131:                              ;   in Loop: Header=BB239_13 Depth=1
	s_mov_b32 s44, 0x7fc02000
	s_xor_b64 s[0:1], exec, -1
; %bb.132:                              ;   in Loop: Header=BB239_13 Depth=1
	s_or_b64 exec, exec, s[42:43]
	s_and_b64 s[0:1], s[0:1], exec
	s_or_saveexec_b64 s[40:41], s[40:41]
	v_mov_b32_e32 v31, s44
	s_xor_b64 exec, exec, s[40:41]
	s_cbranch_execz .LBB239_34
.LBB239_133:                            ;   in Loop: Header=BB239_13 Depth=1
	v_cmp_ne_u16_sdwa s[42:43], v2, v3 src0_sel:BYTE_0 src1_sel:DWORD
	s_andn2_b64 s[0:1], s[0:1], exec
	s_and_b64 s[42:43], s[42:43], exec
	v_mov_b32_e32 v31, 0
	s_or_b64 s[0:1], s[0:1], s[42:43]
	s_or_b64 exec, exec, s[40:41]
	v_and_b32_e32 v2, 0xffff, v2
	s_and_saveexec_b64 s[40:41], s[0:1]
	s_cbranch_execnz .LBB239_35
	s_branch .LBB239_36
.LBB239_134:                            ;   in Loop: Header=BB239_13 Depth=1
	v_cmp_eq_u16_e64 s[0:1], s53, v2
	s_mov_b64 s[40:41], -1
                                        ; implicit-def: $sgpr55
	s_and_saveexec_b64 s[44:45], s[0:1]
; %bb.135:                              ;   in Loop: Header=BB239_13 Depth=1
	s_mov_b32 s55, 0x7fc02000
	s_xor_b64 s[40:41], exec, -1
; %bb.136:                              ;   in Loop: Header=BB239_13 Depth=1
	s_or_b64 exec, exec, s[44:45]
	s_and_b64 s[40:41], s[40:41], exec
	s_or_saveexec_b64 s[42:43], s[42:43]
	v_mov_b32_e32 v32, s55
	s_xor_b64 exec, exec, s[42:43]
	s_cbranch_execz .LBB239_38
.LBB239_137:                            ;   in Loop: Header=BB239_13 Depth=1
	v_cmp_ne_u16_e64 s[0:1], 0, v2
	s_andn2_b64 s[40:41], s[40:41], exec
	s_and_b64 s[0:1], s[0:1], exec
	v_mov_b32_e32 v32, 0
	s_or_b64 s[40:41], s[40:41], s[0:1]
	s_or_b64 exec, exec, s[42:43]
	s_and_saveexec_b64 s[42:43], s[40:41]
	s_cbranch_execnz .LBB239_39
	s_branch .LBB239_40
.LBB239_138:                            ;   in Loop: Header=BB239_13 Depth=1
	v_cmp_eq_u16_sdwa s[56:57], v2, s53 src0_sel:BYTE_0 src1_sel:DWORD
	s_mov_b64 s[0:1], -1
                                        ; implicit-def: $sgpr44
	s_and_saveexec_b64 s[42:43], s[56:57]
; %bb.139:                              ;   in Loop: Header=BB239_13 Depth=1
	s_mov_b32 s44, 0x7fc02000
	s_xor_b64 s[0:1], exec, -1
; %bb.140:                              ;   in Loop: Header=BB239_13 Depth=1
	s_or_b64 exec, exec, s[42:43]
	s_and_b64 s[0:1], s[0:1], exec
	s_or_saveexec_b64 s[40:41], s[40:41]
	v_mov_b32_e32 v33, s44
	s_xor_b64 exec, exec, s[40:41]
	s_cbranch_execz .LBB239_42
.LBB239_141:                            ;   in Loop: Header=BB239_13 Depth=1
	v_cmp_ne_u16_sdwa s[42:43], v2, v3 src0_sel:BYTE_0 src1_sel:DWORD
	s_andn2_b64 s[0:1], s[0:1], exec
	s_and_b64 s[42:43], s[42:43], exec
	v_mov_b32_e32 v33, 0
	s_or_b64 s[0:1], s[0:1], s[42:43]
	s_or_b64 exec, exec, s[40:41]
	v_and_b32_e32 v2, 0xffff, v2
	s_and_saveexec_b64 s[40:41], s[0:1]
	s_cbranch_execnz .LBB239_43
	s_branch .LBB239_44
.LBB239_142:                            ;   in Loop: Header=BB239_13 Depth=1
	v_cmp_eq_u16_e64 s[0:1], s53, v2
	s_mov_b64 s[40:41], -1
                                        ; implicit-def: $sgpr55
	s_and_saveexec_b64 s[44:45], s[0:1]
; %bb.143:                              ;   in Loop: Header=BB239_13 Depth=1
	s_mov_b32 s55, 0x7fc02000
	s_xor_b64 s[40:41], exec, -1
; %bb.144:                              ;   in Loop: Header=BB239_13 Depth=1
	s_or_b64 exec, exec, s[44:45]
	s_and_b64 s[40:41], s[40:41], exec
	s_or_saveexec_b64 s[42:43], s[42:43]
	v_mov_b32_e32 v34, s55
	s_xor_b64 exec, exec, s[42:43]
	s_cbranch_execz .LBB239_46
.LBB239_145:                            ;   in Loop: Header=BB239_13 Depth=1
	v_cmp_ne_u16_e64 s[0:1], 0, v2
	s_andn2_b64 s[40:41], s[40:41], exec
	s_and_b64 s[0:1], s[0:1], exec
	v_mov_b32_e32 v34, 0
	s_or_b64 s[40:41], s[40:41], s[0:1]
	s_or_b64 exec, exec, s[42:43]
	s_and_saveexec_b64 s[42:43], s[40:41]
	s_cbranch_execnz .LBB239_47
	s_branch .LBB239_48
.LBB239_146:                            ;   in Loop: Header=BB239_13 Depth=1
	v_cmp_eq_u16_sdwa s[56:57], v2, s53 src0_sel:BYTE_0 src1_sel:DWORD
	s_mov_b64 s[0:1], -1
                                        ; implicit-def: $sgpr44
	s_and_saveexec_b64 s[42:43], s[56:57]
; %bb.147:                              ;   in Loop: Header=BB239_13 Depth=1
	s_mov_b32 s44, 0x7fc02000
	s_xor_b64 s[0:1], exec, -1
; %bb.148:                              ;   in Loop: Header=BB239_13 Depth=1
	s_or_b64 exec, exec, s[42:43]
	s_and_b64 s[0:1], s[0:1], exec
	s_or_saveexec_b64 s[40:41], s[40:41]
	v_mov_b32_e32 v35, s44
	s_xor_b64 exec, exec, s[40:41]
	s_cbranch_execz .LBB239_50
.LBB239_149:                            ;   in Loop: Header=BB239_13 Depth=1
	v_cmp_ne_u16_sdwa s[42:43], v2, v3 src0_sel:BYTE_0 src1_sel:DWORD
	s_andn2_b64 s[0:1], s[0:1], exec
	s_and_b64 s[42:43], s[42:43], exec
	v_mov_b32_e32 v35, 0
	s_or_b64 s[0:1], s[0:1], s[42:43]
	s_or_b64 exec, exec, s[40:41]
	v_and_b32_e32 v2, 0xffff, v2
	s_and_saveexec_b64 s[40:41], s[0:1]
	s_cbranch_execnz .LBB239_51
	s_branch .LBB239_52
.LBB239_150:                            ;   in Loop: Header=BB239_13 Depth=1
	v_cmp_eq_u16_e64 s[0:1], s53, v2
	s_mov_b64 s[40:41], -1
                                        ; implicit-def: $sgpr55
	s_and_saveexec_b64 s[44:45], s[0:1]
; %bb.151:                              ;   in Loop: Header=BB239_13 Depth=1
	s_mov_b32 s55, 0x7fc02000
	s_xor_b64 s[40:41], exec, -1
; %bb.152:                              ;   in Loop: Header=BB239_13 Depth=1
	s_or_b64 exec, exec, s[44:45]
	s_and_b64 s[40:41], s[40:41], exec
	s_or_saveexec_b64 s[42:43], s[42:43]
	v_mov_b32_e32 v36, s55
	s_xor_b64 exec, exec, s[42:43]
	s_cbranch_execz .LBB239_54
.LBB239_153:                            ;   in Loop: Header=BB239_13 Depth=1
	v_cmp_ne_u16_e64 s[0:1], 0, v2
	s_andn2_b64 s[40:41], s[40:41], exec
	s_and_b64 s[0:1], s[0:1], exec
	v_mov_b32_e32 v36, 0
	s_or_b64 s[40:41], s[40:41], s[0:1]
	s_or_b64 exec, exec, s[42:43]
	s_and_saveexec_b64 s[42:43], s[40:41]
	s_cbranch_execnz .LBB239_55
	s_branch .LBB239_56
.LBB239_154:                            ;   in Loop: Header=BB239_13 Depth=1
	v_cmp_eq_u16_sdwa s[56:57], v2, s53 src0_sel:BYTE_0 src1_sel:DWORD
	s_mov_b64 s[0:1], -1
                                        ; implicit-def: $sgpr44
	s_and_saveexec_b64 s[42:43], s[56:57]
; %bb.155:                              ;   in Loop: Header=BB239_13 Depth=1
	s_mov_b32 s44, 0x7fc02000
	s_xor_b64 s[0:1], exec, -1
; %bb.156:                              ;   in Loop: Header=BB239_13 Depth=1
	s_or_b64 exec, exec, s[42:43]
	s_and_b64 s[0:1], s[0:1], exec
	s_or_saveexec_b64 s[40:41], s[40:41]
	v_mov_b32_e32 v37, s44
	s_xor_b64 exec, exec, s[40:41]
	s_cbranch_execz .LBB239_58
.LBB239_157:                            ;   in Loop: Header=BB239_13 Depth=1
	v_cmp_ne_u16_sdwa s[42:43], v2, v3 src0_sel:BYTE_0 src1_sel:DWORD
	s_andn2_b64 s[0:1], s[0:1], exec
	s_and_b64 s[42:43], s[42:43], exec
	v_mov_b32_e32 v37, 0
	s_or_b64 s[0:1], s[0:1], s[42:43]
	s_or_b64 exec, exec, s[40:41]
	v_and_b32_e32 v2, 0xffff, v2
	s_and_saveexec_b64 s[40:41], s[0:1]
	s_cbranch_execnz .LBB239_59
	s_branch .LBB239_60
.LBB239_158:                            ;   in Loop: Header=BB239_13 Depth=1
	v_cmp_eq_u16_e64 s[0:1], s53, v2
	s_mov_b64 s[40:41], -1
                                        ; implicit-def: $sgpr55
	s_and_saveexec_b64 s[44:45], s[0:1]
; %bb.159:                              ;   in Loop: Header=BB239_13 Depth=1
	s_mov_b32 s55, 0x7fc02000
	s_xor_b64 s[40:41], exec, -1
; %bb.160:                              ;   in Loop: Header=BB239_13 Depth=1
	s_or_b64 exec, exec, s[44:45]
	s_and_b64 s[40:41], s[40:41], exec
	s_or_saveexec_b64 s[42:43], s[42:43]
	v_mov_b32_e32 v38, s55
	s_xor_b64 exec, exec, s[42:43]
	s_cbranch_execz .LBB239_62
.LBB239_161:                            ;   in Loop: Header=BB239_13 Depth=1
	v_cmp_ne_u16_e64 s[0:1], 0, v2
	s_andn2_b64 s[40:41], s[40:41], exec
	s_and_b64 s[0:1], s[0:1], exec
	v_mov_b32_e32 v38, 0
	s_or_b64 s[40:41], s[40:41], s[0:1]
	s_or_b64 exec, exec, s[42:43]
	s_and_saveexec_b64 s[42:43], s[40:41]
	s_cbranch_execnz .LBB239_63
	s_branch .LBB239_64
.LBB239_162:                            ;   in Loop: Header=BB239_13 Depth=1
	v_cmp_eq_u16_sdwa s[56:57], v2, s53 src0_sel:BYTE_0 src1_sel:DWORD
	s_mov_b64 s[0:1], -1
                                        ; implicit-def: $sgpr44
	s_and_saveexec_b64 s[42:43], s[56:57]
; %bb.163:                              ;   in Loop: Header=BB239_13 Depth=1
	s_mov_b32 s44, 0x7fc02000
	s_xor_b64 s[0:1], exec, -1
; %bb.164:                              ;   in Loop: Header=BB239_13 Depth=1
	s_or_b64 exec, exec, s[42:43]
	s_and_b64 s[0:1], s[0:1], exec
	s_or_saveexec_b64 s[40:41], s[40:41]
	v_mov_b32_e32 v39, s44
	s_xor_b64 exec, exec, s[40:41]
	s_cbranch_execz .LBB239_66
.LBB239_165:                            ;   in Loop: Header=BB239_13 Depth=1
	v_cmp_ne_u16_sdwa s[42:43], v2, v3 src0_sel:BYTE_0 src1_sel:DWORD
	s_andn2_b64 s[0:1], s[0:1], exec
	s_and_b64 s[42:43], s[42:43], exec
	v_mov_b32_e32 v39, 0
	s_or_b64 s[0:1], s[0:1], s[42:43]
	s_or_b64 exec, exec, s[40:41]
	v_and_b32_e32 v2, 0xffff, v2
	s_and_saveexec_b64 s[40:41], s[0:1]
	s_cbranch_execnz .LBB239_67
	s_branch .LBB239_68
.LBB239_166:                            ;   in Loop: Header=BB239_13 Depth=1
	v_cmp_eq_u16_e64 s[0:1], s53, v2
	s_mov_b64 s[40:41], -1
                                        ; implicit-def: $sgpr55
	s_and_saveexec_b64 s[44:45], s[0:1]
; %bb.167:                              ;   in Loop: Header=BB239_13 Depth=1
	s_mov_b32 s55, 0x7fc02000
	s_xor_b64 s[40:41], exec, -1
; %bb.168:                              ;   in Loop: Header=BB239_13 Depth=1
	s_or_b64 exec, exec, s[44:45]
	s_and_b64 s[40:41], s[40:41], exec
	s_or_saveexec_b64 s[42:43], s[42:43]
	v_mov_b32_e32 v40, s55
	s_xor_b64 exec, exec, s[42:43]
	s_cbranch_execz .LBB239_70
.LBB239_169:                            ;   in Loop: Header=BB239_13 Depth=1
	v_cmp_ne_u16_e64 s[0:1], 0, v2
	s_andn2_b64 s[40:41], s[40:41], exec
	s_and_b64 s[0:1], s[0:1], exec
	v_mov_b32_e32 v40, 0
	s_or_b64 s[40:41], s[40:41], s[0:1]
	s_or_b64 exec, exec, s[42:43]
	s_and_saveexec_b64 s[42:43], s[40:41]
	s_cbranch_execnz .LBB239_71
	s_branch .LBB239_72
.LBB239_170:                            ;   in Loop: Header=BB239_13 Depth=1
	v_cmp_eq_u16_sdwa s[56:57], v2, s53 src0_sel:BYTE_0 src1_sel:DWORD
	s_mov_b64 s[0:1], -1
                                        ; implicit-def: $sgpr44
	s_and_saveexec_b64 s[42:43], s[56:57]
; %bb.171:                              ;   in Loop: Header=BB239_13 Depth=1
	s_mov_b32 s44, 0x7fc02000
	s_xor_b64 s[0:1], exec, -1
; %bb.172:                              ;   in Loop: Header=BB239_13 Depth=1
	s_or_b64 exec, exec, s[42:43]
	s_and_b64 s[0:1], s[0:1], exec
	s_or_saveexec_b64 s[40:41], s[40:41]
	v_mov_b32_e32 v41, s44
	s_xor_b64 exec, exec, s[40:41]
	s_cbranch_execz .LBB239_74
.LBB239_173:                            ;   in Loop: Header=BB239_13 Depth=1
	v_cmp_ne_u16_sdwa s[42:43], v2, v3 src0_sel:BYTE_0 src1_sel:DWORD
	s_andn2_b64 s[0:1], s[0:1], exec
	s_and_b64 s[42:43], s[42:43], exec
	v_mov_b32_e32 v41, 0
	s_or_b64 s[0:1], s[0:1], s[42:43]
	s_or_b64 exec, exec, s[40:41]
	v_and_b32_e32 v2, 0xffff, v2
	s_and_saveexec_b64 s[40:41], s[0:1]
	s_cbranch_execnz .LBB239_75
	s_branch .LBB239_76
.LBB239_174:                            ;   in Loop: Header=BB239_13 Depth=1
	v_cmp_eq_u16_e64 s[0:1], s53, v2
	s_mov_b64 s[40:41], -1
                                        ; implicit-def: $sgpr55
	s_and_saveexec_b64 s[44:45], s[0:1]
; %bb.175:                              ;   in Loop: Header=BB239_13 Depth=1
	s_mov_b32 s55, 0x7fc02000
	s_xor_b64 s[40:41], exec, -1
; %bb.176:                              ;   in Loop: Header=BB239_13 Depth=1
	s_or_b64 exec, exec, s[44:45]
	s_and_b64 s[40:41], s[40:41], exec
	s_or_saveexec_b64 s[42:43], s[42:43]
	v_mov_b32_e32 v42, s55
	s_xor_b64 exec, exec, s[42:43]
	s_cbranch_execz .LBB239_78
.LBB239_177:                            ;   in Loop: Header=BB239_13 Depth=1
	v_cmp_ne_u16_e64 s[0:1], 0, v2
	s_andn2_b64 s[40:41], s[40:41], exec
	s_and_b64 s[0:1], s[0:1], exec
	v_mov_b32_e32 v42, 0
	s_or_b64 s[40:41], s[40:41], s[0:1]
	s_or_b64 exec, exec, s[42:43]
	s_and_saveexec_b64 s[42:43], s[40:41]
	s_cbranch_execnz .LBB239_79
	s_branch .LBB239_80
.LBB239_178:                            ;   in Loop: Header=BB239_13 Depth=1
	v_cmp_eq_u16_sdwa s[56:57], v2, s53 src0_sel:BYTE_0 src1_sel:DWORD
	s_mov_b64 s[0:1], -1
                                        ; implicit-def: $sgpr44
	s_and_saveexec_b64 s[42:43], s[56:57]
; %bb.179:                              ;   in Loop: Header=BB239_13 Depth=1
	s_mov_b32 s44, 0x7fc02000
	s_xor_b64 s[0:1], exec, -1
; %bb.180:                              ;   in Loop: Header=BB239_13 Depth=1
	s_or_b64 exec, exec, s[42:43]
	s_and_b64 s[0:1], s[0:1], exec
	s_or_saveexec_b64 s[40:41], s[40:41]
	v_mov_b32_e32 v43, s44
	s_xor_b64 exec, exec, s[40:41]
	s_cbranch_execz .LBB239_82
.LBB239_181:                            ;   in Loop: Header=BB239_13 Depth=1
	v_cmp_ne_u16_sdwa s[42:43], v2, v3 src0_sel:BYTE_0 src1_sel:DWORD
	s_andn2_b64 s[0:1], s[0:1], exec
	s_and_b64 s[42:43], s[42:43], exec
	v_mov_b32_e32 v43, 0
	s_or_b64 s[0:1], s[0:1], s[42:43]
	s_or_b64 exec, exec, s[40:41]
	v_and_b32_e32 v2, 0xffff, v2
	s_and_saveexec_b64 s[40:41], s[0:1]
	s_cbranch_execnz .LBB239_83
	s_branch .LBB239_84
.LBB239_182:                            ;   in Loop: Header=BB239_13 Depth=1
	v_cmp_eq_u16_e64 s[0:1], s53, v2
	s_mov_b64 s[40:41], -1
                                        ; implicit-def: $sgpr55
	s_and_saveexec_b64 s[44:45], s[0:1]
; %bb.183:                              ;   in Loop: Header=BB239_13 Depth=1
	s_mov_b32 s55, 0x7fc02000
	s_xor_b64 s[40:41], exec, -1
; %bb.184:                              ;   in Loop: Header=BB239_13 Depth=1
	s_or_b64 exec, exec, s[44:45]
	s_and_b64 s[40:41], s[40:41], exec
	s_or_saveexec_b64 s[42:43], s[42:43]
	v_mov_b32_e32 v44, s55
	s_xor_b64 exec, exec, s[42:43]
	s_cbranch_execz .LBB239_86
.LBB239_185:                            ;   in Loop: Header=BB239_13 Depth=1
	v_cmp_ne_u16_e64 s[0:1], 0, v2
	s_andn2_b64 s[40:41], s[40:41], exec
	s_and_b64 s[0:1], s[0:1], exec
	v_mov_b32_e32 v44, 0
	s_or_b64 s[40:41], s[40:41], s[0:1]
	s_or_b64 exec, exec, s[42:43]
	s_and_saveexec_b64 s[42:43], s[40:41]
	s_cbranch_execnz .LBB239_87
	s_branch .LBB239_88
.LBB239_186:                            ;   in Loop: Header=BB239_13 Depth=1
	v_cmp_eq_u16_sdwa s[56:57], v2, s53 src0_sel:BYTE_0 src1_sel:DWORD
	s_mov_b64 s[0:1], -1
                                        ; implicit-def: $sgpr44
	s_and_saveexec_b64 s[42:43], s[56:57]
; %bb.187:                              ;   in Loop: Header=BB239_13 Depth=1
	s_mov_b32 s44, 0x7fc02000
	s_xor_b64 s[0:1], exec, -1
; %bb.188:                              ;   in Loop: Header=BB239_13 Depth=1
	s_or_b64 exec, exec, s[42:43]
	s_and_b64 s[0:1], s[0:1], exec
	s_or_saveexec_b64 s[40:41], s[40:41]
	v_mov_b32_e32 v45, s44
	s_xor_b64 exec, exec, s[40:41]
	s_cbranch_execz .LBB239_90
.LBB239_189:                            ;   in Loop: Header=BB239_13 Depth=1
	v_cmp_ne_u16_sdwa s[42:43], v2, v3 src0_sel:BYTE_0 src1_sel:DWORD
	s_andn2_b64 s[0:1], s[0:1], exec
	s_and_b64 s[42:43], s[42:43], exec
	v_mov_b32_e32 v45, 0
	s_or_b64 s[0:1], s[0:1], s[42:43]
	s_or_b64 exec, exec, s[40:41]
	v_and_b32_e32 v2, 0xffff, v2
	s_and_saveexec_b64 s[40:41], s[0:1]
	s_cbranch_execnz .LBB239_91
	s_branch .LBB239_92
.LBB239_190:                            ;   in Loop: Header=BB239_13 Depth=1
	v_cmp_eq_u16_e64 s[0:1], s53, v2
	s_mov_b64 s[40:41], -1
                                        ; implicit-def: $sgpr55
	s_and_saveexec_b64 s[44:45], s[0:1]
; %bb.191:                              ;   in Loop: Header=BB239_13 Depth=1
	s_mov_b32 s55, 0x7fc02000
	s_xor_b64 s[40:41], exec, -1
; %bb.192:                              ;   in Loop: Header=BB239_13 Depth=1
	s_or_b64 exec, exec, s[44:45]
	s_and_b64 s[40:41], s[40:41], exec
	s_or_saveexec_b64 s[42:43], s[42:43]
	v_mov_b32_e32 v46, s55
	s_xor_b64 exec, exec, s[42:43]
	s_cbranch_execz .LBB239_94
.LBB239_193:                            ;   in Loop: Header=BB239_13 Depth=1
	v_cmp_ne_u16_e64 s[0:1], 0, v2
	s_andn2_b64 s[40:41], s[40:41], exec
	s_and_b64 s[0:1], s[0:1], exec
	v_mov_b32_e32 v46, 0
	s_or_b64 s[40:41], s[40:41], s[0:1]
	s_or_b64 exec, exec, s[42:43]
	s_and_saveexec_b64 s[42:43], s[40:41]
	s_cbranch_execnz .LBB239_95
	s_branch .LBB239_96
.LBB239_194:                            ;   in Loop: Header=BB239_13 Depth=1
	v_cmp_eq_u16_sdwa s[56:57], v2, s53 src0_sel:BYTE_0 src1_sel:DWORD
	s_mov_b64 s[0:1], -1
                                        ; implicit-def: $sgpr44
	s_and_saveexec_b64 s[42:43], s[56:57]
; %bb.195:                              ;   in Loop: Header=BB239_13 Depth=1
	s_mov_b32 s44, 0x7fc02000
	s_xor_b64 s[0:1], exec, -1
; %bb.196:                              ;   in Loop: Header=BB239_13 Depth=1
	s_or_b64 exec, exec, s[42:43]
	s_and_b64 s[0:1], s[0:1], exec
	s_or_saveexec_b64 s[40:41], s[40:41]
	v_mov_b32_e32 v47, s44
	s_xor_b64 exec, exec, s[40:41]
	s_cbranch_execz .LBB239_98
.LBB239_197:                            ;   in Loop: Header=BB239_13 Depth=1
	v_cmp_ne_u16_sdwa s[42:43], v2, v3 src0_sel:BYTE_0 src1_sel:DWORD
	s_andn2_b64 s[0:1], s[0:1], exec
	s_and_b64 s[42:43], s[42:43], exec
	v_mov_b32_e32 v47, 0
	s_or_b64 s[0:1], s[0:1], s[42:43]
	s_or_b64 exec, exec, s[40:41]
	v_and_b32_e32 v2, 0xffff, v2
	s_and_saveexec_b64 s[40:41], s[0:1]
	s_cbranch_execnz .LBB239_99
	s_branch .LBB239_100
.LBB239_198:                            ;   in Loop: Header=BB239_13 Depth=1
	v_cmp_eq_u16_e64 s[0:1], s53, v2
	s_mov_b64 s[40:41], -1
                                        ; implicit-def: $sgpr55
	s_and_saveexec_b64 s[44:45], s[0:1]
; %bb.199:                              ;   in Loop: Header=BB239_13 Depth=1
	s_mov_b32 s55, 0x7fc02000
	s_xor_b64 s[40:41], exec, -1
; %bb.200:                              ;   in Loop: Header=BB239_13 Depth=1
	s_or_b64 exec, exec, s[44:45]
	s_and_b64 s[40:41], s[40:41], exec
	s_or_saveexec_b64 s[42:43], s[42:43]
	v_mov_b32_e32 v48, s55
	s_xor_b64 exec, exec, s[42:43]
	s_cbranch_execz .LBB239_102
.LBB239_201:                            ;   in Loop: Header=BB239_13 Depth=1
	v_cmp_ne_u16_e64 s[0:1], 0, v2
	s_andn2_b64 s[40:41], s[40:41], exec
	s_and_b64 s[0:1], s[0:1], exec
	v_mov_b32_e32 v48, 0
	s_or_b64 s[40:41], s[40:41], s[0:1]
	s_or_b64 exec, exec, s[42:43]
	s_and_saveexec_b64 s[42:43], s[40:41]
	s_cbranch_execnz .LBB239_103
	s_branch .LBB239_104
.LBB239_202:                            ;   in Loop: Header=BB239_13 Depth=1
	v_cmp_eq_u16_sdwa s[56:57], v2, s53 src0_sel:BYTE_0 src1_sel:DWORD
	s_mov_b64 s[0:1], -1
                                        ; implicit-def: $sgpr44
	s_and_saveexec_b64 s[42:43], s[56:57]
; %bb.203:                              ;   in Loop: Header=BB239_13 Depth=1
	s_mov_b32 s44, 0x7fc02000
	s_xor_b64 s[0:1], exec, -1
; %bb.204:                              ;   in Loop: Header=BB239_13 Depth=1
	s_or_b64 exec, exec, s[42:43]
	s_and_b64 s[0:1], s[0:1], exec
	s_or_saveexec_b64 s[40:41], s[40:41]
	v_mov_b32_e32 v10, s44
	s_xor_b64 exec, exec, s[40:41]
	s_cbranch_execz .LBB239_106
.LBB239_205:                            ;   in Loop: Header=BB239_13 Depth=1
	v_cmp_ne_u16_sdwa s[42:43], v2, v3 src0_sel:BYTE_0 src1_sel:DWORD
	s_andn2_b64 s[0:1], s[0:1], exec
	s_and_b64 s[42:43], s[42:43], exec
	v_mov_b32_e32 v10, 0
	s_or_b64 s[0:1], s[0:1], s[42:43]
	s_or_b64 exec, exec, s[40:41]
	v_and_b32_e32 v2, 0xffff, v2
	s_and_saveexec_b64 s[40:41], s[0:1]
	s_cbranch_execnz .LBB239_107
	s_branch .LBB239_108
.LBB239_206:                            ;   in Loop: Header=BB239_13 Depth=1
	v_cmp_eq_u16_e64 s[0:1], s53, v2
	s_mov_b64 s[40:41], -1
                                        ; implicit-def: $sgpr55
	s_and_saveexec_b64 s[44:45], s[0:1]
; %bb.207:                              ;   in Loop: Header=BB239_13 Depth=1
	s_mov_b32 s55, 0x7fc02000
	s_xor_b64 s[40:41], exec, -1
; %bb.208:                              ;   in Loop: Header=BB239_13 Depth=1
	s_or_b64 exec, exec, s[44:45]
	s_and_b64 s[40:41], s[40:41], exec
	s_or_saveexec_b64 s[42:43], s[42:43]
	v_mov_b32_e32 v11, s55
	s_xor_b64 exec, exec, s[42:43]
	s_cbranch_execz .LBB239_110
.LBB239_209:                            ;   in Loop: Header=BB239_13 Depth=1
	v_cmp_ne_u16_e64 s[0:1], 0, v2
	s_andn2_b64 s[40:41], s[40:41], exec
	s_and_b64 s[0:1], s[0:1], exec
	v_mov_b32_e32 v11, 0
	s_or_b64 s[40:41], s[40:41], s[0:1]
	s_or_b64 exec, exec, s[42:43]
	s_and_saveexec_b64 s[42:43], s[40:41]
	s_cbranch_execnz .LBB239_111
	s_branch .LBB239_112
.LBB239_210:
	s_or_b64 exec, exec, s[38:39]
.LBB239_211:
	s_or_b64 exec, exec, s[18:19]
	v_mbcnt_hi_u32_b32 v2, -1, v13
	v_and_b32_e32 v3, 64, v2
	v_add_u32_e32 v3, 64, v3
	v_xor_b32_e32 v4, 32, v2
	v_cmp_lt_i32_e32 vcc, v4, v3
	v_xor_b32_e32 v7, 16, v2
	v_max_f32_e32 v6, v17, v17
	v_cndmask_b32_e32 v4, v2, v4, vcc
	v_lshlrev_b32_e32 v4, 2, v4
	ds_bpermute_b32 v5, v4, v17
	v_cmp_lt_i32_e32 vcc, v7, v3
	v_xor_b32_e32 v8, 8, v2
	s_waitcnt lgkmcnt(1)
	v_xor_b32_e32 v10, 4, v2
	s_waitcnt lgkmcnt(0)
	v_max_f32_e32 v5, v5, v5
	v_max_f32_e32 v5, v6, v5
	v_cndmask_b32_e32 v6, v2, v7, vcc
	v_lshlrev_b32_e32 v6, 2, v6
	ds_bpermute_b32 v7, v6, v5
	v_cmp_lt_i32_e32 vcc, v8, v3
	s_waitcnt lgkmcnt(0)
	v_max_f32_e32 v7, v7, v7
	v_max_f32_e32 v5, v5, v7
	v_cndmask_b32_e32 v7, v2, v8, vcc
	v_lshlrev_b32_e32 v9, 2, v7
	ds_bpermute_b32 v7, v9, v5
	v_cmp_lt_i32_e32 vcc, v10, v3
	s_waitcnt lgkmcnt(0)
	v_max_f32_e32 v7, v7, v7
	v_max_f32_e32 v8, v5, v7
	v_cndmask_b32_e32 v5, v2, v10, vcc
	v_lshlrev_b32_e32 v10, 2, v5
	ds_bpermute_b32 v11, v10, v8
	v_and_b32_e32 v5, 63, v0
	v_cmp_eq_u32_e32 vcc, 0, v5
	v_lshlrev_b32_e32 v7, 2, v1
	s_and_saveexec_b64 s[0:1], vcc
	s_cbranch_execz .LBB239_213
; %bb.212:
	s_waitcnt lgkmcnt(0)
	v_max_f32_e32 v11, v11, v11
	v_max_f32_e32 v8, v8, v8
	;; [unrolled: 1-line block ×3, first 2 shown]
	ds_write_b32 v7, v8 offset:192
.LBB239_213:
	s_or_b64 exec, exec, s[0:1]
	v_cmp_gt_u32_e64 s[0:1], 2, v5
	s_waitcnt lgkmcnt(0)
	v_mov_b32_e32 v11, 0xff7fffff
	v_lshlrev_b32_e32 v8, 2, v5
	s_barrier
	s_and_saveexec_b64 s[2:3], s[0:1]
	s_cbranch_execz .LBB239_215
; %bb.214:
	ds_read_b32 v11, v8 offset:192
.LBB239_215:
	s_or_b64 exec, exec, s[2:3]
	v_xor_b32_e32 v13, 1, v2
	v_cmp_lt_i32_e64 s[2:3], v13, v3
	v_lshlrev_b32_e32 v14, 2, v2
	s_nop 0
	v_cndmask_b32_e64 v13, v2, v13, s[2:3]
	v_lshlrev_b32_e32 v22, 2, v13
	s_waitcnt lgkmcnt(0)
	ds_bpermute_b32 v13, v22, v11
	v_max_f32_e32 v11, v11, v11
	s_lshl_b32 s2, s20, 4
	s_min_i32 s37, s2, s33
	v_cmp_gt_i32_e64 s[2:3], s37, v0
	s_waitcnt lgkmcnt(0)
	v_max_f32_e32 v13, v13, v13
	v_max_f32_e32 v13, v11, v13
	v_and_b32_e32 v11, 0x100, v14
	ds_bpermute_b32 v14, v11, v13
	v_mov_b32_e32 v13, 0
	s_and_saveexec_b64 s[12:13], s[2:3]
	s_cbranch_execz .LBB239_219
; %bb.216:
	v_mov_b32_e32 v13, 0xd0
	v_lshl_add_u32 v16, v0, 2, v13
	s_mov_b64 s[18:19], 0
	v_mov_b32_e32 v13, 0
	v_mov_b32_e32 v17, v0
.LBB239_217:                            ; =>This Inner Loop Header: Depth=1
	ds_read_b32 v18, v16
	v_add_u32_e32 v17, 0x80, v17
	v_cmp_le_i32_e64 s[8:9], s37, v17
	s_or_b64 s[18:19], s[8:9], s[18:19]
	s_waitcnt lgkmcnt(0)
	v_sub_f32_e32 v18, v18, v14
	v_mul_f32_e32 v18, 0x3fb8aa3b, v18
	v_exp_f32_e32 v18, v18
	ds_write_b32 v16, v18
	v_add_f32_e32 v13, v13, v18
	v_add_u32_e32 v16, 0x200, v16
	s_andn2_b64 exec, exec, s[18:19]
	s_cbranch_execnz .LBB239_217
; %bb.218:
	s_or_b64 exec, exec, s[18:19]
.LBB239_219:
	s_or_b64 exec, exec, s[12:13]
	ds_bpermute_b32 v4, v4, v13
	s_waitcnt lgkmcnt(0)
	v_add_f32_e32 v4, v13, v4
	ds_bpermute_b32 v6, v6, v4
	s_waitcnt lgkmcnt(0)
	v_add_f32_e32 v4, v4, v6
	ds_bpermute_b32 v6, v9, v4
	v_xor_b32_e32 v9, 2, v2
	v_cmp_lt_i32_e64 s[8:9], v9, v3
	s_waitcnt lgkmcnt(0)
	v_add_f32_e32 v4, v4, v6
	ds_bpermute_b32 v6, v10, v4
	v_cndmask_b32_e64 v2, v2, v9, s[8:9]
	v_lshlrev_b32_e32 v2, 2, v2
	s_waitcnt lgkmcnt(0)
	v_add_f32_e32 v3, v4, v6
	ds_bpermute_b32 v2, v2, v3
	s_waitcnt lgkmcnt(0)
	v_add_f32_e32 v2, v3, v2
	ds_bpermute_b32 v3, v22, v2
	s_waitcnt lgkmcnt(0)
	v_add_f32_e32 v2, v2, v3
	s_and_saveexec_b64 s[8:9], vcc
	s_cbranch_execz .LBB239_221
; %bb.220:
	ds_write_b32 v7, v2 offset:200
.LBB239_221:
	s_or_b64 exec, exec, s[8:9]
	s_waitcnt lgkmcnt(0)
	s_barrier
	s_and_saveexec_b64 s[8:9], s[0:1]
	s_cbranch_execz .LBB239_223
; %bb.222:
	ds_read_b32 v2, v8 offset:200
.LBB239_223:
	s_or_b64 exec, exec, s[8:9]
	s_waitcnt lgkmcnt(0)
	ds_bpermute_b32 v3, v22, v2
	s_waitcnt lgkmcnt(0)
	v_add_f32_e32 v2, v2, v3
	ds_bpermute_b32 v2, v11, v2
	s_and_saveexec_b64 s[0:1], s[2:3]
	s_cbranch_execz .LBB239_236
; %bb.224:
	s_waitcnt lgkmcnt(0)
	v_add_f32_e32 v2, 0x358637bd, v2
	v_div_scale_f32 v3, s[2:3], v2, v2, 1.0
	v_rcp_f32_e32 v4, v3
	v_div_scale_f32 v6, vcc, 1.0, v2, 1.0
	s_movk_i32 s2, 0x7f
	v_fma_f32 v7, -v3, v4, 1.0
	v_fmac_f32_e32 v4, v7, v4
	v_mul_f32_e32 v7, v6, v4
	v_fma_f32 v8, -v3, v7, v6
	v_fmac_f32_e32 v7, v8, v4
	v_fma_f32 v3, -v3, v7, v6
	v_div_fmas_f32 v3, v3, v4, v7
	v_xad_u32 v4, v0, -1, s37
	v_div_fixup_f32 v2, v3, v2, 1.0
	v_cmp_lt_u32_e32 vcc, s2, v4
	s_mov_b64 s[8:9], -1
	v_mov_b32_e32 v3, v0
	s_and_saveexec_b64 s[2:3], vcc
	s_cbranch_execz .LBB239_233
; %bb.225:
	v_lshrrev_b32_e32 v4, 7, v4
	v_add_u32_e32 v7, -1, v4
	v_lshrrev_b32_e32 v6, 1, v7
	v_mov_b32_e32 v3, v2
	v_add_u32_e32 v6, 1, v6
	v_cmp_lt_u32_e32 vcc, 13, v7
	v_mov_b32_e32 v9, 0
	s_and_saveexec_b64 s[8:9], vcc
	s_cbranch_execz .LBB239_229
; %bb.226:
	v_mov_b32_e32 v8, 0xd0
	v_and_b32_e32 v7, -8, v6
	v_lshl_add_u32 v8, v0, 2, v8
	s_mov_b32 s18, 0
	s_mov_b64 s[12:13], 0
.LBB239_227:                            ; =>This Inner Loop Header: Depth=1
	ds_read2st64_b32 v[10:11], v8 offset1:2
	ds_read2st64_b32 v[16:17], v8 offset0:4 offset1:6
	ds_read2st64_b32 v[18:19], v8 offset0:8 offset1:10
	;; [unrolled: 1-line block ×3, first 2 shown]
	v_add_u32_e32 v7, -8, v7
	s_waitcnt lgkmcnt(3)
	v_pk_mul_f32 v[10:11], v[2:3], v[10:11]
	s_waitcnt lgkmcnt(2)
	v_pk_mul_f32 v[16:17], v[2:3], v[16:17]
	ds_write2st64_b32 v8, v10, v11 offset1:2
	ds_write2st64_b32 v8, v16, v17 offset0:4 offset1:6
	ds_read2st64_b32 v[16:17], v8 offset0:16 offset1:18
	s_waitcnt lgkmcnt(4)
	v_pk_mul_f32 v[10:11], v[2:3], v[18:19]
	ds_write2st64_b32 v8, v10, v11 offset0:8 offset1:10
	s_waitcnt lgkmcnt(4)
	v_pk_mul_f32 v[10:11], v[2:3], v[20:21]
	ds_write2st64_b32 v8, v10, v11 offset0:12 offset1:14
	ds_read2st64_b32 v[10:11], v8 offset0:20 offset1:22
	s_waitcnt lgkmcnt(3)
	v_pk_mul_f32 v[16:17], v[2:3], v[16:17]
	ds_read2st64_b32 v[18:19], v8 offset0:24 offset1:26
	ds_write2st64_b32 v8, v16, v17 offset0:16 offset1:18
	ds_read2st64_b32 v[16:17], v8 offset0:28 offset1:30
	s_waitcnt lgkmcnt(3)
	v_pk_mul_f32 v[10:11], v[2:3], v[10:11]
	ds_write2st64_b32 v8, v10, v11 offset0:20 offset1:22
	s_waitcnt lgkmcnt(3)
	v_pk_mul_f32 v[10:11], v[2:3], v[18:19]
	ds_write2st64_b32 v8, v10, v11 offset0:24 offset1:26
	s_waitcnt lgkmcnt(2)
	v_pk_mul_f32 v[10:11], v[2:3], v[16:17]
	s_add_i32 s18, s18, 16
	v_cmp_eq_u32_e32 vcc, 0, v7
	ds_write2st64_b32 v8, v10, v11 offset0:28 offset1:30
	v_add_u32_e32 v8, 0x2000, v8
	s_or_b64 s[12:13], vcc, s[12:13]
	v_mov_b32_e32 v9, s18
	s_andn2_b64 exec, exec, s[12:13]
	s_cbranch_execnz .LBB239_227
; %bb.228:
	s_or_b64 exec, exec, s[12:13]
.LBB239_229:
	s_or_b64 exec, exec, s[8:9]
	v_and_b32_e32 v6, 7, v6
	v_cmp_ne_u32_e32 vcc, 0, v6
	s_and_saveexec_b64 s[8:9], vcc
	s_cbranch_execz .LBB239_232
; %bb.230:
	v_lshlrev_b32_e32 v7, 9, v9
	v_lshlrev_b32_e32 v8, 2, v0
	s_movk_i32 s12, 0xd0
	v_add3_u32 v7, v7, v8, s12
	s_mov_b64 s[12:13], 0
.LBB239_231:                            ; =>This Inner Loop Header: Depth=1
	ds_read2st64_b32 v[8:9], v7 offset1:2
	v_add_u32_e32 v6, -1, v6
	v_cmp_eq_u32_e32 vcc, 0, v6
	s_or_b64 s[12:13], vcc, s[12:13]
	s_waitcnt lgkmcnt(0)
	v_pk_mul_f32 v[8:9], v[2:3], v[8:9]
	ds_write2st64_b32 v7, v8, v9 offset1:2
	v_add_u32_e32 v7, 0x400, v7
	s_andn2_b64 exec, exec, s[12:13]
	s_cbranch_execnz .LBB239_231
.LBB239_232:
	s_or_b64 exec, exec, s[8:9]
	v_add_u32_e32 v4, 1, v4
	v_and_b32_e32 v6, 0x3fffffe, v4
	v_cmp_ne_u32_e32 vcc, v4, v6
	v_lshl_add_u32 v3, v6, 7, v0
	s_orn2_b64 s[8:9], vcc, exec
.LBB239_233:
	s_or_b64 exec, exec, s[2:3]
	s_and_b64 exec, exec, s[8:9]
	s_cbranch_execz .LBB239_236
; %bb.234:
	v_mov_b32_e32 v4, 0xd0
	v_lshl_add_u32 v4, v3, 2, v4
	s_mov_b64 s[2:3], 0
.LBB239_235:                            ; =>This Inner Loop Header: Depth=1
	ds_read_b32 v6, v4
	v_add_u32_e32 v3, 0x80, v3
	v_cmp_le_i32_e32 vcc, s37, v3
	s_or_b64 s[2:3], vcc, s[2:3]
	s_waitcnt lgkmcnt(0)
	v_mul_f32_e32 v6, v2, v6
	ds_write_b32 v4, v6
	v_add_u32_e32 v4, 0x200, v4
	s_andn2_b64 exec, exec, s[2:3]
	s_cbranch_execnz .LBB239_235
.LBB239_236:
	s_or_b64 exec, exec, s[0:1]
	s_mov_b32 s0, 0
	v_mov_b32_e32 v4, 0
	v_and_b32_e32 v23, 1, v0
	v_mov_b32_e32 v3, 0
	s_waitcnt lgkmcnt(0)
	v_mov_b32_e32 v2, 0
	s_barrier
	s_and_saveexec_b64 s[8:9], s[6:7]
	s_cbranch_execz .LBB239_440
; %bb.237:
	s_sub_i32 s21, s16, s21
	s_ashr_i32 s1, s47, 31
	s_add_u32 s2, s34, s47
	s_addc_u32 s3, s35, s1
	s_abs_i32 s22, s22
	v_cvt_f32_u32_e32 v2, s22
	v_lshlrev_b32_e32 v3, 3, v0
	v_and_b32_e32 v6, 0x1f8, v3
	v_mov_b32_e32 v7, 0
	v_rcp_iflag_f32_e32 v2, v2
	s_sub_i32 s1, 0, s22
	v_and_b32_e32 v24, 8, v3
	s_add_i32 s35, s20, -1
	v_mul_f32_e32 v2, 0x4f7ffffe, v2
	v_cvt_u32_f32_e32 v2, v2
	v_lshl_add_u64 v[8:9], s[2:3], 0, v[6:7]
	s_lshl_b64 s[2:3], s[30:31], 2
	s_add_u32 s2, s28, s2
	v_mul_lo_u32 v3, s1, v2
	v_mul_hi_u32 v3, v2, v3
	v_add_u32_e32 v25, v2, v3
	v_and_b32_e32 v6, 60, v12
	s_addc_u32 s3, s29, s3
	v_lshlrev_b32_e32 v2, 5, v23
	v_lshl_add_u64 v[10:11], s[2:3], 0, v[6:7]
	v_lshl_or_b32 v2, v1, 6, v2
	s_mov_b32 s2, s0
	v_add_u32_e32 v26, 0xd0, v2
	s_mov_b32 s1, s0
	v_mov_b32_e32 v4, s2
	s_mov_b32 s34, s17
	s_mov_b32 s37, s33
	s_mov_b64 s[6:7], 0
	v_mov_b32_e32 v3, s1
	v_mov_b32_e32 v2, s0
	s_movk_i32 s28, 0x7f
	s_movk_i32 s29, 0x80
	s_mov_b32 s30, 0x8000
	s_movk_i32 s31, 0x380
	s_mov_b32 s38, 0x3020706
	s_mov_b32 s39, 0x1000504
	;; [unrolled: 1-line block ×3, first 2 shown]
	v_mov_b32_e32 v27, 0x1c00
	s_branch .LBB239_240
.LBB239_238:                            ;   in Loop: Header=BB239_240 Depth=1
	s_or_b64 exec, exec, s[0:1]
	;;#ASMSTART
	v_pk_mul_f16 v13, v39, v13;

	;;#ASMEND
	;;#ASMSTART
	v_pk_mul_f16 v6, v38, v6;

	;;#ASMEND
	;; [unrolled: 4-line block ×4, first 2 shown]
	v_add_f32_e32 v16, v40, v41
	;;#ASMSTART
	v_pk_add_f16 v6, v13, v6;

	;;#ASMEND
	v_add_f32_e32 v2, v2, v16
	;;#ASMSTART
	v_pk_add_f16 v6, v6, v12;

	;;#ASMEND
	v_add_f32_e32 v16, v20, v21
	;;#ASMSTART
	v_pk_add_f16 v6, v6, v14;

	;;#ASMEND
	v_add_f32_e32 v3, v3, v16
	v_lshrrev_b32_e32 v12, 16, v6
	v_and_b32_e32 v6, 0xffff, v6
	;;#ASMSTART
	v_cvt_f32_f16 v6, v6;
	;;#ASMEND
	;;#ASMSTART
	v_cvt_f32_f16 v12, v12;
	;;#ASMEND
	s_nop 0
	v_add_f32_e32 v6, v6, v12
	v_add_f32_e32 v4, v4, v6
.LBB239_239:                            ;   in Loop: Header=BB239_240 Depth=1
	s_or_b64 exec, exec, s[2:3]
	v_add_u32_e32 v1, 2, v1
	v_cmp_le_i32_e32 vcc, s20, v1
	v_lshl_add_u64 v[10:11], v[10:11], 0, 8
	v_add_u32_e32 v15, 32, v15
	s_or_b64 s[6:7], vcc, s[6:7]
	v_add_u32_e32 v26, 0x80, v26
	s_andn2_b64 exec, exec, s[6:7]
	s_cbranch_execz .LBB239_439
.LBB239_240:                            ; =>This Inner Loop Header: Depth=1
	v_mul_hi_u32 v6, v15, s46
	v_mul_lo_u32 v12, v6, s25
	v_sub_u32_e32 v12, v15, v12
	v_add_u32_e32 v13, 1, v6
	v_cmp_le_u32_e32 vcc, s25, v12
	s_nop 1
	v_cndmask_b32_e32 v6, v6, v13, vcc
	v_subrev_u32_e32 v13, s25, v12
	v_cndmask_b32_e32 v12, v12, v13, vcc
	v_add_u32_e32 v13, 1, v6
	v_cmp_le_u32_e32 vcc, s25, v12
	s_nop 1
	v_cndmask_b32_e32 v6, v6, v13, vcc
	v_xor_b32_e32 v6, s23, v6
	v_subrev_u32_e32 v6, s23, v6
	v_add_u32_e32 v12, s36, v6
	v_sub_u32_e32 v14, 0, v12
	v_ashrrev_i32_e32 v13, 31, v12
	v_max_i32_e32 v12, v12, v14
	v_mul_hi_u32 v14, v12, v25
	v_mul_lo_u32 v14, v14, s22
	v_sub_u32_e32 v12, v12, v14
	v_subrev_u32_e32 v14, s22, v12
	v_cmp_le_u32_e32 vcc, s22, v12
	v_cmp_lt_i32_e64 s[0:1], s21, v6
	s_nop 0
	v_cndmask_b32_e32 v12, v12, v14, vcc
	v_subrev_u32_e32 v14, s22, v12
	v_cmp_le_u32_e32 vcc, s22, v12
	s_nop 1
	v_cndmask_b32_e32 v12, v12, v14, vcc
	v_xor_b32_e32 v12, v12, v13
	v_sub_u32_e32 v12, v12, v13
	v_cmp_eq_u32_e32 vcc, 0, v12
	s_or_b64 s[0:1], vcc, s[0:1]
	s_and_saveexec_b64 s[2:3], s[0:1]
	s_cbranch_execz .LBB239_239
; %bb.241:                              ;   in Loop: Header=BB239_240 Depth=1
	ds_read2_b64 v[16:19], v26 offset1:1
	ds_read2_b64 v[28:31], v26 offset0:2 offset1:3
                                        ; implicit-def: $sgpr18
	s_waitcnt lgkmcnt(1)
	;;#ASMSTART
	v_cvt_f16_f32 v36, v16;

	;;#ASMEND
	;;#ASMSTART
	v_cvt_f16_f32 v37, v17;

	;;#ASMEND
	;; [unrolled: 4-line block ×4, first 2 shown]
	s_waitcnt lgkmcnt(0)
	;;#ASMSTART
	v_cvt_f16_f32 v41, v28;

	;;#ASMEND
	;;#ASMSTART
	v_cvt_f16_f32 v42, v29;

	;;#ASMEND
	;; [unrolled: 4-line block ×4, first 2 shown]
	global_load_dword v6, v[10:11], off
	s_waitcnt vmcnt(0)
	v_mad_i64_i32 v[12:13], s[0:1], v6, s34, v[8:9]
	global_load_dwordx2 v[16:17], v[12:13], off
	global_load_dword v14, v7, s[14:15]
	s_mov_b64 s[0:1], 0
	s_waitcnt vmcnt(1)
	v_cmp_gt_i16_sdwa s[12:13], v16, s28 src0_sel:BYTE_0 src1_sel:DWORD
	s_and_saveexec_b64 s[16:17], s[12:13]
	s_xor_b64 s[12:13], exec, s[16:17]
	s_cbranch_execnz .LBB239_343
; %bb.242:                              ;   in Loop: Header=BB239_240 Depth=1
	s_or_saveexec_b64 s[12:13], s[12:13]
	v_mov_b32_e32 v18, s18
	s_xor_b64 exec, exec, s[12:13]
	s_cbranch_execnz .LBB239_346
.LBB239_243:                            ;   in Loop: Header=BB239_240 Depth=1
	s_or_b64 exec, exec, s[12:13]
	s_and_saveexec_b64 s[12:13], s[0:1]
	s_cbranch_execz .LBB239_245
.LBB239_244:                            ;   in Loop: Header=BB239_240 Depth=1
	v_and_b32_e32 v6, 7, v16
	v_ffbh_u32_e32 v6, v6
	v_bfe_u32 v18, v16, 3, 4
	v_min_u32_e32 v6, 32, v6
	v_subrev_u32_e32 v19, 28, v6
	v_sub_u32_e32 v6, 29, v6
	v_cmp_eq_u32_e32 vcc, 0, v18
	s_nop 1
	v_cndmask_b32_e32 v6, v18, v6, vcc
	v_cndmask_b32_e32 v18, 0, v19, vcc
	v_lshlrev_b64 v[18:19], v18, v[16:17]
	v_lshlrev_b32_e32 v19, 8, v16
	v_lshl_add_u32 v6, v6, 10, v27
	v_lshlrev_b32_e32 v18, 7, v18
	v_and_or_b32 v6, v19, s30, v6
	v_and_or_b32 v6, v18, s31, v6
	v_cvt_f32_f16_e32 v18, v6
.LBB239_245:                            ;   in Loop: Header=BB239_240 Depth=1
	s_or_b64 exec, exec, s[12:13]
	v_lshrrev_b16_e32 v6, 8, v16
	v_cmp_lt_i16_e32 vcc, s28, v6
	s_mov_b64 s[0:1], 0
                                        ; implicit-def: $sgpr18
	s_and_saveexec_b64 s[12:13], vcc
	s_xor_b64 s[12:13], exec, s[12:13]
	s_cbranch_execnz .LBB239_347
; %bb.246:                              ;   in Loop: Header=BB239_240 Depth=1
	s_or_saveexec_b64 s[12:13], s[12:13]
	v_mov_b32_e32 v20, s18
	s_xor_b64 exec, exec, s[12:13]
	s_cbranch_execnz .LBB239_350
.LBB239_247:                            ;   in Loop: Header=BB239_240 Depth=1
	s_or_b64 exec, exec, s[12:13]
	s_and_saveexec_b64 s[12:13], s[0:1]
	s_cbranch_execz .LBB239_249
.LBB239_248:                            ;   in Loop: Header=BB239_240 Depth=1
	v_and_b32_e32 v19, 7, v6
	v_ffbh_u32_e32 v20, v19
	v_min_u32_e32 v29, 32, v20
	v_subrev_u32_e32 v20, 28, v29
	v_bfe_u32 v28, v6, 3, 4
	v_lshlrev_b64 v[20:21], v20, v[6:7]
	v_sub_u32_e32 v21, 29, v29
	v_cmp_eq_u32_e32 vcc, 0, v28
	v_and_b32_e32 v20, 7, v20
	v_lshlrev_b32_e32 v6, 8, v6
	v_cndmask_b32_e32 v21, v28, v21, vcc
	v_cndmask_b32_e32 v19, v19, v20, vcc
	v_lshl_add_u32 v20, v21, 10, v27
	v_and_or_b32 v6, v6, s30, v20
	v_lshl_or_b32 v6, v19, 7, v6
	v_cvt_f32_f16_e32 v20, v6
.LBB239_249:                            ;   in Loop: Header=BB239_240 Depth=1
	s_or_b64 exec, exec, s[12:13]
	v_lshrrev_b32_e32 v6, 16, v16
	v_cmp_gt_i16_sdwa s[12:13], v6, s28 src0_sel:BYTE_0 src1_sel:DWORD
	s_mov_b64 s[0:1], 0
                                        ; implicit-def: $sgpr18
	s_and_saveexec_b64 s[16:17], s[12:13]
	s_xor_b64 s[12:13], exec, s[16:17]
	s_cbranch_execnz .LBB239_351
; %bb.250:                              ;   in Loop: Header=BB239_240 Depth=1
	s_or_saveexec_b64 s[12:13], s[12:13]
	v_mov_b32_e32 v19, s18
	s_xor_b64 exec, exec, s[12:13]
	s_cbranch_execnz .LBB239_354
.LBB239_251:                            ;   in Loop: Header=BB239_240 Depth=1
	s_or_b64 exec, exec, s[12:13]
	s_and_saveexec_b64 s[12:13], s[0:1]
	s_cbranch_execz .LBB239_253
.LBB239_252:                            ;   in Loop: Header=BB239_240 Depth=1
	v_bfe_u32 v19, v16, 16, 3
	v_ffbh_u32_e32 v28, v19
	v_min_u32_e32 v30, 32, v28
	v_subrev_u32_e32 v28, 28, v30
	v_bfe_u32 v21, v16, 19, 4
	v_lshlrev_b64 v[28:29], v28, v[6:7]
	v_sub_u32_e32 v29, 29, v30
	v_cmp_eq_u32_e32 vcc, 0, v21
	v_and_b32_e32 v28, 7, v28
	v_lshlrev_b32_e32 v6, 8, v6
	v_cndmask_b32_e32 v21, v21, v29, vcc
	v_lshl_add_u32 v21, v21, 10, v27
	v_cndmask_b32_e32 v19, v19, v28, vcc
	v_and_or_b32 v6, v6, s30, v21
	v_lshl_or_b32 v6, v19, 7, v6
	v_cvt_f32_f16_e32 v19, v6
.LBB239_253:                            ;   in Loop: Header=BB239_240 Depth=1
	s_or_b64 exec, exec, s[12:13]
	v_lshrrev_b32_e32 v6, 24, v16
	v_cmp_lt_i16_e32 vcc, s28, v6
	s_mov_b64 s[0:1], 0
                                        ; implicit-def: $sgpr18
	s_and_saveexec_b64 s[12:13], vcc
	s_xor_b64 s[12:13], exec, s[12:13]
	s_cbranch_execnz .LBB239_355
; %bb.254:                              ;   in Loop: Header=BB239_240 Depth=1
	s_or_saveexec_b64 s[12:13], s[12:13]
	v_mov_b32_e32 v21, s18
	s_xor_b64 exec, exec, s[12:13]
	s_cbranch_execnz .LBB239_358
.LBB239_255:                            ;   in Loop: Header=BB239_240 Depth=1
	s_or_b64 exec, exec, s[12:13]
	s_and_saveexec_b64 s[12:13], s[0:1]
	s_cbranch_execz .LBB239_257
.LBB239_256:                            ;   in Loop: Header=BB239_240 Depth=1
	v_bfe_u32 v21, v16, 24, 3
	v_ffbh_u32_e32 v28, v21
	v_min_u32_e32 v30, 32, v28
	v_subrev_u32_e32 v28, 28, v30
	v_bfe_u32 v16, v16, 27, 4
	v_lshlrev_b64 v[28:29], v28, v[6:7]
	v_sub_u32_e32 v29, 29, v30
	v_cmp_eq_u32_e32 vcc, 0, v16
	v_and_b32_e32 v28, 7, v28
	v_lshlrev_b32_e32 v6, 8, v6
	v_cndmask_b32_e32 v16, v16, v29, vcc
	v_lshl_add_u32 v16, v16, 10, v27
	v_cndmask_b32_e32 v21, v21, v28, vcc
	v_and_or_b32 v6, v6, s30, v16
	v_lshl_or_b32 v6, v21, 7, v6
	v_cvt_f32_f16_e32 v21, v6
.LBB239_257:                            ;   in Loop: Header=BB239_240 Depth=1
	s_or_b64 exec, exec, s[12:13]
	v_cmp_gt_i16_sdwa s[12:13], v17, s28 src0_sel:BYTE_0 src1_sel:DWORD
	s_mov_b64 s[0:1], 0
                                        ; implicit-def: $sgpr18
	s_and_saveexec_b64 s[16:17], s[12:13]
	s_xor_b64 s[12:13], exec, s[16:17]
	s_cbranch_execnz .LBB239_359
; %bb.258:                              ;   in Loop: Header=BB239_240 Depth=1
	s_or_saveexec_b64 s[12:13], s[12:13]
	v_mov_b32_e32 v16, s18
	s_xor_b64 exec, exec, s[12:13]
	s_cbranch_execnz .LBB239_362
.LBB239_259:                            ;   in Loop: Header=BB239_240 Depth=1
	s_or_b64 exec, exec, s[12:13]
	v_mov_b32_e32 v6, v17
	s_and_saveexec_b64 s[12:13], s[0:1]
	s_cbranch_execz .LBB239_261
.LBB239_260:                            ;   in Loop: Header=BB239_240 Depth=1
	v_and_b32_e32 v16, 7, v17
	v_ffbh_u32_e32 v16, v16
	v_bfe_u32 v28, v17, 3, 4
	v_min_u32_e32 v16, 32, v16
	v_subrev_u32_e32 v29, 28, v16
	v_sub_u32_e32 v16, 29, v16
	v_cmp_eq_u32_e32 vcc, 0, v28
	s_nop 1
	v_cndmask_b32_e32 v16, v28, v16, vcc
	v_cndmask_b32_e32 v28, 0, v29, vcc
	v_lshlrev_b64 v[28:29], v28, v[6:7]
	v_lshlrev_b32_e32 v29, 8, v17
	v_lshl_add_u32 v16, v16, 10, v27
	v_lshlrev_b32_e32 v28, 7, v28
	v_and_or_b32 v16, v29, s30, v16
	v_and_or_b32 v16, v28, s31, v16
	v_cvt_f32_f16_e32 v16, v16
.LBB239_261:                            ;   in Loop: Header=BB239_240 Depth=1
	s_or_b64 exec, exec, s[12:13]
	v_lshrrev_b16_e32 v6, 8, v6
	v_cmp_lt_i16_e32 vcc, s28, v6
	s_mov_b64 s[0:1], 0
                                        ; implicit-def: $sgpr18
	s_and_saveexec_b64 s[12:13], vcc
	s_xor_b64 s[12:13], exec, s[12:13]
	s_cbranch_execnz .LBB239_363
; %bb.262:                              ;   in Loop: Header=BB239_240 Depth=1
	s_or_saveexec_b64 s[12:13], s[12:13]
	v_mov_b32_e32 v28, s18
	s_xor_b64 exec, exec, s[12:13]
	s_cbranch_execnz .LBB239_366
.LBB239_263:                            ;   in Loop: Header=BB239_240 Depth=1
	s_or_b64 exec, exec, s[12:13]
	s_and_saveexec_b64 s[12:13], s[0:1]
	s_cbranch_execz .LBB239_265
.LBB239_264:                            ;   in Loop: Header=BB239_240 Depth=1
	v_and_b32_e32 v30, 7, v6
	v_ffbh_u32_e32 v28, v30
	v_min_u32_e32 v32, 32, v28
	v_subrev_u32_e32 v28, 28, v32
	v_bfe_u32 v31, v6, 3, 4
	v_lshlrev_b64 v[28:29], v28, v[6:7]
	v_sub_u32_e32 v29, 29, v32
	v_cmp_eq_u32_e32 vcc, 0, v31
	v_and_b32_e32 v28, 7, v28
	v_lshlrev_b32_e32 v6, 8, v6
	v_cndmask_b32_e32 v29, v31, v29, vcc
	v_lshl_add_u32 v29, v29, 10, v27
	v_cndmask_b32_e32 v28, v30, v28, vcc
	v_and_or_b32 v6, v6, s30, v29
	v_lshl_or_b32 v6, v28, 7, v6
	v_cvt_f32_f16_e32 v28, v6
.LBB239_265:                            ;   in Loop: Header=BB239_240 Depth=1
	s_or_b64 exec, exec, s[12:13]
	v_lshrrev_b32_e32 v6, 16, v17
	v_cmp_gt_i16_sdwa s[12:13], v6, s28 src0_sel:BYTE_0 src1_sel:DWORD
	s_mov_b64 s[0:1], 0
                                        ; implicit-def: $sgpr18
	s_and_saveexec_b64 s[16:17], s[12:13]
	s_xor_b64 s[12:13], exec, s[16:17]
	s_cbranch_execnz .LBB239_367
; %bb.266:                              ;   in Loop: Header=BB239_240 Depth=1
	s_or_saveexec_b64 s[12:13], s[12:13]
	v_mov_b32_e32 v29, s18
	s_xor_b64 exec, exec, s[12:13]
	s_cbranch_execnz .LBB239_370
.LBB239_267:                            ;   in Loop: Header=BB239_240 Depth=1
	s_or_b64 exec, exec, s[12:13]
	s_and_saveexec_b64 s[12:13], s[0:1]
	s_cbranch_execz .LBB239_269
.LBB239_268:                            ;   in Loop: Header=BB239_240 Depth=1
	v_bfe_u32 v29, v17, 16, 3
	v_ffbh_u32_e32 v30, v29
	v_min_u32_e32 v33, 32, v30
	v_subrev_u32_e32 v30, 28, v33
	v_bfe_u32 v32, v17, 19, 4
	v_lshlrev_b64 v[30:31], v30, v[6:7]
	v_sub_u32_e32 v31, 29, v33
	v_cmp_eq_u32_e32 vcc, 0, v32
	v_and_b32_e32 v30, 7, v30
	v_lshlrev_b32_e32 v6, 8, v6
	v_cndmask_b32_e32 v31, v32, v31, vcc
	v_cndmask_b32_e32 v29, v29, v30, vcc
	v_lshl_add_u32 v30, v31, 10, v27
	v_and_or_b32 v6, v6, s30, v30
	v_lshl_or_b32 v6, v29, 7, v6
	v_cvt_f32_f16_e32 v29, v6
.LBB239_269:                            ;   in Loop: Header=BB239_240 Depth=1
	s_or_b64 exec, exec, s[12:13]
	v_lshrrev_b32_e32 v6, 24, v17
	v_cmp_lt_i16_e32 vcc, s28, v6
	s_mov_b64 s[0:1], 0
                                        ; implicit-def: $sgpr18
	s_and_saveexec_b64 s[12:13], vcc
	s_xor_b64 s[12:13], exec, s[12:13]
	s_cbranch_execnz .LBB239_371
; %bb.270:                              ;   in Loop: Header=BB239_240 Depth=1
	s_or_saveexec_b64 s[12:13], s[12:13]
	v_mov_b32_e32 v31, s18
	s_xor_b64 exec, exec, s[12:13]
	s_cbranch_execnz .LBB239_374
.LBB239_271:                            ;   in Loop: Header=BB239_240 Depth=1
	s_or_b64 exec, exec, s[12:13]
	s_and_saveexec_b64 s[12:13], s[0:1]
	s_cbranch_execz .LBB239_273
.LBB239_272:                            ;   in Loop: Header=BB239_240 Depth=1
	v_bfe_u32 v32, v17, 24, 3
	v_ffbh_u32_e32 v30, v32
	v_min_u32_e32 v33, 32, v30
	v_subrev_u32_e32 v30, 28, v33
	v_bfe_u32 v17, v17, 27, 4
	v_lshlrev_b64 v[30:31], v30, v[6:7]
	v_sub_u32_e32 v31, 29, v33
	v_cmp_eq_u32_e32 vcc, 0, v17
	v_and_b32_e32 v30, 7, v30
	v_lshlrev_b32_e32 v6, 8, v6
	v_cndmask_b32_e32 v17, v17, v31, vcc
	v_lshl_add_u32 v17, v17, 10, v27
	v_cndmask_b32_e32 v30, v32, v30, vcc
	v_and_or_b32 v6, v6, s30, v17
	v_lshl_or_b32 v6, v30, 7, v6
	v_cvt_f32_f16_e32 v31, v6
.LBB239_273:                            ;   in Loop: Header=BB239_240 Depth=1
	s_or_b64 exec, exec, s[12:13]
	s_waitcnt vmcnt(0)
	v_pk_mul_f32 v[20:21], v[14:15], v[20:21] op_sel_hi:[0,1]
	v_pk_mul_f32 v[18:19], v[14:15], v[18:19] op_sel_hi:[0,1]
	v_cvt_f16_f32_e32 v6, v21
	v_cvt_f16_f32_e32 v17, v20
	;; [unrolled: 1-line block ×4, first 2 shown]
	v_fma_mixlo_f16 v16, v14, v16, 0
	v_pack_b32_f16 v17, v17, v6
	v_add_u32_e32 v30, v24, v15
	v_pack_b32_f16 v18, v18, v19
	v_perm_b32 v6, v18, v17, s38
	v_perm_b32 v17, v18, v17, s39
	v_fma_mixlo_f16 v18, v14, v28, 0
	v_lshlrev_b32_e32 v18, 16, v18
	v_or_b32_sdwa v16, v18, v16 dst_sel:DWORD dst_unused:UNUSED_PAD src0_sel:DWORD src1_sel:WORD_0
	v_fma_mixlo_f16 v18, v14, v29, 0
	v_fma_mixlo_f16 v14, v14, v31, 0
	v_lshlrev_b32_e32 v14, 16, v14
	v_cmp_eq_u32_e32 vcc, s35, v1
	v_or_b32_sdwa v14, v14, v18 dst_sel:DWORD dst_unused:UNUSED_PAD src0_sel:DWORD src1_sel:WORD_0
	v_add_u32_e32 v35, 1, v30
	v_or_b32_e32 v34, 3, v30
	v_or_b32_e32 v33, 2, v30
	;; [unrolled: 1-line block ×6, first 2 shown]
	s_and_saveexec_b64 s[12:13], vcc
	s_cbranch_execz .LBB239_275
; %bb.274:                              ;   in Loop: Header=BB239_240 Depth=1
	v_lshrrev_b32_e32 v19, 16, v17
	v_cmp_gt_i32_e64 s[0:1], s37, v35
	v_lshrrev_b32_e32 v14, 16, v14
	s_nop 0
	v_cndmask_b32_e64 v19, 0, v19, s[0:1]
	v_cmp_gt_i32_e64 s[0:1], s33, v30
	s_nop 1
	v_cndmask_b32_e64 v17, 0, v17, s[0:1]
	v_perm_b32 v17, v19, v17, s40
	v_lshrrev_b32_e32 v19, 16, v6
	v_cmp_gt_i32_e64 s[0:1], s37, v34
	s_nop 1
	v_cndmask_b32_e64 v19, 0, v19, s[0:1]
	v_cmp_gt_i32_e64 s[0:1], s33, v33
	s_nop 1
	v_cndmask_b32_e64 v6, 0, v6, s[0:1]
	v_perm_b32 v6, v19, v6, s40
	v_lshrrev_b32_e32 v19, 16, v16
	v_cmp_gt_i32_e64 s[0:1], s37, v32
	s_nop 1
	v_cndmask_b32_e64 v19, 0, v19, s[0:1]
	v_cmp_gt_i32_e64 s[0:1], s33, v31
	s_nop 1
	v_cndmask_b32_e64 v16, 0, v16, s[0:1]
	v_cmp_gt_i32_e64 s[0:1], s37, v29
	v_perm_b32 v16, v19, v16, s40
	s_nop 0
	v_cndmask_b32_e64 v14, 0, v14, s[0:1]
	v_cmp_gt_i32_e64 s[0:1], s33, v28
	s_nop 1
	v_cndmask_b32_e64 v18, 0, v18, s[0:1]
	v_perm_b32 v14, v14, v18, s40
.LBB239_275:                            ;   in Loop: Header=BB239_240 Depth=1
	s_or_b64 exec, exec, s[12:13]
	v_and_b32_e32 v18, 0xffff, v36
	v_lshl_or_b32 v39, v37, 16, v18
	v_and_b32_e32 v18, 0xffff, v38
	v_lshl_or_b32 v38, v40, 16, v18
	;; [unrolled: 2-line block ×3, first 2 shown]
	v_and_b32_e32 v18, 0xffff, v43
	;;#ASMSTART
	v_pk_mul_f16 v17, v39, v17;

	;;#ASMEND
	;;#ASMSTART
	v_pk_mul_f16 v6, v38, v6;

	;;#ASMEND
	v_lshl_or_b32 v36, v44, 16, v18
	;;#ASMSTART
	v_pk_mul_f16 v16, v37, v16;

	;;#ASMEND
	;;#ASMSTART
	v_pk_mul_f16 v14, v36, v14;

	;;#ASMEND
	;;#ASMSTART
	v_pk_add_f16 v6, v17, v6;

	;;#ASMEND
	s_mov_b64 s[0:1], 0
	;;#ASMSTART
	v_pk_add_f16 v6, v6, v16;

	;;#ASMEND
                                        ; implicit-def: $sgpr18
	s_nop 0
	;;#ASMSTART
	v_pk_add_f16 v6, v6, v14;

	;;#ASMEND
	s_nop 0
	v_lshrrev_b32_e32 v14, 16, v6
	v_and_b32_e32 v6, 0xffff, v6
	;;#ASMSTART
	v_cvt_f32_f16 v40, v6;
	;;#ASMEND
	;;#ASMSTART
	v_cvt_f32_f16 v41, v14;
	;;#ASMEND
	global_load_dwordx2 v[16:17], v[12:13], off offset:512
	global_load_dword v14, v7, s[14:15]
	s_waitcnt vmcnt(1)
	v_cmp_gt_i16_sdwa s[12:13], v16, s28 src0_sel:BYTE_0 src1_sel:DWORD
	s_and_saveexec_b64 s[16:17], s[12:13]
	s_xor_b64 s[12:13], exec, s[16:17]
	s_cbranch_execnz .LBB239_375
; %bb.276:                              ;   in Loop: Header=BB239_240 Depth=1
	s_or_saveexec_b64 s[12:13], s[12:13]
	v_mov_b32_e32 v18, s18
	s_xor_b64 exec, exec, s[12:13]
	s_cbranch_execnz .LBB239_378
.LBB239_277:                            ;   in Loop: Header=BB239_240 Depth=1
	s_or_b64 exec, exec, s[12:13]
	s_and_saveexec_b64 s[12:13], s[0:1]
	s_cbranch_execz .LBB239_279
.LBB239_278:                            ;   in Loop: Header=BB239_240 Depth=1
	v_and_b32_e32 v6, 7, v16
	v_ffbh_u32_e32 v6, v6
	v_bfe_u32 v18, v16, 3, 4
	v_min_u32_e32 v6, 32, v6
	v_subrev_u32_e32 v19, 28, v6
	v_sub_u32_e32 v6, 29, v6
	v_cmp_eq_u32_e64 s[0:1], 0, v18
	s_nop 1
	v_cndmask_b32_e64 v6, v18, v6, s[0:1]
	v_cndmask_b32_e64 v18, 0, v19, s[0:1]
	v_lshlrev_b64 v[18:19], v18, v[16:17]
	v_lshlrev_b32_e32 v19, 8, v16
	v_lshl_add_u32 v6, v6, 10, v27
	v_lshlrev_b32_e32 v18, 7, v18
	v_and_or_b32 v6, v19, s30, v6
	v_and_or_b32 v6, v18, s31, v6
	v_cvt_f32_f16_e32 v18, v6
.LBB239_279:                            ;   in Loop: Header=BB239_240 Depth=1
	s_or_b64 exec, exec, s[12:13]
	v_lshrrev_b16_e32 v6, 8, v16
	v_cmp_lt_i16_e64 s[0:1], s28, v6
	s_mov_b64 s[12:13], 0
                                        ; implicit-def: $sgpr41
	s_and_saveexec_b64 s[16:17], s[0:1]
	s_xor_b64 s[16:17], exec, s[16:17]
	s_cbranch_execnz .LBB239_379
; %bb.280:                              ;   in Loop: Header=BB239_240 Depth=1
	s_or_saveexec_b64 s[16:17], s[16:17]
	v_mov_b32_e32 v20, s41
	s_xor_b64 exec, exec, s[16:17]
	s_cbranch_execnz .LBB239_382
.LBB239_281:                            ;   in Loop: Header=BB239_240 Depth=1
	s_or_b64 exec, exec, s[16:17]
	s_and_saveexec_b64 s[16:17], s[12:13]
	s_cbranch_execz .LBB239_283
.LBB239_282:                            ;   in Loop: Header=BB239_240 Depth=1
	v_and_b32_e32 v19, 7, v6
	v_ffbh_u32_e32 v20, v19
	v_min_u32_e32 v43, 32, v20
	v_subrev_u32_e32 v20, 28, v43
	v_bfe_u32 v42, v6, 3, 4
	v_lshlrev_b64 v[20:21], v20, v[6:7]
	v_sub_u32_e32 v21, 29, v43
	v_cmp_eq_u32_e64 s[0:1], 0, v42
	v_and_b32_e32 v20, 7, v20
	v_lshlrev_b32_e32 v6, 8, v6
	v_cndmask_b32_e64 v21, v42, v21, s[0:1]
	v_cndmask_b32_e64 v19, v19, v20, s[0:1]
	v_lshl_add_u32 v20, v21, 10, v27
	v_and_or_b32 v6, v6, s30, v20
	v_lshl_or_b32 v6, v19, 7, v6
	v_cvt_f32_f16_e32 v20, v6
.LBB239_283:                            ;   in Loop: Header=BB239_240 Depth=1
	s_or_b64 exec, exec, s[16:17]
	v_lshrrev_b32_e32 v6, 16, v16
	v_cmp_gt_i16_sdwa s[12:13], v6, s28 src0_sel:BYTE_0 src1_sel:DWORD
	s_mov_b64 s[0:1], 0
                                        ; implicit-def: $sgpr18
	s_and_saveexec_b64 s[16:17], s[12:13]
	s_xor_b64 s[12:13], exec, s[16:17]
	s_cbranch_execnz .LBB239_383
; %bb.284:                              ;   in Loop: Header=BB239_240 Depth=1
	s_or_saveexec_b64 s[12:13], s[12:13]
	v_mov_b32_e32 v19, s18
	s_xor_b64 exec, exec, s[12:13]
	s_cbranch_execnz .LBB239_386
.LBB239_285:                            ;   in Loop: Header=BB239_240 Depth=1
	s_or_b64 exec, exec, s[12:13]
	s_and_saveexec_b64 s[12:13], s[0:1]
	s_cbranch_execz .LBB239_287
.LBB239_286:                            ;   in Loop: Header=BB239_240 Depth=1
	v_bfe_u32 v19, v16, 16, 3
	v_ffbh_u32_e32 v42, v19
	v_min_u32_e32 v44, 32, v42
	v_subrev_u32_e32 v42, 28, v44
	v_bfe_u32 v21, v16, 19, 4
	v_lshlrev_b64 v[42:43], v42, v[6:7]
	v_sub_u32_e32 v43, 29, v44
	v_cmp_eq_u32_e64 s[0:1], 0, v21
	v_and_b32_e32 v42, 7, v42
	v_lshlrev_b32_e32 v6, 8, v6
	v_cndmask_b32_e64 v21, v21, v43, s[0:1]
	v_lshl_add_u32 v21, v21, 10, v27
	v_cndmask_b32_e64 v19, v19, v42, s[0:1]
	v_and_or_b32 v6, v6, s30, v21
	v_lshl_or_b32 v6, v19, 7, v6
	v_cvt_f32_f16_e32 v19, v6
.LBB239_287:                            ;   in Loop: Header=BB239_240 Depth=1
	s_or_b64 exec, exec, s[12:13]
	v_lshrrev_b32_e32 v6, 24, v16
	v_cmp_lt_i16_e64 s[0:1], s28, v6
	s_mov_b64 s[12:13], 0
                                        ; implicit-def: $sgpr41
	s_and_saveexec_b64 s[16:17], s[0:1]
	s_xor_b64 s[16:17], exec, s[16:17]
	s_cbranch_execnz .LBB239_387
; %bb.288:                              ;   in Loop: Header=BB239_240 Depth=1
	s_or_saveexec_b64 s[16:17], s[16:17]
	v_mov_b32_e32 v21, s41
	s_xor_b64 exec, exec, s[16:17]
	s_cbranch_execnz .LBB239_390
.LBB239_289:                            ;   in Loop: Header=BB239_240 Depth=1
	s_or_b64 exec, exec, s[16:17]
	s_and_saveexec_b64 s[16:17], s[12:13]
	s_cbranch_execz .LBB239_291
.LBB239_290:                            ;   in Loop: Header=BB239_240 Depth=1
	v_bfe_u32 v21, v16, 24, 3
	v_ffbh_u32_e32 v42, v21
	v_min_u32_e32 v44, 32, v42
	v_subrev_u32_e32 v42, 28, v44
	v_bfe_u32 v16, v16, 27, 4
	v_lshlrev_b64 v[42:43], v42, v[6:7]
	v_sub_u32_e32 v43, 29, v44
	v_cmp_eq_u32_e64 s[0:1], 0, v16
	v_and_b32_e32 v42, 7, v42
	v_lshlrev_b32_e32 v6, 8, v6
	v_cndmask_b32_e64 v16, v16, v43, s[0:1]
	v_lshl_add_u32 v16, v16, 10, v27
	v_cndmask_b32_e64 v21, v21, v42, s[0:1]
	v_and_or_b32 v6, v6, s30, v16
	v_lshl_or_b32 v6, v21, 7, v6
	v_cvt_f32_f16_e32 v21, v6
.LBB239_291:                            ;   in Loop: Header=BB239_240 Depth=1
	s_or_b64 exec, exec, s[16:17]
	v_cmp_gt_i16_sdwa s[12:13], v17, s28 src0_sel:BYTE_0 src1_sel:DWORD
	s_mov_b64 s[0:1], 0
                                        ; implicit-def: $sgpr18
	s_and_saveexec_b64 s[16:17], s[12:13]
	s_xor_b64 s[12:13], exec, s[16:17]
	s_cbranch_execnz .LBB239_391
; %bb.292:                              ;   in Loop: Header=BB239_240 Depth=1
	s_or_saveexec_b64 s[12:13], s[12:13]
	v_mov_b32_e32 v16, s18
	s_xor_b64 exec, exec, s[12:13]
	s_cbranch_execnz .LBB239_394
.LBB239_293:                            ;   in Loop: Header=BB239_240 Depth=1
	s_or_b64 exec, exec, s[12:13]
	v_mov_b32_e32 v6, v17
	s_and_saveexec_b64 s[12:13], s[0:1]
	s_cbranch_execz .LBB239_295
.LBB239_294:                            ;   in Loop: Header=BB239_240 Depth=1
	v_and_b32_e32 v16, 7, v17
	v_ffbh_u32_e32 v16, v16
	v_bfe_u32 v42, v17, 3, 4
	v_min_u32_e32 v16, 32, v16
	v_subrev_u32_e32 v43, 28, v16
	v_sub_u32_e32 v16, 29, v16
	v_cmp_eq_u32_e64 s[0:1], 0, v42
	s_nop 1
	v_cndmask_b32_e64 v16, v42, v16, s[0:1]
	v_cndmask_b32_e64 v42, 0, v43, s[0:1]
	v_lshlrev_b64 v[42:43], v42, v[6:7]
	v_lshlrev_b32_e32 v43, 8, v17
	v_lshl_add_u32 v16, v16, 10, v27
	v_lshlrev_b32_e32 v42, 7, v42
	v_and_or_b32 v16, v43, s30, v16
	v_and_or_b32 v16, v42, s31, v16
	v_cvt_f32_f16_e32 v16, v16
.LBB239_295:                            ;   in Loop: Header=BB239_240 Depth=1
	s_or_b64 exec, exec, s[12:13]
	v_lshrrev_b16_e32 v6, 8, v6
	v_cmp_lt_i16_e64 s[0:1], s28, v6
	s_mov_b64 s[12:13], 0
                                        ; implicit-def: $sgpr41
	s_and_saveexec_b64 s[16:17], s[0:1]
	s_xor_b64 s[16:17], exec, s[16:17]
	s_cbranch_execnz .LBB239_395
; %bb.296:                              ;   in Loop: Header=BB239_240 Depth=1
	s_or_saveexec_b64 s[16:17], s[16:17]
	v_mov_b32_e32 v42, s41
	s_xor_b64 exec, exec, s[16:17]
	s_cbranch_execnz .LBB239_398
.LBB239_297:                            ;   in Loop: Header=BB239_240 Depth=1
	s_or_b64 exec, exec, s[16:17]
	s_and_saveexec_b64 s[16:17], s[12:13]
	s_cbranch_execz .LBB239_299
.LBB239_298:                            ;   in Loop: Header=BB239_240 Depth=1
	v_and_b32_e32 v44, 7, v6
	v_ffbh_u32_e32 v42, v44
	v_min_u32_e32 v46, 32, v42
	v_subrev_u32_e32 v42, 28, v46
	v_bfe_u32 v45, v6, 3, 4
	v_lshlrev_b64 v[42:43], v42, v[6:7]
	v_sub_u32_e32 v43, 29, v46
	v_cmp_eq_u32_e64 s[0:1], 0, v45
	v_and_b32_e32 v42, 7, v42
	v_lshlrev_b32_e32 v6, 8, v6
	v_cndmask_b32_e64 v43, v45, v43, s[0:1]
	v_lshl_add_u32 v43, v43, 10, v27
	v_cndmask_b32_e64 v42, v44, v42, s[0:1]
	v_and_or_b32 v6, v6, s30, v43
	v_lshl_or_b32 v6, v42, 7, v6
	v_cvt_f32_f16_e32 v42, v6
.LBB239_299:                            ;   in Loop: Header=BB239_240 Depth=1
	s_or_b64 exec, exec, s[16:17]
	v_lshrrev_b32_e32 v6, 16, v17
	v_cmp_gt_i16_sdwa s[12:13], v6, s28 src0_sel:BYTE_0 src1_sel:DWORD
	s_mov_b64 s[0:1], 0
                                        ; implicit-def: $sgpr18
	s_and_saveexec_b64 s[16:17], s[12:13]
	s_xor_b64 s[12:13], exec, s[16:17]
	s_cbranch_execnz .LBB239_399
; %bb.300:                              ;   in Loop: Header=BB239_240 Depth=1
	s_or_saveexec_b64 s[12:13], s[12:13]
	v_mov_b32_e32 v43, s18
	s_xor_b64 exec, exec, s[12:13]
	s_cbranch_execnz .LBB239_402
.LBB239_301:                            ;   in Loop: Header=BB239_240 Depth=1
	s_or_b64 exec, exec, s[12:13]
	s_and_saveexec_b64 s[12:13], s[0:1]
	s_cbranch_execz .LBB239_303
.LBB239_302:                            ;   in Loop: Header=BB239_240 Depth=1
	v_bfe_u32 v43, v17, 16, 3
	v_ffbh_u32_e32 v44, v43
	v_min_u32_e32 v47, 32, v44
	v_subrev_u32_e32 v44, 28, v47
	v_bfe_u32 v46, v17, 19, 4
	v_lshlrev_b64 v[44:45], v44, v[6:7]
	v_sub_u32_e32 v45, 29, v47
	v_cmp_eq_u32_e64 s[0:1], 0, v46
	v_and_b32_e32 v44, 7, v44
	v_lshlrev_b32_e32 v6, 8, v6
	v_cndmask_b32_e64 v45, v46, v45, s[0:1]
	v_cndmask_b32_e64 v43, v43, v44, s[0:1]
	v_lshl_add_u32 v44, v45, 10, v27
	v_and_or_b32 v6, v6, s30, v44
	v_lshl_or_b32 v6, v43, 7, v6
	v_cvt_f32_f16_e32 v43, v6
.LBB239_303:                            ;   in Loop: Header=BB239_240 Depth=1
	s_or_b64 exec, exec, s[12:13]
	v_lshrrev_b32_e32 v6, 24, v17
	v_cmp_lt_i16_e64 s[0:1], s28, v6
	s_mov_b64 s[12:13], 0
                                        ; implicit-def: $sgpr41
	s_and_saveexec_b64 s[16:17], s[0:1]
	s_xor_b64 s[16:17], exec, s[16:17]
	s_cbranch_execnz .LBB239_403
; %bb.304:                              ;   in Loop: Header=BB239_240 Depth=1
	s_or_saveexec_b64 s[16:17], s[16:17]
	v_mov_b32_e32 v44, s41
	s_xor_b64 exec, exec, s[16:17]
	s_cbranch_execnz .LBB239_406
.LBB239_305:                            ;   in Loop: Header=BB239_240 Depth=1
	s_or_b64 exec, exec, s[16:17]
	s_and_saveexec_b64 s[16:17], s[12:13]
	s_cbranch_execz .LBB239_307
.LBB239_306:                            ;   in Loop: Header=BB239_240 Depth=1
	v_bfe_u32 v46, v17, 24, 3
	v_ffbh_u32_e32 v44, v46
	v_min_u32_e32 v47, 32, v44
	v_subrev_u32_e32 v44, 28, v47
	v_bfe_u32 v17, v17, 27, 4
	v_lshlrev_b64 v[44:45], v44, v[6:7]
	v_sub_u32_e32 v45, 29, v47
	v_cmp_eq_u32_e64 s[0:1], 0, v17
	v_and_b32_e32 v44, 7, v44
	v_lshlrev_b32_e32 v6, 8, v6
	v_cndmask_b32_e64 v17, v17, v45, s[0:1]
	v_lshl_add_u32 v17, v17, 10, v27
	v_cndmask_b32_e64 v44, v46, v44, s[0:1]
	v_and_or_b32 v6, v6, s30, v17
	v_lshl_or_b32 v6, v44, 7, v6
	v_cvt_f32_f16_e32 v44, v6
.LBB239_307:                            ;   in Loop: Header=BB239_240 Depth=1
	s_or_b64 exec, exec, s[16:17]
	s_waitcnt vmcnt(0)
	v_pk_mul_f32 v[20:21], v[14:15], v[20:21] op_sel_hi:[0,1]
	v_pk_mul_f32 v[18:19], v[14:15], v[18:19] op_sel_hi:[0,1]
	v_cvt_f16_f32_e32 v6, v21
	v_cvt_f16_f32_e32 v17, v20
	;; [unrolled: 1-line block ×4, first 2 shown]
	v_fma_mixlo_f16 v16, v14, v16, 0
	v_pack_b32_f16 v17, v17, v6
	v_pack_b32_f16 v18, v18, v19
	v_perm_b32 v6, v18, v17, s38
	v_perm_b32 v17, v18, v17, s39
	v_fma_mixlo_f16 v18, v14, v42, 0
	v_lshlrev_b32_e32 v18, 16, v18
	v_or_b32_sdwa v16, v18, v16 dst_sel:DWORD dst_unused:UNUSED_PAD src0_sel:DWORD src1_sel:WORD_0
	v_fma_mixlo_f16 v18, v14, v43, 0
	v_fma_mixlo_f16 v14, v14, v44, 0
	v_lshlrev_b32_e32 v14, 16, v14
	v_or_b32_sdwa v14, v14, v18 dst_sel:DWORD dst_unused:UNUSED_PAD src0_sel:DWORD src1_sel:WORD_0
	s_and_saveexec_b64 s[12:13], vcc
	s_cbranch_execz .LBB239_309
; %bb.308:                              ;   in Loop: Header=BB239_240 Depth=1
	v_lshrrev_b32_e32 v19, 16, v17
	v_cmp_gt_i32_e64 s[0:1], s37, v35
	v_lshrrev_b32_e32 v14, 16, v14
	s_nop 0
	v_cndmask_b32_e64 v19, 0, v19, s[0:1]
	v_cmp_gt_i32_e64 s[0:1], s33, v30
	s_nop 1
	v_cndmask_b32_e64 v17, 0, v17, s[0:1]
	v_perm_b32 v17, v19, v17, s40
	v_lshrrev_b32_e32 v19, 16, v6
	v_cmp_gt_i32_e64 s[0:1], s37, v34
	s_nop 1
	v_cndmask_b32_e64 v19, 0, v19, s[0:1]
	v_cmp_gt_i32_e64 s[0:1], s33, v33
	s_nop 1
	v_cndmask_b32_e64 v6, 0, v6, s[0:1]
	v_perm_b32 v6, v19, v6, s40
	v_lshrrev_b32_e32 v19, 16, v16
	v_cmp_gt_i32_e64 s[0:1], s37, v32
	s_nop 1
	v_cndmask_b32_e64 v19, 0, v19, s[0:1]
	v_cmp_gt_i32_e64 s[0:1], s33, v31
	s_nop 1
	v_cndmask_b32_e64 v16, 0, v16, s[0:1]
	v_cmp_gt_i32_e64 s[0:1], s37, v29
	v_perm_b32 v16, v19, v16, s40
	s_nop 0
	v_cndmask_b32_e64 v14, 0, v14, s[0:1]
	v_cmp_gt_i32_e64 s[0:1], s33, v28
	s_nop 1
	v_cndmask_b32_e64 v18, 0, v18, s[0:1]
	v_perm_b32 v14, v14, v18, s40
.LBB239_309:                            ;   in Loop: Header=BB239_240 Depth=1
	s_or_b64 exec, exec, s[12:13]
	;;#ASMSTART
	v_pk_mul_f16 v17, v39, v17;

	;;#ASMEND
	;;#ASMSTART
	v_pk_mul_f16 v6, v38, v6;

	;;#ASMEND
	;; [unrolled: 4-line block ×4, first 2 shown]
	s_mov_b64 s[0:1], 0
	;;#ASMSTART
	v_pk_add_f16 v6, v17, v6;

	;;#ASMEND
                                        ; implicit-def: $sgpr18
	s_nop 0
	;;#ASMSTART
	v_pk_add_f16 v6, v6, v16;

	;;#ASMEND
	s_nop 0
	;;#ASMSTART
	v_pk_add_f16 v6, v6, v14;

	;;#ASMEND
	s_nop 0
	v_lshrrev_b32_e32 v14, 16, v6
	v_and_b32_e32 v6, 0xffff, v6
	;;#ASMSTART
	v_cvt_f32_f16 v20, v6;
	;;#ASMEND
	;;#ASMSTART
	v_cvt_f32_f16 v21, v14;
	;;#ASMEND
	global_load_dwordx2 v[16:17], v[12:13], off offset:1024
	global_load_dword v14, v7, s[14:15]
	s_waitcnt vmcnt(1)
	v_cmp_gt_i16_sdwa s[12:13], v16, s28 src0_sel:BYTE_0 src1_sel:DWORD
	s_and_saveexec_b64 s[16:17], s[12:13]
	s_xor_b64 s[12:13], exec, s[16:17]
	s_cbranch_execnz .LBB239_407
; %bb.310:                              ;   in Loop: Header=BB239_240 Depth=1
	s_or_saveexec_b64 s[12:13], s[12:13]
	v_mov_b32_e32 v12, s18
	s_xor_b64 exec, exec, s[12:13]
	s_cbranch_execnz .LBB239_410
.LBB239_311:                            ;   in Loop: Header=BB239_240 Depth=1
	s_or_b64 exec, exec, s[12:13]
	s_and_saveexec_b64 s[12:13], s[0:1]
	s_cbranch_execz .LBB239_313
.LBB239_312:                            ;   in Loop: Header=BB239_240 Depth=1
	v_and_b32_e32 v6, 7, v16
	v_ffbh_u32_e32 v6, v6
	v_bfe_u32 v12, v16, 3, 4
	v_min_u32_e32 v6, 32, v6
	v_subrev_u32_e32 v13, 28, v6
	v_sub_u32_e32 v6, 29, v6
	v_cmp_eq_u32_e64 s[0:1], 0, v12
	s_nop 1
	v_cndmask_b32_e64 v6, v12, v6, s[0:1]
	v_cndmask_b32_e64 v12, 0, v13, s[0:1]
	v_lshlrev_b64 v[12:13], v12, v[16:17]
	v_lshlrev_b32_e32 v13, 8, v16
	v_lshl_add_u32 v6, v6, 10, v27
	v_lshlrev_b32_e32 v12, 7, v12
	v_and_or_b32 v6, v13, s30, v6
	v_and_or_b32 v6, v12, s31, v6
	v_cvt_f32_f16_e32 v12, v6
.LBB239_313:                            ;   in Loop: Header=BB239_240 Depth=1
	s_or_b64 exec, exec, s[12:13]
	v_lshrrev_b16_e32 v6, 8, v16
	v_cmp_lt_i16_e64 s[0:1], s28, v6
	s_mov_b64 s[12:13], 0
                                        ; implicit-def: $sgpr41
	s_and_saveexec_b64 s[16:17], s[0:1]
	s_xor_b64 s[16:17], exec, s[16:17]
	s_cbranch_execnz .LBB239_411
; %bb.314:                              ;   in Loop: Header=BB239_240 Depth=1
	s_or_saveexec_b64 s[16:17], s[16:17]
	v_mov_b32_e32 v18, s41
	s_xor_b64 exec, exec, s[16:17]
	s_cbranch_execnz .LBB239_414
.LBB239_315:                            ;   in Loop: Header=BB239_240 Depth=1
	s_or_b64 exec, exec, s[16:17]
	s_and_saveexec_b64 s[16:17], s[12:13]
	s_cbranch_execz .LBB239_317
.LBB239_316:                            ;   in Loop: Header=BB239_240 Depth=1
	v_and_b32_e32 v13, 7, v6
	v_ffbh_u32_e32 v18, v13
	v_min_u32_e32 v43, 32, v18
	v_subrev_u32_e32 v18, 28, v43
	v_bfe_u32 v42, v6, 3, 4
	v_lshlrev_b64 v[18:19], v18, v[6:7]
	v_sub_u32_e32 v19, 29, v43
	v_cmp_eq_u32_e64 s[0:1], 0, v42
	v_and_b32_e32 v18, 7, v18
	v_lshlrev_b32_e32 v6, 8, v6
	v_cndmask_b32_e64 v19, v42, v19, s[0:1]
	v_cndmask_b32_e64 v13, v13, v18, s[0:1]
	v_lshl_add_u32 v18, v19, 10, v27
	v_and_or_b32 v6, v6, s30, v18
	v_lshl_or_b32 v6, v13, 7, v6
	v_cvt_f32_f16_e32 v18, v6
.LBB239_317:                            ;   in Loop: Header=BB239_240 Depth=1
	s_or_b64 exec, exec, s[16:17]
	v_lshrrev_b32_e32 v6, 16, v16
	v_cmp_gt_i16_sdwa s[12:13], v6, s28 src0_sel:BYTE_0 src1_sel:DWORD
	s_mov_b64 s[0:1], 0
                                        ; implicit-def: $sgpr18
	s_and_saveexec_b64 s[16:17], s[12:13]
	s_xor_b64 s[12:13], exec, s[16:17]
	s_cbranch_execnz .LBB239_415
; %bb.318:                              ;   in Loop: Header=BB239_240 Depth=1
	s_or_saveexec_b64 s[12:13], s[12:13]
	v_mov_b32_e32 v13, s18
	s_xor_b64 exec, exec, s[12:13]
	s_cbranch_execnz .LBB239_418
.LBB239_319:                            ;   in Loop: Header=BB239_240 Depth=1
	s_or_b64 exec, exec, s[12:13]
	s_and_saveexec_b64 s[12:13], s[0:1]
	s_cbranch_execz .LBB239_321
.LBB239_320:                            ;   in Loop: Header=BB239_240 Depth=1
	v_bfe_u32 v13, v16, 16, 3
	v_ffbh_u32_e32 v42, v13
	v_min_u32_e32 v44, 32, v42
	v_subrev_u32_e32 v42, 28, v44
	v_bfe_u32 v19, v16, 19, 4
	v_lshlrev_b64 v[42:43], v42, v[6:7]
	v_sub_u32_e32 v43, 29, v44
	v_cmp_eq_u32_e64 s[0:1], 0, v19
	v_and_b32_e32 v42, 7, v42
	v_lshlrev_b32_e32 v6, 8, v6
	v_cndmask_b32_e64 v19, v19, v43, s[0:1]
	v_lshl_add_u32 v19, v19, 10, v27
	v_cndmask_b32_e64 v13, v13, v42, s[0:1]
	v_and_or_b32 v6, v6, s30, v19
	v_lshl_or_b32 v6, v13, 7, v6
	v_cvt_f32_f16_e32 v13, v6
.LBB239_321:                            ;   in Loop: Header=BB239_240 Depth=1
	s_or_b64 exec, exec, s[12:13]
	v_lshrrev_b32_e32 v6, 24, v16
	v_cmp_lt_i16_e64 s[0:1], s28, v6
	s_mov_b64 s[12:13], 0
                                        ; implicit-def: $sgpr41
	s_and_saveexec_b64 s[16:17], s[0:1]
	s_xor_b64 s[16:17], exec, s[16:17]
	s_cbranch_execnz .LBB239_419
; %bb.322:                              ;   in Loop: Header=BB239_240 Depth=1
	s_or_saveexec_b64 s[16:17], s[16:17]
	v_mov_b32_e32 v19, s41
	s_xor_b64 exec, exec, s[16:17]
	s_cbranch_execnz .LBB239_422
.LBB239_323:                            ;   in Loop: Header=BB239_240 Depth=1
	s_or_b64 exec, exec, s[16:17]
	s_and_saveexec_b64 s[16:17], s[12:13]
	s_cbranch_execz .LBB239_325
.LBB239_324:                            ;   in Loop: Header=BB239_240 Depth=1
	v_bfe_u32 v19, v16, 24, 3
	v_ffbh_u32_e32 v42, v19
	v_min_u32_e32 v44, 32, v42
	v_subrev_u32_e32 v42, 28, v44
	v_bfe_u32 v16, v16, 27, 4
	v_lshlrev_b64 v[42:43], v42, v[6:7]
	v_sub_u32_e32 v43, 29, v44
	v_cmp_eq_u32_e64 s[0:1], 0, v16
	v_and_b32_e32 v42, 7, v42
	v_lshlrev_b32_e32 v6, 8, v6
	v_cndmask_b32_e64 v16, v16, v43, s[0:1]
	v_lshl_add_u32 v16, v16, 10, v27
	v_cndmask_b32_e64 v19, v19, v42, s[0:1]
	v_and_or_b32 v6, v6, s30, v16
	v_lshl_or_b32 v6, v19, 7, v6
	v_cvt_f32_f16_e32 v19, v6
.LBB239_325:                            ;   in Loop: Header=BB239_240 Depth=1
	s_or_b64 exec, exec, s[16:17]
	v_cmp_gt_i16_sdwa s[12:13], v17, s28 src0_sel:BYTE_0 src1_sel:DWORD
	s_mov_b64 s[0:1], 0
                                        ; implicit-def: $sgpr18
	s_and_saveexec_b64 s[16:17], s[12:13]
	s_xor_b64 s[12:13], exec, s[16:17]
	s_cbranch_execnz .LBB239_423
; %bb.326:                              ;   in Loop: Header=BB239_240 Depth=1
	s_or_saveexec_b64 s[12:13], s[12:13]
	v_mov_b32_e32 v16, s18
	s_xor_b64 exec, exec, s[12:13]
	s_cbranch_execnz .LBB239_426
.LBB239_327:                            ;   in Loop: Header=BB239_240 Depth=1
	s_or_b64 exec, exec, s[12:13]
	v_mov_b32_e32 v6, v17
	s_and_saveexec_b64 s[12:13], s[0:1]
	s_cbranch_execz .LBB239_329
.LBB239_328:                            ;   in Loop: Header=BB239_240 Depth=1
	v_and_b32_e32 v16, 7, v17
	v_ffbh_u32_e32 v16, v16
	v_bfe_u32 v42, v17, 3, 4
	v_min_u32_e32 v16, 32, v16
	v_subrev_u32_e32 v43, 28, v16
	v_sub_u32_e32 v16, 29, v16
	v_cmp_eq_u32_e64 s[0:1], 0, v42
	s_nop 1
	v_cndmask_b32_e64 v16, v42, v16, s[0:1]
	v_cndmask_b32_e64 v42, 0, v43, s[0:1]
	v_lshlrev_b64 v[42:43], v42, v[6:7]
	v_lshlrev_b32_e32 v43, 8, v17
	v_lshl_add_u32 v16, v16, 10, v27
	v_lshlrev_b32_e32 v42, 7, v42
	v_and_or_b32 v16, v43, s30, v16
	v_and_or_b32 v16, v42, s31, v16
	v_cvt_f32_f16_e32 v16, v16
.LBB239_329:                            ;   in Loop: Header=BB239_240 Depth=1
	s_or_b64 exec, exec, s[12:13]
	v_lshrrev_b16_e32 v6, 8, v6
	v_cmp_lt_i16_e64 s[0:1], s28, v6
	s_mov_b64 s[12:13], 0
                                        ; implicit-def: $sgpr41
	s_and_saveexec_b64 s[16:17], s[0:1]
	s_xor_b64 s[16:17], exec, s[16:17]
	s_cbranch_execnz .LBB239_427
; %bb.330:                              ;   in Loop: Header=BB239_240 Depth=1
	s_or_saveexec_b64 s[16:17], s[16:17]
	v_mov_b32_e32 v42, s41
	s_xor_b64 exec, exec, s[16:17]
	s_cbranch_execnz .LBB239_430
.LBB239_331:                            ;   in Loop: Header=BB239_240 Depth=1
	s_or_b64 exec, exec, s[16:17]
	s_and_saveexec_b64 s[16:17], s[12:13]
	s_cbranch_execz .LBB239_333
.LBB239_332:                            ;   in Loop: Header=BB239_240 Depth=1
	v_and_b32_e32 v44, 7, v6
	v_ffbh_u32_e32 v42, v44
	v_min_u32_e32 v46, 32, v42
	v_subrev_u32_e32 v42, 28, v46
	v_bfe_u32 v45, v6, 3, 4
	v_lshlrev_b64 v[42:43], v42, v[6:7]
	v_sub_u32_e32 v43, 29, v46
	v_cmp_eq_u32_e64 s[0:1], 0, v45
	v_and_b32_e32 v42, 7, v42
	v_lshlrev_b32_e32 v6, 8, v6
	v_cndmask_b32_e64 v43, v45, v43, s[0:1]
	v_lshl_add_u32 v43, v43, 10, v27
	v_cndmask_b32_e64 v42, v44, v42, s[0:1]
	v_and_or_b32 v6, v6, s30, v43
	v_lshl_or_b32 v6, v42, 7, v6
	v_cvt_f32_f16_e32 v42, v6
.LBB239_333:                            ;   in Loop: Header=BB239_240 Depth=1
	s_or_b64 exec, exec, s[16:17]
	v_lshrrev_b32_e32 v6, 16, v17
	v_cmp_gt_i16_sdwa s[12:13], v6, s28 src0_sel:BYTE_0 src1_sel:DWORD
	s_mov_b64 s[0:1], 0
                                        ; implicit-def: $sgpr18
	s_and_saveexec_b64 s[16:17], s[12:13]
	s_xor_b64 s[12:13], exec, s[16:17]
	s_cbranch_execnz .LBB239_431
; %bb.334:                              ;   in Loop: Header=BB239_240 Depth=1
	s_or_saveexec_b64 s[12:13], s[12:13]
	v_mov_b32_e32 v43, s18
	s_xor_b64 exec, exec, s[12:13]
	s_cbranch_execnz .LBB239_434
.LBB239_335:                            ;   in Loop: Header=BB239_240 Depth=1
	s_or_b64 exec, exec, s[12:13]
	s_and_saveexec_b64 s[12:13], s[0:1]
	s_cbranch_execz .LBB239_337
.LBB239_336:                            ;   in Loop: Header=BB239_240 Depth=1
	v_bfe_u32 v43, v17, 16, 3
	v_ffbh_u32_e32 v44, v43
	v_min_u32_e32 v47, 32, v44
	v_subrev_u32_e32 v44, 28, v47
	v_bfe_u32 v46, v17, 19, 4
	v_lshlrev_b64 v[44:45], v44, v[6:7]
	v_sub_u32_e32 v45, 29, v47
	v_cmp_eq_u32_e64 s[0:1], 0, v46
	v_and_b32_e32 v44, 7, v44
	v_lshlrev_b32_e32 v6, 8, v6
	v_cndmask_b32_e64 v45, v46, v45, s[0:1]
	v_cndmask_b32_e64 v43, v43, v44, s[0:1]
	v_lshl_add_u32 v44, v45, 10, v27
	v_and_or_b32 v6, v6, s30, v44
	v_lshl_or_b32 v6, v43, 7, v6
	v_cvt_f32_f16_e32 v43, v6
.LBB239_337:                            ;   in Loop: Header=BB239_240 Depth=1
	s_or_b64 exec, exec, s[12:13]
	v_lshrrev_b32_e32 v6, 24, v17
	v_cmp_lt_i16_e64 s[0:1], s28, v6
	s_mov_b64 s[12:13], 0
                                        ; implicit-def: $sgpr41
	s_and_saveexec_b64 s[16:17], s[0:1]
	s_xor_b64 s[16:17], exec, s[16:17]
	s_cbranch_execnz .LBB239_435
; %bb.338:                              ;   in Loop: Header=BB239_240 Depth=1
	s_or_saveexec_b64 s[16:17], s[16:17]
	v_mov_b32_e32 v44, s41
	s_xor_b64 exec, exec, s[16:17]
	s_cbranch_execnz .LBB239_438
.LBB239_339:                            ;   in Loop: Header=BB239_240 Depth=1
	s_or_b64 exec, exec, s[16:17]
	s_and_saveexec_b64 s[16:17], s[12:13]
	s_cbranch_execz .LBB239_341
.LBB239_340:                            ;   in Loop: Header=BB239_240 Depth=1
	v_bfe_u32 v46, v17, 24, 3
	v_ffbh_u32_e32 v44, v46
	v_min_u32_e32 v47, 32, v44
	v_subrev_u32_e32 v44, 28, v47
	v_bfe_u32 v17, v17, 27, 4
	v_lshlrev_b64 v[44:45], v44, v[6:7]
	v_sub_u32_e32 v45, 29, v47
	v_cmp_eq_u32_e64 s[0:1], 0, v17
	v_and_b32_e32 v44, 7, v44
	v_lshlrev_b32_e32 v6, 8, v6
	v_cndmask_b32_e64 v17, v17, v45, s[0:1]
	v_lshl_add_u32 v17, v17, 10, v27
	v_cndmask_b32_e64 v44, v46, v44, s[0:1]
	v_and_or_b32 v6, v6, s30, v17
	v_lshl_or_b32 v6, v44, 7, v6
	v_cvt_f32_f16_e32 v44, v6
.LBB239_341:                            ;   in Loop: Header=BB239_240 Depth=1
	s_or_b64 exec, exec, s[16:17]
	s_waitcnt vmcnt(0)
	v_pk_mul_f32 v[18:19], v[14:15], v[18:19] op_sel_hi:[0,1]
	v_pk_mul_f32 v[12:13], v[14:15], v[12:13] op_sel_hi:[0,1]
	v_cvt_f16_f32_e32 v6, v19
	v_cvt_f16_f32_e32 v17, v18
	v_cvt_f16_f32_e32 v13, v13
	v_cvt_f16_f32_e32 v12, v12
	v_fma_mixlo_f16 v16, v14, v16, 0
	v_pack_b32_f16 v17, v17, v6
	v_pack_b32_f16 v12, v12, v13
	v_perm_b32 v6, v12, v17, s38
	v_perm_b32 v13, v12, v17, s39
	v_fma_mixlo_f16 v12, v14, v42, 0
	v_lshlrev_b32_e32 v12, 16, v12
	v_or_b32_sdwa v12, v12, v16 dst_sel:DWORD dst_unused:UNUSED_PAD src0_sel:DWORD src1_sel:WORD_0
	v_fma_mixlo_f16 v16, v14, v43, 0
	v_fma_mixlo_f16 v14, v14, v44, 0
	v_lshlrev_b32_e32 v14, 16, v14
	v_or_b32_sdwa v14, v14, v16 dst_sel:DWORD dst_unused:UNUSED_PAD src0_sel:DWORD src1_sel:WORD_0
	s_and_saveexec_b64 s[0:1], vcc
	s_cbranch_execz .LBB239_238
; %bb.342:                              ;   in Loop: Header=BB239_240 Depth=1
	v_lshrrev_b32_e32 v17, 16, v13
	v_cmp_gt_i32_e32 vcc, s37, v35
	v_lshrrev_b32_e32 v14, 16, v14
	s_nop 0
	v_cndmask_b32_e32 v17, 0, v17, vcc
	v_cmp_gt_i32_e32 vcc, s33, v30
	s_nop 1
	v_cndmask_b32_e32 v13, 0, v13, vcc
	v_perm_b32 v13, v17, v13, s40
	v_lshrrev_b32_e32 v17, 16, v6
	v_cmp_gt_i32_e32 vcc, s37, v34
	s_nop 1
	v_cndmask_b32_e32 v17, 0, v17, vcc
	v_cmp_gt_i32_e32 vcc, s33, v33
	s_nop 1
	v_cndmask_b32_e32 v6, 0, v6, vcc
	v_perm_b32 v6, v17, v6, s40
	v_lshrrev_b32_e32 v17, 16, v12
	v_cmp_gt_i32_e32 vcc, s37, v32
	s_nop 1
	v_cndmask_b32_e32 v17, 0, v17, vcc
	v_cmp_gt_i32_e32 vcc, s33, v31
	s_nop 1
	v_cndmask_b32_e32 v12, 0, v12, vcc
	v_cmp_gt_i32_e32 vcc, s37, v29
	v_perm_b32 v12, v17, v12, s40
	s_nop 0
	v_cndmask_b32_e32 v14, 0, v14, vcc
	v_cmp_gt_i32_e32 vcc, s33, v28
	s_nop 1
	v_cndmask_b32_e32 v16, 0, v16, vcc
	v_perm_b32 v14, v14, v16, s40
	s_branch .LBB239_238
.LBB239_343:                            ;   in Loop: Header=BB239_240 Depth=1
	v_cmp_eq_u16_sdwa s[42:43], v16, s29 src0_sel:BYTE_0 src1_sel:DWORD
	s_mov_b64 s[0:1], -1
                                        ; implicit-def: $sgpr18
	s_and_saveexec_b64 s[16:17], s[42:43]
; %bb.344:                              ;   in Loop: Header=BB239_240 Depth=1
	s_mov_b32 s18, 0x7fc02000
	s_xor_b64 s[0:1], exec, -1
; %bb.345:                              ;   in Loop: Header=BB239_240 Depth=1
	s_or_b64 exec, exec, s[16:17]
	s_and_b64 s[0:1], s[0:1], exec
	s_or_saveexec_b64 s[12:13], s[12:13]
	v_mov_b32_e32 v18, s18
	s_xor_b64 exec, exec, s[12:13]
	s_cbranch_execz .LBB239_243
.LBB239_346:                            ;   in Loop: Header=BB239_240 Depth=1
	v_cmp_ne_u16_sdwa s[16:17], v16, v7 src0_sel:BYTE_0 src1_sel:DWORD
	s_andn2_b64 s[0:1], s[0:1], exec
	s_and_b64 s[16:17], s[16:17], exec
	v_mov_b32_e32 v18, 0
	s_or_b64 s[0:1], s[0:1], s[16:17]
	s_or_b64 exec, exec, s[12:13]
	s_and_saveexec_b64 s[12:13], s[0:1]
	s_cbranch_execnz .LBB239_244
	s_branch .LBB239_245
.LBB239_347:                            ;   in Loop: Header=BB239_240 Depth=1
	v_cmp_eq_u16_e32 vcc, s29, v6
	s_mov_b64 s[0:1], -1
                                        ; implicit-def: $sgpr18
	s_and_saveexec_b64 s[16:17], vcc
; %bb.348:                              ;   in Loop: Header=BB239_240 Depth=1
	s_mov_b32 s18, 0x7fc02000
	s_xor_b64 s[0:1], exec, -1
; %bb.349:                              ;   in Loop: Header=BB239_240 Depth=1
	s_or_b64 exec, exec, s[16:17]
	s_and_b64 s[0:1], s[0:1], exec
	s_or_saveexec_b64 s[12:13], s[12:13]
	v_mov_b32_e32 v20, s18
	s_xor_b64 exec, exec, s[12:13]
	s_cbranch_execz .LBB239_247
.LBB239_350:                            ;   in Loop: Header=BB239_240 Depth=1
	v_cmp_ne_u16_e32 vcc, 0, v6
	s_andn2_b64 s[0:1], s[0:1], exec
	s_and_b64 s[16:17], vcc, exec
	v_mov_b32_e32 v20, 0
	s_or_b64 s[0:1], s[0:1], s[16:17]
	s_or_b64 exec, exec, s[12:13]
	s_and_saveexec_b64 s[12:13], s[0:1]
	s_cbranch_execnz .LBB239_248
	s_branch .LBB239_249
.LBB239_351:                            ;   in Loop: Header=BB239_240 Depth=1
	v_cmp_eq_u16_sdwa s[42:43], v6, s29 src0_sel:BYTE_0 src1_sel:DWORD
	s_mov_b64 s[0:1], -1
                                        ; implicit-def: $sgpr18
	s_and_saveexec_b64 s[16:17], s[42:43]
; %bb.352:                              ;   in Loop: Header=BB239_240 Depth=1
	s_mov_b32 s18, 0x7fc02000
	s_xor_b64 s[0:1], exec, -1
; %bb.353:                              ;   in Loop: Header=BB239_240 Depth=1
	s_or_b64 exec, exec, s[16:17]
	s_and_b64 s[0:1], s[0:1], exec
	s_or_saveexec_b64 s[12:13], s[12:13]
	v_mov_b32_e32 v19, s18
	s_xor_b64 exec, exec, s[12:13]
	s_cbranch_execz .LBB239_251
.LBB239_354:                            ;   in Loop: Header=BB239_240 Depth=1
	v_cmp_ne_u16_sdwa s[16:17], v6, v7 src0_sel:BYTE_0 src1_sel:DWORD
	s_andn2_b64 s[0:1], s[0:1], exec
	s_and_b64 s[16:17], s[16:17], exec
	v_mov_b32_e32 v19, 0
	s_or_b64 s[0:1], s[0:1], s[16:17]
	s_or_b64 exec, exec, s[12:13]
	s_and_saveexec_b64 s[12:13], s[0:1]
	s_cbranch_execnz .LBB239_252
	s_branch .LBB239_253
.LBB239_355:                            ;   in Loop: Header=BB239_240 Depth=1
	v_cmp_eq_u16_e32 vcc, s29, v6
	s_mov_b64 s[0:1], -1
                                        ; implicit-def: $sgpr18
	s_and_saveexec_b64 s[16:17], vcc
; %bb.356:                              ;   in Loop: Header=BB239_240 Depth=1
	s_mov_b32 s18, 0x7fc02000
	s_xor_b64 s[0:1], exec, -1
; %bb.357:                              ;   in Loop: Header=BB239_240 Depth=1
	s_or_b64 exec, exec, s[16:17]
	s_and_b64 s[0:1], s[0:1], exec
	s_or_saveexec_b64 s[12:13], s[12:13]
	v_mov_b32_e32 v21, s18
	s_xor_b64 exec, exec, s[12:13]
	s_cbranch_execz .LBB239_255
.LBB239_358:                            ;   in Loop: Header=BB239_240 Depth=1
	v_cmp_ne_u16_e32 vcc, 0, v6
	s_andn2_b64 s[0:1], s[0:1], exec
	s_and_b64 s[16:17], vcc, exec
	v_mov_b32_e32 v21, 0
	s_or_b64 s[0:1], s[0:1], s[16:17]
	s_or_b64 exec, exec, s[12:13]
	s_and_saveexec_b64 s[12:13], s[0:1]
	s_cbranch_execnz .LBB239_256
	s_branch .LBB239_257
.LBB239_359:                            ;   in Loop: Header=BB239_240 Depth=1
	v_cmp_eq_u16_sdwa s[42:43], v17, s29 src0_sel:BYTE_0 src1_sel:DWORD
	s_mov_b64 s[0:1], -1
                                        ; implicit-def: $sgpr18
	s_and_saveexec_b64 s[16:17], s[42:43]
; %bb.360:                              ;   in Loop: Header=BB239_240 Depth=1
	s_mov_b32 s18, 0x7fc02000
	s_xor_b64 s[0:1], exec, -1
; %bb.361:                              ;   in Loop: Header=BB239_240 Depth=1
	s_or_b64 exec, exec, s[16:17]
	s_and_b64 s[0:1], s[0:1], exec
	s_or_saveexec_b64 s[12:13], s[12:13]
	v_mov_b32_e32 v16, s18
	s_xor_b64 exec, exec, s[12:13]
	s_cbranch_execz .LBB239_259
.LBB239_362:                            ;   in Loop: Header=BB239_240 Depth=1
	v_cmp_ne_u16_sdwa s[16:17], v17, v7 src0_sel:BYTE_0 src1_sel:DWORD
	s_andn2_b64 s[0:1], s[0:1], exec
	s_and_b64 s[16:17], s[16:17], exec
	v_mov_b32_e32 v16, 0
	s_or_b64 s[0:1], s[0:1], s[16:17]
	s_or_b64 exec, exec, s[12:13]
	v_mov_b32_e32 v6, v17
	s_and_saveexec_b64 s[12:13], s[0:1]
	s_cbranch_execnz .LBB239_260
	s_branch .LBB239_261
.LBB239_363:                            ;   in Loop: Header=BB239_240 Depth=1
	v_cmp_eq_u16_e32 vcc, s29, v6
	s_mov_b64 s[0:1], -1
                                        ; implicit-def: $sgpr18
	s_and_saveexec_b64 s[16:17], vcc
; %bb.364:                              ;   in Loop: Header=BB239_240 Depth=1
	s_mov_b32 s18, 0x7fc02000
	s_xor_b64 s[0:1], exec, -1
; %bb.365:                              ;   in Loop: Header=BB239_240 Depth=1
	s_or_b64 exec, exec, s[16:17]
	s_and_b64 s[0:1], s[0:1], exec
	s_or_saveexec_b64 s[12:13], s[12:13]
	v_mov_b32_e32 v28, s18
	s_xor_b64 exec, exec, s[12:13]
	s_cbranch_execz .LBB239_263
.LBB239_366:                            ;   in Loop: Header=BB239_240 Depth=1
	v_cmp_ne_u16_e32 vcc, 0, v6
	s_andn2_b64 s[0:1], s[0:1], exec
	s_and_b64 s[16:17], vcc, exec
	v_mov_b32_e32 v28, 0
	s_or_b64 s[0:1], s[0:1], s[16:17]
	s_or_b64 exec, exec, s[12:13]
	s_and_saveexec_b64 s[12:13], s[0:1]
	s_cbranch_execnz .LBB239_264
	s_branch .LBB239_265
.LBB239_367:                            ;   in Loop: Header=BB239_240 Depth=1
	v_cmp_eq_u16_sdwa s[42:43], v6, s29 src0_sel:BYTE_0 src1_sel:DWORD
	s_mov_b64 s[0:1], -1
                                        ; implicit-def: $sgpr18
	s_and_saveexec_b64 s[16:17], s[42:43]
; %bb.368:                              ;   in Loop: Header=BB239_240 Depth=1
	s_mov_b32 s18, 0x7fc02000
	s_xor_b64 s[0:1], exec, -1
; %bb.369:                              ;   in Loop: Header=BB239_240 Depth=1
	s_or_b64 exec, exec, s[16:17]
	s_and_b64 s[0:1], s[0:1], exec
	s_or_saveexec_b64 s[12:13], s[12:13]
	v_mov_b32_e32 v29, s18
	s_xor_b64 exec, exec, s[12:13]
	s_cbranch_execz .LBB239_267
.LBB239_370:                            ;   in Loop: Header=BB239_240 Depth=1
	v_cmp_ne_u16_sdwa s[16:17], v6, v7 src0_sel:BYTE_0 src1_sel:DWORD
	s_andn2_b64 s[0:1], s[0:1], exec
	s_and_b64 s[16:17], s[16:17], exec
	v_mov_b32_e32 v29, 0
	s_or_b64 s[0:1], s[0:1], s[16:17]
	s_or_b64 exec, exec, s[12:13]
	s_and_saveexec_b64 s[12:13], s[0:1]
	s_cbranch_execnz .LBB239_268
	s_branch .LBB239_269
.LBB239_371:                            ;   in Loop: Header=BB239_240 Depth=1
	v_cmp_eq_u16_e32 vcc, s29, v6
	s_mov_b64 s[0:1], -1
                                        ; implicit-def: $sgpr18
	s_and_saveexec_b64 s[16:17], vcc
; %bb.372:                              ;   in Loop: Header=BB239_240 Depth=1
	s_mov_b32 s18, 0x7fc02000
	s_xor_b64 s[0:1], exec, -1
; %bb.373:                              ;   in Loop: Header=BB239_240 Depth=1
	s_or_b64 exec, exec, s[16:17]
	s_and_b64 s[0:1], s[0:1], exec
	s_or_saveexec_b64 s[12:13], s[12:13]
	v_mov_b32_e32 v31, s18
	s_xor_b64 exec, exec, s[12:13]
	s_cbranch_execz .LBB239_271
.LBB239_374:                            ;   in Loop: Header=BB239_240 Depth=1
	v_cmp_ne_u16_e32 vcc, 0, v6
	s_andn2_b64 s[0:1], s[0:1], exec
	s_and_b64 s[16:17], vcc, exec
	v_mov_b32_e32 v31, 0
	s_or_b64 s[0:1], s[0:1], s[16:17]
	s_or_b64 exec, exec, s[12:13]
	s_and_saveexec_b64 s[12:13], s[0:1]
	s_cbranch_execnz .LBB239_272
	s_branch .LBB239_273
.LBB239_375:                            ;   in Loop: Header=BB239_240 Depth=1
	v_cmp_eq_u16_sdwa s[42:43], v16, s29 src0_sel:BYTE_0 src1_sel:DWORD
	s_mov_b64 s[0:1], -1
                                        ; implicit-def: $sgpr18
	s_and_saveexec_b64 s[16:17], s[42:43]
; %bb.376:                              ;   in Loop: Header=BB239_240 Depth=1
	s_mov_b32 s18, 0x7fc02000
	s_xor_b64 s[0:1], exec, -1
; %bb.377:                              ;   in Loop: Header=BB239_240 Depth=1
	s_or_b64 exec, exec, s[16:17]
	s_and_b64 s[0:1], s[0:1], exec
	s_or_saveexec_b64 s[12:13], s[12:13]
	v_mov_b32_e32 v18, s18
	s_xor_b64 exec, exec, s[12:13]
	s_cbranch_execz .LBB239_277
.LBB239_378:                            ;   in Loop: Header=BB239_240 Depth=1
	v_cmp_ne_u16_sdwa s[16:17], v16, v7 src0_sel:BYTE_0 src1_sel:DWORD
	s_andn2_b64 s[0:1], s[0:1], exec
	s_and_b64 s[16:17], s[16:17], exec
	v_mov_b32_e32 v18, 0
	s_or_b64 s[0:1], s[0:1], s[16:17]
	s_or_b64 exec, exec, s[12:13]
	s_and_saveexec_b64 s[12:13], s[0:1]
	s_cbranch_execnz .LBB239_278
	s_branch .LBB239_279
.LBB239_379:                            ;   in Loop: Header=BB239_240 Depth=1
	v_cmp_eq_u16_e64 s[0:1], s29, v6
	s_mov_b64 s[12:13], -1
                                        ; implicit-def: $sgpr41
	s_and_saveexec_b64 s[18:19], s[0:1]
; %bb.380:                              ;   in Loop: Header=BB239_240 Depth=1
	s_mov_b32 s41, 0x7fc02000
	s_xor_b64 s[12:13], exec, -1
; %bb.381:                              ;   in Loop: Header=BB239_240 Depth=1
	s_or_b64 exec, exec, s[18:19]
	s_and_b64 s[12:13], s[12:13], exec
	s_or_saveexec_b64 s[16:17], s[16:17]
	v_mov_b32_e32 v20, s41
	s_xor_b64 exec, exec, s[16:17]
	s_cbranch_execz .LBB239_281
.LBB239_382:                            ;   in Loop: Header=BB239_240 Depth=1
	v_cmp_ne_u16_e64 s[0:1], 0, v6
	s_andn2_b64 s[12:13], s[12:13], exec
	s_and_b64 s[0:1], s[0:1], exec
	v_mov_b32_e32 v20, 0
	s_or_b64 s[12:13], s[12:13], s[0:1]
	s_or_b64 exec, exec, s[16:17]
	s_and_saveexec_b64 s[16:17], s[12:13]
	s_cbranch_execnz .LBB239_282
	s_branch .LBB239_283
.LBB239_383:                            ;   in Loop: Header=BB239_240 Depth=1
	v_cmp_eq_u16_sdwa s[42:43], v6, s29 src0_sel:BYTE_0 src1_sel:DWORD
	s_mov_b64 s[0:1], -1
                                        ; implicit-def: $sgpr18
	s_and_saveexec_b64 s[16:17], s[42:43]
; %bb.384:                              ;   in Loop: Header=BB239_240 Depth=1
	s_mov_b32 s18, 0x7fc02000
	s_xor_b64 s[0:1], exec, -1
; %bb.385:                              ;   in Loop: Header=BB239_240 Depth=1
	s_or_b64 exec, exec, s[16:17]
	s_and_b64 s[0:1], s[0:1], exec
	s_or_saveexec_b64 s[12:13], s[12:13]
	v_mov_b32_e32 v19, s18
	s_xor_b64 exec, exec, s[12:13]
	s_cbranch_execz .LBB239_285
.LBB239_386:                            ;   in Loop: Header=BB239_240 Depth=1
	v_cmp_ne_u16_sdwa s[16:17], v6, v7 src0_sel:BYTE_0 src1_sel:DWORD
	s_andn2_b64 s[0:1], s[0:1], exec
	s_and_b64 s[16:17], s[16:17], exec
	v_mov_b32_e32 v19, 0
	s_or_b64 s[0:1], s[0:1], s[16:17]
	s_or_b64 exec, exec, s[12:13]
	s_and_saveexec_b64 s[12:13], s[0:1]
	s_cbranch_execnz .LBB239_286
	s_branch .LBB239_287
.LBB239_387:                            ;   in Loop: Header=BB239_240 Depth=1
	v_cmp_eq_u16_e64 s[0:1], s29, v6
	s_mov_b64 s[12:13], -1
                                        ; implicit-def: $sgpr41
	s_and_saveexec_b64 s[18:19], s[0:1]
; %bb.388:                              ;   in Loop: Header=BB239_240 Depth=1
	s_mov_b32 s41, 0x7fc02000
	s_xor_b64 s[12:13], exec, -1
; %bb.389:                              ;   in Loop: Header=BB239_240 Depth=1
	s_or_b64 exec, exec, s[18:19]
	s_and_b64 s[12:13], s[12:13], exec
	s_or_saveexec_b64 s[16:17], s[16:17]
	v_mov_b32_e32 v21, s41
	s_xor_b64 exec, exec, s[16:17]
	s_cbranch_execz .LBB239_289
.LBB239_390:                            ;   in Loop: Header=BB239_240 Depth=1
	v_cmp_ne_u16_e64 s[0:1], 0, v6
	s_andn2_b64 s[12:13], s[12:13], exec
	s_and_b64 s[0:1], s[0:1], exec
	v_mov_b32_e32 v21, 0
	s_or_b64 s[12:13], s[12:13], s[0:1]
	s_or_b64 exec, exec, s[16:17]
	s_and_saveexec_b64 s[16:17], s[12:13]
	s_cbranch_execnz .LBB239_290
	s_branch .LBB239_291
.LBB239_391:                            ;   in Loop: Header=BB239_240 Depth=1
	v_cmp_eq_u16_sdwa s[42:43], v17, s29 src0_sel:BYTE_0 src1_sel:DWORD
	s_mov_b64 s[0:1], -1
                                        ; implicit-def: $sgpr18
	s_and_saveexec_b64 s[16:17], s[42:43]
; %bb.392:                              ;   in Loop: Header=BB239_240 Depth=1
	s_mov_b32 s18, 0x7fc02000
	s_xor_b64 s[0:1], exec, -1
; %bb.393:                              ;   in Loop: Header=BB239_240 Depth=1
	s_or_b64 exec, exec, s[16:17]
	s_and_b64 s[0:1], s[0:1], exec
	s_or_saveexec_b64 s[12:13], s[12:13]
	v_mov_b32_e32 v16, s18
	s_xor_b64 exec, exec, s[12:13]
	s_cbranch_execz .LBB239_293
.LBB239_394:                            ;   in Loop: Header=BB239_240 Depth=1
	v_cmp_ne_u16_sdwa s[16:17], v17, v7 src0_sel:BYTE_0 src1_sel:DWORD
	s_andn2_b64 s[0:1], s[0:1], exec
	s_and_b64 s[16:17], s[16:17], exec
	v_mov_b32_e32 v16, 0
	s_or_b64 s[0:1], s[0:1], s[16:17]
	s_or_b64 exec, exec, s[12:13]
	v_mov_b32_e32 v6, v17
	s_and_saveexec_b64 s[12:13], s[0:1]
	s_cbranch_execnz .LBB239_294
	s_branch .LBB239_295
.LBB239_395:                            ;   in Loop: Header=BB239_240 Depth=1
	v_cmp_eq_u16_e64 s[0:1], s29, v6
	s_mov_b64 s[12:13], -1
                                        ; implicit-def: $sgpr41
	s_and_saveexec_b64 s[18:19], s[0:1]
; %bb.396:                              ;   in Loop: Header=BB239_240 Depth=1
	s_mov_b32 s41, 0x7fc02000
	s_xor_b64 s[12:13], exec, -1
; %bb.397:                              ;   in Loop: Header=BB239_240 Depth=1
	s_or_b64 exec, exec, s[18:19]
	s_and_b64 s[12:13], s[12:13], exec
	s_or_saveexec_b64 s[16:17], s[16:17]
	v_mov_b32_e32 v42, s41
	s_xor_b64 exec, exec, s[16:17]
	s_cbranch_execz .LBB239_297
.LBB239_398:                            ;   in Loop: Header=BB239_240 Depth=1
	v_cmp_ne_u16_e64 s[0:1], 0, v6
	s_andn2_b64 s[12:13], s[12:13], exec
	s_and_b64 s[0:1], s[0:1], exec
	v_mov_b32_e32 v42, 0
	s_or_b64 s[12:13], s[12:13], s[0:1]
	s_or_b64 exec, exec, s[16:17]
	s_and_saveexec_b64 s[16:17], s[12:13]
	s_cbranch_execnz .LBB239_298
	s_branch .LBB239_299
.LBB239_399:                            ;   in Loop: Header=BB239_240 Depth=1
	v_cmp_eq_u16_sdwa s[42:43], v6, s29 src0_sel:BYTE_0 src1_sel:DWORD
	s_mov_b64 s[0:1], -1
                                        ; implicit-def: $sgpr18
	s_and_saveexec_b64 s[16:17], s[42:43]
; %bb.400:                              ;   in Loop: Header=BB239_240 Depth=1
	s_mov_b32 s18, 0x7fc02000
	s_xor_b64 s[0:1], exec, -1
; %bb.401:                              ;   in Loop: Header=BB239_240 Depth=1
	s_or_b64 exec, exec, s[16:17]
	s_and_b64 s[0:1], s[0:1], exec
	s_or_saveexec_b64 s[12:13], s[12:13]
	v_mov_b32_e32 v43, s18
	s_xor_b64 exec, exec, s[12:13]
	s_cbranch_execz .LBB239_301
.LBB239_402:                            ;   in Loop: Header=BB239_240 Depth=1
	v_cmp_ne_u16_sdwa s[16:17], v6, v7 src0_sel:BYTE_0 src1_sel:DWORD
	s_andn2_b64 s[0:1], s[0:1], exec
	s_and_b64 s[16:17], s[16:17], exec
	v_mov_b32_e32 v43, 0
	s_or_b64 s[0:1], s[0:1], s[16:17]
	s_or_b64 exec, exec, s[12:13]
	s_and_saveexec_b64 s[12:13], s[0:1]
	s_cbranch_execnz .LBB239_302
	s_branch .LBB239_303
.LBB239_403:                            ;   in Loop: Header=BB239_240 Depth=1
	v_cmp_eq_u16_e64 s[0:1], s29, v6
	s_mov_b64 s[12:13], -1
                                        ; implicit-def: $sgpr41
	s_and_saveexec_b64 s[18:19], s[0:1]
; %bb.404:                              ;   in Loop: Header=BB239_240 Depth=1
	s_mov_b32 s41, 0x7fc02000
	s_xor_b64 s[12:13], exec, -1
; %bb.405:                              ;   in Loop: Header=BB239_240 Depth=1
	s_or_b64 exec, exec, s[18:19]
	s_and_b64 s[12:13], s[12:13], exec
	s_or_saveexec_b64 s[16:17], s[16:17]
	v_mov_b32_e32 v44, s41
	s_xor_b64 exec, exec, s[16:17]
	s_cbranch_execz .LBB239_305
.LBB239_406:                            ;   in Loop: Header=BB239_240 Depth=1
	v_cmp_ne_u16_e64 s[0:1], 0, v6
	s_andn2_b64 s[12:13], s[12:13], exec
	s_and_b64 s[0:1], s[0:1], exec
	v_mov_b32_e32 v44, 0
	s_or_b64 s[12:13], s[12:13], s[0:1]
	s_or_b64 exec, exec, s[16:17]
	s_and_saveexec_b64 s[16:17], s[12:13]
	s_cbranch_execnz .LBB239_306
	s_branch .LBB239_307
.LBB239_407:                            ;   in Loop: Header=BB239_240 Depth=1
	v_cmp_eq_u16_sdwa s[42:43], v16, s29 src0_sel:BYTE_0 src1_sel:DWORD
	s_mov_b64 s[0:1], -1
                                        ; implicit-def: $sgpr18
	s_and_saveexec_b64 s[16:17], s[42:43]
; %bb.408:                              ;   in Loop: Header=BB239_240 Depth=1
	s_mov_b32 s18, 0x7fc02000
	s_xor_b64 s[0:1], exec, -1
; %bb.409:                              ;   in Loop: Header=BB239_240 Depth=1
	s_or_b64 exec, exec, s[16:17]
	s_and_b64 s[0:1], s[0:1], exec
	s_or_saveexec_b64 s[12:13], s[12:13]
	v_mov_b32_e32 v12, s18
	s_xor_b64 exec, exec, s[12:13]
	s_cbranch_execz .LBB239_311
.LBB239_410:                            ;   in Loop: Header=BB239_240 Depth=1
	v_cmp_ne_u16_sdwa s[16:17], v16, v7 src0_sel:BYTE_0 src1_sel:DWORD
	s_andn2_b64 s[0:1], s[0:1], exec
	s_and_b64 s[16:17], s[16:17], exec
	v_mov_b32_e32 v12, 0
	s_or_b64 s[0:1], s[0:1], s[16:17]
	s_or_b64 exec, exec, s[12:13]
	s_and_saveexec_b64 s[12:13], s[0:1]
	s_cbranch_execnz .LBB239_312
	s_branch .LBB239_313
.LBB239_411:                            ;   in Loop: Header=BB239_240 Depth=1
	v_cmp_eq_u16_e64 s[0:1], s29, v6
	s_mov_b64 s[12:13], -1
                                        ; implicit-def: $sgpr41
	s_and_saveexec_b64 s[18:19], s[0:1]
; %bb.412:                              ;   in Loop: Header=BB239_240 Depth=1
	s_mov_b32 s41, 0x7fc02000
	s_xor_b64 s[12:13], exec, -1
; %bb.413:                              ;   in Loop: Header=BB239_240 Depth=1
	s_or_b64 exec, exec, s[18:19]
	s_and_b64 s[12:13], s[12:13], exec
	s_or_saveexec_b64 s[16:17], s[16:17]
	v_mov_b32_e32 v18, s41
	s_xor_b64 exec, exec, s[16:17]
	s_cbranch_execz .LBB239_315
.LBB239_414:                            ;   in Loop: Header=BB239_240 Depth=1
	v_cmp_ne_u16_e64 s[0:1], 0, v6
	s_andn2_b64 s[12:13], s[12:13], exec
	s_and_b64 s[0:1], s[0:1], exec
	v_mov_b32_e32 v18, 0
	s_or_b64 s[12:13], s[12:13], s[0:1]
	s_or_b64 exec, exec, s[16:17]
	s_and_saveexec_b64 s[16:17], s[12:13]
	s_cbranch_execnz .LBB239_316
	s_branch .LBB239_317
.LBB239_415:                            ;   in Loop: Header=BB239_240 Depth=1
	v_cmp_eq_u16_sdwa s[42:43], v6, s29 src0_sel:BYTE_0 src1_sel:DWORD
	s_mov_b64 s[0:1], -1
                                        ; implicit-def: $sgpr18
	s_and_saveexec_b64 s[16:17], s[42:43]
; %bb.416:                              ;   in Loop: Header=BB239_240 Depth=1
	s_mov_b32 s18, 0x7fc02000
	s_xor_b64 s[0:1], exec, -1
; %bb.417:                              ;   in Loop: Header=BB239_240 Depth=1
	s_or_b64 exec, exec, s[16:17]
	s_and_b64 s[0:1], s[0:1], exec
	s_or_saveexec_b64 s[12:13], s[12:13]
	v_mov_b32_e32 v13, s18
	s_xor_b64 exec, exec, s[12:13]
	s_cbranch_execz .LBB239_319
.LBB239_418:                            ;   in Loop: Header=BB239_240 Depth=1
	v_cmp_ne_u16_sdwa s[16:17], v6, v7 src0_sel:BYTE_0 src1_sel:DWORD
	s_andn2_b64 s[0:1], s[0:1], exec
	s_and_b64 s[16:17], s[16:17], exec
	v_mov_b32_e32 v13, 0
	s_or_b64 s[0:1], s[0:1], s[16:17]
	s_or_b64 exec, exec, s[12:13]
	s_and_saveexec_b64 s[12:13], s[0:1]
	s_cbranch_execnz .LBB239_320
	s_branch .LBB239_321
.LBB239_419:                            ;   in Loop: Header=BB239_240 Depth=1
	v_cmp_eq_u16_e64 s[0:1], s29, v6
	s_mov_b64 s[12:13], -1
                                        ; implicit-def: $sgpr41
	s_and_saveexec_b64 s[18:19], s[0:1]
; %bb.420:                              ;   in Loop: Header=BB239_240 Depth=1
	s_mov_b32 s41, 0x7fc02000
	s_xor_b64 s[12:13], exec, -1
; %bb.421:                              ;   in Loop: Header=BB239_240 Depth=1
	s_or_b64 exec, exec, s[18:19]
	s_and_b64 s[12:13], s[12:13], exec
	s_or_saveexec_b64 s[16:17], s[16:17]
	v_mov_b32_e32 v19, s41
	s_xor_b64 exec, exec, s[16:17]
	s_cbranch_execz .LBB239_323
.LBB239_422:                            ;   in Loop: Header=BB239_240 Depth=1
	v_cmp_ne_u16_e64 s[0:1], 0, v6
	s_andn2_b64 s[12:13], s[12:13], exec
	s_and_b64 s[0:1], s[0:1], exec
	v_mov_b32_e32 v19, 0
	s_or_b64 s[12:13], s[12:13], s[0:1]
	s_or_b64 exec, exec, s[16:17]
	s_and_saveexec_b64 s[16:17], s[12:13]
	s_cbranch_execnz .LBB239_324
	s_branch .LBB239_325
.LBB239_423:                            ;   in Loop: Header=BB239_240 Depth=1
	v_cmp_eq_u16_sdwa s[42:43], v17, s29 src0_sel:BYTE_0 src1_sel:DWORD
	s_mov_b64 s[0:1], -1
                                        ; implicit-def: $sgpr18
	s_and_saveexec_b64 s[16:17], s[42:43]
; %bb.424:                              ;   in Loop: Header=BB239_240 Depth=1
	s_mov_b32 s18, 0x7fc02000
	s_xor_b64 s[0:1], exec, -1
; %bb.425:                              ;   in Loop: Header=BB239_240 Depth=1
	s_or_b64 exec, exec, s[16:17]
	s_and_b64 s[0:1], s[0:1], exec
	s_or_saveexec_b64 s[12:13], s[12:13]
	v_mov_b32_e32 v16, s18
	s_xor_b64 exec, exec, s[12:13]
	s_cbranch_execz .LBB239_327
.LBB239_426:                            ;   in Loop: Header=BB239_240 Depth=1
	v_cmp_ne_u16_sdwa s[16:17], v17, v7 src0_sel:BYTE_0 src1_sel:DWORD
	s_andn2_b64 s[0:1], s[0:1], exec
	s_and_b64 s[16:17], s[16:17], exec
	v_mov_b32_e32 v16, 0
	s_or_b64 s[0:1], s[0:1], s[16:17]
	s_or_b64 exec, exec, s[12:13]
	v_mov_b32_e32 v6, v17
	s_and_saveexec_b64 s[12:13], s[0:1]
	s_cbranch_execnz .LBB239_328
	s_branch .LBB239_329
.LBB239_427:                            ;   in Loop: Header=BB239_240 Depth=1
	v_cmp_eq_u16_e64 s[0:1], s29, v6
	s_mov_b64 s[12:13], -1
                                        ; implicit-def: $sgpr41
	s_and_saveexec_b64 s[18:19], s[0:1]
; %bb.428:                              ;   in Loop: Header=BB239_240 Depth=1
	s_mov_b32 s41, 0x7fc02000
	s_xor_b64 s[12:13], exec, -1
; %bb.429:                              ;   in Loop: Header=BB239_240 Depth=1
	s_or_b64 exec, exec, s[18:19]
	s_and_b64 s[12:13], s[12:13], exec
	s_or_saveexec_b64 s[16:17], s[16:17]
	v_mov_b32_e32 v42, s41
	s_xor_b64 exec, exec, s[16:17]
	s_cbranch_execz .LBB239_331
.LBB239_430:                            ;   in Loop: Header=BB239_240 Depth=1
	v_cmp_ne_u16_e64 s[0:1], 0, v6
	s_andn2_b64 s[12:13], s[12:13], exec
	s_and_b64 s[0:1], s[0:1], exec
	v_mov_b32_e32 v42, 0
	s_or_b64 s[12:13], s[12:13], s[0:1]
	s_or_b64 exec, exec, s[16:17]
	s_and_saveexec_b64 s[16:17], s[12:13]
	s_cbranch_execnz .LBB239_332
	s_branch .LBB239_333
.LBB239_431:                            ;   in Loop: Header=BB239_240 Depth=1
	v_cmp_eq_u16_sdwa s[42:43], v6, s29 src0_sel:BYTE_0 src1_sel:DWORD
	s_mov_b64 s[0:1], -1
                                        ; implicit-def: $sgpr18
	s_and_saveexec_b64 s[16:17], s[42:43]
; %bb.432:                              ;   in Loop: Header=BB239_240 Depth=1
	s_mov_b32 s18, 0x7fc02000
	s_xor_b64 s[0:1], exec, -1
; %bb.433:                              ;   in Loop: Header=BB239_240 Depth=1
	s_or_b64 exec, exec, s[16:17]
	s_and_b64 s[0:1], s[0:1], exec
	s_or_saveexec_b64 s[12:13], s[12:13]
	v_mov_b32_e32 v43, s18
	s_xor_b64 exec, exec, s[12:13]
	s_cbranch_execz .LBB239_335
.LBB239_434:                            ;   in Loop: Header=BB239_240 Depth=1
	v_cmp_ne_u16_sdwa s[16:17], v6, v7 src0_sel:BYTE_0 src1_sel:DWORD
	s_andn2_b64 s[0:1], s[0:1], exec
	s_and_b64 s[16:17], s[16:17], exec
	v_mov_b32_e32 v43, 0
	s_or_b64 s[0:1], s[0:1], s[16:17]
	s_or_b64 exec, exec, s[12:13]
	s_and_saveexec_b64 s[12:13], s[0:1]
	s_cbranch_execnz .LBB239_336
	s_branch .LBB239_337
.LBB239_435:                            ;   in Loop: Header=BB239_240 Depth=1
	v_cmp_eq_u16_e64 s[0:1], s29, v6
	s_mov_b64 s[12:13], -1
                                        ; implicit-def: $sgpr41
	s_and_saveexec_b64 s[18:19], s[0:1]
; %bb.436:                              ;   in Loop: Header=BB239_240 Depth=1
	s_mov_b32 s41, 0x7fc02000
	s_xor_b64 s[12:13], exec, -1
; %bb.437:                              ;   in Loop: Header=BB239_240 Depth=1
	s_or_b64 exec, exec, s[18:19]
	s_and_b64 s[12:13], s[12:13], exec
	s_or_saveexec_b64 s[16:17], s[16:17]
	v_mov_b32_e32 v44, s41
	s_xor_b64 exec, exec, s[16:17]
	s_cbranch_execz .LBB239_339
.LBB239_438:                            ;   in Loop: Header=BB239_240 Depth=1
	v_cmp_ne_u16_e64 s[0:1], 0, v6
	s_andn2_b64 s[12:13], s[12:13], exec
	s_and_b64 s[0:1], s[0:1], exec
	v_mov_b32_e32 v44, 0
	s_or_b64 s[12:13], s[12:13], s[0:1]
	s_or_b64 exec, exec, s[16:17]
	s_and_saveexec_b64 s[16:17], s[12:13]
	s_cbranch_execnz .LBB239_340
	s_branch .LBB239_341
.LBB239_439:
	s_or_b64 exec, exec, s[6:7]
.LBB239_440:
	s_or_b64 exec, exec, s[8:9]
	ds_bpermute_b32 v1, v22, v4
	ds_bpermute_b32 v6, v22, v2
	ds_bpermute_b32 v7, v22, v3
	s_waitcnt lgkmcnt(0)
	s_barrier
	v_add_f32_e32 v1, v4, v1
	v_and_b32_e32 v4, 0x3c1, v0
	v_pk_add_f32 v[2:3], v[2:3], v[6:7]
	v_cmp_eq_u32_e32 vcc, 64, v4
	s_and_saveexec_b64 s[0:1], vcc
	s_cbranch_execz .LBB239_442
; %bb.441:
	v_mov_b32_e32 v6, 0xd0
	v_lshl_add_u32 v5, v5, 1, v6
	ds_write2_b32 v5, v2, v3 offset1:32
	ds_write_b32 v5, v1 offset:256
.LBB239_442:
	s_or_b64 exec, exec, s[0:1]
	v_cmp_gt_u32_e32 vcc, 64, v0
	s_waitcnt lgkmcnt(0)
	s_barrier
	s_and_saveexec_b64 s[0:1], vcc
	s_cbranch_execz .LBB239_448
; %bb.443:
	v_cmp_eq_u32_e32 vcc, 0, v23
	v_lshrrev_b32_e32 v5, 1, v0
	s_and_saveexec_b64 s[2:3], vcc
	s_cbranch_execnz .LBB239_451
; %bb.444:
	s_or_b64 exec, exec, s[2:3]
	s_and_saveexec_b64 s[2:3], vcc
	s_cbranch_execnz .LBB239_452
.LBB239_445:
	s_or_b64 exec, exec, s[2:3]
	s_and_saveexec_b64 s[2:3], vcc
	s_cbranch_execz .LBB239_447
.LBB239_446:
	v_mov_b32_e32 v6, 0xd0
	v_lshl_add_u32 v5, v5, 2, v6
	ds_read_b32 v5, v5 offset:256
	s_waitcnt lgkmcnt(0)
	v_add_f32_e32 v1, v1, v5
.LBB239_447:
	s_or_b64 exec, exec, s[2:3]
.LBB239_448:
	s_or_b64 exec, exec, s[0:1]
	v_cmp_eq_u32_e32 vcc, 0, v4
	s_barrier
	s_and_saveexec_b64 s[0:1], vcc
	s_cbranch_execz .LBB239_450
; %bb.449:
	s_mul_i32 s0, s10, s11
	s_mul_i32 s0, s0, s5
	s_mulk_i32 s0, 0x60
	s_ashr_i32 s1, s0, 31
	s_lshl_b64 s[0:1], s[0:1], 1
	s_add_u32 s2, s26, s0
	s_mul_i32 s0, s11, s24
	s_addc_u32 s3, s27, s1
	s_ashr_i32 s1, s0, 31
	s_lshl_b64 s[0:1], s[0:1], 1
	s_add_u32 s2, s2, s0
	s_mul_i32 s0, s4, 0x60
	s_addc_u32 s3, s3, s1
	s_ashr_i32 s1, s0, 31
	s_lshl_b64 s[0:1], s[0:1], 1
	s_add_u32 s0, s2, s0
	s_addc_u32 s1, s3, s1
	;;#ASMSTART
	v_cvt_f16_f32 v2, v2;

	;;#ASMEND
	global_store_short v0, v2, s[0:1]
	;;#ASMSTART
	v_cvt_f16_f32 v2, v3;

	;;#ASMEND
	global_store_short v0, v2, s[0:1] offset:64
	;;#ASMSTART
	v_cvt_f16_f32 v1, v1;

	;;#ASMEND
	global_store_short v0, v1, s[0:1] offset:128
.LBB239_450:
	s_endpgm
.LBB239_451:
	v_mov_b32_e32 v6, 0xd0
	v_lshl_add_u32 v6, v5, 2, v6
	ds_read_b32 v6, v6
	s_waitcnt lgkmcnt(0)
	v_add_f32_e32 v2, v2, v6
	s_or_b64 exec, exec, s[2:3]
	s_and_saveexec_b64 s[2:3], vcc
	s_cbranch_execz .LBB239_445
.LBB239_452:
	v_mov_b32_e32 v6, 0xd0
	v_lshl_add_u32 v6, v5, 2, v6
	ds_read_b32 v6, v6 offset:128
	s_waitcnt lgkmcnt(0)
	v_add_f32_e32 v3, v3, v6
	s_or_b64 exec, exec, s[2:3]
	s_and_saveexec_b64 s[2:3], vcc
	s_cbranch_execnz .LBB239_446
	s_branch .LBB239_447
	.section	.rodata,"a",@progbits
	.p2align	6, 0x0
	.amdhsa_kernel _ZN4vllm25paged_attention_v1_kernelIthLi96ELi16ELi128ELNS_18Fp8KVCacheDataTypeE1ELb1EEEvPT_PKS2_PKT0_S8_ifPKiSA_iPKfiiiSC_SC_iiiii
		.amdhsa_group_segment_fixed_size 208
		.amdhsa_private_segment_fixed_size 0
		.amdhsa_kernarg_size 384
		.amdhsa_user_sgpr_count 2
		.amdhsa_user_sgpr_dispatch_ptr 0
		.amdhsa_user_sgpr_queue_ptr 0
		.amdhsa_user_sgpr_kernarg_segment_ptr 1
		.amdhsa_user_sgpr_dispatch_id 0
		.amdhsa_user_sgpr_kernarg_preload_length 0
		.amdhsa_user_sgpr_kernarg_preload_offset 0
		.amdhsa_user_sgpr_private_segment_size 0
		.amdhsa_uses_dynamic_stack 0
		.amdhsa_enable_private_segment 0
		.amdhsa_system_sgpr_workgroup_id_x 1
		.amdhsa_system_sgpr_workgroup_id_y 1
		.amdhsa_system_sgpr_workgroup_id_z 1
		.amdhsa_system_sgpr_workgroup_info 0
		.amdhsa_system_vgpr_workitem_id 0
		.amdhsa_next_free_vgpr 61
		.amdhsa_next_free_sgpr 58
		.amdhsa_accum_offset 64
		.amdhsa_reserve_vcc 1
		.amdhsa_float_round_mode_32 0
		.amdhsa_float_round_mode_16_64 0
		.amdhsa_float_denorm_mode_32 3
		.amdhsa_float_denorm_mode_16_64 3
		.amdhsa_dx10_clamp 1
		.amdhsa_ieee_mode 1
		.amdhsa_fp16_overflow 0
		.amdhsa_tg_split 0
		.amdhsa_exception_fp_ieee_invalid_op 0
		.amdhsa_exception_fp_denorm_src 0
		.amdhsa_exception_fp_ieee_div_zero 0
		.amdhsa_exception_fp_ieee_overflow 0
		.amdhsa_exception_fp_ieee_underflow 0
		.amdhsa_exception_fp_ieee_inexact 0
		.amdhsa_exception_int_div_zero 0
	.end_amdhsa_kernel
	.section	.text._ZN4vllm25paged_attention_v1_kernelIthLi96ELi16ELi128ELNS_18Fp8KVCacheDataTypeE1ELb1EEEvPT_PKS2_PKT0_S8_ifPKiSA_iPKfiiiSC_SC_iiiii,"axG",@progbits,_ZN4vllm25paged_attention_v1_kernelIthLi96ELi16ELi128ELNS_18Fp8KVCacheDataTypeE1ELb1EEEvPT_PKS2_PKT0_S8_ifPKiSA_iPKfiiiSC_SC_iiiii,comdat
.Lfunc_end239:
	.size	_ZN4vllm25paged_attention_v1_kernelIthLi96ELi16ELi128ELNS_18Fp8KVCacheDataTypeE1ELb1EEEvPT_PKS2_PKT0_S8_ifPKiSA_iPKfiiiSC_SC_iiiii, .Lfunc_end239-_ZN4vllm25paged_attention_v1_kernelIthLi96ELi16ELi128ELNS_18Fp8KVCacheDataTypeE1ELb1EEEvPT_PKS2_PKT0_S8_ifPKiSA_iPKfiiiSC_SC_iiiii
                                        ; -- End function
	.section	.AMDGPU.csdata,"",@progbits
; Kernel info:
; codeLenInByte = 18664
; NumSgprs: 64
; NumVgprs: 61
; NumAgprs: 0
; TotalNumVgprs: 61
; ScratchSize: 0
; MemoryBound: 0
; FloatMode: 240
; IeeeMode: 1
; LDSByteSize: 208 bytes/workgroup (compile time only)
; SGPRBlocks: 7
; VGPRBlocks: 7
; NumSGPRsForWavesPerEU: 64
; NumVGPRsForWavesPerEU: 61
; AccumOffset: 64
; Occupancy: 8
; WaveLimiterHint : 1
; COMPUTE_PGM_RSRC2:SCRATCH_EN: 0
; COMPUTE_PGM_RSRC2:USER_SGPR: 2
; COMPUTE_PGM_RSRC2:TRAP_HANDLER: 0
; COMPUTE_PGM_RSRC2:TGID_X_EN: 1
; COMPUTE_PGM_RSRC2:TGID_Y_EN: 1
; COMPUTE_PGM_RSRC2:TGID_Z_EN: 1
; COMPUTE_PGM_RSRC2:TIDIG_COMP_CNT: 0
; COMPUTE_PGM_RSRC3_GFX90A:ACCUM_OFFSET: 15
; COMPUTE_PGM_RSRC3_GFX90A:TG_SPLIT: 0
	.section	.text._ZN4vllm25paged_attention_v1_kernelIthLi112ELi16ELi128ELNS_18Fp8KVCacheDataTypeE1ELb1EEEvPT_PKS2_PKT0_S8_ifPKiSA_iPKfiiiSC_SC_iiiii,"axG",@progbits,_ZN4vllm25paged_attention_v1_kernelIthLi112ELi16ELi128ELNS_18Fp8KVCacheDataTypeE1ELb1EEEvPT_PKS2_PKT0_S8_ifPKiSA_iPKfiiiSC_SC_iiiii,comdat
	.protected	_ZN4vllm25paged_attention_v1_kernelIthLi112ELi16ELi128ELNS_18Fp8KVCacheDataTypeE1ELb1EEEvPT_PKS2_PKT0_S8_ifPKiSA_iPKfiiiSC_SC_iiiii ; -- Begin function _ZN4vllm25paged_attention_v1_kernelIthLi112ELi16ELi128ELNS_18Fp8KVCacheDataTypeE1ELb1EEEvPT_PKS2_PKT0_S8_ifPKiSA_iPKfiiiSC_SC_iiiii
	.globl	_ZN4vllm25paged_attention_v1_kernelIthLi112ELi16ELi128ELNS_18Fp8KVCacheDataTypeE1ELb1EEEvPT_PKS2_PKT0_S8_ifPKiSA_iPKfiiiSC_SC_iiiii
	.p2align	8
	.type	_ZN4vllm25paged_attention_v1_kernelIthLi112ELi16ELi128ELNS_18Fp8KVCacheDataTypeE1ELb1EEEvPT_PKS2_PKT0_S8_ifPKiSA_iPKfiiiSC_SC_iiiii,@function
_ZN4vllm25paged_attention_v1_kernelIthLi112ELi16ELi128ELNS_18Fp8KVCacheDataTypeE1ELb1EEEvPT_PKS2_PKT0_S8_ifPKiSA_iPKfiiiSC_SC_iiiii: ; @_ZN4vllm25paged_attention_v1_kernelIthLi112ELi16ELi128ELNS_18Fp8KVCacheDataTypeE1ELb1EEEvPT_PKS2_PKT0_S8_ifPKiSA_iPKfiiiSC_SC_iiiii
; %bb.0:
	s_load_dword s5, s[0:1], 0x80
	s_load_dwordx2 s[6:7], s[0:1], 0x30
	s_load_dwordx2 s[36:37], s[0:1], 0x20
	s_mov_b32 s10, s3
	s_ashr_i32 s11, s3, 31
	s_lshl_b64 s[8:9], s[10:11], 2
	s_waitcnt lgkmcnt(0)
	s_add_u32 s6, s6, s8
	s_addc_u32 s7, s7, s9
	s_abs_i32 s3, s36
	v_cvt_f32_u32_e32 v1, s3
	s_sub_i32 s11, 0, s3
	s_abs_i32 s9, s5
	s_xor_b32 s8, s5, s36
	v_rcp_iflag_f32_e32 v1, v1
	s_ashr_i32 s8, s8, 31
	s_mov_b32 s49, 0
	v_mul_f32_e32 v1, 0x4f7ffffe, v1
	v_cvt_u32_f32_e32 v1, v1
	s_nop 0
	v_readfirstlane_b32 s12, v1
	s_mul_i32 s11, s11, s12
	s_mul_hi_u32 s11, s12, s11
	s_add_i32 s12, s12, s11
	s_mul_hi_u32 s11, s9, s12
	s_mul_i32 s12, s11, s3
	s_sub_i32 s9, s9, s12
	s_add_i32 s12, s11, 1
	s_sub_i32 s13, s9, s3
	s_cmp_ge_u32 s9, s3
	s_cselect_b32 s11, s12, s11
	s_cselect_b32 s9, s13, s9
	s_add_i32 s12, s11, 1
	s_cmp_ge_u32 s9, s3
	s_cselect_b32 s3, s12, s11
	s_xor_b32 s3, s3, s8
	s_sub_i32 s14, s3, s8
	s_abs_i32 s11, s14
	v_cvt_f32_u32_e32 v1, s11
	s_load_dwordx2 s[8:9], s[0:1], 0x40
	s_sub_i32 s3, 0, s11
	s_abs_i32 s12, s2
	v_rcp_iflag_f32_e32 v1, v1
	s_nop 0
	v_mul_f32_e32 v1, 0x4f7ffffe, v1
	v_cvt_u32_f32_e32 v1, v1
	s_nop 0
	v_readfirstlane_b32 s13, v1
	s_mul_i32 s3, s3, s13
	s_mul_hi_u32 s3, s13, s3
	s_add_i32 s13, s13, s3
	s_waitcnt lgkmcnt(0)
	s_cmp_eq_u64 s[8:9], 0
	s_mul_hi_u32 s13, s12, s13
	s_cbranch_scc1 .LBB240_2
; %bb.1:
	s_ashr_i32 s3, s2, 31
	s_lshl_b64 s[16:17], s[2:3], 2
	s_add_u32 s8, s8, s16
	s_addc_u32 s9, s9, s17
	s_load_dword s49, s[8:9], 0x0
.LBB240_2:
	s_load_dword s33, s[6:7], 0x0
	s_load_dwordx4 s[16:19], s[0:1], 0x48
	s_ashr_i32 s3, s2, 31
	s_ashr_i32 s9, s14, 31
	v_and_b32_e32 v7, 3, v0
	s_mul_i32 s24, s2, 0x70
	v_cmp_gt_u32_e32 vcc, 56, v0
	s_and_saveexec_b64 s[6:7], vcc
	s_cbranch_execz .LBB240_4
; %bb.3:
	s_load_dwordx2 s[14:15], s[0:1], 0x8
	s_waitcnt lgkmcnt(0)
	s_mul_i32 s20, s10, s16
	s_ashr_i32 s21, s20, 31
	s_lshl_b64 s[20:21], s[20:21], 1
	v_lshlrev_b32_e32 v1, 2, v0
	s_add_u32 s8, s14, s20
	s_addc_u32 s16, s15, s21
	s_ashr_i32 s25, s24, 31
	s_lshl_b64 s[14:15], s[24:25], 1
	s_add_u32 s14, s8, s14
	s_addc_u32 s15, s16, s15
	global_load_dword v1, v1, s[14:15]
	v_and_b32_e32 v2, 0x3fc, v0
	v_mad_u32_u24 v2, v7, 56, v2
	s_waitcnt vmcnt(0)
	ds_write_b32 v2, v1
.LBB240_4:
	s_or_b64 exec, exec, s[6:7]
	s_mul_i32 s6, s13, s11
	s_sub_i32 s6, s12, s6
	s_xor_b32 s3, s3, s9
	s_add_i32 s7, s13, 1
	s_sub_i32 s9, s6, s11
	s_load_dwordx4 s[20:23], s[0:1], 0x68
	s_load_dword s8, s[0:1], 0x78
	s_cmp_ge_u32 s6, s11
	s_cselect_b32 s7, s7, s13
	s_cselect_b32 s6, s9, s6
	s_add_i32 s9, s7, 1
	s_cmp_ge_u32 s6, s11
	s_cselect_b32 s6, s9, s7
	s_waitcnt lgkmcnt(0)
	s_abs_i32 s25, s23
	v_cvt_f32_u32_e32 v1, s25
	s_xor_b32 s6, s6, s3
	s_sub_i32 s3, s6, s3
	s_sub_i32 s6, 0, s25
	v_rcp_iflag_f32_e32 v1, v1
	s_add_i32 s11, s33, -1
	s_abs_i32 s9, s11
	v_mul_f32_e32 v1, 0x4f7ffffe, v1
	v_cvt_u32_f32_e32 v1, v1
	s_barrier
	v_readfirstlane_b32 s46, v1
	s_mul_i32 s6, s6, s46
	s_mul_hi_u32 s6, s46, s6
	s_add_i32 s46, s46, s6
	s_cmp_lt_i32 s8, 0
	s_mul_hi_u32 s16, s9, s46
	s_cbranch_scc0 .LBB240_6
; %bb.5:
	s_mul_i32 s6, s20, s36
	s_add_i32 s6, s3, s6
	s_mul_i32 s6, s6, s8
	s_sub_i32 s36, 1, s6
	s_mov_b64 s[6:7], 0
	s_branch .LBB240_7
.LBB240_6:
	s_mov_b64 s[6:7], -1
                                        ; implicit-def: $sgpr36
.LBB240_7:
	s_load_dwordx2 s[28:29], s[0:1], 0x28
	s_ashr_i32 s19, s11, 31
	s_andn2_b64 vcc, exec, s[6:7]
	s_ashr_i32 s47, s23, 31
	s_cbranch_vccnz .LBB240_9
; %bb.8:
	s_mul_i32 s6, s5, s20
	s_add_i32 s2, s6, s2
	s_mul_i32 s2, s2, s8
	s_add_i32 s36, s2, 1
.LBB240_9:
	s_load_dword s2, s[0:1], 0x38
	s_load_dwordx2 s[26:27], s[0:1], 0x0
	s_load_dwordx2 s[34:35], s[0:1], 0x18
	s_load_dword s11, s[0:1], 0x88
	s_load_dwordx4 s[12:15], s[0:1], 0x58
	s_mul_i32 s6, s16, s25
	s_waitcnt lgkmcnt(0)
	s_mul_i32 s30, s10, s2
	s_sub_i32 s6, s9, s6
	s_ashr_i32 s31, s30, 31
	s_xor_b32 s2, s19, s47
	s_add_i32 s7, s16, 1
	s_sub_i32 s8, s6, s25
	s_cmp_ge_u32 s6, s25
	s_cselect_b32 s7, s7, s16
	s_cselect_b32 s6, s8, s6
	s_add_i32 s8, s7, 1
	s_cmp_ge_u32 s6, s25
	s_cselect_b32 s6, s8, s7
	s_xor_b32 s6, s6, s2
	s_sub_i32 s16, s6, s2
	s_add_i32 s2, s33, 15
	s_ashr_i32 s6, s2, 31
	s_lshr_b32 s6, s6, 28
	s_add_i32 s2, s2, s6
	s_ashr_i32 s48, s2, 4
	v_lshrrev_b32_e32 v1, 6, v0
	v_cmp_gt_i32_e64 s[6:7], s48, v1
	v_mov_b32_e32 v16, 0xff7fffff
	s_mul_i32 s20, s3, s18
	v_lshrrev_b32_e32 v12, 4, v0
	v_lshlrev_b32_e32 v26, 4, v1
	v_mbcnt_lo_u32_b32 v13, -1, 0
	s_and_saveexec_b64 s[18:19], s[6:7]
	s_cbranch_execz .LBB240_243
; %bb.10:
	s_load_dwordx2 s[0:1], s[0:1], 0x10
	s_sub_i32 s23, s16, s21
	s_ashr_i32 s2, s20, 31
	v_bfe_u32 v14, v0, 2, 4
	v_lshlrev_b32_e32 v2, 4, v14
	s_waitcnt lgkmcnt(0)
	s_add_u32 s0, s0, s20
	s_addc_u32 s1, s1, s2
	s_abs_i32 s50, s22
	v_cvt_f32_u32_e32 v4, s50
	v_mov_b32_e32 v3, 0
	v_cmp_eq_u32_e32 vcc, 0, v7
	s_mov_b32 s51, s17
	v_rcp_iflag_f32_e32 v8, v4
	v_lshl_add_u64 v[4:5], s[0:1], 0, v[2:3]
	s_sub_i32 s0, 0, s50
	v_lshlrev_b32_e32 v6, 1, v7
	v_mul_f32_e32 v2, 0x4f7ffffe, v8
	v_cvt_u32_f32_e32 v2, v2
	v_mul_u32_u24_e32 v15, 56, v7
	v_cmp_neq_f32_e64 s[2:3], s49, 0
	v_mov_b32_e32 v7, v3
	v_mul_lo_u32 v8, s0, v2
	s_lshl_b64 s[0:1], s[30:31], 2
	v_mul_hi_u32 v8, v2, v8
	s_add_u32 s0, s28, s0
	v_add_u32_e32 v17, v2, v8
	v_and_b32_e32 v2, 60, v12
	s_addc_u32 s1, s29, s1
	v_lshl_add_u64 v[8:9], s[0:1], 0, v[2:3]
	v_lshlrev_b32_e32 v2, 2, v14
	v_lshl_or_b32 v2, v1, 6, v2
	v_add_u32_e32 v19, 0xf0, v2
	v_subrev_u32_e32 v2, s33, v14
	v_lshlrev_b32_e32 v18, 4, v1
	v_add_u32_e32 v20, 1, v2
	s_mov_b64 s[38:39], 0
	v_mov_b32_e32 v21, 0xff7fffff
	s_movk_i32 s52, 0x7f
	s_movk_i32 s53, 0x80
	s_mov_b32 s54, 0x8000
	v_mov_b32_e32 v22, 0x1c00
	v_mbcnt_hi_u32_b32 v23, -1, v13
	v_mov_b32_e32 v16, 0xff7fffff
	v_mov_b32_e32 v24, v1
	s_branch .LBB240_13
.LBB240_11:                             ;   in Loop: Header=BB240_13 Depth=1
	s_or_b64 exec, exec, s[40:41]
.LBB240_12:                             ;   in Loop: Header=BB240_13 Depth=1
	s_or_b64 exec, exec, s[8:9]
	v_add_u32_e32 v24, 2, v24
	v_cmp_le_i32_e64 s[0:1], s48, v24
	v_lshl_add_u64 v[8:9], v[8:9], 0, 8
	v_add_u32_e32 v18, 32, v18
	s_or_b64 s[38:39], s[0:1], s[38:39]
	v_add_u32_e32 v19, 0x80, v19
	s_andn2_b64 exec, exec, s[38:39]
	s_cbranch_execz .LBB240_242
.LBB240_13:                             ; =>This Inner Loop Header: Depth=1
	v_mul_hi_u32 v2, v18, s46
	s_waitcnt lgkmcnt(0)
	v_mul_lo_u32 v10, v2, s25
	v_sub_u32_e32 v10, v18, v10
	v_add_u32_e32 v11, 1, v2
	v_cmp_le_u32_e64 s[0:1], s25, v10
	s_nop 1
	v_cndmask_b32_e64 v2, v2, v11, s[0:1]
	v_subrev_u32_e32 v11, s25, v10
	v_cndmask_b32_e64 v10, v10, v11, s[0:1]
	v_add_u32_e32 v11, 1, v2
	v_cmp_le_u32_e64 s[0:1], s25, v10
	s_nop 1
	v_cndmask_b32_e64 v2, v2, v11, s[0:1]
	v_xor_b32_e32 v2, s47, v2
	v_subrev_u32_e32 v2, s47, v2
	v_add_u32_e32 v10, s36, v2
	v_sub_u32_e32 v25, 0, v10
	v_ashrrev_i32_e32 v11, 31, v10
	v_max_i32_e32 v10, v10, v25
	v_mul_hi_u32 v25, v10, v17
	v_mul_lo_u32 v25, v25, s50
	v_sub_u32_e32 v10, v10, v25
	v_subrev_u32_e32 v25, s50, v10
	v_cmp_le_u32_e64 s[0:1], s50, v10
	v_cmp_ge_i32_e64 s[8:9], s23, v2
	s_nop 0
	v_cndmask_b32_e64 v10, v10, v25, s[0:1]
	v_subrev_u32_e32 v25, s50, v10
	v_cmp_le_u32_e64 s[0:1], s50, v10
	s_nop 1
	v_cndmask_b32_e64 v10, v10, v25, s[0:1]
	v_xor_b32_e32 v10, v10, v11
	v_sub_u32_e32 v10, v10, v11
	v_cmp_ne_u32_e64 s[0:1], 0, v10
	s_and_b64 s[0:1], s[0:1], s[8:9]
	s_and_b64 s[40:41], vcc, s[0:1]
	s_and_saveexec_b64 s[8:9], s[40:41]
	s_cbranch_execz .LBB240_15
; %bb.14:                               ;   in Loop: Header=BB240_13 Depth=1
	ds_write_b32 v19, v21
.LBB240_15:                             ;   in Loop: Header=BB240_13 Depth=1
	s_or_b64 exec, exec, s[8:9]
	s_xor_b64 s[0:1], s[0:1], -1
	s_and_saveexec_b64 s[8:9], s[0:1]
	s_cbranch_execz .LBB240_12
; %bb.16:                               ;   in Loop: Header=BB240_13 Depth=1
	global_load_dword v2, v[8:9], off
                                        ; implicit-def: $sgpr44
	s_waitcnt vmcnt(0)
	v_mad_i64_i32 v[10:11], s[0:1], v2, s51, v[4:5]
	v_lshl_add_u64 v[10:11], v[10:11], 0, v[6:7]
	global_load_ushort v2, v[10:11], off
	global_load_dword v25, v3, s[12:13]
	s_mov_b64 s[0:1], 0
	s_waitcnt vmcnt(1)
	v_cmp_gt_i16_sdwa s[40:41], v2, s52 src0_sel:BYTE_0 src1_sel:DWORD
	s_and_saveexec_b64 s[42:43], s[40:41]
	s_xor_b64 s[40:41], exec, s[42:43]
	s_cbranch_execnz .LBB240_130
; %bb.17:                               ;   in Loop: Header=BB240_13 Depth=1
	s_or_saveexec_b64 s[40:41], s[40:41]
	v_mov_b32_e32 v27, s44
	s_xor_b64 exec, exec, s[40:41]
	s_cbranch_execnz .LBB240_133
.LBB240_18:                             ;   in Loop: Header=BB240_13 Depth=1
	s_or_b64 exec, exec, s[40:41]
	v_and_b32_e32 v2, 0xffff, v2
	s_and_saveexec_b64 s[40:41], s[0:1]
	s_cbranch_execz .LBB240_20
.LBB240_19:                             ;   in Loop: Header=BB240_13 Depth=1
	v_and_b32_e32 v27, 7, v2
	v_ffbh_u32_e32 v28, v27
	v_min_u32_e32 v31, 32, v28
	v_subrev_u32_e32 v28, 28, v31
	v_bfe_u32 v30, v2, 3, 4
	v_lshlrev_b64 v[28:29], v28, v[2:3]
	v_sub_u32_e32 v29, 29, v31
	v_cmp_eq_u32_e64 s[0:1], 0, v30
	v_and_b32_e32 v28, 7, v28
	s_nop 0
	v_cndmask_b32_e64 v29, v30, v29, s[0:1]
	v_cndmask_b32_e64 v27, v27, v28, s[0:1]
	v_lshlrev_b32_e32 v28, 8, v2
	v_lshl_add_u32 v29, v29, 10, v22
	v_and_or_b32 v28, v28, s54, v29
	v_lshl_or_b32 v27, v27, 7, v28
	v_cvt_f32_f16_e32 v27, v27
.LBB240_20:                             ;   in Loop: Header=BB240_13 Depth=1
	s_or_b64 exec, exec, s[40:41]
	v_lshrrev_b16_e32 v2, 8, v2
	v_cmp_lt_i16_e64 s[0:1], s52, v2
	s_mov_b64 s[40:41], 0
                                        ; implicit-def: $sgpr55
	s_and_saveexec_b64 s[42:43], s[0:1]
	s_xor_b64 s[42:43], exec, s[42:43]
	s_cbranch_execnz .LBB240_134
; %bb.21:                               ;   in Loop: Header=BB240_13 Depth=1
	s_or_saveexec_b64 s[42:43], s[42:43]
	v_mov_b32_e32 v28, s55
	s_xor_b64 exec, exec, s[42:43]
	s_cbranch_execnz .LBB240_137
.LBB240_22:                             ;   in Loop: Header=BB240_13 Depth=1
	s_or_b64 exec, exec, s[42:43]
	s_and_saveexec_b64 s[42:43], s[40:41]
	s_cbranch_execz .LBB240_24
.LBB240_23:                             ;   in Loop: Header=BB240_13 Depth=1
	v_and_b32_e32 v30, 7, v2
	v_ffbh_u32_e32 v28, v30
	v_min_u32_e32 v32, 32, v28
	v_subrev_u32_e32 v28, 28, v32
	v_bfe_u32 v31, v2, 3, 4
	v_lshlrev_b64 v[28:29], v28, v[2:3]
	v_sub_u32_e32 v29, 29, v32
	v_cmp_eq_u32_e64 s[0:1], 0, v31
	v_and_b32_e32 v28, 7, v28
	v_lshlrev_b32_e32 v2, 8, v2
	v_cndmask_b32_e64 v29, v31, v29, s[0:1]
	v_lshl_add_u32 v29, v29, 10, v22
	v_cndmask_b32_e64 v28, v30, v28, s[0:1]
	v_and_or_b32 v2, v2, s54, v29
	v_lshl_or_b32 v2, v28, 7, v2
	v_cvt_f32_f16_e32 v28, v2
.LBB240_24:                             ;   in Loop: Header=BB240_13 Depth=1
	s_or_b64 exec, exec, s[42:43]
	global_load_ushort v2, v[10:11], off offset:8
	s_mov_b64 s[0:1], 0
                                        ; implicit-def: $sgpr44
	s_waitcnt vmcnt(0)
	v_cmp_gt_i16_sdwa s[40:41], v2, s52 src0_sel:BYTE_0 src1_sel:DWORD
	s_and_saveexec_b64 s[42:43], s[40:41]
	s_xor_b64 s[40:41], exec, s[42:43]
	s_cbranch_execnz .LBB240_138
; %bb.25:                               ;   in Loop: Header=BB240_13 Depth=1
	s_or_saveexec_b64 s[40:41], s[40:41]
	v_mov_b32_e32 v29, s44
	s_xor_b64 exec, exec, s[40:41]
	s_cbranch_execnz .LBB240_141
.LBB240_26:                             ;   in Loop: Header=BB240_13 Depth=1
	s_or_b64 exec, exec, s[40:41]
	v_and_b32_e32 v2, 0xffff, v2
	s_and_saveexec_b64 s[40:41], s[0:1]
	s_cbranch_execz .LBB240_28
.LBB240_27:                             ;   in Loop: Header=BB240_13 Depth=1
	v_and_b32_e32 v29, 7, v2
	v_ffbh_u32_e32 v30, v29
	v_min_u32_e32 v33, 32, v30
	v_subrev_u32_e32 v30, 28, v33
	v_bfe_u32 v32, v2, 3, 4
	v_lshlrev_b64 v[30:31], v30, v[2:3]
	v_sub_u32_e32 v31, 29, v33
	v_cmp_eq_u32_e64 s[0:1], 0, v32
	v_and_b32_e32 v30, 7, v30
	s_nop 0
	v_cndmask_b32_e64 v31, v32, v31, s[0:1]
	v_cndmask_b32_e64 v29, v29, v30, s[0:1]
	v_lshlrev_b32_e32 v30, 8, v2
	v_lshl_add_u32 v31, v31, 10, v22
	v_and_or_b32 v30, v30, s54, v31
	v_lshl_or_b32 v29, v29, 7, v30
	v_cvt_f32_f16_e32 v29, v29
.LBB240_28:                             ;   in Loop: Header=BB240_13 Depth=1
	s_or_b64 exec, exec, s[40:41]
	v_lshrrev_b16_e32 v2, 8, v2
	v_cmp_lt_i16_e64 s[0:1], s52, v2
	s_mov_b64 s[40:41], 0
                                        ; implicit-def: $sgpr55
	s_and_saveexec_b64 s[42:43], s[0:1]
	s_xor_b64 s[42:43], exec, s[42:43]
	s_cbranch_execnz .LBB240_142
; %bb.29:                               ;   in Loop: Header=BB240_13 Depth=1
	s_or_saveexec_b64 s[42:43], s[42:43]
	v_mov_b32_e32 v30, s55
	s_xor_b64 exec, exec, s[42:43]
	s_cbranch_execnz .LBB240_145
.LBB240_30:                             ;   in Loop: Header=BB240_13 Depth=1
	s_or_b64 exec, exec, s[42:43]
	s_and_saveexec_b64 s[42:43], s[40:41]
	s_cbranch_execz .LBB240_32
.LBB240_31:                             ;   in Loop: Header=BB240_13 Depth=1
	v_and_b32_e32 v32, 7, v2
	v_ffbh_u32_e32 v30, v32
	v_min_u32_e32 v34, 32, v30
	v_subrev_u32_e32 v30, 28, v34
	v_bfe_u32 v33, v2, 3, 4
	v_lshlrev_b64 v[30:31], v30, v[2:3]
	v_sub_u32_e32 v31, 29, v34
	v_cmp_eq_u32_e64 s[0:1], 0, v33
	v_and_b32_e32 v30, 7, v30
	v_lshlrev_b32_e32 v2, 8, v2
	v_cndmask_b32_e64 v31, v33, v31, s[0:1]
	v_lshl_add_u32 v31, v31, 10, v22
	v_cndmask_b32_e64 v30, v32, v30, s[0:1]
	v_and_or_b32 v2, v2, s54, v31
	v_lshl_or_b32 v2, v30, 7, v2
	v_cvt_f32_f16_e32 v30, v2
.LBB240_32:                             ;   in Loop: Header=BB240_13 Depth=1
	s_or_b64 exec, exec, s[42:43]
	global_load_ushort v2, v[10:11], off offset:256
	s_mov_b64 s[0:1], 0
                                        ; implicit-def: $sgpr44
	s_waitcnt vmcnt(0)
	v_cmp_gt_i16_sdwa s[40:41], v2, s52 src0_sel:BYTE_0 src1_sel:DWORD
	s_and_saveexec_b64 s[42:43], s[40:41]
	s_xor_b64 s[40:41], exec, s[42:43]
	s_cbranch_execnz .LBB240_146
; %bb.33:                               ;   in Loop: Header=BB240_13 Depth=1
	s_or_saveexec_b64 s[40:41], s[40:41]
	v_mov_b32_e32 v31, s44
	s_xor_b64 exec, exec, s[40:41]
	s_cbranch_execnz .LBB240_149
.LBB240_34:                             ;   in Loop: Header=BB240_13 Depth=1
	s_or_b64 exec, exec, s[40:41]
	v_and_b32_e32 v2, 0xffff, v2
	s_and_saveexec_b64 s[40:41], s[0:1]
	s_cbranch_execz .LBB240_36
.LBB240_35:                             ;   in Loop: Header=BB240_13 Depth=1
	v_and_b32_e32 v31, 7, v2
	v_ffbh_u32_e32 v32, v31
	v_min_u32_e32 v35, 32, v32
	v_subrev_u32_e32 v32, 28, v35
	v_bfe_u32 v34, v2, 3, 4
	v_lshlrev_b64 v[32:33], v32, v[2:3]
	v_sub_u32_e32 v33, 29, v35
	v_cmp_eq_u32_e64 s[0:1], 0, v34
	v_and_b32_e32 v32, 7, v32
	s_nop 0
	v_cndmask_b32_e64 v33, v34, v33, s[0:1]
	v_cndmask_b32_e64 v31, v31, v32, s[0:1]
	v_lshlrev_b32_e32 v32, 8, v2
	v_lshl_add_u32 v33, v33, 10, v22
	v_and_or_b32 v32, v32, s54, v33
	v_lshl_or_b32 v31, v31, 7, v32
	v_cvt_f32_f16_e32 v31, v31
.LBB240_36:                             ;   in Loop: Header=BB240_13 Depth=1
	s_or_b64 exec, exec, s[40:41]
	v_lshrrev_b16_e32 v2, 8, v2
	v_cmp_lt_i16_e64 s[0:1], s52, v2
	s_mov_b64 s[40:41], 0
                                        ; implicit-def: $sgpr55
	s_and_saveexec_b64 s[42:43], s[0:1]
	s_xor_b64 s[42:43], exec, s[42:43]
	s_cbranch_execnz .LBB240_150
; %bb.37:                               ;   in Loop: Header=BB240_13 Depth=1
	s_or_saveexec_b64 s[42:43], s[42:43]
	v_mov_b32_e32 v32, s55
	s_xor_b64 exec, exec, s[42:43]
	s_cbranch_execnz .LBB240_153
.LBB240_38:                             ;   in Loop: Header=BB240_13 Depth=1
	s_or_b64 exec, exec, s[42:43]
	s_and_saveexec_b64 s[42:43], s[40:41]
	s_cbranch_execz .LBB240_40
.LBB240_39:                             ;   in Loop: Header=BB240_13 Depth=1
	v_and_b32_e32 v34, 7, v2
	v_ffbh_u32_e32 v32, v34
	v_min_u32_e32 v36, 32, v32
	v_subrev_u32_e32 v32, 28, v36
	v_bfe_u32 v35, v2, 3, 4
	v_lshlrev_b64 v[32:33], v32, v[2:3]
	v_sub_u32_e32 v33, 29, v36
	v_cmp_eq_u32_e64 s[0:1], 0, v35
	v_and_b32_e32 v32, 7, v32
	v_lshlrev_b32_e32 v2, 8, v2
	v_cndmask_b32_e64 v33, v35, v33, s[0:1]
	v_lshl_add_u32 v33, v33, 10, v22
	v_cndmask_b32_e64 v32, v34, v32, s[0:1]
	v_and_or_b32 v2, v2, s54, v33
	v_lshl_or_b32 v2, v32, 7, v2
	v_cvt_f32_f16_e32 v32, v2
.LBB240_40:                             ;   in Loop: Header=BB240_13 Depth=1
	s_or_b64 exec, exec, s[42:43]
	global_load_ushort v2, v[10:11], off offset:264
	s_mov_b64 s[0:1], 0
                                        ; implicit-def: $sgpr44
	s_waitcnt vmcnt(0)
	v_cmp_gt_i16_sdwa s[40:41], v2, s52 src0_sel:BYTE_0 src1_sel:DWORD
	s_and_saveexec_b64 s[42:43], s[40:41]
	s_xor_b64 s[40:41], exec, s[42:43]
	s_cbranch_execnz .LBB240_154
; %bb.41:                               ;   in Loop: Header=BB240_13 Depth=1
	s_or_saveexec_b64 s[40:41], s[40:41]
	v_mov_b32_e32 v33, s44
	s_xor_b64 exec, exec, s[40:41]
	s_cbranch_execnz .LBB240_157
.LBB240_42:                             ;   in Loop: Header=BB240_13 Depth=1
	s_or_b64 exec, exec, s[40:41]
	v_and_b32_e32 v2, 0xffff, v2
	s_and_saveexec_b64 s[40:41], s[0:1]
	s_cbranch_execz .LBB240_44
.LBB240_43:                             ;   in Loop: Header=BB240_13 Depth=1
	v_and_b32_e32 v33, 7, v2
	v_ffbh_u32_e32 v34, v33
	v_min_u32_e32 v37, 32, v34
	v_subrev_u32_e32 v34, 28, v37
	v_bfe_u32 v36, v2, 3, 4
	v_lshlrev_b64 v[34:35], v34, v[2:3]
	v_sub_u32_e32 v35, 29, v37
	v_cmp_eq_u32_e64 s[0:1], 0, v36
	v_and_b32_e32 v34, 7, v34
	s_nop 0
	v_cndmask_b32_e64 v35, v36, v35, s[0:1]
	v_cndmask_b32_e64 v33, v33, v34, s[0:1]
	v_lshlrev_b32_e32 v34, 8, v2
	v_lshl_add_u32 v35, v35, 10, v22
	v_and_or_b32 v34, v34, s54, v35
	v_lshl_or_b32 v33, v33, 7, v34
	v_cvt_f32_f16_e32 v33, v33
.LBB240_44:                             ;   in Loop: Header=BB240_13 Depth=1
	s_or_b64 exec, exec, s[40:41]
	v_lshrrev_b16_e32 v2, 8, v2
	v_cmp_lt_i16_e64 s[0:1], s52, v2
	s_mov_b64 s[40:41], 0
                                        ; implicit-def: $sgpr55
	s_and_saveexec_b64 s[42:43], s[0:1]
	s_xor_b64 s[42:43], exec, s[42:43]
	s_cbranch_execnz .LBB240_158
; %bb.45:                               ;   in Loop: Header=BB240_13 Depth=1
	s_or_saveexec_b64 s[42:43], s[42:43]
	v_mov_b32_e32 v34, s55
	s_xor_b64 exec, exec, s[42:43]
	s_cbranch_execnz .LBB240_161
.LBB240_46:                             ;   in Loop: Header=BB240_13 Depth=1
	s_or_b64 exec, exec, s[42:43]
	s_and_saveexec_b64 s[42:43], s[40:41]
	s_cbranch_execz .LBB240_48
.LBB240_47:                             ;   in Loop: Header=BB240_13 Depth=1
	v_and_b32_e32 v36, 7, v2
	v_ffbh_u32_e32 v34, v36
	v_min_u32_e32 v38, 32, v34
	v_subrev_u32_e32 v34, 28, v38
	v_bfe_u32 v37, v2, 3, 4
	v_lshlrev_b64 v[34:35], v34, v[2:3]
	v_sub_u32_e32 v35, 29, v38
	v_cmp_eq_u32_e64 s[0:1], 0, v37
	v_and_b32_e32 v34, 7, v34
	v_lshlrev_b32_e32 v2, 8, v2
	v_cndmask_b32_e64 v35, v37, v35, s[0:1]
	v_lshl_add_u32 v35, v35, 10, v22
	v_cndmask_b32_e64 v34, v36, v34, s[0:1]
	v_and_or_b32 v2, v2, s54, v35
	v_lshl_or_b32 v2, v34, 7, v2
	v_cvt_f32_f16_e32 v34, v2
.LBB240_48:                             ;   in Loop: Header=BB240_13 Depth=1
	s_or_b64 exec, exec, s[42:43]
	global_load_ushort v2, v[10:11], off offset:512
	s_mov_b64 s[0:1], 0
                                        ; implicit-def: $sgpr44
	s_waitcnt vmcnt(0)
	v_cmp_gt_i16_sdwa s[40:41], v2, s52 src0_sel:BYTE_0 src1_sel:DWORD
	s_and_saveexec_b64 s[42:43], s[40:41]
	s_xor_b64 s[40:41], exec, s[42:43]
	s_cbranch_execnz .LBB240_162
; %bb.49:                               ;   in Loop: Header=BB240_13 Depth=1
	s_or_saveexec_b64 s[40:41], s[40:41]
	v_mov_b32_e32 v35, s44
	s_xor_b64 exec, exec, s[40:41]
	s_cbranch_execnz .LBB240_165
.LBB240_50:                             ;   in Loop: Header=BB240_13 Depth=1
	s_or_b64 exec, exec, s[40:41]
	v_and_b32_e32 v2, 0xffff, v2
	s_and_saveexec_b64 s[40:41], s[0:1]
	s_cbranch_execz .LBB240_52
.LBB240_51:                             ;   in Loop: Header=BB240_13 Depth=1
	v_and_b32_e32 v35, 7, v2
	v_ffbh_u32_e32 v36, v35
	v_min_u32_e32 v39, 32, v36
	v_subrev_u32_e32 v36, 28, v39
	v_bfe_u32 v38, v2, 3, 4
	v_lshlrev_b64 v[36:37], v36, v[2:3]
	v_sub_u32_e32 v37, 29, v39
	v_cmp_eq_u32_e64 s[0:1], 0, v38
	v_and_b32_e32 v36, 7, v36
	s_nop 0
	v_cndmask_b32_e64 v37, v38, v37, s[0:1]
	v_cndmask_b32_e64 v35, v35, v36, s[0:1]
	v_lshlrev_b32_e32 v36, 8, v2
	v_lshl_add_u32 v37, v37, 10, v22
	v_and_or_b32 v36, v36, s54, v37
	v_lshl_or_b32 v35, v35, 7, v36
	v_cvt_f32_f16_e32 v35, v35
.LBB240_52:                             ;   in Loop: Header=BB240_13 Depth=1
	s_or_b64 exec, exec, s[40:41]
	v_lshrrev_b16_e32 v2, 8, v2
	v_cmp_lt_i16_e64 s[0:1], s52, v2
	s_mov_b64 s[40:41], 0
                                        ; implicit-def: $sgpr55
	s_and_saveexec_b64 s[42:43], s[0:1]
	s_xor_b64 s[42:43], exec, s[42:43]
	s_cbranch_execnz .LBB240_166
; %bb.53:                               ;   in Loop: Header=BB240_13 Depth=1
	s_or_saveexec_b64 s[42:43], s[42:43]
	v_mov_b32_e32 v36, s55
	s_xor_b64 exec, exec, s[42:43]
	s_cbranch_execnz .LBB240_169
.LBB240_54:                             ;   in Loop: Header=BB240_13 Depth=1
	s_or_b64 exec, exec, s[42:43]
	s_and_saveexec_b64 s[42:43], s[40:41]
	s_cbranch_execz .LBB240_56
.LBB240_55:                             ;   in Loop: Header=BB240_13 Depth=1
	v_and_b32_e32 v38, 7, v2
	v_ffbh_u32_e32 v36, v38
	v_min_u32_e32 v40, 32, v36
	v_subrev_u32_e32 v36, 28, v40
	v_bfe_u32 v39, v2, 3, 4
	v_lshlrev_b64 v[36:37], v36, v[2:3]
	v_sub_u32_e32 v37, 29, v40
	v_cmp_eq_u32_e64 s[0:1], 0, v39
	v_and_b32_e32 v36, 7, v36
	v_lshlrev_b32_e32 v2, 8, v2
	v_cndmask_b32_e64 v37, v39, v37, s[0:1]
	v_lshl_add_u32 v37, v37, 10, v22
	v_cndmask_b32_e64 v36, v38, v36, s[0:1]
	v_and_or_b32 v2, v2, s54, v37
	v_lshl_or_b32 v2, v36, 7, v2
	v_cvt_f32_f16_e32 v36, v2
.LBB240_56:                             ;   in Loop: Header=BB240_13 Depth=1
	s_or_b64 exec, exec, s[42:43]
	global_load_ushort v2, v[10:11], off offset:520
	s_mov_b64 s[0:1], 0
                                        ; implicit-def: $sgpr44
	s_waitcnt vmcnt(0)
	v_cmp_gt_i16_sdwa s[40:41], v2, s52 src0_sel:BYTE_0 src1_sel:DWORD
	s_and_saveexec_b64 s[42:43], s[40:41]
	s_xor_b64 s[40:41], exec, s[42:43]
	s_cbranch_execnz .LBB240_170
; %bb.57:                               ;   in Loop: Header=BB240_13 Depth=1
	s_or_saveexec_b64 s[40:41], s[40:41]
	v_mov_b32_e32 v37, s44
	s_xor_b64 exec, exec, s[40:41]
	s_cbranch_execnz .LBB240_173
.LBB240_58:                             ;   in Loop: Header=BB240_13 Depth=1
	s_or_b64 exec, exec, s[40:41]
	v_and_b32_e32 v2, 0xffff, v2
	s_and_saveexec_b64 s[40:41], s[0:1]
	s_cbranch_execz .LBB240_60
.LBB240_59:                             ;   in Loop: Header=BB240_13 Depth=1
	v_and_b32_e32 v37, 7, v2
	v_ffbh_u32_e32 v38, v37
	v_min_u32_e32 v41, 32, v38
	v_subrev_u32_e32 v38, 28, v41
	v_bfe_u32 v40, v2, 3, 4
	v_lshlrev_b64 v[38:39], v38, v[2:3]
	v_sub_u32_e32 v39, 29, v41
	v_cmp_eq_u32_e64 s[0:1], 0, v40
	v_and_b32_e32 v38, 7, v38
	s_nop 0
	v_cndmask_b32_e64 v39, v40, v39, s[0:1]
	v_cndmask_b32_e64 v37, v37, v38, s[0:1]
	v_lshlrev_b32_e32 v38, 8, v2
	v_lshl_add_u32 v39, v39, 10, v22
	v_and_or_b32 v38, v38, s54, v39
	v_lshl_or_b32 v37, v37, 7, v38
	v_cvt_f32_f16_e32 v37, v37
.LBB240_60:                             ;   in Loop: Header=BB240_13 Depth=1
	s_or_b64 exec, exec, s[40:41]
	v_lshrrev_b16_e32 v2, 8, v2
	v_cmp_lt_i16_e64 s[0:1], s52, v2
	s_mov_b64 s[40:41], 0
                                        ; implicit-def: $sgpr55
	s_and_saveexec_b64 s[42:43], s[0:1]
	s_xor_b64 s[42:43], exec, s[42:43]
	s_cbranch_execnz .LBB240_174
; %bb.61:                               ;   in Loop: Header=BB240_13 Depth=1
	s_or_saveexec_b64 s[42:43], s[42:43]
	v_mov_b32_e32 v38, s55
	s_xor_b64 exec, exec, s[42:43]
	s_cbranch_execnz .LBB240_177
.LBB240_62:                             ;   in Loop: Header=BB240_13 Depth=1
	s_or_b64 exec, exec, s[42:43]
	s_and_saveexec_b64 s[42:43], s[40:41]
	s_cbranch_execz .LBB240_64
.LBB240_63:                             ;   in Loop: Header=BB240_13 Depth=1
	v_and_b32_e32 v40, 7, v2
	v_ffbh_u32_e32 v38, v40
	v_min_u32_e32 v42, 32, v38
	v_subrev_u32_e32 v38, 28, v42
	v_bfe_u32 v41, v2, 3, 4
	v_lshlrev_b64 v[38:39], v38, v[2:3]
	v_sub_u32_e32 v39, 29, v42
	v_cmp_eq_u32_e64 s[0:1], 0, v41
	v_and_b32_e32 v38, 7, v38
	v_lshlrev_b32_e32 v2, 8, v2
	v_cndmask_b32_e64 v39, v41, v39, s[0:1]
	v_lshl_add_u32 v39, v39, 10, v22
	v_cndmask_b32_e64 v38, v40, v38, s[0:1]
	v_and_or_b32 v2, v2, s54, v39
	v_lshl_or_b32 v2, v38, 7, v2
	v_cvt_f32_f16_e32 v38, v2
.LBB240_64:                             ;   in Loop: Header=BB240_13 Depth=1
	s_or_b64 exec, exec, s[42:43]
	global_load_ushort v2, v[10:11], off offset:768
	s_mov_b64 s[0:1], 0
                                        ; implicit-def: $sgpr44
	s_waitcnt vmcnt(0)
	v_cmp_gt_i16_sdwa s[40:41], v2, s52 src0_sel:BYTE_0 src1_sel:DWORD
	s_and_saveexec_b64 s[42:43], s[40:41]
	s_xor_b64 s[40:41], exec, s[42:43]
	s_cbranch_execnz .LBB240_178
; %bb.65:                               ;   in Loop: Header=BB240_13 Depth=1
	s_or_saveexec_b64 s[40:41], s[40:41]
	v_mov_b32_e32 v39, s44
	s_xor_b64 exec, exec, s[40:41]
	s_cbranch_execnz .LBB240_181
.LBB240_66:                             ;   in Loop: Header=BB240_13 Depth=1
	s_or_b64 exec, exec, s[40:41]
	v_and_b32_e32 v2, 0xffff, v2
	s_and_saveexec_b64 s[40:41], s[0:1]
	s_cbranch_execz .LBB240_68
.LBB240_67:                             ;   in Loop: Header=BB240_13 Depth=1
	v_and_b32_e32 v39, 7, v2
	v_ffbh_u32_e32 v40, v39
	v_min_u32_e32 v43, 32, v40
	v_subrev_u32_e32 v40, 28, v43
	v_bfe_u32 v42, v2, 3, 4
	v_lshlrev_b64 v[40:41], v40, v[2:3]
	v_sub_u32_e32 v41, 29, v43
	v_cmp_eq_u32_e64 s[0:1], 0, v42
	v_and_b32_e32 v40, 7, v40
	s_nop 0
	v_cndmask_b32_e64 v41, v42, v41, s[0:1]
	v_cndmask_b32_e64 v39, v39, v40, s[0:1]
	v_lshlrev_b32_e32 v40, 8, v2
	v_lshl_add_u32 v41, v41, 10, v22
	v_and_or_b32 v40, v40, s54, v41
	v_lshl_or_b32 v39, v39, 7, v40
	v_cvt_f32_f16_e32 v39, v39
.LBB240_68:                             ;   in Loop: Header=BB240_13 Depth=1
	s_or_b64 exec, exec, s[40:41]
	v_lshrrev_b16_e32 v2, 8, v2
	v_cmp_lt_i16_e64 s[0:1], s52, v2
	s_mov_b64 s[40:41], 0
                                        ; implicit-def: $sgpr55
	s_and_saveexec_b64 s[42:43], s[0:1]
	s_xor_b64 s[42:43], exec, s[42:43]
	s_cbranch_execnz .LBB240_182
; %bb.69:                               ;   in Loop: Header=BB240_13 Depth=1
	s_or_saveexec_b64 s[42:43], s[42:43]
	v_mov_b32_e32 v40, s55
	s_xor_b64 exec, exec, s[42:43]
	s_cbranch_execnz .LBB240_185
.LBB240_70:                             ;   in Loop: Header=BB240_13 Depth=1
	s_or_b64 exec, exec, s[42:43]
	s_and_saveexec_b64 s[42:43], s[40:41]
	s_cbranch_execz .LBB240_72
.LBB240_71:                             ;   in Loop: Header=BB240_13 Depth=1
	v_and_b32_e32 v42, 7, v2
	v_ffbh_u32_e32 v40, v42
	v_min_u32_e32 v44, 32, v40
	v_subrev_u32_e32 v40, 28, v44
	v_bfe_u32 v43, v2, 3, 4
	v_lshlrev_b64 v[40:41], v40, v[2:3]
	v_sub_u32_e32 v41, 29, v44
	v_cmp_eq_u32_e64 s[0:1], 0, v43
	v_and_b32_e32 v40, 7, v40
	v_lshlrev_b32_e32 v2, 8, v2
	v_cndmask_b32_e64 v41, v43, v41, s[0:1]
	v_lshl_add_u32 v41, v41, 10, v22
	v_cndmask_b32_e64 v40, v42, v40, s[0:1]
	v_and_or_b32 v2, v2, s54, v41
	v_lshl_or_b32 v2, v40, 7, v2
	v_cvt_f32_f16_e32 v40, v2
.LBB240_72:                             ;   in Loop: Header=BB240_13 Depth=1
	s_or_b64 exec, exec, s[42:43]
	global_load_ushort v2, v[10:11], off offset:776
	s_mov_b64 s[0:1], 0
                                        ; implicit-def: $sgpr44
	s_waitcnt vmcnt(0)
	v_cmp_gt_i16_sdwa s[40:41], v2, s52 src0_sel:BYTE_0 src1_sel:DWORD
	s_and_saveexec_b64 s[42:43], s[40:41]
	s_xor_b64 s[40:41], exec, s[42:43]
	s_cbranch_execnz .LBB240_186
; %bb.73:                               ;   in Loop: Header=BB240_13 Depth=1
	s_or_saveexec_b64 s[40:41], s[40:41]
	v_mov_b32_e32 v41, s44
	s_xor_b64 exec, exec, s[40:41]
	s_cbranch_execnz .LBB240_189
.LBB240_74:                             ;   in Loop: Header=BB240_13 Depth=1
	s_or_b64 exec, exec, s[40:41]
	v_and_b32_e32 v2, 0xffff, v2
	s_and_saveexec_b64 s[40:41], s[0:1]
	s_cbranch_execz .LBB240_76
.LBB240_75:                             ;   in Loop: Header=BB240_13 Depth=1
	v_and_b32_e32 v41, 7, v2
	v_ffbh_u32_e32 v42, v41
	v_min_u32_e32 v45, 32, v42
	v_subrev_u32_e32 v42, 28, v45
	v_bfe_u32 v44, v2, 3, 4
	v_lshlrev_b64 v[42:43], v42, v[2:3]
	v_sub_u32_e32 v43, 29, v45
	v_cmp_eq_u32_e64 s[0:1], 0, v44
	v_and_b32_e32 v42, 7, v42
	s_nop 0
	v_cndmask_b32_e64 v43, v44, v43, s[0:1]
	v_cndmask_b32_e64 v41, v41, v42, s[0:1]
	v_lshlrev_b32_e32 v42, 8, v2
	v_lshl_add_u32 v43, v43, 10, v22
	v_and_or_b32 v42, v42, s54, v43
	v_lshl_or_b32 v41, v41, 7, v42
	v_cvt_f32_f16_e32 v41, v41
.LBB240_76:                             ;   in Loop: Header=BB240_13 Depth=1
	s_or_b64 exec, exec, s[40:41]
	v_lshrrev_b16_e32 v2, 8, v2
	v_cmp_lt_i16_e64 s[0:1], s52, v2
	s_mov_b64 s[40:41], 0
                                        ; implicit-def: $sgpr55
	s_and_saveexec_b64 s[42:43], s[0:1]
	s_xor_b64 s[42:43], exec, s[42:43]
	s_cbranch_execnz .LBB240_190
; %bb.77:                               ;   in Loop: Header=BB240_13 Depth=1
	s_or_saveexec_b64 s[42:43], s[42:43]
	v_mov_b32_e32 v42, s55
	s_xor_b64 exec, exec, s[42:43]
	s_cbranch_execnz .LBB240_193
.LBB240_78:                             ;   in Loop: Header=BB240_13 Depth=1
	s_or_b64 exec, exec, s[42:43]
	s_and_saveexec_b64 s[42:43], s[40:41]
	s_cbranch_execz .LBB240_80
.LBB240_79:                             ;   in Loop: Header=BB240_13 Depth=1
	v_and_b32_e32 v44, 7, v2
	v_ffbh_u32_e32 v42, v44
	v_min_u32_e32 v46, 32, v42
	v_subrev_u32_e32 v42, 28, v46
	v_bfe_u32 v45, v2, 3, 4
	v_lshlrev_b64 v[42:43], v42, v[2:3]
	v_sub_u32_e32 v43, 29, v46
	v_cmp_eq_u32_e64 s[0:1], 0, v45
	v_and_b32_e32 v42, 7, v42
	v_lshlrev_b32_e32 v2, 8, v2
	v_cndmask_b32_e64 v43, v45, v43, s[0:1]
	v_lshl_add_u32 v43, v43, 10, v22
	v_cndmask_b32_e64 v42, v44, v42, s[0:1]
	v_and_or_b32 v2, v2, s54, v43
	v_lshl_or_b32 v2, v42, 7, v2
	v_cvt_f32_f16_e32 v42, v2
.LBB240_80:                             ;   in Loop: Header=BB240_13 Depth=1
	s_or_b64 exec, exec, s[42:43]
	global_load_ushort v2, v[10:11], off offset:1024
	s_mov_b64 s[0:1], 0
                                        ; implicit-def: $sgpr44
	s_waitcnt vmcnt(0)
	v_cmp_gt_i16_sdwa s[40:41], v2, s52 src0_sel:BYTE_0 src1_sel:DWORD
	s_and_saveexec_b64 s[42:43], s[40:41]
	s_xor_b64 s[40:41], exec, s[42:43]
	s_cbranch_execnz .LBB240_194
; %bb.81:                               ;   in Loop: Header=BB240_13 Depth=1
	s_or_saveexec_b64 s[40:41], s[40:41]
	v_mov_b32_e32 v43, s44
	s_xor_b64 exec, exec, s[40:41]
	s_cbranch_execnz .LBB240_197
.LBB240_82:                             ;   in Loop: Header=BB240_13 Depth=1
	s_or_b64 exec, exec, s[40:41]
	v_and_b32_e32 v2, 0xffff, v2
	s_and_saveexec_b64 s[40:41], s[0:1]
	s_cbranch_execz .LBB240_84
.LBB240_83:                             ;   in Loop: Header=BB240_13 Depth=1
	v_and_b32_e32 v43, 7, v2
	v_ffbh_u32_e32 v44, v43
	v_min_u32_e32 v47, 32, v44
	v_subrev_u32_e32 v44, 28, v47
	v_bfe_u32 v46, v2, 3, 4
	v_lshlrev_b64 v[44:45], v44, v[2:3]
	v_sub_u32_e32 v45, 29, v47
	v_cmp_eq_u32_e64 s[0:1], 0, v46
	v_and_b32_e32 v44, 7, v44
	s_nop 0
	v_cndmask_b32_e64 v45, v46, v45, s[0:1]
	v_cndmask_b32_e64 v43, v43, v44, s[0:1]
	v_lshlrev_b32_e32 v44, 8, v2
	v_lshl_add_u32 v45, v45, 10, v22
	v_and_or_b32 v44, v44, s54, v45
	v_lshl_or_b32 v43, v43, 7, v44
	v_cvt_f32_f16_e32 v43, v43
.LBB240_84:                             ;   in Loop: Header=BB240_13 Depth=1
	s_or_b64 exec, exec, s[40:41]
	v_lshrrev_b16_e32 v2, 8, v2
	v_cmp_lt_i16_e64 s[0:1], s52, v2
	s_mov_b64 s[40:41], 0
                                        ; implicit-def: $sgpr55
	s_and_saveexec_b64 s[42:43], s[0:1]
	s_xor_b64 s[42:43], exec, s[42:43]
	s_cbranch_execnz .LBB240_198
; %bb.85:                               ;   in Loop: Header=BB240_13 Depth=1
	s_or_saveexec_b64 s[42:43], s[42:43]
	v_mov_b32_e32 v44, s55
	s_xor_b64 exec, exec, s[42:43]
	s_cbranch_execnz .LBB240_201
.LBB240_86:                             ;   in Loop: Header=BB240_13 Depth=1
	s_or_b64 exec, exec, s[42:43]
	s_and_saveexec_b64 s[42:43], s[40:41]
	s_cbranch_execz .LBB240_88
.LBB240_87:                             ;   in Loop: Header=BB240_13 Depth=1
	v_and_b32_e32 v46, 7, v2
	v_ffbh_u32_e32 v44, v46
	v_min_u32_e32 v48, 32, v44
	v_subrev_u32_e32 v44, 28, v48
	v_bfe_u32 v47, v2, 3, 4
	v_lshlrev_b64 v[44:45], v44, v[2:3]
	v_sub_u32_e32 v45, 29, v48
	v_cmp_eq_u32_e64 s[0:1], 0, v47
	v_and_b32_e32 v44, 7, v44
	v_lshlrev_b32_e32 v2, 8, v2
	v_cndmask_b32_e64 v45, v47, v45, s[0:1]
	v_lshl_add_u32 v45, v45, 10, v22
	v_cndmask_b32_e64 v44, v46, v44, s[0:1]
	v_and_or_b32 v2, v2, s54, v45
	v_lshl_or_b32 v2, v44, 7, v2
	v_cvt_f32_f16_e32 v44, v2
.LBB240_88:                             ;   in Loop: Header=BB240_13 Depth=1
	s_or_b64 exec, exec, s[42:43]
	global_load_ushort v2, v[10:11], off offset:1032
	s_mov_b64 s[0:1], 0
                                        ; implicit-def: $sgpr44
	s_waitcnt vmcnt(0)
	v_cmp_gt_i16_sdwa s[40:41], v2, s52 src0_sel:BYTE_0 src1_sel:DWORD
	s_and_saveexec_b64 s[42:43], s[40:41]
	s_xor_b64 s[40:41], exec, s[42:43]
	s_cbranch_execnz .LBB240_202
; %bb.89:                               ;   in Loop: Header=BB240_13 Depth=1
	s_or_saveexec_b64 s[40:41], s[40:41]
	v_mov_b32_e32 v45, s44
	s_xor_b64 exec, exec, s[40:41]
	s_cbranch_execnz .LBB240_205
.LBB240_90:                             ;   in Loop: Header=BB240_13 Depth=1
	s_or_b64 exec, exec, s[40:41]
	v_and_b32_e32 v2, 0xffff, v2
	s_and_saveexec_b64 s[40:41], s[0:1]
	s_cbranch_execz .LBB240_92
.LBB240_91:                             ;   in Loop: Header=BB240_13 Depth=1
	v_and_b32_e32 v45, 7, v2
	v_ffbh_u32_e32 v46, v45
	v_min_u32_e32 v49, 32, v46
	v_subrev_u32_e32 v46, 28, v49
	v_bfe_u32 v48, v2, 3, 4
	v_lshlrev_b64 v[46:47], v46, v[2:3]
	v_sub_u32_e32 v47, 29, v49
	v_cmp_eq_u32_e64 s[0:1], 0, v48
	v_and_b32_e32 v46, 7, v46
	s_nop 0
	v_cndmask_b32_e64 v47, v48, v47, s[0:1]
	v_cndmask_b32_e64 v45, v45, v46, s[0:1]
	v_lshlrev_b32_e32 v46, 8, v2
	v_lshl_add_u32 v47, v47, 10, v22
	v_and_or_b32 v46, v46, s54, v47
	v_lshl_or_b32 v45, v45, 7, v46
	v_cvt_f32_f16_e32 v45, v45
.LBB240_92:                             ;   in Loop: Header=BB240_13 Depth=1
	s_or_b64 exec, exec, s[40:41]
	v_lshrrev_b16_e32 v2, 8, v2
	v_cmp_lt_i16_e64 s[0:1], s52, v2
	s_mov_b64 s[40:41], 0
                                        ; implicit-def: $sgpr55
	s_and_saveexec_b64 s[42:43], s[0:1]
	s_xor_b64 s[42:43], exec, s[42:43]
	s_cbranch_execnz .LBB240_206
; %bb.93:                               ;   in Loop: Header=BB240_13 Depth=1
	s_or_saveexec_b64 s[42:43], s[42:43]
	v_mov_b32_e32 v46, s55
	s_xor_b64 exec, exec, s[42:43]
	s_cbranch_execnz .LBB240_209
.LBB240_94:                             ;   in Loop: Header=BB240_13 Depth=1
	s_or_b64 exec, exec, s[42:43]
	s_and_saveexec_b64 s[42:43], s[40:41]
	s_cbranch_execz .LBB240_96
.LBB240_95:                             ;   in Loop: Header=BB240_13 Depth=1
	v_and_b32_e32 v48, 7, v2
	v_ffbh_u32_e32 v46, v48
	v_min_u32_e32 v50, 32, v46
	v_subrev_u32_e32 v46, 28, v50
	v_bfe_u32 v49, v2, 3, 4
	v_lshlrev_b64 v[46:47], v46, v[2:3]
	v_sub_u32_e32 v47, 29, v50
	v_cmp_eq_u32_e64 s[0:1], 0, v49
	v_and_b32_e32 v46, 7, v46
	v_lshlrev_b32_e32 v2, 8, v2
	v_cndmask_b32_e64 v47, v49, v47, s[0:1]
	v_lshl_add_u32 v47, v47, 10, v22
	v_cndmask_b32_e64 v46, v48, v46, s[0:1]
	v_and_or_b32 v2, v2, s54, v47
	v_lshl_or_b32 v2, v46, 7, v2
	v_cvt_f32_f16_e32 v46, v2
.LBB240_96:                             ;   in Loop: Header=BB240_13 Depth=1
	s_or_b64 exec, exec, s[42:43]
	global_load_ushort v2, v[10:11], off offset:1280
	s_mov_b64 s[0:1], 0
                                        ; implicit-def: $sgpr44
	s_waitcnt vmcnt(0)
	v_cmp_gt_i16_sdwa s[40:41], v2, s52 src0_sel:BYTE_0 src1_sel:DWORD
	s_and_saveexec_b64 s[42:43], s[40:41]
	s_xor_b64 s[40:41], exec, s[42:43]
	s_cbranch_execnz .LBB240_210
; %bb.97:                               ;   in Loop: Header=BB240_13 Depth=1
	s_or_saveexec_b64 s[40:41], s[40:41]
	v_mov_b32_e32 v47, s44
	s_xor_b64 exec, exec, s[40:41]
	s_cbranch_execnz .LBB240_213
.LBB240_98:                             ;   in Loop: Header=BB240_13 Depth=1
	s_or_b64 exec, exec, s[40:41]
	v_and_b32_e32 v2, 0xffff, v2
	s_and_saveexec_b64 s[40:41], s[0:1]
	s_cbranch_execz .LBB240_100
.LBB240_99:                             ;   in Loop: Header=BB240_13 Depth=1
	v_and_b32_e32 v47, 7, v2
	v_ffbh_u32_e32 v48, v47
	v_min_u32_e32 v51, 32, v48
	v_subrev_u32_e32 v48, 28, v51
	v_bfe_u32 v50, v2, 3, 4
	v_lshlrev_b64 v[48:49], v48, v[2:3]
	v_sub_u32_e32 v49, 29, v51
	v_cmp_eq_u32_e64 s[0:1], 0, v50
	v_and_b32_e32 v48, 7, v48
	s_nop 0
	v_cndmask_b32_e64 v49, v50, v49, s[0:1]
	v_cndmask_b32_e64 v47, v47, v48, s[0:1]
	v_lshlrev_b32_e32 v48, 8, v2
	v_lshl_add_u32 v49, v49, 10, v22
	v_and_or_b32 v48, v48, s54, v49
	v_lshl_or_b32 v47, v47, 7, v48
	v_cvt_f32_f16_e32 v47, v47
.LBB240_100:                            ;   in Loop: Header=BB240_13 Depth=1
	s_or_b64 exec, exec, s[40:41]
	v_lshrrev_b16_e32 v2, 8, v2
	v_cmp_lt_i16_e64 s[0:1], s52, v2
	s_mov_b64 s[40:41], 0
                                        ; implicit-def: $sgpr55
	s_and_saveexec_b64 s[42:43], s[0:1]
	s_xor_b64 s[42:43], exec, s[42:43]
	s_cbranch_execnz .LBB240_214
; %bb.101:                              ;   in Loop: Header=BB240_13 Depth=1
	s_or_saveexec_b64 s[42:43], s[42:43]
	v_mov_b32_e32 v48, s55
	s_xor_b64 exec, exec, s[42:43]
	s_cbranch_execnz .LBB240_217
.LBB240_102:                            ;   in Loop: Header=BB240_13 Depth=1
	s_or_b64 exec, exec, s[42:43]
	s_and_saveexec_b64 s[42:43], s[40:41]
	s_cbranch_execz .LBB240_104
.LBB240_103:                            ;   in Loop: Header=BB240_13 Depth=1
	v_and_b32_e32 v50, 7, v2
	v_ffbh_u32_e32 v48, v50
	v_min_u32_e32 v52, 32, v48
	v_subrev_u32_e32 v48, 28, v52
	v_bfe_u32 v51, v2, 3, 4
	v_lshlrev_b64 v[48:49], v48, v[2:3]
	v_sub_u32_e32 v49, 29, v52
	v_cmp_eq_u32_e64 s[0:1], 0, v51
	v_and_b32_e32 v48, 7, v48
	v_lshlrev_b32_e32 v2, 8, v2
	v_cndmask_b32_e64 v49, v51, v49, s[0:1]
	v_lshl_add_u32 v49, v49, 10, v22
	v_cndmask_b32_e64 v48, v50, v48, s[0:1]
	v_and_or_b32 v2, v2, s54, v49
	v_lshl_or_b32 v2, v48, 7, v2
	v_cvt_f32_f16_e32 v48, v2
.LBB240_104:                            ;   in Loop: Header=BB240_13 Depth=1
	s_or_b64 exec, exec, s[42:43]
	global_load_ushort v2, v[10:11], off offset:1288
	s_mov_b64 s[0:1], 0
                                        ; implicit-def: $sgpr44
	s_waitcnt vmcnt(0)
	v_cmp_gt_i16_sdwa s[40:41], v2, s52 src0_sel:BYTE_0 src1_sel:DWORD
	s_and_saveexec_b64 s[42:43], s[40:41]
	s_xor_b64 s[40:41], exec, s[42:43]
	s_cbranch_execnz .LBB240_218
; %bb.105:                              ;   in Loop: Header=BB240_13 Depth=1
	s_or_saveexec_b64 s[40:41], s[40:41]
	v_mov_b32_e32 v49, s44
	s_xor_b64 exec, exec, s[40:41]
	s_cbranch_execnz .LBB240_221
.LBB240_106:                            ;   in Loop: Header=BB240_13 Depth=1
	s_or_b64 exec, exec, s[40:41]
	v_and_b32_e32 v2, 0xffff, v2
	s_and_saveexec_b64 s[40:41], s[0:1]
	s_cbranch_execz .LBB240_108
.LBB240_107:                            ;   in Loop: Header=BB240_13 Depth=1
	v_and_b32_e32 v49, 7, v2
	v_ffbh_u32_e32 v50, v49
	v_min_u32_e32 v53, 32, v50
	v_subrev_u32_e32 v50, 28, v53
	v_bfe_u32 v52, v2, 3, 4
	v_lshlrev_b64 v[50:51], v50, v[2:3]
	v_sub_u32_e32 v51, 29, v53
	v_cmp_eq_u32_e64 s[0:1], 0, v52
	v_and_b32_e32 v50, 7, v50
	s_nop 0
	v_cndmask_b32_e64 v51, v52, v51, s[0:1]
	v_cndmask_b32_e64 v49, v49, v50, s[0:1]
	v_lshlrev_b32_e32 v50, 8, v2
	v_lshl_add_u32 v51, v51, 10, v22
	v_and_or_b32 v50, v50, s54, v51
	v_lshl_or_b32 v49, v49, 7, v50
	v_cvt_f32_f16_e32 v49, v49
.LBB240_108:                            ;   in Loop: Header=BB240_13 Depth=1
	s_or_b64 exec, exec, s[40:41]
	v_lshrrev_b16_e32 v2, 8, v2
	v_cmp_lt_i16_e64 s[0:1], s52, v2
	s_mov_b64 s[40:41], 0
                                        ; implicit-def: $sgpr55
	s_and_saveexec_b64 s[42:43], s[0:1]
	s_xor_b64 s[42:43], exec, s[42:43]
	s_cbranch_execnz .LBB240_222
; %bb.109:                              ;   in Loop: Header=BB240_13 Depth=1
	s_or_saveexec_b64 s[42:43], s[42:43]
	v_mov_b32_e32 v50, s55
	s_xor_b64 exec, exec, s[42:43]
	s_cbranch_execnz .LBB240_225
.LBB240_110:                            ;   in Loop: Header=BB240_13 Depth=1
	s_or_b64 exec, exec, s[42:43]
	s_and_saveexec_b64 s[42:43], s[40:41]
	s_cbranch_execz .LBB240_112
.LBB240_111:                            ;   in Loop: Header=BB240_13 Depth=1
	v_and_b32_e32 v52, 7, v2
	v_ffbh_u32_e32 v50, v52
	v_min_u32_e32 v54, 32, v50
	v_subrev_u32_e32 v50, 28, v54
	v_bfe_u32 v53, v2, 3, 4
	v_lshlrev_b64 v[50:51], v50, v[2:3]
	v_sub_u32_e32 v51, 29, v54
	v_cmp_eq_u32_e64 s[0:1], 0, v53
	v_and_b32_e32 v50, 7, v50
	v_lshlrev_b32_e32 v2, 8, v2
	v_cndmask_b32_e64 v51, v53, v51, s[0:1]
	v_lshl_add_u32 v51, v51, 10, v22
	v_cndmask_b32_e64 v50, v52, v50, s[0:1]
	v_and_or_b32 v2, v2, s54, v51
	v_lshl_or_b32 v2, v50, 7, v2
	v_cvt_f32_f16_e32 v50, v2
.LBB240_112:                            ;   in Loop: Header=BB240_13 Depth=1
	s_or_b64 exec, exec, s[42:43]
	global_load_ushort v2, v[10:11], off offset:1536
	s_mov_b64 s[0:1], 0
                                        ; implicit-def: $sgpr44
	s_waitcnt vmcnt(0)
	v_cmp_gt_i16_sdwa s[40:41], v2, s52 src0_sel:BYTE_0 src1_sel:DWORD
	s_and_saveexec_b64 s[42:43], s[40:41]
	s_xor_b64 s[40:41], exec, s[42:43]
	s_cbranch_execnz .LBB240_226
; %bb.113:                              ;   in Loop: Header=BB240_13 Depth=1
	s_or_saveexec_b64 s[40:41], s[40:41]
	v_mov_b32_e32 v51, s44
	s_xor_b64 exec, exec, s[40:41]
	s_cbranch_execnz .LBB240_229
.LBB240_114:                            ;   in Loop: Header=BB240_13 Depth=1
	s_or_b64 exec, exec, s[40:41]
	v_and_b32_e32 v2, 0xffff, v2
	s_and_saveexec_b64 s[40:41], s[0:1]
	s_cbranch_execz .LBB240_116
.LBB240_115:                            ;   in Loop: Header=BB240_13 Depth=1
	v_and_b32_e32 v51, 7, v2
	v_ffbh_u32_e32 v52, v51
	v_min_u32_e32 v55, 32, v52
	v_subrev_u32_e32 v52, 28, v55
	v_bfe_u32 v54, v2, 3, 4
	v_lshlrev_b64 v[52:53], v52, v[2:3]
	v_sub_u32_e32 v53, 29, v55
	v_cmp_eq_u32_e64 s[0:1], 0, v54
	v_and_b32_e32 v52, 7, v52
	s_nop 0
	v_cndmask_b32_e64 v53, v54, v53, s[0:1]
	v_cndmask_b32_e64 v51, v51, v52, s[0:1]
	v_lshlrev_b32_e32 v52, 8, v2
	v_lshl_add_u32 v53, v53, 10, v22
	v_and_or_b32 v52, v52, s54, v53
	v_lshl_or_b32 v51, v51, 7, v52
	v_cvt_f32_f16_e32 v51, v51
.LBB240_116:                            ;   in Loop: Header=BB240_13 Depth=1
	s_or_b64 exec, exec, s[40:41]
	v_lshrrev_b16_e32 v2, 8, v2
	v_cmp_lt_i16_e64 s[0:1], s52, v2
	s_mov_b64 s[40:41], 0
                                        ; implicit-def: $sgpr55
	s_and_saveexec_b64 s[42:43], s[0:1]
	s_xor_b64 s[42:43], exec, s[42:43]
	s_cbranch_execnz .LBB240_230
; %bb.117:                              ;   in Loop: Header=BB240_13 Depth=1
	s_or_saveexec_b64 s[42:43], s[42:43]
	v_mov_b32_e32 v52, s55
	s_xor_b64 exec, exec, s[42:43]
	s_cbranch_execnz .LBB240_233
.LBB240_118:                            ;   in Loop: Header=BB240_13 Depth=1
	s_or_b64 exec, exec, s[42:43]
	s_and_saveexec_b64 s[42:43], s[40:41]
	s_cbranch_execz .LBB240_120
.LBB240_119:                            ;   in Loop: Header=BB240_13 Depth=1
	v_and_b32_e32 v54, 7, v2
	v_ffbh_u32_e32 v52, v54
	v_min_u32_e32 v56, 32, v52
	v_subrev_u32_e32 v52, 28, v56
	v_bfe_u32 v55, v2, 3, 4
	v_lshlrev_b64 v[52:53], v52, v[2:3]
	v_sub_u32_e32 v53, 29, v56
	v_cmp_eq_u32_e64 s[0:1], 0, v55
	v_and_b32_e32 v52, 7, v52
	v_lshlrev_b32_e32 v2, 8, v2
	v_cndmask_b32_e64 v53, v55, v53, s[0:1]
	v_lshl_add_u32 v53, v53, 10, v22
	v_cndmask_b32_e64 v52, v54, v52, s[0:1]
	v_and_or_b32 v2, v2, s54, v53
	v_lshl_or_b32 v2, v52, 7, v2
	v_cvt_f32_f16_e32 v52, v2
.LBB240_120:                            ;   in Loop: Header=BB240_13 Depth=1
	s_or_b64 exec, exec, s[42:43]
	global_load_ushort v2, v[10:11], off offset:1544
	s_mov_b64 s[0:1], 0
                                        ; implicit-def: $sgpr44
	s_waitcnt vmcnt(0)
	v_cmp_gt_i16_sdwa s[40:41], v2, s52 src0_sel:BYTE_0 src1_sel:DWORD
	s_and_saveexec_b64 s[42:43], s[40:41]
	s_xor_b64 s[40:41], exec, s[42:43]
	s_cbranch_execnz .LBB240_234
; %bb.121:                              ;   in Loop: Header=BB240_13 Depth=1
	s_or_saveexec_b64 s[40:41], s[40:41]
	v_mov_b32_e32 v10, s44
	s_xor_b64 exec, exec, s[40:41]
	s_cbranch_execnz .LBB240_237
.LBB240_122:                            ;   in Loop: Header=BB240_13 Depth=1
	s_or_b64 exec, exec, s[40:41]
	v_and_b32_e32 v2, 0xffff, v2
	s_and_saveexec_b64 s[40:41], s[0:1]
	s_cbranch_execz .LBB240_124
.LBB240_123:                            ;   in Loop: Header=BB240_13 Depth=1
	v_and_b32_e32 v53, 7, v2
	v_ffbh_u32_e32 v10, v53
	v_min_u32_e32 v55, 32, v10
	v_subrev_u32_e32 v10, 28, v55
	v_bfe_u32 v54, v2, 3, 4
	v_lshlrev_b64 v[10:11], v10, v[2:3]
	v_sub_u32_e32 v11, 29, v55
	v_cmp_eq_u32_e64 s[0:1], 0, v54
	v_and_b32_e32 v10, 7, v10
	s_nop 0
	v_cndmask_b32_e64 v11, v54, v11, s[0:1]
	v_cndmask_b32_e64 v10, v53, v10, s[0:1]
	v_lshlrev_b32_e32 v53, 8, v2
	v_lshl_add_u32 v11, v11, 10, v22
	v_and_or_b32 v11, v53, s54, v11
	v_lshl_or_b32 v10, v10, 7, v11
	v_cvt_f32_f16_e32 v10, v10
.LBB240_124:                            ;   in Loop: Header=BB240_13 Depth=1
	s_or_b64 exec, exec, s[40:41]
	v_lshrrev_b16_e32 v2, 8, v2
	v_cmp_lt_i16_e64 s[0:1], s52, v2
	s_mov_b64 s[40:41], 0
                                        ; implicit-def: $sgpr55
	s_and_saveexec_b64 s[42:43], s[0:1]
	s_xor_b64 s[42:43], exec, s[42:43]
	s_cbranch_execnz .LBB240_238
; %bb.125:                              ;   in Loop: Header=BB240_13 Depth=1
	s_or_saveexec_b64 s[42:43], s[42:43]
	v_mov_b32_e32 v11, s55
	s_xor_b64 exec, exec, s[42:43]
	s_cbranch_execnz .LBB240_241
.LBB240_126:                            ;   in Loop: Header=BB240_13 Depth=1
	s_or_b64 exec, exec, s[42:43]
	s_and_saveexec_b64 s[42:43], s[40:41]
	s_cbranch_execz .LBB240_128
.LBB240_127:                            ;   in Loop: Header=BB240_13 Depth=1
	v_and_b32_e32 v11, 7, v2
	v_ffbh_u32_e32 v54, v11
	v_min_u32_e32 v56, 32, v54
	v_subrev_u32_e32 v54, 28, v56
	v_bfe_u32 v53, v2, 3, 4
	v_lshlrev_b64 v[54:55], v54, v[2:3]
	v_sub_u32_e32 v55, 29, v56
	v_cmp_eq_u32_e64 s[0:1], 0, v53
	v_and_b32_e32 v54, 7, v54
	v_lshlrev_b32_e32 v2, 8, v2
	v_cndmask_b32_e64 v53, v53, v55, s[0:1]
	v_lshl_add_u32 v53, v53, 10, v22
	v_cndmask_b32_e64 v11, v11, v54, s[0:1]
	v_and_or_b32 v2, v2, s54, v53
	v_lshl_or_b32 v2, v11, 7, v2
	v_cvt_f32_f16_e32 v11, v2
.LBB240_128:                            ;   in Loop: Header=BB240_13 Depth=1
	s_or_b64 exec, exec, s[42:43]
	ds_read_b32 v2, v15
	v_fma_mixlo_f16 v27, v25, v27, 0
	v_fma_mixlo_f16 v28, v25, v28, 0
	v_and_b32_e32 v27, 0xffff, v27
	v_and_b32_e32 v28, 0xffff, v28
	s_waitcnt lgkmcnt(0)
	v_lshrrev_b32_e32 v53, 16, v2
	v_and_b32_e32 v2, 0xffff, v2
	;;#ASMSTART
	v_cvt_f32_f16 v2, v2;
	;;#ASMEND
	;;#ASMSTART
	v_cvt_f32_f16 v53, v53;
	;;#ASMEND
	;;#ASMSTART
	v_cvt_f32_f16 v27, v27;
	;;#ASMEND
	;;#ASMSTART
	v_cvt_f32_f16 v28, v28;
	;;#ASMEND
	ds_read_b32 v54, v15 offset:4
	v_fma_mixlo_f16 v29, v25, v29, 0
	v_fma_mixlo_f16 v30, v25, v30, 0
	v_and_b32_e32 v29, 0xffff, v29
	v_and_b32_e32 v30, 0xffff, v30
	s_waitcnt lgkmcnt(0)
	v_lshrrev_b32_e32 v55, 16, v54
	v_and_b32_e32 v54, 0xffff, v54
	;;#ASMSTART
	v_cvt_f32_f16 v54, v54;
	;;#ASMEND
	;;#ASMSTART
	v_cvt_f32_f16 v55, v55;
	;;#ASMEND
	;;#ASMSTART
	v_cvt_f32_f16 v29, v29;
	;;#ASMEND
	;;#ASMSTART
	v_cvt_f32_f16 v30, v30;
	;;#ASMEND
	ds_read_b32 v56, v15 offset:8
	;; [unrolled: 20-line block ×7, first 2 shown]
	v_fma_mixlo_f16 v51, v25, v51, 0
	v_fma_mixlo_f16 v52, v25, v52, 0
	;; [unrolled: 1-line block ×14, first 2 shown]
	v_mul_f32_e32 v25, v54, v29
	v_fmac_f32_e32 v25, v2, v27
	s_waitcnt lgkmcnt(0)
	v_lshrrev_b32_e32 v2, 16, v66
	v_and_b32_e32 v27, 0xffff, v66
	v_and_b32_e32 v29, 0xffff, v41
	;; [unrolled: 1-line block ×3, first 2 shown]
	;;#ASMSTART
	v_cvt_f32_f16 v27, v27;
	;;#ASMEND
	;;#ASMSTART
	v_cvt_f32_f16 v2, v2;
	;;#ASMEND
	;; [unrolled: 3-line block ×4, first 2 shown]
	ds_read_b32 v42, v15 offset:32
	v_mul_f32_e32 v30, v55, v30
	v_fmac_f32_e32 v30, v53, v28
	v_fmac_f32_e32 v25, v56, v31
	v_fmac_f32_e32 v30, v57, v32
	s_waitcnt lgkmcnt(0)
	v_lshrrev_b32_e32 v28, 16, v42
	v_and_b32_e32 v31, 0xffff, v42
	v_and_b32_e32 v32, 0xffff, v43
	v_and_b32_e32 v42, 0xffff, v44
	;;#ASMSTART
	v_cvt_f32_f16 v31, v31;
	;;#ASMEND
	;;#ASMSTART
	v_cvt_f32_f16 v28, v28;
	;;#ASMEND
	;;#ASMSTART
	v_cvt_f32_f16 v32, v32;
	;;#ASMEND
	;;#ASMSTART
	v_cvt_f32_f16 v42, v42;
	;;#ASMEND
	ds_read_b32 v43, v15 offset:36
	v_fmac_f32_e32 v25, v58, v33
	v_fmac_f32_e32 v30, v59, v34
	v_fmac_f32_e32 v25, v60, v35
	v_fmac_f32_e32 v30, v61, v36
	s_waitcnt lgkmcnt(0)
	v_lshrrev_b32_e32 v33, 16, v43
	v_and_b32_e32 v34, 0xffff, v43
	v_and_b32_e32 v35, 0xffff, v45
	v_and_b32_e32 v36, 0xffff, v46
	;;#ASMSTART
	v_cvt_f32_f16 v34, v34;
	;;#ASMEND
	;;#ASMSTART
	v_cvt_f32_f16 v33, v33;
	;;#ASMEND
	;;#ASMSTART
	v_cvt_f32_f16 v35, v35;
	;;#ASMEND
	;;#ASMSTART
	v_cvt_f32_f16 v36, v36;
	;;#ASMEND
	ds_read_b32 v43, v15 offset:40
	v_fmac_f32_e32 v25, v62, v37
	;; [unrolled: 22-line block ×3, first 2 shown]
	v_fmac_f32_e32 v25, v27, v29
	v_fmac_f32_e32 v30, v28, v42
	v_and_b32_e32 v28, 0xffff, v49
	s_waitcnt lgkmcnt(0)
	v_lshrrev_b32_e32 v2, 16, v43
	v_and_b32_e32 v27, 0xffff, v43
	v_and_b32_e32 v29, 0xffff, v50
	v_fmac_f32_e32 v25, v31, v32
	;;#ASMSTART
	v_cvt_f32_f16 v27, v27;
	;;#ASMEND
	;;#ASMSTART
	v_cvt_f32_f16 v2, v2;
	;;#ASMEND
	;; [unrolled: 3-line block ×4, first 2 shown]
	ds_read_b32 v31, v15 offset:48
	v_fmac_f32_e32 v25, v34, v35
	v_fmac_f32_e32 v30, v33, v36
	v_and_b32_e32 v33, 0xffff, v51
	v_and_b32_e32 v34, 0xffff, v52
	s_waitcnt lgkmcnt(0)
	v_lshrrev_b32_e32 v32, 16, v31
	v_and_b32_e32 v31, 0xffff, v31
	;;#ASMSTART
	v_cvt_f32_f16 v31, v31;
	;;#ASMEND
	;;#ASMSTART
	v_cvt_f32_f16 v32, v32;
	;;#ASMEND
	;; [unrolled: 3-line block ×4, first 2 shown]
	ds_read_b32 v35, v15 offset:52
	v_fmac_f32_e32 v25, v38, v39
	v_fmac_f32_e32 v30, v37, v40
	;; [unrolled: 1-line block ×4, first 2 shown]
	s_waitcnt lgkmcnt(0)
	v_lshrrev_b32_e32 v2, 16, v35
	v_and_b32_e32 v27, 0xffff, v35
	v_and_b32_e32 v10, 0xffff, v10
	v_fmac_f32_e32 v25, v31, v33
	;;#ASMSTART
	v_cvt_f32_f16 v27, v27;
	;;#ASMEND
	;;#ASMSTART
	v_cvt_f32_f16 v2, v2;
	;;#ASMEND
	;; [unrolled: 3-line block ×3, first 2 shown]
	v_and_b32_e32 v11, 0xffff, v11
	v_fmac_f32_e32 v30, v32, v34
	;;#ASMSTART
	v_cvt_f32_f16 v11, v11;
	;;#ASMEND
	v_fmac_f32_e32 v25, v27, v10
	v_and_b32_e32 v10, 64, v23
	v_fmac_f32_e32 v30, v2, v11
	v_add_u32_e32 v10, 64, v10
	v_xor_b32_e32 v11, 2, v23
	v_cmp_lt_i32_e64 s[0:1], v11, v10
	v_add_f32_e32 v2, v25, v30
	s_nop 0
	v_cndmask_b32_e64 v11, v23, v11, s[0:1]
	v_lshlrev_b32_e32 v11, 2, v11
	ds_bpermute_b32 v11, v11, v2
	s_waitcnt lgkmcnt(0)
	v_add_f32_e32 v2, v2, v11
	v_xor_b32_e32 v11, 1, v23
	v_cmp_lt_i32_e64 s[0:1], v11, v10
	s_nop 1
	v_cndmask_b32_e64 v10, v23, v11, s[0:1]
	v_lshlrev_b32_e32 v10, 2, v10
	ds_bpermute_b32 v10, v10, v2
	s_and_saveexec_b64 s[40:41], vcc
	s_cbranch_execz .LBB240_11
; %bb.129:                              ;   in Loop: Header=BB240_13 Depth=1
	v_add_u32_e32 v11, v20, v18
	v_cvt_f32_i32_e32 v11, v11
	s_waitcnt lgkmcnt(0)
	v_add_f32_e32 v2, v2, v10
	v_add_u32_e32 v25, v14, v18
	v_cmp_gt_i32_e64 s[0:1], s33, v25
	v_mul_f32_e32 v10, s49, v11
	v_cndmask_b32_e64 v10, 0, v10, s[2:3]
	v_fmac_f32_e32 v10, s37, v2
	v_cndmask_b32_e64 v2, 0, v10, s[0:1]
	ds_write_b32 v19, v2
	v_max_f32_e32 v2, v16, v16
	v_max_f32_e32 v2, v2, v10
	v_cndmask_b32_e64 v16, v16, v2, s[0:1]
	s_branch .LBB240_11
.LBB240_130:                            ;   in Loop: Header=BB240_13 Depth=1
	v_cmp_eq_u16_sdwa s[56:57], v2, s53 src0_sel:BYTE_0 src1_sel:DWORD
	s_mov_b64 s[0:1], -1
                                        ; implicit-def: $sgpr44
	s_and_saveexec_b64 s[42:43], s[56:57]
; %bb.131:                              ;   in Loop: Header=BB240_13 Depth=1
	s_mov_b32 s44, 0x7fc02000
	s_xor_b64 s[0:1], exec, -1
; %bb.132:                              ;   in Loop: Header=BB240_13 Depth=1
	s_or_b64 exec, exec, s[42:43]
	s_and_b64 s[0:1], s[0:1], exec
	s_or_saveexec_b64 s[40:41], s[40:41]
	v_mov_b32_e32 v27, s44
	s_xor_b64 exec, exec, s[40:41]
	s_cbranch_execz .LBB240_18
.LBB240_133:                            ;   in Loop: Header=BB240_13 Depth=1
	v_cmp_ne_u16_sdwa s[42:43], v2, v3 src0_sel:BYTE_0 src1_sel:DWORD
	s_andn2_b64 s[0:1], s[0:1], exec
	s_and_b64 s[42:43], s[42:43], exec
	v_mov_b32_e32 v27, 0
	s_or_b64 s[0:1], s[0:1], s[42:43]
	s_or_b64 exec, exec, s[40:41]
	v_and_b32_e32 v2, 0xffff, v2
	s_and_saveexec_b64 s[40:41], s[0:1]
	s_cbranch_execnz .LBB240_19
	s_branch .LBB240_20
.LBB240_134:                            ;   in Loop: Header=BB240_13 Depth=1
	v_cmp_eq_u16_e64 s[0:1], s53, v2
	s_mov_b64 s[40:41], -1
                                        ; implicit-def: $sgpr55
	s_and_saveexec_b64 s[44:45], s[0:1]
; %bb.135:                              ;   in Loop: Header=BB240_13 Depth=1
	s_mov_b32 s55, 0x7fc02000
	s_xor_b64 s[40:41], exec, -1
; %bb.136:                              ;   in Loop: Header=BB240_13 Depth=1
	s_or_b64 exec, exec, s[44:45]
	s_and_b64 s[40:41], s[40:41], exec
	s_or_saveexec_b64 s[42:43], s[42:43]
	v_mov_b32_e32 v28, s55
	s_xor_b64 exec, exec, s[42:43]
	s_cbranch_execz .LBB240_22
.LBB240_137:                            ;   in Loop: Header=BB240_13 Depth=1
	v_cmp_ne_u16_e64 s[0:1], 0, v2
	s_andn2_b64 s[40:41], s[40:41], exec
	s_and_b64 s[0:1], s[0:1], exec
	v_mov_b32_e32 v28, 0
	s_or_b64 s[40:41], s[40:41], s[0:1]
	s_or_b64 exec, exec, s[42:43]
	s_and_saveexec_b64 s[42:43], s[40:41]
	s_cbranch_execnz .LBB240_23
	s_branch .LBB240_24
.LBB240_138:                            ;   in Loop: Header=BB240_13 Depth=1
	v_cmp_eq_u16_sdwa s[56:57], v2, s53 src0_sel:BYTE_0 src1_sel:DWORD
	s_mov_b64 s[0:1], -1
                                        ; implicit-def: $sgpr44
	s_and_saveexec_b64 s[42:43], s[56:57]
; %bb.139:                              ;   in Loop: Header=BB240_13 Depth=1
	s_mov_b32 s44, 0x7fc02000
	s_xor_b64 s[0:1], exec, -1
; %bb.140:                              ;   in Loop: Header=BB240_13 Depth=1
	s_or_b64 exec, exec, s[42:43]
	s_and_b64 s[0:1], s[0:1], exec
	s_or_saveexec_b64 s[40:41], s[40:41]
	v_mov_b32_e32 v29, s44
	s_xor_b64 exec, exec, s[40:41]
	s_cbranch_execz .LBB240_26
.LBB240_141:                            ;   in Loop: Header=BB240_13 Depth=1
	v_cmp_ne_u16_sdwa s[42:43], v2, v3 src0_sel:BYTE_0 src1_sel:DWORD
	s_andn2_b64 s[0:1], s[0:1], exec
	s_and_b64 s[42:43], s[42:43], exec
	v_mov_b32_e32 v29, 0
	s_or_b64 s[0:1], s[0:1], s[42:43]
	s_or_b64 exec, exec, s[40:41]
	v_and_b32_e32 v2, 0xffff, v2
	s_and_saveexec_b64 s[40:41], s[0:1]
	s_cbranch_execnz .LBB240_27
	s_branch .LBB240_28
.LBB240_142:                            ;   in Loop: Header=BB240_13 Depth=1
	v_cmp_eq_u16_e64 s[0:1], s53, v2
	s_mov_b64 s[40:41], -1
                                        ; implicit-def: $sgpr55
	s_and_saveexec_b64 s[44:45], s[0:1]
; %bb.143:                              ;   in Loop: Header=BB240_13 Depth=1
	s_mov_b32 s55, 0x7fc02000
	s_xor_b64 s[40:41], exec, -1
; %bb.144:                              ;   in Loop: Header=BB240_13 Depth=1
	s_or_b64 exec, exec, s[44:45]
	s_and_b64 s[40:41], s[40:41], exec
	s_or_saveexec_b64 s[42:43], s[42:43]
	v_mov_b32_e32 v30, s55
	s_xor_b64 exec, exec, s[42:43]
	s_cbranch_execz .LBB240_30
.LBB240_145:                            ;   in Loop: Header=BB240_13 Depth=1
	v_cmp_ne_u16_e64 s[0:1], 0, v2
	s_andn2_b64 s[40:41], s[40:41], exec
	s_and_b64 s[0:1], s[0:1], exec
	v_mov_b32_e32 v30, 0
	s_or_b64 s[40:41], s[40:41], s[0:1]
	s_or_b64 exec, exec, s[42:43]
	s_and_saveexec_b64 s[42:43], s[40:41]
	s_cbranch_execnz .LBB240_31
	s_branch .LBB240_32
.LBB240_146:                            ;   in Loop: Header=BB240_13 Depth=1
	v_cmp_eq_u16_sdwa s[56:57], v2, s53 src0_sel:BYTE_0 src1_sel:DWORD
	s_mov_b64 s[0:1], -1
                                        ; implicit-def: $sgpr44
	s_and_saveexec_b64 s[42:43], s[56:57]
; %bb.147:                              ;   in Loop: Header=BB240_13 Depth=1
	s_mov_b32 s44, 0x7fc02000
	s_xor_b64 s[0:1], exec, -1
; %bb.148:                              ;   in Loop: Header=BB240_13 Depth=1
	s_or_b64 exec, exec, s[42:43]
	s_and_b64 s[0:1], s[0:1], exec
	s_or_saveexec_b64 s[40:41], s[40:41]
	v_mov_b32_e32 v31, s44
	s_xor_b64 exec, exec, s[40:41]
	s_cbranch_execz .LBB240_34
.LBB240_149:                            ;   in Loop: Header=BB240_13 Depth=1
	v_cmp_ne_u16_sdwa s[42:43], v2, v3 src0_sel:BYTE_0 src1_sel:DWORD
	s_andn2_b64 s[0:1], s[0:1], exec
	s_and_b64 s[42:43], s[42:43], exec
	v_mov_b32_e32 v31, 0
	s_or_b64 s[0:1], s[0:1], s[42:43]
	s_or_b64 exec, exec, s[40:41]
	v_and_b32_e32 v2, 0xffff, v2
	s_and_saveexec_b64 s[40:41], s[0:1]
	s_cbranch_execnz .LBB240_35
	s_branch .LBB240_36
.LBB240_150:                            ;   in Loop: Header=BB240_13 Depth=1
	v_cmp_eq_u16_e64 s[0:1], s53, v2
	s_mov_b64 s[40:41], -1
                                        ; implicit-def: $sgpr55
	s_and_saveexec_b64 s[44:45], s[0:1]
; %bb.151:                              ;   in Loop: Header=BB240_13 Depth=1
	s_mov_b32 s55, 0x7fc02000
	s_xor_b64 s[40:41], exec, -1
; %bb.152:                              ;   in Loop: Header=BB240_13 Depth=1
	s_or_b64 exec, exec, s[44:45]
	s_and_b64 s[40:41], s[40:41], exec
	s_or_saveexec_b64 s[42:43], s[42:43]
	v_mov_b32_e32 v32, s55
	s_xor_b64 exec, exec, s[42:43]
	s_cbranch_execz .LBB240_38
.LBB240_153:                            ;   in Loop: Header=BB240_13 Depth=1
	v_cmp_ne_u16_e64 s[0:1], 0, v2
	s_andn2_b64 s[40:41], s[40:41], exec
	s_and_b64 s[0:1], s[0:1], exec
	v_mov_b32_e32 v32, 0
	s_or_b64 s[40:41], s[40:41], s[0:1]
	s_or_b64 exec, exec, s[42:43]
	s_and_saveexec_b64 s[42:43], s[40:41]
	s_cbranch_execnz .LBB240_39
	s_branch .LBB240_40
.LBB240_154:                            ;   in Loop: Header=BB240_13 Depth=1
	v_cmp_eq_u16_sdwa s[56:57], v2, s53 src0_sel:BYTE_0 src1_sel:DWORD
	s_mov_b64 s[0:1], -1
                                        ; implicit-def: $sgpr44
	s_and_saveexec_b64 s[42:43], s[56:57]
; %bb.155:                              ;   in Loop: Header=BB240_13 Depth=1
	s_mov_b32 s44, 0x7fc02000
	s_xor_b64 s[0:1], exec, -1
; %bb.156:                              ;   in Loop: Header=BB240_13 Depth=1
	s_or_b64 exec, exec, s[42:43]
	s_and_b64 s[0:1], s[0:1], exec
	s_or_saveexec_b64 s[40:41], s[40:41]
	v_mov_b32_e32 v33, s44
	s_xor_b64 exec, exec, s[40:41]
	s_cbranch_execz .LBB240_42
.LBB240_157:                            ;   in Loop: Header=BB240_13 Depth=1
	v_cmp_ne_u16_sdwa s[42:43], v2, v3 src0_sel:BYTE_0 src1_sel:DWORD
	s_andn2_b64 s[0:1], s[0:1], exec
	s_and_b64 s[42:43], s[42:43], exec
	v_mov_b32_e32 v33, 0
	s_or_b64 s[0:1], s[0:1], s[42:43]
	s_or_b64 exec, exec, s[40:41]
	v_and_b32_e32 v2, 0xffff, v2
	s_and_saveexec_b64 s[40:41], s[0:1]
	s_cbranch_execnz .LBB240_43
	s_branch .LBB240_44
.LBB240_158:                            ;   in Loop: Header=BB240_13 Depth=1
	v_cmp_eq_u16_e64 s[0:1], s53, v2
	s_mov_b64 s[40:41], -1
                                        ; implicit-def: $sgpr55
	s_and_saveexec_b64 s[44:45], s[0:1]
; %bb.159:                              ;   in Loop: Header=BB240_13 Depth=1
	s_mov_b32 s55, 0x7fc02000
	s_xor_b64 s[40:41], exec, -1
; %bb.160:                              ;   in Loop: Header=BB240_13 Depth=1
	s_or_b64 exec, exec, s[44:45]
	s_and_b64 s[40:41], s[40:41], exec
	s_or_saveexec_b64 s[42:43], s[42:43]
	v_mov_b32_e32 v34, s55
	s_xor_b64 exec, exec, s[42:43]
	s_cbranch_execz .LBB240_46
.LBB240_161:                            ;   in Loop: Header=BB240_13 Depth=1
	v_cmp_ne_u16_e64 s[0:1], 0, v2
	s_andn2_b64 s[40:41], s[40:41], exec
	s_and_b64 s[0:1], s[0:1], exec
	v_mov_b32_e32 v34, 0
	s_or_b64 s[40:41], s[40:41], s[0:1]
	s_or_b64 exec, exec, s[42:43]
	s_and_saveexec_b64 s[42:43], s[40:41]
	s_cbranch_execnz .LBB240_47
	s_branch .LBB240_48
.LBB240_162:                            ;   in Loop: Header=BB240_13 Depth=1
	v_cmp_eq_u16_sdwa s[56:57], v2, s53 src0_sel:BYTE_0 src1_sel:DWORD
	s_mov_b64 s[0:1], -1
                                        ; implicit-def: $sgpr44
	s_and_saveexec_b64 s[42:43], s[56:57]
; %bb.163:                              ;   in Loop: Header=BB240_13 Depth=1
	s_mov_b32 s44, 0x7fc02000
	s_xor_b64 s[0:1], exec, -1
; %bb.164:                              ;   in Loop: Header=BB240_13 Depth=1
	s_or_b64 exec, exec, s[42:43]
	s_and_b64 s[0:1], s[0:1], exec
	s_or_saveexec_b64 s[40:41], s[40:41]
	v_mov_b32_e32 v35, s44
	s_xor_b64 exec, exec, s[40:41]
	s_cbranch_execz .LBB240_50
.LBB240_165:                            ;   in Loop: Header=BB240_13 Depth=1
	v_cmp_ne_u16_sdwa s[42:43], v2, v3 src0_sel:BYTE_0 src1_sel:DWORD
	s_andn2_b64 s[0:1], s[0:1], exec
	s_and_b64 s[42:43], s[42:43], exec
	v_mov_b32_e32 v35, 0
	s_or_b64 s[0:1], s[0:1], s[42:43]
	s_or_b64 exec, exec, s[40:41]
	v_and_b32_e32 v2, 0xffff, v2
	s_and_saveexec_b64 s[40:41], s[0:1]
	s_cbranch_execnz .LBB240_51
	s_branch .LBB240_52
.LBB240_166:                            ;   in Loop: Header=BB240_13 Depth=1
	v_cmp_eq_u16_e64 s[0:1], s53, v2
	s_mov_b64 s[40:41], -1
                                        ; implicit-def: $sgpr55
	s_and_saveexec_b64 s[44:45], s[0:1]
; %bb.167:                              ;   in Loop: Header=BB240_13 Depth=1
	s_mov_b32 s55, 0x7fc02000
	s_xor_b64 s[40:41], exec, -1
; %bb.168:                              ;   in Loop: Header=BB240_13 Depth=1
	s_or_b64 exec, exec, s[44:45]
	s_and_b64 s[40:41], s[40:41], exec
	s_or_saveexec_b64 s[42:43], s[42:43]
	v_mov_b32_e32 v36, s55
	s_xor_b64 exec, exec, s[42:43]
	s_cbranch_execz .LBB240_54
.LBB240_169:                            ;   in Loop: Header=BB240_13 Depth=1
	v_cmp_ne_u16_e64 s[0:1], 0, v2
	s_andn2_b64 s[40:41], s[40:41], exec
	s_and_b64 s[0:1], s[0:1], exec
	v_mov_b32_e32 v36, 0
	s_or_b64 s[40:41], s[40:41], s[0:1]
	s_or_b64 exec, exec, s[42:43]
	s_and_saveexec_b64 s[42:43], s[40:41]
	s_cbranch_execnz .LBB240_55
	s_branch .LBB240_56
.LBB240_170:                            ;   in Loop: Header=BB240_13 Depth=1
	v_cmp_eq_u16_sdwa s[56:57], v2, s53 src0_sel:BYTE_0 src1_sel:DWORD
	s_mov_b64 s[0:1], -1
                                        ; implicit-def: $sgpr44
	s_and_saveexec_b64 s[42:43], s[56:57]
; %bb.171:                              ;   in Loop: Header=BB240_13 Depth=1
	s_mov_b32 s44, 0x7fc02000
	s_xor_b64 s[0:1], exec, -1
; %bb.172:                              ;   in Loop: Header=BB240_13 Depth=1
	s_or_b64 exec, exec, s[42:43]
	s_and_b64 s[0:1], s[0:1], exec
	s_or_saveexec_b64 s[40:41], s[40:41]
	v_mov_b32_e32 v37, s44
	s_xor_b64 exec, exec, s[40:41]
	s_cbranch_execz .LBB240_58
.LBB240_173:                            ;   in Loop: Header=BB240_13 Depth=1
	v_cmp_ne_u16_sdwa s[42:43], v2, v3 src0_sel:BYTE_0 src1_sel:DWORD
	s_andn2_b64 s[0:1], s[0:1], exec
	s_and_b64 s[42:43], s[42:43], exec
	v_mov_b32_e32 v37, 0
	s_or_b64 s[0:1], s[0:1], s[42:43]
	s_or_b64 exec, exec, s[40:41]
	v_and_b32_e32 v2, 0xffff, v2
	s_and_saveexec_b64 s[40:41], s[0:1]
	s_cbranch_execnz .LBB240_59
	s_branch .LBB240_60
.LBB240_174:                            ;   in Loop: Header=BB240_13 Depth=1
	v_cmp_eq_u16_e64 s[0:1], s53, v2
	s_mov_b64 s[40:41], -1
                                        ; implicit-def: $sgpr55
	s_and_saveexec_b64 s[44:45], s[0:1]
; %bb.175:                              ;   in Loop: Header=BB240_13 Depth=1
	s_mov_b32 s55, 0x7fc02000
	s_xor_b64 s[40:41], exec, -1
; %bb.176:                              ;   in Loop: Header=BB240_13 Depth=1
	s_or_b64 exec, exec, s[44:45]
	s_and_b64 s[40:41], s[40:41], exec
	s_or_saveexec_b64 s[42:43], s[42:43]
	v_mov_b32_e32 v38, s55
	s_xor_b64 exec, exec, s[42:43]
	s_cbranch_execz .LBB240_62
.LBB240_177:                            ;   in Loop: Header=BB240_13 Depth=1
	v_cmp_ne_u16_e64 s[0:1], 0, v2
	s_andn2_b64 s[40:41], s[40:41], exec
	s_and_b64 s[0:1], s[0:1], exec
	v_mov_b32_e32 v38, 0
	s_or_b64 s[40:41], s[40:41], s[0:1]
	s_or_b64 exec, exec, s[42:43]
	s_and_saveexec_b64 s[42:43], s[40:41]
	s_cbranch_execnz .LBB240_63
	s_branch .LBB240_64
.LBB240_178:                            ;   in Loop: Header=BB240_13 Depth=1
	v_cmp_eq_u16_sdwa s[56:57], v2, s53 src0_sel:BYTE_0 src1_sel:DWORD
	s_mov_b64 s[0:1], -1
                                        ; implicit-def: $sgpr44
	s_and_saveexec_b64 s[42:43], s[56:57]
; %bb.179:                              ;   in Loop: Header=BB240_13 Depth=1
	s_mov_b32 s44, 0x7fc02000
	s_xor_b64 s[0:1], exec, -1
; %bb.180:                              ;   in Loop: Header=BB240_13 Depth=1
	s_or_b64 exec, exec, s[42:43]
	s_and_b64 s[0:1], s[0:1], exec
	s_or_saveexec_b64 s[40:41], s[40:41]
	v_mov_b32_e32 v39, s44
	s_xor_b64 exec, exec, s[40:41]
	s_cbranch_execz .LBB240_66
.LBB240_181:                            ;   in Loop: Header=BB240_13 Depth=1
	v_cmp_ne_u16_sdwa s[42:43], v2, v3 src0_sel:BYTE_0 src1_sel:DWORD
	s_andn2_b64 s[0:1], s[0:1], exec
	s_and_b64 s[42:43], s[42:43], exec
	v_mov_b32_e32 v39, 0
	s_or_b64 s[0:1], s[0:1], s[42:43]
	s_or_b64 exec, exec, s[40:41]
	v_and_b32_e32 v2, 0xffff, v2
	s_and_saveexec_b64 s[40:41], s[0:1]
	s_cbranch_execnz .LBB240_67
	s_branch .LBB240_68
.LBB240_182:                            ;   in Loop: Header=BB240_13 Depth=1
	v_cmp_eq_u16_e64 s[0:1], s53, v2
	s_mov_b64 s[40:41], -1
                                        ; implicit-def: $sgpr55
	s_and_saveexec_b64 s[44:45], s[0:1]
; %bb.183:                              ;   in Loop: Header=BB240_13 Depth=1
	s_mov_b32 s55, 0x7fc02000
	s_xor_b64 s[40:41], exec, -1
; %bb.184:                              ;   in Loop: Header=BB240_13 Depth=1
	s_or_b64 exec, exec, s[44:45]
	s_and_b64 s[40:41], s[40:41], exec
	s_or_saveexec_b64 s[42:43], s[42:43]
	v_mov_b32_e32 v40, s55
	s_xor_b64 exec, exec, s[42:43]
	s_cbranch_execz .LBB240_70
.LBB240_185:                            ;   in Loop: Header=BB240_13 Depth=1
	v_cmp_ne_u16_e64 s[0:1], 0, v2
	s_andn2_b64 s[40:41], s[40:41], exec
	s_and_b64 s[0:1], s[0:1], exec
	v_mov_b32_e32 v40, 0
	s_or_b64 s[40:41], s[40:41], s[0:1]
	s_or_b64 exec, exec, s[42:43]
	s_and_saveexec_b64 s[42:43], s[40:41]
	s_cbranch_execnz .LBB240_71
	s_branch .LBB240_72
.LBB240_186:                            ;   in Loop: Header=BB240_13 Depth=1
	v_cmp_eq_u16_sdwa s[56:57], v2, s53 src0_sel:BYTE_0 src1_sel:DWORD
	s_mov_b64 s[0:1], -1
                                        ; implicit-def: $sgpr44
	s_and_saveexec_b64 s[42:43], s[56:57]
; %bb.187:                              ;   in Loop: Header=BB240_13 Depth=1
	s_mov_b32 s44, 0x7fc02000
	s_xor_b64 s[0:1], exec, -1
; %bb.188:                              ;   in Loop: Header=BB240_13 Depth=1
	s_or_b64 exec, exec, s[42:43]
	s_and_b64 s[0:1], s[0:1], exec
	s_or_saveexec_b64 s[40:41], s[40:41]
	v_mov_b32_e32 v41, s44
	s_xor_b64 exec, exec, s[40:41]
	s_cbranch_execz .LBB240_74
.LBB240_189:                            ;   in Loop: Header=BB240_13 Depth=1
	v_cmp_ne_u16_sdwa s[42:43], v2, v3 src0_sel:BYTE_0 src1_sel:DWORD
	s_andn2_b64 s[0:1], s[0:1], exec
	s_and_b64 s[42:43], s[42:43], exec
	v_mov_b32_e32 v41, 0
	s_or_b64 s[0:1], s[0:1], s[42:43]
	s_or_b64 exec, exec, s[40:41]
	v_and_b32_e32 v2, 0xffff, v2
	s_and_saveexec_b64 s[40:41], s[0:1]
	s_cbranch_execnz .LBB240_75
	s_branch .LBB240_76
.LBB240_190:                            ;   in Loop: Header=BB240_13 Depth=1
	v_cmp_eq_u16_e64 s[0:1], s53, v2
	s_mov_b64 s[40:41], -1
                                        ; implicit-def: $sgpr55
	s_and_saveexec_b64 s[44:45], s[0:1]
; %bb.191:                              ;   in Loop: Header=BB240_13 Depth=1
	s_mov_b32 s55, 0x7fc02000
	s_xor_b64 s[40:41], exec, -1
; %bb.192:                              ;   in Loop: Header=BB240_13 Depth=1
	s_or_b64 exec, exec, s[44:45]
	s_and_b64 s[40:41], s[40:41], exec
	s_or_saveexec_b64 s[42:43], s[42:43]
	v_mov_b32_e32 v42, s55
	s_xor_b64 exec, exec, s[42:43]
	s_cbranch_execz .LBB240_78
.LBB240_193:                            ;   in Loop: Header=BB240_13 Depth=1
	v_cmp_ne_u16_e64 s[0:1], 0, v2
	s_andn2_b64 s[40:41], s[40:41], exec
	s_and_b64 s[0:1], s[0:1], exec
	v_mov_b32_e32 v42, 0
	s_or_b64 s[40:41], s[40:41], s[0:1]
	s_or_b64 exec, exec, s[42:43]
	s_and_saveexec_b64 s[42:43], s[40:41]
	s_cbranch_execnz .LBB240_79
	s_branch .LBB240_80
.LBB240_194:                            ;   in Loop: Header=BB240_13 Depth=1
	v_cmp_eq_u16_sdwa s[56:57], v2, s53 src0_sel:BYTE_0 src1_sel:DWORD
	s_mov_b64 s[0:1], -1
                                        ; implicit-def: $sgpr44
	s_and_saveexec_b64 s[42:43], s[56:57]
; %bb.195:                              ;   in Loop: Header=BB240_13 Depth=1
	s_mov_b32 s44, 0x7fc02000
	s_xor_b64 s[0:1], exec, -1
; %bb.196:                              ;   in Loop: Header=BB240_13 Depth=1
	s_or_b64 exec, exec, s[42:43]
	s_and_b64 s[0:1], s[0:1], exec
	s_or_saveexec_b64 s[40:41], s[40:41]
	v_mov_b32_e32 v43, s44
	s_xor_b64 exec, exec, s[40:41]
	s_cbranch_execz .LBB240_82
.LBB240_197:                            ;   in Loop: Header=BB240_13 Depth=1
	v_cmp_ne_u16_sdwa s[42:43], v2, v3 src0_sel:BYTE_0 src1_sel:DWORD
	s_andn2_b64 s[0:1], s[0:1], exec
	s_and_b64 s[42:43], s[42:43], exec
	v_mov_b32_e32 v43, 0
	s_or_b64 s[0:1], s[0:1], s[42:43]
	s_or_b64 exec, exec, s[40:41]
	v_and_b32_e32 v2, 0xffff, v2
	s_and_saveexec_b64 s[40:41], s[0:1]
	s_cbranch_execnz .LBB240_83
	s_branch .LBB240_84
.LBB240_198:                            ;   in Loop: Header=BB240_13 Depth=1
	v_cmp_eq_u16_e64 s[0:1], s53, v2
	s_mov_b64 s[40:41], -1
                                        ; implicit-def: $sgpr55
	s_and_saveexec_b64 s[44:45], s[0:1]
; %bb.199:                              ;   in Loop: Header=BB240_13 Depth=1
	s_mov_b32 s55, 0x7fc02000
	s_xor_b64 s[40:41], exec, -1
; %bb.200:                              ;   in Loop: Header=BB240_13 Depth=1
	s_or_b64 exec, exec, s[44:45]
	s_and_b64 s[40:41], s[40:41], exec
	s_or_saveexec_b64 s[42:43], s[42:43]
	v_mov_b32_e32 v44, s55
	s_xor_b64 exec, exec, s[42:43]
	s_cbranch_execz .LBB240_86
.LBB240_201:                            ;   in Loop: Header=BB240_13 Depth=1
	v_cmp_ne_u16_e64 s[0:1], 0, v2
	s_andn2_b64 s[40:41], s[40:41], exec
	s_and_b64 s[0:1], s[0:1], exec
	v_mov_b32_e32 v44, 0
	s_or_b64 s[40:41], s[40:41], s[0:1]
	s_or_b64 exec, exec, s[42:43]
	s_and_saveexec_b64 s[42:43], s[40:41]
	s_cbranch_execnz .LBB240_87
	s_branch .LBB240_88
.LBB240_202:                            ;   in Loop: Header=BB240_13 Depth=1
	v_cmp_eq_u16_sdwa s[56:57], v2, s53 src0_sel:BYTE_0 src1_sel:DWORD
	s_mov_b64 s[0:1], -1
                                        ; implicit-def: $sgpr44
	s_and_saveexec_b64 s[42:43], s[56:57]
; %bb.203:                              ;   in Loop: Header=BB240_13 Depth=1
	s_mov_b32 s44, 0x7fc02000
	s_xor_b64 s[0:1], exec, -1
; %bb.204:                              ;   in Loop: Header=BB240_13 Depth=1
	s_or_b64 exec, exec, s[42:43]
	s_and_b64 s[0:1], s[0:1], exec
	s_or_saveexec_b64 s[40:41], s[40:41]
	v_mov_b32_e32 v45, s44
	s_xor_b64 exec, exec, s[40:41]
	s_cbranch_execz .LBB240_90
.LBB240_205:                            ;   in Loop: Header=BB240_13 Depth=1
	v_cmp_ne_u16_sdwa s[42:43], v2, v3 src0_sel:BYTE_0 src1_sel:DWORD
	s_andn2_b64 s[0:1], s[0:1], exec
	s_and_b64 s[42:43], s[42:43], exec
	v_mov_b32_e32 v45, 0
	s_or_b64 s[0:1], s[0:1], s[42:43]
	s_or_b64 exec, exec, s[40:41]
	v_and_b32_e32 v2, 0xffff, v2
	s_and_saveexec_b64 s[40:41], s[0:1]
	s_cbranch_execnz .LBB240_91
	s_branch .LBB240_92
.LBB240_206:                            ;   in Loop: Header=BB240_13 Depth=1
	v_cmp_eq_u16_e64 s[0:1], s53, v2
	s_mov_b64 s[40:41], -1
                                        ; implicit-def: $sgpr55
	s_and_saveexec_b64 s[44:45], s[0:1]
; %bb.207:                              ;   in Loop: Header=BB240_13 Depth=1
	s_mov_b32 s55, 0x7fc02000
	s_xor_b64 s[40:41], exec, -1
; %bb.208:                              ;   in Loop: Header=BB240_13 Depth=1
	s_or_b64 exec, exec, s[44:45]
	s_and_b64 s[40:41], s[40:41], exec
	s_or_saveexec_b64 s[42:43], s[42:43]
	v_mov_b32_e32 v46, s55
	s_xor_b64 exec, exec, s[42:43]
	s_cbranch_execz .LBB240_94
.LBB240_209:                            ;   in Loop: Header=BB240_13 Depth=1
	v_cmp_ne_u16_e64 s[0:1], 0, v2
	s_andn2_b64 s[40:41], s[40:41], exec
	s_and_b64 s[0:1], s[0:1], exec
	v_mov_b32_e32 v46, 0
	s_or_b64 s[40:41], s[40:41], s[0:1]
	s_or_b64 exec, exec, s[42:43]
	s_and_saveexec_b64 s[42:43], s[40:41]
	s_cbranch_execnz .LBB240_95
	s_branch .LBB240_96
.LBB240_210:                            ;   in Loop: Header=BB240_13 Depth=1
	v_cmp_eq_u16_sdwa s[56:57], v2, s53 src0_sel:BYTE_0 src1_sel:DWORD
	s_mov_b64 s[0:1], -1
                                        ; implicit-def: $sgpr44
	s_and_saveexec_b64 s[42:43], s[56:57]
; %bb.211:                              ;   in Loop: Header=BB240_13 Depth=1
	s_mov_b32 s44, 0x7fc02000
	s_xor_b64 s[0:1], exec, -1
; %bb.212:                              ;   in Loop: Header=BB240_13 Depth=1
	s_or_b64 exec, exec, s[42:43]
	s_and_b64 s[0:1], s[0:1], exec
	s_or_saveexec_b64 s[40:41], s[40:41]
	v_mov_b32_e32 v47, s44
	s_xor_b64 exec, exec, s[40:41]
	s_cbranch_execz .LBB240_98
.LBB240_213:                            ;   in Loop: Header=BB240_13 Depth=1
	v_cmp_ne_u16_sdwa s[42:43], v2, v3 src0_sel:BYTE_0 src1_sel:DWORD
	s_andn2_b64 s[0:1], s[0:1], exec
	s_and_b64 s[42:43], s[42:43], exec
	v_mov_b32_e32 v47, 0
	s_or_b64 s[0:1], s[0:1], s[42:43]
	s_or_b64 exec, exec, s[40:41]
	v_and_b32_e32 v2, 0xffff, v2
	s_and_saveexec_b64 s[40:41], s[0:1]
	s_cbranch_execnz .LBB240_99
	s_branch .LBB240_100
.LBB240_214:                            ;   in Loop: Header=BB240_13 Depth=1
	v_cmp_eq_u16_e64 s[0:1], s53, v2
	s_mov_b64 s[40:41], -1
                                        ; implicit-def: $sgpr55
	s_and_saveexec_b64 s[44:45], s[0:1]
; %bb.215:                              ;   in Loop: Header=BB240_13 Depth=1
	s_mov_b32 s55, 0x7fc02000
	s_xor_b64 s[40:41], exec, -1
; %bb.216:                              ;   in Loop: Header=BB240_13 Depth=1
	s_or_b64 exec, exec, s[44:45]
	s_and_b64 s[40:41], s[40:41], exec
	s_or_saveexec_b64 s[42:43], s[42:43]
	v_mov_b32_e32 v48, s55
	s_xor_b64 exec, exec, s[42:43]
	s_cbranch_execz .LBB240_102
.LBB240_217:                            ;   in Loop: Header=BB240_13 Depth=1
	v_cmp_ne_u16_e64 s[0:1], 0, v2
	s_andn2_b64 s[40:41], s[40:41], exec
	s_and_b64 s[0:1], s[0:1], exec
	v_mov_b32_e32 v48, 0
	s_or_b64 s[40:41], s[40:41], s[0:1]
	s_or_b64 exec, exec, s[42:43]
	s_and_saveexec_b64 s[42:43], s[40:41]
	s_cbranch_execnz .LBB240_103
	s_branch .LBB240_104
.LBB240_218:                            ;   in Loop: Header=BB240_13 Depth=1
	v_cmp_eq_u16_sdwa s[56:57], v2, s53 src0_sel:BYTE_0 src1_sel:DWORD
	s_mov_b64 s[0:1], -1
                                        ; implicit-def: $sgpr44
	s_and_saveexec_b64 s[42:43], s[56:57]
; %bb.219:                              ;   in Loop: Header=BB240_13 Depth=1
	s_mov_b32 s44, 0x7fc02000
	s_xor_b64 s[0:1], exec, -1
; %bb.220:                              ;   in Loop: Header=BB240_13 Depth=1
	s_or_b64 exec, exec, s[42:43]
	s_and_b64 s[0:1], s[0:1], exec
	s_or_saveexec_b64 s[40:41], s[40:41]
	v_mov_b32_e32 v49, s44
	s_xor_b64 exec, exec, s[40:41]
	s_cbranch_execz .LBB240_106
.LBB240_221:                            ;   in Loop: Header=BB240_13 Depth=1
	v_cmp_ne_u16_sdwa s[42:43], v2, v3 src0_sel:BYTE_0 src1_sel:DWORD
	s_andn2_b64 s[0:1], s[0:1], exec
	s_and_b64 s[42:43], s[42:43], exec
	v_mov_b32_e32 v49, 0
	s_or_b64 s[0:1], s[0:1], s[42:43]
	s_or_b64 exec, exec, s[40:41]
	v_and_b32_e32 v2, 0xffff, v2
	s_and_saveexec_b64 s[40:41], s[0:1]
	s_cbranch_execnz .LBB240_107
	s_branch .LBB240_108
.LBB240_222:                            ;   in Loop: Header=BB240_13 Depth=1
	v_cmp_eq_u16_e64 s[0:1], s53, v2
	s_mov_b64 s[40:41], -1
                                        ; implicit-def: $sgpr55
	s_and_saveexec_b64 s[44:45], s[0:1]
; %bb.223:                              ;   in Loop: Header=BB240_13 Depth=1
	s_mov_b32 s55, 0x7fc02000
	s_xor_b64 s[40:41], exec, -1
; %bb.224:                              ;   in Loop: Header=BB240_13 Depth=1
	s_or_b64 exec, exec, s[44:45]
	s_and_b64 s[40:41], s[40:41], exec
	s_or_saveexec_b64 s[42:43], s[42:43]
	v_mov_b32_e32 v50, s55
	s_xor_b64 exec, exec, s[42:43]
	s_cbranch_execz .LBB240_110
.LBB240_225:                            ;   in Loop: Header=BB240_13 Depth=1
	v_cmp_ne_u16_e64 s[0:1], 0, v2
	s_andn2_b64 s[40:41], s[40:41], exec
	s_and_b64 s[0:1], s[0:1], exec
	v_mov_b32_e32 v50, 0
	s_or_b64 s[40:41], s[40:41], s[0:1]
	s_or_b64 exec, exec, s[42:43]
	s_and_saveexec_b64 s[42:43], s[40:41]
	s_cbranch_execnz .LBB240_111
	s_branch .LBB240_112
.LBB240_226:                            ;   in Loop: Header=BB240_13 Depth=1
	v_cmp_eq_u16_sdwa s[56:57], v2, s53 src0_sel:BYTE_0 src1_sel:DWORD
	s_mov_b64 s[0:1], -1
                                        ; implicit-def: $sgpr44
	s_and_saveexec_b64 s[42:43], s[56:57]
; %bb.227:                              ;   in Loop: Header=BB240_13 Depth=1
	s_mov_b32 s44, 0x7fc02000
	s_xor_b64 s[0:1], exec, -1
; %bb.228:                              ;   in Loop: Header=BB240_13 Depth=1
	s_or_b64 exec, exec, s[42:43]
	s_and_b64 s[0:1], s[0:1], exec
	s_or_saveexec_b64 s[40:41], s[40:41]
	v_mov_b32_e32 v51, s44
	s_xor_b64 exec, exec, s[40:41]
	s_cbranch_execz .LBB240_114
.LBB240_229:                            ;   in Loop: Header=BB240_13 Depth=1
	v_cmp_ne_u16_sdwa s[42:43], v2, v3 src0_sel:BYTE_0 src1_sel:DWORD
	s_andn2_b64 s[0:1], s[0:1], exec
	s_and_b64 s[42:43], s[42:43], exec
	v_mov_b32_e32 v51, 0
	s_or_b64 s[0:1], s[0:1], s[42:43]
	s_or_b64 exec, exec, s[40:41]
	v_and_b32_e32 v2, 0xffff, v2
	s_and_saveexec_b64 s[40:41], s[0:1]
	s_cbranch_execnz .LBB240_115
	s_branch .LBB240_116
.LBB240_230:                            ;   in Loop: Header=BB240_13 Depth=1
	v_cmp_eq_u16_e64 s[0:1], s53, v2
	s_mov_b64 s[40:41], -1
                                        ; implicit-def: $sgpr55
	s_and_saveexec_b64 s[44:45], s[0:1]
; %bb.231:                              ;   in Loop: Header=BB240_13 Depth=1
	s_mov_b32 s55, 0x7fc02000
	s_xor_b64 s[40:41], exec, -1
; %bb.232:                              ;   in Loop: Header=BB240_13 Depth=1
	s_or_b64 exec, exec, s[44:45]
	s_and_b64 s[40:41], s[40:41], exec
	s_or_saveexec_b64 s[42:43], s[42:43]
	v_mov_b32_e32 v52, s55
	s_xor_b64 exec, exec, s[42:43]
	s_cbranch_execz .LBB240_118
.LBB240_233:                            ;   in Loop: Header=BB240_13 Depth=1
	v_cmp_ne_u16_e64 s[0:1], 0, v2
	s_andn2_b64 s[40:41], s[40:41], exec
	s_and_b64 s[0:1], s[0:1], exec
	v_mov_b32_e32 v52, 0
	s_or_b64 s[40:41], s[40:41], s[0:1]
	s_or_b64 exec, exec, s[42:43]
	s_and_saveexec_b64 s[42:43], s[40:41]
	s_cbranch_execnz .LBB240_119
	s_branch .LBB240_120
.LBB240_234:                            ;   in Loop: Header=BB240_13 Depth=1
	v_cmp_eq_u16_sdwa s[56:57], v2, s53 src0_sel:BYTE_0 src1_sel:DWORD
	s_mov_b64 s[0:1], -1
                                        ; implicit-def: $sgpr44
	s_and_saveexec_b64 s[42:43], s[56:57]
; %bb.235:                              ;   in Loop: Header=BB240_13 Depth=1
	s_mov_b32 s44, 0x7fc02000
	s_xor_b64 s[0:1], exec, -1
; %bb.236:                              ;   in Loop: Header=BB240_13 Depth=1
	s_or_b64 exec, exec, s[42:43]
	s_and_b64 s[0:1], s[0:1], exec
	s_or_saveexec_b64 s[40:41], s[40:41]
	v_mov_b32_e32 v10, s44
	s_xor_b64 exec, exec, s[40:41]
	s_cbranch_execz .LBB240_122
.LBB240_237:                            ;   in Loop: Header=BB240_13 Depth=1
	v_cmp_ne_u16_sdwa s[42:43], v2, v3 src0_sel:BYTE_0 src1_sel:DWORD
	s_andn2_b64 s[0:1], s[0:1], exec
	s_and_b64 s[42:43], s[42:43], exec
	v_mov_b32_e32 v10, 0
	s_or_b64 s[0:1], s[0:1], s[42:43]
	s_or_b64 exec, exec, s[40:41]
	v_and_b32_e32 v2, 0xffff, v2
	s_and_saveexec_b64 s[40:41], s[0:1]
	s_cbranch_execnz .LBB240_123
	s_branch .LBB240_124
.LBB240_238:                            ;   in Loop: Header=BB240_13 Depth=1
	v_cmp_eq_u16_e64 s[0:1], s53, v2
	s_mov_b64 s[40:41], -1
                                        ; implicit-def: $sgpr55
	s_and_saveexec_b64 s[44:45], s[0:1]
; %bb.239:                              ;   in Loop: Header=BB240_13 Depth=1
	s_mov_b32 s55, 0x7fc02000
	s_xor_b64 s[40:41], exec, -1
; %bb.240:                              ;   in Loop: Header=BB240_13 Depth=1
	s_or_b64 exec, exec, s[44:45]
	s_and_b64 s[40:41], s[40:41], exec
	s_or_saveexec_b64 s[42:43], s[42:43]
	v_mov_b32_e32 v11, s55
	s_xor_b64 exec, exec, s[42:43]
	s_cbranch_execz .LBB240_126
.LBB240_241:                            ;   in Loop: Header=BB240_13 Depth=1
	v_cmp_ne_u16_e64 s[0:1], 0, v2
	s_andn2_b64 s[40:41], s[40:41], exec
	s_and_b64 s[0:1], s[0:1], exec
	v_mov_b32_e32 v11, 0
	s_or_b64 s[40:41], s[40:41], s[0:1]
	s_or_b64 exec, exec, s[42:43]
	s_and_saveexec_b64 s[42:43], s[40:41]
	s_cbranch_execnz .LBB240_127
	s_branch .LBB240_128
.LBB240_242:
	s_or_b64 exec, exec, s[38:39]
.LBB240_243:
	s_or_b64 exec, exec, s[18:19]
	v_mbcnt_hi_u32_b32 v2, -1, v13
	v_and_b32_e32 v3, 64, v2
	v_add_u32_e32 v3, 64, v3
	v_xor_b32_e32 v4, 32, v2
	v_cmp_lt_i32_e32 vcc, v4, v3
	v_xor_b32_e32 v7, 16, v2
	v_max_f32_e32 v6, v16, v16
	v_cndmask_b32_e32 v4, v2, v4, vcc
	v_lshlrev_b32_e32 v5, 2, v4
	ds_bpermute_b32 v4, v5, v16
	v_cmp_lt_i32_e32 vcc, v7, v3
	v_xor_b32_e32 v8, 8, v2
	s_waitcnt lgkmcnt(1)
	v_xor_b32_e32 v10, 4, v2
	s_waitcnt lgkmcnt(0)
	v_max_f32_e32 v4, v4, v4
	v_max_f32_e32 v4, v6, v4
	v_cndmask_b32_e32 v6, v2, v7, vcc
	v_lshlrev_b32_e32 v6, 2, v6
	ds_bpermute_b32 v7, v6, v4
	v_cmp_lt_i32_e32 vcc, v8, v3
	s_waitcnt lgkmcnt(0)
	v_max_f32_e32 v7, v7, v7
	v_max_f32_e32 v4, v4, v7
	v_cndmask_b32_e32 v7, v2, v8, vcc
	v_lshlrev_b32_e32 v9, 2, v7
	ds_bpermute_b32 v7, v9, v4
	v_cmp_lt_i32_e32 vcc, v10, v3
	s_waitcnt lgkmcnt(0)
	v_max_f32_e32 v7, v7, v7
	v_max_f32_e32 v8, v4, v7
	v_cndmask_b32_e32 v4, v2, v10, vcc
	v_lshlrev_b32_e32 v10, 2, v4
	ds_bpermute_b32 v11, v10, v8
	v_and_b32_e32 v4, 63, v0
	v_cmp_eq_u32_e32 vcc, 0, v4
	v_lshlrev_b32_e32 v7, 2, v1
	s_and_saveexec_b64 s[0:1], vcc
	s_cbranch_execz .LBB240_245
; %bb.244:
	s_waitcnt lgkmcnt(0)
	v_max_f32_e32 v11, v11, v11
	v_max_f32_e32 v8, v8, v8
	;; [unrolled: 1-line block ×3, first 2 shown]
	ds_write_b32 v7, v8 offset:224
.LBB240_245:
	s_or_b64 exec, exec, s[0:1]
	v_cmp_gt_u32_e64 s[0:1], 2, v4
	s_waitcnt lgkmcnt(0)
	v_mov_b32_e32 v11, 0xff7fffff
	v_lshlrev_b32_e32 v8, 2, v4
	s_barrier
	s_and_saveexec_b64 s[2:3], s[0:1]
	s_cbranch_execz .LBB240_247
; %bb.246:
	ds_read_b32 v11, v8 offset:224
.LBB240_247:
	s_or_b64 exec, exec, s[2:3]
	v_xor_b32_e32 v13, 1, v2
	v_cmp_lt_i32_e64 s[2:3], v13, v3
	v_lshlrev_b32_e32 v14, 2, v2
	s_nop 0
	v_cndmask_b32_e64 v13, v2, v13, s[2:3]
	v_lshlrev_b32_e32 v27, 2, v13
	s_waitcnt lgkmcnt(0)
	ds_bpermute_b32 v13, v27, v11
	v_max_f32_e32 v11, v11, v11
	s_lshl_b32 s2, s48, 4
	s_min_i32 s23, s2, s33
	v_cmp_gt_i32_e64 s[2:3], s23, v0
	s_waitcnt lgkmcnt(0)
	v_max_f32_e32 v13, v13, v13
	v_max_f32_e32 v13, v11, v13
	v_and_b32_e32 v11, 0x100, v14
	ds_bpermute_b32 v14, v11, v13
	v_mov_b32_e32 v13, 0
	s_and_saveexec_b64 s[12:13], s[2:3]
	s_cbranch_execz .LBB240_251
; %bb.248:
	v_mov_b32_e32 v13, 0xf0
	v_lshl_add_u32 v15, v0, 2, v13
	s_mov_b64 s[18:19], 0
	v_mov_b32_e32 v13, 0
	v_mov_b32_e32 v16, v0
.LBB240_249:                            ; =>This Inner Loop Header: Depth=1
	ds_read_b32 v17, v15
	v_add_u32_e32 v16, 0x80, v16
	v_cmp_le_i32_e64 s[8:9], s23, v16
	s_or_b64 s[18:19], s[8:9], s[18:19]
	s_waitcnt lgkmcnt(0)
	v_sub_f32_e32 v17, v17, v14
	v_mul_f32_e32 v17, 0x3fb8aa3b, v17
	v_exp_f32_e32 v17, v17
	ds_write_b32 v15, v17
	v_add_f32_e32 v13, v13, v17
	v_add_u32_e32 v15, 0x200, v15
	s_andn2_b64 exec, exec, s[18:19]
	s_cbranch_execnz .LBB240_249
; %bb.250:
	s_or_b64 exec, exec, s[18:19]
.LBB240_251:
	s_or_b64 exec, exec, s[12:13]
	ds_bpermute_b32 v5, v5, v13
	s_waitcnt lgkmcnt(0)
	v_add_f32_e32 v5, v13, v5
	ds_bpermute_b32 v6, v6, v5
	s_waitcnt lgkmcnt(0)
	v_add_f32_e32 v5, v5, v6
	ds_bpermute_b32 v6, v9, v5
	v_xor_b32_e32 v9, 2, v2
	v_cmp_lt_i32_e64 s[8:9], v9, v3
	s_waitcnt lgkmcnt(0)
	v_add_f32_e32 v5, v5, v6
	ds_bpermute_b32 v6, v10, v5
	v_cndmask_b32_e64 v2, v2, v9, s[8:9]
	v_lshlrev_b32_e32 v2, 2, v2
	s_waitcnt lgkmcnt(0)
	v_add_f32_e32 v3, v5, v6
	ds_bpermute_b32 v2, v2, v3
	s_waitcnt lgkmcnt(0)
	v_add_f32_e32 v2, v3, v2
	ds_bpermute_b32 v3, v27, v2
	s_waitcnt lgkmcnt(0)
	v_add_f32_e32 v2, v2, v3
	s_and_saveexec_b64 s[8:9], vcc
	s_cbranch_execz .LBB240_253
; %bb.252:
	ds_write_b32 v7, v2 offset:232
.LBB240_253:
	s_or_b64 exec, exec, s[8:9]
	s_waitcnt lgkmcnt(0)
	s_barrier
	s_and_saveexec_b64 s[8:9], s[0:1]
	s_cbranch_execz .LBB240_255
; %bb.254:
	ds_read_b32 v2, v8 offset:232
.LBB240_255:
	s_or_b64 exec, exec, s[8:9]
	s_waitcnt lgkmcnt(0)
	ds_bpermute_b32 v3, v27, v2
	s_waitcnt lgkmcnt(0)
	v_add_f32_e32 v2, v2, v3
	ds_bpermute_b32 v2, v11, v2
	s_and_saveexec_b64 s[0:1], s[2:3]
	s_cbranch_execz .LBB240_268
; %bb.256:
	s_waitcnt lgkmcnt(0)
	v_add_f32_e32 v2, 0x358637bd, v2
	v_div_scale_f32 v3, s[2:3], v2, v2, 1.0
	v_rcp_f32_e32 v5, v3
	v_div_scale_f32 v6, vcc, 1.0, v2, 1.0
	s_movk_i32 s2, 0x7f
	v_fma_f32 v7, -v3, v5, 1.0
	v_fmac_f32_e32 v5, v7, v5
	v_mul_f32_e32 v7, v6, v5
	v_fma_f32 v8, -v3, v7, v6
	v_fmac_f32_e32 v7, v8, v5
	v_fma_f32 v3, -v3, v7, v6
	v_div_fmas_f32 v3, v3, v5, v7
	v_xad_u32 v5, v0, -1, s23
	v_div_fixup_f32 v2, v3, v2, 1.0
	v_cmp_lt_u32_e32 vcc, s2, v5
	s_mov_b64 s[8:9], -1
	v_mov_b32_e32 v3, v0
	s_and_saveexec_b64 s[2:3], vcc
	s_cbranch_execz .LBB240_265
; %bb.257:
	v_lshrrev_b32_e32 v5, 7, v5
	v_add_u32_e32 v7, -1, v5
	v_lshrrev_b32_e32 v6, 1, v7
	v_mov_b32_e32 v3, v2
	v_add_u32_e32 v6, 1, v6
	v_cmp_lt_u32_e32 vcc, 13, v7
	v_mov_b32_e32 v9, 0
	s_and_saveexec_b64 s[8:9], vcc
	s_cbranch_execz .LBB240_261
; %bb.258:
	v_mov_b32_e32 v8, 0xf0
	v_and_b32_e32 v7, -8, v6
	v_lshl_add_u32 v8, v0, 2, v8
	s_mov_b32 s18, 0
	s_mov_b64 s[12:13], 0
.LBB240_259:                            ; =>This Inner Loop Header: Depth=1
	ds_read2st64_b32 v[10:11], v8 offset1:2
	ds_read2st64_b32 v[14:15], v8 offset0:4 offset1:6
	ds_read2st64_b32 v[16:17], v8 offset0:8 offset1:10
	;; [unrolled: 1-line block ×3, first 2 shown]
	v_add_u32_e32 v7, -8, v7
	s_waitcnt lgkmcnt(3)
	v_pk_mul_f32 v[10:11], v[2:3], v[10:11]
	s_waitcnt lgkmcnt(2)
	v_pk_mul_f32 v[14:15], v[2:3], v[14:15]
	ds_write2st64_b32 v8, v10, v11 offset1:2
	ds_write2st64_b32 v8, v14, v15 offset0:4 offset1:6
	ds_read2st64_b32 v[14:15], v8 offset0:16 offset1:18
	s_waitcnt lgkmcnt(4)
	v_pk_mul_f32 v[10:11], v[2:3], v[16:17]
	ds_write2st64_b32 v8, v10, v11 offset0:8 offset1:10
	s_waitcnt lgkmcnt(4)
	v_pk_mul_f32 v[10:11], v[2:3], v[18:19]
	ds_write2st64_b32 v8, v10, v11 offset0:12 offset1:14
	ds_read2st64_b32 v[10:11], v8 offset0:20 offset1:22
	s_waitcnt lgkmcnt(3)
	v_pk_mul_f32 v[14:15], v[2:3], v[14:15]
	ds_read2st64_b32 v[16:17], v8 offset0:24 offset1:26
	ds_write2st64_b32 v8, v14, v15 offset0:16 offset1:18
	ds_read2st64_b32 v[14:15], v8 offset0:28 offset1:30
	s_waitcnt lgkmcnt(3)
	v_pk_mul_f32 v[10:11], v[2:3], v[10:11]
	ds_write2st64_b32 v8, v10, v11 offset0:20 offset1:22
	s_waitcnt lgkmcnt(3)
	v_pk_mul_f32 v[10:11], v[2:3], v[16:17]
	ds_write2st64_b32 v8, v10, v11 offset0:24 offset1:26
	s_waitcnt lgkmcnt(2)
	v_pk_mul_f32 v[10:11], v[2:3], v[14:15]
	s_add_i32 s18, s18, 16
	v_cmp_eq_u32_e32 vcc, 0, v7
	ds_write2st64_b32 v8, v10, v11 offset0:28 offset1:30
	v_add_u32_e32 v8, 0x2000, v8
	s_or_b64 s[12:13], vcc, s[12:13]
	v_mov_b32_e32 v9, s18
	s_andn2_b64 exec, exec, s[12:13]
	s_cbranch_execnz .LBB240_259
; %bb.260:
	s_or_b64 exec, exec, s[12:13]
.LBB240_261:
	s_or_b64 exec, exec, s[8:9]
	v_and_b32_e32 v6, 7, v6
	v_cmp_ne_u32_e32 vcc, 0, v6
	s_and_saveexec_b64 s[8:9], vcc
	s_cbranch_execz .LBB240_264
; %bb.262:
	v_lshlrev_b32_e32 v7, 9, v9
	v_lshlrev_b32_e32 v8, 2, v0
	s_movk_i32 s12, 0xf0
	v_add3_u32 v7, v7, v8, s12
	s_mov_b64 s[12:13], 0
.LBB240_263:                            ; =>This Inner Loop Header: Depth=1
	ds_read2st64_b32 v[8:9], v7 offset1:2
	v_add_u32_e32 v6, -1, v6
	v_cmp_eq_u32_e32 vcc, 0, v6
	s_or_b64 s[12:13], vcc, s[12:13]
	s_waitcnt lgkmcnt(0)
	v_pk_mul_f32 v[8:9], v[2:3], v[8:9]
	ds_write2st64_b32 v7, v8, v9 offset1:2
	v_add_u32_e32 v7, 0x400, v7
	s_andn2_b64 exec, exec, s[12:13]
	s_cbranch_execnz .LBB240_263
.LBB240_264:
	s_or_b64 exec, exec, s[8:9]
	v_add_u32_e32 v5, 1, v5
	v_and_b32_e32 v6, 0x3fffffe, v5
	v_cmp_ne_u32_e32 vcc, v5, v6
	v_lshl_add_u32 v3, v6, 7, v0
	s_orn2_b64 s[8:9], vcc, exec
.LBB240_265:
	s_or_b64 exec, exec, s[2:3]
	s_and_b64 exec, exec, s[8:9]
	s_cbranch_execz .LBB240_268
; %bb.266:
	v_mov_b32_e32 v5, 0xf0
	v_lshl_add_u32 v5, v3, 2, v5
	s_mov_b64 s[2:3], 0
.LBB240_267:                            ; =>This Inner Loop Header: Depth=1
	ds_read_b32 v6, v5
	v_add_u32_e32 v3, 0x80, v3
	v_cmp_le_i32_e32 vcc, s23, v3
	s_or_b64 s[2:3], vcc, s[2:3]
	s_waitcnt lgkmcnt(0)
	v_mul_f32_e32 v6, v2, v6
	ds_write_b32 v5, v6
	v_add_u32_e32 v5, 0x200, v5
	s_andn2_b64 exec, exec, s[2:3]
	s_cbranch_execnz .LBB240_267
.LBB240_268:
	s_or_b64 exec, exec, s[0:1]
	s_mov_b32 s0, 0
	v_mov_b32_e32 v5, 0
	v_lshrrev_b32_e32 v29, 1, v4
	v_and_b32_e32 v28, 1, v0
	v_mov_b32_e32 v4, 0
	v_mov_b32_e32 v3, 0
	s_waitcnt lgkmcnt(0)
	v_mov_b32_e32 v2, 0
	s_barrier
	s_and_saveexec_b64 s[8:9], s[6:7]
	s_cbranch_execz .LBB240_540
; %bb.269:
	s_sub_i32 s37, s16, s21
	s_ashr_i32 s1, s20, 31
	s_add_u32 s6, s34, s20
	v_lshlrev_b32_e32 v2, 3, v0
	s_addc_u32 s7, s35, s1
	s_abs_i32 s35, s22
	v_and_b32_e32 v30, 8, v2
	v_cvt_f32_u32_e32 v2, s35
	v_or_b32_e32 v3, 0x60, v29
	s_movk_i32 s1, 0x70
	v_cmp_gt_u32_e32 vcc, s1, v3
	v_rcp_iflag_f32_e32 v2, v2
	s_sub_i32 s1, 0, s35
	s_add_i32 s34, s48, -1
	v_lshl_or_b32 v10, v3, 4, v30
	v_mul_f32_e32 v2, 0x4f7ffffe, v2
	v_cvt_u32_f32_e32 v2, v2
	s_lshl_b64 s[2:3], s[30:31], 2
	s_add_u32 s2, s28, s2
	v_mov_b32_e32 v9, 0
	v_mul_lo_u32 v3, s1, v2
	v_mul_hi_u32 v3, v2, v3
	v_add_u32_e32 v31, v2, v3
	v_and_b32_e32 v8, 60, v12
	s_addc_u32 s3, s29, s3
	v_lshlrev_b32_e32 v2, 5, v28
	v_lshl_add_u64 v[12:13], s[2:3], 0, v[8:9]
	v_lshl_or_b32 v2, v1, 6, v2
	s_mov_b32 s2, s0
	s_mov_b32 s3, s0
	v_add_u32_e32 v32, 0xf0, v2
	s_mov_b32 s1, s0
	v_mov_b64_e32 v[4:5], s[2:3]
	s_mov_b32 s38, s17
	v_lshl_or_b32 v6, v29, 4, v30
	v_mov_b32_e32 v7, v9
	v_mov_b32_e32 v11, v9
	s_mov_b32 s39, s33
	s_mov_b64 s[12:13], 0
	v_mov_b64_e32 v[2:3], s[0:1]
	s_movk_i32 s30, 0x7f
	s_movk_i32 s31, 0x80
	s_mov_b32 s40, 0x8000
	s_movk_i32 s41, 0x380
	s_mov_b32 s42, 0x3020706
	s_mov_b32 s43, 0x1000504
	;; [unrolled: 1-line block ×3, first 2 shown]
	v_mov_b32_e32 v33, 0x1c00
	s_branch .LBB240_273
.LBB240_270:                            ;   in Loop: Header=BB240_273 Depth=1
	s_or_b64 exec, exec, s[2:3]
	;;#ASMSTART
	v_pk_mul_f16 v16, v38, v17;

	;;#ASMEND
	;;#ASMSTART
	v_pk_mul_f16 v8, v37, v8;

	;;#ASMEND
	;; [unrolled: 4-line block ×4, first 2 shown]
	s_nop 0
	;;#ASMSTART
	v_pk_add_f16 v8, v16, v8;

	;;#ASMEND
	s_nop 0
	;;#ASMSTART
	v_pk_add_f16 v8, v8, v15;

	;;#ASMEND
	;; [unrolled: 5-line block ×3, first 2 shown]
	s_nop 0
	v_lshrrev_b32_e32 v14, 16, v8
	v_and_b32_e32 v8, 0xffff, v8
	;;#ASMSTART
	v_cvt_f32_f16 v8, v8;
	;;#ASMEND
	;;#ASMSTART
	v_cvt_f32_f16 v14, v14;
	;;#ASMEND
	s_nop 0
	v_add_f32_e32 v8, v8, v14
	v_add_f32_e32 v5, v5, v8
.LBB240_271:                            ;   in Loop: Header=BB240_273 Depth=1
	s_or_b64 exec, exec, s[18:19]
.LBB240_272:                            ;   in Loop: Header=BB240_273 Depth=1
	s_or_b64 exec, exec, s[16:17]
	v_add_u32_e32 v1, 2, v1
	v_cmp_le_i32_e64 s[0:1], s48, v1
	v_lshl_add_u64 v[12:13], v[12:13], 0, 8
	v_add_u32_e32 v26, 32, v26
	s_or_b64 s[12:13], s[0:1], s[12:13]
	v_add_u32_e32 v32, 0x80, v32
	s_andn2_b64 exec, exec, s[12:13]
	s_cbranch_execz .LBB240_539
.LBB240_273:                            ; =>This Inner Loop Header: Depth=1
	v_mul_hi_u32 v8, v26, s46
	v_mul_lo_u32 v14, v8, s25
	v_sub_u32_e32 v14, v26, v14
	v_add_u32_e32 v15, 1, v8
	v_cmp_le_u32_e64 s[0:1], s25, v14
	s_nop 1
	v_cndmask_b32_e64 v8, v8, v15, s[0:1]
	v_subrev_u32_e32 v15, s25, v14
	v_cndmask_b32_e64 v14, v14, v15, s[0:1]
	v_add_u32_e32 v15, 1, v8
	v_cmp_le_u32_e64 s[0:1], s25, v14
	s_nop 1
	v_cndmask_b32_e64 v8, v8, v15, s[0:1]
	v_xor_b32_e32 v8, s47, v8
	v_subrev_u32_e32 v8, s47, v8
	v_add_u32_e32 v14, s36, v8
	v_sub_u32_e32 v16, 0, v14
	v_ashrrev_i32_e32 v15, 31, v14
	v_max_i32_e32 v14, v14, v16
	v_mul_hi_u32 v16, v14, v31
	v_mul_lo_u32 v16, v16, s35
	v_sub_u32_e32 v14, v14, v16
	v_subrev_u32_e32 v16, s35, v14
	v_cmp_le_u32_e64 s[0:1], s35, v14
	v_cmp_lt_i32_e64 s[2:3], s37, v8
	s_nop 0
	v_cndmask_b32_e64 v14, v14, v16, s[0:1]
	v_subrev_u32_e32 v16, s35, v14
	v_cmp_le_u32_e64 s[0:1], s35, v14
	s_nop 1
	v_cndmask_b32_e64 v14, v14, v16, s[0:1]
	v_xor_b32_e32 v14, v14, v15
	v_sub_u32_e32 v14, v14, v15
	v_cmp_eq_u32_e64 s[0:1], 0, v14
	s_or_b64 s[0:1], s[0:1], s[2:3]
	s_and_saveexec_b64 s[16:17], s[0:1]
	s_cbranch_execz .LBB240_272
; %bb.274:                              ;   in Loop: Header=BB240_273 Depth=1
	ds_read2_b64 v[14:17], v32 offset1:1
	ds_read2_b64 v[20:23], v32 offset0:2 offset1:3
                                        ; implicit-def: $sgpr20
	s_waitcnt lgkmcnt(1)
	;;#ASMSTART
	v_cvt_f16_f32 v19, v14;

	;;#ASMEND
	;;#ASMSTART
	v_cvt_f16_f32 v35, v15;

	;;#ASMEND
	;; [unrolled: 4-line block ×4, first 2 shown]
	s_waitcnt lgkmcnt(0)
	;;#ASMSTART
	v_cvt_f16_f32 v39, v20;

	;;#ASMEND
	;;#ASMSTART
	v_cvt_f16_f32 v40, v21;

	;;#ASMEND
	;; [unrolled: 4-line block ×4, first 2 shown]
	global_load_dword v8, v[12:13], off
	v_mov_b64_e32 v[14:15], s[6:7]
	s_waitcnt vmcnt(0)
	v_mad_i64_i32 v[14:15], s[0:1], v8, s38, v[14:15]
	v_lshl_add_u64 v[16:17], v[14:15], 0, v[6:7]
	global_load_dwordx2 v[20:21], v[16:17], off
	global_load_dword v18, v9, s[14:15]
	s_mov_b64 s[0:1], 0
	s_waitcnt vmcnt(1)
	v_cmp_gt_i16_sdwa s[2:3], v20, s30 src0_sel:BYTE_0 src1_sel:DWORD
	s_and_saveexec_b64 s[18:19], s[2:3]
	s_xor_b64 s[2:3], exec, s[18:19]
	s_cbranch_execnz .LBB240_411
; %bb.275:                              ;   in Loop: Header=BB240_273 Depth=1
	s_or_saveexec_b64 s[2:3], s[2:3]
	v_mov_b32_e32 v22, s20
	s_xor_b64 exec, exec, s[2:3]
	s_cbranch_execnz .LBB240_414
.LBB240_276:                            ;   in Loop: Header=BB240_273 Depth=1
	s_or_b64 exec, exec, s[2:3]
	s_and_saveexec_b64 s[2:3], s[0:1]
	s_cbranch_execz .LBB240_278
.LBB240_277:                            ;   in Loop: Header=BB240_273 Depth=1
	v_and_b32_e32 v8, 7, v20
	v_ffbh_u32_e32 v8, v8
	v_bfe_u32 v22, v20, 3, 4
	v_min_u32_e32 v8, 32, v8
	v_subrev_u32_e32 v23, 28, v8
	v_sub_u32_e32 v8, 29, v8
	v_cmp_eq_u32_e64 s[0:1], 0, v22
	s_nop 1
	v_cndmask_b32_e64 v8, v22, v8, s[0:1]
	v_cndmask_b32_e64 v22, 0, v23, s[0:1]
	v_lshlrev_b64 v[22:23], v22, v[20:21]
	v_lshlrev_b32_e32 v23, 8, v20
	v_lshl_add_u32 v8, v8, 10, v33
	v_lshlrev_b32_e32 v22, 7, v22
	v_and_or_b32 v8, v23, s40, v8
	v_and_or_b32 v8, v22, s41, v8
	v_cvt_f32_f16_e32 v22, v8
.LBB240_278:                            ;   in Loop: Header=BB240_273 Depth=1
	s_or_b64 exec, exec, s[2:3]
	v_lshrrev_b16_e32 v8, 8, v20
	v_cmp_lt_i16_e64 s[0:1], s30, v8
	s_mov_b64 s[2:3], 0
                                        ; implicit-def: $sgpr22
	s_and_saveexec_b64 s[18:19], s[0:1]
	s_xor_b64 s[18:19], exec, s[18:19]
	s_cbranch_execnz .LBB240_415
; %bb.279:                              ;   in Loop: Header=BB240_273 Depth=1
	s_or_saveexec_b64 s[18:19], s[18:19]
	v_mov_b32_e32 v24, s22
	s_xor_b64 exec, exec, s[18:19]
	s_cbranch_execnz .LBB240_418
.LBB240_280:                            ;   in Loop: Header=BB240_273 Depth=1
	s_or_b64 exec, exec, s[18:19]
	s_and_saveexec_b64 s[18:19], s[2:3]
	s_cbranch_execz .LBB240_282
.LBB240_281:                            ;   in Loop: Header=BB240_273 Depth=1
	v_and_b32_e32 v23, 7, v8
	v_ffbh_u32_e32 v24, v23
	v_min_u32_e32 v38, 32, v24
	v_subrev_u32_e32 v24, 28, v38
	v_bfe_u32 v34, v8, 3, 4
	v_lshlrev_b64 v[24:25], v24, v[8:9]
	v_sub_u32_e32 v25, 29, v38
	v_cmp_eq_u32_e64 s[0:1], 0, v34
	v_and_b32_e32 v24, 7, v24
	v_lshlrev_b32_e32 v8, 8, v8
	v_cndmask_b32_e64 v25, v34, v25, s[0:1]
	v_cndmask_b32_e64 v23, v23, v24, s[0:1]
	v_lshl_add_u32 v24, v25, 10, v33
	v_and_or_b32 v8, v8, s40, v24
	v_lshl_or_b32 v8, v23, 7, v8
	v_cvt_f32_f16_e32 v24, v8
.LBB240_282:                            ;   in Loop: Header=BB240_273 Depth=1
	s_or_b64 exec, exec, s[18:19]
	v_lshrrev_b32_e32 v8, 16, v20
	v_cmp_gt_i16_sdwa s[2:3], v8, s30 src0_sel:BYTE_0 src1_sel:DWORD
	s_mov_b64 s[0:1], 0
                                        ; implicit-def: $sgpr20
	s_and_saveexec_b64 s[18:19], s[2:3]
	s_xor_b64 s[2:3], exec, s[18:19]
	s_cbranch_execnz .LBB240_419
; %bb.283:                              ;   in Loop: Header=BB240_273 Depth=1
	s_or_saveexec_b64 s[2:3], s[2:3]
	v_mov_b32_e32 v23, s20
	s_xor_b64 exec, exec, s[2:3]
	s_cbranch_execnz .LBB240_422
.LBB240_284:                            ;   in Loop: Header=BB240_273 Depth=1
	s_or_b64 exec, exec, s[2:3]
	s_and_saveexec_b64 s[2:3], s[0:1]
	s_cbranch_execz .LBB240_286
.LBB240_285:                            ;   in Loop: Header=BB240_273 Depth=1
	v_bfe_u32 v23, v20, 16, 3
	v_ffbh_u32_e32 v34, v23
	v_bfe_u32 v25, v20, 19, 4
	v_min_u32_e32 v34, 32, v34
	v_subrev_u32_e32 v38, 28, v34
	v_sub_u32_e32 v34, 29, v34
	v_cmp_eq_u32_e64 s[0:1], 0, v25
	v_lshlrev_b64 v[44:45], v38, v[8:9]
	v_and_b32_e32 v38, 7, v44
	v_cndmask_b32_e64 v25, v25, v34, s[0:1]
	v_lshlrev_b32_e32 v8, 8, v8
	v_lshl_add_u32 v25, v25, 10, v33
	v_cndmask_b32_e64 v23, v23, v38, s[0:1]
	v_and_or_b32 v8, v8, s40, v25
	v_lshl_or_b32 v8, v23, 7, v8
	v_cvt_f32_f16_e32 v23, v8
.LBB240_286:                            ;   in Loop: Header=BB240_273 Depth=1
	s_or_b64 exec, exec, s[2:3]
	v_lshrrev_b32_e32 v8, 24, v20
	v_cmp_lt_i16_e64 s[0:1], s30, v8
	s_mov_b64 s[2:3], 0
                                        ; implicit-def: $sgpr22
	s_and_saveexec_b64 s[18:19], s[0:1]
	s_xor_b64 s[18:19], exec, s[18:19]
	s_cbranch_execnz .LBB240_423
; %bb.287:                              ;   in Loop: Header=BB240_273 Depth=1
	s_or_saveexec_b64 s[18:19], s[18:19]
	v_mov_b32_e32 v25, s22
	s_xor_b64 exec, exec, s[18:19]
	s_cbranch_execnz .LBB240_426
.LBB240_288:                            ;   in Loop: Header=BB240_273 Depth=1
	s_or_b64 exec, exec, s[18:19]
	s_and_saveexec_b64 s[18:19], s[2:3]
	s_cbranch_execz .LBB240_290
.LBB240_289:                            ;   in Loop: Header=BB240_273 Depth=1
	v_bfe_u32 v25, v20, 24, 3
	v_ffbh_u32_e32 v34, v25
	v_bfe_u32 v20, v20, 27, 4
	v_min_u32_e32 v34, 32, v34
	v_subrev_u32_e32 v38, 28, v34
	v_sub_u32_e32 v34, 29, v34
	v_cmp_eq_u32_e64 s[0:1], 0, v20
	v_lshlrev_b64 v[44:45], v38, v[8:9]
	v_and_b32_e32 v38, 7, v44
	v_cndmask_b32_e64 v20, v20, v34, s[0:1]
	v_lshlrev_b32_e32 v8, 8, v8
	v_lshl_add_u32 v20, v20, 10, v33
	v_cndmask_b32_e64 v25, v25, v38, s[0:1]
	v_and_or_b32 v8, v8, s40, v20
	v_lshl_or_b32 v8, v25, 7, v8
	v_cvt_f32_f16_e32 v25, v8
.LBB240_290:                            ;   in Loop: Header=BB240_273 Depth=1
	s_or_b64 exec, exec, s[18:19]
	v_cmp_gt_i16_sdwa s[2:3], v21, s30 src0_sel:BYTE_0 src1_sel:DWORD
	s_mov_b64 s[0:1], 0
                                        ; implicit-def: $sgpr20
	s_and_saveexec_b64 s[18:19], s[2:3]
	s_xor_b64 s[2:3], exec, s[18:19]
	s_cbranch_execnz .LBB240_427
; %bb.291:                              ;   in Loop: Header=BB240_273 Depth=1
	s_or_saveexec_b64 s[2:3], s[2:3]
	v_mov_b32_e32 v20, s20
	s_xor_b64 exec, exec, s[2:3]
	s_cbranch_execnz .LBB240_430
.LBB240_292:                            ;   in Loop: Header=BB240_273 Depth=1
	s_or_b64 exec, exec, s[2:3]
	v_mov_b32_e32 v8, v21
	s_and_saveexec_b64 s[2:3], s[0:1]
	s_cbranch_execz .LBB240_294
.LBB240_293:                            ;   in Loop: Header=BB240_273 Depth=1
	v_and_b32_e32 v20, 7, v21
	v_ffbh_u32_e32 v20, v20
	v_bfe_u32 v34, v21, 3, 4
	v_min_u32_e32 v20, 32, v20
	v_subrev_u32_e32 v38, 28, v20
	v_sub_u32_e32 v20, 29, v20
	v_cmp_eq_u32_e64 s[0:1], 0, v34
	s_nop 1
	v_cndmask_b32_e64 v20, v34, v20, s[0:1]
	v_cndmask_b32_e64 v34, 0, v38, s[0:1]
	v_lshlrev_b64 v[44:45], v34, v[8:9]
	v_lshlrev_b32_e32 v38, 8, v21
	v_lshl_add_u32 v20, v20, 10, v33
	v_lshlrev_b32_e32 v34, 7, v44
	v_and_or_b32 v20, v38, s40, v20
	v_and_or_b32 v20, v34, s41, v20
	v_cvt_f32_f16_e32 v20, v20
.LBB240_294:                            ;   in Loop: Header=BB240_273 Depth=1
	s_or_b64 exec, exec, s[2:3]
	v_lshrrev_b16_e32 v8, 8, v8
	v_cmp_lt_i16_e64 s[0:1], s30, v8
	s_mov_b64 s[2:3], 0
                                        ; implicit-def: $sgpr22
	s_and_saveexec_b64 s[18:19], s[0:1]
	s_xor_b64 s[18:19], exec, s[18:19]
	s_cbranch_execnz .LBB240_431
; %bb.295:                              ;   in Loop: Header=BB240_273 Depth=1
	s_or_saveexec_b64 s[18:19], s[18:19]
	v_mov_b32_e32 v38, s22
	s_xor_b64 exec, exec, s[18:19]
	s_cbranch_execnz .LBB240_434
.LBB240_296:                            ;   in Loop: Header=BB240_273 Depth=1
	s_or_b64 exec, exec, s[18:19]
	s_and_saveexec_b64 s[18:19], s[2:3]
	s_cbranch_execz .LBB240_298
.LBB240_297:                            ;   in Loop: Header=BB240_273 Depth=1
	v_and_b32_e32 v34, 7, v8
	v_ffbh_u32_e32 v43, v34
	v_bfe_u32 v38, v8, 3, 4
	v_min_u32_e32 v43, 32, v43
	v_subrev_u32_e32 v44, 28, v43
	v_sub_u32_e32 v43, 29, v43
	v_cmp_eq_u32_e64 s[0:1], 0, v38
	v_lshlrev_b64 v[44:45], v44, v[8:9]
	v_and_b32_e32 v44, 7, v44
	v_cndmask_b32_e64 v38, v38, v43, s[0:1]
	v_lshlrev_b32_e32 v8, 8, v8
	v_lshl_add_u32 v38, v38, 10, v33
	v_cndmask_b32_e64 v34, v34, v44, s[0:1]
	v_and_or_b32 v8, v8, s40, v38
	v_lshl_or_b32 v8, v34, 7, v8
	v_cvt_f32_f16_e32 v38, v8
.LBB240_298:                            ;   in Loop: Header=BB240_273 Depth=1
	s_or_b64 exec, exec, s[18:19]
	v_lshrrev_b32_e32 v8, 16, v21
	v_cmp_gt_i16_sdwa s[2:3], v8, s30 src0_sel:BYTE_0 src1_sel:DWORD
	s_mov_b64 s[0:1], 0
                                        ; implicit-def: $sgpr20
	s_and_saveexec_b64 s[18:19], s[2:3]
	s_xor_b64 s[2:3], exec, s[18:19]
	s_cbranch_execnz .LBB240_435
; %bb.299:                              ;   in Loop: Header=BB240_273 Depth=1
	s_or_saveexec_b64 s[2:3], s[2:3]
	v_mov_b32_e32 v43, s20
	s_xor_b64 exec, exec, s[2:3]
	s_cbranch_execnz .LBB240_438
.LBB240_300:                            ;   in Loop: Header=BB240_273 Depth=1
	s_or_b64 exec, exec, s[2:3]
	s_and_saveexec_b64 s[2:3], s[0:1]
	s_cbranch_execz .LBB240_302
.LBB240_301:                            ;   in Loop: Header=BB240_273 Depth=1
	v_bfe_u32 v34, v21, 16, 3
	v_ffbh_u32_e32 v44, v34
	v_min_u32_e32 v46, 32, v44
	v_subrev_u32_e32 v44, 28, v46
	v_bfe_u32 v43, v21, 19, 4
	v_lshlrev_b64 v[44:45], v44, v[8:9]
	v_sub_u32_e32 v45, 29, v46
	v_cmp_eq_u32_e64 s[0:1], 0, v43
	v_and_b32_e32 v44, 7, v44
	v_lshlrev_b32_e32 v8, 8, v8
	v_cndmask_b32_e64 v43, v43, v45, s[0:1]
	v_lshl_add_u32 v43, v43, 10, v33
	v_cndmask_b32_e64 v34, v34, v44, s[0:1]
	v_and_or_b32 v8, v8, s40, v43
	v_lshl_or_b32 v8, v34, 7, v8
	v_cvt_f32_f16_e32 v43, v8
.LBB240_302:                            ;   in Loop: Header=BB240_273 Depth=1
	s_or_b64 exec, exec, s[2:3]
	v_lshrrev_b32_e32 v8, 24, v21
	v_cmp_lt_i16_e64 s[0:1], s30, v8
	s_mov_b64 s[2:3], 0
                                        ; implicit-def: $sgpr22
	s_and_saveexec_b64 s[18:19], s[0:1]
	s_xor_b64 s[18:19], exec, s[18:19]
	s_cbranch_execnz .LBB240_439
; %bb.303:                              ;   in Loop: Header=BB240_273 Depth=1
	s_or_saveexec_b64 s[18:19], s[18:19]
	v_mov_b32_e32 v44, s22
	s_xor_b64 exec, exec, s[18:19]
	s_cbranch_execnz .LBB240_442
.LBB240_304:                            ;   in Loop: Header=BB240_273 Depth=1
	s_or_b64 exec, exec, s[18:19]
	s_and_saveexec_b64 s[18:19], s[2:3]
	s_cbranch_execz .LBB240_306
.LBB240_305:                            ;   in Loop: Header=BB240_273 Depth=1
	v_bfe_u32 v34, v21, 24, 3
	v_ffbh_u32_e32 v44, v34
	v_min_u32_e32 v46, 32, v44
	v_subrev_u32_e32 v44, 28, v46
	v_bfe_u32 v21, v21, 27, 4
	v_lshlrev_b64 v[44:45], v44, v[8:9]
	v_sub_u32_e32 v45, 29, v46
	v_cmp_eq_u32_e64 s[0:1], 0, v21
	v_and_b32_e32 v44, 7, v44
	v_lshlrev_b32_e32 v8, 8, v8
	v_cndmask_b32_e64 v21, v21, v45, s[0:1]
	v_lshl_add_u32 v21, v21, 10, v33
	v_cndmask_b32_e64 v34, v34, v44, s[0:1]
	v_and_or_b32 v8, v8, s40, v21
	v_lshl_or_b32 v8, v34, 7, v8
	v_cvt_f32_f16_e32 v44, v8
.LBB240_306:                            ;   in Loop: Header=BB240_273 Depth=1
	s_or_b64 exec, exec, s[18:19]
	s_waitcnt vmcnt(0)
	v_pk_mul_f32 v[24:25], v[18:19], v[24:25] op_sel_hi:[0,1]
	v_pk_mul_f32 v[22:23], v[18:19], v[22:23] op_sel_hi:[0,1]
	v_cvt_f16_f32_e32 v8, v25
	v_cvt_f16_f32_e32 v21, v24
	;; [unrolled: 1-line block ×4, first 2 shown]
	v_fma_mixlo_f16 v20, v18, v20, 0
	v_pack_b32_f16 v21, v21, v8
	v_add_u32_e32 v34, v30, v26
	v_pack_b32_f16 v22, v22, v23
	v_perm_b32 v8, v22, v21, s42
	v_perm_b32 v21, v22, v21, s43
	v_fma_mixlo_f16 v22, v18, v38, 0
	v_lshlrev_b32_e32 v22, 16, v22
	v_or_b32_sdwa v20, v22, v20 dst_sel:DWORD dst_unused:UNUSED_PAD src0_sel:DWORD src1_sel:WORD_0
	v_fma_mixlo_f16 v22, v18, v43, 0
	v_fma_mixlo_f16 v18, v18, v44, 0
	v_lshlrev_b32_e32 v18, 16, v18
	v_cmp_eq_u32_e64 s[0:1], s34, v1
	v_or_b32_sdwa v18, v18, v22 dst_sel:DWORD dst_unused:UNUSED_PAD src0_sel:DWORD src1_sel:WORD_0
	s_and_saveexec_b64 s[18:19], s[0:1]
	s_cbranch_execz .LBB240_308
; %bb.307:                              ;   in Loop: Header=BB240_273 Depth=1
	v_add_u32_e32 v23, 1, v34
	v_lshrrev_b32_e32 v24, 16, v21
	v_cmp_gt_i32_e64 s[2:3], s39, v23
	v_lshrrev_b32_e32 v25, 16, v8
	v_lshrrev_b32_e32 v18, 16, v18
	v_cndmask_b32_e64 v23, 0, v24, s[2:3]
	v_cmp_gt_i32_e64 s[2:3], s33, v34
	v_or_b32_e32 v24, 2, v34
	s_nop 0
	v_cndmask_b32_e64 v21, 0, v21, s[2:3]
	v_perm_b32 v21, v23, v21, s44
	v_or_b32_e32 v23, 3, v34
	v_cmp_gt_i32_e64 s[2:3], s39, v23
	s_nop 1
	v_cndmask_b32_e64 v23, 0, v25, s[2:3]
	v_cmp_gt_i32_e64 s[2:3], s33, v24
	v_or_b32_e32 v24, 4, v34
	v_lshrrev_b32_e32 v25, 16, v20
	v_cndmask_b32_e64 v8, 0, v8, s[2:3]
	v_perm_b32 v8, v23, v8, s44
	v_or_b32_e32 v23, 5, v34
	v_cmp_gt_i32_e64 s[2:3], s39, v23
	s_nop 1
	v_cndmask_b32_e64 v23, 0, v25, s[2:3]
	v_cmp_gt_i32_e64 s[2:3], s33, v24
	v_or_b32_e32 v24, 6, v34
	s_nop 0
	v_cndmask_b32_e64 v20, 0, v20, s[2:3]
	v_perm_b32 v20, v23, v20, s44
	v_or_b32_e32 v23, 7, v34
	v_cmp_gt_i32_e64 s[2:3], s39, v23
	s_nop 1
	v_cndmask_b32_e64 v18, 0, v18, s[2:3]
	v_cmp_gt_i32_e64 s[2:3], s33, v24
	s_nop 1
	v_cndmask_b32_e64 v22, 0, v22, s[2:3]
	v_perm_b32 v18, v18, v22, s44
.LBB240_308:                            ;   in Loop: Header=BB240_273 Depth=1
	s_or_b64 exec, exec, s[18:19]
	v_and_b32_e32 v19, 0xffff, v19
	v_lshl_or_b32 v38, v35, 16, v19
	v_and_b32_e32 v19, 0xffff, v36
	v_lshl_or_b32 v37, v37, 16, v19
	v_and_b32_e32 v19, 0xffff, v39
	v_lshl_or_b32 v36, v40, 16, v19
	v_and_b32_e32 v19, 0xffff, v41
	v_lshl_or_b32 v35, v42, 16, v19
	;;#ASMSTART
	v_pk_mul_f16 v19, v38, v21;

	;;#ASMEND
	;;#ASMSTART
	v_pk_mul_f16 v8, v37, v8;

	;;#ASMEND
	;; [unrolled: 4-line block ×4, first 2 shown]
	s_mov_b64 s[2:3], 0
	;;#ASMSTART
	v_pk_add_f16 v8, v19, v8;

	;;#ASMEND
                                        ; implicit-def: $sgpr22
	s_nop 0
	;;#ASMSTART
	v_pk_add_f16 v8, v8, v20;

	;;#ASMEND
	s_nop 0
	;;#ASMSTART
	v_pk_add_f16 v8, v8, v18;

	;;#ASMEND
	s_nop 0
	v_lshrrev_b32_e32 v18, 16, v8
	v_and_b32_e32 v8, 0xffff, v8
	;;#ASMSTART
	v_cvt_f32_f16 v19, v8;
	;;#ASMEND
	;;#ASMSTART
	v_cvt_f32_f16 v39, v18;
	;;#ASMEND
	global_load_dwordx2 v[20:21], v[16:17], off offset:512
	global_load_dword v18, v9, s[14:15]
	s_waitcnt vmcnt(1)
	v_cmp_gt_i16_sdwa s[18:19], v20, s30 src0_sel:BYTE_0 src1_sel:DWORD
	s_and_saveexec_b64 s[20:21], s[18:19]
	s_xor_b64 s[18:19], exec, s[20:21]
	s_cbranch_execnz .LBB240_443
; %bb.309:                              ;   in Loop: Header=BB240_273 Depth=1
	s_or_saveexec_b64 s[18:19], s[18:19]
	v_mov_b32_e32 v22, s22
	s_xor_b64 exec, exec, s[18:19]
	s_cbranch_execnz .LBB240_446
.LBB240_310:                            ;   in Loop: Header=BB240_273 Depth=1
	s_or_b64 exec, exec, s[18:19]
	s_and_saveexec_b64 s[18:19], s[2:3]
	s_cbranch_execz .LBB240_312
.LBB240_311:                            ;   in Loop: Header=BB240_273 Depth=1
	v_and_b32_e32 v8, 7, v20
	v_ffbh_u32_e32 v8, v8
	v_bfe_u32 v22, v20, 3, 4
	v_min_u32_e32 v8, 32, v8
	v_subrev_u32_e32 v23, 28, v8
	v_sub_u32_e32 v8, 29, v8
	v_cmp_eq_u32_e64 s[2:3], 0, v22
	s_nop 1
	v_cndmask_b32_e64 v8, v22, v8, s[2:3]
	v_cndmask_b32_e64 v22, 0, v23, s[2:3]
	v_lshlrev_b64 v[22:23], v22, v[20:21]
	v_lshlrev_b32_e32 v23, 8, v20
	v_lshl_add_u32 v8, v8, 10, v33
	v_lshlrev_b32_e32 v22, 7, v22
	v_and_or_b32 v8, v23, s40, v8
	v_and_or_b32 v8, v22, s41, v8
	v_cvt_f32_f16_e32 v22, v8
.LBB240_312:                            ;   in Loop: Header=BB240_273 Depth=1
	s_or_b64 exec, exec, s[18:19]
	v_lshrrev_b16_e32 v8, 8, v20
	v_cmp_lt_i16_e64 s[2:3], s30, v8
	s_mov_b64 s[18:19], 0
                                        ; implicit-def: $sgpr28
	s_and_saveexec_b64 s[20:21], s[2:3]
	s_xor_b64 s[20:21], exec, s[20:21]
	s_cbranch_execnz .LBB240_447
; %bb.313:                              ;   in Loop: Header=BB240_273 Depth=1
	s_or_saveexec_b64 s[20:21], s[20:21]
	v_mov_b32_e32 v24, s28
	s_xor_b64 exec, exec, s[20:21]
	s_cbranch_execnz .LBB240_450
.LBB240_314:                            ;   in Loop: Header=BB240_273 Depth=1
	s_or_b64 exec, exec, s[20:21]
	s_and_saveexec_b64 s[20:21], s[18:19]
	s_cbranch_execz .LBB240_316
.LBB240_315:                            ;   in Loop: Header=BB240_273 Depth=1
	v_and_b32_e32 v23, 7, v8
	v_ffbh_u32_e32 v24, v23
	v_min_u32_e32 v41, 32, v24
	v_subrev_u32_e32 v24, 28, v41
	v_bfe_u32 v40, v8, 3, 4
	v_lshlrev_b64 v[24:25], v24, v[8:9]
	v_sub_u32_e32 v25, 29, v41
	v_cmp_eq_u32_e64 s[2:3], 0, v40
	v_and_b32_e32 v24, 7, v24
	v_lshlrev_b32_e32 v8, 8, v8
	v_cndmask_b32_e64 v25, v40, v25, s[2:3]
	v_cndmask_b32_e64 v23, v23, v24, s[2:3]
	v_lshl_add_u32 v24, v25, 10, v33
	v_and_or_b32 v8, v8, s40, v24
	v_lshl_or_b32 v8, v23, 7, v8
	v_cvt_f32_f16_e32 v24, v8
.LBB240_316:                            ;   in Loop: Header=BB240_273 Depth=1
	s_or_b64 exec, exec, s[20:21]
	v_lshrrev_b32_e32 v8, 16, v20
	v_cmp_gt_i16_sdwa s[18:19], v8, s30 src0_sel:BYTE_0 src1_sel:DWORD
	s_mov_b64 s[2:3], 0
                                        ; implicit-def: $sgpr22
	s_and_saveexec_b64 s[20:21], s[18:19]
	s_xor_b64 s[18:19], exec, s[20:21]
	s_cbranch_execnz .LBB240_451
; %bb.317:                              ;   in Loop: Header=BB240_273 Depth=1
	s_or_saveexec_b64 s[18:19], s[18:19]
	v_mov_b32_e32 v23, s22
	s_xor_b64 exec, exec, s[18:19]
	s_cbranch_execnz .LBB240_454
.LBB240_318:                            ;   in Loop: Header=BB240_273 Depth=1
	s_or_b64 exec, exec, s[18:19]
	s_and_saveexec_b64 s[18:19], s[2:3]
	s_cbranch_execz .LBB240_320
.LBB240_319:                            ;   in Loop: Header=BB240_273 Depth=1
	v_bfe_u32 v23, v20, 16, 3
	v_ffbh_u32_e32 v40, v23
	v_min_u32_e32 v42, 32, v40
	v_subrev_u32_e32 v40, 28, v42
	v_bfe_u32 v25, v20, 19, 4
	v_lshlrev_b64 v[40:41], v40, v[8:9]
	v_sub_u32_e32 v41, 29, v42
	v_cmp_eq_u32_e64 s[2:3], 0, v25
	v_and_b32_e32 v40, 7, v40
	v_lshlrev_b32_e32 v8, 8, v8
	v_cndmask_b32_e64 v25, v25, v41, s[2:3]
	v_lshl_add_u32 v25, v25, 10, v33
	v_cndmask_b32_e64 v23, v23, v40, s[2:3]
	v_and_or_b32 v8, v8, s40, v25
	v_lshl_or_b32 v8, v23, 7, v8
	v_cvt_f32_f16_e32 v23, v8
.LBB240_320:                            ;   in Loop: Header=BB240_273 Depth=1
	s_or_b64 exec, exec, s[18:19]
	v_lshrrev_b32_e32 v8, 24, v20
	v_cmp_lt_i16_e64 s[2:3], s30, v8
	s_mov_b64 s[18:19], 0
                                        ; implicit-def: $sgpr28
	s_and_saveexec_b64 s[20:21], s[2:3]
	s_xor_b64 s[20:21], exec, s[20:21]
	s_cbranch_execnz .LBB240_455
; %bb.321:                              ;   in Loop: Header=BB240_273 Depth=1
	s_or_saveexec_b64 s[20:21], s[20:21]
	v_mov_b32_e32 v25, s28
	s_xor_b64 exec, exec, s[20:21]
	s_cbranch_execnz .LBB240_458
.LBB240_322:                            ;   in Loop: Header=BB240_273 Depth=1
	s_or_b64 exec, exec, s[20:21]
	s_and_saveexec_b64 s[20:21], s[18:19]
	s_cbranch_execz .LBB240_324
.LBB240_323:                            ;   in Loop: Header=BB240_273 Depth=1
	v_bfe_u32 v25, v20, 24, 3
	v_ffbh_u32_e32 v40, v25
	v_min_u32_e32 v42, 32, v40
	v_subrev_u32_e32 v40, 28, v42
	v_bfe_u32 v20, v20, 27, 4
	v_lshlrev_b64 v[40:41], v40, v[8:9]
	v_sub_u32_e32 v41, 29, v42
	v_cmp_eq_u32_e64 s[2:3], 0, v20
	v_and_b32_e32 v40, 7, v40
	v_lshlrev_b32_e32 v8, 8, v8
	v_cndmask_b32_e64 v20, v20, v41, s[2:3]
	v_lshl_add_u32 v20, v20, 10, v33
	v_cndmask_b32_e64 v25, v25, v40, s[2:3]
	v_and_or_b32 v8, v8, s40, v20
	v_lshl_or_b32 v8, v25, 7, v8
	v_cvt_f32_f16_e32 v25, v8
.LBB240_324:                            ;   in Loop: Header=BB240_273 Depth=1
	s_or_b64 exec, exec, s[20:21]
	v_cmp_gt_i16_sdwa s[18:19], v21, s30 src0_sel:BYTE_0 src1_sel:DWORD
	s_mov_b64 s[2:3], 0
                                        ; implicit-def: $sgpr22
	s_and_saveexec_b64 s[20:21], s[18:19]
	s_xor_b64 s[18:19], exec, s[20:21]
	s_cbranch_execnz .LBB240_459
; %bb.325:                              ;   in Loop: Header=BB240_273 Depth=1
	s_or_saveexec_b64 s[18:19], s[18:19]
	v_mov_b32_e32 v20, s22
	s_xor_b64 exec, exec, s[18:19]
	s_cbranch_execnz .LBB240_462
.LBB240_326:                            ;   in Loop: Header=BB240_273 Depth=1
	s_or_b64 exec, exec, s[18:19]
	v_mov_b32_e32 v8, v21
	s_and_saveexec_b64 s[18:19], s[2:3]
	s_cbranch_execz .LBB240_328
.LBB240_327:                            ;   in Loop: Header=BB240_273 Depth=1
	v_and_b32_e32 v20, 7, v21
	v_ffbh_u32_e32 v20, v20
	v_bfe_u32 v40, v21, 3, 4
	v_min_u32_e32 v20, 32, v20
	v_subrev_u32_e32 v41, 28, v20
	v_sub_u32_e32 v20, 29, v20
	v_cmp_eq_u32_e64 s[2:3], 0, v40
	s_nop 1
	v_cndmask_b32_e64 v20, v40, v20, s[2:3]
	v_cndmask_b32_e64 v40, 0, v41, s[2:3]
	v_lshlrev_b64 v[40:41], v40, v[8:9]
	v_lshlrev_b32_e32 v41, 8, v21
	v_lshl_add_u32 v20, v20, 10, v33
	v_lshlrev_b32_e32 v40, 7, v40
	v_and_or_b32 v20, v41, s40, v20
	v_and_or_b32 v20, v40, s41, v20
	v_cvt_f32_f16_e32 v20, v20
.LBB240_328:                            ;   in Loop: Header=BB240_273 Depth=1
	s_or_b64 exec, exec, s[18:19]
	v_lshrrev_b16_e32 v8, 8, v8
	v_cmp_lt_i16_e64 s[2:3], s30, v8
	s_mov_b64 s[18:19], 0
                                        ; implicit-def: $sgpr28
	s_and_saveexec_b64 s[20:21], s[2:3]
	s_xor_b64 s[20:21], exec, s[20:21]
	s_cbranch_execnz .LBB240_463
; %bb.329:                              ;   in Loop: Header=BB240_273 Depth=1
	s_or_saveexec_b64 s[20:21], s[20:21]
	v_mov_b32_e32 v40, s28
	s_xor_b64 exec, exec, s[20:21]
	s_cbranch_execnz .LBB240_466
.LBB240_330:                            ;   in Loop: Header=BB240_273 Depth=1
	s_or_b64 exec, exec, s[20:21]
	s_and_saveexec_b64 s[20:21], s[18:19]
	s_cbranch_execz .LBB240_332
.LBB240_331:                            ;   in Loop: Header=BB240_273 Depth=1
	v_and_b32_e32 v42, 7, v8
	v_ffbh_u32_e32 v40, v42
	v_min_u32_e32 v44, 32, v40
	v_subrev_u32_e32 v40, 28, v44
	v_bfe_u32 v43, v8, 3, 4
	v_lshlrev_b64 v[40:41], v40, v[8:9]
	v_sub_u32_e32 v41, 29, v44
	v_cmp_eq_u32_e64 s[2:3], 0, v43
	v_and_b32_e32 v40, 7, v40
	v_lshlrev_b32_e32 v8, 8, v8
	v_cndmask_b32_e64 v41, v43, v41, s[2:3]
	v_lshl_add_u32 v41, v41, 10, v33
	v_cndmask_b32_e64 v40, v42, v40, s[2:3]
	v_and_or_b32 v8, v8, s40, v41
	v_lshl_or_b32 v8, v40, 7, v8
	v_cvt_f32_f16_e32 v40, v8
.LBB240_332:                            ;   in Loop: Header=BB240_273 Depth=1
	s_or_b64 exec, exec, s[20:21]
	v_lshrrev_b32_e32 v8, 16, v21
	v_cmp_gt_i16_sdwa s[18:19], v8, s30 src0_sel:BYTE_0 src1_sel:DWORD
	s_mov_b64 s[2:3], 0
                                        ; implicit-def: $sgpr22
	s_and_saveexec_b64 s[20:21], s[18:19]
	s_xor_b64 s[18:19], exec, s[20:21]
	s_cbranch_execnz .LBB240_467
; %bb.333:                              ;   in Loop: Header=BB240_273 Depth=1
	s_or_saveexec_b64 s[18:19], s[18:19]
	v_mov_b32_e32 v41, s22
	s_xor_b64 exec, exec, s[18:19]
	s_cbranch_execnz .LBB240_470
.LBB240_334:                            ;   in Loop: Header=BB240_273 Depth=1
	s_or_b64 exec, exec, s[18:19]
	s_and_saveexec_b64 s[18:19], s[2:3]
	s_cbranch_execz .LBB240_336
.LBB240_335:                            ;   in Loop: Header=BB240_273 Depth=1
	v_bfe_u32 v41, v21, 16, 3
	v_ffbh_u32_e32 v42, v41
	v_min_u32_e32 v45, 32, v42
	v_subrev_u32_e32 v42, 28, v45
	v_bfe_u32 v44, v21, 19, 4
	v_lshlrev_b64 v[42:43], v42, v[8:9]
	v_sub_u32_e32 v43, 29, v45
	v_cmp_eq_u32_e64 s[2:3], 0, v44
	v_and_b32_e32 v42, 7, v42
	v_lshlrev_b32_e32 v8, 8, v8
	v_cndmask_b32_e64 v43, v44, v43, s[2:3]
	v_cndmask_b32_e64 v41, v41, v42, s[2:3]
	v_lshl_add_u32 v42, v43, 10, v33
	v_and_or_b32 v8, v8, s40, v42
	v_lshl_or_b32 v8, v41, 7, v8
	v_cvt_f32_f16_e32 v41, v8
.LBB240_336:                            ;   in Loop: Header=BB240_273 Depth=1
	s_or_b64 exec, exec, s[18:19]
	v_lshrrev_b32_e32 v8, 24, v21
	v_cmp_lt_i16_e64 s[2:3], s30, v8
	s_mov_b64 s[18:19], 0
                                        ; implicit-def: $sgpr28
	s_and_saveexec_b64 s[20:21], s[2:3]
	s_xor_b64 s[20:21], exec, s[20:21]
	s_cbranch_execnz .LBB240_471
; %bb.337:                              ;   in Loop: Header=BB240_273 Depth=1
	s_or_saveexec_b64 s[20:21], s[20:21]
	v_mov_b32_e32 v42, s28
	s_xor_b64 exec, exec, s[20:21]
	s_cbranch_execnz .LBB240_474
.LBB240_338:                            ;   in Loop: Header=BB240_273 Depth=1
	s_or_b64 exec, exec, s[20:21]
	s_and_saveexec_b64 s[20:21], s[18:19]
	s_cbranch_execz .LBB240_340
.LBB240_339:                            ;   in Loop: Header=BB240_273 Depth=1
	v_bfe_u32 v44, v21, 24, 3
	v_ffbh_u32_e32 v42, v44
	v_min_u32_e32 v45, 32, v42
	v_subrev_u32_e32 v42, 28, v45
	v_bfe_u32 v21, v21, 27, 4
	v_lshlrev_b64 v[42:43], v42, v[8:9]
	v_sub_u32_e32 v43, 29, v45
	v_cmp_eq_u32_e64 s[2:3], 0, v21
	v_and_b32_e32 v42, 7, v42
	v_lshlrev_b32_e32 v8, 8, v8
	v_cndmask_b32_e64 v21, v21, v43, s[2:3]
	v_lshl_add_u32 v21, v21, 10, v33
	v_cndmask_b32_e64 v42, v44, v42, s[2:3]
	v_and_or_b32 v8, v8, s40, v21
	v_lshl_or_b32 v8, v42, 7, v8
	v_cvt_f32_f16_e32 v42, v8
.LBB240_340:                            ;   in Loop: Header=BB240_273 Depth=1
	s_or_b64 exec, exec, s[20:21]
	s_waitcnt vmcnt(0)
	v_pk_mul_f32 v[24:25], v[18:19], v[24:25] op_sel_hi:[0,1]
	v_pk_mul_f32 v[22:23], v[18:19], v[22:23] op_sel_hi:[0,1]
	v_cvt_f16_f32_e32 v8, v25
	v_cvt_f16_f32_e32 v21, v24
	v_cvt_f16_f32_e32 v23, v23
	v_cvt_f16_f32_e32 v22, v22
	v_fma_mixlo_f16 v20, v18, v20, 0
	v_pack_b32_f16 v21, v21, v8
	v_pack_b32_f16 v22, v22, v23
	v_perm_b32 v8, v22, v21, s42
	v_perm_b32 v21, v22, v21, s43
	v_fma_mixlo_f16 v22, v18, v40, 0
	v_lshlrev_b32_e32 v22, 16, v22
	v_or_b32_sdwa v20, v22, v20 dst_sel:DWORD dst_unused:UNUSED_PAD src0_sel:DWORD src1_sel:WORD_0
	v_fma_mixlo_f16 v22, v18, v41, 0
	v_fma_mixlo_f16 v18, v18, v42, 0
	v_lshlrev_b32_e32 v18, 16, v18
	v_or_b32_sdwa v18, v18, v22 dst_sel:DWORD dst_unused:UNUSED_PAD src0_sel:DWORD src1_sel:WORD_0
	s_and_saveexec_b64 s[18:19], s[0:1]
	s_cbranch_execz .LBB240_342
; %bb.341:                              ;   in Loop: Header=BB240_273 Depth=1
	v_add_u32_e32 v23, 1, v34
	v_lshrrev_b32_e32 v24, 16, v21
	v_cmp_gt_i32_e64 s[2:3], s39, v23
	v_lshrrev_b32_e32 v25, 16, v8
	v_lshrrev_b32_e32 v18, 16, v18
	v_cndmask_b32_e64 v23, 0, v24, s[2:3]
	v_cmp_gt_i32_e64 s[2:3], s33, v34
	v_or_b32_e32 v24, 2, v34
	s_nop 0
	v_cndmask_b32_e64 v21, 0, v21, s[2:3]
	v_perm_b32 v21, v23, v21, s44
	v_or_b32_e32 v23, 3, v34
	v_cmp_gt_i32_e64 s[2:3], s39, v23
	s_nop 1
	v_cndmask_b32_e64 v23, 0, v25, s[2:3]
	v_cmp_gt_i32_e64 s[2:3], s33, v24
	v_or_b32_e32 v24, 4, v34
	v_lshrrev_b32_e32 v25, 16, v20
	v_cndmask_b32_e64 v8, 0, v8, s[2:3]
	v_perm_b32 v8, v23, v8, s44
	v_or_b32_e32 v23, 5, v34
	v_cmp_gt_i32_e64 s[2:3], s39, v23
	s_nop 1
	v_cndmask_b32_e64 v23, 0, v25, s[2:3]
	v_cmp_gt_i32_e64 s[2:3], s33, v24
	v_or_b32_e32 v24, 6, v34
	s_nop 0
	v_cndmask_b32_e64 v20, 0, v20, s[2:3]
	v_perm_b32 v20, v23, v20, s44
	v_or_b32_e32 v23, 7, v34
	v_cmp_gt_i32_e64 s[2:3], s39, v23
	s_nop 1
	v_cndmask_b32_e64 v18, 0, v18, s[2:3]
	v_cmp_gt_i32_e64 s[2:3], s33, v24
	s_nop 1
	v_cndmask_b32_e64 v22, 0, v22, s[2:3]
	v_perm_b32 v18, v18, v22, s44
.LBB240_342:                            ;   in Loop: Header=BB240_273 Depth=1
	s_or_b64 exec, exec, s[18:19]
	;;#ASMSTART
	v_pk_mul_f16 v21, v38, v21;

	;;#ASMEND
	;;#ASMSTART
	v_pk_mul_f16 v8, v37, v8;

	;;#ASMEND
	;; [unrolled: 4-line block ×4, first 2 shown]
	s_mov_b64 s[2:3], 0
	;;#ASMSTART
	v_pk_add_f16 v8, v21, v8;

	;;#ASMEND
                                        ; implicit-def: $sgpr22
	s_nop 0
	;;#ASMSTART
	v_pk_add_f16 v8, v8, v20;

	;;#ASMEND
	s_nop 0
	;;#ASMSTART
	v_pk_add_f16 v8, v8, v18;

	;;#ASMEND
	s_nop 0
	v_lshrrev_b32_e32 v18, 16, v8
	v_and_b32_e32 v8, 0xffff, v8
	;;#ASMSTART
	v_cvt_f32_f16 v24, v8;
	;;#ASMEND
	;;#ASMSTART
	v_cvt_f32_f16 v25, v18;
	;;#ASMEND
	global_load_dwordx2 v[20:21], v[16:17], off offset:1024
	global_load_dword v18, v9, s[14:15]
	s_waitcnt vmcnt(1)
	v_cmp_gt_i16_sdwa s[18:19], v20, s30 src0_sel:BYTE_0 src1_sel:DWORD
	s_and_saveexec_b64 s[20:21], s[18:19]
	s_xor_b64 s[18:19], exec, s[20:21]
	s_cbranch_execnz .LBB240_475
; %bb.343:                              ;   in Loop: Header=BB240_273 Depth=1
	s_or_saveexec_b64 s[18:19], s[18:19]
	v_mov_b32_e32 v16, s22
	s_xor_b64 exec, exec, s[18:19]
	s_cbranch_execnz .LBB240_478
.LBB240_344:                            ;   in Loop: Header=BB240_273 Depth=1
	s_or_b64 exec, exec, s[18:19]
	s_and_saveexec_b64 s[18:19], s[2:3]
	s_cbranch_execz .LBB240_346
.LBB240_345:                            ;   in Loop: Header=BB240_273 Depth=1
	v_and_b32_e32 v8, 7, v20
	v_ffbh_u32_e32 v8, v8
	v_bfe_u32 v16, v20, 3, 4
	v_min_u32_e32 v8, 32, v8
	v_subrev_u32_e32 v17, 28, v8
	v_sub_u32_e32 v8, 29, v8
	v_cmp_eq_u32_e64 s[2:3], 0, v16
	s_nop 1
	v_cndmask_b32_e64 v8, v16, v8, s[2:3]
	v_cndmask_b32_e64 v16, 0, v17, s[2:3]
	v_lshlrev_b64 v[16:17], v16, v[20:21]
	v_lshlrev_b32_e32 v17, 8, v20
	v_lshl_add_u32 v8, v8, 10, v33
	v_lshlrev_b32_e32 v16, 7, v16
	v_and_or_b32 v8, v17, s40, v8
	v_and_or_b32 v8, v16, s41, v8
	v_cvt_f32_f16_e32 v16, v8
.LBB240_346:                            ;   in Loop: Header=BB240_273 Depth=1
	s_or_b64 exec, exec, s[18:19]
	v_lshrrev_b16_e32 v8, 8, v20
	v_cmp_lt_i16_e64 s[2:3], s30, v8
	s_mov_b64 s[18:19], 0
                                        ; implicit-def: $sgpr28
	s_and_saveexec_b64 s[20:21], s[2:3]
	s_xor_b64 s[20:21], exec, s[20:21]
	s_cbranch_execnz .LBB240_479
; %bb.347:                              ;   in Loop: Header=BB240_273 Depth=1
	s_or_saveexec_b64 s[20:21], s[20:21]
	v_mov_b32_e32 v22, s28
	s_xor_b64 exec, exec, s[20:21]
	s_cbranch_execnz .LBB240_482
.LBB240_348:                            ;   in Loop: Header=BB240_273 Depth=1
	s_or_b64 exec, exec, s[20:21]
	s_and_saveexec_b64 s[20:21], s[18:19]
	s_cbranch_execz .LBB240_350
.LBB240_349:                            ;   in Loop: Header=BB240_273 Depth=1
	v_and_b32_e32 v17, 7, v8
	v_ffbh_u32_e32 v22, v17
	v_min_u32_e32 v41, 32, v22
	v_subrev_u32_e32 v22, 28, v41
	v_bfe_u32 v40, v8, 3, 4
	v_lshlrev_b64 v[22:23], v22, v[8:9]
	v_sub_u32_e32 v23, 29, v41
	v_cmp_eq_u32_e64 s[2:3], 0, v40
	v_and_b32_e32 v22, 7, v22
	v_lshlrev_b32_e32 v8, 8, v8
	v_cndmask_b32_e64 v23, v40, v23, s[2:3]
	v_cndmask_b32_e64 v17, v17, v22, s[2:3]
	v_lshl_add_u32 v22, v23, 10, v33
	v_and_or_b32 v8, v8, s40, v22
	v_lshl_or_b32 v8, v17, 7, v8
	v_cvt_f32_f16_e32 v22, v8
.LBB240_350:                            ;   in Loop: Header=BB240_273 Depth=1
	s_or_b64 exec, exec, s[20:21]
	v_lshrrev_b32_e32 v8, 16, v20
	v_cmp_gt_i16_sdwa s[18:19], v8, s30 src0_sel:BYTE_0 src1_sel:DWORD
	s_mov_b64 s[2:3], 0
                                        ; implicit-def: $sgpr22
	s_and_saveexec_b64 s[20:21], s[18:19]
	s_xor_b64 s[18:19], exec, s[20:21]
	s_cbranch_execnz .LBB240_483
; %bb.351:                              ;   in Loop: Header=BB240_273 Depth=1
	s_or_saveexec_b64 s[18:19], s[18:19]
	v_mov_b32_e32 v17, s22
	s_xor_b64 exec, exec, s[18:19]
	s_cbranch_execnz .LBB240_486
.LBB240_352:                            ;   in Loop: Header=BB240_273 Depth=1
	s_or_b64 exec, exec, s[18:19]
	s_and_saveexec_b64 s[18:19], s[2:3]
	s_cbranch_execz .LBB240_354
.LBB240_353:                            ;   in Loop: Header=BB240_273 Depth=1
	v_bfe_u32 v17, v20, 16, 3
	v_ffbh_u32_e32 v40, v17
	v_min_u32_e32 v42, 32, v40
	v_subrev_u32_e32 v40, 28, v42
	v_bfe_u32 v23, v20, 19, 4
	v_lshlrev_b64 v[40:41], v40, v[8:9]
	v_sub_u32_e32 v41, 29, v42
	v_cmp_eq_u32_e64 s[2:3], 0, v23
	v_and_b32_e32 v40, 7, v40
	v_lshlrev_b32_e32 v8, 8, v8
	v_cndmask_b32_e64 v23, v23, v41, s[2:3]
	v_lshl_add_u32 v23, v23, 10, v33
	v_cndmask_b32_e64 v17, v17, v40, s[2:3]
	v_and_or_b32 v8, v8, s40, v23
	v_lshl_or_b32 v8, v17, 7, v8
	v_cvt_f32_f16_e32 v17, v8
.LBB240_354:                            ;   in Loop: Header=BB240_273 Depth=1
	s_or_b64 exec, exec, s[18:19]
	v_lshrrev_b32_e32 v8, 24, v20
	v_cmp_lt_i16_e64 s[2:3], s30, v8
	s_mov_b64 s[18:19], 0
                                        ; implicit-def: $sgpr28
	s_and_saveexec_b64 s[20:21], s[2:3]
	s_xor_b64 s[20:21], exec, s[20:21]
	s_cbranch_execnz .LBB240_487
; %bb.355:                              ;   in Loop: Header=BB240_273 Depth=1
	s_or_saveexec_b64 s[20:21], s[20:21]
	v_mov_b32_e32 v23, s28
	s_xor_b64 exec, exec, s[20:21]
	s_cbranch_execnz .LBB240_490
.LBB240_356:                            ;   in Loop: Header=BB240_273 Depth=1
	s_or_b64 exec, exec, s[20:21]
	s_and_saveexec_b64 s[20:21], s[18:19]
	s_cbranch_execz .LBB240_358
.LBB240_357:                            ;   in Loop: Header=BB240_273 Depth=1
	v_bfe_u32 v23, v20, 24, 3
	v_ffbh_u32_e32 v40, v23
	v_min_u32_e32 v42, 32, v40
	v_subrev_u32_e32 v40, 28, v42
	v_bfe_u32 v20, v20, 27, 4
	v_lshlrev_b64 v[40:41], v40, v[8:9]
	v_sub_u32_e32 v41, 29, v42
	v_cmp_eq_u32_e64 s[2:3], 0, v20
	v_and_b32_e32 v40, 7, v40
	v_lshlrev_b32_e32 v8, 8, v8
	v_cndmask_b32_e64 v20, v20, v41, s[2:3]
	v_lshl_add_u32 v20, v20, 10, v33
	v_cndmask_b32_e64 v23, v23, v40, s[2:3]
	v_and_or_b32 v8, v8, s40, v20
	v_lshl_or_b32 v8, v23, 7, v8
	v_cvt_f32_f16_e32 v23, v8
.LBB240_358:                            ;   in Loop: Header=BB240_273 Depth=1
	s_or_b64 exec, exec, s[20:21]
	v_cmp_gt_i16_sdwa s[18:19], v21, s30 src0_sel:BYTE_0 src1_sel:DWORD
	s_mov_b64 s[2:3], 0
                                        ; implicit-def: $sgpr22
	s_and_saveexec_b64 s[20:21], s[18:19]
	s_xor_b64 s[18:19], exec, s[20:21]
	s_cbranch_execnz .LBB240_491
; %bb.359:                              ;   in Loop: Header=BB240_273 Depth=1
	s_or_saveexec_b64 s[18:19], s[18:19]
	v_mov_b32_e32 v20, s22
	s_xor_b64 exec, exec, s[18:19]
	s_cbranch_execnz .LBB240_494
.LBB240_360:                            ;   in Loop: Header=BB240_273 Depth=1
	s_or_b64 exec, exec, s[18:19]
	v_mov_b32_e32 v8, v21
	s_and_saveexec_b64 s[18:19], s[2:3]
	s_cbranch_execz .LBB240_362
.LBB240_361:                            ;   in Loop: Header=BB240_273 Depth=1
	v_and_b32_e32 v20, 7, v21
	v_ffbh_u32_e32 v20, v20
	v_bfe_u32 v40, v21, 3, 4
	v_min_u32_e32 v20, 32, v20
	v_subrev_u32_e32 v41, 28, v20
	v_sub_u32_e32 v20, 29, v20
	v_cmp_eq_u32_e64 s[2:3], 0, v40
	s_nop 1
	v_cndmask_b32_e64 v20, v40, v20, s[2:3]
	v_cndmask_b32_e64 v40, 0, v41, s[2:3]
	v_lshlrev_b64 v[40:41], v40, v[8:9]
	v_lshlrev_b32_e32 v41, 8, v21
	v_lshl_add_u32 v20, v20, 10, v33
	v_lshlrev_b32_e32 v40, 7, v40
	v_and_or_b32 v20, v41, s40, v20
	v_and_or_b32 v20, v40, s41, v20
	v_cvt_f32_f16_e32 v20, v20
.LBB240_362:                            ;   in Loop: Header=BB240_273 Depth=1
	s_or_b64 exec, exec, s[18:19]
	v_lshrrev_b16_e32 v8, 8, v8
	v_cmp_lt_i16_e64 s[2:3], s30, v8
	s_mov_b64 s[18:19], 0
                                        ; implicit-def: $sgpr28
	s_and_saveexec_b64 s[20:21], s[2:3]
	s_xor_b64 s[20:21], exec, s[20:21]
	s_cbranch_execnz .LBB240_495
; %bb.363:                              ;   in Loop: Header=BB240_273 Depth=1
	s_or_saveexec_b64 s[20:21], s[20:21]
	v_mov_b32_e32 v40, s28
	s_xor_b64 exec, exec, s[20:21]
	s_cbranch_execnz .LBB240_498
.LBB240_364:                            ;   in Loop: Header=BB240_273 Depth=1
	s_or_b64 exec, exec, s[20:21]
	s_and_saveexec_b64 s[20:21], s[18:19]
	s_cbranch_execz .LBB240_366
.LBB240_365:                            ;   in Loop: Header=BB240_273 Depth=1
	v_and_b32_e32 v42, 7, v8
	v_ffbh_u32_e32 v40, v42
	v_min_u32_e32 v44, 32, v40
	v_subrev_u32_e32 v40, 28, v44
	v_bfe_u32 v43, v8, 3, 4
	v_lshlrev_b64 v[40:41], v40, v[8:9]
	v_sub_u32_e32 v41, 29, v44
	v_cmp_eq_u32_e64 s[2:3], 0, v43
	v_and_b32_e32 v40, 7, v40
	v_lshlrev_b32_e32 v8, 8, v8
	v_cndmask_b32_e64 v41, v43, v41, s[2:3]
	v_lshl_add_u32 v41, v41, 10, v33
	v_cndmask_b32_e64 v40, v42, v40, s[2:3]
	v_and_or_b32 v8, v8, s40, v41
	v_lshl_or_b32 v8, v40, 7, v8
	v_cvt_f32_f16_e32 v40, v8
.LBB240_366:                            ;   in Loop: Header=BB240_273 Depth=1
	s_or_b64 exec, exec, s[20:21]
	v_lshrrev_b32_e32 v8, 16, v21
	v_cmp_gt_i16_sdwa s[18:19], v8, s30 src0_sel:BYTE_0 src1_sel:DWORD
	s_mov_b64 s[2:3], 0
                                        ; implicit-def: $sgpr22
	s_and_saveexec_b64 s[20:21], s[18:19]
	s_xor_b64 s[18:19], exec, s[20:21]
	s_cbranch_execnz .LBB240_499
; %bb.367:                              ;   in Loop: Header=BB240_273 Depth=1
	s_or_saveexec_b64 s[18:19], s[18:19]
	v_mov_b32_e32 v41, s22
	s_xor_b64 exec, exec, s[18:19]
	s_cbranch_execnz .LBB240_502
.LBB240_368:                            ;   in Loop: Header=BB240_273 Depth=1
	s_or_b64 exec, exec, s[18:19]
	s_and_saveexec_b64 s[18:19], s[2:3]
	s_cbranch_execz .LBB240_370
.LBB240_369:                            ;   in Loop: Header=BB240_273 Depth=1
	v_bfe_u32 v41, v21, 16, 3
	v_ffbh_u32_e32 v42, v41
	v_min_u32_e32 v45, 32, v42
	v_subrev_u32_e32 v42, 28, v45
	v_bfe_u32 v44, v21, 19, 4
	v_lshlrev_b64 v[42:43], v42, v[8:9]
	v_sub_u32_e32 v43, 29, v45
	v_cmp_eq_u32_e64 s[2:3], 0, v44
	v_and_b32_e32 v42, 7, v42
	v_lshlrev_b32_e32 v8, 8, v8
	v_cndmask_b32_e64 v43, v44, v43, s[2:3]
	v_cndmask_b32_e64 v41, v41, v42, s[2:3]
	v_lshl_add_u32 v42, v43, 10, v33
	v_and_or_b32 v8, v8, s40, v42
	v_lshl_or_b32 v8, v41, 7, v8
	v_cvt_f32_f16_e32 v41, v8
.LBB240_370:                            ;   in Loop: Header=BB240_273 Depth=1
	s_or_b64 exec, exec, s[18:19]
	v_lshrrev_b32_e32 v8, 24, v21
	v_cmp_lt_i16_e64 s[2:3], s30, v8
	s_mov_b64 s[18:19], 0
                                        ; implicit-def: $sgpr28
	s_and_saveexec_b64 s[20:21], s[2:3]
	s_xor_b64 s[20:21], exec, s[20:21]
	s_cbranch_execnz .LBB240_503
; %bb.371:                              ;   in Loop: Header=BB240_273 Depth=1
	s_or_saveexec_b64 s[20:21], s[20:21]
	v_mov_b32_e32 v42, s28
	s_xor_b64 exec, exec, s[20:21]
	s_cbranch_execnz .LBB240_506
.LBB240_372:                            ;   in Loop: Header=BB240_273 Depth=1
	s_or_b64 exec, exec, s[20:21]
	s_and_saveexec_b64 s[20:21], s[18:19]
	s_cbranch_execz .LBB240_374
.LBB240_373:                            ;   in Loop: Header=BB240_273 Depth=1
	v_bfe_u32 v44, v21, 24, 3
	v_ffbh_u32_e32 v42, v44
	v_min_u32_e32 v45, 32, v42
	v_subrev_u32_e32 v42, 28, v45
	v_bfe_u32 v21, v21, 27, 4
	v_lshlrev_b64 v[42:43], v42, v[8:9]
	v_sub_u32_e32 v43, 29, v45
	v_cmp_eq_u32_e64 s[2:3], 0, v21
	v_and_b32_e32 v42, 7, v42
	v_lshlrev_b32_e32 v8, 8, v8
	v_cndmask_b32_e64 v21, v21, v43, s[2:3]
	v_lshl_add_u32 v21, v21, 10, v33
	v_cndmask_b32_e64 v42, v44, v42, s[2:3]
	v_and_or_b32 v8, v8, s40, v21
	v_lshl_or_b32 v8, v42, 7, v8
	v_cvt_f32_f16_e32 v42, v8
.LBB240_374:                            ;   in Loop: Header=BB240_273 Depth=1
	s_or_b64 exec, exec, s[20:21]
	s_waitcnt vmcnt(0)
	v_pk_mul_f32 v[16:17], v[18:19], v[16:17] op_sel_hi:[0,1]
	v_cvt_f16_f32_e32 v17, v17
	v_cvt_f16_f32_e32 v16, v16
	v_pk_mul_f32 v[22:23], v[18:19], v[22:23] op_sel_hi:[0,1]
	v_cvt_f16_f32_e32 v8, v23
	v_cvt_f16_f32_e32 v21, v22
	v_pack_b32_f16 v16, v16, v17
	v_fma_mixlo_f16 v17, v18, v40, 0
	v_lshlrev_b32_e32 v17, 16, v17
	v_fma_mixlo_f16 v20, v18, v20, 0
	v_or_b32_sdwa v17, v17, v20 dst_sel:DWORD dst_unused:UNUSED_PAD src0_sel:DWORD src1_sel:WORD_0
	v_fma_mixlo_f16 v20, v18, v41, 0
	v_fma_mixlo_f16 v18, v18, v42, 0
	v_pack_b32_f16 v21, v21, v8
	v_lshlrev_b32_e32 v18, 16, v18
	v_perm_b32 v8, v16, v21, s42
	v_perm_b32 v16, v16, v21, s43
	v_or_b32_sdwa v18, v18, v20 dst_sel:DWORD dst_unused:UNUSED_PAD src0_sel:DWORD src1_sel:WORD_0
	s_and_saveexec_b64 s[18:19], s[0:1]
	s_cbranch_execz .LBB240_376
; %bb.375:                              ;   in Loop: Header=BB240_273 Depth=1
	v_add_u32_e32 v21, 1, v34
	v_lshrrev_b32_e32 v22, 16, v16
	v_cmp_gt_i32_e64 s[2:3], s39, v21
	v_lshrrev_b32_e32 v23, 16, v8
	v_lshrrev_b32_e32 v18, 16, v18
	v_cndmask_b32_e64 v21, 0, v22, s[2:3]
	v_cmp_gt_i32_e64 s[2:3], s33, v34
	v_or_b32_e32 v22, 2, v34
	s_nop 0
	v_cndmask_b32_e64 v16, 0, v16, s[2:3]
	v_perm_b32 v16, v21, v16, s44
	v_or_b32_e32 v21, 3, v34
	v_cmp_gt_i32_e64 s[2:3], s39, v21
	s_nop 1
	v_cndmask_b32_e64 v21, 0, v23, s[2:3]
	v_cmp_gt_i32_e64 s[2:3], s33, v22
	v_or_b32_e32 v22, 4, v34
	v_lshrrev_b32_e32 v23, 16, v17
	v_cndmask_b32_e64 v8, 0, v8, s[2:3]
	v_perm_b32 v8, v21, v8, s44
	v_or_b32_e32 v21, 5, v34
	v_cmp_gt_i32_e64 s[2:3], s39, v21
	s_nop 1
	v_cndmask_b32_e64 v21, 0, v23, s[2:3]
	v_cmp_gt_i32_e64 s[2:3], s33, v22
	v_or_b32_e32 v22, 6, v34
	s_nop 0
	v_cndmask_b32_e64 v17, 0, v17, s[2:3]
	v_perm_b32 v17, v21, v17, s44
	v_or_b32_e32 v21, 7, v34
	v_cmp_gt_i32_e64 s[2:3], s39, v21
	s_nop 1
	v_cndmask_b32_e64 v18, 0, v18, s[2:3]
	v_cmp_gt_i32_e64 s[2:3], s33, v22
	s_nop 1
	v_cndmask_b32_e64 v20, 0, v20, s[2:3]
	v_perm_b32 v18, v18, v20, s44
.LBB240_376:                            ;   in Loop: Header=BB240_273 Depth=1
	s_or_b64 exec, exec, s[18:19]
	;;#ASMSTART
	v_pk_mul_f16 v16, v38, v16;

	;;#ASMEND
	;;#ASMSTART
	v_pk_mul_f16 v8, v37, v8;

	;;#ASMEND
	;;#ASMSTART
	v_pk_mul_f16 v17, v36, v17;

	;;#ASMEND
	;;#ASMSTART
	v_pk_mul_f16 v18, v35, v18;

	;;#ASMEND
	v_add_f32_e32 v19, v19, v39
	;;#ASMSTART
	v_pk_add_f16 v8, v16, v8;

	;;#ASMEND
	v_add_f32_e32 v2, v2, v19
	;;#ASMSTART
	v_pk_add_f16 v8, v8, v17;

	;;#ASMEND
	;; [unrolled: 5-line block ×3, first 2 shown]
	v_add_f32_e32 v3, v3, v19
	v_lshrrev_b32_e32 v16, 16, v8
	v_and_b32_e32 v8, 0xffff, v8
	;;#ASMSTART
	v_cvt_f32_f16 v8, v8;
	;;#ASMEND
	;;#ASMSTART
	v_cvt_f32_f16 v16, v16;
	;;#ASMEND
	s_nop 0
	v_add_f32_e32 v8, v8, v16
	v_add_f32_e32 v4, v4, v8
	s_and_saveexec_b64 s[18:19], vcc
	s_cbranch_execz .LBB240_271
; %bb.377:                              ;   in Loop: Header=BB240_273 Depth=1
	v_lshl_add_u64 v[18:19], v[14:15], 0, v[10:11]
	global_load_dwordx2 v[16:17], v[18:19], off
	global_load_dword v14, v9, s[14:15]
	s_mov_b64 s[2:3], 0
                                        ; implicit-def: $sgpr28
	s_waitcnt vmcnt(1)
	v_cmp_gt_i16_sdwa s[20:21], v16, s30 src0_sel:BYTE_0 src1_sel:DWORD
	s_and_saveexec_b64 s[22:23], s[20:21]
	s_xor_b64 s[20:21], exec, s[22:23]
	s_cbranch_execnz .LBB240_507
; %bb.378:                              ;   in Loop: Header=BB240_273 Depth=1
	s_or_saveexec_b64 s[20:21], s[20:21]
	v_mov_b32_e32 v18, s28
	s_xor_b64 exec, exec, s[20:21]
	s_cbranch_execnz .LBB240_510
.LBB240_379:                            ;   in Loop: Header=BB240_273 Depth=1
	s_or_b64 exec, exec, s[20:21]
	s_and_saveexec_b64 s[20:21], s[2:3]
	s_cbranch_execz .LBB240_381
.LBB240_380:                            ;   in Loop: Header=BB240_273 Depth=1
	v_and_b32_e32 v8, 7, v16
	v_ffbh_u32_e32 v8, v8
	v_bfe_u32 v15, v16, 3, 4
	v_min_u32_e32 v8, 32, v8
	v_subrev_u32_e32 v18, 28, v8
	v_sub_u32_e32 v8, 29, v8
	v_cmp_eq_u32_e64 s[2:3], 0, v15
	s_nop 1
	v_cndmask_b32_e64 v8, v15, v8, s[2:3]
	v_cndmask_b32_e64 v15, 0, v18, s[2:3]
	v_lshlrev_b64 v[18:19], v15, v[16:17]
	v_lshlrev_b32_e32 v15, 7, v18
	v_lshlrev_b32_e32 v18, 8, v16
	v_lshl_add_u32 v8, v8, 10, v33
	v_and_or_b32 v8, v18, s40, v8
	v_and_or_b32 v8, v15, s41, v8
	v_cvt_f32_f16_e32 v18, v8
.LBB240_381:                            ;   in Loop: Header=BB240_273 Depth=1
	s_or_b64 exec, exec, s[20:21]
	v_lshrrev_b16_e32 v8, 8, v16
	v_cmp_lt_i16_e64 s[2:3], s30, v8
	s_mov_b64 s[20:21], 0
                                        ; implicit-def: $sgpr45
	s_and_saveexec_b64 s[22:23], s[2:3]
	s_xor_b64 s[22:23], exec, s[22:23]
	s_cbranch_execnz .LBB240_511
; %bb.382:                              ;   in Loop: Header=BB240_273 Depth=1
	s_or_saveexec_b64 s[22:23], s[22:23]
	v_mov_b32_e32 v20, s45
	s_xor_b64 exec, exec, s[22:23]
	s_cbranch_execnz .LBB240_514
.LBB240_383:                            ;   in Loop: Header=BB240_273 Depth=1
	s_or_b64 exec, exec, s[22:23]
	s_and_saveexec_b64 s[22:23], s[20:21]
	s_cbranch_execz .LBB240_385
.LBB240_384:                            ;   in Loop: Header=BB240_273 Depth=1
	v_and_b32_e32 v15, 7, v8
	v_ffbh_u32_e32 v20, v15
	v_min_u32_e32 v22, 32, v20
	v_subrev_u32_e32 v20, 28, v22
	v_bfe_u32 v19, v8, 3, 4
	v_lshlrev_b64 v[20:21], v20, v[8:9]
	v_sub_u32_e32 v21, 29, v22
	v_cmp_eq_u32_e64 s[2:3], 0, v19
	v_and_b32_e32 v20, 7, v20
	v_lshlrev_b32_e32 v8, 8, v8
	v_cndmask_b32_e64 v19, v19, v21, s[2:3]
	v_lshl_add_u32 v19, v19, 10, v33
	v_cndmask_b32_e64 v15, v15, v20, s[2:3]
	v_and_or_b32 v8, v8, s40, v19
	v_lshl_or_b32 v8, v15, 7, v8
	v_cvt_f32_f16_e32 v20, v8
.LBB240_385:                            ;   in Loop: Header=BB240_273 Depth=1
	s_or_b64 exec, exec, s[22:23]
	v_lshrrev_b32_e32 v8, 16, v16
	v_cmp_gt_i16_sdwa s[20:21], v8, s30 src0_sel:BYTE_0 src1_sel:DWORD
	s_mov_b64 s[2:3], 0
                                        ; implicit-def: $sgpr28
	s_and_saveexec_b64 s[22:23], s[20:21]
	s_xor_b64 s[20:21], exec, s[22:23]
	s_cbranch_execnz .LBB240_515
; %bb.386:                              ;   in Loop: Header=BB240_273 Depth=1
	s_or_saveexec_b64 s[20:21], s[20:21]
	v_mov_b32_e32 v19, s28
	s_xor_b64 exec, exec, s[20:21]
	s_cbranch_execnz .LBB240_518
.LBB240_387:                            ;   in Loop: Header=BB240_273 Depth=1
	s_or_b64 exec, exec, s[20:21]
	s_and_saveexec_b64 s[20:21], s[2:3]
	s_cbranch_execz .LBB240_389
.LBB240_388:                            ;   in Loop: Header=BB240_273 Depth=1
	v_bfe_u32 v15, v16, 16, 3
	v_ffbh_u32_e32 v21, v15
	v_bfe_u32 v19, v16, 19, 4
	v_min_u32_e32 v21, 32, v21
	v_subrev_u32_e32 v22, 28, v21
	v_sub_u32_e32 v21, 29, v21
	v_cmp_eq_u32_e64 s[2:3], 0, v19
	v_lshlrev_b64 v[22:23], v22, v[8:9]
	v_and_b32_e32 v22, 7, v22
	v_cndmask_b32_e64 v19, v19, v21, s[2:3]
	v_lshlrev_b32_e32 v8, 8, v8
	v_lshl_add_u32 v19, v19, 10, v33
	v_cndmask_b32_e64 v15, v15, v22, s[2:3]
	v_and_or_b32 v8, v8, s40, v19
	v_lshl_or_b32 v8, v15, 7, v8
	v_cvt_f32_f16_e32 v19, v8
.LBB240_389:                            ;   in Loop: Header=BB240_273 Depth=1
	s_or_b64 exec, exec, s[20:21]
	v_lshrrev_b32_e32 v8, 24, v16
	v_cmp_lt_i16_e64 s[2:3], s30, v8
	s_mov_b64 s[20:21], 0
                                        ; implicit-def: $sgpr45
	s_and_saveexec_b64 s[22:23], s[2:3]
	s_xor_b64 s[22:23], exec, s[22:23]
	s_cbranch_execnz .LBB240_519
; %bb.390:                              ;   in Loop: Header=BB240_273 Depth=1
	s_or_saveexec_b64 s[22:23], s[22:23]
	v_mov_b32_e32 v21, s45
	s_xor_b64 exec, exec, s[22:23]
	s_cbranch_execnz .LBB240_522
.LBB240_391:                            ;   in Loop: Header=BB240_273 Depth=1
	s_or_b64 exec, exec, s[22:23]
	s_and_saveexec_b64 s[22:23], s[20:21]
	s_cbranch_execz .LBB240_393
.LBB240_392:                            ;   in Loop: Header=BB240_273 Depth=1
	v_bfe_u32 v15, v16, 24, 3
	v_ffbh_u32_e32 v21, v15
	v_bfe_u32 v16, v16, 27, 4
	v_min_u32_e32 v21, 32, v21
	v_subrev_u32_e32 v22, 28, v21
	v_sub_u32_e32 v21, 29, v21
	v_cmp_eq_u32_e64 s[2:3], 0, v16
	v_lshlrev_b64 v[22:23], v22, v[8:9]
	v_and_b32_e32 v22, 7, v22
	v_cndmask_b32_e64 v16, v16, v21, s[2:3]
	v_lshlrev_b32_e32 v8, 8, v8
	v_lshl_add_u32 v16, v16, 10, v33
	v_cndmask_b32_e64 v15, v15, v22, s[2:3]
	v_and_or_b32 v8, v8, s40, v16
	v_lshl_or_b32 v8, v15, 7, v8
	v_cvt_f32_f16_e32 v21, v8
.LBB240_393:                            ;   in Loop: Header=BB240_273 Depth=1
	s_or_b64 exec, exec, s[22:23]
	v_cmp_gt_i16_sdwa s[20:21], v17, s30 src0_sel:BYTE_0 src1_sel:DWORD
	s_mov_b64 s[2:3], 0
                                        ; implicit-def: $sgpr28
	s_and_saveexec_b64 s[22:23], s[20:21]
	s_xor_b64 s[20:21], exec, s[22:23]
	s_cbranch_execnz .LBB240_523
; %bb.394:                              ;   in Loop: Header=BB240_273 Depth=1
	s_or_saveexec_b64 s[20:21], s[20:21]
	v_mov_b32_e32 v15, s28
	s_xor_b64 exec, exec, s[20:21]
	s_cbranch_execnz .LBB240_526
.LBB240_395:                            ;   in Loop: Header=BB240_273 Depth=1
	s_or_b64 exec, exec, s[20:21]
	v_mov_b32_e32 v8, v17
	s_and_saveexec_b64 s[20:21], s[2:3]
	s_cbranch_execz .LBB240_397
.LBB240_396:                            ;   in Loop: Header=BB240_273 Depth=1
	v_and_b32_e32 v15, 7, v17
	v_ffbh_u32_e32 v15, v15
	v_bfe_u32 v16, v17, 3, 4
	v_min_u32_e32 v15, 32, v15
	v_subrev_u32_e32 v22, 28, v15
	v_sub_u32_e32 v15, 29, v15
	v_cmp_eq_u32_e64 s[2:3], 0, v16
	s_nop 1
	v_cndmask_b32_e64 v15, v16, v15, s[2:3]
	v_cndmask_b32_e64 v16, 0, v22, s[2:3]
	v_lshlrev_b64 v[22:23], v16, v[8:9]
	v_lshlrev_b32_e32 v16, 7, v22
	v_lshlrev_b32_e32 v22, 8, v17
	v_lshl_add_u32 v15, v15, 10, v33
	v_and_or_b32 v15, v22, s40, v15
	v_and_or_b32 v15, v16, s41, v15
	v_cvt_f32_f16_e32 v15, v15
.LBB240_397:                            ;   in Loop: Header=BB240_273 Depth=1
	s_or_b64 exec, exec, s[20:21]
	v_lshrrev_b16_e32 v8, 8, v8
	v_cmp_lt_i16_e64 s[2:3], s30, v8
	s_mov_b64 s[20:21], 0
                                        ; implicit-def: $sgpr45
	s_and_saveexec_b64 s[22:23], s[2:3]
	s_xor_b64 s[22:23], exec, s[22:23]
	s_cbranch_execnz .LBB240_527
; %bb.398:                              ;   in Loop: Header=BB240_273 Depth=1
	s_or_saveexec_b64 s[22:23], s[22:23]
	v_mov_b32_e32 v16, s45
	s_xor_b64 exec, exec, s[22:23]
	s_cbranch_execnz .LBB240_530
.LBB240_399:                            ;   in Loop: Header=BB240_273 Depth=1
	s_or_b64 exec, exec, s[22:23]
	s_and_saveexec_b64 s[22:23], s[20:21]
	s_cbranch_execz .LBB240_401
.LBB240_400:                            ;   in Loop: Header=BB240_273 Depth=1
	v_and_b32_e32 v16, 7, v8
	v_ffbh_u32_e32 v22, v16
	v_min_u32_e32 v25, 32, v22
	v_subrev_u32_e32 v22, 28, v25
	v_bfe_u32 v24, v8, 3, 4
	v_lshlrev_b64 v[22:23], v22, v[8:9]
	v_sub_u32_e32 v23, 29, v25
	v_cmp_eq_u32_e64 s[2:3], 0, v24
	v_and_b32_e32 v22, 7, v22
	v_lshlrev_b32_e32 v8, 8, v8
	v_cndmask_b32_e64 v23, v24, v23, s[2:3]
	v_cndmask_b32_e64 v16, v16, v22, s[2:3]
	v_lshl_add_u32 v22, v23, 10, v33
	v_and_or_b32 v8, v8, s40, v22
	v_lshl_or_b32 v8, v16, 7, v8
	v_cvt_f32_f16_e32 v16, v8
.LBB240_401:                            ;   in Loop: Header=BB240_273 Depth=1
	s_or_b64 exec, exec, s[22:23]
	v_lshrrev_b32_e32 v8, 16, v17
	v_cmp_gt_i16_sdwa s[20:21], v8, s30 src0_sel:BYTE_0 src1_sel:DWORD
	s_mov_b64 s[2:3], 0
                                        ; implicit-def: $sgpr28
	s_and_saveexec_b64 s[22:23], s[20:21]
	s_xor_b64 s[20:21], exec, s[22:23]
	s_cbranch_execnz .LBB240_531
; %bb.402:                              ;   in Loop: Header=BB240_273 Depth=1
	s_or_saveexec_b64 s[20:21], s[20:21]
	v_mov_b32_e32 v22, s28
	s_xor_b64 exec, exec, s[20:21]
	s_cbranch_execnz .LBB240_534
.LBB240_403:                            ;   in Loop: Header=BB240_273 Depth=1
	s_or_b64 exec, exec, s[20:21]
	s_and_saveexec_b64 s[20:21], s[2:3]
	s_cbranch_execz .LBB240_405
.LBB240_404:                            ;   in Loop: Header=BB240_273 Depth=1
	v_bfe_u32 v24, v17, 16, 3
	v_ffbh_u32_e32 v22, v24
	v_min_u32_e32 v39, 32, v22
	v_subrev_u32_e32 v22, 28, v39
	v_bfe_u32 v25, v17, 19, 4
	v_lshlrev_b64 v[22:23], v22, v[8:9]
	v_sub_u32_e32 v23, 29, v39
	v_cmp_eq_u32_e64 s[2:3], 0, v25
	v_and_b32_e32 v22, 7, v22
	v_lshlrev_b32_e32 v8, 8, v8
	v_cndmask_b32_e64 v23, v25, v23, s[2:3]
	v_lshl_add_u32 v23, v23, 10, v33
	v_cndmask_b32_e64 v22, v24, v22, s[2:3]
	v_and_or_b32 v8, v8, s40, v23
	v_lshl_or_b32 v8, v22, 7, v8
	v_cvt_f32_f16_e32 v22, v8
.LBB240_405:                            ;   in Loop: Header=BB240_273 Depth=1
	s_or_b64 exec, exec, s[20:21]
	v_lshrrev_b32_e32 v8, 24, v17
	v_cmp_lt_i16_e64 s[2:3], s30, v8
	s_mov_b64 s[20:21], 0
                                        ; implicit-def: $sgpr45
	s_and_saveexec_b64 s[22:23], s[2:3]
	s_xor_b64 s[22:23], exec, s[22:23]
	s_cbranch_execnz .LBB240_535
; %bb.406:                              ;   in Loop: Header=BB240_273 Depth=1
	s_or_saveexec_b64 s[22:23], s[22:23]
	v_mov_b32_e32 v23, s45
	s_xor_b64 exec, exec, s[22:23]
	s_cbranch_execnz .LBB240_538
.LBB240_407:                            ;   in Loop: Header=BB240_273 Depth=1
	s_or_b64 exec, exec, s[22:23]
	s_and_saveexec_b64 s[22:23], s[20:21]
	s_cbranch_execz .LBB240_409
.LBB240_408:                            ;   in Loop: Header=BB240_273 Depth=1
	v_bfe_u32 v23, v17, 24, 3
	v_ffbh_u32_e32 v24, v23
	v_min_u32_e32 v39, 32, v24
	v_subrev_u32_e32 v24, 28, v39
	v_bfe_u32 v17, v17, 27, 4
	v_lshlrev_b64 v[24:25], v24, v[8:9]
	v_sub_u32_e32 v25, 29, v39
	v_cmp_eq_u32_e64 s[2:3], 0, v17
	v_and_b32_e32 v24, 7, v24
	v_lshlrev_b32_e32 v8, 8, v8
	v_cndmask_b32_e64 v17, v17, v25, s[2:3]
	v_lshl_add_u32 v17, v17, 10, v33
	v_cndmask_b32_e64 v23, v23, v24, s[2:3]
	v_and_or_b32 v8, v8, s40, v17
	v_lshl_or_b32 v8, v23, 7, v8
	v_cvt_f32_f16_e32 v23, v8
.LBB240_409:                            ;   in Loop: Header=BB240_273 Depth=1
	s_or_b64 exec, exec, s[22:23]
	s_waitcnt vmcnt(0)
	v_pk_mul_f32 v[20:21], v[14:15], v[20:21] op_sel_hi:[0,1]
	v_pk_mul_f32 v[18:19], v[14:15], v[18:19] op_sel_hi:[0,1]
	v_cvt_f16_f32_e32 v8, v21
	v_cvt_f16_f32_e32 v17, v20
	;; [unrolled: 1-line block ×4, first 2 shown]
	v_fma_mixlo_f16 v16, v14, v16, 0
	v_lshlrev_b32_e32 v16, 16, v16
	v_fma_mixlo_f16 v15, v14, v15, 0
	v_or_b32_sdwa v15, v16, v15 dst_sel:DWORD dst_unused:UNUSED_PAD src0_sel:DWORD src1_sel:WORD_0
	v_fma_mixlo_f16 v16, v14, v22, 0
	v_fma_mixlo_f16 v14, v14, v23, 0
	v_pack_b32_f16 v17, v17, v8
	v_pack_b32_f16 v18, v18, v19
	v_lshlrev_b32_e32 v14, 16, v14
	v_perm_b32 v8, v18, v17, s42
	v_perm_b32 v17, v18, v17, s43
	v_or_b32_sdwa v14, v14, v16 dst_sel:DWORD dst_unused:UNUSED_PAD src0_sel:DWORD src1_sel:WORD_0
	s_and_saveexec_b64 s[2:3], s[0:1]
	s_cbranch_execz .LBB240_270
; %bb.410:                              ;   in Loop: Header=BB240_273 Depth=1
	v_add_u32_e32 v18, 1, v34
	v_lshrrev_b32_e32 v19, 16, v17
	v_cmp_gt_i32_e64 s[0:1], s39, v18
	v_lshrrev_b32_e32 v20, 16, v8
	v_lshrrev_b32_e32 v14, 16, v14
	v_cndmask_b32_e64 v18, 0, v19, s[0:1]
	v_cmp_gt_i32_e64 s[0:1], s33, v34
	v_or_b32_e32 v19, 2, v34
	s_nop 0
	v_cndmask_b32_e64 v17, 0, v17, s[0:1]
	v_perm_b32 v17, v18, v17, s44
	v_or_b32_e32 v18, 3, v34
	v_cmp_gt_i32_e64 s[0:1], s39, v18
	s_nop 1
	v_cndmask_b32_e64 v18, 0, v20, s[0:1]
	v_cmp_gt_i32_e64 s[0:1], s33, v19
	v_or_b32_e32 v19, 4, v34
	v_lshrrev_b32_e32 v20, 16, v15
	v_cndmask_b32_e64 v8, 0, v8, s[0:1]
	v_perm_b32 v8, v18, v8, s44
	v_or_b32_e32 v18, 5, v34
	v_cmp_gt_i32_e64 s[0:1], s39, v18
	s_nop 1
	v_cndmask_b32_e64 v18, 0, v20, s[0:1]
	v_cmp_gt_i32_e64 s[0:1], s33, v19
	v_or_b32_e32 v19, 6, v34
	s_nop 0
	v_cndmask_b32_e64 v15, 0, v15, s[0:1]
	v_perm_b32 v15, v18, v15, s44
	v_or_b32_e32 v18, 7, v34
	v_cmp_gt_i32_e64 s[0:1], s39, v18
	s_nop 1
	v_cndmask_b32_e64 v14, 0, v14, s[0:1]
	v_cmp_gt_i32_e64 s[0:1], s33, v19
	s_nop 1
	v_cndmask_b32_e64 v16, 0, v16, s[0:1]
	v_perm_b32 v14, v14, v16, s44
	s_branch .LBB240_270
.LBB240_411:                            ;   in Loop: Header=BB240_273 Depth=1
	v_cmp_eq_u16_sdwa s[22:23], v20, s31 src0_sel:BYTE_0 src1_sel:DWORD
	s_mov_b64 s[0:1], -1
                                        ; implicit-def: $sgpr20
	s_and_saveexec_b64 s[18:19], s[22:23]
; %bb.412:                              ;   in Loop: Header=BB240_273 Depth=1
	s_mov_b32 s20, 0x7fc02000
	s_xor_b64 s[0:1], exec, -1
; %bb.413:                              ;   in Loop: Header=BB240_273 Depth=1
	s_or_b64 exec, exec, s[18:19]
	s_and_b64 s[0:1], s[0:1], exec
	s_or_saveexec_b64 s[2:3], s[2:3]
	v_mov_b32_e32 v22, s20
	s_xor_b64 exec, exec, s[2:3]
	s_cbranch_execz .LBB240_276
.LBB240_414:                            ;   in Loop: Header=BB240_273 Depth=1
	v_cmp_ne_u16_sdwa s[18:19], v20, v9 src0_sel:BYTE_0 src1_sel:DWORD
	s_andn2_b64 s[0:1], s[0:1], exec
	s_and_b64 s[18:19], s[18:19], exec
	v_mov_b32_e32 v22, 0
	s_or_b64 s[0:1], s[0:1], s[18:19]
	s_or_b64 exec, exec, s[2:3]
	s_and_saveexec_b64 s[2:3], s[0:1]
	s_cbranch_execnz .LBB240_277
	s_branch .LBB240_278
.LBB240_415:                            ;   in Loop: Header=BB240_273 Depth=1
	v_cmp_eq_u16_e64 s[0:1], s31, v8
	s_mov_b64 s[2:3], -1
                                        ; implicit-def: $sgpr22
	s_and_saveexec_b64 s[20:21], s[0:1]
; %bb.416:                              ;   in Loop: Header=BB240_273 Depth=1
	s_mov_b32 s22, 0x7fc02000
	s_xor_b64 s[2:3], exec, -1
; %bb.417:                              ;   in Loop: Header=BB240_273 Depth=1
	s_or_b64 exec, exec, s[20:21]
	s_and_b64 s[2:3], s[2:3], exec
	s_or_saveexec_b64 s[18:19], s[18:19]
	v_mov_b32_e32 v24, s22
	s_xor_b64 exec, exec, s[18:19]
	s_cbranch_execz .LBB240_280
.LBB240_418:                            ;   in Loop: Header=BB240_273 Depth=1
	v_cmp_ne_u16_e64 s[0:1], 0, v8
	s_andn2_b64 s[2:3], s[2:3], exec
	s_and_b64 s[0:1], s[0:1], exec
	v_mov_b32_e32 v24, 0
	s_or_b64 s[2:3], s[2:3], s[0:1]
	s_or_b64 exec, exec, s[18:19]
	s_and_saveexec_b64 s[18:19], s[2:3]
	s_cbranch_execnz .LBB240_281
	s_branch .LBB240_282
.LBB240_419:                            ;   in Loop: Header=BB240_273 Depth=1
	v_cmp_eq_u16_sdwa s[22:23], v8, s31 src0_sel:BYTE_0 src1_sel:DWORD
	s_mov_b64 s[0:1], -1
                                        ; implicit-def: $sgpr20
	s_and_saveexec_b64 s[18:19], s[22:23]
; %bb.420:                              ;   in Loop: Header=BB240_273 Depth=1
	s_mov_b32 s20, 0x7fc02000
	s_xor_b64 s[0:1], exec, -1
; %bb.421:                              ;   in Loop: Header=BB240_273 Depth=1
	s_or_b64 exec, exec, s[18:19]
	s_and_b64 s[0:1], s[0:1], exec
	s_or_saveexec_b64 s[2:3], s[2:3]
	v_mov_b32_e32 v23, s20
	s_xor_b64 exec, exec, s[2:3]
	s_cbranch_execz .LBB240_284
.LBB240_422:                            ;   in Loop: Header=BB240_273 Depth=1
	v_cmp_ne_u16_sdwa s[18:19], v8, v9 src0_sel:BYTE_0 src1_sel:DWORD
	s_andn2_b64 s[0:1], s[0:1], exec
	s_and_b64 s[18:19], s[18:19], exec
	v_mov_b32_e32 v23, 0
	s_or_b64 s[0:1], s[0:1], s[18:19]
	s_or_b64 exec, exec, s[2:3]
	s_and_saveexec_b64 s[2:3], s[0:1]
	s_cbranch_execnz .LBB240_285
	s_branch .LBB240_286
.LBB240_423:                            ;   in Loop: Header=BB240_273 Depth=1
	v_cmp_eq_u16_e64 s[0:1], s31, v8
	s_mov_b64 s[2:3], -1
                                        ; implicit-def: $sgpr22
	s_and_saveexec_b64 s[20:21], s[0:1]
; %bb.424:                              ;   in Loop: Header=BB240_273 Depth=1
	s_mov_b32 s22, 0x7fc02000
	s_xor_b64 s[2:3], exec, -1
; %bb.425:                              ;   in Loop: Header=BB240_273 Depth=1
	s_or_b64 exec, exec, s[20:21]
	s_and_b64 s[2:3], s[2:3], exec
	s_or_saveexec_b64 s[18:19], s[18:19]
	v_mov_b32_e32 v25, s22
	s_xor_b64 exec, exec, s[18:19]
	s_cbranch_execz .LBB240_288
.LBB240_426:                            ;   in Loop: Header=BB240_273 Depth=1
	v_cmp_ne_u16_e64 s[0:1], 0, v8
	s_andn2_b64 s[2:3], s[2:3], exec
	s_and_b64 s[0:1], s[0:1], exec
	v_mov_b32_e32 v25, 0
	s_or_b64 s[2:3], s[2:3], s[0:1]
	s_or_b64 exec, exec, s[18:19]
	s_and_saveexec_b64 s[18:19], s[2:3]
	s_cbranch_execnz .LBB240_289
	s_branch .LBB240_290
.LBB240_427:                            ;   in Loop: Header=BB240_273 Depth=1
	v_cmp_eq_u16_sdwa s[22:23], v21, s31 src0_sel:BYTE_0 src1_sel:DWORD
	s_mov_b64 s[0:1], -1
                                        ; implicit-def: $sgpr20
	s_and_saveexec_b64 s[18:19], s[22:23]
; %bb.428:                              ;   in Loop: Header=BB240_273 Depth=1
	s_mov_b32 s20, 0x7fc02000
	s_xor_b64 s[0:1], exec, -1
; %bb.429:                              ;   in Loop: Header=BB240_273 Depth=1
	s_or_b64 exec, exec, s[18:19]
	s_and_b64 s[0:1], s[0:1], exec
	s_or_saveexec_b64 s[2:3], s[2:3]
	v_mov_b32_e32 v20, s20
	s_xor_b64 exec, exec, s[2:3]
	s_cbranch_execz .LBB240_292
.LBB240_430:                            ;   in Loop: Header=BB240_273 Depth=1
	v_cmp_ne_u16_sdwa s[18:19], v21, v9 src0_sel:BYTE_0 src1_sel:DWORD
	s_andn2_b64 s[0:1], s[0:1], exec
	s_and_b64 s[18:19], s[18:19], exec
	v_mov_b32_e32 v20, 0
	s_or_b64 s[0:1], s[0:1], s[18:19]
	s_or_b64 exec, exec, s[2:3]
	v_mov_b32_e32 v8, v21
	s_and_saveexec_b64 s[2:3], s[0:1]
	s_cbranch_execnz .LBB240_293
	s_branch .LBB240_294
.LBB240_431:                            ;   in Loop: Header=BB240_273 Depth=1
	v_cmp_eq_u16_e64 s[0:1], s31, v8
	s_mov_b64 s[2:3], -1
                                        ; implicit-def: $sgpr22
	s_and_saveexec_b64 s[20:21], s[0:1]
; %bb.432:                              ;   in Loop: Header=BB240_273 Depth=1
	s_mov_b32 s22, 0x7fc02000
	s_xor_b64 s[2:3], exec, -1
; %bb.433:                              ;   in Loop: Header=BB240_273 Depth=1
	s_or_b64 exec, exec, s[20:21]
	s_and_b64 s[2:3], s[2:3], exec
	s_or_saveexec_b64 s[18:19], s[18:19]
	v_mov_b32_e32 v38, s22
	s_xor_b64 exec, exec, s[18:19]
	s_cbranch_execz .LBB240_296
.LBB240_434:                            ;   in Loop: Header=BB240_273 Depth=1
	v_cmp_ne_u16_e64 s[0:1], 0, v8
	s_andn2_b64 s[2:3], s[2:3], exec
	s_and_b64 s[0:1], s[0:1], exec
	v_mov_b32_e32 v38, 0
	s_or_b64 s[2:3], s[2:3], s[0:1]
	s_or_b64 exec, exec, s[18:19]
	s_and_saveexec_b64 s[18:19], s[2:3]
	s_cbranch_execnz .LBB240_297
	s_branch .LBB240_298
.LBB240_435:                            ;   in Loop: Header=BB240_273 Depth=1
	v_cmp_eq_u16_sdwa s[22:23], v8, s31 src0_sel:BYTE_0 src1_sel:DWORD
	s_mov_b64 s[0:1], -1
                                        ; implicit-def: $sgpr20
	s_and_saveexec_b64 s[18:19], s[22:23]
; %bb.436:                              ;   in Loop: Header=BB240_273 Depth=1
	s_mov_b32 s20, 0x7fc02000
	s_xor_b64 s[0:1], exec, -1
; %bb.437:                              ;   in Loop: Header=BB240_273 Depth=1
	s_or_b64 exec, exec, s[18:19]
	s_and_b64 s[0:1], s[0:1], exec
	s_or_saveexec_b64 s[2:3], s[2:3]
	v_mov_b32_e32 v43, s20
	s_xor_b64 exec, exec, s[2:3]
	s_cbranch_execz .LBB240_300
.LBB240_438:                            ;   in Loop: Header=BB240_273 Depth=1
	v_cmp_ne_u16_sdwa s[18:19], v8, v9 src0_sel:BYTE_0 src1_sel:DWORD
	s_andn2_b64 s[0:1], s[0:1], exec
	s_and_b64 s[18:19], s[18:19], exec
	v_mov_b32_e32 v43, 0
	s_or_b64 s[0:1], s[0:1], s[18:19]
	s_or_b64 exec, exec, s[2:3]
	s_and_saveexec_b64 s[2:3], s[0:1]
	s_cbranch_execnz .LBB240_301
	s_branch .LBB240_302
.LBB240_439:                            ;   in Loop: Header=BB240_273 Depth=1
	v_cmp_eq_u16_e64 s[0:1], s31, v8
	s_mov_b64 s[2:3], -1
                                        ; implicit-def: $sgpr22
	s_and_saveexec_b64 s[20:21], s[0:1]
; %bb.440:                              ;   in Loop: Header=BB240_273 Depth=1
	s_mov_b32 s22, 0x7fc02000
	s_xor_b64 s[2:3], exec, -1
; %bb.441:                              ;   in Loop: Header=BB240_273 Depth=1
	s_or_b64 exec, exec, s[20:21]
	s_and_b64 s[2:3], s[2:3], exec
	s_or_saveexec_b64 s[18:19], s[18:19]
	v_mov_b32_e32 v44, s22
	s_xor_b64 exec, exec, s[18:19]
	s_cbranch_execz .LBB240_304
.LBB240_442:                            ;   in Loop: Header=BB240_273 Depth=1
	v_cmp_ne_u16_e64 s[0:1], 0, v8
	s_andn2_b64 s[2:3], s[2:3], exec
	s_and_b64 s[0:1], s[0:1], exec
	v_mov_b32_e32 v44, 0
	s_or_b64 s[2:3], s[2:3], s[0:1]
	s_or_b64 exec, exec, s[18:19]
	s_and_saveexec_b64 s[18:19], s[2:3]
	s_cbranch_execnz .LBB240_305
	s_branch .LBB240_306
.LBB240_443:                            ;   in Loop: Header=BB240_273 Depth=1
	v_cmp_eq_u16_sdwa s[28:29], v20, s31 src0_sel:BYTE_0 src1_sel:DWORD
	s_mov_b64 s[2:3], -1
                                        ; implicit-def: $sgpr22
	s_and_saveexec_b64 s[20:21], s[28:29]
; %bb.444:                              ;   in Loop: Header=BB240_273 Depth=1
	s_mov_b32 s22, 0x7fc02000
	s_xor_b64 s[2:3], exec, -1
; %bb.445:                              ;   in Loop: Header=BB240_273 Depth=1
	s_or_b64 exec, exec, s[20:21]
	s_and_b64 s[2:3], s[2:3], exec
	s_or_saveexec_b64 s[18:19], s[18:19]
	v_mov_b32_e32 v22, s22
	s_xor_b64 exec, exec, s[18:19]
	s_cbranch_execz .LBB240_310
.LBB240_446:                            ;   in Loop: Header=BB240_273 Depth=1
	v_cmp_ne_u16_sdwa s[20:21], v20, v9 src0_sel:BYTE_0 src1_sel:DWORD
	s_andn2_b64 s[2:3], s[2:3], exec
	s_and_b64 s[20:21], s[20:21], exec
	v_mov_b32_e32 v22, 0
	s_or_b64 s[2:3], s[2:3], s[20:21]
	s_or_b64 exec, exec, s[18:19]
	s_and_saveexec_b64 s[18:19], s[2:3]
	s_cbranch_execnz .LBB240_311
	s_branch .LBB240_312
.LBB240_447:                            ;   in Loop: Header=BB240_273 Depth=1
	v_cmp_eq_u16_e64 s[2:3], s31, v8
	s_mov_b64 s[18:19], -1
                                        ; implicit-def: $sgpr28
	s_and_saveexec_b64 s[22:23], s[2:3]
; %bb.448:                              ;   in Loop: Header=BB240_273 Depth=1
	s_mov_b32 s28, 0x7fc02000
	s_xor_b64 s[18:19], exec, -1
; %bb.449:                              ;   in Loop: Header=BB240_273 Depth=1
	s_or_b64 exec, exec, s[22:23]
	s_and_b64 s[18:19], s[18:19], exec
	s_or_saveexec_b64 s[20:21], s[20:21]
	v_mov_b32_e32 v24, s28
	s_xor_b64 exec, exec, s[20:21]
	s_cbranch_execz .LBB240_314
.LBB240_450:                            ;   in Loop: Header=BB240_273 Depth=1
	v_cmp_ne_u16_e64 s[2:3], 0, v8
	s_andn2_b64 s[18:19], s[18:19], exec
	s_and_b64 s[2:3], s[2:3], exec
	v_mov_b32_e32 v24, 0
	s_or_b64 s[18:19], s[18:19], s[2:3]
	s_or_b64 exec, exec, s[20:21]
	s_and_saveexec_b64 s[20:21], s[18:19]
	s_cbranch_execnz .LBB240_315
	s_branch .LBB240_316
.LBB240_451:                            ;   in Loop: Header=BB240_273 Depth=1
	v_cmp_eq_u16_sdwa s[28:29], v8, s31 src0_sel:BYTE_0 src1_sel:DWORD
	s_mov_b64 s[2:3], -1
                                        ; implicit-def: $sgpr22
	s_and_saveexec_b64 s[20:21], s[28:29]
; %bb.452:                              ;   in Loop: Header=BB240_273 Depth=1
	s_mov_b32 s22, 0x7fc02000
	s_xor_b64 s[2:3], exec, -1
; %bb.453:                              ;   in Loop: Header=BB240_273 Depth=1
	s_or_b64 exec, exec, s[20:21]
	s_and_b64 s[2:3], s[2:3], exec
	s_or_saveexec_b64 s[18:19], s[18:19]
	v_mov_b32_e32 v23, s22
	s_xor_b64 exec, exec, s[18:19]
	s_cbranch_execz .LBB240_318
.LBB240_454:                            ;   in Loop: Header=BB240_273 Depth=1
	v_cmp_ne_u16_sdwa s[20:21], v8, v9 src0_sel:BYTE_0 src1_sel:DWORD
	s_andn2_b64 s[2:3], s[2:3], exec
	s_and_b64 s[20:21], s[20:21], exec
	v_mov_b32_e32 v23, 0
	s_or_b64 s[2:3], s[2:3], s[20:21]
	s_or_b64 exec, exec, s[18:19]
	s_and_saveexec_b64 s[18:19], s[2:3]
	s_cbranch_execnz .LBB240_319
	s_branch .LBB240_320
.LBB240_455:                            ;   in Loop: Header=BB240_273 Depth=1
	v_cmp_eq_u16_e64 s[2:3], s31, v8
	s_mov_b64 s[18:19], -1
                                        ; implicit-def: $sgpr28
	s_and_saveexec_b64 s[22:23], s[2:3]
; %bb.456:                              ;   in Loop: Header=BB240_273 Depth=1
	s_mov_b32 s28, 0x7fc02000
	s_xor_b64 s[18:19], exec, -1
; %bb.457:                              ;   in Loop: Header=BB240_273 Depth=1
	s_or_b64 exec, exec, s[22:23]
	s_and_b64 s[18:19], s[18:19], exec
	s_or_saveexec_b64 s[20:21], s[20:21]
	v_mov_b32_e32 v25, s28
	s_xor_b64 exec, exec, s[20:21]
	s_cbranch_execz .LBB240_322
.LBB240_458:                            ;   in Loop: Header=BB240_273 Depth=1
	v_cmp_ne_u16_e64 s[2:3], 0, v8
	s_andn2_b64 s[18:19], s[18:19], exec
	s_and_b64 s[2:3], s[2:3], exec
	v_mov_b32_e32 v25, 0
	s_or_b64 s[18:19], s[18:19], s[2:3]
	s_or_b64 exec, exec, s[20:21]
	s_and_saveexec_b64 s[20:21], s[18:19]
	s_cbranch_execnz .LBB240_323
	s_branch .LBB240_324
.LBB240_459:                            ;   in Loop: Header=BB240_273 Depth=1
	v_cmp_eq_u16_sdwa s[28:29], v21, s31 src0_sel:BYTE_0 src1_sel:DWORD
	s_mov_b64 s[2:3], -1
                                        ; implicit-def: $sgpr22
	s_and_saveexec_b64 s[20:21], s[28:29]
; %bb.460:                              ;   in Loop: Header=BB240_273 Depth=1
	s_mov_b32 s22, 0x7fc02000
	s_xor_b64 s[2:3], exec, -1
; %bb.461:                              ;   in Loop: Header=BB240_273 Depth=1
	s_or_b64 exec, exec, s[20:21]
	s_and_b64 s[2:3], s[2:3], exec
	s_or_saveexec_b64 s[18:19], s[18:19]
	v_mov_b32_e32 v20, s22
	s_xor_b64 exec, exec, s[18:19]
	s_cbranch_execz .LBB240_326
.LBB240_462:                            ;   in Loop: Header=BB240_273 Depth=1
	v_cmp_ne_u16_sdwa s[20:21], v21, v9 src0_sel:BYTE_0 src1_sel:DWORD
	s_andn2_b64 s[2:3], s[2:3], exec
	s_and_b64 s[20:21], s[20:21], exec
	v_mov_b32_e32 v20, 0
	s_or_b64 s[2:3], s[2:3], s[20:21]
	s_or_b64 exec, exec, s[18:19]
	v_mov_b32_e32 v8, v21
	s_and_saveexec_b64 s[18:19], s[2:3]
	s_cbranch_execnz .LBB240_327
	s_branch .LBB240_328
.LBB240_463:                            ;   in Loop: Header=BB240_273 Depth=1
	v_cmp_eq_u16_e64 s[2:3], s31, v8
	s_mov_b64 s[18:19], -1
                                        ; implicit-def: $sgpr28
	s_and_saveexec_b64 s[22:23], s[2:3]
; %bb.464:                              ;   in Loop: Header=BB240_273 Depth=1
	s_mov_b32 s28, 0x7fc02000
	s_xor_b64 s[18:19], exec, -1
; %bb.465:                              ;   in Loop: Header=BB240_273 Depth=1
	s_or_b64 exec, exec, s[22:23]
	s_and_b64 s[18:19], s[18:19], exec
	s_or_saveexec_b64 s[20:21], s[20:21]
	v_mov_b32_e32 v40, s28
	s_xor_b64 exec, exec, s[20:21]
	s_cbranch_execz .LBB240_330
.LBB240_466:                            ;   in Loop: Header=BB240_273 Depth=1
	v_cmp_ne_u16_e64 s[2:3], 0, v8
	s_andn2_b64 s[18:19], s[18:19], exec
	s_and_b64 s[2:3], s[2:3], exec
	v_mov_b32_e32 v40, 0
	s_or_b64 s[18:19], s[18:19], s[2:3]
	s_or_b64 exec, exec, s[20:21]
	s_and_saveexec_b64 s[20:21], s[18:19]
	s_cbranch_execnz .LBB240_331
	s_branch .LBB240_332
.LBB240_467:                            ;   in Loop: Header=BB240_273 Depth=1
	v_cmp_eq_u16_sdwa s[28:29], v8, s31 src0_sel:BYTE_0 src1_sel:DWORD
	s_mov_b64 s[2:3], -1
                                        ; implicit-def: $sgpr22
	s_and_saveexec_b64 s[20:21], s[28:29]
; %bb.468:                              ;   in Loop: Header=BB240_273 Depth=1
	s_mov_b32 s22, 0x7fc02000
	s_xor_b64 s[2:3], exec, -1
; %bb.469:                              ;   in Loop: Header=BB240_273 Depth=1
	s_or_b64 exec, exec, s[20:21]
	s_and_b64 s[2:3], s[2:3], exec
	s_or_saveexec_b64 s[18:19], s[18:19]
	v_mov_b32_e32 v41, s22
	s_xor_b64 exec, exec, s[18:19]
	s_cbranch_execz .LBB240_334
.LBB240_470:                            ;   in Loop: Header=BB240_273 Depth=1
	v_cmp_ne_u16_sdwa s[20:21], v8, v9 src0_sel:BYTE_0 src1_sel:DWORD
	s_andn2_b64 s[2:3], s[2:3], exec
	s_and_b64 s[20:21], s[20:21], exec
	v_mov_b32_e32 v41, 0
	s_or_b64 s[2:3], s[2:3], s[20:21]
	s_or_b64 exec, exec, s[18:19]
	s_and_saveexec_b64 s[18:19], s[2:3]
	s_cbranch_execnz .LBB240_335
	s_branch .LBB240_336
.LBB240_471:                            ;   in Loop: Header=BB240_273 Depth=1
	v_cmp_eq_u16_e64 s[2:3], s31, v8
	s_mov_b64 s[18:19], -1
                                        ; implicit-def: $sgpr28
	s_and_saveexec_b64 s[22:23], s[2:3]
; %bb.472:                              ;   in Loop: Header=BB240_273 Depth=1
	s_mov_b32 s28, 0x7fc02000
	s_xor_b64 s[18:19], exec, -1
; %bb.473:                              ;   in Loop: Header=BB240_273 Depth=1
	s_or_b64 exec, exec, s[22:23]
	s_and_b64 s[18:19], s[18:19], exec
	s_or_saveexec_b64 s[20:21], s[20:21]
	v_mov_b32_e32 v42, s28
	s_xor_b64 exec, exec, s[20:21]
	s_cbranch_execz .LBB240_338
.LBB240_474:                            ;   in Loop: Header=BB240_273 Depth=1
	v_cmp_ne_u16_e64 s[2:3], 0, v8
	s_andn2_b64 s[18:19], s[18:19], exec
	s_and_b64 s[2:3], s[2:3], exec
	v_mov_b32_e32 v42, 0
	s_or_b64 s[18:19], s[18:19], s[2:3]
	s_or_b64 exec, exec, s[20:21]
	s_and_saveexec_b64 s[20:21], s[18:19]
	s_cbranch_execnz .LBB240_339
	s_branch .LBB240_340
.LBB240_475:                            ;   in Loop: Header=BB240_273 Depth=1
	v_cmp_eq_u16_sdwa s[28:29], v20, s31 src0_sel:BYTE_0 src1_sel:DWORD
	s_mov_b64 s[2:3], -1
                                        ; implicit-def: $sgpr22
	s_and_saveexec_b64 s[20:21], s[28:29]
; %bb.476:                              ;   in Loop: Header=BB240_273 Depth=1
	s_mov_b32 s22, 0x7fc02000
	s_xor_b64 s[2:3], exec, -1
; %bb.477:                              ;   in Loop: Header=BB240_273 Depth=1
	s_or_b64 exec, exec, s[20:21]
	s_and_b64 s[2:3], s[2:3], exec
	s_or_saveexec_b64 s[18:19], s[18:19]
	v_mov_b32_e32 v16, s22
	s_xor_b64 exec, exec, s[18:19]
	s_cbranch_execz .LBB240_344
.LBB240_478:                            ;   in Loop: Header=BB240_273 Depth=1
	v_cmp_ne_u16_sdwa s[20:21], v20, v9 src0_sel:BYTE_0 src1_sel:DWORD
	s_andn2_b64 s[2:3], s[2:3], exec
	s_and_b64 s[20:21], s[20:21], exec
	v_mov_b32_e32 v16, 0
	s_or_b64 s[2:3], s[2:3], s[20:21]
	s_or_b64 exec, exec, s[18:19]
	s_and_saveexec_b64 s[18:19], s[2:3]
	s_cbranch_execnz .LBB240_345
	s_branch .LBB240_346
.LBB240_479:                            ;   in Loop: Header=BB240_273 Depth=1
	v_cmp_eq_u16_e64 s[2:3], s31, v8
	s_mov_b64 s[18:19], -1
                                        ; implicit-def: $sgpr28
	s_and_saveexec_b64 s[22:23], s[2:3]
; %bb.480:                              ;   in Loop: Header=BB240_273 Depth=1
	s_mov_b32 s28, 0x7fc02000
	s_xor_b64 s[18:19], exec, -1
; %bb.481:                              ;   in Loop: Header=BB240_273 Depth=1
	s_or_b64 exec, exec, s[22:23]
	s_and_b64 s[18:19], s[18:19], exec
	s_or_saveexec_b64 s[20:21], s[20:21]
	v_mov_b32_e32 v22, s28
	s_xor_b64 exec, exec, s[20:21]
	s_cbranch_execz .LBB240_348
.LBB240_482:                            ;   in Loop: Header=BB240_273 Depth=1
	v_cmp_ne_u16_e64 s[2:3], 0, v8
	s_andn2_b64 s[18:19], s[18:19], exec
	s_and_b64 s[2:3], s[2:3], exec
	v_mov_b32_e32 v22, 0
	s_or_b64 s[18:19], s[18:19], s[2:3]
	s_or_b64 exec, exec, s[20:21]
	s_and_saveexec_b64 s[20:21], s[18:19]
	s_cbranch_execnz .LBB240_349
	s_branch .LBB240_350
.LBB240_483:                            ;   in Loop: Header=BB240_273 Depth=1
	v_cmp_eq_u16_sdwa s[28:29], v8, s31 src0_sel:BYTE_0 src1_sel:DWORD
	s_mov_b64 s[2:3], -1
                                        ; implicit-def: $sgpr22
	s_and_saveexec_b64 s[20:21], s[28:29]
; %bb.484:                              ;   in Loop: Header=BB240_273 Depth=1
	s_mov_b32 s22, 0x7fc02000
	s_xor_b64 s[2:3], exec, -1
; %bb.485:                              ;   in Loop: Header=BB240_273 Depth=1
	s_or_b64 exec, exec, s[20:21]
	s_and_b64 s[2:3], s[2:3], exec
	s_or_saveexec_b64 s[18:19], s[18:19]
	v_mov_b32_e32 v17, s22
	s_xor_b64 exec, exec, s[18:19]
	s_cbranch_execz .LBB240_352
.LBB240_486:                            ;   in Loop: Header=BB240_273 Depth=1
	v_cmp_ne_u16_sdwa s[20:21], v8, v9 src0_sel:BYTE_0 src1_sel:DWORD
	s_andn2_b64 s[2:3], s[2:3], exec
	s_and_b64 s[20:21], s[20:21], exec
	v_mov_b32_e32 v17, 0
	s_or_b64 s[2:3], s[2:3], s[20:21]
	s_or_b64 exec, exec, s[18:19]
	s_and_saveexec_b64 s[18:19], s[2:3]
	s_cbranch_execnz .LBB240_353
	s_branch .LBB240_354
.LBB240_487:                            ;   in Loop: Header=BB240_273 Depth=1
	v_cmp_eq_u16_e64 s[2:3], s31, v8
	s_mov_b64 s[18:19], -1
                                        ; implicit-def: $sgpr28
	s_and_saveexec_b64 s[22:23], s[2:3]
; %bb.488:                              ;   in Loop: Header=BB240_273 Depth=1
	s_mov_b32 s28, 0x7fc02000
	s_xor_b64 s[18:19], exec, -1
; %bb.489:                              ;   in Loop: Header=BB240_273 Depth=1
	s_or_b64 exec, exec, s[22:23]
	s_and_b64 s[18:19], s[18:19], exec
	s_or_saveexec_b64 s[20:21], s[20:21]
	v_mov_b32_e32 v23, s28
	s_xor_b64 exec, exec, s[20:21]
	s_cbranch_execz .LBB240_356
.LBB240_490:                            ;   in Loop: Header=BB240_273 Depth=1
	v_cmp_ne_u16_e64 s[2:3], 0, v8
	s_andn2_b64 s[18:19], s[18:19], exec
	s_and_b64 s[2:3], s[2:3], exec
	v_mov_b32_e32 v23, 0
	s_or_b64 s[18:19], s[18:19], s[2:3]
	s_or_b64 exec, exec, s[20:21]
	s_and_saveexec_b64 s[20:21], s[18:19]
	s_cbranch_execnz .LBB240_357
	s_branch .LBB240_358
.LBB240_491:                            ;   in Loop: Header=BB240_273 Depth=1
	v_cmp_eq_u16_sdwa s[28:29], v21, s31 src0_sel:BYTE_0 src1_sel:DWORD
	s_mov_b64 s[2:3], -1
                                        ; implicit-def: $sgpr22
	s_and_saveexec_b64 s[20:21], s[28:29]
; %bb.492:                              ;   in Loop: Header=BB240_273 Depth=1
	s_mov_b32 s22, 0x7fc02000
	s_xor_b64 s[2:3], exec, -1
; %bb.493:                              ;   in Loop: Header=BB240_273 Depth=1
	s_or_b64 exec, exec, s[20:21]
	s_and_b64 s[2:3], s[2:3], exec
	s_or_saveexec_b64 s[18:19], s[18:19]
	v_mov_b32_e32 v20, s22
	s_xor_b64 exec, exec, s[18:19]
	s_cbranch_execz .LBB240_360
.LBB240_494:                            ;   in Loop: Header=BB240_273 Depth=1
	v_cmp_ne_u16_sdwa s[20:21], v21, v9 src0_sel:BYTE_0 src1_sel:DWORD
	s_andn2_b64 s[2:3], s[2:3], exec
	s_and_b64 s[20:21], s[20:21], exec
	v_mov_b32_e32 v20, 0
	s_or_b64 s[2:3], s[2:3], s[20:21]
	s_or_b64 exec, exec, s[18:19]
	v_mov_b32_e32 v8, v21
	s_and_saveexec_b64 s[18:19], s[2:3]
	s_cbranch_execnz .LBB240_361
	s_branch .LBB240_362
.LBB240_495:                            ;   in Loop: Header=BB240_273 Depth=1
	v_cmp_eq_u16_e64 s[2:3], s31, v8
	s_mov_b64 s[18:19], -1
                                        ; implicit-def: $sgpr28
	s_and_saveexec_b64 s[22:23], s[2:3]
; %bb.496:                              ;   in Loop: Header=BB240_273 Depth=1
	s_mov_b32 s28, 0x7fc02000
	s_xor_b64 s[18:19], exec, -1
; %bb.497:                              ;   in Loop: Header=BB240_273 Depth=1
	s_or_b64 exec, exec, s[22:23]
	s_and_b64 s[18:19], s[18:19], exec
	s_or_saveexec_b64 s[20:21], s[20:21]
	v_mov_b32_e32 v40, s28
	s_xor_b64 exec, exec, s[20:21]
	s_cbranch_execz .LBB240_364
.LBB240_498:                            ;   in Loop: Header=BB240_273 Depth=1
	v_cmp_ne_u16_e64 s[2:3], 0, v8
	s_andn2_b64 s[18:19], s[18:19], exec
	s_and_b64 s[2:3], s[2:3], exec
	v_mov_b32_e32 v40, 0
	s_or_b64 s[18:19], s[18:19], s[2:3]
	s_or_b64 exec, exec, s[20:21]
	s_and_saveexec_b64 s[20:21], s[18:19]
	s_cbranch_execnz .LBB240_365
	s_branch .LBB240_366
.LBB240_499:                            ;   in Loop: Header=BB240_273 Depth=1
	v_cmp_eq_u16_sdwa s[28:29], v8, s31 src0_sel:BYTE_0 src1_sel:DWORD
	s_mov_b64 s[2:3], -1
                                        ; implicit-def: $sgpr22
	s_and_saveexec_b64 s[20:21], s[28:29]
; %bb.500:                              ;   in Loop: Header=BB240_273 Depth=1
	s_mov_b32 s22, 0x7fc02000
	s_xor_b64 s[2:3], exec, -1
; %bb.501:                              ;   in Loop: Header=BB240_273 Depth=1
	s_or_b64 exec, exec, s[20:21]
	s_and_b64 s[2:3], s[2:3], exec
	s_or_saveexec_b64 s[18:19], s[18:19]
	v_mov_b32_e32 v41, s22
	s_xor_b64 exec, exec, s[18:19]
	s_cbranch_execz .LBB240_368
.LBB240_502:                            ;   in Loop: Header=BB240_273 Depth=1
	v_cmp_ne_u16_sdwa s[20:21], v8, v9 src0_sel:BYTE_0 src1_sel:DWORD
	s_andn2_b64 s[2:3], s[2:3], exec
	s_and_b64 s[20:21], s[20:21], exec
	v_mov_b32_e32 v41, 0
	s_or_b64 s[2:3], s[2:3], s[20:21]
	s_or_b64 exec, exec, s[18:19]
	s_and_saveexec_b64 s[18:19], s[2:3]
	s_cbranch_execnz .LBB240_369
	s_branch .LBB240_370
.LBB240_503:                            ;   in Loop: Header=BB240_273 Depth=1
	v_cmp_eq_u16_e64 s[2:3], s31, v8
	s_mov_b64 s[18:19], -1
                                        ; implicit-def: $sgpr28
	s_and_saveexec_b64 s[22:23], s[2:3]
; %bb.504:                              ;   in Loop: Header=BB240_273 Depth=1
	s_mov_b32 s28, 0x7fc02000
	s_xor_b64 s[18:19], exec, -1
; %bb.505:                              ;   in Loop: Header=BB240_273 Depth=1
	s_or_b64 exec, exec, s[22:23]
	s_and_b64 s[18:19], s[18:19], exec
	s_or_saveexec_b64 s[20:21], s[20:21]
	v_mov_b32_e32 v42, s28
	s_xor_b64 exec, exec, s[20:21]
	s_cbranch_execz .LBB240_372
.LBB240_506:                            ;   in Loop: Header=BB240_273 Depth=1
	v_cmp_ne_u16_e64 s[2:3], 0, v8
	s_andn2_b64 s[18:19], s[18:19], exec
	s_and_b64 s[2:3], s[2:3], exec
	v_mov_b32_e32 v42, 0
	s_or_b64 s[18:19], s[18:19], s[2:3]
	s_or_b64 exec, exec, s[20:21]
	s_and_saveexec_b64 s[20:21], s[18:19]
	s_cbranch_execnz .LBB240_373
	s_branch .LBB240_374
.LBB240_507:                            ;   in Loop: Header=BB240_273 Depth=1
	v_cmp_eq_u16_sdwa s[50:51], v16, s31 src0_sel:BYTE_0 src1_sel:DWORD
	s_mov_b64 s[2:3], -1
                                        ; implicit-def: $sgpr28
	s_and_saveexec_b64 s[22:23], s[50:51]
; %bb.508:                              ;   in Loop: Header=BB240_273 Depth=1
	s_mov_b32 s28, 0x7fc02000
	s_xor_b64 s[2:3], exec, -1
; %bb.509:                              ;   in Loop: Header=BB240_273 Depth=1
	s_or_b64 exec, exec, s[22:23]
	s_and_b64 s[2:3], s[2:3], exec
	s_or_saveexec_b64 s[20:21], s[20:21]
	v_mov_b32_e32 v18, s28
	s_xor_b64 exec, exec, s[20:21]
	s_cbranch_execz .LBB240_379
.LBB240_510:                            ;   in Loop: Header=BB240_273 Depth=1
	v_cmp_ne_u16_sdwa s[22:23], v16, v9 src0_sel:BYTE_0 src1_sel:DWORD
	s_andn2_b64 s[2:3], s[2:3], exec
	s_and_b64 s[22:23], s[22:23], exec
	v_mov_b32_e32 v18, 0
	s_or_b64 s[2:3], s[2:3], s[22:23]
	s_or_b64 exec, exec, s[20:21]
	s_and_saveexec_b64 s[20:21], s[2:3]
	s_cbranch_execnz .LBB240_380
	s_branch .LBB240_381
.LBB240_511:                            ;   in Loop: Header=BB240_273 Depth=1
	v_cmp_eq_u16_e64 s[2:3], s31, v8
	s_mov_b64 s[20:21], -1
                                        ; implicit-def: $sgpr45
	s_and_saveexec_b64 s[28:29], s[2:3]
; %bb.512:                              ;   in Loop: Header=BB240_273 Depth=1
	s_mov_b32 s45, 0x7fc02000
	s_xor_b64 s[20:21], exec, -1
; %bb.513:                              ;   in Loop: Header=BB240_273 Depth=1
	s_or_b64 exec, exec, s[28:29]
	s_and_b64 s[20:21], s[20:21], exec
	s_or_saveexec_b64 s[22:23], s[22:23]
	v_mov_b32_e32 v20, s45
	s_xor_b64 exec, exec, s[22:23]
	s_cbranch_execz .LBB240_383
.LBB240_514:                            ;   in Loop: Header=BB240_273 Depth=1
	v_cmp_ne_u16_e64 s[2:3], 0, v8
	s_andn2_b64 s[20:21], s[20:21], exec
	s_and_b64 s[2:3], s[2:3], exec
	v_mov_b32_e32 v20, 0
	s_or_b64 s[20:21], s[20:21], s[2:3]
	s_or_b64 exec, exec, s[22:23]
	s_and_saveexec_b64 s[22:23], s[20:21]
	s_cbranch_execnz .LBB240_384
	s_branch .LBB240_385
.LBB240_515:                            ;   in Loop: Header=BB240_273 Depth=1
	v_cmp_eq_u16_sdwa s[50:51], v8, s31 src0_sel:BYTE_0 src1_sel:DWORD
	s_mov_b64 s[2:3], -1
                                        ; implicit-def: $sgpr28
	s_and_saveexec_b64 s[22:23], s[50:51]
; %bb.516:                              ;   in Loop: Header=BB240_273 Depth=1
	s_mov_b32 s28, 0x7fc02000
	s_xor_b64 s[2:3], exec, -1
; %bb.517:                              ;   in Loop: Header=BB240_273 Depth=1
	s_or_b64 exec, exec, s[22:23]
	s_and_b64 s[2:3], s[2:3], exec
	s_or_saveexec_b64 s[20:21], s[20:21]
	v_mov_b32_e32 v19, s28
	s_xor_b64 exec, exec, s[20:21]
	s_cbranch_execz .LBB240_387
.LBB240_518:                            ;   in Loop: Header=BB240_273 Depth=1
	v_cmp_ne_u16_sdwa s[22:23], v8, v9 src0_sel:BYTE_0 src1_sel:DWORD
	s_andn2_b64 s[2:3], s[2:3], exec
	s_and_b64 s[22:23], s[22:23], exec
	v_mov_b32_e32 v19, 0
	s_or_b64 s[2:3], s[2:3], s[22:23]
	s_or_b64 exec, exec, s[20:21]
	s_and_saveexec_b64 s[20:21], s[2:3]
	s_cbranch_execnz .LBB240_388
	s_branch .LBB240_389
.LBB240_519:                            ;   in Loop: Header=BB240_273 Depth=1
	v_cmp_eq_u16_e64 s[2:3], s31, v8
	s_mov_b64 s[20:21], -1
                                        ; implicit-def: $sgpr45
	s_and_saveexec_b64 s[28:29], s[2:3]
; %bb.520:                              ;   in Loop: Header=BB240_273 Depth=1
	s_mov_b32 s45, 0x7fc02000
	s_xor_b64 s[20:21], exec, -1
; %bb.521:                              ;   in Loop: Header=BB240_273 Depth=1
	s_or_b64 exec, exec, s[28:29]
	s_and_b64 s[20:21], s[20:21], exec
	s_or_saveexec_b64 s[22:23], s[22:23]
	v_mov_b32_e32 v21, s45
	s_xor_b64 exec, exec, s[22:23]
	s_cbranch_execz .LBB240_391
.LBB240_522:                            ;   in Loop: Header=BB240_273 Depth=1
	v_cmp_ne_u16_e64 s[2:3], 0, v8
	s_andn2_b64 s[20:21], s[20:21], exec
	s_and_b64 s[2:3], s[2:3], exec
	v_mov_b32_e32 v21, 0
	s_or_b64 s[20:21], s[20:21], s[2:3]
	s_or_b64 exec, exec, s[22:23]
	s_and_saveexec_b64 s[22:23], s[20:21]
	s_cbranch_execnz .LBB240_392
	s_branch .LBB240_393
.LBB240_523:                            ;   in Loop: Header=BB240_273 Depth=1
	v_cmp_eq_u16_sdwa s[50:51], v17, s31 src0_sel:BYTE_0 src1_sel:DWORD
	s_mov_b64 s[2:3], -1
                                        ; implicit-def: $sgpr28
	s_and_saveexec_b64 s[22:23], s[50:51]
; %bb.524:                              ;   in Loop: Header=BB240_273 Depth=1
	s_mov_b32 s28, 0x7fc02000
	s_xor_b64 s[2:3], exec, -1
; %bb.525:                              ;   in Loop: Header=BB240_273 Depth=1
	s_or_b64 exec, exec, s[22:23]
	s_and_b64 s[2:3], s[2:3], exec
	s_or_saveexec_b64 s[20:21], s[20:21]
	v_mov_b32_e32 v15, s28
	s_xor_b64 exec, exec, s[20:21]
	s_cbranch_execz .LBB240_395
.LBB240_526:                            ;   in Loop: Header=BB240_273 Depth=1
	v_cmp_ne_u16_sdwa s[22:23], v17, v9 src0_sel:BYTE_0 src1_sel:DWORD
	s_andn2_b64 s[2:3], s[2:3], exec
	s_and_b64 s[22:23], s[22:23], exec
	v_mov_b32_e32 v15, 0
	s_or_b64 s[2:3], s[2:3], s[22:23]
	s_or_b64 exec, exec, s[20:21]
	v_mov_b32_e32 v8, v17
	s_and_saveexec_b64 s[20:21], s[2:3]
	s_cbranch_execnz .LBB240_396
	s_branch .LBB240_397
.LBB240_527:                            ;   in Loop: Header=BB240_273 Depth=1
	v_cmp_eq_u16_e64 s[2:3], s31, v8
	s_mov_b64 s[20:21], -1
                                        ; implicit-def: $sgpr45
	s_and_saveexec_b64 s[28:29], s[2:3]
; %bb.528:                              ;   in Loop: Header=BB240_273 Depth=1
	s_mov_b32 s45, 0x7fc02000
	s_xor_b64 s[20:21], exec, -1
; %bb.529:                              ;   in Loop: Header=BB240_273 Depth=1
	s_or_b64 exec, exec, s[28:29]
	s_and_b64 s[20:21], s[20:21], exec
	s_or_saveexec_b64 s[22:23], s[22:23]
	v_mov_b32_e32 v16, s45
	s_xor_b64 exec, exec, s[22:23]
	s_cbranch_execz .LBB240_399
.LBB240_530:                            ;   in Loop: Header=BB240_273 Depth=1
	v_cmp_ne_u16_e64 s[2:3], 0, v8
	s_andn2_b64 s[20:21], s[20:21], exec
	s_and_b64 s[2:3], s[2:3], exec
	v_mov_b32_e32 v16, 0
	s_or_b64 s[20:21], s[20:21], s[2:3]
	s_or_b64 exec, exec, s[22:23]
	s_and_saveexec_b64 s[22:23], s[20:21]
	s_cbranch_execnz .LBB240_400
	s_branch .LBB240_401
.LBB240_531:                            ;   in Loop: Header=BB240_273 Depth=1
	v_cmp_eq_u16_sdwa s[50:51], v8, s31 src0_sel:BYTE_0 src1_sel:DWORD
	s_mov_b64 s[2:3], -1
                                        ; implicit-def: $sgpr28
	s_and_saveexec_b64 s[22:23], s[50:51]
; %bb.532:                              ;   in Loop: Header=BB240_273 Depth=1
	s_mov_b32 s28, 0x7fc02000
	s_xor_b64 s[2:3], exec, -1
; %bb.533:                              ;   in Loop: Header=BB240_273 Depth=1
	s_or_b64 exec, exec, s[22:23]
	s_and_b64 s[2:3], s[2:3], exec
	s_or_saveexec_b64 s[20:21], s[20:21]
	v_mov_b32_e32 v22, s28
	s_xor_b64 exec, exec, s[20:21]
	s_cbranch_execz .LBB240_403
.LBB240_534:                            ;   in Loop: Header=BB240_273 Depth=1
	v_cmp_ne_u16_sdwa s[22:23], v8, v9 src0_sel:BYTE_0 src1_sel:DWORD
	s_andn2_b64 s[2:3], s[2:3], exec
	s_and_b64 s[22:23], s[22:23], exec
	v_mov_b32_e32 v22, 0
	s_or_b64 s[2:3], s[2:3], s[22:23]
	s_or_b64 exec, exec, s[20:21]
	s_and_saveexec_b64 s[20:21], s[2:3]
	s_cbranch_execnz .LBB240_404
	s_branch .LBB240_405
.LBB240_535:                            ;   in Loop: Header=BB240_273 Depth=1
	v_cmp_eq_u16_e64 s[2:3], s31, v8
	s_mov_b64 s[20:21], -1
                                        ; implicit-def: $sgpr45
	s_and_saveexec_b64 s[28:29], s[2:3]
; %bb.536:                              ;   in Loop: Header=BB240_273 Depth=1
	s_mov_b32 s45, 0x7fc02000
	s_xor_b64 s[20:21], exec, -1
; %bb.537:                              ;   in Loop: Header=BB240_273 Depth=1
	s_or_b64 exec, exec, s[28:29]
	s_and_b64 s[20:21], s[20:21], exec
	s_or_saveexec_b64 s[22:23], s[22:23]
	v_mov_b32_e32 v23, s45
	s_xor_b64 exec, exec, s[22:23]
	s_cbranch_execz .LBB240_407
.LBB240_538:                            ;   in Loop: Header=BB240_273 Depth=1
	v_cmp_ne_u16_e64 s[2:3], 0, v8
	s_andn2_b64 s[20:21], s[20:21], exec
	s_and_b64 s[2:3], s[2:3], exec
	v_mov_b32_e32 v23, 0
	s_or_b64 s[20:21], s[20:21], s[2:3]
	s_or_b64 exec, exec, s[22:23]
	s_and_saveexec_b64 s[22:23], s[20:21]
	s_cbranch_execnz .LBB240_408
	s_branch .LBB240_409
.LBB240_539:
	s_or_b64 exec, exec, s[12:13]
.LBB240_540:
	s_or_b64 exec, exec, s[8:9]
	ds_bpermute_b32 v6, v27, v2
	ds_bpermute_b32 v7, v27, v3
	;; [unrolled: 1-line block ×4, first 2 shown]
	v_and_b32_e32 v1, 0x3c0, v0
	v_cmp_eq_u32_e32 vcc, 64, v1
	s_waitcnt lgkmcnt(2)
	v_pk_add_f32 v[6:7], v[2:3], v[6:7]
	s_waitcnt lgkmcnt(0)
	v_pk_add_f32 v[2:3], v[4:5], v[8:9]
	s_barrier
	s_and_saveexec_b64 s[2:3], vcc
	s_cbranch_execz .LBB240_545
; %bb.541:
	v_cmp_eq_u32_e32 vcc, 0, v28
	s_and_saveexec_b64 s[0:1], vcc
	s_cbranch_execz .LBB240_543
; %bb.542:
	v_mov_b32_e32 v1, 0xf0
	v_lshl_add_u32 v1, v29, 2, v1
	ds_write2_b32 v1, v6, v7 offset1:32
	ds_write_b32 v1, v2 offset:256
.LBB240_543:
	s_or_b64 exec, exec, s[0:1]
	v_or_b32_e32 v1, 0x60, v29
	s_movk_i32 s0, 0x70
	v_cmp_gt_u32_e64 s[0:1], s0, v1
	s_and_b64 s[0:1], vcc, s[0:1]
	s_and_b64 exec, exec, s[0:1]
	s_cbranch_execz .LBB240_545
; %bb.544:
	v_mov_b32_e32 v1, 0xf0
	v_lshl_add_u32 v1, v29, 2, v1
	ds_write_b32 v1, v3 offset:384
.LBB240_545:
	s_or_b64 exec, exec, s[2:3]
	v_cmp_gt_u32_e32 vcc, 64, v0
	v_lshrrev_b32_e32 v0, 1, v0
	s_waitcnt lgkmcnt(0)
	s_barrier
	s_and_saveexec_b64 s[6:7], vcc
	s_cbranch_execz .LBB240_553
; %bb.546:
	v_cmp_eq_u32_e64 s[0:1], 0, v28
	s_and_saveexec_b64 s[2:3], s[0:1]
	s_cbranch_execnz .LBB240_559
; %bb.547:
	s_or_b64 exec, exec, s[2:3]
	s_and_saveexec_b64 s[2:3], s[0:1]
	s_cbranch_execnz .LBB240_560
.LBB240_548:
	s_or_b64 exec, exec, s[2:3]
	s_and_saveexec_b64 s[2:3], s[0:1]
	s_cbranch_execz .LBB240_550
.LBB240_549:
	v_mov_b32_e32 v1, 0xf0
	v_lshl_add_u32 v1, v0, 2, v1
	ds_read_b32 v1, v1 offset:256
	s_waitcnt lgkmcnt(0)
	v_add_f32_e32 v2, v2, v1
.LBB240_550:
	s_or_b64 exec, exec, s[2:3]
	v_or_b32_e32 v1, 0x60, v0
	s_movk_i32 s2, 0x70
	v_cmp_gt_u32_e64 s[2:3], s2, v1
	s_and_b64 s[2:3], s[0:1], s[2:3]
	s_and_saveexec_b64 s[0:1], s[2:3]
	s_cbranch_execz .LBB240_552
; %bb.551:
	v_mov_b32_e32 v1, 0xf0
	v_lshl_add_u32 v1, v0, 2, v1
	ds_read_b32 v1, v1 offset:384
	s_waitcnt lgkmcnt(0)
	v_add_f32_e32 v3, v3, v1
.LBB240_552:
	s_or_b64 exec, exec, s[0:1]
.LBB240_553:
	s_or_b64 exec, exec, s[6:7]
	s_barrier
	s_and_saveexec_b64 s[0:1], vcc
	s_cbranch_execz .LBB240_558
; %bb.554:
	s_mul_i32 s0, s10, s11
	s_mul_i32 s0, s0, s5
	s_mulk_i32 s0, 0x70
	s_ashr_i32 s1, s0, 31
	s_lshl_b64 s[0:1], s[0:1], 1
	s_add_u32 s2, s26, s0
	s_mul_i32 s0, s11, s24
	s_addc_u32 s3, s27, s1
	s_ashr_i32 s1, s0, 31
	s_lshl_b64 s[0:1], s[0:1], 1
	s_add_u32 s2, s2, s0
	s_mul_i32 s0, s4, 0x70
	s_addc_u32 s3, s3, s1
	s_ashr_i32 s1, s0, 31
	s_lshl_b64 s[0:1], s[0:1], 1
	s_add_u32 s2, s2, s0
	s_movk_i32 s5, 0x70
	s_addc_u32 s3, s3, s1
	v_cmp_eq_u32_e32 vcc, 0, v28
	v_lshlrev_b32_e32 v1, 1, v0
	s_and_saveexec_b64 s[0:1], vcc
	s_cbranch_execz .LBB240_556
; %bb.555:
	;;#ASMSTART
	v_cvt_f16_f32 v4, v6;

	;;#ASMEND
	global_store_short v1, v4, s[2:3]
	;;#ASMSTART
	v_cvt_f16_f32 v4, v7;

	;;#ASMEND
	global_store_short v1, v4, s[2:3] offset:64
	;;#ASMSTART
	v_cvt_f16_f32 v2, v2;

	;;#ASMEND
	global_store_short v1, v2, s[2:3] offset:128
.LBB240_556:
	s_or_b64 exec, exec, s[0:1]
	v_or_b32_e32 v0, 0x60, v0
	v_cmp_gt_u32_e64 s[0:1], s5, v0
	s_and_b64 s[0:1], vcc, s[0:1]
	s_and_b64 exec, exec, s[0:1]
	s_cbranch_execz .LBB240_558
; %bb.557:
	;;#ASMSTART
	v_cvt_f16_f32 v0, v3;

	;;#ASMEND
	global_store_short v1, v0, s[2:3] offset:192
.LBB240_558:
	s_endpgm
.LBB240_559:
	v_mov_b32_e32 v1, 0xf0
	v_lshl_add_u32 v1, v0, 2, v1
	ds_read_b32 v1, v1
	s_waitcnt lgkmcnt(0)
	v_add_f32_e32 v6, v6, v1
	s_or_b64 exec, exec, s[2:3]
	s_and_saveexec_b64 s[2:3], s[0:1]
	s_cbranch_execz .LBB240_548
.LBB240_560:
	v_mov_b32_e32 v1, 0xf0
	v_lshl_add_u32 v1, v0, 2, v1
	ds_read_b32 v1, v1 offset:128
	s_waitcnt lgkmcnt(0)
	v_add_f32_e32 v7, v7, v1
	s_or_b64 exec, exec, s[2:3]
	s_and_saveexec_b64 s[2:3], s[0:1]
	s_cbranch_execnz .LBB240_549
	s_branch .LBB240_550
	.section	.rodata,"a",@progbits
	.p2align	6, 0x0
	.amdhsa_kernel _ZN4vllm25paged_attention_v1_kernelIthLi112ELi16ELi128ELNS_18Fp8KVCacheDataTypeE1ELb1EEEvPT_PKS2_PKT0_S8_ifPKiSA_iPKfiiiSC_SC_iiiii
		.amdhsa_group_segment_fixed_size 240
		.amdhsa_private_segment_fixed_size 0
		.amdhsa_kernarg_size 384
		.amdhsa_user_sgpr_count 2
		.amdhsa_user_sgpr_dispatch_ptr 0
		.amdhsa_user_sgpr_queue_ptr 0
		.amdhsa_user_sgpr_kernarg_segment_ptr 1
		.amdhsa_user_sgpr_dispatch_id 0
		.amdhsa_user_sgpr_kernarg_preload_length 0
		.amdhsa_user_sgpr_kernarg_preload_offset 0
		.amdhsa_user_sgpr_private_segment_size 0
		.amdhsa_uses_dynamic_stack 0
		.amdhsa_enable_private_segment 0
		.amdhsa_system_sgpr_workgroup_id_x 1
		.amdhsa_system_sgpr_workgroup_id_y 1
		.amdhsa_system_sgpr_workgroup_id_z 1
		.amdhsa_system_sgpr_workgroup_info 0
		.amdhsa_system_vgpr_workitem_id 0
		.amdhsa_next_free_vgpr 67
		.amdhsa_next_free_sgpr 58
		.amdhsa_accum_offset 68
		.amdhsa_reserve_vcc 1
		.amdhsa_float_round_mode_32 0
		.amdhsa_float_round_mode_16_64 0
		.amdhsa_float_denorm_mode_32 3
		.amdhsa_float_denorm_mode_16_64 3
		.amdhsa_dx10_clamp 1
		.amdhsa_ieee_mode 1
		.amdhsa_fp16_overflow 0
		.amdhsa_tg_split 0
		.amdhsa_exception_fp_ieee_invalid_op 0
		.amdhsa_exception_fp_denorm_src 0
		.amdhsa_exception_fp_ieee_div_zero 0
		.amdhsa_exception_fp_ieee_overflow 0
		.amdhsa_exception_fp_ieee_underflow 0
		.amdhsa_exception_fp_ieee_inexact 0
		.amdhsa_exception_int_div_zero 0
	.end_amdhsa_kernel
	.section	.text._ZN4vllm25paged_attention_v1_kernelIthLi112ELi16ELi128ELNS_18Fp8KVCacheDataTypeE1ELb1EEEvPT_PKS2_PKT0_S8_ifPKiSA_iPKfiiiSC_SC_iiiii,"axG",@progbits,_ZN4vllm25paged_attention_v1_kernelIthLi112ELi16ELi128ELNS_18Fp8KVCacheDataTypeE1ELb1EEEvPT_PKS2_PKT0_S8_ifPKiSA_iPKfiiiSC_SC_iiiii,comdat
.Lfunc_end240:
	.size	_ZN4vllm25paged_attention_v1_kernelIthLi112ELi16ELi128ELNS_18Fp8KVCacheDataTypeE1ELb1EEEvPT_PKS2_PKT0_S8_ifPKiSA_iPKfiiiSC_SC_iiiii, .Lfunc_end240-_ZN4vllm25paged_attention_v1_kernelIthLi112ELi16ELi128ELNS_18Fp8KVCacheDataTypeE1ELb1EEEvPT_PKS2_PKT0_S8_ifPKiSA_iPKfiiiSC_SC_iiiii
                                        ; -- End function
	.section	.AMDGPU.csdata,"",@progbits
; Kernel info:
; codeLenInByte = 22988
; NumSgprs: 64
; NumVgprs: 67
; NumAgprs: 0
; TotalNumVgprs: 67
; ScratchSize: 0
; MemoryBound: 0
; FloatMode: 240
; IeeeMode: 1
; LDSByteSize: 240 bytes/workgroup (compile time only)
; SGPRBlocks: 7
; VGPRBlocks: 8
; NumSGPRsForWavesPerEU: 64
; NumVGPRsForWavesPerEU: 67
; AccumOffset: 68
; Occupancy: 7
; WaveLimiterHint : 1
; COMPUTE_PGM_RSRC2:SCRATCH_EN: 0
; COMPUTE_PGM_RSRC2:USER_SGPR: 2
; COMPUTE_PGM_RSRC2:TRAP_HANDLER: 0
; COMPUTE_PGM_RSRC2:TGID_X_EN: 1
; COMPUTE_PGM_RSRC2:TGID_Y_EN: 1
; COMPUTE_PGM_RSRC2:TGID_Z_EN: 1
; COMPUTE_PGM_RSRC2:TIDIG_COMP_CNT: 0
; COMPUTE_PGM_RSRC3_GFX90A:ACCUM_OFFSET: 16
; COMPUTE_PGM_RSRC3_GFX90A:TG_SPLIT: 0
	.section	.text._ZN4vllm25paged_attention_v1_kernelIthLi120ELi16ELi128ELNS_18Fp8KVCacheDataTypeE1ELb1EEEvPT_PKS2_PKT0_S8_ifPKiSA_iPKfiiiSC_SC_iiiii,"axG",@progbits,_ZN4vllm25paged_attention_v1_kernelIthLi120ELi16ELi128ELNS_18Fp8KVCacheDataTypeE1ELb1EEEvPT_PKS2_PKT0_S8_ifPKiSA_iPKfiiiSC_SC_iiiii,comdat
	.protected	_ZN4vllm25paged_attention_v1_kernelIthLi120ELi16ELi128ELNS_18Fp8KVCacheDataTypeE1ELb1EEEvPT_PKS2_PKT0_S8_ifPKiSA_iPKfiiiSC_SC_iiiii ; -- Begin function _ZN4vllm25paged_attention_v1_kernelIthLi120ELi16ELi128ELNS_18Fp8KVCacheDataTypeE1ELb1EEEvPT_PKS2_PKT0_S8_ifPKiSA_iPKfiiiSC_SC_iiiii
	.globl	_ZN4vllm25paged_attention_v1_kernelIthLi120ELi16ELi128ELNS_18Fp8KVCacheDataTypeE1ELb1EEEvPT_PKS2_PKT0_S8_ifPKiSA_iPKfiiiSC_SC_iiiii
	.p2align	8
	.type	_ZN4vllm25paged_attention_v1_kernelIthLi120ELi16ELi128ELNS_18Fp8KVCacheDataTypeE1ELb1EEEvPT_PKS2_PKT0_S8_ifPKiSA_iPKfiiiSC_SC_iiiii,@function
_ZN4vllm25paged_attention_v1_kernelIthLi120ELi16ELi128ELNS_18Fp8KVCacheDataTypeE1ELb1EEEvPT_PKS2_PKT0_S8_ifPKiSA_iPKfiiiSC_SC_iiiii: ; @_ZN4vllm25paged_attention_v1_kernelIthLi120ELi16ELi128ELNS_18Fp8KVCacheDataTypeE1ELb1EEEvPT_PKS2_PKT0_S8_ifPKiSA_iPKfiiiSC_SC_iiiii
; %bb.0:
	s_load_dword s5, s[0:1], 0x80
	s_load_dwordx2 s[6:7], s[0:1], 0x30
	s_load_dwordx2 s[36:37], s[0:1], 0x20
	s_mov_b32 s10, s3
	s_ashr_i32 s11, s3, 31
	s_lshl_b64 s[8:9], s[10:11], 2
	s_waitcnt lgkmcnt(0)
	s_add_u32 s6, s6, s8
	s_addc_u32 s7, s7, s9
	s_abs_i32 s3, s36
	v_cvt_f32_u32_e32 v1, s3
	s_sub_i32 s11, 0, s3
	s_abs_i32 s9, s5
	s_xor_b32 s8, s5, s36
	v_rcp_iflag_f32_e32 v1, v1
	s_ashr_i32 s8, s8, 31
	s_mov_b32 s49, 0
	v_mul_f32_e32 v1, 0x4f7ffffe, v1
	v_cvt_u32_f32_e32 v1, v1
	s_nop 0
	v_readfirstlane_b32 s12, v1
	s_mul_i32 s11, s11, s12
	s_mul_hi_u32 s11, s12, s11
	s_add_i32 s12, s12, s11
	s_mul_hi_u32 s11, s9, s12
	s_mul_i32 s12, s11, s3
	s_sub_i32 s9, s9, s12
	s_add_i32 s12, s11, 1
	s_sub_i32 s13, s9, s3
	s_cmp_ge_u32 s9, s3
	s_cselect_b32 s11, s12, s11
	s_cselect_b32 s9, s13, s9
	s_add_i32 s12, s11, 1
	s_cmp_ge_u32 s9, s3
	s_cselect_b32 s3, s12, s11
	s_xor_b32 s3, s3, s8
	s_sub_i32 s14, s3, s8
	s_abs_i32 s11, s14
	v_cvt_f32_u32_e32 v1, s11
	s_load_dwordx2 s[8:9], s[0:1], 0x40
	s_sub_i32 s3, 0, s11
	s_abs_i32 s12, s2
	v_rcp_iflag_f32_e32 v1, v1
	s_nop 0
	v_mul_f32_e32 v1, 0x4f7ffffe, v1
	v_cvt_u32_f32_e32 v1, v1
	s_nop 0
	v_readfirstlane_b32 s13, v1
	s_mul_i32 s3, s3, s13
	s_mul_hi_u32 s3, s13, s3
	s_add_i32 s13, s13, s3
	s_waitcnt lgkmcnt(0)
	s_cmp_eq_u64 s[8:9], 0
	s_mul_hi_u32 s13, s12, s13
	s_cbranch_scc1 .LBB241_2
; %bb.1:
	s_ashr_i32 s3, s2, 31
	s_lshl_b64 s[16:17], s[2:3], 2
	s_add_u32 s8, s8, s16
	s_addc_u32 s9, s9, s17
	s_load_dword s49, s[8:9], 0x0
.LBB241_2:
	s_load_dword s33, s[6:7], 0x0
	s_load_dwordx4 s[16:19], s[0:1], 0x48
	s_ashr_i32 s3, s2, 31
	s_ashr_i32 s9, s14, 31
	v_and_b32_e32 v7, 3, v0
	s_mul_i32 s24, s2, 0x78
	v_cmp_gt_u32_e32 vcc, 60, v0
	s_and_saveexec_b64 s[6:7], vcc
	s_cbranch_execz .LBB241_4
; %bb.3:
	s_load_dwordx2 s[14:15], s[0:1], 0x8
	s_waitcnt lgkmcnt(0)
	s_mul_i32 s20, s10, s16
	s_ashr_i32 s21, s20, 31
	s_lshl_b64 s[20:21], s[20:21], 1
	v_lshlrev_b32_e32 v1, 2, v0
	s_add_u32 s8, s14, s20
	s_addc_u32 s16, s15, s21
	s_ashr_i32 s25, s24, 31
	s_lshl_b64 s[14:15], s[24:25], 1
	s_add_u32 s14, s8, s14
	s_addc_u32 s15, s16, s15
	global_load_dword v1, v1, s[14:15]
	v_and_b32_e32 v2, 0x3fc, v0
	v_mad_u32_u24 v2, v7, 60, v2
	s_waitcnt vmcnt(0)
	ds_write_b32 v2, v1
.LBB241_4:
	s_or_b64 exec, exec, s[6:7]
	s_mul_i32 s6, s13, s11
	s_sub_i32 s6, s12, s6
	s_xor_b32 s3, s3, s9
	s_add_i32 s7, s13, 1
	s_sub_i32 s9, s6, s11
	s_load_dwordx4 s[20:23], s[0:1], 0x68
	s_load_dword s8, s[0:1], 0x78
	s_cmp_ge_u32 s6, s11
	s_cselect_b32 s7, s7, s13
	s_cselect_b32 s6, s9, s6
	s_add_i32 s9, s7, 1
	s_cmp_ge_u32 s6, s11
	s_cselect_b32 s6, s9, s7
	s_waitcnt lgkmcnt(0)
	s_abs_i32 s25, s23
	v_cvt_f32_u32_e32 v1, s25
	s_xor_b32 s6, s6, s3
	s_sub_i32 s3, s6, s3
	s_sub_i32 s6, 0, s25
	v_rcp_iflag_f32_e32 v1, v1
	s_add_i32 s11, s33, -1
	s_abs_i32 s9, s11
	v_mul_f32_e32 v1, 0x4f7ffffe, v1
	v_cvt_u32_f32_e32 v1, v1
	s_barrier
	v_readfirstlane_b32 s46, v1
	s_mul_i32 s6, s6, s46
	s_mul_hi_u32 s6, s46, s6
	s_add_i32 s46, s46, s6
	s_cmp_lt_i32 s8, 0
	s_mul_hi_u32 s16, s9, s46
	s_cbranch_scc0 .LBB241_6
; %bb.5:
	s_mul_i32 s6, s20, s36
	s_add_i32 s6, s3, s6
	s_mul_i32 s6, s6, s8
	s_sub_i32 s36, 1, s6
	s_mov_b64 s[6:7], 0
	s_branch .LBB241_7
.LBB241_6:
	s_mov_b64 s[6:7], -1
                                        ; implicit-def: $sgpr36
.LBB241_7:
	s_load_dwordx2 s[28:29], s[0:1], 0x28
	s_ashr_i32 s19, s11, 31
	s_andn2_b64 vcc, exec, s[6:7]
	s_ashr_i32 s47, s23, 31
	s_cbranch_vccnz .LBB241_9
; %bb.8:
	s_mul_i32 s6, s5, s20
	s_add_i32 s2, s6, s2
	s_mul_i32 s2, s2, s8
	s_add_i32 s36, s2, 1
.LBB241_9:
	s_load_dword s2, s[0:1], 0x38
	s_load_dwordx2 s[26:27], s[0:1], 0x0
	s_load_dwordx2 s[34:35], s[0:1], 0x18
	s_load_dword s11, s[0:1], 0x88
	s_load_dwordx4 s[12:15], s[0:1], 0x58
	s_mul_i32 s6, s16, s25
	s_waitcnt lgkmcnt(0)
	s_mul_i32 s30, s10, s2
	s_sub_i32 s6, s9, s6
	s_ashr_i32 s31, s30, 31
	s_xor_b32 s2, s19, s47
	s_add_i32 s7, s16, 1
	s_sub_i32 s8, s6, s25
	s_cmp_ge_u32 s6, s25
	s_cselect_b32 s7, s7, s16
	s_cselect_b32 s6, s8, s6
	s_add_i32 s8, s7, 1
	s_cmp_ge_u32 s6, s25
	s_cselect_b32 s6, s8, s7
	s_xor_b32 s6, s6, s2
	s_sub_i32 s16, s6, s2
	s_add_i32 s2, s33, 15
	s_ashr_i32 s6, s2, 31
	s_lshr_b32 s6, s6, 28
	s_add_i32 s2, s2, s6
	s_ashr_i32 s48, s2, 4
	v_lshrrev_b32_e32 v1, 6, v0
	v_cmp_gt_i32_e64 s[6:7], s48, v1
	v_mov_b32_e32 v16, 0xff7fffff
	s_mul_i32 s20, s3, s18
	v_lshrrev_b32_e32 v12, 4, v0
	v_lshlrev_b32_e32 v26, 4, v1
	v_mbcnt_lo_u32_b32 v13, -1, 0
	s_and_saveexec_b64 s[18:19], s[6:7]
	s_cbranch_execz .LBB241_259
; %bb.10:
	s_load_dwordx2 s[0:1], s[0:1], 0x10
	s_sub_i32 s23, s16, s21
	s_ashr_i32 s2, s20, 31
	v_bfe_u32 v14, v0, 2, 4
	v_lshlrev_b32_e32 v2, 4, v14
	s_waitcnt lgkmcnt(0)
	s_add_u32 s0, s0, s20
	s_addc_u32 s1, s1, s2
	s_abs_i32 s50, s22
	v_cvt_f32_u32_e32 v4, s50
	v_mov_b32_e32 v3, 0
	v_cmp_eq_u32_e32 vcc, 0, v7
	s_mov_b32 s51, s17
	v_rcp_iflag_f32_e32 v8, v4
	v_lshl_add_u64 v[4:5], s[0:1], 0, v[2:3]
	s_sub_i32 s0, 0, s50
	v_lshlrev_b32_e32 v6, 1, v7
	v_mul_f32_e32 v2, 0x4f7ffffe, v8
	v_cvt_u32_f32_e32 v2, v2
	v_mul_u32_u24_e32 v15, 60, v7
	v_cmp_neq_f32_e64 s[2:3], s49, 0
	v_mov_b32_e32 v7, v3
	v_mul_lo_u32 v8, s0, v2
	s_lshl_b64 s[0:1], s[30:31], 2
	v_mul_hi_u32 v8, v2, v8
	s_add_u32 s0, s28, s0
	v_add_u32_e32 v17, v2, v8
	v_and_b32_e32 v2, 60, v12
	s_addc_u32 s1, s29, s1
	v_lshl_add_u64 v[8:9], s[0:1], 0, v[2:3]
	v_lshlrev_b32_e32 v2, 2, v14
	v_lshl_or_b32 v2, v1, 6, v2
	v_add_u32_e32 v19, 0x100, v2
	v_subrev_u32_e32 v2, s33, v14
	v_lshlrev_b32_e32 v18, 4, v1
	v_add_u32_e32 v20, 1, v2
	s_mov_b64 s[38:39], 0
	v_mov_b32_e32 v21, 0xff7fffff
	s_movk_i32 s52, 0x7f
	s_movk_i32 s53, 0x80
	s_mov_b32 s54, 0x8000
	v_mov_b32_e32 v22, 0x1c00
	v_mbcnt_hi_u32_b32 v23, -1, v13
	v_mov_b32_e32 v16, 0xff7fffff
	v_mov_b32_e32 v24, v1
	s_branch .LBB241_13
.LBB241_11:                             ;   in Loop: Header=BB241_13 Depth=1
	s_or_b64 exec, exec, s[40:41]
.LBB241_12:                             ;   in Loop: Header=BB241_13 Depth=1
	s_or_b64 exec, exec, s[8:9]
	v_add_u32_e32 v24, 2, v24
	v_cmp_le_i32_e64 s[0:1], s48, v24
	v_lshl_add_u64 v[8:9], v[8:9], 0, 8
	v_add_u32_e32 v18, 32, v18
	s_or_b64 s[38:39], s[0:1], s[38:39]
	v_add_u32_e32 v19, 0x80, v19
	s_andn2_b64 exec, exec, s[38:39]
	s_cbranch_execz .LBB241_258
.LBB241_13:                             ; =>This Inner Loop Header: Depth=1
	v_mul_hi_u32 v2, v18, s46
	s_waitcnt lgkmcnt(0)
	v_mul_lo_u32 v10, v2, s25
	v_sub_u32_e32 v10, v18, v10
	v_add_u32_e32 v11, 1, v2
	v_cmp_le_u32_e64 s[0:1], s25, v10
	s_nop 1
	v_cndmask_b32_e64 v2, v2, v11, s[0:1]
	v_subrev_u32_e32 v11, s25, v10
	v_cndmask_b32_e64 v10, v10, v11, s[0:1]
	v_add_u32_e32 v11, 1, v2
	v_cmp_le_u32_e64 s[0:1], s25, v10
	s_nop 1
	v_cndmask_b32_e64 v2, v2, v11, s[0:1]
	v_xor_b32_e32 v2, s47, v2
	v_subrev_u32_e32 v2, s47, v2
	v_add_u32_e32 v10, s36, v2
	v_sub_u32_e32 v25, 0, v10
	v_ashrrev_i32_e32 v11, 31, v10
	v_max_i32_e32 v10, v10, v25
	v_mul_hi_u32 v25, v10, v17
	v_mul_lo_u32 v25, v25, s50
	v_sub_u32_e32 v10, v10, v25
	v_subrev_u32_e32 v25, s50, v10
	v_cmp_le_u32_e64 s[0:1], s50, v10
	v_cmp_ge_i32_e64 s[8:9], s23, v2
	s_nop 0
	v_cndmask_b32_e64 v10, v10, v25, s[0:1]
	v_subrev_u32_e32 v25, s50, v10
	v_cmp_le_u32_e64 s[0:1], s50, v10
	s_nop 1
	v_cndmask_b32_e64 v10, v10, v25, s[0:1]
	v_xor_b32_e32 v10, v10, v11
	v_sub_u32_e32 v10, v10, v11
	v_cmp_ne_u32_e64 s[0:1], 0, v10
	s_and_b64 s[0:1], s[0:1], s[8:9]
	s_and_b64 s[40:41], vcc, s[0:1]
	s_and_saveexec_b64 s[8:9], s[40:41]
	s_cbranch_execz .LBB241_15
; %bb.14:                               ;   in Loop: Header=BB241_13 Depth=1
	ds_write_b32 v19, v21
.LBB241_15:                             ;   in Loop: Header=BB241_13 Depth=1
	s_or_b64 exec, exec, s[8:9]
	s_xor_b64 s[0:1], s[0:1], -1
	s_and_saveexec_b64 s[8:9], s[0:1]
	s_cbranch_execz .LBB241_12
; %bb.16:                               ;   in Loop: Header=BB241_13 Depth=1
	global_load_dword v2, v[8:9], off
                                        ; implicit-def: $sgpr44
	s_waitcnt vmcnt(0)
	v_mad_i64_i32 v[10:11], s[0:1], v2, s51, v[4:5]
	v_lshl_add_u64 v[10:11], v[10:11], 0, v[6:7]
	global_load_ushort v2, v[10:11], off
	global_load_dword v25, v3, s[12:13]
	s_mov_b64 s[0:1], 0
	s_waitcnt vmcnt(1)
	v_cmp_gt_i16_sdwa s[40:41], v2, s52 src0_sel:BYTE_0 src1_sel:DWORD
	s_and_saveexec_b64 s[42:43], s[40:41]
	s_xor_b64 s[40:41], exec, s[42:43]
	s_cbranch_execnz .LBB241_138
; %bb.17:                               ;   in Loop: Header=BB241_13 Depth=1
	s_or_saveexec_b64 s[40:41], s[40:41]
	v_mov_b32_e32 v27, s44
	s_xor_b64 exec, exec, s[40:41]
	s_cbranch_execnz .LBB241_141
.LBB241_18:                             ;   in Loop: Header=BB241_13 Depth=1
	s_or_b64 exec, exec, s[40:41]
	v_and_b32_e32 v2, 0xffff, v2
	s_and_saveexec_b64 s[40:41], s[0:1]
	s_cbranch_execz .LBB241_20
.LBB241_19:                             ;   in Loop: Header=BB241_13 Depth=1
	v_and_b32_e32 v27, 7, v2
	v_ffbh_u32_e32 v28, v27
	v_min_u32_e32 v31, 32, v28
	v_subrev_u32_e32 v28, 28, v31
	v_bfe_u32 v30, v2, 3, 4
	v_lshlrev_b64 v[28:29], v28, v[2:3]
	v_sub_u32_e32 v29, 29, v31
	v_cmp_eq_u32_e64 s[0:1], 0, v30
	v_and_b32_e32 v28, 7, v28
	s_nop 0
	v_cndmask_b32_e64 v29, v30, v29, s[0:1]
	v_cndmask_b32_e64 v27, v27, v28, s[0:1]
	v_lshlrev_b32_e32 v28, 8, v2
	v_lshl_add_u32 v29, v29, 10, v22
	v_and_or_b32 v28, v28, s54, v29
	v_lshl_or_b32 v27, v27, 7, v28
	v_cvt_f32_f16_e32 v27, v27
.LBB241_20:                             ;   in Loop: Header=BB241_13 Depth=1
	s_or_b64 exec, exec, s[40:41]
	v_lshrrev_b16_e32 v2, 8, v2
	v_cmp_lt_i16_e64 s[0:1], s52, v2
	s_mov_b64 s[40:41], 0
                                        ; implicit-def: $sgpr55
	s_and_saveexec_b64 s[42:43], s[0:1]
	s_xor_b64 s[42:43], exec, s[42:43]
	s_cbranch_execnz .LBB241_142
; %bb.21:                               ;   in Loop: Header=BB241_13 Depth=1
	s_or_saveexec_b64 s[42:43], s[42:43]
	v_mov_b32_e32 v28, s55
	s_xor_b64 exec, exec, s[42:43]
	s_cbranch_execnz .LBB241_145
.LBB241_22:                             ;   in Loop: Header=BB241_13 Depth=1
	s_or_b64 exec, exec, s[42:43]
	s_and_saveexec_b64 s[42:43], s[40:41]
	s_cbranch_execz .LBB241_24
.LBB241_23:                             ;   in Loop: Header=BB241_13 Depth=1
	v_and_b32_e32 v30, 7, v2
	v_ffbh_u32_e32 v28, v30
	v_min_u32_e32 v32, 32, v28
	v_subrev_u32_e32 v28, 28, v32
	v_bfe_u32 v31, v2, 3, 4
	v_lshlrev_b64 v[28:29], v28, v[2:3]
	v_sub_u32_e32 v29, 29, v32
	v_cmp_eq_u32_e64 s[0:1], 0, v31
	v_and_b32_e32 v28, 7, v28
	v_lshlrev_b32_e32 v2, 8, v2
	v_cndmask_b32_e64 v29, v31, v29, s[0:1]
	v_lshl_add_u32 v29, v29, 10, v22
	v_cndmask_b32_e64 v28, v30, v28, s[0:1]
	v_and_or_b32 v2, v2, s54, v29
	v_lshl_or_b32 v2, v28, 7, v2
	v_cvt_f32_f16_e32 v28, v2
.LBB241_24:                             ;   in Loop: Header=BB241_13 Depth=1
	s_or_b64 exec, exec, s[42:43]
	global_load_ushort v2, v[10:11], off offset:8
	s_mov_b64 s[0:1], 0
                                        ; implicit-def: $sgpr44
	s_waitcnt vmcnt(0)
	v_cmp_gt_i16_sdwa s[40:41], v2, s52 src0_sel:BYTE_0 src1_sel:DWORD
	s_and_saveexec_b64 s[42:43], s[40:41]
	s_xor_b64 s[40:41], exec, s[42:43]
	s_cbranch_execnz .LBB241_146
; %bb.25:                               ;   in Loop: Header=BB241_13 Depth=1
	s_or_saveexec_b64 s[40:41], s[40:41]
	v_mov_b32_e32 v29, s44
	s_xor_b64 exec, exec, s[40:41]
	s_cbranch_execnz .LBB241_149
.LBB241_26:                             ;   in Loop: Header=BB241_13 Depth=1
	s_or_b64 exec, exec, s[40:41]
	v_and_b32_e32 v2, 0xffff, v2
	s_and_saveexec_b64 s[40:41], s[0:1]
	s_cbranch_execz .LBB241_28
.LBB241_27:                             ;   in Loop: Header=BB241_13 Depth=1
	v_and_b32_e32 v29, 7, v2
	v_ffbh_u32_e32 v30, v29
	v_min_u32_e32 v33, 32, v30
	v_subrev_u32_e32 v30, 28, v33
	v_bfe_u32 v32, v2, 3, 4
	v_lshlrev_b64 v[30:31], v30, v[2:3]
	v_sub_u32_e32 v31, 29, v33
	v_cmp_eq_u32_e64 s[0:1], 0, v32
	v_and_b32_e32 v30, 7, v30
	s_nop 0
	v_cndmask_b32_e64 v31, v32, v31, s[0:1]
	v_cndmask_b32_e64 v29, v29, v30, s[0:1]
	v_lshlrev_b32_e32 v30, 8, v2
	v_lshl_add_u32 v31, v31, 10, v22
	v_and_or_b32 v30, v30, s54, v31
	v_lshl_or_b32 v29, v29, 7, v30
	v_cvt_f32_f16_e32 v29, v29
.LBB241_28:                             ;   in Loop: Header=BB241_13 Depth=1
	s_or_b64 exec, exec, s[40:41]
	v_lshrrev_b16_e32 v2, 8, v2
	v_cmp_lt_i16_e64 s[0:1], s52, v2
	s_mov_b64 s[40:41], 0
                                        ; implicit-def: $sgpr55
	s_and_saveexec_b64 s[42:43], s[0:1]
	s_xor_b64 s[42:43], exec, s[42:43]
	s_cbranch_execnz .LBB241_150
; %bb.29:                               ;   in Loop: Header=BB241_13 Depth=1
	s_or_saveexec_b64 s[42:43], s[42:43]
	v_mov_b32_e32 v30, s55
	s_xor_b64 exec, exec, s[42:43]
	s_cbranch_execnz .LBB241_153
.LBB241_30:                             ;   in Loop: Header=BB241_13 Depth=1
	s_or_b64 exec, exec, s[42:43]
	s_and_saveexec_b64 s[42:43], s[40:41]
	s_cbranch_execz .LBB241_32
.LBB241_31:                             ;   in Loop: Header=BB241_13 Depth=1
	v_and_b32_e32 v32, 7, v2
	v_ffbh_u32_e32 v30, v32
	v_min_u32_e32 v34, 32, v30
	v_subrev_u32_e32 v30, 28, v34
	v_bfe_u32 v33, v2, 3, 4
	v_lshlrev_b64 v[30:31], v30, v[2:3]
	v_sub_u32_e32 v31, 29, v34
	v_cmp_eq_u32_e64 s[0:1], 0, v33
	v_and_b32_e32 v30, 7, v30
	v_lshlrev_b32_e32 v2, 8, v2
	v_cndmask_b32_e64 v31, v33, v31, s[0:1]
	v_lshl_add_u32 v31, v31, 10, v22
	v_cndmask_b32_e64 v30, v32, v30, s[0:1]
	v_and_or_b32 v2, v2, s54, v31
	v_lshl_or_b32 v2, v30, 7, v2
	v_cvt_f32_f16_e32 v30, v2
.LBB241_32:                             ;   in Loop: Header=BB241_13 Depth=1
	s_or_b64 exec, exec, s[42:43]
	global_load_ushort v2, v[10:11], off offset:256
	s_mov_b64 s[0:1], 0
                                        ; implicit-def: $sgpr44
	s_waitcnt vmcnt(0)
	v_cmp_gt_i16_sdwa s[40:41], v2, s52 src0_sel:BYTE_0 src1_sel:DWORD
	s_and_saveexec_b64 s[42:43], s[40:41]
	s_xor_b64 s[40:41], exec, s[42:43]
	s_cbranch_execnz .LBB241_154
; %bb.33:                               ;   in Loop: Header=BB241_13 Depth=1
	s_or_saveexec_b64 s[40:41], s[40:41]
	v_mov_b32_e32 v31, s44
	s_xor_b64 exec, exec, s[40:41]
	s_cbranch_execnz .LBB241_157
.LBB241_34:                             ;   in Loop: Header=BB241_13 Depth=1
	s_or_b64 exec, exec, s[40:41]
	v_and_b32_e32 v2, 0xffff, v2
	s_and_saveexec_b64 s[40:41], s[0:1]
	s_cbranch_execz .LBB241_36
.LBB241_35:                             ;   in Loop: Header=BB241_13 Depth=1
	v_and_b32_e32 v31, 7, v2
	v_ffbh_u32_e32 v32, v31
	v_min_u32_e32 v35, 32, v32
	v_subrev_u32_e32 v32, 28, v35
	v_bfe_u32 v34, v2, 3, 4
	v_lshlrev_b64 v[32:33], v32, v[2:3]
	v_sub_u32_e32 v33, 29, v35
	v_cmp_eq_u32_e64 s[0:1], 0, v34
	v_and_b32_e32 v32, 7, v32
	s_nop 0
	v_cndmask_b32_e64 v33, v34, v33, s[0:1]
	v_cndmask_b32_e64 v31, v31, v32, s[0:1]
	v_lshlrev_b32_e32 v32, 8, v2
	v_lshl_add_u32 v33, v33, 10, v22
	v_and_or_b32 v32, v32, s54, v33
	v_lshl_or_b32 v31, v31, 7, v32
	v_cvt_f32_f16_e32 v31, v31
.LBB241_36:                             ;   in Loop: Header=BB241_13 Depth=1
	s_or_b64 exec, exec, s[40:41]
	v_lshrrev_b16_e32 v2, 8, v2
	v_cmp_lt_i16_e64 s[0:1], s52, v2
	s_mov_b64 s[40:41], 0
                                        ; implicit-def: $sgpr55
	s_and_saveexec_b64 s[42:43], s[0:1]
	s_xor_b64 s[42:43], exec, s[42:43]
	s_cbranch_execnz .LBB241_158
; %bb.37:                               ;   in Loop: Header=BB241_13 Depth=1
	s_or_saveexec_b64 s[42:43], s[42:43]
	v_mov_b32_e32 v32, s55
	s_xor_b64 exec, exec, s[42:43]
	s_cbranch_execnz .LBB241_161
.LBB241_38:                             ;   in Loop: Header=BB241_13 Depth=1
	s_or_b64 exec, exec, s[42:43]
	s_and_saveexec_b64 s[42:43], s[40:41]
	s_cbranch_execz .LBB241_40
.LBB241_39:                             ;   in Loop: Header=BB241_13 Depth=1
	v_and_b32_e32 v34, 7, v2
	v_ffbh_u32_e32 v32, v34
	v_min_u32_e32 v36, 32, v32
	v_subrev_u32_e32 v32, 28, v36
	v_bfe_u32 v35, v2, 3, 4
	v_lshlrev_b64 v[32:33], v32, v[2:3]
	v_sub_u32_e32 v33, 29, v36
	v_cmp_eq_u32_e64 s[0:1], 0, v35
	v_and_b32_e32 v32, 7, v32
	v_lshlrev_b32_e32 v2, 8, v2
	v_cndmask_b32_e64 v33, v35, v33, s[0:1]
	v_lshl_add_u32 v33, v33, 10, v22
	v_cndmask_b32_e64 v32, v34, v32, s[0:1]
	v_and_or_b32 v2, v2, s54, v33
	v_lshl_or_b32 v2, v32, 7, v2
	v_cvt_f32_f16_e32 v32, v2
.LBB241_40:                             ;   in Loop: Header=BB241_13 Depth=1
	s_or_b64 exec, exec, s[42:43]
	global_load_ushort v2, v[10:11], off offset:264
	s_mov_b64 s[0:1], 0
                                        ; implicit-def: $sgpr44
	s_waitcnt vmcnt(0)
	v_cmp_gt_i16_sdwa s[40:41], v2, s52 src0_sel:BYTE_0 src1_sel:DWORD
	s_and_saveexec_b64 s[42:43], s[40:41]
	s_xor_b64 s[40:41], exec, s[42:43]
	s_cbranch_execnz .LBB241_162
; %bb.41:                               ;   in Loop: Header=BB241_13 Depth=1
	s_or_saveexec_b64 s[40:41], s[40:41]
	v_mov_b32_e32 v33, s44
	s_xor_b64 exec, exec, s[40:41]
	s_cbranch_execnz .LBB241_165
.LBB241_42:                             ;   in Loop: Header=BB241_13 Depth=1
	s_or_b64 exec, exec, s[40:41]
	v_and_b32_e32 v2, 0xffff, v2
	s_and_saveexec_b64 s[40:41], s[0:1]
	s_cbranch_execz .LBB241_44
.LBB241_43:                             ;   in Loop: Header=BB241_13 Depth=1
	v_and_b32_e32 v33, 7, v2
	v_ffbh_u32_e32 v34, v33
	v_min_u32_e32 v37, 32, v34
	v_subrev_u32_e32 v34, 28, v37
	v_bfe_u32 v36, v2, 3, 4
	v_lshlrev_b64 v[34:35], v34, v[2:3]
	v_sub_u32_e32 v35, 29, v37
	v_cmp_eq_u32_e64 s[0:1], 0, v36
	v_and_b32_e32 v34, 7, v34
	s_nop 0
	v_cndmask_b32_e64 v35, v36, v35, s[0:1]
	v_cndmask_b32_e64 v33, v33, v34, s[0:1]
	v_lshlrev_b32_e32 v34, 8, v2
	v_lshl_add_u32 v35, v35, 10, v22
	v_and_or_b32 v34, v34, s54, v35
	v_lshl_or_b32 v33, v33, 7, v34
	v_cvt_f32_f16_e32 v33, v33
.LBB241_44:                             ;   in Loop: Header=BB241_13 Depth=1
	s_or_b64 exec, exec, s[40:41]
	v_lshrrev_b16_e32 v2, 8, v2
	v_cmp_lt_i16_e64 s[0:1], s52, v2
	s_mov_b64 s[40:41], 0
                                        ; implicit-def: $sgpr55
	s_and_saveexec_b64 s[42:43], s[0:1]
	s_xor_b64 s[42:43], exec, s[42:43]
	s_cbranch_execnz .LBB241_166
; %bb.45:                               ;   in Loop: Header=BB241_13 Depth=1
	s_or_saveexec_b64 s[42:43], s[42:43]
	v_mov_b32_e32 v34, s55
	s_xor_b64 exec, exec, s[42:43]
	s_cbranch_execnz .LBB241_169
.LBB241_46:                             ;   in Loop: Header=BB241_13 Depth=1
	s_or_b64 exec, exec, s[42:43]
	s_and_saveexec_b64 s[42:43], s[40:41]
	s_cbranch_execz .LBB241_48
.LBB241_47:                             ;   in Loop: Header=BB241_13 Depth=1
	v_and_b32_e32 v36, 7, v2
	v_ffbh_u32_e32 v34, v36
	v_min_u32_e32 v38, 32, v34
	v_subrev_u32_e32 v34, 28, v38
	v_bfe_u32 v37, v2, 3, 4
	v_lshlrev_b64 v[34:35], v34, v[2:3]
	v_sub_u32_e32 v35, 29, v38
	v_cmp_eq_u32_e64 s[0:1], 0, v37
	v_and_b32_e32 v34, 7, v34
	v_lshlrev_b32_e32 v2, 8, v2
	v_cndmask_b32_e64 v35, v37, v35, s[0:1]
	v_lshl_add_u32 v35, v35, 10, v22
	v_cndmask_b32_e64 v34, v36, v34, s[0:1]
	v_and_or_b32 v2, v2, s54, v35
	v_lshl_or_b32 v2, v34, 7, v2
	v_cvt_f32_f16_e32 v34, v2
.LBB241_48:                             ;   in Loop: Header=BB241_13 Depth=1
	s_or_b64 exec, exec, s[42:43]
	global_load_ushort v2, v[10:11], off offset:512
	s_mov_b64 s[0:1], 0
                                        ; implicit-def: $sgpr44
	s_waitcnt vmcnt(0)
	v_cmp_gt_i16_sdwa s[40:41], v2, s52 src0_sel:BYTE_0 src1_sel:DWORD
	s_and_saveexec_b64 s[42:43], s[40:41]
	s_xor_b64 s[40:41], exec, s[42:43]
	s_cbranch_execnz .LBB241_170
; %bb.49:                               ;   in Loop: Header=BB241_13 Depth=1
	s_or_saveexec_b64 s[40:41], s[40:41]
	v_mov_b32_e32 v35, s44
	s_xor_b64 exec, exec, s[40:41]
	s_cbranch_execnz .LBB241_173
.LBB241_50:                             ;   in Loop: Header=BB241_13 Depth=1
	s_or_b64 exec, exec, s[40:41]
	v_and_b32_e32 v2, 0xffff, v2
	s_and_saveexec_b64 s[40:41], s[0:1]
	s_cbranch_execz .LBB241_52
.LBB241_51:                             ;   in Loop: Header=BB241_13 Depth=1
	v_and_b32_e32 v35, 7, v2
	v_ffbh_u32_e32 v36, v35
	v_min_u32_e32 v39, 32, v36
	v_subrev_u32_e32 v36, 28, v39
	v_bfe_u32 v38, v2, 3, 4
	v_lshlrev_b64 v[36:37], v36, v[2:3]
	v_sub_u32_e32 v37, 29, v39
	v_cmp_eq_u32_e64 s[0:1], 0, v38
	v_and_b32_e32 v36, 7, v36
	s_nop 0
	v_cndmask_b32_e64 v37, v38, v37, s[0:1]
	v_cndmask_b32_e64 v35, v35, v36, s[0:1]
	v_lshlrev_b32_e32 v36, 8, v2
	v_lshl_add_u32 v37, v37, 10, v22
	v_and_or_b32 v36, v36, s54, v37
	v_lshl_or_b32 v35, v35, 7, v36
	v_cvt_f32_f16_e32 v35, v35
.LBB241_52:                             ;   in Loop: Header=BB241_13 Depth=1
	s_or_b64 exec, exec, s[40:41]
	v_lshrrev_b16_e32 v2, 8, v2
	v_cmp_lt_i16_e64 s[0:1], s52, v2
	s_mov_b64 s[40:41], 0
                                        ; implicit-def: $sgpr55
	s_and_saveexec_b64 s[42:43], s[0:1]
	s_xor_b64 s[42:43], exec, s[42:43]
	s_cbranch_execnz .LBB241_174
; %bb.53:                               ;   in Loop: Header=BB241_13 Depth=1
	s_or_saveexec_b64 s[42:43], s[42:43]
	v_mov_b32_e32 v36, s55
	s_xor_b64 exec, exec, s[42:43]
	s_cbranch_execnz .LBB241_177
.LBB241_54:                             ;   in Loop: Header=BB241_13 Depth=1
	s_or_b64 exec, exec, s[42:43]
	s_and_saveexec_b64 s[42:43], s[40:41]
	s_cbranch_execz .LBB241_56
.LBB241_55:                             ;   in Loop: Header=BB241_13 Depth=1
	v_and_b32_e32 v38, 7, v2
	v_ffbh_u32_e32 v36, v38
	v_min_u32_e32 v40, 32, v36
	v_subrev_u32_e32 v36, 28, v40
	v_bfe_u32 v39, v2, 3, 4
	v_lshlrev_b64 v[36:37], v36, v[2:3]
	v_sub_u32_e32 v37, 29, v40
	v_cmp_eq_u32_e64 s[0:1], 0, v39
	v_and_b32_e32 v36, 7, v36
	v_lshlrev_b32_e32 v2, 8, v2
	v_cndmask_b32_e64 v37, v39, v37, s[0:1]
	v_lshl_add_u32 v37, v37, 10, v22
	v_cndmask_b32_e64 v36, v38, v36, s[0:1]
	v_and_or_b32 v2, v2, s54, v37
	v_lshl_or_b32 v2, v36, 7, v2
	v_cvt_f32_f16_e32 v36, v2
.LBB241_56:                             ;   in Loop: Header=BB241_13 Depth=1
	s_or_b64 exec, exec, s[42:43]
	global_load_ushort v2, v[10:11], off offset:520
	s_mov_b64 s[0:1], 0
                                        ; implicit-def: $sgpr44
	s_waitcnt vmcnt(0)
	v_cmp_gt_i16_sdwa s[40:41], v2, s52 src0_sel:BYTE_0 src1_sel:DWORD
	s_and_saveexec_b64 s[42:43], s[40:41]
	s_xor_b64 s[40:41], exec, s[42:43]
	s_cbranch_execnz .LBB241_178
; %bb.57:                               ;   in Loop: Header=BB241_13 Depth=1
	s_or_saveexec_b64 s[40:41], s[40:41]
	v_mov_b32_e32 v37, s44
	s_xor_b64 exec, exec, s[40:41]
	s_cbranch_execnz .LBB241_181
.LBB241_58:                             ;   in Loop: Header=BB241_13 Depth=1
	s_or_b64 exec, exec, s[40:41]
	v_and_b32_e32 v2, 0xffff, v2
	s_and_saveexec_b64 s[40:41], s[0:1]
	s_cbranch_execz .LBB241_60
.LBB241_59:                             ;   in Loop: Header=BB241_13 Depth=1
	v_and_b32_e32 v37, 7, v2
	v_ffbh_u32_e32 v38, v37
	v_min_u32_e32 v41, 32, v38
	v_subrev_u32_e32 v38, 28, v41
	v_bfe_u32 v40, v2, 3, 4
	v_lshlrev_b64 v[38:39], v38, v[2:3]
	v_sub_u32_e32 v39, 29, v41
	v_cmp_eq_u32_e64 s[0:1], 0, v40
	v_and_b32_e32 v38, 7, v38
	s_nop 0
	v_cndmask_b32_e64 v39, v40, v39, s[0:1]
	v_cndmask_b32_e64 v37, v37, v38, s[0:1]
	v_lshlrev_b32_e32 v38, 8, v2
	v_lshl_add_u32 v39, v39, 10, v22
	v_and_or_b32 v38, v38, s54, v39
	v_lshl_or_b32 v37, v37, 7, v38
	v_cvt_f32_f16_e32 v37, v37
.LBB241_60:                             ;   in Loop: Header=BB241_13 Depth=1
	s_or_b64 exec, exec, s[40:41]
	v_lshrrev_b16_e32 v2, 8, v2
	v_cmp_lt_i16_e64 s[0:1], s52, v2
	s_mov_b64 s[40:41], 0
                                        ; implicit-def: $sgpr55
	s_and_saveexec_b64 s[42:43], s[0:1]
	s_xor_b64 s[42:43], exec, s[42:43]
	s_cbranch_execnz .LBB241_182
; %bb.61:                               ;   in Loop: Header=BB241_13 Depth=1
	s_or_saveexec_b64 s[42:43], s[42:43]
	v_mov_b32_e32 v38, s55
	s_xor_b64 exec, exec, s[42:43]
	s_cbranch_execnz .LBB241_185
.LBB241_62:                             ;   in Loop: Header=BB241_13 Depth=1
	s_or_b64 exec, exec, s[42:43]
	s_and_saveexec_b64 s[42:43], s[40:41]
	s_cbranch_execz .LBB241_64
.LBB241_63:                             ;   in Loop: Header=BB241_13 Depth=1
	v_and_b32_e32 v40, 7, v2
	v_ffbh_u32_e32 v38, v40
	v_min_u32_e32 v42, 32, v38
	v_subrev_u32_e32 v38, 28, v42
	v_bfe_u32 v41, v2, 3, 4
	v_lshlrev_b64 v[38:39], v38, v[2:3]
	v_sub_u32_e32 v39, 29, v42
	v_cmp_eq_u32_e64 s[0:1], 0, v41
	v_and_b32_e32 v38, 7, v38
	v_lshlrev_b32_e32 v2, 8, v2
	v_cndmask_b32_e64 v39, v41, v39, s[0:1]
	v_lshl_add_u32 v39, v39, 10, v22
	v_cndmask_b32_e64 v38, v40, v38, s[0:1]
	v_and_or_b32 v2, v2, s54, v39
	v_lshl_or_b32 v2, v38, 7, v2
	v_cvt_f32_f16_e32 v38, v2
.LBB241_64:                             ;   in Loop: Header=BB241_13 Depth=1
	s_or_b64 exec, exec, s[42:43]
	global_load_ushort v2, v[10:11], off offset:768
	s_mov_b64 s[0:1], 0
                                        ; implicit-def: $sgpr44
	s_waitcnt vmcnt(0)
	v_cmp_gt_i16_sdwa s[40:41], v2, s52 src0_sel:BYTE_0 src1_sel:DWORD
	s_and_saveexec_b64 s[42:43], s[40:41]
	s_xor_b64 s[40:41], exec, s[42:43]
	s_cbranch_execnz .LBB241_186
; %bb.65:                               ;   in Loop: Header=BB241_13 Depth=1
	s_or_saveexec_b64 s[40:41], s[40:41]
	v_mov_b32_e32 v39, s44
	s_xor_b64 exec, exec, s[40:41]
	s_cbranch_execnz .LBB241_189
.LBB241_66:                             ;   in Loop: Header=BB241_13 Depth=1
	s_or_b64 exec, exec, s[40:41]
	v_and_b32_e32 v2, 0xffff, v2
	s_and_saveexec_b64 s[40:41], s[0:1]
	s_cbranch_execz .LBB241_68
.LBB241_67:                             ;   in Loop: Header=BB241_13 Depth=1
	v_and_b32_e32 v39, 7, v2
	v_ffbh_u32_e32 v40, v39
	v_min_u32_e32 v43, 32, v40
	v_subrev_u32_e32 v40, 28, v43
	v_bfe_u32 v42, v2, 3, 4
	v_lshlrev_b64 v[40:41], v40, v[2:3]
	v_sub_u32_e32 v41, 29, v43
	v_cmp_eq_u32_e64 s[0:1], 0, v42
	v_and_b32_e32 v40, 7, v40
	s_nop 0
	v_cndmask_b32_e64 v41, v42, v41, s[0:1]
	v_cndmask_b32_e64 v39, v39, v40, s[0:1]
	v_lshlrev_b32_e32 v40, 8, v2
	v_lshl_add_u32 v41, v41, 10, v22
	v_and_or_b32 v40, v40, s54, v41
	v_lshl_or_b32 v39, v39, 7, v40
	v_cvt_f32_f16_e32 v39, v39
.LBB241_68:                             ;   in Loop: Header=BB241_13 Depth=1
	s_or_b64 exec, exec, s[40:41]
	v_lshrrev_b16_e32 v2, 8, v2
	v_cmp_lt_i16_e64 s[0:1], s52, v2
	s_mov_b64 s[40:41], 0
                                        ; implicit-def: $sgpr55
	s_and_saveexec_b64 s[42:43], s[0:1]
	s_xor_b64 s[42:43], exec, s[42:43]
	s_cbranch_execnz .LBB241_190
; %bb.69:                               ;   in Loop: Header=BB241_13 Depth=1
	s_or_saveexec_b64 s[42:43], s[42:43]
	v_mov_b32_e32 v40, s55
	s_xor_b64 exec, exec, s[42:43]
	s_cbranch_execnz .LBB241_193
.LBB241_70:                             ;   in Loop: Header=BB241_13 Depth=1
	s_or_b64 exec, exec, s[42:43]
	s_and_saveexec_b64 s[42:43], s[40:41]
	s_cbranch_execz .LBB241_72
.LBB241_71:                             ;   in Loop: Header=BB241_13 Depth=1
	v_and_b32_e32 v42, 7, v2
	v_ffbh_u32_e32 v40, v42
	v_min_u32_e32 v44, 32, v40
	v_subrev_u32_e32 v40, 28, v44
	v_bfe_u32 v43, v2, 3, 4
	v_lshlrev_b64 v[40:41], v40, v[2:3]
	v_sub_u32_e32 v41, 29, v44
	v_cmp_eq_u32_e64 s[0:1], 0, v43
	v_and_b32_e32 v40, 7, v40
	v_lshlrev_b32_e32 v2, 8, v2
	v_cndmask_b32_e64 v41, v43, v41, s[0:1]
	v_lshl_add_u32 v41, v41, 10, v22
	v_cndmask_b32_e64 v40, v42, v40, s[0:1]
	v_and_or_b32 v2, v2, s54, v41
	v_lshl_or_b32 v2, v40, 7, v2
	v_cvt_f32_f16_e32 v40, v2
.LBB241_72:                             ;   in Loop: Header=BB241_13 Depth=1
	s_or_b64 exec, exec, s[42:43]
	global_load_ushort v2, v[10:11], off offset:776
	s_mov_b64 s[0:1], 0
                                        ; implicit-def: $sgpr44
	s_waitcnt vmcnt(0)
	v_cmp_gt_i16_sdwa s[40:41], v2, s52 src0_sel:BYTE_0 src1_sel:DWORD
	s_and_saveexec_b64 s[42:43], s[40:41]
	s_xor_b64 s[40:41], exec, s[42:43]
	s_cbranch_execnz .LBB241_194
; %bb.73:                               ;   in Loop: Header=BB241_13 Depth=1
	s_or_saveexec_b64 s[40:41], s[40:41]
	v_mov_b32_e32 v41, s44
	s_xor_b64 exec, exec, s[40:41]
	s_cbranch_execnz .LBB241_197
.LBB241_74:                             ;   in Loop: Header=BB241_13 Depth=1
	s_or_b64 exec, exec, s[40:41]
	v_and_b32_e32 v2, 0xffff, v2
	s_and_saveexec_b64 s[40:41], s[0:1]
	s_cbranch_execz .LBB241_76
.LBB241_75:                             ;   in Loop: Header=BB241_13 Depth=1
	v_and_b32_e32 v41, 7, v2
	v_ffbh_u32_e32 v42, v41
	v_min_u32_e32 v45, 32, v42
	v_subrev_u32_e32 v42, 28, v45
	v_bfe_u32 v44, v2, 3, 4
	v_lshlrev_b64 v[42:43], v42, v[2:3]
	v_sub_u32_e32 v43, 29, v45
	v_cmp_eq_u32_e64 s[0:1], 0, v44
	v_and_b32_e32 v42, 7, v42
	s_nop 0
	v_cndmask_b32_e64 v43, v44, v43, s[0:1]
	v_cndmask_b32_e64 v41, v41, v42, s[0:1]
	v_lshlrev_b32_e32 v42, 8, v2
	v_lshl_add_u32 v43, v43, 10, v22
	v_and_or_b32 v42, v42, s54, v43
	v_lshl_or_b32 v41, v41, 7, v42
	v_cvt_f32_f16_e32 v41, v41
.LBB241_76:                             ;   in Loop: Header=BB241_13 Depth=1
	s_or_b64 exec, exec, s[40:41]
	v_lshrrev_b16_e32 v2, 8, v2
	v_cmp_lt_i16_e64 s[0:1], s52, v2
	s_mov_b64 s[40:41], 0
                                        ; implicit-def: $sgpr55
	s_and_saveexec_b64 s[42:43], s[0:1]
	s_xor_b64 s[42:43], exec, s[42:43]
	s_cbranch_execnz .LBB241_198
; %bb.77:                               ;   in Loop: Header=BB241_13 Depth=1
	s_or_saveexec_b64 s[42:43], s[42:43]
	v_mov_b32_e32 v42, s55
	s_xor_b64 exec, exec, s[42:43]
	s_cbranch_execnz .LBB241_201
.LBB241_78:                             ;   in Loop: Header=BB241_13 Depth=1
	s_or_b64 exec, exec, s[42:43]
	s_and_saveexec_b64 s[42:43], s[40:41]
	s_cbranch_execz .LBB241_80
.LBB241_79:                             ;   in Loop: Header=BB241_13 Depth=1
	v_and_b32_e32 v44, 7, v2
	v_ffbh_u32_e32 v42, v44
	v_min_u32_e32 v46, 32, v42
	v_subrev_u32_e32 v42, 28, v46
	v_bfe_u32 v45, v2, 3, 4
	v_lshlrev_b64 v[42:43], v42, v[2:3]
	v_sub_u32_e32 v43, 29, v46
	v_cmp_eq_u32_e64 s[0:1], 0, v45
	v_and_b32_e32 v42, 7, v42
	v_lshlrev_b32_e32 v2, 8, v2
	v_cndmask_b32_e64 v43, v45, v43, s[0:1]
	v_lshl_add_u32 v43, v43, 10, v22
	v_cndmask_b32_e64 v42, v44, v42, s[0:1]
	v_and_or_b32 v2, v2, s54, v43
	v_lshl_or_b32 v2, v42, 7, v2
	v_cvt_f32_f16_e32 v42, v2
.LBB241_80:                             ;   in Loop: Header=BB241_13 Depth=1
	s_or_b64 exec, exec, s[42:43]
	global_load_ushort v2, v[10:11], off offset:1024
	s_mov_b64 s[0:1], 0
                                        ; implicit-def: $sgpr44
	s_waitcnt vmcnt(0)
	v_cmp_gt_i16_sdwa s[40:41], v2, s52 src0_sel:BYTE_0 src1_sel:DWORD
	s_and_saveexec_b64 s[42:43], s[40:41]
	s_xor_b64 s[40:41], exec, s[42:43]
	s_cbranch_execnz .LBB241_202
; %bb.81:                               ;   in Loop: Header=BB241_13 Depth=1
	s_or_saveexec_b64 s[40:41], s[40:41]
	v_mov_b32_e32 v43, s44
	s_xor_b64 exec, exec, s[40:41]
	s_cbranch_execnz .LBB241_205
.LBB241_82:                             ;   in Loop: Header=BB241_13 Depth=1
	s_or_b64 exec, exec, s[40:41]
	v_and_b32_e32 v2, 0xffff, v2
	s_and_saveexec_b64 s[40:41], s[0:1]
	s_cbranch_execz .LBB241_84
.LBB241_83:                             ;   in Loop: Header=BB241_13 Depth=1
	v_and_b32_e32 v43, 7, v2
	v_ffbh_u32_e32 v44, v43
	v_min_u32_e32 v47, 32, v44
	v_subrev_u32_e32 v44, 28, v47
	v_bfe_u32 v46, v2, 3, 4
	v_lshlrev_b64 v[44:45], v44, v[2:3]
	v_sub_u32_e32 v45, 29, v47
	v_cmp_eq_u32_e64 s[0:1], 0, v46
	v_and_b32_e32 v44, 7, v44
	s_nop 0
	v_cndmask_b32_e64 v45, v46, v45, s[0:1]
	v_cndmask_b32_e64 v43, v43, v44, s[0:1]
	v_lshlrev_b32_e32 v44, 8, v2
	v_lshl_add_u32 v45, v45, 10, v22
	v_and_or_b32 v44, v44, s54, v45
	v_lshl_or_b32 v43, v43, 7, v44
	v_cvt_f32_f16_e32 v43, v43
.LBB241_84:                             ;   in Loop: Header=BB241_13 Depth=1
	s_or_b64 exec, exec, s[40:41]
	v_lshrrev_b16_e32 v2, 8, v2
	v_cmp_lt_i16_e64 s[0:1], s52, v2
	s_mov_b64 s[40:41], 0
                                        ; implicit-def: $sgpr55
	s_and_saveexec_b64 s[42:43], s[0:1]
	s_xor_b64 s[42:43], exec, s[42:43]
	s_cbranch_execnz .LBB241_206
; %bb.85:                               ;   in Loop: Header=BB241_13 Depth=1
	s_or_saveexec_b64 s[42:43], s[42:43]
	v_mov_b32_e32 v44, s55
	s_xor_b64 exec, exec, s[42:43]
	s_cbranch_execnz .LBB241_209
.LBB241_86:                             ;   in Loop: Header=BB241_13 Depth=1
	s_or_b64 exec, exec, s[42:43]
	s_and_saveexec_b64 s[42:43], s[40:41]
	s_cbranch_execz .LBB241_88
.LBB241_87:                             ;   in Loop: Header=BB241_13 Depth=1
	v_and_b32_e32 v46, 7, v2
	v_ffbh_u32_e32 v44, v46
	v_min_u32_e32 v48, 32, v44
	v_subrev_u32_e32 v44, 28, v48
	v_bfe_u32 v47, v2, 3, 4
	v_lshlrev_b64 v[44:45], v44, v[2:3]
	v_sub_u32_e32 v45, 29, v48
	v_cmp_eq_u32_e64 s[0:1], 0, v47
	v_and_b32_e32 v44, 7, v44
	v_lshlrev_b32_e32 v2, 8, v2
	v_cndmask_b32_e64 v45, v47, v45, s[0:1]
	v_lshl_add_u32 v45, v45, 10, v22
	v_cndmask_b32_e64 v44, v46, v44, s[0:1]
	v_and_or_b32 v2, v2, s54, v45
	v_lshl_or_b32 v2, v44, 7, v2
	v_cvt_f32_f16_e32 v44, v2
.LBB241_88:                             ;   in Loop: Header=BB241_13 Depth=1
	s_or_b64 exec, exec, s[42:43]
	global_load_ushort v2, v[10:11], off offset:1032
	s_mov_b64 s[0:1], 0
                                        ; implicit-def: $sgpr44
	s_waitcnt vmcnt(0)
	v_cmp_gt_i16_sdwa s[40:41], v2, s52 src0_sel:BYTE_0 src1_sel:DWORD
	s_and_saveexec_b64 s[42:43], s[40:41]
	s_xor_b64 s[40:41], exec, s[42:43]
	s_cbranch_execnz .LBB241_210
; %bb.89:                               ;   in Loop: Header=BB241_13 Depth=1
	s_or_saveexec_b64 s[40:41], s[40:41]
	v_mov_b32_e32 v45, s44
	s_xor_b64 exec, exec, s[40:41]
	s_cbranch_execnz .LBB241_213
.LBB241_90:                             ;   in Loop: Header=BB241_13 Depth=1
	s_or_b64 exec, exec, s[40:41]
	v_and_b32_e32 v2, 0xffff, v2
	s_and_saveexec_b64 s[40:41], s[0:1]
	s_cbranch_execz .LBB241_92
.LBB241_91:                             ;   in Loop: Header=BB241_13 Depth=1
	v_and_b32_e32 v45, 7, v2
	v_ffbh_u32_e32 v46, v45
	v_min_u32_e32 v49, 32, v46
	v_subrev_u32_e32 v46, 28, v49
	v_bfe_u32 v48, v2, 3, 4
	v_lshlrev_b64 v[46:47], v46, v[2:3]
	v_sub_u32_e32 v47, 29, v49
	v_cmp_eq_u32_e64 s[0:1], 0, v48
	v_and_b32_e32 v46, 7, v46
	s_nop 0
	v_cndmask_b32_e64 v47, v48, v47, s[0:1]
	v_cndmask_b32_e64 v45, v45, v46, s[0:1]
	v_lshlrev_b32_e32 v46, 8, v2
	v_lshl_add_u32 v47, v47, 10, v22
	v_and_or_b32 v46, v46, s54, v47
	v_lshl_or_b32 v45, v45, 7, v46
	v_cvt_f32_f16_e32 v45, v45
.LBB241_92:                             ;   in Loop: Header=BB241_13 Depth=1
	s_or_b64 exec, exec, s[40:41]
	v_lshrrev_b16_e32 v2, 8, v2
	v_cmp_lt_i16_e64 s[0:1], s52, v2
	s_mov_b64 s[40:41], 0
                                        ; implicit-def: $sgpr55
	s_and_saveexec_b64 s[42:43], s[0:1]
	s_xor_b64 s[42:43], exec, s[42:43]
	s_cbranch_execnz .LBB241_214
; %bb.93:                               ;   in Loop: Header=BB241_13 Depth=1
	s_or_saveexec_b64 s[42:43], s[42:43]
	v_mov_b32_e32 v46, s55
	s_xor_b64 exec, exec, s[42:43]
	s_cbranch_execnz .LBB241_217
.LBB241_94:                             ;   in Loop: Header=BB241_13 Depth=1
	s_or_b64 exec, exec, s[42:43]
	s_and_saveexec_b64 s[42:43], s[40:41]
	s_cbranch_execz .LBB241_96
.LBB241_95:                             ;   in Loop: Header=BB241_13 Depth=1
	v_and_b32_e32 v48, 7, v2
	v_ffbh_u32_e32 v46, v48
	v_min_u32_e32 v50, 32, v46
	v_subrev_u32_e32 v46, 28, v50
	v_bfe_u32 v49, v2, 3, 4
	v_lshlrev_b64 v[46:47], v46, v[2:3]
	v_sub_u32_e32 v47, 29, v50
	v_cmp_eq_u32_e64 s[0:1], 0, v49
	v_and_b32_e32 v46, 7, v46
	v_lshlrev_b32_e32 v2, 8, v2
	v_cndmask_b32_e64 v47, v49, v47, s[0:1]
	v_lshl_add_u32 v47, v47, 10, v22
	v_cndmask_b32_e64 v46, v48, v46, s[0:1]
	v_and_or_b32 v2, v2, s54, v47
	v_lshl_or_b32 v2, v46, 7, v2
	v_cvt_f32_f16_e32 v46, v2
.LBB241_96:                             ;   in Loop: Header=BB241_13 Depth=1
	s_or_b64 exec, exec, s[42:43]
	global_load_ushort v2, v[10:11], off offset:1280
	s_mov_b64 s[0:1], 0
                                        ; implicit-def: $sgpr44
	s_waitcnt vmcnt(0)
	v_cmp_gt_i16_sdwa s[40:41], v2, s52 src0_sel:BYTE_0 src1_sel:DWORD
	s_and_saveexec_b64 s[42:43], s[40:41]
	s_xor_b64 s[40:41], exec, s[42:43]
	s_cbranch_execnz .LBB241_218
; %bb.97:                               ;   in Loop: Header=BB241_13 Depth=1
	s_or_saveexec_b64 s[40:41], s[40:41]
	v_mov_b32_e32 v47, s44
	s_xor_b64 exec, exec, s[40:41]
	s_cbranch_execnz .LBB241_221
.LBB241_98:                             ;   in Loop: Header=BB241_13 Depth=1
	s_or_b64 exec, exec, s[40:41]
	v_and_b32_e32 v2, 0xffff, v2
	s_and_saveexec_b64 s[40:41], s[0:1]
	s_cbranch_execz .LBB241_100
.LBB241_99:                             ;   in Loop: Header=BB241_13 Depth=1
	v_and_b32_e32 v47, 7, v2
	v_ffbh_u32_e32 v48, v47
	v_min_u32_e32 v51, 32, v48
	v_subrev_u32_e32 v48, 28, v51
	v_bfe_u32 v50, v2, 3, 4
	v_lshlrev_b64 v[48:49], v48, v[2:3]
	v_sub_u32_e32 v49, 29, v51
	v_cmp_eq_u32_e64 s[0:1], 0, v50
	v_and_b32_e32 v48, 7, v48
	s_nop 0
	v_cndmask_b32_e64 v49, v50, v49, s[0:1]
	v_cndmask_b32_e64 v47, v47, v48, s[0:1]
	v_lshlrev_b32_e32 v48, 8, v2
	v_lshl_add_u32 v49, v49, 10, v22
	v_and_or_b32 v48, v48, s54, v49
	v_lshl_or_b32 v47, v47, 7, v48
	v_cvt_f32_f16_e32 v47, v47
.LBB241_100:                            ;   in Loop: Header=BB241_13 Depth=1
	s_or_b64 exec, exec, s[40:41]
	v_lshrrev_b16_e32 v2, 8, v2
	v_cmp_lt_i16_e64 s[0:1], s52, v2
	s_mov_b64 s[40:41], 0
                                        ; implicit-def: $sgpr55
	s_and_saveexec_b64 s[42:43], s[0:1]
	s_xor_b64 s[42:43], exec, s[42:43]
	s_cbranch_execnz .LBB241_222
; %bb.101:                              ;   in Loop: Header=BB241_13 Depth=1
	s_or_saveexec_b64 s[42:43], s[42:43]
	v_mov_b32_e32 v48, s55
	s_xor_b64 exec, exec, s[42:43]
	s_cbranch_execnz .LBB241_225
.LBB241_102:                            ;   in Loop: Header=BB241_13 Depth=1
	s_or_b64 exec, exec, s[42:43]
	s_and_saveexec_b64 s[42:43], s[40:41]
	s_cbranch_execz .LBB241_104
.LBB241_103:                            ;   in Loop: Header=BB241_13 Depth=1
	v_and_b32_e32 v50, 7, v2
	v_ffbh_u32_e32 v48, v50
	v_min_u32_e32 v52, 32, v48
	v_subrev_u32_e32 v48, 28, v52
	v_bfe_u32 v51, v2, 3, 4
	v_lshlrev_b64 v[48:49], v48, v[2:3]
	v_sub_u32_e32 v49, 29, v52
	v_cmp_eq_u32_e64 s[0:1], 0, v51
	v_and_b32_e32 v48, 7, v48
	v_lshlrev_b32_e32 v2, 8, v2
	v_cndmask_b32_e64 v49, v51, v49, s[0:1]
	v_lshl_add_u32 v49, v49, 10, v22
	v_cndmask_b32_e64 v48, v50, v48, s[0:1]
	v_and_or_b32 v2, v2, s54, v49
	v_lshl_or_b32 v2, v48, 7, v2
	v_cvt_f32_f16_e32 v48, v2
.LBB241_104:                            ;   in Loop: Header=BB241_13 Depth=1
	s_or_b64 exec, exec, s[42:43]
	global_load_ushort v2, v[10:11], off offset:1288
	s_mov_b64 s[0:1], 0
                                        ; implicit-def: $sgpr44
	s_waitcnt vmcnt(0)
	v_cmp_gt_i16_sdwa s[40:41], v2, s52 src0_sel:BYTE_0 src1_sel:DWORD
	s_and_saveexec_b64 s[42:43], s[40:41]
	s_xor_b64 s[40:41], exec, s[42:43]
	s_cbranch_execnz .LBB241_226
; %bb.105:                              ;   in Loop: Header=BB241_13 Depth=1
	s_or_saveexec_b64 s[40:41], s[40:41]
	v_mov_b32_e32 v49, s44
	s_xor_b64 exec, exec, s[40:41]
	s_cbranch_execnz .LBB241_229
.LBB241_106:                            ;   in Loop: Header=BB241_13 Depth=1
	s_or_b64 exec, exec, s[40:41]
	v_and_b32_e32 v2, 0xffff, v2
	s_and_saveexec_b64 s[40:41], s[0:1]
	s_cbranch_execz .LBB241_108
.LBB241_107:                            ;   in Loop: Header=BB241_13 Depth=1
	v_and_b32_e32 v49, 7, v2
	v_ffbh_u32_e32 v50, v49
	v_min_u32_e32 v53, 32, v50
	v_subrev_u32_e32 v50, 28, v53
	v_bfe_u32 v52, v2, 3, 4
	v_lshlrev_b64 v[50:51], v50, v[2:3]
	v_sub_u32_e32 v51, 29, v53
	v_cmp_eq_u32_e64 s[0:1], 0, v52
	v_and_b32_e32 v50, 7, v50
	s_nop 0
	v_cndmask_b32_e64 v51, v52, v51, s[0:1]
	v_cndmask_b32_e64 v49, v49, v50, s[0:1]
	v_lshlrev_b32_e32 v50, 8, v2
	v_lshl_add_u32 v51, v51, 10, v22
	v_and_or_b32 v50, v50, s54, v51
	v_lshl_or_b32 v49, v49, 7, v50
	v_cvt_f32_f16_e32 v49, v49
.LBB241_108:                            ;   in Loop: Header=BB241_13 Depth=1
	s_or_b64 exec, exec, s[40:41]
	v_lshrrev_b16_e32 v2, 8, v2
	v_cmp_lt_i16_e64 s[0:1], s52, v2
	s_mov_b64 s[40:41], 0
                                        ; implicit-def: $sgpr55
	s_and_saveexec_b64 s[42:43], s[0:1]
	s_xor_b64 s[42:43], exec, s[42:43]
	s_cbranch_execnz .LBB241_230
; %bb.109:                              ;   in Loop: Header=BB241_13 Depth=1
	s_or_saveexec_b64 s[42:43], s[42:43]
	v_mov_b32_e32 v50, s55
	s_xor_b64 exec, exec, s[42:43]
	s_cbranch_execnz .LBB241_233
.LBB241_110:                            ;   in Loop: Header=BB241_13 Depth=1
	s_or_b64 exec, exec, s[42:43]
	s_and_saveexec_b64 s[42:43], s[40:41]
	s_cbranch_execz .LBB241_112
.LBB241_111:                            ;   in Loop: Header=BB241_13 Depth=1
	v_and_b32_e32 v52, 7, v2
	v_ffbh_u32_e32 v50, v52
	v_min_u32_e32 v54, 32, v50
	v_subrev_u32_e32 v50, 28, v54
	v_bfe_u32 v53, v2, 3, 4
	v_lshlrev_b64 v[50:51], v50, v[2:3]
	v_sub_u32_e32 v51, 29, v54
	v_cmp_eq_u32_e64 s[0:1], 0, v53
	v_and_b32_e32 v50, 7, v50
	v_lshlrev_b32_e32 v2, 8, v2
	v_cndmask_b32_e64 v51, v53, v51, s[0:1]
	v_lshl_add_u32 v51, v51, 10, v22
	v_cndmask_b32_e64 v50, v52, v50, s[0:1]
	v_and_or_b32 v2, v2, s54, v51
	v_lshl_or_b32 v2, v50, 7, v2
	v_cvt_f32_f16_e32 v50, v2
.LBB241_112:                            ;   in Loop: Header=BB241_13 Depth=1
	s_or_b64 exec, exec, s[42:43]
	global_load_ushort v2, v[10:11], off offset:1536
	s_mov_b64 s[0:1], 0
                                        ; implicit-def: $sgpr44
	s_waitcnt vmcnt(0)
	v_cmp_gt_i16_sdwa s[40:41], v2, s52 src0_sel:BYTE_0 src1_sel:DWORD
	s_and_saveexec_b64 s[42:43], s[40:41]
	s_xor_b64 s[40:41], exec, s[42:43]
	s_cbranch_execnz .LBB241_234
; %bb.113:                              ;   in Loop: Header=BB241_13 Depth=1
	s_or_saveexec_b64 s[40:41], s[40:41]
	v_mov_b32_e32 v51, s44
	s_xor_b64 exec, exec, s[40:41]
	s_cbranch_execnz .LBB241_237
.LBB241_114:                            ;   in Loop: Header=BB241_13 Depth=1
	s_or_b64 exec, exec, s[40:41]
	v_and_b32_e32 v2, 0xffff, v2
	s_and_saveexec_b64 s[40:41], s[0:1]
	s_cbranch_execz .LBB241_116
.LBB241_115:                            ;   in Loop: Header=BB241_13 Depth=1
	v_and_b32_e32 v51, 7, v2
	v_ffbh_u32_e32 v52, v51
	v_min_u32_e32 v55, 32, v52
	v_subrev_u32_e32 v52, 28, v55
	v_bfe_u32 v54, v2, 3, 4
	v_lshlrev_b64 v[52:53], v52, v[2:3]
	v_sub_u32_e32 v53, 29, v55
	v_cmp_eq_u32_e64 s[0:1], 0, v54
	v_and_b32_e32 v52, 7, v52
	s_nop 0
	v_cndmask_b32_e64 v53, v54, v53, s[0:1]
	v_cndmask_b32_e64 v51, v51, v52, s[0:1]
	v_lshlrev_b32_e32 v52, 8, v2
	v_lshl_add_u32 v53, v53, 10, v22
	v_and_or_b32 v52, v52, s54, v53
	v_lshl_or_b32 v51, v51, 7, v52
	v_cvt_f32_f16_e32 v51, v51
.LBB241_116:                            ;   in Loop: Header=BB241_13 Depth=1
	s_or_b64 exec, exec, s[40:41]
	v_lshrrev_b16_e32 v2, 8, v2
	v_cmp_lt_i16_e64 s[0:1], s52, v2
	s_mov_b64 s[40:41], 0
                                        ; implicit-def: $sgpr55
	s_and_saveexec_b64 s[42:43], s[0:1]
	s_xor_b64 s[42:43], exec, s[42:43]
	s_cbranch_execnz .LBB241_238
; %bb.117:                              ;   in Loop: Header=BB241_13 Depth=1
	s_or_saveexec_b64 s[42:43], s[42:43]
	v_mov_b32_e32 v52, s55
	s_xor_b64 exec, exec, s[42:43]
	s_cbranch_execnz .LBB241_241
.LBB241_118:                            ;   in Loop: Header=BB241_13 Depth=1
	s_or_b64 exec, exec, s[42:43]
	s_and_saveexec_b64 s[42:43], s[40:41]
	s_cbranch_execz .LBB241_120
.LBB241_119:                            ;   in Loop: Header=BB241_13 Depth=1
	v_and_b32_e32 v54, 7, v2
	v_ffbh_u32_e32 v52, v54
	v_min_u32_e32 v56, 32, v52
	v_subrev_u32_e32 v52, 28, v56
	v_bfe_u32 v55, v2, 3, 4
	v_lshlrev_b64 v[52:53], v52, v[2:3]
	v_sub_u32_e32 v53, 29, v56
	v_cmp_eq_u32_e64 s[0:1], 0, v55
	v_and_b32_e32 v52, 7, v52
	v_lshlrev_b32_e32 v2, 8, v2
	v_cndmask_b32_e64 v53, v55, v53, s[0:1]
	v_lshl_add_u32 v53, v53, 10, v22
	v_cndmask_b32_e64 v52, v54, v52, s[0:1]
	v_and_or_b32 v2, v2, s54, v53
	v_lshl_or_b32 v2, v52, 7, v2
	v_cvt_f32_f16_e32 v52, v2
.LBB241_120:                            ;   in Loop: Header=BB241_13 Depth=1
	s_or_b64 exec, exec, s[42:43]
	global_load_ushort v2, v[10:11], off offset:1544
	s_mov_b64 s[0:1], 0
                                        ; implicit-def: $sgpr44
	s_waitcnt vmcnt(0)
	v_cmp_gt_i16_sdwa s[40:41], v2, s52 src0_sel:BYTE_0 src1_sel:DWORD
	s_and_saveexec_b64 s[42:43], s[40:41]
	s_xor_b64 s[40:41], exec, s[42:43]
	s_cbranch_execnz .LBB241_242
; %bb.121:                              ;   in Loop: Header=BB241_13 Depth=1
	s_or_saveexec_b64 s[40:41], s[40:41]
	v_mov_b32_e32 v53, s44
	s_xor_b64 exec, exec, s[40:41]
	s_cbranch_execnz .LBB241_245
.LBB241_122:                            ;   in Loop: Header=BB241_13 Depth=1
	s_or_b64 exec, exec, s[40:41]
	v_and_b32_e32 v2, 0xffff, v2
	s_and_saveexec_b64 s[40:41], s[0:1]
	s_cbranch_execz .LBB241_124
.LBB241_123:                            ;   in Loop: Header=BB241_13 Depth=1
	v_and_b32_e32 v53, 7, v2
	v_ffbh_u32_e32 v54, v53
	v_min_u32_e32 v57, 32, v54
	v_subrev_u32_e32 v54, 28, v57
	v_bfe_u32 v56, v2, 3, 4
	v_lshlrev_b64 v[54:55], v54, v[2:3]
	v_sub_u32_e32 v55, 29, v57
	v_cmp_eq_u32_e64 s[0:1], 0, v56
	v_and_b32_e32 v54, 7, v54
	s_nop 0
	v_cndmask_b32_e64 v55, v56, v55, s[0:1]
	v_cndmask_b32_e64 v53, v53, v54, s[0:1]
	v_lshlrev_b32_e32 v54, 8, v2
	v_lshl_add_u32 v55, v55, 10, v22
	v_and_or_b32 v54, v54, s54, v55
	v_lshl_or_b32 v53, v53, 7, v54
	v_cvt_f32_f16_e32 v53, v53
.LBB241_124:                            ;   in Loop: Header=BB241_13 Depth=1
	s_or_b64 exec, exec, s[40:41]
	v_lshrrev_b16_e32 v2, 8, v2
	v_cmp_lt_i16_e64 s[0:1], s52, v2
	s_mov_b64 s[40:41], 0
                                        ; implicit-def: $sgpr55
	s_and_saveexec_b64 s[42:43], s[0:1]
	s_xor_b64 s[42:43], exec, s[42:43]
	s_cbranch_execnz .LBB241_246
; %bb.125:                              ;   in Loop: Header=BB241_13 Depth=1
	s_or_saveexec_b64 s[42:43], s[42:43]
	v_mov_b32_e32 v54, s55
	s_xor_b64 exec, exec, s[42:43]
	s_cbranch_execnz .LBB241_249
.LBB241_126:                            ;   in Loop: Header=BB241_13 Depth=1
	s_or_b64 exec, exec, s[42:43]
	s_and_saveexec_b64 s[42:43], s[40:41]
	s_cbranch_execz .LBB241_128
.LBB241_127:                            ;   in Loop: Header=BB241_13 Depth=1
	v_and_b32_e32 v56, 7, v2
	v_ffbh_u32_e32 v54, v56
	v_min_u32_e32 v58, 32, v54
	v_subrev_u32_e32 v54, 28, v58
	v_bfe_u32 v57, v2, 3, 4
	v_lshlrev_b64 v[54:55], v54, v[2:3]
	v_sub_u32_e32 v55, 29, v58
	v_cmp_eq_u32_e64 s[0:1], 0, v57
	v_and_b32_e32 v54, 7, v54
	v_lshlrev_b32_e32 v2, 8, v2
	v_cndmask_b32_e64 v55, v57, v55, s[0:1]
	v_lshl_add_u32 v55, v55, 10, v22
	v_cndmask_b32_e64 v54, v56, v54, s[0:1]
	v_and_or_b32 v2, v2, s54, v55
	v_lshl_or_b32 v2, v54, 7, v2
	v_cvt_f32_f16_e32 v54, v2
.LBB241_128:                            ;   in Loop: Header=BB241_13 Depth=1
	s_or_b64 exec, exec, s[42:43]
	global_load_ushort v2, v[10:11], off offset:1792
	s_mov_b64 s[0:1], 0
                                        ; implicit-def: $sgpr44
	s_waitcnt vmcnt(0)
	v_cmp_gt_i16_sdwa s[40:41], v2, s52 src0_sel:BYTE_0 src1_sel:DWORD
	s_and_saveexec_b64 s[42:43], s[40:41]
	s_xor_b64 s[40:41], exec, s[42:43]
	s_cbranch_execnz .LBB241_250
; %bb.129:                              ;   in Loop: Header=BB241_13 Depth=1
	s_or_saveexec_b64 s[40:41], s[40:41]
	v_mov_b32_e32 v10, s44
	s_xor_b64 exec, exec, s[40:41]
	s_cbranch_execnz .LBB241_253
.LBB241_130:                            ;   in Loop: Header=BB241_13 Depth=1
	s_or_b64 exec, exec, s[40:41]
	v_and_b32_e32 v2, 0xffff, v2
	s_and_saveexec_b64 s[40:41], s[0:1]
	s_cbranch_execz .LBB241_132
.LBB241_131:                            ;   in Loop: Header=BB241_13 Depth=1
	v_and_b32_e32 v55, 7, v2
	v_ffbh_u32_e32 v10, v55
	v_min_u32_e32 v57, 32, v10
	v_subrev_u32_e32 v10, 28, v57
	v_bfe_u32 v56, v2, 3, 4
	v_lshlrev_b64 v[10:11], v10, v[2:3]
	v_sub_u32_e32 v11, 29, v57
	v_cmp_eq_u32_e64 s[0:1], 0, v56
	v_and_b32_e32 v10, 7, v10
	s_nop 0
	v_cndmask_b32_e64 v11, v56, v11, s[0:1]
	v_cndmask_b32_e64 v10, v55, v10, s[0:1]
	v_lshlrev_b32_e32 v55, 8, v2
	v_lshl_add_u32 v11, v11, 10, v22
	v_and_or_b32 v11, v55, s54, v11
	v_lshl_or_b32 v10, v10, 7, v11
	v_cvt_f32_f16_e32 v10, v10
.LBB241_132:                            ;   in Loop: Header=BB241_13 Depth=1
	s_or_b64 exec, exec, s[40:41]
	v_lshrrev_b16_e32 v2, 8, v2
	v_cmp_lt_i16_e64 s[0:1], s52, v2
	s_mov_b64 s[40:41], 0
                                        ; implicit-def: $sgpr55
	s_and_saveexec_b64 s[42:43], s[0:1]
	s_xor_b64 s[42:43], exec, s[42:43]
	s_cbranch_execnz .LBB241_254
; %bb.133:                              ;   in Loop: Header=BB241_13 Depth=1
	s_or_saveexec_b64 s[42:43], s[42:43]
	v_mov_b32_e32 v11, s55
	s_xor_b64 exec, exec, s[42:43]
	s_cbranch_execnz .LBB241_257
.LBB241_134:                            ;   in Loop: Header=BB241_13 Depth=1
	s_or_b64 exec, exec, s[42:43]
	s_and_saveexec_b64 s[42:43], s[40:41]
	s_cbranch_execz .LBB241_136
.LBB241_135:                            ;   in Loop: Header=BB241_13 Depth=1
	v_and_b32_e32 v11, 7, v2
	v_ffbh_u32_e32 v56, v11
	v_min_u32_e32 v58, 32, v56
	v_subrev_u32_e32 v56, 28, v58
	v_bfe_u32 v55, v2, 3, 4
	v_lshlrev_b64 v[56:57], v56, v[2:3]
	v_sub_u32_e32 v57, 29, v58
	v_cmp_eq_u32_e64 s[0:1], 0, v55
	v_and_b32_e32 v56, 7, v56
	v_lshlrev_b32_e32 v2, 8, v2
	v_cndmask_b32_e64 v55, v55, v57, s[0:1]
	v_lshl_add_u32 v55, v55, 10, v22
	v_cndmask_b32_e64 v11, v11, v56, s[0:1]
	v_and_or_b32 v2, v2, s54, v55
	v_lshl_or_b32 v2, v11, 7, v2
	v_cvt_f32_f16_e32 v11, v2
.LBB241_136:                            ;   in Loop: Header=BB241_13 Depth=1
	s_or_b64 exec, exec, s[42:43]
	ds_read_b32 v2, v15
	v_fma_mixlo_f16 v27, v25, v27, 0
	v_fma_mixlo_f16 v28, v25, v28, 0
	v_and_b32_e32 v27, 0xffff, v27
	v_and_b32_e32 v28, 0xffff, v28
	s_waitcnt lgkmcnt(0)
	v_lshrrev_b32_e32 v55, 16, v2
	v_and_b32_e32 v2, 0xffff, v2
	;;#ASMSTART
	v_cvt_f32_f16 v2, v2;
	;;#ASMEND
	;;#ASMSTART
	v_cvt_f32_f16 v55, v55;
	;;#ASMEND
	;;#ASMSTART
	v_cvt_f32_f16 v27, v27;
	;;#ASMEND
	;;#ASMSTART
	v_cvt_f32_f16 v28, v28;
	;;#ASMEND
	ds_read_b32 v56, v15 offset:4
	v_fma_mixlo_f16 v29, v25, v29, 0
	v_fma_mixlo_f16 v30, v25, v30, 0
	v_and_b32_e32 v29, 0xffff, v29
	v_and_b32_e32 v30, 0xffff, v30
	s_waitcnt lgkmcnt(0)
	v_lshrrev_b32_e32 v57, 16, v56
	v_and_b32_e32 v56, 0xffff, v56
	;;#ASMSTART
	v_cvt_f32_f16 v56, v56;
	;;#ASMEND
	;;#ASMSTART
	v_cvt_f32_f16 v57, v57;
	;;#ASMEND
	;;#ASMSTART
	v_cvt_f32_f16 v29, v29;
	;;#ASMEND
	;;#ASMSTART
	v_cvt_f32_f16 v30, v30;
	;;#ASMEND
	ds_read_b32 v58, v15 offset:8
	;; [unrolled: 20-line block ×7, first 2 shown]
	v_fma_mixlo_f16 v41, v25, v41, 0
	v_fma_mixlo_f16 v42, v25, v42, 0
	;; [unrolled: 1-line block ×16, first 2 shown]
	s_waitcnt lgkmcnt(0)
	v_lshrrev_b32_e32 v25, 16, v68
	v_and_b32_e32 v68, 0xffff, v68
	v_and_b32_e32 v41, 0xffff, v41
	;; [unrolled: 1-line block ×3, first 2 shown]
	;;#ASMSTART
	v_cvt_f32_f16 v68, v68;
	;;#ASMEND
	;;#ASMSTART
	v_cvt_f32_f16 v25, v25;
	;;#ASMEND
	;; [unrolled: 3-line block ×4, first 2 shown]
	ds_read_b32 v69, v15 offset:32
	v_mul_f32_e32 v29, v56, v29
	v_fmac_f32_e32 v29, v2, v27
	v_mul_f32_e32 v2, v57, v30
	v_fmac_f32_e32 v2, v55, v28
	s_waitcnt lgkmcnt(0)
	v_lshrrev_b32_e32 v27, 16, v69
	v_and_b32_e32 v28, 0xffff, v69
	v_and_b32_e32 v30, 0xffff, v43
	v_and_b32_e32 v43, 0xffff, v44
	;;#ASMSTART
	v_cvt_f32_f16 v28, v28;
	;;#ASMEND
	;;#ASMSTART
	v_cvt_f32_f16 v27, v27;
	;;#ASMEND
	;;#ASMSTART
	v_cvt_f32_f16 v30, v30;
	;;#ASMEND
	;;#ASMSTART
	v_cvt_f32_f16 v43, v43;
	;;#ASMEND
	ds_read_b32 v44, v15 offset:36
	v_fmac_f32_e32 v29, v58, v31
	v_fmac_f32_e32 v2, v59, v32
	v_fmac_f32_e32 v29, v60, v33
	v_fmac_f32_e32 v2, v61, v34
	s_waitcnt lgkmcnt(0)
	v_lshrrev_b32_e32 v31, 16, v44
	v_and_b32_e32 v32, 0xffff, v44
	v_and_b32_e32 v33, 0xffff, v45
	v_and_b32_e32 v34, 0xffff, v46
	;;#ASMSTART
	v_cvt_f32_f16 v32, v32;
	;;#ASMEND
	;;#ASMSTART
	v_cvt_f32_f16 v31, v31;
	;;#ASMEND
	;;#ASMSTART
	v_cvt_f32_f16 v33, v33;
	;;#ASMEND
	;;#ASMSTART
	v_cvt_f32_f16 v34, v34;
	;;#ASMEND
	ds_read_b32 v44, v15 offset:40
	v_fmac_f32_e32 v29, v62, v35
	v_fmac_f32_e32 v2, v63, v36
	v_fmac_f32_e32 v29, v64, v37
	;; [unrolled: 22-line block ×4, first 2 shown]
	v_and_b32_e32 v30, 0xffff, v51
	s_waitcnt lgkmcnt(0)
	v_lshrrev_b32_e32 v27, 16, v42
	v_and_b32_e32 v28, 0xffff, v42
	v_and_b32_e32 v31, 0xffff, v52
	v_fmac_f32_e32 v29, v32, v33
	;;#ASMSTART
	v_cvt_f32_f16 v28, v28;
	;;#ASMEND
	;;#ASMSTART
	v_cvt_f32_f16 v27, v27;
	;;#ASMEND
	;; [unrolled: 3-line block ×4, first 2 shown]
	ds_read_b32 v32, v15 offset:52
	v_fmac_f32_e32 v2, v35, v38
	v_fmac_f32_e32 v2, v25, v41
	v_and_b32_e32 v33, 0xffff, v53
	v_and_b32_e32 v34, 0xffff, v54
	s_waitcnt lgkmcnt(0)
	v_lshrrev_b32_e32 v25, 16, v32
	v_and_b32_e32 v32, 0xffff, v32
	;;#ASMSTART
	v_cvt_f32_f16 v32, v32;
	;;#ASMEND
	;;#ASMSTART
	v_cvt_f32_f16 v25, v25;
	;;#ASMEND
	;;#ASMSTART
	v_cvt_f32_f16 v33, v33;
	;;#ASMEND
	;;#ASMSTART
	v_cvt_f32_f16 v34, v34;
	;;#ASMEND
	ds_read_b32 v35, v15 offset:56
	v_fmac_f32_e32 v29, v36, v37
	v_fmac_f32_e32 v29, v39, v40
	;; [unrolled: 1-line block ×5, first 2 shown]
	s_waitcnt lgkmcnt(0)
	v_lshrrev_b32_e32 v25, 16, v35
	v_and_b32_e32 v27, 0xffff, v35
	v_and_b32_e32 v10, 0xffff, v10
	v_fmac_f32_e32 v29, v32, v33
	;;#ASMSTART
	v_cvt_f32_f16 v27, v27;
	;;#ASMEND
	;;#ASMSTART
	v_cvt_f32_f16 v25, v25;
	;;#ASMEND
	;; [unrolled: 3-line block ×3, first 2 shown]
	v_and_b32_e32 v11, 0xffff, v11
	;;#ASMSTART
	v_cvt_f32_f16 v11, v11;
	;;#ASMEND
	v_fmac_f32_e32 v29, v27, v10
	v_and_b32_e32 v10, 64, v23
	v_fmac_f32_e32 v2, v25, v11
	v_add_u32_e32 v10, 64, v10
	v_xor_b32_e32 v11, 2, v23
	v_cmp_lt_i32_e64 s[0:1], v11, v10
	v_add_f32_e32 v2, v29, v2
	s_nop 0
	v_cndmask_b32_e64 v11, v23, v11, s[0:1]
	v_lshlrev_b32_e32 v11, 2, v11
	ds_bpermute_b32 v11, v11, v2
	s_waitcnt lgkmcnt(0)
	v_add_f32_e32 v2, v2, v11
	v_xor_b32_e32 v11, 1, v23
	v_cmp_lt_i32_e64 s[0:1], v11, v10
	s_nop 1
	v_cndmask_b32_e64 v10, v23, v11, s[0:1]
	v_lshlrev_b32_e32 v10, 2, v10
	ds_bpermute_b32 v10, v10, v2
	s_and_saveexec_b64 s[40:41], vcc
	s_cbranch_execz .LBB241_11
; %bb.137:                              ;   in Loop: Header=BB241_13 Depth=1
	v_add_u32_e32 v11, v20, v18
	v_cvt_f32_i32_e32 v11, v11
	s_waitcnt lgkmcnt(0)
	v_add_f32_e32 v2, v2, v10
	v_add_u32_e32 v25, v14, v18
	v_cmp_gt_i32_e64 s[0:1], s33, v25
	v_mul_f32_e32 v10, s49, v11
	v_cndmask_b32_e64 v10, 0, v10, s[2:3]
	v_fmac_f32_e32 v10, s37, v2
	v_cndmask_b32_e64 v2, 0, v10, s[0:1]
	ds_write_b32 v19, v2
	v_max_f32_e32 v2, v16, v16
	v_max_f32_e32 v2, v2, v10
	v_cndmask_b32_e64 v16, v16, v2, s[0:1]
	s_branch .LBB241_11
.LBB241_138:                            ;   in Loop: Header=BB241_13 Depth=1
	v_cmp_eq_u16_sdwa s[56:57], v2, s53 src0_sel:BYTE_0 src1_sel:DWORD
	s_mov_b64 s[0:1], -1
                                        ; implicit-def: $sgpr44
	s_and_saveexec_b64 s[42:43], s[56:57]
; %bb.139:                              ;   in Loop: Header=BB241_13 Depth=1
	s_mov_b32 s44, 0x7fc02000
	s_xor_b64 s[0:1], exec, -1
; %bb.140:                              ;   in Loop: Header=BB241_13 Depth=1
	s_or_b64 exec, exec, s[42:43]
	s_and_b64 s[0:1], s[0:1], exec
	s_or_saveexec_b64 s[40:41], s[40:41]
	v_mov_b32_e32 v27, s44
	s_xor_b64 exec, exec, s[40:41]
	s_cbranch_execz .LBB241_18
.LBB241_141:                            ;   in Loop: Header=BB241_13 Depth=1
	v_cmp_ne_u16_sdwa s[42:43], v2, v3 src0_sel:BYTE_0 src1_sel:DWORD
	s_andn2_b64 s[0:1], s[0:1], exec
	s_and_b64 s[42:43], s[42:43], exec
	v_mov_b32_e32 v27, 0
	s_or_b64 s[0:1], s[0:1], s[42:43]
	s_or_b64 exec, exec, s[40:41]
	v_and_b32_e32 v2, 0xffff, v2
	s_and_saveexec_b64 s[40:41], s[0:1]
	s_cbranch_execnz .LBB241_19
	s_branch .LBB241_20
.LBB241_142:                            ;   in Loop: Header=BB241_13 Depth=1
	v_cmp_eq_u16_e64 s[0:1], s53, v2
	s_mov_b64 s[40:41], -1
                                        ; implicit-def: $sgpr55
	s_and_saveexec_b64 s[44:45], s[0:1]
; %bb.143:                              ;   in Loop: Header=BB241_13 Depth=1
	s_mov_b32 s55, 0x7fc02000
	s_xor_b64 s[40:41], exec, -1
; %bb.144:                              ;   in Loop: Header=BB241_13 Depth=1
	s_or_b64 exec, exec, s[44:45]
	s_and_b64 s[40:41], s[40:41], exec
	s_or_saveexec_b64 s[42:43], s[42:43]
	v_mov_b32_e32 v28, s55
	s_xor_b64 exec, exec, s[42:43]
	s_cbranch_execz .LBB241_22
.LBB241_145:                            ;   in Loop: Header=BB241_13 Depth=1
	v_cmp_ne_u16_e64 s[0:1], 0, v2
	s_andn2_b64 s[40:41], s[40:41], exec
	s_and_b64 s[0:1], s[0:1], exec
	v_mov_b32_e32 v28, 0
	s_or_b64 s[40:41], s[40:41], s[0:1]
	s_or_b64 exec, exec, s[42:43]
	s_and_saveexec_b64 s[42:43], s[40:41]
	s_cbranch_execnz .LBB241_23
	s_branch .LBB241_24
.LBB241_146:                            ;   in Loop: Header=BB241_13 Depth=1
	v_cmp_eq_u16_sdwa s[56:57], v2, s53 src0_sel:BYTE_0 src1_sel:DWORD
	s_mov_b64 s[0:1], -1
                                        ; implicit-def: $sgpr44
	s_and_saveexec_b64 s[42:43], s[56:57]
; %bb.147:                              ;   in Loop: Header=BB241_13 Depth=1
	s_mov_b32 s44, 0x7fc02000
	s_xor_b64 s[0:1], exec, -1
; %bb.148:                              ;   in Loop: Header=BB241_13 Depth=1
	s_or_b64 exec, exec, s[42:43]
	s_and_b64 s[0:1], s[0:1], exec
	s_or_saveexec_b64 s[40:41], s[40:41]
	v_mov_b32_e32 v29, s44
	s_xor_b64 exec, exec, s[40:41]
	s_cbranch_execz .LBB241_26
.LBB241_149:                            ;   in Loop: Header=BB241_13 Depth=1
	v_cmp_ne_u16_sdwa s[42:43], v2, v3 src0_sel:BYTE_0 src1_sel:DWORD
	s_andn2_b64 s[0:1], s[0:1], exec
	s_and_b64 s[42:43], s[42:43], exec
	v_mov_b32_e32 v29, 0
	s_or_b64 s[0:1], s[0:1], s[42:43]
	s_or_b64 exec, exec, s[40:41]
	v_and_b32_e32 v2, 0xffff, v2
	s_and_saveexec_b64 s[40:41], s[0:1]
	s_cbranch_execnz .LBB241_27
	s_branch .LBB241_28
.LBB241_150:                            ;   in Loop: Header=BB241_13 Depth=1
	v_cmp_eq_u16_e64 s[0:1], s53, v2
	s_mov_b64 s[40:41], -1
                                        ; implicit-def: $sgpr55
	s_and_saveexec_b64 s[44:45], s[0:1]
; %bb.151:                              ;   in Loop: Header=BB241_13 Depth=1
	s_mov_b32 s55, 0x7fc02000
	s_xor_b64 s[40:41], exec, -1
; %bb.152:                              ;   in Loop: Header=BB241_13 Depth=1
	s_or_b64 exec, exec, s[44:45]
	s_and_b64 s[40:41], s[40:41], exec
	s_or_saveexec_b64 s[42:43], s[42:43]
	v_mov_b32_e32 v30, s55
	s_xor_b64 exec, exec, s[42:43]
	s_cbranch_execz .LBB241_30
.LBB241_153:                            ;   in Loop: Header=BB241_13 Depth=1
	v_cmp_ne_u16_e64 s[0:1], 0, v2
	s_andn2_b64 s[40:41], s[40:41], exec
	s_and_b64 s[0:1], s[0:1], exec
	v_mov_b32_e32 v30, 0
	s_or_b64 s[40:41], s[40:41], s[0:1]
	s_or_b64 exec, exec, s[42:43]
	s_and_saveexec_b64 s[42:43], s[40:41]
	s_cbranch_execnz .LBB241_31
	s_branch .LBB241_32
.LBB241_154:                            ;   in Loop: Header=BB241_13 Depth=1
	v_cmp_eq_u16_sdwa s[56:57], v2, s53 src0_sel:BYTE_0 src1_sel:DWORD
	s_mov_b64 s[0:1], -1
                                        ; implicit-def: $sgpr44
	s_and_saveexec_b64 s[42:43], s[56:57]
; %bb.155:                              ;   in Loop: Header=BB241_13 Depth=1
	s_mov_b32 s44, 0x7fc02000
	s_xor_b64 s[0:1], exec, -1
; %bb.156:                              ;   in Loop: Header=BB241_13 Depth=1
	s_or_b64 exec, exec, s[42:43]
	s_and_b64 s[0:1], s[0:1], exec
	s_or_saveexec_b64 s[40:41], s[40:41]
	v_mov_b32_e32 v31, s44
	s_xor_b64 exec, exec, s[40:41]
	s_cbranch_execz .LBB241_34
.LBB241_157:                            ;   in Loop: Header=BB241_13 Depth=1
	v_cmp_ne_u16_sdwa s[42:43], v2, v3 src0_sel:BYTE_0 src1_sel:DWORD
	s_andn2_b64 s[0:1], s[0:1], exec
	s_and_b64 s[42:43], s[42:43], exec
	v_mov_b32_e32 v31, 0
	s_or_b64 s[0:1], s[0:1], s[42:43]
	s_or_b64 exec, exec, s[40:41]
	v_and_b32_e32 v2, 0xffff, v2
	s_and_saveexec_b64 s[40:41], s[0:1]
	s_cbranch_execnz .LBB241_35
	s_branch .LBB241_36
.LBB241_158:                            ;   in Loop: Header=BB241_13 Depth=1
	v_cmp_eq_u16_e64 s[0:1], s53, v2
	s_mov_b64 s[40:41], -1
                                        ; implicit-def: $sgpr55
	s_and_saveexec_b64 s[44:45], s[0:1]
; %bb.159:                              ;   in Loop: Header=BB241_13 Depth=1
	s_mov_b32 s55, 0x7fc02000
	s_xor_b64 s[40:41], exec, -1
; %bb.160:                              ;   in Loop: Header=BB241_13 Depth=1
	s_or_b64 exec, exec, s[44:45]
	s_and_b64 s[40:41], s[40:41], exec
	s_or_saveexec_b64 s[42:43], s[42:43]
	v_mov_b32_e32 v32, s55
	s_xor_b64 exec, exec, s[42:43]
	s_cbranch_execz .LBB241_38
.LBB241_161:                            ;   in Loop: Header=BB241_13 Depth=1
	v_cmp_ne_u16_e64 s[0:1], 0, v2
	s_andn2_b64 s[40:41], s[40:41], exec
	s_and_b64 s[0:1], s[0:1], exec
	v_mov_b32_e32 v32, 0
	s_or_b64 s[40:41], s[40:41], s[0:1]
	s_or_b64 exec, exec, s[42:43]
	s_and_saveexec_b64 s[42:43], s[40:41]
	s_cbranch_execnz .LBB241_39
	s_branch .LBB241_40
.LBB241_162:                            ;   in Loop: Header=BB241_13 Depth=1
	v_cmp_eq_u16_sdwa s[56:57], v2, s53 src0_sel:BYTE_0 src1_sel:DWORD
	s_mov_b64 s[0:1], -1
                                        ; implicit-def: $sgpr44
	s_and_saveexec_b64 s[42:43], s[56:57]
; %bb.163:                              ;   in Loop: Header=BB241_13 Depth=1
	s_mov_b32 s44, 0x7fc02000
	s_xor_b64 s[0:1], exec, -1
; %bb.164:                              ;   in Loop: Header=BB241_13 Depth=1
	s_or_b64 exec, exec, s[42:43]
	s_and_b64 s[0:1], s[0:1], exec
	s_or_saveexec_b64 s[40:41], s[40:41]
	v_mov_b32_e32 v33, s44
	s_xor_b64 exec, exec, s[40:41]
	s_cbranch_execz .LBB241_42
.LBB241_165:                            ;   in Loop: Header=BB241_13 Depth=1
	v_cmp_ne_u16_sdwa s[42:43], v2, v3 src0_sel:BYTE_0 src1_sel:DWORD
	s_andn2_b64 s[0:1], s[0:1], exec
	s_and_b64 s[42:43], s[42:43], exec
	v_mov_b32_e32 v33, 0
	s_or_b64 s[0:1], s[0:1], s[42:43]
	s_or_b64 exec, exec, s[40:41]
	v_and_b32_e32 v2, 0xffff, v2
	s_and_saveexec_b64 s[40:41], s[0:1]
	s_cbranch_execnz .LBB241_43
	s_branch .LBB241_44
.LBB241_166:                            ;   in Loop: Header=BB241_13 Depth=1
	v_cmp_eq_u16_e64 s[0:1], s53, v2
	s_mov_b64 s[40:41], -1
                                        ; implicit-def: $sgpr55
	s_and_saveexec_b64 s[44:45], s[0:1]
; %bb.167:                              ;   in Loop: Header=BB241_13 Depth=1
	s_mov_b32 s55, 0x7fc02000
	s_xor_b64 s[40:41], exec, -1
; %bb.168:                              ;   in Loop: Header=BB241_13 Depth=1
	s_or_b64 exec, exec, s[44:45]
	s_and_b64 s[40:41], s[40:41], exec
	s_or_saveexec_b64 s[42:43], s[42:43]
	v_mov_b32_e32 v34, s55
	s_xor_b64 exec, exec, s[42:43]
	s_cbranch_execz .LBB241_46
.LBB241_169:                            ;   in Loop: Header=BB241_13 Depth=1
	v_cmp_ne_u16_e64 s[0:1], 0, v2
	s_andn2_b64 s[40:41], s[40:41], exec
	s_and_b64 s[0:1], s[0:1], exec
	v_mov_b32_e32 v34, 0
	s_or_b64 s[40:41], s[40:41], s[0:1]
	s_or_b64 exec, exec, s[42:43]
	s_and_saveexec_b64 s[42:43], s[40:41]
	s_cbranch_execnz .LBB241_47
	s_branch .LBB241_48
.LBB241_170:                            ;   in Loop: Header=BB241_13 Depth=1
	v_cmp_eq_u16_sdwa s[56:57], v2, s53 src0_sel:BYTE_0 src1_sel:DWORD
	s_mov_b64 s[0:1], -1
                                        ; implicit-def: $sgpr44
	s_and_saveexec_b64 s[42:43], s[56:57]
; %bb.171:                              ;   in Loop: Header=BB241_13 Depth=1
	s_mov_b32 s44, 0x7fc02000
	s_xor_b64 s[0:1], exec, -1
; %bb.172:                              ;   in Loop: Header=BB241_13 Depth=1
	s_or_b64 exec, exec, s[42:43]
	s_and_b64 s[0:1], s[0:1], exec
	s_or_saveexec_b64 s[40:41], s[40:41]
	v_mov_b32_e32 v35, s44
	s_xor_b64 exec, exec, s[40:41]
	s_cbranch_execz .LBB241_50
.LBB241_173:                            ;   in Loop: Header=BB241_13 Depth=1
	v_cmp_ne_u16_sdwa s[42:43], v2, v3 src0_sel:BYTE_0 src1_sel:DWORD
	s_andn2_b64 s[0:1], s[0:1], exec
	s_and_b64 s[42:43], s[42:43], exec
	v_mov_b32_e32 v35, 0
	s_or_b64 s[0:1], s[0:1], s[42:43]
	s_or_b64 exec, exec, s[40:41]
	v_and_b32_e32 v2, 0xffff, v2
	s_and_saveexec_b64 s[40:41], s[0:1]
	s_cbranch_execnz .LBB241_51
	s_branch .LBB241_52
.LBB241_174:                            ;   in Loop: Header=BB241_13 Depth=1
	v_cmp_eq_u16_e64 s[0:1], s53, v2
	s_mov_b64 s[40:41], -1
                                        ; implicit-def: $sgpr55
	s_and_saveexec_b64 s[44:45], s[0:1]
; %bb.175:                              ;   in Loop: Header=BB241_13 Depth=1
	s_mov_b32 s55, 0x7fc02000
	s_xor_b64 s[40:41], exec, -1
; %bb.176:                              ;   in Loop: Header=BB241_13 Depth=1
	s_or_b64 exec, exec, s[44:45]
	s_and_b64 s[40:41], s[40:41], exec
	s_or_saveexec_b64 s[42:43], s[42:43]
	v_mov_b32_e32 v36, s55
	s_xor_b64 exec, exec, s[42:43]
	s_cbranch_execz .LBB241_54
.LBB241_177:                            ;   in Loop: Header=BB241_13 Depth=1
	v_cmp_ne_u16_e64 s[0:1], 0, v2
	s_andn2_b64 s[40:41], s[40:41], exec
	s_and_b64 s[0:1], s[0:1], exec
	v_mov_b32_e32 v36, 0
	s_or_b64 s[40:41], s[40:41], s[0:1]
	s_or_b64 exec, exec, s[42:43]
	s_and_saveexec_b64 s[42:43], s[40:41]
	s_cbranch_execnz .LBB241_55
	s_branch .LBB241_56
.LBB241_178:                            ;   in Loop: Header=BB241_13 Depth=1
	v_cmp_eq_u16_sdwa s[56:57], v2, s53 src0_sel:BYTE_0 src1_sel:DWORD
	s_mov_b64 s[0:1], -1
                                        ; implicit-def: $sgpr44
	s_and_saveexec_b64 s[42:43], s[56:57]
; %bb.179:                              ;   in Loop: Header=BB241_13 Depth=1
	s_mov_b32 s44, 0x7fc02000
	s_xor_b64 s[0:1], exec, -1
; %bb.180:                              ;   in Loop: Header=BB241_13 Depth=1
	s_or_b64 exec, exec, s[42:43]
	s_and_b64 s[0:1], s[0:1], exec
	s_or_saveexec_b64 s[40:41], s[40:41]
	v_mov_b32_e32 v37, s44
	s_xor_b64 exec, exec, s[40:41]
	s_cbranch_execz .LBB241_58
.LBB241_181:                            ;   in Loop: Header=BB241_13 Depth=1
	v_cmp_ne_u16_sdwa s[42:43], v2, v3 src0_sel:BYTE_0 src1_sel:DWORD
	s_andn2_b64 s[0:1], s[0:1], exec
	s_and_b64 s[42:43], s[42:43], exec
	v_mov_b32_e32 v37, 0
	s_or_b64 s[0:1], s[0:1], s[42:43]
	s_or_b64 exec, exec, s[40:41]
	v_and_b32_e32 v2, 0xffff, v2
	s_and_saveexec_b64 s[40:41], s[0:1]
	s_cbranch_execnz .LBB241_59
	s_branch .LBB241_60
.LBB241_182:                            ;   in Loop: Header=BB241_13 Depth=1
	v_cmp_eq_u16_e64 s[0:1], s53, v2
	s_mov_b64 s[40:41], -1
                                        ; implicit-def: $sgpr55
	s_and_saveexec_b64 s[44:45], s[0:1]
; %bb.183:                              ;   in Loop: Header=BB241_13 Depth=1
	s_mov_b32 s55, 0x7fc02000
	s_xor_b64 s[40:41], exec, -1
; %bb.184:                              ;   in Loop: Header=BB241_13 Depth=1
	s_or_b64 exec, exec, s[44:45]
	s_and_b64 s[40:41], s[40:41], exec
	s_or_saveexec_b64 s[42:43], s[42:43]
	v_mov_b32_e32 v38, s55
	s_xor_b64 exec, exec, s[42:43]
	s_cbranch_execz .LBB241_62
.LBB241_185:                            ;   in Loop: Header=BB241_13 Depth=1
	v_cmp_ne_u16_e64 s[0:1], 0, v2
	s_andn2_b64 s[40:41], s[40:41], exec
	s_and_b64 s[0:1], s[0:1], exec
	v_mov_b32_e32 v38, 0
	s_or_b64 s[40:41], s[40:41], s[0:1]
	s_or_b64 exec, exec, s[42:43]
	s_and_saveexec_b64 s[42:43], s[40:41]
	s_cbranch_execnz .LBB241_63
	s_branch .LBB241_64
.LBB241_186:                            ;   in Loop: Header=BB241_13 Depth=1
	v_cmp_eq_u16_sdwa s[56:57], v2, s53 src0_sel:BYTE_0 src1_sel:DWORD
	s_mov_b64 s[0:1], -1
                                        ; implicit-def: $sgpr44
	s_and_saveexec_b64 s[42:43], s[56:57]
; %bb.187:                              ;   in Loop: Header=BB241_13 Depth=1
	s_mov_b32 s44, 0x7fc02000
	s_xor_b64 s[0:1], exec, -1
; %bb.188:                              ;   in Loop: Header=BB241_13 Depth=1
	s_or_b64 exec, exec, s[42:43]
	s_and_b64 s[0:1], s[0:1], exec
	s_or_saveexec_b64 s[40:41], s[40:41]
	v_mov_b32_e32 v39, s44
	s_xor_b64 exec, exec, s[40:41]
	s_cbranch_execz .LBB241_66
.LBB241_189:                            ;   in Loop: Header=BB241_13 Depth=1
	v_cmp_ne_u16_sdwa s[42:43], v2, v3 src0_sel:BYTE_0 src1_sel:DWORD
	s_andn2_b64 s[0:1], s[0:1], exec
	s_and_b64 s[42:43], s[42:43], exec
	v_mov_b32_e32 v39, 0
	s_or_b64 s[0:1], s[0:1], s[42:43]
	s_or_b64 exec, exec, s[40:41]
	v_and_b32_e32 v2, 0xffff, v2
	s_and_saveexec_b64 s[40:41], s[0:1]
	s_cbranch_execnz .LBB241_67
	s_branch .LBB241_68
.LBB241_190:                            ;   in Loop: Header=BB241_13 Depth=1
	v_cmp_eq_u16_e64 s[0:1], s53, v2
	s_mov_b64 s[40:41], -1
                                        ; implicit-def: $sgpr55
	s_and_saveexec_b64 s[44:45], s[0:1]
; %bb.191:                              ;   in Loop: Header=BB241_13 Depth=1
	s_mov_b32 s55, 0x7fc02000
	s_xor_b64 s[40:41], exec, -1
; %bb.192:                              ;   in Loop: Header=BB241_13 Depth=1
	s_or_b64 exec, exec, s[44:45]
	s_and_b64 s[40:41], s[40:41], exec
	s_or_saveexec_b64 s[42:43], s[42:43]
	v_mov_b32_e32 v40, s55
	s_xor_b64 exec, exec, s[42:43]
	s_cbranch_execz .LBB241_70
.LBB241_193:                            ;   in Loop: Header=BB241_13 Depth=1
	v_cmp_ne_u16_e64 s[0:1], 0, v2
	s_andn2_b64 s[40:41], s[40:41], exec
	s_and_b64 s[0:1], s[0:1], exec
	v_mov_b32_e32 v40, 0
	s_or_b64 s[40:41], s[40:41], s[0:1]
	s_or_b64 exec, exec, s[42:43]
	s_and_saveexec_b64 s[42:43], s[40:41]
	s_cbranch_execnz .LBB241_71
	s_branch .LBB241_72
.LBB241_194:                            ;   in Loop: Header=BB241_13 Depth=1
	v_cmp_eq_u16_sdwa s[56:57], v2, s53 src0_sel:BYTE_0 src1_sel:DWORD
	s_mov_b64 s[0:1], -1
                                        ; implicit-def: $sgpr44
	s_and_saveexec_b64 s[42:43], s[56:57]
; %bb.195:                              ;   in Loop: Header=BB241_13 Depth=1
	s_mov_b32 s44, 0x7fc02000
	s_xor_b64 s[0:1], exec, -1
; %bb.196:                              ;   in Loop: Header=BB241_13 Depth=1
	s_or_b64 exec, exec, s[42:43]
	s_and_b64 s[0:1], s[0:1], exec
	s_or_saveexec_b64 s[40:41], s[40:41]
	v_mov_b32_e32 v41, s44
	s_xor_b64 exec, exec, s[40:41]
	s_cbranch_execz .LBB241_74
.LBB241_197:                            ;   in Loop: Header=BB241_13 Depth=1
	v_cmp_ne_u16_sdwa s[42:43], v2, v3 src0_sel:BYTE_0 src1_sel:DWORD
	s_andn2_b64 s[0:1], s[0:1], exec
	s_and_b64 s[42:43], s[42:43], exec
	v_mov_b32_e32 v41, 0
	s_or_b64 s[0:1], s[0:1], s[42:43]
	s_or_b64 exec, exec, s[40:41]
	v_and_b32_e32 v2, 0xffff, v2
	s_and_saveexec_b64 s[40:41], s[0:1]
	s_cbranch_execnz .LBB241_75
	s_branch .LBB241_76
.LBB241_198:                            ;   in Loop: Header=BB241_13 Depth=1
	v_cmp_eq_u16_e64 s[0:1], s53, v2
	s_mov_b64 s[40:41], -1
                                        ; implicit-def: $sgpr55
	s_and_saveexec_b64 s[44:45], s[0:1]
; %bb.199:                              ;   in Loop: Header=BB241_13 Depth=1
	s_mov_b32 s55, 0x7fc02000
	s_xor_b64 s[40:41], exec, -1
; %bb.200:                              ;   in Loop: Header=BB241_13 Depth=1
	s_or_b64 exec, exec, s[44:45]
	s_and_b64 s[40:41], s[40:41], exec
	s_or_saveexec_b64 s[42:43], s[42:43]
	v_mov_b32_e32 v42, s55
	s_xor_b64 exec, exec, s[42:43]
	s_cbranch_execz .LBB241_78
.LBB241_201:                            ;   in Loop: Header=BB241_13 Depth=1
	v_cmp_ne_u16_e64 s[0:1], 0, v2
	s_andn2_b64 s[40:41], s[40:41], exec
	s_and_b64 s[0:1], s[0:1], exec
	v_mov_b32_e32 v42, 0
	s_or_b64 s[40:41], s[40:41], s[0:1]
	s_or_b64 exec, exec, s[42:43]
	s_and_saveexec_b64 s[42:43], s[40:41]
	s_cbranch_execnz .LBB241_79
	s_branch .LBB241_80
.LBB241_202:                            ;   in Loop: Header=BB241_13 Depth=1
	v_cmp_eq_u16_sdwa s[56:57], v2, s53 src0_sel:BYTE_0 src1_sel:DWORD
	s_mov_b64 s[0:1], -1
                                        ; implicit-def: $sgpr44
	s_and_saveexec_b64 s[42:43], s[56:57]
; %bb.203:                              ;   in Loop: Header=BB241_13 Depth=1
	s_mov_b32 s44, 0x7fc02000
	s_xor_b64 s[0:1], exec, -1
; %bb.204:                              ;   in Loop: Header=BB241_13 Depth=1
	s_or_b64 exec, exec, s[42:43]
	s_and_b64 s[0:1], s[0:1], exec
	s_or_saveexec_b64 s[40:41], s[40:41]
	v_mov_b32_e32 v43, s44
	s_xor_b64 exec, exec, s[40:41]
	s_cbranch_execz .LBB241_82
.LBB241_205:                            ;   in Loop: Header=BB241_13 Depth=1
	v_cmp_ne_u16_sdwa s[42:43], v2, v3 src0_sel:BYTE_0 src1_sel:DWORD
	s_andn2_b64 s[0:1], s[0:1], exec
	s_and_b64 s[42:43], s[42:43], exec
	v_mov_b32_e32 v43, 0
	s_or_b64 s[0:1], s[0:1], s[42:43]
	s_or_b64 exec, exec, s[40:41]
	v_and_b32_e32 v2, 0xffff, v2
	s_and_saveexec_b64 s[40:41], s[0:1]
	s_cbranch_execnz .LBB241_83
	s_branch .LBB241_84
.LBB241_206:                            ;   in Loop: Header=BB241_13 Depth=1
	v_cmp_eq_u16_e64 s[0:1], s53, v2
	s_mov_b64 s[40:41], -1
                                        ; implicit-def: $sgpr55
	s_and_saveexec_b64 s[44:45], s[0:1]
; %bb.207:                              ;   in Loop: Header=BB241_13 Depth=1
	s_mov_b32 s55, 0x7fc02000
	s_xor_b64 s[40:41], exec, -1
; %bb.208:                              ;   in Loop: Header=BB241_13 Depth=1
	s_or_b64 exec, exec, s[44:45]
	s_and_b64 s[40:41], s[40:41], exec
	s_or_saveexec_b64 s[42:43], s[42:43]
	v_mov_b32_e32 v44, s55
	s_xor_b64 exec, exec, s[42:43]
	s_cbranch_execz .LBB241_86
.LBB241_209:                            ;   in Loop: Header=BB241_13 Depth=1
	v_cmp_ne_u16_e64 s[0:1], 0, v2
	s_andn2_b64 s[40:41], s[40:41], exec
	s_and_b64 s[0:1], s[0:1], exec
	v_mov_b32_e32 v44, 0
	s_or_b64 s[40:41], s[40:41], s[0:1]
	s_or_b64 exec, exec, s[42:43]
	s_and_saveexec_b64 s[42:43], s[40:41]
	s_cbranch_execnz .LBB241_87
	s_branch .LBB241_88
.LBB241_210:                            ;   in Loop: Header=BB241_13 Depth=1
	v_cmp_eq_u16_sdwa s[56:57], v2, s53 src0_sel:BYTE_0 src1_sel:DWORD
	s_mov_b64 s[0:1], -1
                                        ; implicit-def: $sgpr44
	s_and_saveexec_b64 s[42:43], s[56:57]
; %bb.211:                              ;   in Loop: Header=BB241_13 Depth=1
	s_mov_b32 s44, 0x7fc02000
	s_xor_b64 s[0:1], exec, -1
; %bb.212:                              ;   in Loop: Header=BB241_13 Depth=1
	s_or_b64 exec, exec, s[42:43]
	s_and_b64 s[0:1], s[0:1], exec
	s_or_saveexec_b64 s[40:41], s[40:41]
	v_mov_b32_e32 v45, s44
	s_xor_b64 exec, exec, s[40:41]
	s_cbranch_execz .LBB241_90
.LBB241_213:                            ;   in Loop: Header=BB241_13 Depth=1
	v_cmp_ne_u16_sdwa s[42:43], v2, v3 src0_sel:BYTE_0 src1_sel:DWORD
	s_andn2_b64 s[0:1], s[0:1], exec
	s_and_b64 s[42:43], s[42:43], exec
	v_mov_b32_e32 v45, 0
	s_or_b64 s[0:1], s[0:1], s[42:43]
	s_or_b64 exec, exec, s[40:41]
	v_and_b32_e32 v2, 0xffff, v2
	s_and_saveexec_b64 s[40:41], s[0:1]
	s_cbranch_execnz .LBB241_91
	s_branch .LBB241_92
.LBB241_214:                            ;   in Loop: Header=BB241_13 Depth=1
	v_cmp_eq_u16_e64 s[0:1], s53, v2
	s_mov_b64 s[40:41], -1
                                        ; implicit-def: $sgpr55
	s_and_saveexec_b64 s[44:45], s[0:1]
; %bb.215:                              ;   in Loop: Header=BB241_13 Depth=1
	s_mov_b32 s55, 0x7fc02000
	s_xor_b64 s[40:41], exec, -1
; %bb.216:                              ;   in Loop: Header=BB241_13 Depth=1
	s_or_b64 exec, exec, s[44:45]
	s_and_b64 s[40:41], s[40:41], exec
	s_or_saveexec_b64 s[42:43], s[42:43]
	v_mov_b32_e32 v46, s55
	s_xor_b64 exec, exec, s[42:43]
	s_cbranch_execz .LBB241_94
.LBB241_217:                            ;   in Loop: Header=BB241_13 Depth=1
	v_cmp_ne_u16_e64 s[0:1], 0, v2
	s_andn2_b64 s[40:41], s[40:41], exec
	s_and_b64 s[0:1], s[0:1], exec
	v_mov_b32_e32 v46, 0
	s_or_b64 s[40:41], s[40:41], s[0:1]
	s_or_b64 exec, exec, s[42:43]
	s_and_saveexec_b64 s[42:43], s[40:41]
	s_cbranch_execnz .LBB241_95
	s_branch .LBB241_96
.LBB241_218:                            ;   in Loop: Header=BB241_13 Depth=1
	v_cmp_eq_u16_sdwa s[56:57], v2, s53 src0_sel:BYTE_0 src1_sel:DWORD
	s_mov_b64 s[0:1], -1
                                        ; implicit-def: $sgpr44
	s_and_saveexec_b64 s[42:43], s[56:57]
; %bb.219:                              ;   in Loop: Header=BB241_13 Depth=1
	s_mov_b32 s44, 0x7fc02000
	s_xor_b64 s[0:1], exec, -1
; %bb.220:                              ;   in Loop: Header=BB241_13 Depth=1
	s_or_b64 exec, exec, s[42:43]
	s_and_b64 s[0:1], s[0:1], exec
	s_or_saveexec_b64 s[40:41], s[40:41]
	v_mov_b32_e32 v47, s44
	s_xor_b64 exec, exec, s[40:41]
	s_cbranch_execz .LBB241_98
.LBB241_221:                            ;   in Loop: Header=BB241_13 Depth=1
	v_cmp_ne_u16_sdwa s[42:43], v2, v3 src0_sel:BYTE_0 src1_sel:DWORD
	s_andn2_b64 s[0:1], s[0:1], exec
	s_and_b64 s[42:43], s[42:43], exec
	v_mov_b32_e32 v47, 0
	s_or_b64 s[0:1], s[0:1], s[42:43]
	s_or_b64 exec, exec, s[40:41]
	v_and_b32_e32 v2, 0xffff, v2
	s_and_saveexec_b64 s[40:41], s[0:1]
	s_cbranch_execnz .LBB241_99
	s_branch .LBB241_100
.LBB241_222:                            ;   in Loop: Header=BB241_13 Depth=1
	v_cmp_eq_u16_e64 s[0:1], s53, v2
	s_mov_b64 s[40:41], -1
                                        ; implicit-def: $sgpr55
	s_and_saveexec_b64 s[44:45], s[0:1]
; %bb.223:                              ;   in Loop: Header=BB241_13 Depth=1
	s_mov_b32 s55, 0x7fc02000
	s_xor_b64 s[40:41], exec, -1
; %bb.224:                              ;   in Loop: Header=BB241_13 Depth=1
	s_or_b64 exec, exec, s[44:45]
	s_and_b64 s[40:41], s[40:41], exec
	s_or_saveexec_b64 s[42:43], s[42:43]
	v_mov_b32_e32 v48, s55
	s_xor_b64 exec, exec, s[42:43]
	s_cbranch_execz .LBB241_102
.LBB241_225:                            ;   in Loop: Header=BB241_13 Depth=1
	v_cmp_ne_u16_e64 s[0:1], 0, v2
	s_andn2_b64 s[40:41], s[40:41], exec
	s_and_b64 s[0:1], s[0:1], exec
	v_mov_b32_e32 v48, 0
	s_or_b64 s[40:41], s[40:41], s[0:1]
	s_or_b64 exec, exec, s[42:43]
	s_and_saveexec_b64 s[42:43], s[40:41]
	s_cbranch_execnz .LBB241_103
	s_branch .LBB241_104
.LBB241_226:                            ;   in Loop: Header=BB241_13 Depth=1
	v_cmp_eq_u16_sdwa s[56:57], v2, s53 src0_sel:BYTE_0 src1_sel:DWORD
	s_mov_b64 s[0:1], -1
                                        ; implicit-def: $sgpr44
	s_and_saveexec_b64 s[42:43], s[56:57]
; %bb.227:                              ;   in Loop: Header=BB241_13 Depth=1
	s_mov_b32 s44, 0x7fc02000
	s_xor_b64 s[0:1], exec, -1
; %bb.228:                              ;   in Loop: Header=BB241_13 Depth=1
	s_or_b64 exec, exec, s[42:43]
	s_and_b64 s[0:1], s[0:1], exec
	s_or_saveexec_b64 s[40:41], s[40:41]
	v_mov_b32_e32 v49, s44
	s_xor_b64 exec, exec, s[40:41]
	s_cbranch_execz .LBB241_106
.LBB241_229:                            ;   in Loop: Header=BB241_13 Depth=1
	v_cmp_ne_u16_sdwa s[42:43], v2, v3 src0_sel:BYTE_0 src1_sel:DWORD
	s_andn2_b64 s[0:1], s[0:1], exec
	s_and_b64 s[42:43], s[42:43], exec
	v_mov_b32_e32 v49, 0
	s_or_b64 s[0:1], s[0:1], s[42:43]
	s_or_b64 exec, exec, s[40:41]
	v_and_b32_e32 v2, 0xffff, v2
	s_and_saveexec_b64 s[40:41], s[0:1]
	s_cbranch_execnz .LBB241_107
	s_branch .LBB241_108
.LBB241_230:                            ;   in Loop: Header=BB241_13 Depth=1
	v_cmp_eq_u16_e64 s[0:1], s53, v2
	s_mov_b64 s[40:41], -1
                                        ; implicit-def: $sgpr55
	s_and_saveexec_b64 s[44:45], s[0:1]
; %bb.231:                              ;   in Loop: Header=BB241_13 Depth=1
	s_mov_b32 s55, 0x7fc02000
	s_xor_b64 s[40:41], exec, -1
; %bb.232:                              ;   in Loop: Header=BB241_13 Depth=1
	s_or_b64 exec, exec, s[44:45]
	s_and_b64 s[40:41], s[40:41], exec
	s_or_saveexec_b64 s[42:43], s[42:43]
	v_mov_b32_e32 v50, s55
	s_xor_b64 exec, exec, s[42:43]
	s_cbranch_execz .LBB241_110
.LBB241_233:                            ;   in Loop: Header=BB241_13 Depth=1
	v_cmp_ne_u16_e64 s[0:1], 0, v2
	s_andn2_b64 s[40:41], s[40:41], exec
	s_and_b64 s[0:1], s[0:1], exec
	v_mov_b32_e32 v50, 0
	s_or_b64 s[40:41], s[40:41], s[0:1]
	s_or_b64 exec, exec, s[42:43]
	s_and_saveexec_b64 s[42:43], s[40:41]
	s_cbranch_execnz .LBB241_111
	s_branch .LBB241_112
.LBB241_234:                            ;   in Loop: Header=BB241_13 Depth=1
	v_cmp_eq_u16_sdwa s[56:57], v2, s53 src0_sel:BYTE_0 src1_sel:DWORD
	s_mov_b64 s[0:1], -1
                                        ; implicit-def: $sgpr44
	s_and_saveexec_b64 s[42:43], s[56:57]
; %bb.235:                              ;   in Loop: Header=BB241_13 Depth=1
	s_mov_b32 s44, 0x7fc02000
	s_xor_b64 s[0:1], exec, -1
; %bb.236:                              ;   in Loop: Header=BB241_13 Depth=1
	s_or_b64 exec, exec, s[42:43]
	s_and_b64 s[0:1], s[0:1], exec
	s_or_saveexec_b64 s[40:41], s[40:41]
	v_mov_b32_e32 v51, s44
	s_xor_b64 exec, exec, s[40:41]
	s_cbranch_execz .LBB241_114
.LBB241_237:                            ;   in Loop: Header=BB241_13 Depth=1
	v_cmp_ne_u16_sdwa s[42:43], v2, v3 src0_sel:BYTE_0 src1_sel:DWORD
	s_andn2_b64 s[0:1], s[0:1], exec
	s_and_b64 s[42:43], s[42:43], exec
	v_mov_b32_e32 v51, 0
	s_or_b64 s[0:1], s[0:1], s[42:43]
	s_or_b64 exec, exec, s[40:41]
	v_and_b32_e32 v2, 0xffff, v2
	s_and_saveexec_b64 s[40:41], s[0:1]
	s_cbranch_execnz .LBB241_115
	s_branch .LBB241_116
.LBB241_238:                            ;   in Loop: Header=BB241_13 Depth=1
	v_cmp_eq_u16_e64 s[0:1], s53, v2
	s_mov_b64 s[40:41], -1
                                        ; implicit-def: $sgpr55
	s_and_saveexec_b64 s[44:45], s[0:1]
; %bb.239:                              ;   in Loop: Header=BB241_13 Depth=1
	s_mov_b32 s55, 0x7fc02000
	s_xor_b64 s[40:41], exec, -1
; %bb.240:                              ;   in Loop: Header=BB241_13 Depth=1
	s_or_b64 exec, exec, s[44:45]
	s_and_b64 s[40:41], s[40:41], exec
	s_or_saveexec_b64 s[42:43], s[42:43]
	v_mov_b32_e32 v52, s55
	s_xor_b64 exec, exec, s[42:43]
	s_cbranch_execz .LBB241_118
.LBB241_241:                            ;   in Loop: Header=BB241_13 Depth=1
	v_cmp_ne_u16_e64 s[0:1], 0, v2
	s_andn2_b64 s[40:41], s[40:41], exec
	s_and_b64 s[0:1], s[0:1], exec
	v_mov_b32_e32 v52, 0
	s_or_b64 s[40:41], s[40:41], s[0:1]
	s_or_b64 exec, exec, s[42:43]
	s_and_saveexec_b64 s[42:43], s[40:41]
	s_cbranch_execnz .LBB241_119
	s_branch .LBB241_120
.LBB241_242:                            ;   in Loop: Header=BB241_13 Depth=1
	v_cmp_eq_u16_sdwa s[56:57], v2, s53 src0_sel:BYTE_0 src1_sel:DWORD
	s_mov_b64 s[0:1], -1
                                        ; implicit-def: $sgpr44
	s_and_saveexec_b64 s[42:43], s[56:57]
; %bb.243:                              ;   in Loop: Header=BB241_13 Depth=1
	s_mov_b32 s44, 0x7fc02000
	s_xor_b64 s[0:1], exec, -1
; %bb.244:                              ;   in Loop: Header=BB241_13 Depth=1
	s_or_b64 exec, exec, s[42:43]
	s_and_b64 s[0:1], s[0:1], exec
	s_or_saveexec_b64 s[40:41], s[40:41]
	v_mov_b32_e32 v53, s44
	s_xor_b64 exec, exec, s[40:41]
	s_cbranch_execz .LBB241_122
.LBB241_245:                            ;   in Loop: Header=BB241_13 Depth=1
	v_cmp_ne_u16_sdwa s[42:43], v2, v3 src0_sel:BYTE_0 src1_sel:DWORD
	s_andn2_b64 s[0:1], s[0:1], exec
	s_and_b64 s[42:43], s[42:43], exec
	v_mov_b32_e32 v53, 0
	s_or_b64 s[0:1], s[0:1], s[42:43]
	s_or_b64 exec, exec, s[40:41]
	v_and_b32_e32 v2, 0xffff, v2
	s_and_saveexec_b64 s[40:41], s[0:1]
	s_cbranch_execnz .LBB241_123
	s_branch .LBB241_124
.LBB241_246:                            ;   in Loop: Header=BB241_13 Depth=1
	v_cmp_eq_u16_e64 s[0:1], s53, v2
	s_mov_b64 s[40:41], -1
                                        ; implicit-def: $sgpr55
	s_and_saveexec_b64 s[44:45], s[0:1]
; %bb.247:                              ;   in Loop: Header=BB241_13 Depth=1
	s_mov_b32 s55, 0x7fc02000
	s_xor_b64 s[40:41], exec, -1
; %bb.248:                              ;   in Loop: Header=BB241_13 Depth=1
	s_or_b64 exec, exec, s[44:45]
	s_and_b64 s[40:41], s[40:41], exec
	s_or_saveexec_b64 s[42:43], s[42:43]
	v_mov_b32_e32 v54, s55
	s_xor_b64 exec, exec, s[42:43]
	s_cbranch_execz .LBB241_126
.LBB241_249:                            ;   in Loop: Header=BB241_13 Depth=1
	v_cmp_ne_u16_e64 s[0:1], 0, v2
	s_andn2_b64 s[40:41], s[40:41], exec
	s_and_b64 s[0:1], s[0:1], exec
	v_mov_b32_e32 v54, 0
	s_or_b64 s[40:41], s[40:41], s[0:1]
	s_or_b64 exec, exec, s[42:43]
	s_and_saveexec_b64 s[42:43], s[40:41]
	s_cbranch_execnz .LBB241_127
	s_branch .LBB241_128
.LBB241_250:                            ;   in Loop: Header=BB241_13 Depth=1
	v_cmp_eq_u16_sdwa s[56:57], v2, s53 src0_sel:BYTE_0 src1_sel:DWORD
	s_mov_b64 s[0:1], -1
                                        ; implicit-def: $sgpr44
	s_and_saveexec_b64 s[42:43], s[56:57]
; %bb.251:                              ;   in Loop: Header=BB241_13 Depth=1
	s_mov_b32 s44, 0x7fc02000
	s_xor_b64 s[0:1], exec, -1
; %bb.252:                              ;   in Loop: Header=BB241_13 Depth=1
	s_or_b64 exec, exec, s[42:43]
	s_and_b64 s[0:1], s[0:1], exec
	s_or_saveexec_b64 s[40:41], s[40:41]
	v_mov_b32_e32 v10, s44
	s_xor_b64 exec, exec, s[40:41]
	s_cbranch_execz .LBB241_130
.LBB241_253:                            ;   in Loop: Header=BB241_13 Depth=1
	v_cmp_ne_u16_sdwa s[42:43], v2, v3 src0_sel:BYTE_0 src1_sel:DWORD
	s_andn2_b64 s[0:1], s[0:1], exec
	s_and_b64 s[42:43], s[42:43], exec
	v_mov_b32_e32 v10, 0
	s_or_b64 s[0:1], s[0:1], s[42:43]
	s_or_b64 exec, exec, s[40:41]
	v_and_b32_e32 v2, 0xffff, v2
	s_and_saveexec_b64 s[40:41], s[0:1]
	s_cbranch_execnz .LBB241_131
	s_branch .LBB241_132
.LBB241_254:                            ;   in Loop: Header=BB241_13 Depth=1
	v_cmp_eq_u16_e64 s[0:1], s53, v2
	s_mov_b64 s[40:41], -1
                                        ; implicit-def: $sgpr55
	s_and_saveexec_b64 s[44:45], s[0:1]
; %bb.255:                              ;   in Loop: Header=BB241_13 Depth=1
	s_mov_b32 s55, 0x7fc02000
	s_xor_b64 s[40:41], exec, -1
; %bb.256:                              ;   in Loop: Header=BB241_13 Depth=1
	s_or_b64 exec, exec, s[44:45]
	s_and_b64 s[40:41], s[40:41], exec
	s_or_saveexec_b64 s[42:43], s[42:43]
	v_mov_b32_e32 v11, s55
	s_xor_b64 exec, exec, s[42:43]
	s_cbranch_execz .LBB241_134
.LBB241_257:                            ;   in Loop: Header=BB241_13 Depth=1
	v_cmp_ne_u16_e64 s[0:1], 0, v2
	s_andn2_b64 s[40:41], s[40:41], exec
	s_and_b64 s[0:1], s[0:1], exec
	v_mov_b32_e32 v11, 0
	s_or_b64 s[40:41], s[40:41], s[0:1]
	s_or_b64 exec, exec, s[42:43]
	s_and_saveexec_b64 s[42:43], s[40:41]
	s_cbranch_execnz .LBB241_135
	s_branch .LBB241_136
.LBB241_258:
	s_or_b64 exec, exec, s[38:39]
.LBB241_259:
	s_or_b64 exec, exec, s[18:19]
	v_mbcnt_hi_u32_b32 v2, -1, v13
	v_and_b32_e32 v3, 64, v2
	v_add_u32_e32 v3, 64, v3
	v_xor_b32_e32 v4, 32, v2
	v_cmp_lt_i32_e32 vcc, v4, v3
	v_xor_b32_e32 v7, 16, v2
	v_max_f32_e32 v6, v16, v16
	v_cndmask_b32_e32 v4, v2, v4, vcc
	v_lshlrev_b32_e32 v5, 2, v4
	ds_bpermute_b32 v4, v5, v16
	v_cmp_lt_i32_e32 vcc, v7, v3
	v_xor_b32_e32 v8, 8, v2
	s_waitcnt lgkmcnt(1)
	v_xor_b32_e32 v10, 4, v2
	s_waitcnt lgkmcnt(0)
	v_max_f32_e32 v4, v4, v4
	v_max_f32_e32 v4, v6, v4
	v_cndmask_b32_e32 v6, v2, v7, vcc
	v_lshlrev_b32_e32 v6, 2, v6
	ds_bpermute_b32 v7, v6, v4
	v_cmp_lt_i32_e32 vcc, v8, v3
	s_waitcnt lgkmcnt(0)
	v_max_f32_e32 v7, v7, v7
	v_max_f32_e32 v4, v4, v7
	v_cndmask_b32_e32 v7, v2, v8, vcc
	v_lshlrev_b32_e32 v9, 2, v7
	ds_bpermute_b32 v7, v9, v4
	v_cmp_lt_i32_e32 vcc, v10, v3
	s_waitcnt lgkmcnt(0)
	v_max_f32_e32 v7, v7, v7
	v_max_f32_e32 v8, v4, v7
	v_cndmask_b32_e32 v4, v2, v10, vcc
	v_lshlrev_b32_e32 v10, 2, v4
	ds_bpermute_b32 v11, v10, v8
	v_and_b32_e32 v4, 63, v0
	v_cmp_eq_u32_e32 vcc, 0, v4
	v_lshlrev_b32_e32 v7, 2, v1
	s_and_saveexec_b64 s[0:1], vcc
	s_cbranch_execz .LBB241_261
; %bb.260:
	s_waitcnt lgkmcnt(0)
	v_max_f32_e32 v11, v11, v11
	v_max_f32_e32 v8, v8, v8
	;; [unrolled: 1-line block ×3, first 2 shown]
	ds_write_b32 v7, v8 offset:240
.LBB241_261:
	s_or_b64 exec, exec, s[0:1]
	v_cmp_gt_u32_e64 s[0:1], 2, v4
	s_waitcnt lgkmcnt(0)
	v_mov_b32_e32 v11, 0xff7fffff
	v_lshlrev_b32_e32 v8, 2, v4
	s_barrier
	s_and_saveexec_b64 s[2:3], s[0:1]
	s_cbranch_execz .LBB241_263
; %bb.262:
	ds_read_b32 v11, v8 offset:240
.LBB241_263:
	s_or_b64 exec, exec, s[2:3]
	v_xor_b32_e32 v13, 1, v2
	v_cmp_lt_i32_e64 s[2:3], v13, v3
	v_lshlrev_b32_e32 v14, 2, v2
	s_nop 0
	v_cndmask_b32_e64 v13, v2, v13, s[2:3]
	v_lshlrev_b32_e32 v27, 2, v13
	s_waitcnt lgkmcnt(0)
	ds_bpermute_b32 v13, v27, v11
	v_max_f32_e32 v11, v11, v11
	s_lshl_b32 s2, s48, 4
	s_min_i32 s23, s2, s33
	v_cmp_gt_i32_e64 s[2:3], s23, v0
	s_waitcnt lgkmcnt(0)
	v_max_f32_e32 v13, v13, v13
	v_max_f32_e32 v13, v11, v13
	v_and_b32_e32 v11, 0x100, v14
	ds_bpermute_b32 v14, v11, v13
	v_mov_b32_e32 v13, 0
	s_and_saveexec_b64 s[12:13], s[2:3]
	s_cbranch_execz .LBB241_267
; %bb.264:
	v_mov_b32_e32 v13, 0x100
	v_lshl_add_u32 v15, v0, 2, v13
	s_mov_b64 s[18:19], 0
	v_mov_b32_e32 v13, 0
	v_mov_b32_e32 v16, v0
.LBB241_265:                            ; =>This Inner Loop Header: Depth=1
	ds_read_b32 v17, v15
	v_add_u32_e32 v16, 0x80, v16
	v_cmp_le_i32_e64 s[8:9], s23, v16
	s_or_b64 s[18:19], s[8:9], s[18:19]
	s_waitcnt lgkmcnt(0)
	v_sub_f32_e32 v17, v17, v14
	v_mul_f32_e32 v17, 0x3fb8aa3b, v17
	v_exp_f32_e32 v17, v17
	ds_write_b32 v15, v17
	v_add_f32_e32 v13, v13, v17
	v_add_u32_e32 v15, 0x200, v15
	s_andn2_b64 exec, exec, s[18:19]
	s_cbranch_execnz .LBB241_265
; %bb.266:
	s_or_b64 exec, exec, s[18:19]
.LBB241_267:
	s_or_b64 exec, exec, s[12:13]
	ds_bpermute_b32 v5, v5, v13
	s_waitcnt lgkmcnt(0)
	v_add_f32_e32 v5, v13, v5
	ds_bpermute_b32 v6, v6, v5
	s_waitcnt lgkmcnt(0)
	v_add_f32_e32 v5, v5, v6
	ds_bpermute_b32 v6, v9, v5
	v_xor_b32_e32 v9, 2, v2
	v_cmp_lt_i32_e64 s[8:9], v9, v3
	s_waitcnt lgkmcnt(0)
	v_add_f32_e32 v5, v5, v6
	ds_bpermute_b32 v6, v10, v5
	v_cndmask_b32_e64 v2, v2, v9, s[8:9]
	v_lshlrev_b32_e32 v2, 2, v2
	s_waitcnt lgkmcnt(0)
	v_add_f32_e32 v3, v5, v6
	ds_bpermute_b32 v2, v2, v3
	s_waitcnt lgkmcnt(0)
	v_add_f32_e32 v2, v3, v2
	ds_bpermute_b32 v3, v27, v2
	s_waitcnt lgkmcnt(0)
	v_add_f32_e32 v2, v2, v3
	s_and_saveexec_b64 s[8:9], vcc
	s_cbranch_execz .LBB241_269
; %bb.268:
	ds_write_b32 v7, v2 offset:248
.LBB241_269:
	s_or_b64 exec, exec, s[8:9]
	s_waitcnt lgkmcnt(0)
	s_barrier
	s_and_saveexec_b64 s[8:9], s[0:1]
	s_cbranch_execz .LBB241_271
; %bb.270:
	ds_read_b32 v2, v8 offset:248
.LBB241_271:
	s_or_b64 exec, exec, s[8:9]
	s_waitcnt lgkmcnt(0)
	ds_bpermute_b32 v3, v27, v2
	s_waitcnt lgkmcnt(0)
	v_add_f32_e32 v2, v2, v3
	ds_bpermute_b32 v2, v11, v2
	s_and_saveexec_b64 s[0:1], s[2:3]
	s_cbranch_execz .LBB241_284
; %bb.272:
	s_waitcnt lgkmcnt(0)
	v_add_f32_e32 v2, 0x358637bd, v2
	v_div_scale_f32 v3, s[2:3], v2, v2, 1.0
	v_rcp_f32_e32 v5, v3
	v_div_scale_f32 v6, vcc, 1.0, v2, 1.0
	s_movk_i32 s2, 0x7f
	v_fma_f32 v7, -v3, v5, 1.0
	v_fmac_f32_e32 v5, v7, v5
	v_mul_f32_e32 v7, v6, v5
	v_fma_f32 v8, -v3, v7, v6
	v_fmac_f32_e32 v7, v8, v5
	v_fma_f32 v3, -v3, v7, v6
	v_div_fmas_f32 v3, v3, v5, v7
	v_xad_u32 v5, v0, -1, s23
	v_div_fixup_f32 v2, v3, v2, 1.0
	v_cmp_lt_u32_e32 vcc, s2, v5
	s_mov_b64 s[8:9], -1
	v_mov_b32_e32 v3, v0
	s_and_saveexec_b64 s[2:3], vcc
	s_cbranch_execz .LBB241_281
; %bb.273:
	v_lshrrev_b32_e32 v5, 7, v5
	v_add_u32_e32 v7, -1, v5
	v_lshrrev_b32_e32 v6, 1, v7
	v_mov_b32_e32 v3, v2
	v_add_u32_e32 v6, 1, v6
	v_cmp_lt_u32_e32 vcc, 13, v7
	v_mov_b32_e32 v9, 0
	s_and_saveexec_b64 s[8:9], vcc
	s_cbranch_execz .LBB241_277
; %bb.274:
	v_mov_b32_e32 v8, 0x100
	v_and_b32_e32 v7, -8, v6
	v_lshl_add_u32 v8, v0, 2, v8
	s_mov_b32 s18, 0
	s_mov_b64 s[12:13], 0
.LBB241_275:                            ; =>This Inner Loop Header: Depth=1
	ds_read2st64_b32 v[10:11], v8 offset1:2
	ds_read2st64_b32 v[14:15], v8 offset0:4 offset1:6
	ds_read2st64_b32 v[16:17], v8 offset0:8 offset1:10
	;; [unrolled: 1-line block ×3, first 2 shown]
	v_add_u32_e32 v7, -8, v7
	s_waitcnt lgkmcnt(3)
	v_pk_mul_f32 v[10:11], v[2:3], v[10:11]
	s_waitcnt lgkmcnt(2)
	v_pk_mul_f32 v[14:15], v[2:3], v[14:15]
	ds_write2st64_b32 v8, v10, v11 offset1:2
	ds_write2st64_b32 v8, v14, v15 offset0:4 offset1:6
	ds_read2st64_b32 v[14:15], v8 offset0:16 offset1:18
	s_waitcnt lgkmcnt(4)
	v_pk_mul_f32 v[10:11], v[2:3], v[16:17]
	ds_write2st64_b32 v8, v10, v11 offset0:8 offset1:10
	s_waitcnt lgkmcnt(4)
	v_pk_mul_f32 v[10:11], v[2:3], v[18:19]
	ds_write2st64_b32 v8, v10, v11 offset0:12 offset1:14
	ds_read2st64_b32 v[10:11], v8 offset0:20 offset1:22
	s_waitcnt lgkmcnt(3)
	v_pk_mul_f32 v[14:15], v[2:3], v[14:15]
	ds_read2st64_b32 v[16:17], v8 offset0:24 offset1:26
	ds_write2st64_b32 v8, v14, v15 offset0:16 offset1:18
	ds_read2st64_b32 v[14:15], v8 offset0:28 offset1:30
	s_waitcnt lgkmcnt(3)
	v_pk_mul_f32 v[10:11], v[2:3], v[10:11]
	ds_write2st64_b32 v8, v10, v11 offset0:20 offset1:22
	s_waitcnt lgkmcnt(3)
	v_pk_mul_f32 v[10:11], v[2:3], v[16:17]
	ds_write2st64_b32 v8, v10, v11 offset0:24 offset1:26
	s_waitcnt lgkmcnt(2)
	v_pk_mul_f32 v[10:11], v[2:3], v[14:15]
	s_add_i32 s18, s18, 16
	v_cmp_eq_u32_e32 vcc, 0, v7
	ds_write2st64_b32 v8, v10, v11 offset0:28 offset1:30
	v_add_u32_e32 v8, 0x2000, v8
	s_or_b64 s[12:13], vcc, s[12:13]
	v_mov_b32_e32 v9, s18
	s_andn2_b64 exec, exec, s[12:13]
	s_cbranch_execnz .LBB241_275
; %bb.276:
	s_or_b64 exec, exec, s[12:13]
.LBB241_277:
	s_or_b64 exec, exec, s[8:9]
	v_and_b32_e32 v6, 7, v6
	v_cmp_ne_u32_e32 vcc, 0, v6
	s_and_saveexec_b64 s[8:9], vcc
	s_cbranch_execz .LBB241_280
; %bb.278:
	v_lshlrev_b32_e32 v7, 9, v9
	v_lshlrev_b32_e32 v8, 2, v0
	s_movk_i32 s12, 0x100
	v_add3_u32 v7, v7, v8, s12
	s_mov_b64 s[12:13], 0
.LBB241_279:                            ; =>This Inner Loop Header: Depth=1
	ds_read2st64_b32 v[8:9], v7 offset1:2
	v_add_u32_e32 v6, -1, v6
	v_cmp_eq_u32_e32 vcc, 0, v6
	s_or_b64 s[12:13], vcc, s[12:13]
	s_waitcnt lgkmcnt(0)
	v_pk_mul_f32 v[8:9], v[2:3], v[8:9]
	ds_write2st64_b32 v7, v8, v9 offset1:2
	v_add_u32_e32 v7, 0x400, v7
	s_andn2_b64 exec, exec, s[12:13]
	s_cbranch_execnz .LBB241_279
.LBB241_280:
	s_or_b64 exec, exec, s[8:9]
	v_add_u32_e32 v5, 1, v5
	v_and_b32_e32 v6, 0x3fffffe, v5
	v_cmp_ne_u32_e32 vcc, v5, v6
	v_lshl_add_u32 v3, v6, 7, v0
	s_orn2_b64 s[8:9], vcc, exec
.LBB241_281:
	s_or_b64 exec, exec, s[2:3]
	s_and_b64 exec, exec, s[8:9]
	s_cbranch_execz .LBB241_284
; %bb.282:
	v_mov_b32_e32 v5, 0x100
	v_lshl_add_u32 v5, v3, 2, v5
	s_mov_b64 s[2:3], 0
.LBB241_283:                            ; =>This Inner Loop Header: Depth=1
	ds_read_b32 v6, v5
	v_add_u32_e32 v3, 0x80, v3
	v_cmp_le_i32_e32 vcc, s23, v3
	s_or_b64 s[2:3], vcc, s[2:3]
	s_waitcnt lgkmcnt(0)
	v_mul_f32_e32 v6, v2, v6
	ds_write_b32 v5, v6
	v_add_u32_e32 v5, 0x200, v5
	s_andn2_b64 exec, exec, s[2:3]
	s_cbranch_execnz .LBB241_283
.LBB241_284:
	s_or_b64 exec, exec, s[0:1]
	s_mov_b32 s0, 0
	v_mov_b32_e32 v5, 0
	v_lshrrev_b32_e32 v29, 1, v4
	v_and_b32_e32 v28, 1, v0
	v_mov_b32_e32 v4, 0
	v_mov_b32_e32 v3, 0
	s_waitcnt lgkmcnt(0)
	v_mov_b32_e32 v2, 0
	s_barrier
	s_and_saveexec_b64 s[8:9], s[6:7]
	s_cbranch_execz .LBB241_556
; %bb.285:
	s_sub_i32 s37, s16, s21
	s_ashr_i32 s1, s20, 31
	s_add_u32 s6, s34, s20
	v_lshlrev_b32_e32 v2, 3, v0
	s_addc_u32 s7, s35, s1
	s_abs_i32 s35, s22
	v_and_b32_e32 v30, 8, v2
	v_cvt_f32_u32_e32 v2, s35
	v_or_b32_e32 v3, 0x60, v29
	s_movk_i32 s1, 0x78
	v_cmp_gt_u32_e32 vcc, s1, v3
	v_rcp_iflag_f32_e32 v2, v2
	s_sub_i32 s1, 0, s35
	s_add_i32 s34, s48, -1
	v_lshl_or_b32 v10, v3, 4, v30
	v_mul_f32_e32 v2, 0x4f7ffffe, v2
	v_cvt_u32_f32_e32 v2, v2
	s_lshl_b64 s[2:3], s[30:31], 2
	s_add_u32 s2, s28, s2
	v_mov_b32_e32 v9, 0
	v_mul_lo_u32 v3, s1, v2
	v_mul_hi_u32 v3, v2, v3
	v_add_u32_e32 v31, v2, v3
	v_and_b32_e32 v8, 60, v12
	s_addc_u32 s3, s29, s3
	v_lshlrev_b32_e32 v2, 5, v28
	v_lshl_add_u64 v[12:13], s[2:3], 0, v[8:9]
	v_lshl_or_b32 v2, v1, 6, v2
	s_mov_b32 s2, s0
	s_mov_b32 s3, s0
	v_add_u32_e32 v32, 0x100, v2
	s_mov_b32 s1, s0
	v_mov_b64_e32 v[4:5], s[2:3]
	s_mov_b32 s38, s17
	v_lshl_or_b32 v6, v29, 4, v30
	v_mov_b32_e32 v7, v9
	v_mov_b32_e32 v11, v9
	s_mov_b32 s39, s33
	s_mov_b64 s[12:13], 0
	v_mov_b64_e32 v[2:3], s[0:1]
	s_movk_i32 s30, 0x7f
	s_movk_i32 s31, 0x80
	s_mov_b32 s40, 0x8000
	s_movk_i32 s41, 0x380
	s_mov_b32 s42, 0x3020706
	s_mov_b32 s43, 0x1000504
	;; [unrolled: 1-line block ×3, first 2 shown]
	v_mov_b32_e32 v33, 0x1c00
	s_branch .LBB241_289
.LBB241_286:                            ;   in Loop: Header=BB241_289 Depth=1
	s_or_b64 exec, exec, s[2:3]
	;;#ASMSTART
	v_pk_mul_f16 v16, v38, v17;

	;;#ASMEND
	;;#ASMSTART
	v_pk_mul_f16 v8, v37, v8;

	;;#ASMEND
	;; [unrolled: 4-line block ×4, first 2 shown]
	s_nop 0
	;;#ASMSTART
	v_pk_add_f16 v8, v16, v8;

	;;#ASMEND
	s_nop 0
	;;#ASMSTART
	v_pk_add_f16 v8, v8, v15;

	;;#ASMEND
	;; [unrolled: 5-line block ×3, first 2 shown]
	s_nop 0
	v_lshrrev_b32_e32 v14, 16, v8
	v_and_b32_e32 v8, 0xffff, v8
	;;#ASMSTART
	v_cvt_f32_f16 v8, v8;
	;;#ASMEND
	;;#ASMSTART
	v_cvt_f32_f16 v14, v14;
	;;#ASMEND
	s_nop 0
	v_add_f32_e32 v8, v8, v14
	v_add_f32_e32 v5, v5, v8
.LBB241_287:                            ;   in Loop: Header=BB241_289 Depth=1
	s_or_b64 exec, exec, s[18:19]
.LBB241_288:                            ;   in Loop: Header=BB241_289 Depth=1
	s_or_b64 exec, exec, s[16:17]
	v_add_u32_e32 v1, 2, v1
	v_cmp_le_i32_e64 s[0:1], s48, v1
	v_lshl_add_u64 v[12:13], v[12:13], 0, 8
	v_add_u32_e32 v26, 32, v26
	s_or_b64 s[12:13], s[0:1], s[12:13]
	v_add_u32_e32 v32, 0x80, v32
	s_andn2_b64 exec, exec, s[12:13]
	s_cbranch_execz .LBB241_555
.LBB241_289:                            ; =>This Inner Loop Header: Depth=1
	v_mul_hi_u32 v8, v26, s46
	v_mul_lo_u32 v14, v8, s25
	v_sub_u32_e32 v14, v26, v14
	v_add_u32_e32 v15, 1, v8
	v_cmp_le_u32_e64 s[0:1], s25, v14
	s_nop 1
	v_cndmask_b32_e64 v8, v8, v15, s[0:1]
	v_subrev_u32_e32 v15, s25, v14
	v_cndmask_b32_e64 v14, v14, v15, s[0:1]
	v_add_u32_e32 v15, 1, v8
	v_cmp_le_u32_e64 s[0:1], s25, v14
	s_nop 1
	v_cndmask_b32_e64 v8, v8, v15, s[0:1]
	v_xor_b32_e32 v8, s47, v8
	v_subrev_u32_e32 v8, s47, v8
	v_add_u32_e32 v14, s36, v8
	v_sub_u32_e32 v16, 0, v14
	v_ashrrev_i32_e32 v15, 31, v14
	v_max_i32_e32 v14, v14, v16
	v_mul_hi_u32 v16, v14, v31
	v_mul_lo_u32 v16, v16, s35
	v_sub_u32_e32 v14, v14, v16
	v_subrev_u32_e32 v16, s35, v14
	v_cmp_le_u32_e64 s[0:1], s35, v14
	v_cmp_lt_i32_e64 s[2:3], s37, v8
	s_nop 0
	v_cndmask_b32_e64 v14, v14, v16, s[0:1]
	v_subrev_u32_e32 v16, s35, v14
	v_cmp_le_u32_e64 s[0:1], s35, v14
	s_nop 1
	v_cndmask_b32_e64 v14, v14, v16, s[0:1]
	v_xor_b32_e32 v14, v14, v15
	v_sub_u32_e32 v14, v14, v15
	v_cmp_eq_u32_e64 s[0:1], 0, v14
	s_or_b64 s[0:1], s[0:1], s[2:3]
	s_and_saveexec_b64 s[16:17], s[0:1]
	s_cbranch_execz .LBB241_288
; %bb.290:                              ;   in Loop: Header=BB241_289 Depth=1
	ds_read2_b64 v[14:17], v32 offset1:1
	ds_read2_b64 v[20:23], v32 offset0:2 offset1:3
                                        ; implicit-def: $sgpr20
	s_waitcnt lgkmcnt(1)
	;;#ASMSTART
	v_cvt_f16_f32 v19, v14;

	;;#ASMEND
	;;#ASMSTART
	v_cvt_f16_f32 v35, v15;

	;;#ASMEND
	;; [unrolled: 4-line block ×4, first 2 shown]
	s_waitcnt lgkmcnt(0)
	;;#ASMSTART
	v_cvt_f16_f32 v39, v20;

	;;#ASMEND
	;;#ASMSTART
	v_cvt_f16_f32 v40, v21;

	;;#ASMEND
	;; [unrolled: 4-line block ×4, first 2 shown]
	global_load_dword v8, v[12:13], off
	v_mov_b64_e32 v[14:15], s[6:7]
	s_waitcnt vmcnt(0)
	v_mad_i64_i32 v[14:15], s[0:1], v8, s38, v[14:15]
	v_lshl_add_u64 v[16:17], v[14:15], 0, v[6:7]
	global_load_dwordx2 v[20:21], v[16:17], off
	global_load_dword v18, v9, s[14:15]
	s_mov_b64 s[0:1], 0
	s_waitcnt vmcnt(1)
	v_cmp_gt_i16_sdwa s[2:3], v20, s30 src0_sel:BYTE_0 src1_sel:DWORD
	s_and_saveexec_b64 s[18:19], s[2:3]
	s_xor_b64 s[2:3], exec, s[18:19]
	s_cbranch_execnz .LBB241_427
; %bb.291:                              ;   in Loop: Header=BB241_289 Depth=1
	s_or_saveexec_b64 s[2:3], s[2:3]
	v_mov_b32_e32 v22, s20
	s_xor_b64 exec, exec, s[2:3]
	s_cbranch_execnz .LBB241_430
.LBB241_292:                            ;   in Loop: Header=BB241_289 Depth=1
	s_or_b64 exec, exec, s[2:3]
	s_and_saveexec_b64 s[2:3], s[0:1]
	s_cbranch_execz .LBB241_294
.LBB241_293:                            ;   in Loop: Header=BB241_289 Depth=1
	v_and_b32_e32 v8, 7, v20
	v_ffbh_u32_e32 v8, v8
	v_bfe_u32 v22, v20, 3, 4
	v_min_u32_e32 v8, 32, v8
	v_subrev_u32_e32 v23, 28, v8
	v_sub_u32_e32 v8, 29, v8
	v_cmp_eq_u32_e64 s[0:1], 0, v22
	s_nop 1
	v_cndmask_b32_e64 v8, v22, v8, s[0:1]
	v_cndmask_b32_e64 v22, 0, v23, s[0:1]
	v_lshlrev_b64 v[22:23], v22, v[20:21]
	v_lshlrev_b32_e32 v23, 8, v20
	v_lshl_add_u32 v8, v8, 10, v33
	v_lshlrev_b32_e32 v22, 7, v22
	v_and_or_b32 v8, v23, s40, v8
	v_and_or_b32 v8, v22, s41, v8
	v_cvt_f32_f16_e32 v22, v8
.LBB241_294:                            ;   in Loop: Header=BB241_289 Depth=1
	s_or_b64 exec, exec, s[2:3]
	v_lshrrev_b16_e32 v8, 8, v20
	v_cmp_lt_i16_e64 s[0:1], s30, v8
	s_mov_b64 s[2:3], 0
                                        ; implicit-def: $sgpr22
	s_and_saveexec_b64 s[18:19], s[0:1]
	s_xor_b64 s[18:19], exec, s[18:19]
	s_cbranch_execnz .LBB241_431
; %bb.295:                              ;   in Loop: Header=BB241_289 Depth=1
	s_or_saveexec_b64 s[18:19], s[18:19]
	v_mov_b32_e32 v24, s22
	s_xor_b64 exec, exec, s[18:19]
	s_cbranch_execnz .LBB241_434
.LBB241_296:                            ;   in Loop: Header=BB241_289 Depth=1
	s_or_b64 exec, exec, s[18:19]
	s_and_saveexec_b64 s[18:19], s[2:3]
	s_cbranch_execz .LBB241_298
.LBB241_297:                            ;   in Loop: Header=BB241_289 Depth=1
	v_and_b32_e32 v23, 7, v8
	v_ffbh_u32_e32 v24, v23
	v_min_u32_e32 v38, 32, v24
	v_subrev_u32_e32 v24, 28, v38
	v_bfe_u32 v34, v8, 3, 4
	v_lshlrev_b64 v[24:25], v24, v[8:9]
	v_sub_u32_e32 v25, 29, v38
	v_cmp_eq_u32_e64 s[0:1], 0, v34
	v_and_b32_e32 v24, 7, v24
	v_lshlrev_b32_e32 v8, 8, v8
	v_cndmask_b32_e64 v25, v34, v25, s[0:1]
	v_cndmask_b32_e64 v23, v23, v24, s[0:1]
	v_lshl_add_u32 v24, v25, 10, v33
	v_and_or_b32 v8, v8, s40, v24
	v_lshl_or_b32 v8, v23, 7, v8
	v_cvt_f32_f16_e32 v24, v8
.LBB241_298:                            ;   in Loop: Header=BB241_289 Depth=1
	s_or_b64 exec, exec, s[18:19]
	v_lshrrev_b32_e32 v8, 16, v20
	v_cmp_gt_i16_sdwa s[2:3], v8, s30 src0_sel:BYTE_0 src1_sel:DWORD
	s_mov_b64 s[0:1], 0
                                        ; implicit-def: $sgpr20
	s_and_saveexec_b64 s[18:19], s[2:3]
	s_xor_b64 s[2:3], exec, s[18:19]
	s_cbranch_execnz .LBB241_435
; %bb.299:                              ;   in Loop: Header=BB241_289 Depth=1
	s_or_saveexec_b64 s[2:3], s[2:3]
	v_mov_b32_e32 v23, s20
	s_xor_b64 exec, exec, s[2:3]
	s_cbranch_execnz .LBB241_438
.LBB241_300:                            ;   in Loop: Header=BB241_289 Depth=1
	s_or_b64 exec, exec, s[2:3]
	s_and_saveexec_b64 s[2:3], s[0:1]
	s_cbranch_execz .LBB241_302
.LBB241_301:                            ;   in Loop: Header=BB241_289 Depth=1
	v_bfe_u32 v23, v20, 16, 3
	v_ffbh_u32_e32 v34, v23
	v_bfe_u32 v25, v20, 19, 4
	v_min_u32_e32 v34, 32, v34
	v_subrev_u32_e32 v38, 28, v34
	v_sub_u32_e32 v34, 29, v34
	v_cmp_eq_u32_e64 s[0:1], 0, v25
	v_lshlrev_b64 v[44:45], v38, v[8:9]
	v_and_b32_e32 v38, 7, v44
	v_cndmask_b32_e64 v25, v25, v34, s[0:1]
	v_lshlrev_b32_e32 v8, 8, v8
	v_lshl_add_u32 v25, v25, 10, v33
	v_cndmask_b32_e64 v23, v23, v38, s[0:1]
	v_and_or_b32 v8, v8, s40, v25
	v_lshl_or_b32 v8, v23, 7, v8
	v_cvt_f32_f16_e32 v23, v8
.LBB241_302:                            ;   in Loop: Header=BB241_289 Depth=1
	s_or_b64 exec, exec, s[2:3]
	v_lshrrev_b32_e32 v8, 24, v20
	v_cmp_lt_i16_e64 s[0:1], s30, v8
	s_mov_b64 s[2:3], 0
                                        ; implicit-def: $sgpr22
	s_and_saveexec_b64 s[18:19], s[0:1]
	s_xor_b64 s[18:19], exec, s[18:19]
	s_cbranch_execnz .LBB241_439
; %bb.303:                              ;   in Loop: Header=BB241_289 Depth=1
	s_or_saveexec_b64 s[18:19], s[18:19]
	v_mov_b32_e32 v25, s22
	s_xor_b64 exec, exec, s[18:19]
	s_cbranch_execnz .LBB241_442
.LBB241_304:                            ;   in Loop: Header=BB241_289 Depth=1
	s_or_b64 exec, exec, s[18:19]
	s_and_saveexec_b64 s[18:19], s[2:3]
	s_cbranch_execz .LBB241_306
.LBB241_305:                            ;   in Loop: Header=BB241_289 Depth=1
	v_bfe_u32 v25, v20, 24, 3
	v_ffbh_u32_e32 v34, v25
	v_bfe_u32 v20, v20, 27, 4
	v_min_u32_e32 v34, 32, v34
	v_subrev_u32_e32 v38, 28, v34
	v_sub_u32_e32 v34, 29, v34
	v_cmp_eq_u32_e64 s[0:1], 0, v20
	v_lshlrev_b64 v[44:45], v38, v[8:9]
	v_and_b32_e32 v38, 7, v44
	v_cndmask_b32_e64 v20, v20, v34, s[0:1]
	v_lshlrev_b32_e32 v8, 8, v8
	v_lshl_add_u32 v20, v20, 10, v33
	v_cndmask_b32_e64 v25, v25, v38, s[0:1]
	v_and_or_b32 v8, v8, s40, v20
	v_lshl_or_b32 v8, v25, 7, v8
	v_cvt_f32_f16_e32 v25, v8
.LBB241_306:                            ;   in Loop: Header=BB241_289 Depth=1
	s_or_b64 exec, exec, s[18:19]
	v_cmp_gt_i16_sdwa s[2:3], v21, s30 src0_sel:BYTE_0 src1_sel:DWORD
	s_mov_b64 s[0:1], 0
                                        ; implicit-def: $sgpr20
	s_and_saveexec_b64 s[18:19], s[2:3]
	s_xor_b64 s[2:3], exec, s[18:19]
	s_cbranch_execnz .LBB241_443
; %bb.307:                              ;   in Loop: Header=BB241_289 Depth=1
	s_or_saveexec_b64 s[2:3], s[2:3]
	v_mov_b32_e32 v20, s20
	s_xor_b64 exec, exec, s[2:3]
	s_cbranch_execnz .LBB241_446
.LBB241_308:                            ;   in Loop: Header=BB241_289 Depth=1
	s_or_b64 exec, exec, s[2:3]
	v_mov_b32_e32 v8, v21
	s_and_saveexec_b64 s[2:3], s[0:1]
	s_cbranch_execz .LBB241_310
.LBB241_309:                            ;   in Loop: Header=BB241_289 Depth=1
	v_and_b32_e32 v20, 7, v21
	v_ffbh_u32_e32 v20, v20
	v_bfe_u32 v34, v21, 3, 4
	v_min_u32_e32 v20, 32, v20
	v_subrev_u32_e32 v38, 28, v20
	v_sub_u32_e32 v20, 29, v20
	v_cmp_eq_u32_e64 s[0:1], 0, v34
	s_nop 1
	v_cndmask_b32_e64 v20, v34, v20, s[0:1]
	v_cndmask_b32_e64 v34, 0, v38, s[0:1]
	v_lshlrev_b64 v[44:45], v34, v[8:9]
	v_lshlrev_b32_e32 v38, 8, v21
	v_lshl_add_u32 v20, v20, 10, v33
	v_lshlrev_b32_e32 v34, 7, v44
	v_and_or_b32 v20, v38, s40, v20
	v_and_or_b32 v20, v34, s41, v20
	v_cvt_f32_f16_e32 v20, v20
.LBB241_310:                            ;   in Loop: Header=BB241_289 Depth=1
	s_or_b64 exec, exec, s[2:3]
	v_lshrrev_b16_e32 v8, 8, v8
	v_cmp_lt_i16_e64 s[0:1], s30, v8
	s_mov_b64 s[2:3], 0
                                        ; implicit-def: $sgpr22
	s_and_saveexec_b64 s[18:19], s[0:1]
	s_xor_b64 s[18:19], exec, s[18:19]
	s_cbranch_execnz .LBB241_447
; %bb.311:                              ;   in Loop: Header=BB241_289 Depth=1
	s_or_saveexec_b64 s[18:19], s[18:19]
	v_mov_b32_e32 v38, s22
	s_xor_b64 exec, exec, s[18:19]
	s_cbranch_execnz .LBB241_450
.LBB241_312:                            ;   in Loop: Header=BB241_289 Depth=1
	s_or_b64 exec, exec, s[18:19]
	s_and_saveexec_b64 s[18:19], s[2:3]
	s_cbranch_execz .LBB241_314
.LBB241_313:                            ;   in Loop: Header=BB241_289 Depth=1
	v_and_b32_e32 v34, 7, v8
	v_ffbh_u32_e32 v43, v34
	v_bfe_u32 v38, v8, 3, 4
	v_min_u32_e32 v43, 32, v43
	v_subrev_u32_e32 v44, 28, v43
	v_sub_u32_e32 v43, 29, v43
	v_cmp_eq_u32_e64 s[0:1], 0, v38
	v_lshlrev_b64 v[44:45], v44, v[8:9]
	v_and_b32_e32 v44, 7, v44
	v_cndmask_b32_e64 v38, v38, v43, s[0:1]
	v_lshlrev_b32_e32 v8, 8, v8
	v_lshl_add_u32 v38, v38, 10, v33
	v_cndmask_b32_e64 v34, v34, v44, s[0:1]
	v_and_or_b32 v8, v8, s40, v38
	v_lshl_or_b32 v8, v34, 7, v8
	v_cvt_f32_f16_e32 v38, v8
.LBB241_314:                            ;   in Loop: Header=BB241_289 Depth=1
	s_or_b64 exec, exec, s[18:19]
	v_lshrrev_b32_e32 v8, 16, v21
	v_cmp_gt_i16_sdwa s[2:3], v8, s30 src0_sel:BYTE_0 src1_sel:DWORD
	s_mov_b64 s[0:1], 0
                                        ; implicit-def: $sgpr20
	s_and_saveexec_b64 s[18:19], s[2:3]
	s_xor_b64 s[2:3], exec, s[18:19]
	s_cbranch_execnz .LBB241_451
; %bb.315:                              ;   in Loop: Header=BB241_289 Depth=1
	s_or_saveexec_b64 s[2:3], s[2:3]
	v_mov_b32_e32 v43, s20
	s_xor_b64 exec, exec, s[2:3]
	s_cbranch_execnz .LBB241_454
.LBB241_316:                            ;   in Loop: Header=BB241_289 Depth=1
	s_or_b64 exec, exec, s[2:3]
	s_and_saveexec_b64 s[2:3], s[0:1]
	s_cbranch_execz .LBB241_318
.LBB241_317:                            ;   in Loop: Header=BB241_289 Depth=1
	v_bfe_u32 v34, v21, 16, 3
	v_ffbh_u32_e32 v44, v34
	v_min_u32_e32 v46, 32, v44
	v_subrev_u32_e32 v44, 28, v46
	v_bfe_u32 v43, v21, 19, 4
	v_lshlrev_b64 v[44:45], v44, v[8:9]
	v_sub_u32_e32 v45, 29, v46
	v_cmp_eq_u32_e64 s[0:1], 0, v43
	v_and_b32_e32 v44, 7, v44
	v_lshlrev_b32_e32 v8, 8, v8
	v_cndmask_b32_e64 v43, v43, v45, s[0:1]
	v_lshl_add_u32 v43, v43, 10, v33
	v_cndmask_b32_e64 v34, v34, v44, s[0:1]
	v_and_or_b32 v8, v8, s40, v43
	v_lshl_or_b32 v8, v34, 7, v8
	v_cvt_f32_f16_e32 v43, v8
.LBB241_318:                            ;   in Loop: Header=BB241_289 Depth=1
	s_or_b64 exec, exec, s[2:3]
	v_lshrrev_b32_e32 v8, 24, v21
	v_cmp_lt_i16_e64 s[0:1], s30, v8
	s_mov_b64 s[2:3], 0
                                        ; implicit-def: $sgpr22
	s_and_saveexec_b64 s[18:19], s[0:1]
	s_xor_b64 s[18:19], exec, s[18:19]
	s_cbranch_execnz .LBB241_455
; %bb.319:                              ;   in Loop: Header=BB241_289 Depth=1
	s_or_saveexec_b64 s[18:19], s[18:19]
	v_mov_b32_e32 v44, s22
	s_xor_b64 exec, exec, s[18:19]
	s_cbranch_execnz .LBB241_458
.LBB241_320:                            ;   in Loop: Header=BB241_289 Depth=1
	s_or_b64 exec, exec, s[18:19]
	s_and_saveexec_b64 s[18:19], s[2:3]
	s_cbranch_execz .LBB241_322
.LBB241_321:                            ;   in Loop: Header=BB241_289 Depth=1
	v_bfe_u32 v34, v21, 24, 3
	v_ffbh_u32_e32 v44, v34
	v_min_u32_e32 v46, 32, v44
	v_subrev_u32_e32 v44, 28, v46
	v_bfe_u32 v21, v21, 27, 4
	v_lshlrev_b64 v[44:45], v44, v[8:9]
	v_sub_u32_e32 v45, 29, v46
	v_cmp_eq_u32_e64 s[0:1], 0, v21
	v_and_b32_e32 v44, 7, v44
	v_lshlrev_b32_e32 v8, 8, v8
	v_cndmask_b32_e64 v21, v21, v45, s[0:1]
	v_lshl_add_u32 v21, v21, 10, v33
	v_cndmask_b32_e64 v34, v34, v44, s[0:1]
	v_and_or_b32 v8, v8, s40, v21
	v_lshl_or_b32 v8, v34, 7, v8
	v_cvt_f32_f16_e32 v44, v8
.LBB241_322:                            ;   in Loop: Header=BB241_289 Depth=1
	s_or_b64 exec, exec, s[18:19]
	s_waitcnt vmcnt(0)
	v_pk_mul_f32 v[24:25], v[18:19], v[24:25] op_sel_hi:[0,1]
	v_pk_mul_f32 v[22:23], v[18:19], v[22:23] op_sel_hi:[0,1]
	v_cvt_f16_f32_e32 v8, v25
	v_cvt_f16_f32_e32 v21, v24
	;; [unrolled: 1-line block ×4, first 2 shown]
	v_fma_mixlo_f16 v20, v18, v20, 0
	v_pack_b32_f16 v21, v21, v8
	v_add_u32_e32 v34, v30, v26
	v_pack_b32_f16 v22, v22, v23
	v_perm_b32 v8, v22, v21, s42
	v_perm_b32 v21, v22, v21, s43
	v_fma_mixlo_f16 v22, v18, v38, 0
	v_lshlrev_b32_e32 v22, 16, v22
	v_or_b32_sdwa v20, v22, v20 dst_sel:DWORD dst_unused:UNUSED_PAD src0_sel:DWORD src1_sel:WORD_0
	v_fma_mixlo_f16 v22, v18, v43, 0
	v_fma_mixlo_f16 v18, v18, v44, 0
	v_lshlrev_b32_e32 v18, 16, v18
	v_cmp_eq_u32_e64 s[0:1], s34, v1
	v_or_b32_sdwa v18, v18, v22 dst_sel:DWORD dst_unused:UNUSED_PAD src0_sel:DWORD src1_sel:WORD_0
	s_and_saveexec_b64 s[18:19], s[0:1]
	s_cbranch_execz .LBB241_324
; %bb.323:                              ;   in Loop: Header=BB241_289 Depth=1
	v_add_u32_e32 v23, 1, v34
	v_lshrrev_b32_e32 v24, 16, v21
	v_cmp_gt_i32_e64 s[2:3], s39, v23
	v_lshrrev_b32_e32 v25, 16, v8
	v_lshrrev_b32_e32 v18, 16, v18
	v_cndmask_b32_e64 v23, 0, v24, s[2:3]
	v_cmp_gt_i32_e64 s[2:3], s33, v34
	v_or_b32_e32 v24, 2, v34
	s_nop 0
	v_cndmask_b32_e64 v21, 0, v21, s[2:3]
	v_perm_b32 v21, v23, v21, s44
	v_or_b32_e32 v23, 3, v34
	v_cmp_gt_i32_e64 s[2:3], s39, v23
	s_nop 1
	v_cndmask_b32_e64 v23, 0, v25, s[2:3]
	v_cmp_gt_i32_e64 s[2:3], s33, v24
	v_or_b32_e32 v24, 4, v34
	v_lshrrev_b32_e32 v25, 16, v20
	v_cndmask_b32_e64 v8, 0, v8, s[2:3]
	v_perm_b32 v8, v23, v8, s44
	v_or_b32_e32 v23, 5, v34
	v_cmp_gt_i32_e64 s[2:3], s39, v23
	s_nop 1
	v_cndmask_b32_e64 v23, 0, v25, s[2:3]
	v_cmp_gt_i32_e64 s[2:3], s33, v24
	v_or_b32_e32 v24, 6, v34
	s_nop 0
	v_cndmask_b32_e64 v20, 0, v20, s[2:3]
	v_perm_b32 v20, v23, v20, s44
	v_or_b32_e32 v23, 7, v34
	v_cmp_gt_i32_e64 s[2:3], s39, v23
	s_nop 1
	v_cndmask_b32_e64 v18, 0, v18, s[2:3]
	v_cmp_gt_i32_e64 s[2:3], s33, v24
	s_nop 1
	v_cndmask_b32_e64 v22, 0, v22, s[2:3]
	v_perm_b32 v18, v18, v22, s44
.LBB241_324:                            ;   in Loop: Header=BB241_289 Depth=1
	s_or_b64 exec, exec, s[18:19]
	v_and_b32_e32 v19, 0xffff, v19
	v_lshl_or_b32 v38, v35, 16, v19
	v_and_b32_e32 v19, 0xffff, v36
	v_lshl_or_b32 v37, v37, 16, v19
	v_and_b32_e32 v19, 0xffff, v39
	v_lshl_or_b32 v36, v40, 16, v19
	v_and_b32_e32 v19, 0xffff, v41
	v_lshl_or_b32 v35, v42, 16, v19
	;;#ASMSTART
	v_pk_mul_f16 v19, v38, v21;

	;;#ASMEND
	;;#ASMSTART
	v_pk_mul_f16 v8, v37, v8;

	;;#ASMEND
	;; [unrolled: 4-line block ×4, first 2 shown]
	s_mov_b64 s[2:3], 0
	;;#ASMSTART
	v_pk_add_f16 v8, v19, v8;

	;;#ASMEND
                                        ; implicit-def: $sgpr22
	s_nop 0
	;;#ASMSTART
	v_pk_add_f16 v8, v8, v20;

	;;#ASMEND
	s_nop 0
	;;#ASMSTART
	v_pk_add_f16 v8, v8, v18;

	;;#ASMEND
	s_nop 0
	v_lshrrev_b32_e32 v18, 16, v8
	v_and_b32_e32 v8, 0xffff, v8
	;;#ASMSTART
	v_cvt_f32_f16 v19, v8;
	;;#ASMEND
	;;#ASMSTART
	v_cvt_f32_f16 v39, v18;
	;;#ASMEND
	global_load_dwordx2 v[20:21], v[16:17], off offset:512
	global_load_dword v18, v9, s[14:15]
	s_waitcnt vmcnt(1)
	v_cmp_gt_i16_sdwa s[18:19], v20, s30 src0_sel:BYTE_0 src1_sel:DWORD
	s_and_saveexec_b64 s[20:21], s[18:19]
	s_xor_b64 s[18:19], exec, s[20:21]
	s_cbranch_execnz .LBB241_459
; %bb.325:                              ;   in Loop: Header=BB241_289 Depth=1
	s_or_saveexec_b64 s[18:19], s[18:19]
	v_mov_b32_e32 v22, s22
	s_xor_b64 exec, exec, s[18:19]
	s_cbranch_execnz .LBB241_462
.LBB241_326:                            ;   in Loop: Header=BB241_289 Depth=1
	s_or_b64 exec, exec, s[18:19]
	s_and_saveexec_b64 s[18:19], s[2:3]
	s_cbranch_execz .LBB241_328
.LBB241_327:                            ;   in Loop: Header=BB241_289 Depth=1
	v_and_b32_e32 v8, 7, v20
	v_ffbh_u32_e32 v8, v8
	v_bfe_u32 v22, v20, 3, 4
	v_min_u32_e32 v8, 32, v8
	v_subrev_u32_e32 v23, 28, v8
	v_sub_u32_e32 v8, 29, v8
	v_cmp_eq_u32_e64 s[2:3], 0, v22
	s_nop 1
	v_cndmask_b32_e64 v8, v22, v8, s[2:3]
	v_cndmask_b32_e64 v22, 0, v23, s[2:3]
	v_lshlrev_b64 v[22:23], v22, v[20:21]
	v_lshlrev_b32_e32 v23, 8, v20
	v_lshl_add_u32 v8, v8, 10, v33
	v_lshlrev_b32_e32 v22, 7, v22
	v_and_or_b32 v8, v23, s40, v8
	v_and_or_b32 v8, v22, s41, v8
	v_cvt_f32_f16_e32 v22, v8
.LBB241_328:                            ;   in Loop: Header=BB241_289 Depth=1
	s_or_b64 exec, exec, s[18:19]
	v_lshrrev_b16_e32 v8, 8, v20
	v_cmp_lt_i16_e64 s[2:3], s30, v8
	s_mov_b64 s[18:19], 0
                                        ; implicit-def: $sgpr28
	s_and_saveexec_b64 s[20:21], s[2:3]
	s_xor_b64 s[20:21], exec, s[20:21]
	s_cbranch_execnz .LBB241_463
; %bb.329:                              ;   in Loop: Header=BB241_289 Depth=1
	s_or_saveexec_b64 s[20:21], s[20:21]
	v_mov_b32_e32 v24, s28
	s_xor_b64 exec, exec, s[20:21]
	s_cbranch_execnz .LBB241_466
.LBB241_330:                            ;   in Loop: Header=BB241_289 Depth=1
	s_or_b64 exec, exec, s[20:21]
	s_and_saveexec_b64 s[20:21], s[18:19]
	s_cbranch_execz .LBB241_332
.LBB241_331:                            ;   in Loop: Header=BB241_289 Depth=1
	v_and_b32_e32 v23, 7, v8
	v_ffbh_u32_e32 v24, v23
	v_min_u32_e32 v41, 32, v24
	v_subrev_u32_e32 v24, 28, v41
	v_bfe_u32 v40, v8, 3, 4
	v_lshlrev_b64 v[24:25], v24, v[8:9]
	v_sub_u32_e32 v25, 29, v41
	v_cmp_eq_u32_e64 s[2:3], 0, v40
	v_and_b32_e32 v24, 7, v24
	v_lshlrev_b32_e32 v8, 8, v8
	v_cndmask_b32_e64 v25, v40, v25, s[2:3]
	v_cndmask_b32_e64 v23, v23, v24, s[2:3]
	v_lshl_add_u32 v24, v25, 10, v33
	v_and_or_b32 v8, v8, s40, v24
	v_lshl_or_b32 v8, v23, 7, v8
	v_cvt_f32_f16_e32 v24, v8
.LBB241_332:                            ;   in Loop: Header=BB241_289 Depth=1
	s_or_b64 exec, exec, s[20:21]
	v_lshrrev_b32_e32 v8, 16, v20
	v_cmp_gt_i16_sdwa s[18:19], v8, s30 src0_sel:BYTE_0 src1_sel:DWORD
	s_mov_b64 s[2:3], 0
                                        ; implicit-def: $sgpr22
	s_and_saveexec_b64 s[20:21], s[18:19]
	s_xor_b64 s[18:19], exec, s[20:21]
	s_cbranch_execnz .LBB241_467
; %bb.333:                              ;   in Loop: Header=BB241_289 Depth=1
	s_or_saveexec_b64 s[18:19], s[18:19]
	v_mov_b32_e32 v23, s22
	s_xor_b64 exec, exec, s[18:19]
	s_cbranch_execnz .LBB241_470
.LBB241_334:                            ;   in Loop: Header=BB241_289 Depth=1
	s_or_b64 exec, exec, s[18:19]
	s_and_saveexec_b64 s[18:19], s[2:3]
	s_cbranch_execz .LBB241_336
.LBB241_335:                            ;   in Loop: Header=BB241_289 Depth=1
	v_bfe_u32 v23, v20, 16, 3
	v_ffbh_u32_e32 v40, v23
	v_min_u32_e32 v42, 32, v40
	v_subrev_u32_e32 v40, 28, v42
	v_bfe_u32 v25, v20, 19, 4
	v_lshlrev_b64 v[40:41], v40, v[8:9]
	v_sub_u32_e32 v41, 29, v42
	v_cmp_eq_u32_e64 s[2:3], 0, v25
	v_and_b32_e32 v40, 7, v40
	v_lshlrev_b32_e32 v8, 8, v8
	v_cndmask_b32_e64 v25, v25, v41, s[2:3]
	v_lshl_add_u32 v25, v25, 10, v33
	v_cndmask_b32_e64 v23, v23, v40, s[2:3]
	v_and_or_b32 v8, v8, s40, v25
	v_lshl_or_b32 v8, v23, 7, v8
	v_cvt_f32_f16_e32 v23, v8
.LBB241_336:                            ;   in Loop: Header=BB241_289 Depth=1
	s_or_b64 exec, exec, s[18:19]
	v_lshrrev_b32_e32 v8, 24, v20
	v_cmp_lt_i16_e64 s[2:3], s30, v8
	s_mov_b64 s[18:19], 0
                                        ; implicit-def: $sgpr28
	s_and_saveexec_b64 s[20:21], s[2:3]
	s_xor_b64 s[20:21], exec, s[20:21]
	s_cbranch_execnz .LBB241_471
; %bb.337:                              ;   in Loop: Header=BB241_289 Depth=1
	s_or_saveexec_b64 s[20:21], s[20:21]
	v_mov_b32_e32 v25, s28
	s_xor_b64 exec, exec, s[20:21]
	s_cbranch_execnz .LBB241_474
.LBB241_338:                            ;   in Loop: Header=BB241_289 Depth=1
	s_or_b64 exec, exec, s[20:21]
	s_and_saveexec_b64 s[20:21], s[18:19]
	s_cbranch_execz .LBB241_340
.LBB241_339:                            ;   in Loop: Header=BB241_289 Depth=1
	v_bfe_u32 v25, v20, 24, 3
	v_ffbh_u32_e32 v40, v25
	v_min_u32_e32 v42, 32, v40
	v_subrev_u32_e32 v40, 28, v42
	v_bfe_u32 v20, v20, 27, 4
	v_lshlrev_b64 v[40:41], v40, v[8:9]
	v_sub_u32_e32 v41, 29, v42
	v_cmp_eq_u32_e64 s[2:3], 0, v20
	v_and_b32_e32 v40, 7, v40
	v_lshlrev_b32_e32 v8, 8, v8
	v_cndmask_b32_e64 v20, v20, v41, s[2:3]
	v_lshl_add_u32 v20, v20, 10, v33
	v_cndmask_b32_e64 v25, v25, v40, s[2:3]
	v_and_or_b32 v8, v8, s40, v20
	v_lshl_or_b32 v8, v25, 7, v8
	v_cvt_f32_f16_e32 v25, v8
.LBB241_340:                            ;   in Loop: Header=BB241_289 Depth=1
	s_or_b64 exec, exec, s[20:21]
	v_cmp_gt_i16_sdwa s[18:19], v21, s30 src0_sel:BYTE_0 src1_sel:DWORD
	s_mov_b64 s[2:3], 0
                                        ; implicit-def: $sgpr22
	s_and_saveexec_b64 s[20:21], s[18:19]
	s_xor_b64 s[18:19], exec, s[20:21]
	s_cbranch_execnz .LBB241_475
; %bb.341:                              ;   in Loop: Header=BB241_289 Depth=1
	s_or_saveexec_b64 s[18:19], s[18:19]
	v_mov_b32_e32 v20, s22
	s_xor_b64 exec, exec, s[18:19]
	s_cbranch_execnz .LBB241_478
.LBB241_342:                            ;   in Loop: Header=BB241_289 Depth=1
	s_or_b64 exec, exec, s[18:19]
	v_mov_b32_e32 v8, v21
	s_and_saveexec_b64 s[18:19], s[2:3]
	s_cbranch_execz .LBB241_344
.LBB241_343:                            ;   in Loop: Header=BB241_289 Depth=1
	v_and_b32_e32 v20, 7, v21
	v_ffbh_u32_e32 v20, v20
	v_bfe_u32 v40, v21, 3, 4
	v_min_u32_e32 v20, 32, v20
	v_subrev_u32_e32 v41, 28, v20
	v_sub_u32_e32 v20, 29, v20
	v_cmp_eq_u32_e64 s[2:3], 0, v40
	s_nop 1
	v_cndmask_b32_e64 v20, v40, v20, s[2:3]
	v_cndmask_b32_e64 v40, 0, v41, s[2:3]
	v_lshlrev_b64 v[40:41], v40, v[8:9]
	v_lshlrev_b32_e32 v41, 8, v21
	v_lshl_add_u32 v20, v20, 10, v33
	v_lshlrev_b32_e32 v40, 7, v40
	v_and_or_b32 v20, v41, s40, v20
	v_and_or_b32 v20, v40, s41, v20
	v_cvt_f32_f16_e32 v20, v20
.LBB241_344:                            ;   in Loop: Header=BB241_289 Depth=1
	s_or_b64 exec, exec, s[18:19]
	v_lshrrev_b16_e32 v8, 8, v8
	v_cmp_lt_i16_e64 s[2:3], s30, v8
	s_mov_b64 s[18:19], 0
                                        ; implicit-def: $sgpr28
	s_and_saveexec_b64 s[20:21], s[2:3]
	s_xor_b64 s[20:21], exec, s[20:21]
	s_cbranch_execnz .LBB241_479
; %bb.345:                              ;   in Loop: Header=BB241_289 Depth=1
	s_or_saveexec_b64 s[20:21], s[20:21]
	v_mov_b32_e32 v40, s28
	s_xor_b64 exec, exec, s[20:21]
	s_cbranch_execnz .LBB241_482
.LBB241_346:                            ;   in Loop: Header=BB241_289 Depth=1
	s_or_b64 exec, exec, s[20:21]
	s_and_saveexec_b64 s[20:21], s[18:19]
	s_cbranch_execz .LBB241_348
.LBB241_347:                            ;   in Loop: Header=BB241_289 Depth=1
	v_and_b32_e32 v42, 7, v8
	v_ffbh_u32_e32 v40, v42
	v_min_u32_e32 v44, 32, v40
	v_subrev_u32_e32 v40, 28, v44
	v_bfe_u32 v43, v8, 3, 4
	v_lshlrev_b64 v[40:41], v40, v[8:9]
	v_sub_u32_e32 v41, 29, v44
	v_cmp_eq_u32_e64 s[2:3], 0, v43
	v_and_b32_e32 v40, 7, v40
	v_lshlrev_b32_e32 v8, 8, v8
	v_cndmask_b32_e64 v41, v43, v41, s[2:3]
	v_lshl_add_u32 v41, v41, 10, v33
	v_cndmask_b32_e64 v40, v42, v40, s[2:3]
	v_and_or_b32 v8, v8, s40, v41
	v_lshl_or_b32 v8, v40, 7, v8
	v_cvt_f32_f16_e32 v40, v8
.LBB241_348:                            ;   in Loop: Header=BB241_289 Depth=1
	s_or_b64 exec, exec, s[20:21]
	v_lshrrev_b32_e32 v8, 16, v21
	v_cmp_gt_i16_sdwa s[18:19], v8, s30 src0_sel:BYTE_0 src1_sel:DWORD
	s_mov_b64 s[2:3], 0
                                        ; implicit-def: $sgpr22
	s_and_saveexec_b64 s[20:21], s[18:19]
	s_xor_b64 s[18:19], exec, s[20:21]
	s_cbranch_execnz .LBB241_483
; %bb.349:                              ;   in Loop: Header=BB241_289 Depth=1
	s_or_saveexec_b64 s[18:19], s[18:19]
	v_mov_b32_e32 v41, s22
	s_xor_b64 exec, exec, s[18:19]
	s_cbranch_execnz .LBB241_486
.LBB241_350:                            ;   in Loop: Header=BB241_289 Depth=1
	s_or_b64 exec, exec, s[18:19]
	s_and_saveexec_b64 s[18:19], s[2:3]
	s_cbranch_execz .LBB241_352
.LBB241_351:                            ;   in Loop: Header=BB241_289 Depth=1
	v_bfe_u32 v41, v21, 16, 3
	v_ffbh_u32_e32 v42, v41
	v_min_u32_e32 v45, 32, v42
	v_subrev_u32_e32 v42, 28, v45
	v_bfe_u32 v44, v21, 19, 4
	v_lshlrev_b64 v[42:43], v42, v[8:9]
	v_sub_u32_e32 v43, 29, v45
	v_cmp_eq_u32_e64 s[2:3], 0, v44
	v_and_b32_e32 v42, 7, v42
	v_lshlrev_b32_e32 v8, 8, v8
	v_cndmask_b32_e64 v43, v44, v43, s[2:3]
	v_cndmask_b32_e64 v41, v41, v42, s[2:3]
	v_lshl_add_u32 v42, v43, 10, v33
	v_and_or_b32 v8, v8, s40, v42
	v_lshl_or_b32 v8, v41, 7, v8
	v_cvt_f32_f16_e32 v41, v8
.LBB241_352:                            ;   in Loop: Header=BB241_289 Depth=1
	s_or_b64 exec, exec, s[18:19]
	v_lshrrev_b32_e32 v8, 24, v21
	v_cmp_lt_i16_e64 s[2:3], s30, v8
	s_mov_b64 s[18:19], 0
                                        ; implicit-def: $sgpr28
	s_and_saveexec_b64 s[20:21], s[2:3]
	s_xor_b64 s[20:21], exec, s[20:21]
	s_cbranch_execnz .LBB241_487
; %bb.353:                              ;   in Loop: Header=BB241_289 Depth=1
	s_or_saveexec_b64 s[20:21], s[20:21]
	v_mov_b32_e32 v42, s28
	s_xor_b64 exec, exec, s[20:21]
	s_cbranch_execnz .LBB241_490
.LBB241_354:                            ;   in Loop: Header=BB241_289 Depth=1
	s_or_b64 exec, exec, s[20:21]
	s_and_saveexec_b64 s[20:21], s[18:19]
	s_cbranch_execz .LBB241_356
.LBB241_355:                            ;   in Loop: Header=BB241_289 Depth=1
	v_bfe_u32 v44, v21, 24, 3
	v_ffbh_u32_e32 v42, v44
	v_min_u32_e32 v45, 32, v42
	v_subrev_u32_e32 v42, 28, v45
	v_bfe_u32 v21, v21, 27, 4
	v_lshlrev_b64 v[42:43], v42, v[8:9]
	v_sub_u32_e32 v43, 29, v45
	v_cmp_eq_u32_e64 s[2:3], 0, v21
	v_and_b32_e32 v42, 7, v42
	v_lshlrev_b32_e32 v8, 8, v8
	v_cndmask_b32_e64 v21, v21, v43, s[2:3]
	v_lshl_add_u32 v21, v21, 10, v33
	v_cndmask_b32_e64 v42, v44, v42, s[2:3]
	v_and_or_b32 v8, v8, s40, v21
	v_lshl_or_b32 v8, v42, 7, v8
	v_cvt_f32_f16_e32 v42, v8
.LBB241_356:                            ;   in Loop: Header=BB241_289 Depth=1
	s_or_b64 exec, exec, s[20:21]
	s_waitcnt vmcnt(0)
	v_pk_mul_f32 v[24:25], v[18:19], v[24:25] op_sel_hi:[0,1]
	v_pk_mul_f32 v[22:23], v[18:19], v[22:23] op_sel_hi:[0,1]
	v_cvt_f16_f32_e32 v8, v25
	v_cvt_f16_f32_e32 v21, v24
	;; [unrolled: 1-line block ×4, first 2 shown]
	v_fma_mixlo_f16 v20, v18, v20, 0
	v_pack_b32_f16 v21, v21, v8
	v_pack_b32_f16 v22, v22, v23
	v_perm_b32 v8, v22, v21, s42
	v_perm_b32 v21, v22, v21, s43
	v_fma_mixlo_f16 v22, v18, v40, 0
	v_lshlrev_b32_e32 v22, 16, v22
	v_or_b32_sdwa v20, v22, v20 dst_sel:DWORD dst_unused:UNUSED_PAD src0_sel:DWORD src1_sel:WORD_0
	v_fma_mixlo_f16 v22, v18, v41, 0
	v_fma_mixlo_f16 v18, v18, v42, 0
	v_lshlrev_b32_e32 v18, 16, v18
	v_or_b32_sdwa v18, v18, v22 dst_sel:DWORD dst_unused:UNUSED_PAD src0_sel:DWORD src1_sel:WORD_0
	s_and_saveexec_b64 s[18:19], s[0:1]
	s_cbranch_execz .LBB241_358
; %bb.357:                              ;   in Loop: Header=BB241_289 Depth=1
	v_add_u32_e32 v23, 1, v34
	v_lshrrev_b32_e32 v24, 16, v21
	v_cmp_gt_i32_e64 s[2:3], s39, v23
	v_lshrrev_b32_e32 v25, 16, v8
	v_lshrrev_b32_e32 v18, 16, v18
	v_cndmask_b32_e64 v23, 0, v24, s[2:3]
	v_cmp_gt_i32_e64 s[2:3], s33, v34
	v_or_b32_e32 v24, 2, v34
	s_nop 0
	v_cndmask_b32_e64 v21, 0, v21, s[2:3]
	v_perm_b32 v21, v23, v21, s44
	v_or_b32_e32 v23, 3, v34
	v_cmp_gt_i32_e64 s[2:3], s39, v23
	s_nop 1
	v_cndmask_b32_e64 v23, 0, v25, s[2:3]
	v_cmp_gt_i32_e64 s[2:3], s33, v24
	v_or_b32_e32 v24, 4, v34
	v_lshrrev_b32_e32 v25, 16, v20
	v_cndmask_b32_e64 v8, 0, v8, s[2:3]
	v_perm_b32 v8, v23, v8, s44
	v_or_b32_e32 v23, 5, v34
	v_cmp_gt_i32_e64 s[2:3], s39, v23
	s_nop 1
	v_cndmask_b32_e64 v23, 0, v25, s[2:3]
	v_cmp_gt_i32_e64 s[2:3], s33, v24
	v_or_b32_e32 v24, 6, v34
	s_nop 0
	v_cndmask_b32_e64 v20, 0, v20, s[2:3]
	v_perm_b32 v20, v23, v20, s44
	v_or_b32_e32 v23, 7, v34
	v_cmp_gt_i32_e64 s[2:3], s39, v23
	s_nop 1
	v_cndmask_b32_e64 v18, 0, v18, s[2:3]
	v_cmp_gt_i32_e64 s[2:3], s33, v24
	s_nop 1
	v_cndmask_b32_e64 v22, 0, v22, s[2:3]
	v_perm_b32 v18, v18, v22, s44
.LBB241_358:                            ;   in Loop: Header=BB241_289 Depth=1
	s_or_b64 exec, exec, s[18:19]
	;;#ASMSTART
	v_pk_mul_f16 v21, v38, v21;

	;;#ASMEND
	;;#ASMSTART
	v_pk_mul_f16 v8, v37, v8;

	;;#ASMEND
	;;#ASMSTART
	v_pk_mul_f16 v20, v36, v20;

	;;#ASMEND
	;;#ASMSTART
	v_pk_mul_f16 v18, v35, v18;

	;;#ASMEND
	s_mov_b64 s[2:3], 0
	;;#ASMSTART
	v_pk_add_f16 v8, v21, v8;

	;;#ASMEND
                                        ; implicit-def: $sgpr22
	s_nop 0
	;;#ASMSTART
	v_pk_add_f16 v8, v8, v20;

	;;#ASMEND
	s_nop 0
	;;#ASMSTART
	v_pk_add_f16 v8, v8, v18;

	;;#ASMEND
	s_nop 0
	v_lshrrev_b32_e32 v18, 16, v8
	v_and_b32_e32 v8, 0xffff, v8
	;;#ASMSTART
	v_cvt_f32_f16 v24, v8;
	;;#ASMEND
	;;#ASMSTART
	v_cvt_f32_f16 v25, v18;
	;;#ASMEND
	global_load_dwordx2 v[20:21], v[16:17], off offset:1024
	global_load_dword v18, v9, s[14:15]
	s_waitcnt vmcnt(1)
	v_cmp_gt_i16_sdwa s[18:19], v20, s30 src0_sel:BYTE_0 src1_sel:DWORD
	s_and_saveexec_b64 s[20:21], s[18:19]
	s_xor_b64 s[18:19], exec, s[20:21]
	s_cbranch_execnz .LBB241_491
; %bb.359:                              ;   in Loop: Header=BB241_289 Depth=1
	s_or_saveexec_b64 s[18:19], s[18:19]
	v_mov_b32_e32 v16, s22
	s_xor_b64 exec, exec, s[18:19]
	s_cbranch_execnz .LBB241_494
.LBB241_360:                            ;   in Loop: Header=BB241_289 Depth=1
	s_or_b64 exec, exec, s[18:19]
	s_and_saveexec_b64 s[18:19], s[2:3]
	s_cbranch_execz .LBB241_362
.LBB241_361:                            ;   in Loop: Header=BB241_289 Depth=1
	v_and_b32_e32 v8, 7, v20
	v_ffbh_u32_e32 v8, v8
	v_bfe_u32 v16, v20, 3, 4
	v_min_u32_e32 v8, 32, v8
	v_subrev_u32_e32 v17, 28, v8
	v_sub_u32_e32 v8, 29, v8
	v_cmp_eq_u32_e64 s[2:3], 0, v16
	s_nop 1
	v_cndmask_b32_e64 v8, v16, v8, s[2:3]
	v_cndmask_b32_e64 v16, 0, v17, s[2:3]
	v_lshlrev_b64 v[16:17], v16, v[20:21]
	v_lshlrev_b32_e32 v17, 8, v20
	v_lshl_add_u32 v8, v8, 10, v33
	v_lshlrev_b32_e32 v16, 7, v16
	v_and_or_b32 v8, v17, s40, v8
	v_and_or_b32 v8, v16, s41, v8
	v_cvt_f32_f16_e32 v16, v8
.LBB241_362:                            ;   in Loop: Header=BB241_289 Depth=1
	s_or_b64 exec, exec, s[18:19]
	v_lshrrev_b16_e32 v8, 8, v20
	v_cmp_lt_i16_e64 s[2:3], s30, v8
	s_mov_b64 s[18:19], 0
                                        ; implicit-def: $sgpr28
	s_and_saveexec_b64 s[20:21], s[2:3]
	s_xor_b64 s[20:21], exec, s[20:21]
	s_cbranch_execnz .LBB241_495
; %bb.363:                              ;   in Loop: Header=BB241_289 Depth=1
	s_or_saveexec_b64 s[20:21], s[20:21]
	v_mov_b32_e32 v22, s28
	s_xor_b64 exec, exec, s[20:21]
	s_cbranch_execnz .LBB241_498
.LBB241_364:                            ;   in Loop: Header=BB241_289 Depth=1
	s_or_b64 exec, exec, s[20:21]
	s_and_saveexec_b64 s[20:21], s[18:19]
	s_cbranch_execz .LBB241_366
.LBB241_365:                            ;   in Loop: Header=BB241_289 Depth=1
	v_and_b32_e32 v17, 7, v8
	v_ffbh_u32_e32 v22, v17
	v_min_u32_e32 v41, 32, v22
	v_subrev_u32_e32 v22, 28, v41
	v_bfe_u32 v40, v8, 3, 4
	v_lshlrev_b64 v[22:23], v22, v[8:9]
	v_sub_u32_e32 v23, 29, v41
	v_cmp_eq_u32_e64 s[2:3], 0, v40
	v_and_b32_e32 v22, 7, v22
	v_lshlrev_b32_e32 v8, 8, v8
	v_cndmask_b32_e64 v23, v40, v23, s[2:3]
	v_cndmask_b32_e64 v17, v17, v22, s[2:3]
	v_lshl_add_u32 v22, v23, 10, v33
	v_and_or_b32 v8, v8, s40, v22
	v_lshl_or_b32 v8, v17, 7, v8
	v_cvt_f32_f16_e32 v22, v8
.LBB241_366:                            ;   in Loop: Header=BB241_289 Depth=1
	s_or_b64 exec, exec, s[20:21]
	v_lshrrev_b32_e32 v8, 16, v20
	v_cmp_gt_i16_sdwa s[18:19], v8, s30 src0_sel:BYTE_0 src1_sel:DWORD
	s_mov_b64 s[2:3], 0
                                        ; implicit-def: $sgpr22
	s_and_saveexec_b64 s[20:21], s[18:19]
	s_xor_b64 s[18:19], exec, s[20:21]
	s_cbranch_execnz .LBB241_499
; %bb.367:                              ;   in Loop: Header=BB241_289 Depth=1
	s_or_saveexec_b64 s[18:19], s[18:19]
	v_mov_b32_e32 v17, s22
	s_xor_b64 exec, exec, s[18:19]
	s_cbranch_execnz .LBB241_502
.LBB241_368:                            ;   in Loop: Header=BB241_289 Depth=1
	s_or_b64 exec, exec, s[18:19]
	s_and_saveexec_b64 s[18:19], s[2:3]
	s_cbranch_execz .LBB241_370
.LBB241_369:                            ;   in Loop: Header=BB241_289 Depth=1
	v_bfe_u32 v17, v20, 16, 3
	v_ffbh_u32_e32 v40, v17
	v_min_u32_e32 v42, 32, v40
	v_subrev_u32_e32 v40, 28, v42
	v_bfe_u32 v23, v20, 19, 4
	v_lshlrev_b64 v[40:41], v40, v[8:9]
	v_sub_u32_e32 v41, 29, v42
	v_cmp_eq_u32_e64 s[2:3], 0, v23
	v_and_b32_e32 v40, 7, v40
	v_lshlrev_b32_e32 v8, 8, v8
	v_cndmask_b32_e64 v23, v23, v41, s[2:3]
	v_lshl_add_u32 v23, v23, 10, v33
	v_cndmask_b32_e64 v17, v17, v40, s[2:3]
	v_and_or_b32 v8, v8, s40, v23
	v_lshl_or_b32 v8, v17, 7, v8
	v_cvt_f32_f16_e32 v17, v8
.LBB241_370:                            ;   in Loop: Header=BB241_289 Depth=1
	s_or_b64 exec, exec, s[18:19]
	v_lshrrev_b32_e32 v8, 24, v20
	v_cmp_lt_i16_e64 s[2:3], s30, v8
	s_mov_b64 s[18:19], 0
                                        ; implicit-def: $sgpr28
	s_and_saveexec_b64 s[20:21], s[2:3]
	s_xor_b64 s[20:21], exec, s[20:21]
	s_cbranch_execnz .LBB241_503
; %bb.371:                              ;   in Loop: Header=BB241_289 Depth=1
	s_or_saveexec_b64 s[20:21], s[20:21]
	v_mov_b32_e32 v23, s28
	s_xor_b64 exec, exec, s[20:21]
	s_cbranch_execnz .LBB241_506
.LBB241_372:                            ;   in Loop: Header=BB241_289 Depth=1
	s_or_b64 exec, exec, s[20:21]
	s_and_saveexec_b64 s[20:21], s[18:19]
	s_cbranch_execz .LBB241_374
.LBB241_373:                            ;   in Loop: Header=BB241_289 Depth=1
	v_bfe_u32 v23, v20, 24, 3
	v_ffbh_u32_e32 v40, v23
	v_min_u32_e32 v42, 32, v40
	v_subrev_u32_e32 v40, 28, v42
	v_bfe_u32 v20, v20, 27, 4
	v_lshlrev_b64 v[40:41], v40, v[8:9]
	v_sub_u32_e32 v41, 29, v42
	v_cmp_eq_u32_e64 s[2:3], 0, v20
	v_and_b32_e32 v40, 7, v40
	v_lshlrev_b32_e32 v8, 8, v8
	v_cndmask_b32_e64 v20, v20, v41, s[2:3]
	v_lshl_add_u32 v20, v20, 10, v33
	v_cndmask_b32_e64 v23, v23, v40, s[2:3]
	v_and_or_b32 v8, v8, s40, v20
	v_lshl_or_b32 v8, v23, 7, v8
	v_cvt_f32_f16_e32 v23, v8
.LBB241_374:                            ;   in Loop: Header=BB241_289 Depth=1
	s_or_b64 exec, exec, s[20:21]
	v_cmp_gt_i16_sdwa s[18:19], v21, s30 src0_sel:BYTE_0 src1_sel:DWORD
	s_mov_b64 s[2:3], 0
                                        ; implicit-def: $sgpr22
	s_and_saveexec_b64 s[20:21], s[18:19]
	s_xor_b64 s[18:19], exec, s[20:21]
	s_cbranch_execnz .LBB241_507
; %bb.375:                              ;   in Loop: Header=BB241_289 Depth=1
	s_or_saveexec_b64 s[18:19], s[18:19]
	v_mov_b32_e32 v20, s22
	s_xor_b64 exec, exec, s[18:19]
	s_cbranch_execnz .LBB241_510
.LBB241_376:                            ;   in Loop: Header=BB241_289 Depth=1
	s_or_b64 exec, exec, s[18:19]
	v_mov_b32_e32 v8, v21
	s_and_saveexec_b64 s[18:19], s[2:3]
	s_cbranch_execz .LBB241_378
.LBB241_377:                            ;   in Loop: Header=BB241_289 Depth=1
	v_and_b32_e32 v20, 7, v21
	v_ffbh_u32_e32 v20, v20
	v_bfe_u32 v40, v21, 3, 4
	v_min_u32_e32 v20, 32, v20
	v_subrev_u32_e32 v41, 28, v20
	v_sub_u32_e32 v20, 29, v20
	v_cmp_eq_u32_e64 s[2:3], 0, v40
	s_nop 1
	v_cndmask_b32_e64 v20, v40, v20, s[2:3]
	v_cndmask_b32_e64 v40, 0, v41, s[2:3]
	v_lshlrev_b64 v[40:41], v40, v[8:9]
	v_lshlrev_b32_e32 v41, 8, v21
	v_lshl_add_u32 v20, v20, 10, v33
	v_lshlrev_b32_e32 v40, 7, v40
	v_and_or_b32 v20, v41, s40, v20
	v_and_or_b32 v20, v40, s41, v20
	v_cvt_f32_f16_e32 v20, v20
.LBB241_378:                            ;   in Loop: Header=BB241_289 Depth=1
	s_or_b64 exec, exec, s[18:19]
	v_lshrrev_b16_e32 v8, 8, v8
	v_cmp_lt_i16_e64 s[2:3], s30, v8
	s_mov_b64 s[18:19], 0
                                        ; implicit-def: $sgpr28
	s_and_saveexec_b64 s[20:21], s[2:3]
	s_xor_b64 s[20:21], exec, s[20:21]
	s_cbranch_execnz .LBB241_511
; %bb.379:                              ;   in Loop: Header=BB241_289 Depth=1
	s_or_saveexec_b64 s[20:21], s[20:21]
	v_mov_b32_e32 v40, s28
	s_xor_b64 exec, exec, s[20:21]
	s_cbranch_execnz .LBB241_514
.LBB241_380:                            ;   in Loop: Header=BB241_289 Depth=1
	s_or_b64 exec, exec, s[20:21]
	s_and_saveexec_b64 s[20:21], s[18:19]
	s_cbranch_execz .LBB241_382
.LBB241_381:                            ;   in Loop: Header=BB241_289 Depth=1
	v_and_b32_e32 v42, 7, v8
	v_ffbh_u32_e32 v40, v42
	v_min_u32_e32 v44, 32, v40
	v_subrev_u32_e32 v40, 28, v44
	v_bfe_u32 v43, v8, 3, 4
	v_lshlrev_b64 v[40:41], v40, v[8:9]
	v_sub_u32_e32 v41, 29, v44
	v_cmp_eq_u32_e64 s[2:3], 0, v43
	v_and_b32_e32 v40, 7, v40
	v_lshlrev_b32_e32 v8, 8, v8
	v_cndmask_b32_e64 v41, v43, v41, s[2:3]
	v_lshl_add_u32 v41, v41, 10, v33
	v_cndmask_b32_e64 v40, v42, v40, s[2:3]
	v_and_or_b32 v8, v8, s40, v41
	v_lshl_or_b32 v8, v40, 7, v8
	v_cvt_f32_f16_e32 v40, v8
.LBB241_382:                            ;   in Loop: Header=BB241_289 Depth=1
	s_or_b64 exec, exec, s[20:21]
	v_lshrrev_b32_e32 v8, 16, v21
	v_cmp_gt_i16_sdwa s[18:19], v8, s30 src0_sel:BYTE_0 src1_sel:DWORD
	s_mov_b64 s[2:3], 0
                                        ; implicit-def: $sgpr22
	s_and_saveexec_b64 s[20:21], s[18:19]
	s_xor_b64 s[18:19], exec, s[20:21]
	s_cbranch_execnz .LBB241_515
; %bb.383:                              ;   in Loop: Header=BB241_289 Depth=1
	s_or_saveexec_b64 s[18:19], s[18:19]
	v_mov_b32_e32 v41, s22
	s_xor_b64 exec, exec, s[18:19]
	s_cbranch_execnz .LBB241_518
.LBB241_384:                            ;   in Loop: Header=BB241_289 Depth=1
	s_or_b64 exec, exec, s[18:19]
	s_and_saveexec_b64 s[18:19], s[2:3]
	s_cbranch_execz .LBB241_386
.LBB241_385:                            ;   in Loop: Header=BB241_289 Depth=1
	v_bfe_u32 v41, v21, 16, 3
	v_ffbh_u32_e32 v42, v41
	v_min_u32_e32 v45, 32, v42
	v_subrev_u32_e32 v42, 28, v45
	v_bfe_u32 v44, v21, 19, 4
	v_lshlrev_b64 v[42:43], v42, v[8:9]
	v_sub_u32_e32 v43, 29, v45
	v_cmp_eq_u32_e64 s[2:3], 0, v44
	v_and_b32_e32 v42, 7, v42
	v_lshlrev_b32_e32 v8, 8, v8
	v_cndmask_b32_e64 v43, v44, v43, s[2:3]
	v_cndmask_b32_e64 v41, v41, v42, s[2:3]
	v_lshl_add_u32 v42, v43, 10, v33
	v_and_or_b32 v8, v8, s40, v42
	v_lshl_or_b32 v8, v41, 7, v8
	v_cvt_f32_f16_e32 v41, v8
.LBB241_386:                            ;   in Loop: Header=BB241_289 Depth=1
	s_or_b64 exec, exec, s[18:19]
	v_lshrrev_b32_e32 v8, 24, v21
	v_cmp_lt_i16_e64 s[2:3], s30, v8
	s_mov_b64 s[18:19], 0
                                        ; implicit-def: $sgpr28
	s_and_saveexec_b64 s[20:21], s[2:3]
	s_xor_b64 s[20:21], exec, s[20:21]
	s_cbranch_execnz .LBB241_519
; %bb.387:                              ;   in Loop: Header=BB241_289 Depth=1
	s_or_saveexec_b64 s[20:21], s[20:21]
	v_mov_b32_e32 v42, s28
	s_xor_b64 exec, exec, s[20:21]
	s_cbranch_execnz .LBB241_522
.LBB241_388:                            ;   in Loop: Header=BB241_289 Depth=1
	s_or_b64 exec, exec, s[20:21]
	s_and_saveexec_b64 s[20:21], s[18:19]
	s_cbranch_execz .LBB241_390
.LBB241_389:                            ;   in Loop: Header=BB241_289 Depth=1
	v_bfe_u32 v44, v21, 24, 3
	v_ffbh_u32_e32 v42, v44
	v_min_u32_e32 v45, 32, v42
	v_subrev_u32_e32 v42, 28, v45
	v_bfe_u32 v21, v21, 27, 4
	v_lshlrev_b64 v[42:43], v42, v[8:9]
	v_sub_u32_e32 v43, 29, v45
	v_cmp_eq_u32_e64 s[2:3], 0, v21
	v_and_b32_e32 v42, 7, v42
	v_lshlrev_b32_e32 v8, 8, v8
	v_cndmask_b32_e64 v21, v21, v43, s[2:3]
	v_lshl_add_u32 v21, v21, 10, v33
	v_cndmask_b32_e64 v42, v44, v42, s[2:3]
	v_and_or_b32 v8, v8, s40, v21
	v_lshl_or_b32 v8, v42, 7, v8
	v_cvt_f32_f16_e32 v42, v8
.LBB241_390:                            ;   in Loop: Header=BB241_289 Depth=1
	s_or_b64 exec, exec, s[20:21]
	s_waitcnt vmcnt(0)
	v_pk_mul_f32 v[16:17], v[18:19], v[16:17] op_sel_hi:[0,1]
	v_cvt_f16_f32_e32 v17, v17
	v_cvt_f16_f32_e32 v16, v16
	v_pk_mul_f32 v[22:23], v[18:19], v[22:23] op_sel_hi:[0,1]
	v_cvt_f16_f32_e32 v8, v23
	v_cvt_f16_f32_e32 v21, v22
	v_pack_b32_f16 v16, v16, v17
	v_fma_mixlo_f16 v17, v18, v40, 0
	v_lshlrev_b32_e32 v17, 16, v17
	v_fma_mixlo_f16 v20, v18, v20, 0
	v_or_b32_sdwa v17, v17, v20 dst_sel:DWORD dst_unused:UNUSED_PAD src0_sel:DWORD src1_sel:WORD_0
	v_fma_mixlo_f16 v20, v18, v41, 0
	v_fma_mixlo_f16 v18, v18, v42, 0
	v_pack_b32_f16 v21, v21, v8
	v_lshlrev_b32_e32 v18, 16, v18
	v_perm_b32 v8, v16, v21, s42
	v_perm_b32 v16, v16, v21, s43
	v_or_b32_sdwa v18, v18, v20 dst_sel:DWORD dst_unused:UNUSED_PAD src0_sel:DWORD src1_sel:WORD_0
	s_and_saveexec_b64 s[18:19], s[0:1]
	s_cbranch_execz .LBB241_392
; %bb.391:                              ;   in Loop: Header=BB241_289 Depth=1
	v_add_u32_e32 v21, 1, v34
	v_lshrrev_b32_e32 v22, 16, v16
	v_cmp_gt_i32_e64 s[2:3], s39, v21
	v_lshrrev_b32_e32 v23, 16, v8
	v_lshrrev_b32_e32 v18, 16, v18
	v_cndmask_b32_e64 v21, 0, v22, s[2:3]
	v_cmp_gt_i32_e64 s[2:3], s33, v34
	v_or_b32_e32 v22, 2, v34
	s_nop 0
	v_cndmask_b32_e64 v16, 0, v16, s[2:3]
	v_perm_b32 v16, v21, v16, s44
	v_or_b32_e32 v21, 3, v34
	v_cmp_gt_i32_e64 s[2:3], s39, v21
	s_nop 1
	v_cndmask_b32_e64 v21, 0, v23, s[2:3]
	v_cmp_gt_i32_e64 s[2:3], s33, v22
	v_or_b32_e32 v22, 4, v34
	v_lshrrev_b32_e32 v23, 16, v17
	v_cndmask_b32_e64 v8, 0, v8, s[2:3]
	v_perm_b32 v8, v21, v8, s44
	v_or_b32_e32 v21, 5, v34
	v_cmp_gt_i32_e64 s[2:3], s39, v21
	s_nop 1
	v_cndmask_b32_e64 v21, 0, v23, s[2:3]
	v_cmp_gt_i32_e64 s[2:3], s33, v22
	v_or_b32_e32 v22, 6, v34
	s_nop 0
	v_cndmask_b32_e64 v17, 0, v17, s[2:3]
	v_perm_b32 v17, v21, v17, s44
	v_or_b32_e32 v21, 7, v34
	v_cmp_gt_i32_e64 s[2:3], s39, v21
	s_nop 1
	v_cndmask_b32_e64 v18, 0, v18, s[2:3]
	v_cmp_gt_i32_e64 s[2:3], s33, v22
	s_nop 1
	v_cndmask_b32_e64 v20, 0, v20, s[2:3]
	v_perm_b32 v18, v18, v20, s44
.LBB241_392:                            ;   in Loop: Header=BB241_289 Depth=1
	s_or_b64 exec, exec, s[18:19]
	;;#ASMSTART
	v_pk_mul_f16 v16, v38, v16;

	;;#ASMEND
	;;#ASMSTART
	v_pk_mul_f16 v8, v37, v8;

	;;#ASMEND
	;; [unrolled: 4-line block ×4, first 2 shown]
	v_add_f32_e32 v19, v19, v39
	;;#ASMSTART
	v_pk_add_f16 v8, v16, v8;

	;;#ASMEND
	v_add_f32_e32 v2, v2, v19
	;;#ASMSTART
	v_pk_add_f16 v8, v8, v17;

	;;#ASMEND
	;; [unrolled: 5-line block ×3, first 2 shown]
	v_add_f32_e32 v3, v3, v19
	v_lshrrev_b32_e32 v16, 16, v8
	v_and_b32_e32 v8, 0xffff, v8
	;;#ASMSTART
	v_cvt_f32_f16 v8, v8;
	;;#ASMEND
	;;#ASMSTART
	v_cvt_f32_f16 v16, v16;
	;;#ASMEND
	s_nop 0
	v_add_f32_e32 v8, v8, v16
	v_add_f32_e32 v4, v4, v8
	s_and_saveexec_b64 s[18:19], vcc
	s_cbranch_execz .LBB241_287
; %bb.393:                              ;   in Loop: Header=BB241_289 Depth=1
	v_lshl_add_u64 v[18:19], v[14:15], 0, v[10:11]
	global_load_dwordx2 v[16:17], v[18:19], off
	global_load_dword v14, v9, s[14:15]
	s_mov_b64 s[2:3], 0
                                        ; implicit-def: $sgpr28
	s_waitcnt vmcnt(1)
	v_cmp_gt_i16_sdwa s[20:21], v16, s30 src0_sel:BYTE_0 src1_sel:DWORD
	s_and_saveexec_b64 s[22:23], s[20:21]
	s_xor_b64 s[20:21], exec, s[22:23]
	s_cbranch_execnz .LBB241_523
; %bb.394:                              ;   in Loop: Header=BB241_289 Depth=1
	s_or_saveexec_b64 s[20:21], s[20:21]
	v_mov_b32_e32 v18, s28
	s_xor_b64 exec, exec, s[20:21]
	s_cbranch_execnz .LBB241_526
.LBB241_395:                            ;   in Loop: Header=BB241_289 Depth=1
	s_or_b64 exec, exec, s[20:21]
	s_and_saveexec_b64 s[20:21], s[2:3]
	s_cbranch_execz .LBB241_397
.LBB241_396:                            ;   in Loop: Header=BB241_289 Depth=1
	v_and_b32_e32 v8, 7, v16
	v_ffbh_u32_e32 v8, v8
	v_bfe_u32 v15, v16, 3, 4
	v_min_u32_e32 v8, 32, v8
	v_subrev_u32_e32 v18, 28, v8
	v_sub_u32_e32 v8, 29, v8
	v_cmp_eq_u32_e64 s[2:3], 0, v15
	s_nop 1
	v_cndmask_b32_e64 v8, v15, v8, s[2:3]
	v_cndmask_b32_e64 v15, 0, v18, s[2:3]
	v_lshlrev_b64 v[18:19], v15, v[16:17]
	v_lshlrev_b32_e32 v15, 7, v18
	v_lshlrev_b32_e32 v18, 8, v16
	v_lshl_add_u32 v8, v8, 10, v33
	v_and_or_b32 v8, v18, s40, v8
	v_and_or_b32 v8, v15, s41, v8
	v_cvt_f32_f16_e32 v18, v8
.LBB241_397:                            ;   in Loop: Header=BB241_289 Depth=1
	s_or_b64 exec, exec, s[20:21]
	v_lshrrev_b16_e32 v8, 8, v16
	v_cmp_lt_i16_e64 s[2:3], s30, v8
	s_mov_b64 s[20:21], 0
                                        ; implicit-def: $sgpr45
	s_and_saveexec_b64 s[22:23], s[2:3]
	s_xor_b64 s[22:23], exec, s[22:23]
	s_cbranch_execnz .LBB241_527
; %bb.398:                              ;   in Loop: Header=BB241_289 Depth=1
	s_or_saveexec_b64 s[22:23], s[22:23]
	v_mov_b32_e32 v20, s45
	s_xor_b64 exec, exec, s[22:23]
	s_cbranch_execnz .LBB241_530
.LBB241_399:                            ;   in Loop: Header=BB241_289 Depth=1
	s_or_b64 exec, exec, s[22:23]
	s_and_saveexec_b64 s[22:23], s[20:21]
	s_cbranch_execz .LBB241_401
.LBB241_400:                            ;   in Loop: Header=BB241_289 Depth=1
	v_and_b32_e32 v15, 7, v8
	v_ffbh_u32_e32 v20, v15
	v_min_u32_e32 v22, 32, v20
	v_subrev_u32_e32 v20, 28, v22
	v_bfe_u32 v19, v8, 3, 4
	v_lshlrev_b64 v[20:21], v20, v[8:9]
	v_sub_u32_e32 v21, 29, v22
	v_cmp_eq_u32_e64 s[2:3], 0, v19
	v_and_b32_e32 v20, 7, v20
	v_lshlrev_b32_e32 v8, 8, v8
	v_cndmask_b32_e64 v19, v19, v21, s[2:3]
	v_lshl_add_u32 v19, v19, 10, v33
	v_cndmask_b32_e64 v15, v15, v20, s[2:3]
	v_and_or_b32 v8, v8, s40, v19
	v_lshl_or_b32 v8, v15, 7, v8
	v_cvt_f32_f16_e32 v20, v8
.LBB241_401:                            ;   in Loop: Header=BB241_289 Depth=1
	s_or_b64 exec, exec, s[22:23]
	v_lshrrev_b32_e32 v8, 16, v16
	v_cmp_gt_i16_sdwa s[20:21], v8, s30 src0_sel:BYTE_0 src1_sel:DWORD
	s_mov_b64 s[2:3], 0
                                        ; implicit-def: $sgpr28
	s_and_saveexec_b64 s[22:23], s[20:21]
	s_xor_b64 s[20:21], exec, s[22:23]
	s_cbranch_execnz .LBB241_531
; %bb.402:                              ;   in Loop: Header=BB241_289 Depth=1
	s_or_saveexec_b64 s[20:21], s[20:21]
	v_mov_b32_e32 v19, s28
	s_xor_b64 exec, exec, s[20:21]
	s_cbranch_execnz .LBB241_534
.LBB241_403:                            ;   in Loop: Header=BB241_289 Depth=1
	s_or_b64 exec, exec, s[20:21]
	s_and_saveexec_b64 s[20:21], s[2:3]
	s_cbranch_execz .LBB241_405
.LBB241_404:                            ;   in Loop: Header=BB241_289 Depth=1
	v_bfe_u32 v15, v16, 16, 3
	v_ffbh_u32_e32 v21, v15
	v_bfe_u32 v19, v16, 19, 4
	v_min_u32_e32 v21, 32, v21
	v_subrev_u32_e32 v22, 28, v21
	v_sub_u32_e32 v21, 29, v21
	v_cmp_eq_u32_e64 s[2:3], 0, v19
	v_lshlrev_b64 v[22:23], v22, v[8:9]
	v_and_b32_e32 v22, 7, v22
	v_cndmask_b32_e64 v19, v19, v21, s[2:3]
	v_lshlrev_b32_e32 v8, 8, v8
	v_lshl_add_u32 v19, v19, 10, v33
	v_cndmask_b32_e64 v15, v15, v22, s[2:3]
	v_and_or_b32 v8, v8, s40, v19
	v_lshl_or_b32 v8, v15, 7, v8
	v_cvt_f32_f16_e32 v19, v8
.LBB241_405:                            ;   in Loop: Header=BB241_289 Depth=1
	s_or_b64 exec, exec, s[20:21]
	v_lshrrev_b32_e32 v8, 24, v16
	v_cmp_lt_i16_e64 s[2:3], s30, v8
	s_mov_b64 s[20:21], 0
                                        ; implicit-def: $sgpr45
	s_and_saveexec_b64 s[22:23], s[2:3]
	s_xor_b64 s[22:23], exec, s[22:23]
	s_cbranch_execnz .LBB241_535
; %bb.406:                              ;   in Loop: Header=BB241_289 Depth=1
	s_or_saveexec_b64 s[22:23], s[22:23]
	v_mov_b32_e32 v21, s45
	s_xor_b64 exec, exec, s[22:23]
	s_cbranch_execnz .LBB241_538
.LBB241_407:                            ;   in Loop: Header=BB241_289 Depth=1
	s_or_b64 exec, exec, s[22:23]
	s_and_saveexec_b64 s[22:23], s[20:21]
	s_cbranch_execz .LBB241_409
.LBB241_408:                            ;   in Loop: Header=BB241_289 Depth=1
	v_bfe_u32 v15, v16, 24, 3
	v_ffbh_u32_e32 v21, v15
	v_bfe_u32 v16, v16, 27, 4
	v_min_u32_e32 v21, 32, v21
	v_subrev_u32_e32 v22, 28, v21
	v_sub_u32_e32 v21, 29, v21
	v_cmp_eq_u32_e64 s[2:3], 0, v16
	v_lshlrev_b64 v[22:23], v22, v[8:9]
	v_and_b32_e32 v22, 7, v22
	v_cndmask_b32_e64 v16, v16, v21, s[2:3]
	v_lshlrev_b32_e32 v8, 8, v8
	v_lshl_add_u32 v16, v16, 10, v33
	v_cndmask_b32_e64 v15, v15, v22, s[2:3]
	v_and_or_b32 v8, v8, s40, v16
	v_lshl_or_b32 v8, v15, 7, v8
	v_cvt_f32_f16_e32 v21, v8
.LBB241_409:                            ;   in Loop: Header=BB241_289 Depth=1
	s_or_b64 exec, exec, s[22:23]
	v_cmp_gt_i16_sdwa s[20:21], v17, s30 src0_sel:BYTE_0 src1_sel:DWORD
	s_mov_b64 s[2:3], 0
                                        ; implicit-def: $sgpr28
	s_and_saveexec_b64 s[22:23], s[20:21]
	s_xor_b64 s[20:21], exec, s[22:23]
	s_cbranch_execnz .LBB241_539
; %bb.410:                              ;   in Loop: Header=BB241_289 Depth=1
	s_or_saveexec_b64 s[20:21], s[20:21]
	v_mov_b32_e32 v15, s28
	s_xor_b64 exec, exec, s[20:21]
	s_cbranch_execnz .LBB241_542
.LBB241_411:                            ;   in Loop: Header=BB241_289 Depth=1
	s_or_b64 exec, exec, s[20:21]
	v_mov_b32_e32 v8, v17
	s_and_saveexec_b64 s[20:21], s[2:3]
	s_cbranch_execz .LBB241_413
.LBB241_412:                            ;   in Loop: Header=BB241_289 Depth=1
	v_and_b32_e32 v15, 7, v17
	v_ffbh_u32_e32 v15, v15
	v_bfe_u32 v16, v17, 3, 4
	v_min_u32_e32 v15, 32, v15
	v_subrev_u32_e32 v22, 28, v15
	v_sub_u32_e32 v15, 29, v15
	v_cmp_eq_u32_e64 s[2:3], 0, v16
	s_nop 1
	v_cndmask_b32_e64 v15, v16, v15, s[2:3]
	v_cndmask_b32_e64 v16, 0, v22, s[2:3]
	v_lshlrev_b64 v[22:23], v16, v[8:9]
	v_lshlrev_b32_e32 v16, 7, v22
	v_lshlrev_b32_e32 v22, 8, v17
	v_lshl_add_u32 v15, v15, 10, v33
	v_and_or_b32 v15, v22, s40, v15
	v_and_or_b32 v15, v16, s41, v15
	v_cvt_f32_f16_e32 v15, v15
.LBB241_413:                            ;   in Loop: Header=BB241_289 Depth=1
	s_or_b64 exec, exec, s[20:21]
	v_lshrrev_b16_e32 v8, 8, v8
	v_cmp_lt_i16_e64 s[2:3], s30, v8
	s_mov_b64 s[20:21], 0
                                        ; implicit-def: $sgpr45
	s_and_saveexec_b64 s[22:23], s[2:3]
	s_xor_b64 s[22:23], exec, s[22:23]
	s_cbranch_execnz .LBB241_543
; %bb.414:                              ;   in Loop: Header=BB241_289 Depth=1
	s_or_saveexec_b64 s[22:23], s[22:23]
	v_mov_b32_e32 v16, s45
	s_xor_b64 exec, exec, s[22:23]
	s_cbranch_execnz .LBB241_546
.LBB241_415:                            ;   in Loop: Header=BB241_289 Depth=1
	s_or_b64 exec, exec, s[22:23]
	s_and_saveexec_b64 s[22:23], s[20:21]
	s_cbranch_execz .LBB241_417
.LBB241_416:                            ;   in Loop: Header=BB241_289 Depth=1
	v_and_b32_e32 v16, 7, v8
	v_ffbh_u32_e32 v22, v16
	v_min_u32_e32 v25, 32, v22
	v_subrev_u32_e32 v22, 28, v25
	v_bfe_u32 v24, v8, 3, 4
	v_lshlrev_b64 v[22:23], v22, v[8:9]
	v_sub_u32_e32 v23, 29, v25
	v_cmp_eq_u32_e64 s[2:3], 0, v24
	v_and_b32_e32 v22, 7, v22
	v_lshlrev_b32_e32 v8, 8, v8
	v_cndmask_b32_e64 v23, v24, v23, s[2:3]
	v_cndmask_b32_e64 v16, v16, v22, s[2:3]
	v_lshl_add_u32 v22, v23, 10, v33
	v_and_or_b32 v8, v8, s40, v22
	v_lshl_or_b32 v8, v16, 7, v8
	v_cvt_f32_f16_e32 v16, v8
.LBB241_417:                            ;   in Loop: Header=BB241_289 Depth=1
	s_or_b64 exec, exec, s[22:23]
	v_lshrrev_b32_e32 v8, 16, v17
	v_cmp_gt_i16_sdwa s[20:21], v8, s30 src0_sel:BYTE_0 src1_sel:DWORD
	s_mov_b64 s[2:3], 0
                                        ; implicit-def: $sgpr28
	s_and_saveexec_b64 s[22:23], s[20:21]
	s_xor_b64 s[20:21], exec, s[22:23]
	s_cbranch_execnz .LBB241_547
; %bb.418:                              ;   in Loop: Header=BB241_289 Depth=1
	s_or_saveexec_b64 s[20:21], s[20:21]
	v_mov_b32_e32 v22, s28
	s_xor_b64 exec, exec, s[20:21]
	s_cbranch_execnz .LBB241_550
.LBB241_419:                            ;   in Loop: Header=BB241_289 Depth=1
	s_or_b64 exec, exec, s[20:21]
	s_and_saveexec_b64 s[20:21], s[2:3]
	s_cbranch_execz .LBB241_421
.LBB241_420:                            ;   in Loop: Header=BB241_289 Depth=1
	v_bfe_u32 v24, v17, 16, 3
	v_ffbh_u32_e32 v22, v24
	v_min_u32_e32 v39, 32, v22
	v_subrev_u32_e32 v22, 28, v39
	v_bfe_u32 v25, v17, 19, 4
	v_lshlrev_b64 v[22:23], v22, v[8:9]
	v_sub_u32_e32 v23, 29, v39
	v_cmp_eq_u32_e64 s[2:3], 0, v25
	v_and_b32_e32 v22, 7, v22
	v_lshlrev_b32_e32 v8, 8, v8
	v_cndmask_b32_e64 v23, v25, v23, s[2:3]
	v_lshl_add_u32 v23, v23, 10, v33
	v_cndmask_b32_e64 v22, v24, v22, s[2:3]
	v_and_or_b32 v8, v8, s40, v23
	v_lshl_or_b32 v8, v22, 7, v8
	v_cvt_f32_f16_e32 v22, v8
.LBB241_421:                            ;   in Loop: Header=BB241_289 Depth=1
	s_or_b64 exec, exec, s[20:21]
	v_lshrrev_b32_e32 v8, 24, v17
	v_cmp_lt_i16_e64 s[2:3], s30, v8
	s_mov_b64 s[20:21], 0
                                        ; implicit-def: $sgpr45
	s_and_saveexec_b64 s[22:23], s[2:3]
	s_xor_b64 s[22:23], exec, s[22:23]
	s_cbranch_execnz .LBB241_551
; %bb.422:                              ;   in Loop: Header=BB241_289 Depth=1
	s_or_saveexec_b64 s[22:23], s[22:23]
	v_mov_b32_e32 v23, s45
	s_xor_b64 exec, exec, s[22:23]
	s_cbranch_execnz .LBB241_554
.LBB241_423:                            ;   in Loop: Header=BB241_289 Depth=1
	s_or_b64 exec, exec, s[22:23]
	s_and_saveexec_b64 s[22:23], s[20:21]
	s_cbranch_execz .LBB241_425
.LBB241_424:                            ;   in Loop: Header=BB241_289 Depth=1
	v_bfe_u32 v23, v17, 24, 3
	v_ffbh_u32_e32 v24, v23
	v_min_u32_e32 v39, 32, v24
	v_subrev_u32_e32 v24, 28, v39
	v_bfe_u32 v17, v17, 27, 4
	v_lshlrev_b64 v[24:25], v24, v[8:9]
	v_sub_u32_e32 v25, 29, v39
	v_cmp_eq_u32_e64 s[2:3], 0, v17
	v_and_b32_e32 v24, 7, v24
	v_lshlrev_b32_e32 v8, 8, v8
	v_cndmask_b32_e64 v17, v17, v25, s[2:3]
	v_lshl_add_u32 v17, v17, 10, v33
	v_cndmask_b32_e64 v23, v23, v24, s[2:3]
	v_and_or_b32 v8, v8, s40, v17
	v_lshl_or_b32 v8, v23, 7, v8
	v_cvt_f32_f16_e32 v23, v8
.LBB241_425:                            ;   in Loop: Header=BB241_289 Depth=1
	s_or_b64 exec, exec, s[22:23]
	s_waitcnt vmcnt(0)
	v_pk_mul_f32 v[20:21], v[14:15], v[20:21] op_sel_hi:[0,1]
	v_pk_mul_f32 v[18:19], v[14:15], v[18:19] op_sel_hi:[0,1]
	v_cvt_f16_f32_e32 v8, v21
	v_cvt_f16_f32_e32 v17, v20
	v_cvt_f16_f32_e32 v19, v19
	v_cvt_f16_f32_e32 v18, v18
	v_fma_mixlo_f16 v16, v14, v16, 0
	v_lshlrev_b32_e32 v16, 16, v16
	v_fma_mixlo_f16 v15, v14, v15, 0
	v_or_b32_sdwa v15, v16, v15 dst_sel:DWORD dst_unused:UNUSED_PAD src0_sel:DWORD src1_sel:WORD_0
	v_fma_mixlo_f16 v16, v14, v22, 0
	v_fma_mixlo_f16 v14, v14, v23, 0
	v_pack_b32_f16 v17, v17, v8
	v_pack_b32_f16 v18, v18, v19
	v_lshlrev_b32_e32 v14, 16, v14
	v_perm_b32 v8, v18, v17, s42
	v_perm_b32 v17, v18, v17, s43
	v_or_b32_sdwa v14, v14, v16 dst_sel:DWORD dst_unused:UNUSED_PAD src0_sel:DWORD src1_sel:WORD_0
	s_and_saveexec_b64 s[2:3], s[0:1]
	s_cbranch_execz .LBB241_286
; %bb.426:                              ;   in Loop: Header=BB241_289 Depth=1
	v_add_u32_e32 v18, 1, v34
	v_lshrrev_b32_e32 v19, 16, v17
	v_cmp_gt_i32_e64 s[0:1], s39, v18
	v_lshrrev_b32_e32 v20, 16, v8
	v_lshrrev_b32_e32 v14, 16, v14
	v_cndmask_b32_e64 v18, 0, v19, s[0:1]
	v_cmp_gt_i32_e64 s[0:1], s33, v34
	v_or_b32_e32 v19, 2, v34
	s_nop 0
	v_cndmask_b32_e64 v17, 0, v17, s[0:1]
	v_perm_b32 v17, v18, v17, s44
	v_or_b32_e32 v18, 3, v34
	v_cmp_gt_i32_e64 s[0:1], s39, v18
	s_nop 1
	v_cndmask_b32_e64 v18, 0, v20, s[0:1]
	v_cmp_gt_i32_e64 s[0:1], s33, v19
	v_or_b32_e32 v19, 4, v34
	v_lshrrev_b32_e32 v20, 16, v15
	v_cndmask_b32_e64 v8, 0, v8, s[0:1]
	v_perm_b32 v8, v18, v8, s44
	v_or_b32_e32 v18, 5, v34
	v_cmp_gt_i32_e64 s[0:1], s39, v18
	s_nop 1
	v_cndmask_b32_e64 v18, 0, v20, s[0:1]
	v_cmp_gt_i32_e64 s[0:1], s33, v19
	v_or_b32_e32 v19, 6, v34
	s_nop 0
	v_cndmask_b32_e64 v15, 0, v15, s[0:1]
	v_perm_b32 v15, v18, v15, s44
	v_or_b32_e32 v18, 7, v34
	v_cmp_gt_i32_e64 s[0:1], s39, v18
	s_nop 1
	v_cndmask_b32_e64 v14, 0, v14, s[0:1]
	v_cmp_gt_i32_e64 s[0:1], s33, v19
	s_nop 1
	v_cndmask_b32_e64 v16, 0, v16, s[0:1]
	v_perm_b32 v14, v14, v16, s44
	s_branch .LBB241_286
.LBB241_427:                            ;   in Loop: Header=BB241_289 Depth=1
	v_cmp_eq_u16_sdwa s[22:23], v20, s31 src0_sel:BYTE_0 src1_sel:DWORD
	s_mov_b64 s[0:1], -1
                                        ; implicit-def: $sgpr20
	s_and_saveexec_b64 s[18:19], s[22:23]
; %bb.428:                              ;   in Loop: Header=BB241_289 Depth=1
	s_mov_b32 s20, 0x7fc02000
	s_xor_b64 s[0:1], exec, -1
; %bb.429:                              ;   in Loop: Header=BB241_289 Depth=1
	s_or_b64 exec, exec, s[18:19]
	s_and_b64 s[0:1], s[0:1], exec
	s_or_saveexec_b64 s[2:3], s[2:3]
	v_mov_b32_e32 v22, s20
	s_xor_b64 exec, exec, s[2:3]
	s_cbranch_execz .LBB241_292
.LBB241_430:                            ;   in Loop: Header=BB241_289 Depth=1
	v_cmp_ne_u16_sdwa s[18:19], v20, v9 src0_sel:BYTE_0 src1_sel:DWORD
	s_andn2_b64 s[0:1], s[0:1], exec
	s_and_b64 s[18:19], s[18:19], exec
	v_mov_b32_e32 v22, 0
	s_or_b64 s[0:1], s[0:1], s[18:19]
	s_or_b64 exec, exec, s[2:3]
	s_and_saveexec_b64 s[2:3], s[0:1]
	s_cbranch_execnz .LBB241_293
	s_branch .LBB241_294
.LBB241_431:                            ;   in Loop: Header=BB241_289 Depth=1
	v_cmp_eq_u16_e64 s[0:1], s31, v8
	s_mov_b64 s[2:3], -1
                                        ; implicit-def: $sgpr22
	s_and_saveexec_b64 s[20:21], s[0:1]
; %bb.432:                              ;   in Loop: Header=BB241_289 Depth=1
	s_mov_b32 s22, 0x7fc02000
	s_xor_b64 s[2:3], exec, -1
; %bb.433:                              ;   in Loop: Header=BB241_289 Depth=1
	s_or_b64 exec, exec, s[20:21]
	s_and_b64 s[2:3], s[2:3], exec
	s_or_saveexec_b64 s[18:19], s[18:19]
	v_mov_b32_e32 v24, s22
	s_xor_b64 exec, exec, s[18:19]
	s_cbranch_execz .LBB241_296
.LBB241_434:                            ;   in Loop: Header=BB241_289 Depth=1
	v_cmp_ne_u16_e64 s[0:1], 0, v8
	s_andn2_b64 s[2:3], s[2:3], exec
	s_and_b64 s[0:1], s[0:1], exec
	v_mov_b32_e32 v24, 0
	s_or_b64 s[2:3], s[2:3], s[0:1]
	s_or_b64 exec, exec, s[18:19]
	s_and_saveexec_b64 s[18:19], s[2:3]
	s_cbranch_execnz .LBB241_297
	s_branch .LBB241_298
.LBB241_435:                            ;   in Loop: Header=BB241_289 Depth=1
	v_cmp_eq_u16_sdwa s[22:23], v8, s31 src0_sel:BYTE_0 src1_sel:DWORD
	s_mov_b64 s[0:1], -1
                                        ; implicit-def: $sgpr20
	s_and_saveexec_b64 s[18:19], s[22:23]
; %bb.436:                              ;   in Loop: Header=BB241_289 Depth=1
	s_mov_b32 s20, 0x7fc02000
	s_xor_b64 s[0:1], exec, -1
; %bb.437:                              ;   in Loop: Header=BB241_289 Depth=1
	s_or_b64 exec, exec, s[18:19]
	s_and_b64 s[0:1], s[0:1], exec
	s_or_saveexec_b64 s[2:3], s[2:3]
	v_mov_b32_e32 v23, s20
	s_xor_b64 exec, exec, s[2:3]
	s_cbranch_execz .LBB241_300
.LBB241_438:                            ;   in Loop: Header=BB241_289 Depth=1
	v_cmp_ne_u16_sdwa s[18:19], v8, v9 src0_sel:BYTE_0 src1_sel:DWORD
	s_andn2_b64 s[0:1], s[0:1], exec
	s_and_b64 s[18:19], s[18:19], exec
	v_mov_b32_e32 v23, 0
	s_or_b64 s[0:1], s[0:1], s[18:19]
	s_or_b64 exec, exec, s[2:3]
	s_and_saveexec_b64 s[2:3], s[0:1]
	s_cbranch_execnz .LBB241_301
	s_branch .LBB241_302
.LBB241_439:                            ;   in Loop: Header=BB241_289 Depth=1
	v_cmp_eq_u16_e64 s[0:1], s31, v8
	s_mov_b64 s[2:3], -1
                                        ; implicit-def: $sgpr22
	s_and_saveexec_b64 s[20:21], s[0:1]
; %bb.440:                              ;   in Loop: Header=BB241_289 Depth=1
	s_mov_b32 s22, 0x7fc02000
	s_xor_b64 s[2:3], exec, -1
; %bb.441:                              ;   in Loop: Header=BB241_289 Depth=1
	s_or_b64 exec, exec, s[20:21]
	s_and_b64 s[2:3], s[2:3], exec
	s_or_saveexec_b64 s[18:19], s[18:19]
	v_mov_b32_e32 v25, s22
	s_xor_b64 exec, exec, s[18:19]
	s_cbranch_execz .LBB241_304
.LBB241_442:                            ;   in Loop: Header=BB241_289 Depth=1
	v_cmp_ne_u16_e64 s[0:1], 0, v8
	s_andn2_b64 s[2:3], s[2:3], exec
	s_and_b64 s[0:1], s[0:1], exec
	v_mov_b32_e32 v25, 0
	s_or_b64 s[2:3], s[2:3], s[0:1]
	s_or_b64 exec, exec, s[18:19]
	s_and_saveexec_b64 s[18:19], s[2:3]
	s_cbranch_execnz .LBB241_305
	s_branch .LBB241_306
.LBB241_443:                            ;   in Loop: Header=BB241_289 Depth=1
	v_cmp_eq_u16_sdwa s[22:23], v21, s31 src0_sel:BYTE_0 src1_sel:DWORD
	s_mov_b64 s[0:1], -1
                                        ; implicit-def: $sgpr20
	s_and_saveexec_b64 s[18:19], s[22:23]
; %bb.444:                              ;   in Loop: Header=BB241_289 Depth=1
	s_mov_b32 s20, 0x7fc02000
	s_xor_b64 s[0:1], exec, -1
; %bb.445:                              ;   in Loop: Header=BB241_289 Depth=1
	s_or_b64 exec, exec, s[18:19]
	s_and_b64 s[0:1], s[0:1], exec
	s_or_saveexec_b64 s[2:3], s[2:3]
	v_mov_b32_e32 v20, s20
	s_xor_b64 exec, exec, s[2:3]
	s_cbranch_execz .LBB241_308
.LBB241_446:                            ;   in Loop: Header=BB241_289 Depth=1
	v_cmp_ne_u16_sdwa s[18:19], v21, v9 src0_sel:BYTE_0 src1_sel:DWORD
	s_andn2_b64 s[0:1], s[0:1], exec
	s_and_b64 s[18:19], s[18:19], exec
	v_mov_b32_e32 v20, 0
	s_or_b64 s[0:1], s[0:1], s[18:19]
	s_or_b64 exec, exec, s[2:3]
	v_mov_b32_e32 v8, v21
	s_and_saveexec_b64 s[2:3], s[0:1]
	s_cbranch_execnz .LBB241_309
	s_branch .LBB241_310
.LBB241_447:                            ;   in Loop: Header=BB241_289 Depth=1
	v_cmp_eq_u16_e64 s[0:1], s31, v8
	s_mov_b64 s[2:3], -1
                                        ; implicit-def: $sgpr22
	s_and_saveexec_b64 s[20:21], s[0:1]
; %bb.448:                              ;   in Loop: Header=BB241_289 Depth=1
	s_mov_b32 s22, 0x7fc02000
	s_xor_b64 s[2:3], exec, -1
; %bb.449:                              ;   in Loop: Header=BB241_289 Depth=1
	s_or_b64 exec, exec, s[20:21]
	s_and_b64 s[2:3], s[2:3], exec
	s_or_saveexec_b64 s[18:19], s[18:19]
	v_mov_b32_e32 v38, s22
	s_xor_b64 exec, exec, s[18:19]
	s_cbranch_execz .LBB241_312
.LBB241_450:                            ;   in Loop: Header=BB241_289 Depth=1
	v_cmp_ne_u16_e64 s[0:1], 0, v8
	s_andn2_b64 s[2:3], s[2:3], exec
	s_and_b64 s[0:1], s[0:1], exec
	v_mov_b32_e32 v38, 0
	s_or_b64 s[2:3], s[2:3], s[0:1]
	s_or_b64 exec, exec, s[18:19]
	s_and_saveexec_b64 s[18:19], s[2:3]
	s_cbranch_execnz .LBB241_313
	s_branch .LBB241_314
.LBB241_451:                            ;   in Loop: Header=BB241_289 Depth=1
	v_cmp_eq_u16_sdwa s[22:23], v8, s31 src0_sel:BYTE_0 src1_sel:DWORD
	s_mov_b64 s[0:1], -1
                                        ; implicit-def: $sgpr20
	s_and_saveexec_b64 s[18:19], s[22:23]
; %bb.452:                              ;   in Loop: Header=BB241_289 Depth=1
	s_mov_b32 s20, 0x7fc02000
	s_xor_b64 s[0:1], exec, -1
; %bb.453:                              ;   in Loop: Header=BB241_289 Depth=1
	s_or_b64 exec, exec, s[18:19]
	s_and_b64 s[0:1], s[0:1], exec
	s_or_saveexec_b64 s[2:3], s[2:3]
	v_mov_b32_e32 v43, s20
	s_xor_b64 exec, exec, s[2:3]
	s_cbranch_execz .LBB241_316
.LBB241_454:                            ;   in Loop: Header=BB241_289 Depth=1
	v_cmp_ne_u16_sdwa s[18:19], v8, v9 src0_sel:BYTE_0 src1_sel:DWORD
	s_andn2_b64 s[0:1], s[0:1], exec
	s_and_b64 s[18:19], s[18:19], exec
	v_mov_b32_e32 v43, 0
	s_or_b64 s[0:1], s[0:1], s[18:19]
	s_or_b64 exec, exec, s[2:3]
	s_and_saveexec_b64 s[2:3], s[0:1]
	s_cbranch_execnz .LBB241_317
	s_branch .LBB241_318
.LBB241_455:                            ;   in Loop: Header=BB241_289 Depth=1
	v_cmp_eq_u16_e64 s[0:1], s31, v8
	s_mov_b64 s[2:3], -1
                                        ; implicit-def: $sgpr22
	s_and_saveexec_b64 s[20:21], s[0:1]
; %bb.456:                              ;   in Loop: Header=BB241_289 Depth=1
	s_mov_b32 s22, 0x7fc02000
	s_xor_b64 s[2:3], exec, -1
; %bb.457:                              ;   in Loop: Header=BB241_289 Depth=1
	s_or_b64 exec, exec, s[20:21]
	s_and_b64 s[2:3], s[2:3], exec
	s_or_saveexec_b64 s[18:19], s[18:19]
	v_mov_b32_e32 v44, s22
	s_xor_b64 exec, exec, s[18:19]
	s_cbranch_execz .LBB241_320
.LBB241_458:                            ;   in Loop: Header=BB241_289 Depth=1
	v_cmp_ne_u16_e64 s[0:1], 0, v8
	s_andn2_b64 s[2:3], s[2:3], exec
	s_and_b64 s[0:1], s[0:1], exec
	v_mov_b32_e32 v44, 0
	s_or_b64 s[2:3], s[2:3], s[0:1]
	s_or_b64 exec, exec, s[18:19]
	s_and_saveexec_b64 s[18:19], s[2:3]
	s_cbranch_execnz .LBB241_321
	s_branch .LBB241_322
.LBB241_459:                            ;   in Loop: Header=BB241_289 Depth=1
	v_cmp_eq_u16_sdwa s[28:29], v20, s31 src0_sel:BYTE_0 src1_sel:DWORD
	s_mov_b64 s[2:3], -1
                                        ; implicit-def: $sgpr22
	s_and_saveexec_b64 s[20:21], s[28:29]
; %bb.460:                              ;   in Loop: Header=BB241_289 Depth=1
	s_mov_b32 s22, 0x7fc02000
	s_xor_b64 s[2:3], exec, -1
; %bb.461:                              ;   in Loop: Header=BB241_289 Depth=1
	s_or_b64 exec, exec, s[20:21]
	s_and_b64 s[2:3], s[2:3], exec
	s_or_saveexec_b64 s[18:19], s[18:19]
	v_mov_b32_e32 v22, s22
	s_xor_b64 exec, exec, s[18:19]
	s_cbranch_execz .LBB241_326
.LBB241_462:                            ;   in Loop: Header=BB241_289 Depth=1
	v_cmp_ne_u16_sdwa s[20:21], v20, v9 src0_sel:BYTE_0 src1_sel:DWORD
	s_andn2_b64 s[2:3], s[2:3], exec
	s_and_b64 s[20:21], s[20:21], exec
	v_mov_b32_e32 v22, 0
	s_or_b64 s[2:3], s[2:3], s[20:21]
	s_or_b64 exec, exec, s[18:19]
	s_and_saveexec_b64 s[18:19], s[2:3]
	s_cbranch_execnz .LBB241_327
	s_branch .LBB241_328
.LBB241_463:                            ;   in Loop: Header=BB241_289 Depth=1
	v_cmp_eq_u16_e64 s[2:3], s31, v8
	s_mov_b64 s[18:19], -1
                                        ; implicit-def: $sgpr28
	s_and_saveexec_b64 s[22:23], s[2:3]
; %bb.464:                              ;   in Loop: Header=BB241_289 Depth=1
	s_mov_b32 s28, 0x7fc02000
	s_xor_b64 s[18:19], exec, -1
; %bb.465:                              ;   in Loop: Header=BB241_289 Depth=1
	s_or_b64 exec, exec, s[22:23]
	s_and_b64 s[18:19], s[18:19], exec
	s_or_saveexec_b64 s[20:21], s[20:21]
	v_mov_b32_e32 v24, s28
	s_xor_b64 exec, exec, s[20:21]
	s_cbranch_execz .LBB241_330
.LBB241_466:                            ;   in Loop: Header=BB241_289 Depth=1
	v_cmp_ne_u16_e64 s[2:3], 0, v8
	s_andn2_b64 s[18:19], s[18:19], exec
	s_and_b64 s[2:3], s[2:3], exec
	v_mov_b32_e32 v24, 0
	s_or_b64 s[18:19], s[18:19], s[2:3]
	s_or_b64 exec, exec, s[20:21]
	s_and_saveexec_b64 s[20:21], s[18:19]
	s_cbranch_execnz .LBB241_331
	s_branch .LBB241_332
.LBB241_467:                            ;   in Loop: Header=BB241_289 Depth=1
	v_cmp_eq_u16_sdwa s[28:29], v8, s31 src0_sel:BYTE_0 src1_sel:DWORD
	s_mov_b64 s[2:3], -1
                                        ; implicit-def: $sgpr22
	s_and_saveexec_b64 s[20:21], s[28:29]
; %bb.468:                              ;   in Loop: Header=BB241_289 Depth=1
	s_mov_b32 s22, 0x7fc02000
	s_xor_b64 s[2:3], exec, -1
; %bb.469:                              ;   in Loop: Header=BB241_289 Depth=1
	s_or_b64 exec, exec, s[20:21]
	s_and_b64 s[2:3], s[2:3], exec
	s_or_saveexec_b64 s[18:19], s[18:19]
	v_mov_b32_e32 v23, s22
	s_xor_b64 exec, exec, s[18:19]
	s_cbranch_execz .LBB241_334
.LBB241_470:                            ;   in Loop: Header=BB241_289 Depth=1
	v_cmp_ne_u16_sdwa s[20:21], v8, v9 src0_sel:BYTE_0 src1_sel:DWORD
	s_andn2_b64 s[2:3], s[2:3], exec
	s_and_b64 s[20:21], s[20:21], exec
	v_mov_b32_e32 v23, 0
	s_or_b64 s[2:3], s[2:3], s[20:21]
	s_or_b64 exec, exec, s[18:19]
	s_and_saveexec_b64 s[18:19], s[2:3]
	s_cbranch_execnz .LBB241_335
	s_branch .LBB241_336
.LBB241_471:                            ;   in Loop: Header=BB241_289 Depth=1
	v_cmp_eq_u16_e64 s[2:3], s31, v8
	s_mov_b64 s[18:19], -1
                                        ; implicit-def: $sgpr28
	s_and_saveexec_b64 s[22:23], s[2:3]
; %bb.472:                              ;   in Loop: Header=BB241_289 Depth=1
	s_mov_b32 s28, 0x7fc02000
	s_xor_b64 s[18:19], exec, -1
; %bb.473:                              ;   in Loop: Header=BB241_289 Depth=1
	s_or_b64 exec, exec, s[22:23]
	s_and_b64 s[18:19], s[18:19], exec
	s_or_saveexec_b64 s[20:21], s[20:21]
	v_mov_b32_e32 v25, s28
	s_xor_b64 exec, exec, s[20:21]
	s_cbranch_execz .LBB241_338
.LBB241_474:                            ;   in Loop: Header=BB241_289 Depth=1
	v_cmp_ne_u16_e64 s[2:3], 0, v8
	s_andn2_b64 s[18:19], s[18:19], exec
	s_and_b64 s[2:3], s[2:3], exec
	v_mov_b32_e32 v25, 0
	s_or_b64 s[18:19], s[18:19], s[2:3]
	s_or_b64 exec, exec, s[20:21]
	s_and_saveexec_b64 s[20:21], s[18:19]
	s_cbranch_execnz .LBB241_339
	s_branch .LBB241_340
.LBB241_475:                            ;   in Loop: Header=BB241_289 Depth=1
	v_cmp_eq_u16_sdwa s[28:29], v21, s31 src0_sel:BYTE_0 src1_sel:DWORD
	s_mov_b64 s[2:3], -1
                                        ; implicit-def: $sgpr22
	s_and_saveexec_b64 s[20:21], s[28:29]
; %bb.476:                              ;   in Loop: Header=BB241_289 Depth=1
	s_mov_b32 s22, 0x7fc02000
	s_xor_b64 s[2:3], exec, -1
; %bb.477:                              ;   in Loop: Header=BB241_289 Depth=1
	s_or_b64 exec, exec, s[20:21]
	s_and_b64 s[2:3], s[2:3], exec
	s_or_saveexec_b64 s[18:19], s[18:19]
	v_mov_b32_e32 v20, s22
	s_xor_b64 exec, exec, s[18:19]
	s_cbranch_execz .LBB241_342
.LBB241_478:                            ;   in Loop: Header=BB241_289 Depth=1
	v_cmp_ne_u16_sdwa s[20:21], v21, v9 src0_sel:BYTE_0 src1_sel:DWORD
	s_andn2_b64 s[2:3], s[2:3], exec
	s_and_b64 s[20:21], s[20:21], exec
	v_mov_b32_e32 v20, 0
	s_or_b64 s[2:3], s[2:3], s[20:21]
	s_or_b64 exec, exec, s[18:19]
	v_mov_b32_e32 v8, v21
	s_and_saveexec_b64 s[18:19], s[2:3]
	s_cbranch_execnz .LBB241_343
	s_branch .LBB241_344
.LBB241_479:                            ;   in Loop: Header=BB241_289 Depth=1
	v_cmp_eq_u16_e64 s[2:3], s31, v8
	s_mov_b64 s[18:19], -1
                                        ; implicit-def: $sgpr28
	s_and_saveexec_b64 s[22:23], s[2:3]
; %bb.480:                              ;   in Loop: Header=BB241_289 Depth=1
	s_mov_b32 s28, 0x7fc02000
	s_xor_b64 s[18:19], exec, -1
; %bb.481:                              ;   in Loop: Header=BB241_289 Depth=1
	s_or_b64 exec, exec, s[22:23]
	s_and_b64 s[18:19], s[18:19], exec
	s_or_saveexec_b64 s[20:21], s[20:21]
	v_mov_b32_e32 v40, s28
	s_xor_b64 exec, exec, s[20:21]
	s_cbranch_execz .LBB241_346
.LBB241_482:                            ;   in Loop: Header=BB241_289 Depth=1
	v_cmp_ne_u16_e64 s[2:3], 0, v8
	s_andn2_b64 s[18:19], s[18:19], exec
	s_and_b64 s[2:3], s[2:3], exec
	v_mov_b32_e32 v40, 0
	s_or_b64 s[18:19], s[18:19], s[2:3]
	s_or_b64 exec, exec, s[20:21]
	s_and_saveexec_b64 s[20:21], s[18:19]
	s_cbranch_execnz .LBB241_347
	s_branch .LBB241_348
.LBB241_483:                            ;   in Loop: Header=BB241_289 Depth=1
	v_cmp_eq_u16_sdwa s[28:29], v8, s31 src0_sel:BYTE_0 src1_sel:DWORD
	s_mov_b64 s[2:3], -1
                                        ; implicit-def: $sgpr22
	s_and_saveexec_b64 s[20:21], s[28:29]
; %bb.484:                              ;   in Loop: Header=BB241_289 Depth=1
	s_mov_b32 s22, 0x7fc02000
	s_xor_b64 s[2:3], exec, -1
; %bb.485:                              ;   in Loop: Header=BB241_289 Depth=1
	s_or_b64 exec, exec, s[20:21]
	s_and_b64 s[2:3], s[2:3], exec
	s_or_saveexec_b64 s[18:19], s[18:19]
	v_mov_b32_e32 v41, s22
	s_xor_b64 exec, exec, s[18:19]
	s_cbranch_execz .LBB241_350
.LBB241_486:                            ;   in Loop: Header=BB241_289 Depth=1
	v_cmp_ne_u16_sdwa s[20:21], v8, v9 src0_sel:BYTE_0 src1_sel:DWORD
	s_andn2_b64 s[2:3], s[2:3], exec
	s_and_b64 s[20:21], s[20:21], exec
	v_mov_b32_e32 v41, 0
	s_or_b64 s[2:3], s[2:3], s[20:21]
	s_or_b64 exec, exec, s[18:19]
	s_and_saveexec_b64 s[18:19], s[2:3]
	s_cbranch_execnz .LBB241_351
	s_branch .LBB241_352
.LBB241_487:                            ;   in Loop: Header=BB241_289 Depth=1
	v_cmp_eq_u16_e64 s[2:3], s31, v8
	s_mov_b64 s[18:19], -1
                                        ; implicit-def: $sgpr28
	s_and_saveexec_b64 s[22:23], s[2:3]
; %bb.488:                              ;   in Loop: Header=BB241_289 Depth=1
	s_mov_b32 s28, 0x7fc02000
	s_xor_b64 s[18:19], exec, -1
; %bb.489:                              ;   in Loop: Header=BB241_289 Depth=1
	s_or_b64 exec, exec, s[22:23]
	s_and_b64 s[18:19], s[18:19], exec
	s_or_saveexec_b64 s[20:21], s[20:21]
	v_mov_b32_e32 v42, s28
	s_xor_b64 exec, exec, s[20:21]
	s_cbranch_execz .LBB241_354
.LBB241_490:                            ;   in Loop: Header=BB241_289 Depth=1
	v_cmp_ne_u16_e64 s[2:3], 0, v8
	s_andn2_b64 s[18:19], s[18:19], exec
	s_and_b64 s[2:3], s[2:3], exec
	v_mov_b32_e32 v42, 0
	s_or_b64 s[18:19], s[18:19], s[2:3]
	s_or_b64 exec, exec, s[20:21]
	s_and_saveexec_b64 s[20:21], s[18:19]
	s_cbranch_execnz .LBB241_355
	s_branch .LBB241_356
.LBB241_491:                            ;   in Loop: Header=BB241_289 Depth=1
	v_cmp_eq_u16_sdwa s[28:29], v20, s31 src0_sel:BYTE_0 src1_sel:DWORD
	s_mov_b64 s[2:3], -1
                                        ; implicit-def: $sgpr22
	s_and_saveexec_b64 s[20:21], s[28:29]
; %bb.492:                              ;   in Loop: Header=BB241_289 Depth=1
	s_mov_b32 s22, 0x7fc02000
	s_xor_b64 s[2:3], exec, -1
; %bb.493:                              ;   in Loop: Header=BB241_289 Depth=1
	s_or_b64 exec, exec, s[20:21]
	s_and_b64 s[2:3], s[2:3], exec
	s_or_saveexec_b64 s[18:19], s[18:19]
	v_mov_b32_e32 v16, s22
	s_xor_b64 exec, exec, s[18:19]
	s_cbranch_execz .LBB241_360
.LBB241_494:                            ;   in Loop: Header=BB241_289 Depth=1
	v_cmp_ne_u16_sdwa s[20:21], v20, v9 src0_sel:BYTE_0 src1_sel:DWORD
	s_andn2_b64 s[2:3], s[2:3], exec
	s_and_b64 s[20:21], s[20:21], exec
	v_mov_b32_e32 v16, 0
	s_or_b64 s[2:3], s[2:3], s[20:21]
	s_or_b64 exec, exec, s[18:19]
	s_and_saveexec_b64 s[18:19], s[2:3]
	s_cbranch_execnz .LBB241_361
	s_branch .LBB241_362
.LBB241_495:                            ;   in Loop: Header=BB241_289 Depth=1
	v_cmp_eq_u16_e64 s[2:3], s31, v8
	s_mov_b64 s[18:19], -1
                                        ; implicit-def: $sgpr28
	s_and_saveexec_b64 s[22:23], s[2:3]
; %bb.496:                              ;   in Loop: Header=BB241_289 Depth=1
	s_mov_b32 s28, 0x7fc02000
	s_xor_b64 s[18:19], exec, -1
; %bb.497:                              ;   in Loop: Header=BB241_289 Depth=1
	s_or_b64 exec, exec, s[22:23]
	s_and_b64 s[18:19], s[18:19], exec
	s_or_saveexec_b64 s[20:21], s[20:21]
	v_mov_b32_e32 v22, s28
	s_xor_b64 exec, exec, s[20:21]
	s_cbranch_execz .LBB241_364
.LBB241_498:                            ;   in Loop: Header=BB241_289 Depth=1
	v_cmp_ne_u16_e64 s[2:3], 0, v8
	s_andn2_b64 s[18:19], s[18:19], exec
	s_and_b64 s[2:3], s[2:3], exec
	v_mov_b32_e32 v22, 0
	s_or_b64 s[18:19], s[18:19], s[2:3]
	s_or_b64 exec, exec, s[20:21]
	s_and_saveexec_b64 s[20:21], s[18:19]
	s_cbranch_execnz .LBB241_365
	s_branch .LBB241_366
.LBB241_499:                            ;   in Loop: Header=BB241_289 Depth=1
	v_cmp_eq_u16_sdwa s[28:29], v8, s31 src0_sel:BYTE_0 src1_sel:DWORD
	s_mov_b64 s[2:3], -1
                                        ; implicit-def: $sgpr22
	s_and_saveexec_b64 s[20:21], s[28:29]
; %bb.500:                              ;   in Loop: Header=BB241_289 Depth=1
	s_mov_b32 s22, 0x7fc02000
	s_xor_b64 s[2:3], exec, -1
; %bb.501:                              ;   in Loop: Header=BB241_289 Depth=1
	s_or_b64 exec, exec, s[20:21]
	s_and_b64 s[2:3], s[2:3], exec
	s_or_saveexec_b64 s[18:19], s[18:19]
	v_mov_b32_e32 v17, s22
	s_xor_b64 exec, exec, s[18:19]
	s_cbranch_execz .LBB241_368
.LBB241_502:                            ;   in Loop: Header=BB241_289 Depth=1
	v_cmp_ne_u16_sdwa s[20:21], v8, v9 src0_sel:BYTE_0 src1_sel:DWORD
	s_andn2_b64 s[2:3], s[2:3], exec
	s_and_b64 s[20:21], s[20:21], exec
	v_mov_b32_e32 v17, 0
	s_or_b64 s[2:3], s[2:3], s[20:21]
	s_or_b64 exec, exec, s[18:19]
	s_and_saveexec_b64 s[18:19], s[2:3]
	s_cbranch_execnz .LBB241_369
	s_branch .LBB241_370
.LBB241_503:                            ;   in Loop: Header=BB241_289 Depth=1
	v_cmp_eq_u16_e64 s[2:3], s31, v8
	s_mov_b64 s[18:19], -1
                                        ; implicit-def: $sgpr28
	s_and_saveexec_b64 s[22:23], s[2:3]
; %bb.504:                              ;   in Loop: Header=BB241_289 Depth=1
	s_mov_b32 s28, 0x7fc02000
	s_xor_b64 s[18:19], exec, -1
; %bb.505:                              ;   in Loop: Header=BB241_289 Depth=1
	s_or_b64 exec, exec, s[22:23]
	s_and_b64 s[18:19], s[18:19], exec
	s_or_saveexec_b64 s[20:21], s[20:21]
	v_mov_b32_e32 v23, s28
	s_xor_b64 exec, exec, s[20:21]
	s_cbranch_execz .LBB241_372
.LBB241_506:                            ;   in Loop: Header=BB241_289 Depth=1
	v_cmp_ne_u16_e64 s[2:3], 0, v8
	s_andn2_b64 s[18:19], s[18:19], exec
	s_and_b64 s[2:3], s[2:3], exec
	v_mov_b32_e32 v23, 0
	s_or_b64 s[18:19], s[18:19], s[2:3]
	s_or_b64 exec, exec, s[20:21]
	s_and_saveexec_b64 s[20:21], s[18:19]
	s_cbranch_execnz .LBB241_373
	s_branch .LBB241_374
.LBB241_507:                            ;   in Loop: Header=BB241_289 Depth=1
	v_cmp_eq_u16_sdwa s[28:29], v21, s31 src0_sel:BYTE_0 src1_sel:DWORD
	s_mov_b64 s[2:3], -1
                                        ; implicit-def: $sgpr22
	s_and_saveexec_b64 s[20:21], s[28:29]
; %bb.508:                              ;   in Loop: Header=BB241_289 Depth=1
	s_mov_b32 s22, 0x7fc02000
	s_xor_b64 s[2:3], exec, -1
; %bb.509:                              ;   in Loop: Header=BB241_289 Depth=1
	s_or_b64 exec, exec, s[20:21]
	s_and_b64 s[2:3], s[2:3], exec
	s_or_saveexec_b64 s[18:19], s[18:19]
	v_mov_b32_e32 v20, s22
	s_xor_b64 exec, exec, s[18:19]
	s_cbranch_execz .LBB241_376
.LBB241_510:                            ;   in Loop: Header=BB241_289 Depth=1
	v_cmp_ne_u16_sdwa s[20:21], v21, v9 src0_sel:BYTE_0 src1_sel:DWORD
	s_andn2_b64 s[2:3], s[2:3], exec
	s_and_b64 s[20:21], s[20:21], exec
	v_mov_b32_e32 v20, 0
	s_or_b64 s[2:3], s[2:3], s[20:21]
	s_or_b64 exec, exec, s[18:19]
	v_mov_b32_e32 v8, v21
	s_and_saveexec_b64 s[18:19], s[2:3]
	s_cbranch_execnz .LBB241_377
	s_branch .LBB241_378
.LBB241_511:                            ;   in Loop: Header=BB241_289 Depth=1
	v_cmp_eq_u16_e64 s[2:3], s31, v8
	s_mov_b64 s[18:19], -1
                                        ; implicit-def: $sgpr28
	s_and_saveexec_b64 s[22:23], s[2:3]
; %bb.512:                              ;   in Loop: Header=BB241_289 Depth=1
	s_mov_b32 s28, 0x7fc02000
	s_xor_b64 s[18:19], exec, -1
; %bb.513:                              ;   in Loop: Header=BB241_289 Depth=1
	s_or_b64 exec, exec, s[22:23]
	s_and_b64 s[18:19], s[18:19], exec
	s_or_saveexec_b64 s[20:21], s[20:21]
	v_mov_b32_e32 v40, s28
	s_xor_b64 exec, exec, s[20:21]
	s_cbranch_execz .LBB241_380
.LBB241_514:                            ;   in Loop: Header=BB241_289 Depth=1
	v_cmp_ne_u16_e64 s[2:3], 0, v8
	s_andn2_b64 s[18:19], s[18:19], exec
	s_and_b64 s[2:3], s[2:3], exec
	v_mov_b32_e32 v40, 0
	s_or_b64 s[18:19], s[18:19], s[2:3]
	s_or_b64 exec, exec, s[20:21]
	s_and_saveexec_b64 s[20:21], s[18:19]
	s_cbranch_execnz .LBB241_381
	s_branch .LBB241_382
.LBB241_515:                            ;   in Loop: Header=BB241_289 Depth=1
	v_cmp_eq_u16_sdwa s[28:29], v8, s31 src0_sel:BYTE_0 src1_sel:DWORD
	s_mov_b64 s[2:3], -1
                                        ; implicit-def: $sgpr22
	s_and_saveexec_b64 s[20:21], s[28:29]
; %bb.516:                              ;   in Loop: Header=BB241_289 Depth=1
	s_mov_b32 s22, 0x7fc02000
	s_xor_b64 s[2:3], exec, -1
; %bb.517:                              ;   in Loop: Header=BB241_289 Depth=1
	s_or_b64 exec, exec, s[20:21]
	s_and_b64 s[2:3], s[2:3], exec
	s_or_saveexec_b64 s[18:19], s[18:19]
	v_mov_b32_e32 v41, s22
	s_xor_b64 exec, exec, s[18:19]
	s_cbranch_execz .LBB241_384
.LBB241_518:                            ;   in Loop: Header=BB241_289 Depth=1
	v_cmp_ne_u16_sdwa s[20:21], v8, v9 src0_sel:BYTE_0 src1_sel:DWORD
	s_andn2_b64 s[2:3], s[2:3], exec
	s_and_b64 s[20:21], s[20:21], exec
	v_mov_b32_e32 v41, 0
	s_or_b64 s[2:3], s[2:3], s[20:21]
	s_or_b64 exec, exec, s[18:19]
	s_and_saveexec_b64 s[18:19], s[2:3]
	s_cbranch_execnz .LBB241_385
	s_branch .LBB241_386
.LBB241_519:                            ;   in Loop: Header=BB241_289 Depth=1
	v_cmp_eq_u16_e64 s[2:3], s31, v8
	s_mov_b64 s[18:19], -1
                                        ; implicit-def: $sgpr28
	s_and_saveexec_b64 s[22:23], s[2:3]
; %bb.520:                              ;   in Loop: Header=BB241_289 Depth=1
	s_mov_b32 s28, 0x7fc02000
	s_xor_b64 s[18:19], exec, -1
; %bb.521:                              ;   in Loop: Header=BB241_289 Depth=1
	s_or_b64 exec, exec, s[22:23]
	s_and_b64 s[18:19], s[18:19], exec
	s_or_saveexec_b64 s[20:21], s[20:21]
	v_mov_b32_e32 v42, s28
	s_xor_b64 exec, exec, s[20:21]
	s_cbranch_execz .LBB241_388
.LBB241_522:                            ;   in Loop: Header=BB241_289 Depth=1
	v_cmp_ne_u16_e64 s[2:3], 0, v8
	s_andn2_b64 s[18:19], s[18:19], exec
	s_and_b64 s[2:3], s[2:3], exec
	v_mov_b32_e32 v42, 0
	s_or_b64 s[18:19], s[18:19], s[2:3]
	s_or_b64 exec, exec, s[20:21]
	s_and_saveexec_b64 s[20:21], s[18:19]
	s_cbranch_execnz .LBB241_389
	s_branch .LBB241_390
.LBB241_523:                            ;   in Loop: Header=BB241_289 Depth=1
	v_cmp_eq_u16_sdwa s[50:51], v16, s31 src0_sel:BYTE_0 src1_sel:DWORD
	s_mov_b64 s[2:3], -1
                                        ; implicit-def: $sgpr28
	s_and_saveexec_b64 s[22:23], s[50:51]
; %bb.524:                              ;   in Loop: Header=BB241_289 Depth=1
	s_mov_b32 s28, 0x7fc02000
	s_xor_b64 s[2:3], exec, -1
; %bb.525:                              ;   in Loop: Header=BB241_289 Depth=1
	s_or_b64 exec, exec, s[22:23]
	s_and_b64 s[2:3], s[2:3], exec
	s_or_saveexec_b64 s[20:21], s[20:21]
	v_mov_b32_e32 v18, s28
	s_xor_b64 exec, exec, s[20:21]
	s_cbranch_execz .LBB241_395
.LBB241_526:                            ;   in Loop: Header=BB241_289 Depth=1
	v_cmp_ne_u16_sdwa s[22:23], v16, v9 src0_sel:BYTE_0 src1_sel:DWORD
	s_andn2_b64 s[2:3], s[2:3], exec
	s_and_b64 s[22:23], s[22:23], exec
	v_mov_b32_e32 v18, 0
	s_or_b64 s[2:3], s[2:3], s[22:23]
	s_or_b64 exec, exec, s[20:21]
	s_and_saveexec_b64 s[20:21], s[2:3]
	s_cbranch_execnz .LBB241_396
	s_branch .LBB241_397
.LBB241_527:                            ;   in Loop: Header=BB241_289 Depth=1
	v_cmp_eq_u16_e64 s[2:3], s31, v8
	s_mov_b64 s[20:21], -1
                                        ; implicit-def: $sgpr45
	s_and_saveexec_b64 s[28:29], s[2:3]
; %bb.528:                              ;   in Loop: Header=BB241_289 Depth=1
	s_mov_b32 s45, 0x7fc02000
	s_xor_b64 s[20:21], exec, -1
; %bb.529:                              ;   in Loop: Header=BB241_289 Depth=1
	s_or_b64 exec, exec, s[28:29]
	s_and_b64 s[20:21], s[20:21], exec
	s_or_saveexec_b64 s[22:23], s[22:23]
	v_mov_b32_e32 v20, s45
	s_xor_b64 exec, exec, s[22:23]
	s_cbranch_execz .LBB241_399
.LBB241_530:                            ;   in Loop: Header=BB241_289 Depth=1
	v_cmp_ne_u16_e64 s[2:3], 0, v8
	s_andn2_b64 s[20:21], s[20:21], exec
	s_and_b64 s[2:3], s[2:3], exec
	v_mov_b32_e32 v20, 0
	s_or_b64 s[20:21], s[20:21], s[2:3]
	s_or_b64 exec, exec, s[22:23]
	s_and_saveexec_b64 s[22:23], s[20:21]
	s_cbranch_execnz .LBB241_400
	s_branch .LBB241_401
.LBB241_531:                            ;   in Loop: Header=BB241_289 Depth=1
	v_cmp_eq_u16_sdwa s[50:51], v8, s31 src0_sel:BYTE_0 src1_sel:DWORD
	s_mov_b64 s[2:3], -1
                                        ; implicit-def: $sgpr28
	s_and_saveexec_b64 s[22:23], s[50:51]
; %bb.532:                              ;   in Loop: Header=BB241_289 Depth=1
	s_mov_b32 s28, 0x7fc02000
	s_xor_b64 s[2:3], exec, -1
; %bb.533:                              ;   in Loop: Header=BB241_289 Depth=1
	s_or_b64 exec, exec, s[22:23]
	s_and_b64 s[2:3], s[2:3], exec
	s_or_saveexec_b64 s[20:21], s[20:21]
	v_mov_b32_e32 v19, s28
	s_xor_b64 exec, exec, s[20:21]
	s_cbranch_execz .LBB241_403
.LBB241_534:                            ;   in Loop: Header=BB241_289 Depth=1
	v_cmp_ne_u16_sdwa s[22:23], v8, v9 src0_sel:BYTE_0 src1_sel:DWORD
	s_andn2_b64 s[2:3], s[2:3], exec
	s_and_b64 s[22:23], s[22:23], exec
	v_mov_b32_e32 v19, 0
	s_or_b64 s[2:3], s[2:3], s[22:23]
	s_or_b64 exec, exec, s[20:21]
	s_and_saveexec_b64 s[20:21], s[2:3]
	s_cbranch_execnz .LBB241_404
	s_branch .LBB241_405
.LBB241_535:                            ;   in Loop: Header=BB241_289 Depth=1
	v_cmp_eq_u16_e64 s[2:3], s31, v8
	s_mov_b64 s[20:21], -1
                                        ; implicit-def: $sgpr45
	s_and_saveexec_b64 s[28:29], s[2:3]
; %bb.536:                              ;   in Loop: Header=BB241_289 Depth=1
	s_mov_b32 s45, 0x7fc02000
	s_xor_b64 s[20:21], exec, -1
; %bb.537:                              ;   in Loop: Header=BB241_289 Depth=1
	s_or_b64 exec, exec, s[28:29]
	s_and_b64 s[20:21], s[20:21], exec
	s_or_saveexec_b64 s[22:23], s[22:23]
	v_mov_b32_e32 v21, s45
	s_xor_b64 exec, exec, s[22:23]
	s_cbranch_execz .LBB241_407
.LBB241_538:                            ;   in Loop: Header=BB241_289 Depth=1
	v_cmp_ne_u16_e64 s[2:3], 0, v8
	s_andn2_b64 s[20:21], s[20:21], exec
	s_and_b64 s[2:3], s[2:3], exec
	v_mov_b32_e32 v21, 0
	s_or_b64 s[20:21], s[20:21], s[2:3]
	s_or_b64 exec, exec, s[22:23]
	s_and_saveexec_b64 s[22:23], s[20:21]
	s_cbranch_execnz .LBB241_408
	s_branch .LBB241_409
.LBB241_539:                            ;   in Loop: Header=BB241_289 Depth=1
	v_cmp_eq_u16_sdwa s[50:51], v17, s31 src0_sel:BYTE_0 src1_sel:DWORD
	s_mov_b64 s[2:3], -1
                                        ; implicit-def: $sgpr28
	s_and_saveexec_b64 s[22:23], s[50:51]
; %bb.540:                              ;   in Loop: Header=BB241_289 Depth=1
	s_mov_b32 s28, 0x7fc02000
	s_xor_b64 s[2:3], exec, -1
; %bb.541:                              ;   in Loop: Header=BB241_289 Depth=1
	s_or_b64 exec, exec, s[22:23]
	s_and_b64 s[2:3], s[2:3], exec
	s_or_saveexec_b64 s[20:21], s[20:21]
	v_mov_b32_e32 v15, s28
	s_xor_b64 exec, exec, s[20:21]
	s_cbranch_execz .LBB241_411
.LBB241_542:                            ;   in Loop: Header=BB241_289 Depth=1
	v_cmp_ne_u16_sdwa s[22:23], v17, v9 src0_sel:BYTE_0 src1_sel:DWORD
	s_andn2_b64 s[2:3], s[2:3], exec
	s_and_b64 s[22:23], s[22:23], exec
	v_mov_b32_e32 v15, 0
	s_or_b64 s[2:3], s[2:3], s[22:23]
	s_or_b64 exec, exec, s[20:21]
	v_mov_b32_e32 v8, v17
	s_and_saveexec_b64 s[20:21], s[2:3]
	s_cbranch_execnz .LBB241_412
	s_branch .LBB241_413
.LBB241_543:                            ;   in Loop: Header=BB241_289 Depth=1
	v_cmp_eq_u16_e64 s[2:3], s31, v8
	s_mov_b64 s[20:21], -1
                                        ; implicit-def: $sgpr45
	s_and_saveexec_b64 s[28:29], s[2:3]
; %bb.544:                              ;   in Loop: Header=BB241_289 Depth=1
	s_mov_b32 s45, 0x7fc02000
	s_xor_b64 s[20:21], exec, -1
; %bb.545:                              ;   in Loop: Header=BB241_289 Depth=1
	s_or_b64 exec, exec, s[28:29]
	s_and_b64 s[20:21], s[20:21], exec
	s_or_saveexec_b64 s[22:23], s[22:23]
	v_mov_b32_e32 v16, s45
	s_xor_b64 exec, exec, s[22:23]
	s_cbranch_execz .LBB241_415
.LBB241_546:                            ;   in Loop: Header=BB241_289 Depth=1
	v_cmp_ne_u16_e64 s[2:3], 0, v8
	s_andn2_b64 s[20:21], s[20:21], exec
	s_and_b64 s[2:3], s[2:3], exec
	v_mov_b32_e32 v16, 0
	s_or_b64 s[20:21], s[20:21], s[2:3]
	s_or_b64 exec, exec, s[22:23]
	s_and_saveexec_b64 s[22:23], s[20:21]
	s_cbranch_execnz .LBB241_416
	s_branch .LBB241_417
.LBB241_547:                            ;   in Loop: Header=BB241_289 Depth=1
	v_cmp_eq_u16_sdwa s[50:51], v8, s31 src0_sel:BYTE_0 src1_sel:DWORD
	s_mov_b64 s[2:3], -1
                                        ; implicit-def: $sgpr28
	s_and_saveexec_b64 s[22:23], s[50:51]
; %bb.548:                              ;   in Loop: Header=BB241_289 Depth=1
	s_mov_b32 s28, 0x7fc02000
	s_xor_b64 s[2:3], exec, -1
; %bb.549:                              ;   in Loop: Header=BB241_289 Depth=1
	s_or_b64 exec, exec, s[22:23]
	s_and_b64 s[2:3], s[2:3], exec
	s_or_saveexec_b64 s[20:21], s[20:21]
	v_mov_b32_e32 v22, s28
	s_xor_b64 exec, exec, s[20:21]
	s_cbranch_execz .LBB241_419
.LBB241_550:                            ;   in Loop: Header=BB241_289 Depth=1
	v_cmp_ne_u16_sdwa s[22:23], v8, v9 src0_sel:BYTE_0 src1_sel:DWORD
	s_andn2_b64 s[2:3], s[2:3], exec
	s_and_b64 s[22:23], s[22:23], exec
	v_mov_b32_e32 v22, 0
	s_or_b64 s[2:3], s[2:3], s[22:23]
	s_or_b64 exec, exec, s[20:21]
	s_and_saveexec_b64 s[20:21], s[2:3]
	s_cbranch_execnz .LBB241_420
	s_branch .LBB241_421
.LBB241_551:                            ;   in Loop: Header=BB241_289 Depth=1
	v_cmp_eq_u16_e64 s[2:3], s31, v8
	s_mov_b64 s[20:21], -1
                                        ; implicit-def: $sgpr45
	s_and_saveexec_b64 s[28:29], s[2:3]
; %bb.552:                              ;   in Loop: Header=BB241_289 Depth=1
	s_mov_b32 s45, 0x7fc02000
	s_xor_b64 s[20:21], exec, -1
; %bb.553:                              ;   in Loop: Header=BB241_289 Depth=1
	s_or_b64 exec, exec, s[28:29]
	s_and_b64 s[20:21], s[20:21], exec
	s_or_saveexec_b64 s[22:23], s[22:23]
	v_mov_b32_e32 v23, s45
	s_xor_b64 exec, exec, s[22:23]
	s_cbranch_execz .LBB241_423
.LBB241_554:                            ;   in Loop: Header=BB241_289 Depth=1
	v_cmp_ne_u16_e64 s[2:3], 0, v8
	s_andn2_b64 s[20:21], s[20:21], exec
	s_and_b64 s[2:3], s[2:3], exec
	v_mov_b32_e32 v23, 0
	s_or_b64 s[20:21], s[20:21], s[2:3]
	s_or_b64 exec, exec, s[22:23]
	s_and_saveexec_b64 s[22:23], s[20:21]
	s_cbranch_execnz .LBB241_424
	s_branch .LBB241_425
.LBB241_555:
	s_or_b64 exec, exec, s[12:13]
.LBB241_556:
	s_or_b64 exec, exec, s[8:9]
	ds_bpermute_b32 v6, v27, v2
	ds_bpermute_b32 v7, v27, v3
	;; [unrolled: 1-line block ×4, first 2 shown]
	v_and_b32_e32 v1, 0x3c0, v0
	v_cmp_eq_u32_e32 vcc, 64, v1
	s_waitcnt lgkmcnt(2)
	v_pk_add_f32 v[6:7], v[2:3], v[6:7]
	s_waitcnt lgkmcnt(0)
	v_pk_add_f32 v[2:3], v[4:5], v[8:9]
	s_barrier
	s_and_saveexec_b64 s[2:3], vcc
	s_cbranch_execz .LBB241_561
; %bb.557:
	v_cmp_eq_u32_e32 vcc, 0, v28
	s_and_saveexec_b64 s[0:1], vcc
	s_cbranch_execz .LBB241_559
; %bb.558:
	v_mov_b32_e32 v1, 0x100
	v_lshl_add_u32 v1, v29, 2, v1
	ds_write2_b32 v1, v6, v7 offset1:32
	ds_write_b32 v1, v2 offset:256
.LBB241_559:
	s_or_b64 exec, exec, s[0:1]
	v_or_b32_e32 v1, 0x60, v29
	s_movk_i32 s0, 0x78
	v_cmp_gt_u32_e64 s[0:1], s0, v1
	s_and_b64 s[0:1], vcc, s[0:1]
	s_and_b64 exec, exec, s[0:1]
	s_cbranch_execz .LBB241_561
; %bb.560:
	v_mov_b32_e32 v1, 0x100
	v_lshl_add_u32 v1, v29, 2, v1
	ds_write_b32 v1, v3 offset:384
.LBB241_561:
	s_or_b64 exec, exec, s[2:3]
	v_cmp_gt_u32_e32 vcc, 64, v0
	v_lshrrev_b32_e32 v0, 1, v0
	s_waitcnt lgkmcnt(0)
	s_barrier
	s_and_saveexec_b64 s[6:7], vcc
	s_cbranch_execz .LBB241_569
; %bb.562:
	v_cmp_eq_u32_e64 s[0:1], 0, v28
	s_and_saveexec_b64 s[2:3], s[0:1]
	s_cbranch_execnz .LBB241_575
; %bb.563:
	s_or_b64 exec, exec, s[2:3]
	s_and_saveexec_b64 s[2:3], s[0:1]
	s_cbranch_execnz .LBB241_576
.LBB241_564:
	s_or_b64 exec, exec, s[2:3]
	s_and_saveexec_b64 s[2:3], s[0:1]
	s_cbranch_execz .LBB241_566
.LBB241_565:
	v_mov_b32_e32 v1, 0x100
	v_lshl_add_u32 v1, v0, 2, v1
	ds_read_b32 v1, v1 offset:256
	s_waitcnt lgkmcnt(0)
	v_add_f32_e32 v2, v2, v1
.LBB241_566:
	s_or_b64 exec, exec, s[2:3]
	v_or_b32_e32 v1, 0x60, v0
	s_movk_i32 s2, 0x78
	v_cmp_gt_u32_e64 s[2:3], s2, v1
	s_and_b64 s[2:3], s[0:1], s[2:3]
	s_and_saveexec_b64 s[0:1], s[2:3]
	s_cbranch_execz .LBB241_568
; %bb.567:
	v_mov_b32_e32 v1, 0x100
	v_lshl_add_u32 v1, v0, 2, v1
	ds_read_b32 v1, v1 offset:384
	s_waitcnt lgkmcnt(0)
	v_add_f32_e32 v3, v3, v1
.LBB241_568:
	s_or_b64 exec, exec, s[0:1]
.LBB241_569:
	s_or_b64 exec, exec, s[6:7]
	s_barrier
	s_and_saveexec_b64 s[0:1], vcc
	s_cbranch_execz .LBB241_574
; %bb.570:
	s_mul_i32 s0, s10, s11
	s_mul_i32 s0, s0, s5
	s_mulk_i32 s0, 0x78
	s_ashr_i32 s1, s0, 31
	s_lshl_b64 s[0:1], s[0:1], 1
	s_add_u32 s2, s26, s0
	s_mul_i32 s0, s11, s24
	s_addc_u32 s3, s27, s1
	s_ashr_i32 s1, s0, 31
	s_lshl_b64 s[0:1], s[0:1], 1
	s_add_u32 s2, s2, s0
	s_mul_i32 s0, s4, 0x78
	s_addc_u32 s3, s3, s1
	s_ashr_i32 s1, s0, 31
	s_lshl_b64 s[0:1], s[0:1], 1
	s_add_u32 s2, s2, s0
	s_movk_i32 s5, 0x78
	s_addc_u32 s3, s3, s1
	v_cmp_eq_u32_e32 vcc, 0, v28
	v_lshlrev_b32_e32 v1, 1, v0
	s_and_saveexec_b64 s[0:1], vcc
	s_cbranch_execz .LBB241_572
; %bb.571:
	;;#ASMSTART
	v_cvt_f16_f32 v4, v6;

	;;#ASMEND
	global_store_short v1, v4, s[2:3]
	;;#ASMSTART
	v_cvt_f16_f32 v4, v7;

	;;#ASMEND
	global_store_short v1, v4, s[2:3] offset:64
	;;#ASMSTART
	v_cvt_f16_f32 v2, v2;

	;;#ASMEND
	global_store_short v1, v2, s[2:3] offset:128
.LBB241_572:
	s_or_b64 exec, exec, s[0:1]
	v_or_b32_e32 v0, 0x60, v0
	v_cmp_gt_u32_e64 s[0:1], s5, v0
	s_and_b64 s[0:1], vcc, s[0:1]
	s_and_b64 exec, exec, s[0:1]
	s_cbranch_execz .LBB241_574
; %bb.573:
	;;#ASMSTART
	v_cvt_f16_f32 v0, v3;

	;;#ASMEND
	global_store_short v1, v0, s[2:3] offset:192
.LBB241_574:
	s_endpgm
.LBB241_575:
	v_mov_b32_e32 v1, 0x100
	v_lshl_add_u32 v1, v0, 2, v1
	ds_read_b32 v1, v1
	s_waitcnt lgkmcnt(0)
	v_add_f32_e32 v6, v6, v1
	s_or_b64 exec, exec, s[2:3]
	s_and_saveexec_b64 s[2:3], s[0:1]
	s_cbranch_execz .LBB241_564
.LBB241_576:
	v_mov_b32_e32 v1, 0x100
	v_lshl_add_u32 v1, v0, 2, v1
	ds_read_b32 v1, v1 offset:128
	s_waitcnt lgkmcnt(0)
	v_add_f32_e32 v7, v7, v1
	s_or_b64 exec, exec, s[2:3]
	s_and_saveexec_b64 s[2:3], s[0:1]
	s_cbranch_execnz .LBB241_565
	s_branch .LBB241_566
	.section	.rodata,"a",@progbits
	.p2align	6, 0x0
	.amdhsa_kernel _ZN4vllm25paged_attention_v1_kernelIthLi120ELi16ELi128ELNS_18Fp8KVCacheDataTypeE1ELb1EEEvPT_PKS2_PKT0_S8_ifPKiSA_iPKfiiiSC_SC_iiiii
		.amdhsa_group_segment_fixed_size 256
		.amdhsa_private_segment_fixed_size 0
		.amdhsa_kernarg_size 384
		.amdhsa_user_sgpr_count 2
		.amdhsa_user_sgpr_dispatch_ptr 0
		.amdhsa_user_sgpr_queue_ptr 0
		.amdhsa_user_sgpr_kernarg_segment_ptr 1
		.amdhsa_user_sgpr_dispatch_id 0
		.amdhsa_user_sgpr_kernarg_preload_length 0
		.amdhsa_user_sgpr_kernarg_preload_offset 0
		.amdhsa_user_sgpr_private_segment_size 0
		.amdhsa_uses_dynamic_stack 0
		.amdhsa_enable_private_segment 0
		.amdhsa_system_sgpr_workgroup_id_x 1
		.amdhsa_system_sgpr_workgroup_id_y 1
		.amdhsa_system_sgpr_workgroup_id_z 1
		.amdhsa_system_sgpr_workgroup_info 0
		.amdhsa_system_vgpr_workitem_id 0
		.amdhsa_next_free_vgpr 70
		.amdhsa_next_free_sgpr 58
		.amdhsa_accum_offset 72
		.amdhsa_reserve_vcc 1
		.amdhsa_float_round_mode_32 0
		.amdhsa_float_round_mode_16_64 0
		.amdhsa_float_denorm_mode_32 3
		.amdhsa_float_denorm_mode_16_64 3
		.amdhsa_dx10_clamp 1
		.amdhsa_ieee_mode 1
		.amdhsa_fp16_overflow 0
		.amdhsa_tg_split 0
		.amdhsa_exception_fp_ieee_invalid_op 0
		.amdhsa_exception_fp_denorm_src 0
		.amdhsa_exception_fp_ieee_div_zero 0
		.amdhsa_exception_fp_ieee_overflow 0
		.amdhsa_exception_fp_ieee_underflow 0
		.amdhsa_exception_fp_ieee_inexact 0
		.amdhsa_exception_int_div_zero 0
	.end_amdhsa_kernel
	.section	.text._ZN4vllm25paged_attention_v1_kernelIthLi120ELi16ELi128ELNS_18Fp8KVCacheDataTypeE1ELb1EEEvPT_PKS2_PKT0_S8_ifPKiSA_iPKfiiiSC_SC_iiiii,"axG",@progbits,_ZN4vllm25paged_attention_v1_kernelIthLi120ELi16ELi128ELNS_18Fp8KVCacheDataTypeE1ELb1EEEvPT_PKS2_PKT0_S8_ifPKiSA_iPKfiiiSC_SC_iiiii,comdat
.Lfunc_end241:
	.size	_ZN4vllm25paged_attention_v1_kernelIthLi120ELi16ELi128ELNS_18Fp8KVCacheDataTypeE1ELb1EEEvPT_PKS2_PKT0_S8_ifPKiSA_iPKfiiiSC_SC_iiiii, .Lfunc_end241-_ZN4vllm25paged_attention_v1_kernelIthLi120ELi16ELi128ELNS_18Fp8KVCacheDataTypeE1ELb1EEEvPT_PKS2_PKT0_S8_ifPKiSA_iPKfiiiSC_SC_iiiii
                                        ; -- End function
	.section	.AMDGPU.csdata,"",@progbits
; Kernel info:
; codeLenInByte = 23608
; NumSgprs: 64
; NumVgprs: 70
; NumAgprs: 0
; TotalNumVgprs: 70
; ScratchSize: 0
; MemoryBound: 0
; FloatMode: 240
; IeeeMode: 1
; LDSByteSize: 256 bytes/workgroup (compile time only)
; SGPRBlocks: 7
; VGPRBlocks: 8
; NumSGPRsForWavesPerEU: 64
; NumVGPRsForWavesPerEU: 70
; AccumOffset: 72
; Occupancy: 7
; WaveLimiterHint : 1
; COMPUTE_PGM_RSRC2:SCRATCH_EN: 0
; COMPUTE_PGM_RSRC2:USER_SGPR: 2
; COMPUTE_PGM_RSRC2:TRAP_HANDLER: 0
; COMPUTE_PGM_RSRC2:TGID_X_EN: 1
; COMPUTE_PGM_RSRC2:TGID_Y_EN: 1
; COMPUTE_PGM_RSRC2:TGID_Z_EN: 1
; COMPUTE_PGM_RSRC2:TIDIG_COMP_CNT: 0
; COMPUTE_PGM_RSRC3_GFX90A:ACCUM_OFFSET: 17
; COMPUTE_PGM_RSRC3_GFX90A:TG_SPLIT: 0
	.section	.text._ZN4vllm25paged_attention_v1_kernelIthLi128ELi16ELi128ELNS_18Fp8KVCacheDataTypeE1ELb1EEEvPT_PKS2_PKT0_S8_ifPKiSA_iPKfiiiSC_SC_iiiii,"axG",@progbits,_ZN4vllm25paged_attention_v1_kernelIthLi128ELi16ELi128ELNS_18Fp8KVCacheDataTypeE1ELb1EEEvPT_PKS2_PKT0_S8_ifPKiSA_iPKfiiiSC_SC_iiiii,comdat
	.protected	_ZN4vllm25paged_attention_v1_kernelIthLi128ELi16ELi128ELNS_18Fp8KVCacheDataTypeE1ELb1EEEvPT_PKS2_PKT0_S8_ifPKiSA_iPKfiiiSC_SC_iiiii ; -- Begin function _ZN4vllm25paged_attention_v1_kernelIthLi128ELi16ELi128ELNS_18Fp8KVCacheDataTypeE1ELb1EEEvPT_PKS2_PKT0_S8_ifPKiSA_iPKfiiiSC_SC_iiiii
	.globl	_ZN4vllm25paged_attention_v1_kernelIthLi128ELi16ELi128ELNS_18Fp8KVCacheDataTypeE1ELb1EEEvPT_PKS2_PKT0_S8_ifPKiSA_iPKfiiiSC_SC_iiiii
	.p2align	8
	.type	_ZN4vllm25paged_attention_v1_kernelIthLi128ELi16ELi128ELNS_18Fp8KVCacheDataTypeE1ELb1EEEvPT_PKS2_PKT0_S8_ifPKiSA_iPKfiiiSC_SC_iiiii,@function
_ZN4vllm25paged_attention_v1_kernelIthLi128ELi16ELi128ELNS_18Fp8KVCacheDataTypeE1ELb1EEEvPT_PKS2_PKT0_S8_ifPKiSA_iPKfiiiSC_SC_iiiii: ; @_ZN4vllm25paged_attention_v1_kernelIthLi128ELi16ELi128ELNS_18Fp8KVCacheDataTypeE1ELb1EEEvPT_PKS2_PKT0_S8_ifPKiSA_iPKfiiiSC_SC_iiiii
; %bb.0:
	s_load_dword s5, s[0:1], 0x80
	s_load_dwordx2 s[6:7], s[0:1], 0x30
	s_load_dwordx2 s[38:39], s[0:1], 0x20
	s_mov_b32 s24, s3
	s_ashr_i32 s25, s3, 31
	s_lshl_b64 s[8:9], s[24:25], 2
	s_waitcnt lgkmcnt(0)
	s_add_u32 s6, s6, s8
	s_addc_u32 s7, s7, s9
	s_abs_i32 s3, s38
	v_cvt_f32_u32_e32 v1, s3
	s_sub_i32 s10, 0, s3
	s_abs_i32 s9, s5
	s_xor_b32 s8, s5, s38
	v_rcp_iflag_f32_e32 v1, v1
	s_ashr_i32 s8, s8, 31
	s_mov_b32 s50, 0
	v_mul_f32_e32 v1, 0x4f7ffffe, v1
	v_cvt_u32_f32_e32 v1, v1
	s_nop 0
	v_readfirstlane_b32 s11, v1
	s_mul_i32 s10, s10, s11
	s_mul_hi_u32 s10, s11, s10
	s_add_i32 s11, s11, s10
	s_mul_hi_u32 s10, s9, s11
	s_mul_i32 s11, s10, s3
	s_sub_i32 s9, s9, s11
	s_add_i32 s11, s10, 1
	s_sub_i32 s12, s9, s3
	s_cmp_ge_u32 s9, s3
	s_cselect_b32 s10, s11, s10
	s_cselect_b32 s9, s12, s9
	s_add_i32 s11, s10, 1
	s_cmp_ge_u32 s9, s3
	s_cselect_b32 s3, s11, s10
	s_xor_b32 s3, s3, s8
	s_sub_i32 s13, s3, s8
	s_abs_i32 s10, s13
	v_cvt_f32_u32_e32 v1, s10
	s_load_dwordx2 s[8:9], s[0:1], 0x40
	s_sub_i32 s3, 0, s10
	s_abs_i32 s11, s2
	v_rcp_iflag_f32_e32 v1, v1
	s_nop 0
	v_mul_f32_e32 v1, 0x4f7ffffe, v1
	v_cvt_u32_f32_e32 v1, v1
	s_nop 0
	v_readfirstlane_b32 s12, v1
	s_mul_i32 s3, s3, s12
	s_mul_hi_u32 s3, s12, s3
	s_add_i32 s12, s12, s3
	s_waitcnt lgkmcnt(0)
	s_cmp_eq_u64 s[8:9], 0
	s_mul_hi_u32 s12, s11, s12
	s_cbranch_scc1 .LBB242_2
; %bb.1:
	s_ashr_i32 s3, s2, 31
	s_lshl_b64 s[14:15], s[2:3], 2
	s_add_u32 s8, s8, s14
	s_addc_u32 s9, s9, s15
	s_load_dword s50, s[8:9], 0x0
.LBB242_2:
	s_load_dword s25, s[6:7], 0x0
	s_load_dwordx4 s[16:19], s[0:1], 0x48
	s_ashr_i32 s14, s2, 31
	s_ashr_i32 s13, s13, 31
	v_and_b32_e32 v7, 3, v0
	s_lshl_b32 s26, s2, 7
	v_cmp_gt_u32_e64 s[6:7], 64, v0
	s_and_saveexec_b64 s[8:9], s[6:7]
	s_cbranch_execz .LBB242_4
; %bb.3:
	s_load_dwordx2 s[20:21], s[0:1], 0x8
	s_waitcnt lgkmcnt(0)
	s_mul_i32 s22, s24, s16
	s_ashr_i32 s23, s22, 31
	s_lshl_b64 s[22:23], s[22:23], 1
	v_lshlrev_b32_e32 v1, 2, v0
	s_add_u32 s3, s20, s22
	s_addc_u32 s15, s21, s23
	s_ashr_i32 s27, s26, 31
	s_lshl_b64 s[20:21], s[26:27], 1
	s_add_u32 s20, s3, s20
	s_addc_u32 s21, s15, s21
	global_load_dword v1, v1, s[20:21]
	v_and_b32_e32 v2, 0x3fc, v0
	v_lshl_add_u32 v2, v7, 6, v2
	s_waitcnt vmcnt(0)
	ds_write_b32 v2, v1
.LBB242_4:
	s_or_b64 exec, exec, s[8:9]
	s_mul_i32 s9, s12, s10
	s_sub_i32 s9, s11, s9
	s_xor_b32 s8, s14, s13
	s_add_i32 s11, s12, 1
	s_sub_i32 s13, s9, s10
	s_load_dwordx4 s[20:23], s[0:1], 0x68
	s_load_dword s3, s[0:1], 0x78
	s_cmp_ge_u32 s9, s10
	s_cselect_b32 s11, s11, s12
	s_cselect_b32 s9, s13, s9
	s_add_i32 s12, s11, 1
	s_cmp_ge_u32 s9, s10
	s_cselect_b32 s9, s12, s11
	s_waitcnt lgkmcnt(0)
	s_abs_i32 s27, s23
	v_cvt_f32_u32_e32 v1, s27
	s_xor_b32 s9, s9, s8
	s_sub_i32 s49, s9, s8
	s_sub_i32 s8, 0, s27
	v_rcp_iflag_f32_e32 v1, v1
	s_add_i32 s12, s25, -1
	s_abs_i32 s10, s12
	v_mul_f32_e32 v1, 0x4f7ffffe, v1
	v_cvt_u32_f32_e32 v1, v1
	s_barrier
	v_readfirstlane_b32 s33, v1
	s_mul_i32 s8, s8, s33
	s_mul_hi_u32 s8, s33, s8
	s_add_i32 s33, s33, s8
	s_cmp_lt_i32 s3, 0
	s_mul_hi_u32 s11, s10, s33
	s_cbranch_scc0 .LBB242_6
; %bb.5:
	s_mul_i32 s8, s20, s38
	s_add_i32 s8, s49, s8
	s_mul_i32 s8, s8, s3
	s_sub_i32 s38, 1, s8
	s_mov_b64 s[8:9], 0
	s_branch .LBB242_7
.LBB242_6:
	s_mov_b64 s[8:9], -1
                                        ; implicit-def: $sgpr38
.LBB242_7:
	s_load_dwordx2 s[30:31], s[0:1], 0x28
	s_ashr_i32 s16, s12, 31
	s_andn2_b64 vcc, exec, s[8:9]
	s_ashr_i32 s23, s23, 31
	s_cbranch_vccnz .LBB242_9
; %bb.8:
	s_mul_i32 s8, s5, s20
	s_add_i32 s2, s8, s2
	s_mul_i32 s2, s2, s3
	s_add_i32 s38, s2, 1
.LBB242_9:
	s_load_dword s2, s[0:1], 0x38
	s_load_dwordx2 s[28:29], s[0:1], 0x0
	s_load_dwordx2 s[36:37], s[0:1], 0x18
	s_load_dword s20, s[0:1], 0x88
	s_load_dwordx4 s[12:15], s[0:1], 0x58
	s_mul_i32 s3, s11, s27
	s_waitcnt lgkmcnt(0)
	s_mul_i32 s34, s24, s2
	s_sub_i32 s3, s10, s3
	s_ashr_i32 s35, s34, 31
	s_xor_b32 s2, s16, s23
	s_add_i32 s8, s11, 1
	s_sub_i32 s9, s3, s27
	s_cmp_ge_u32 s3, s27
	s_cselect_b32 s8, s8, s11
	s_cselect_b32 s3, s9, s3
	s_add_i32 s9, s8, 1
	s_cmp_ge_u32 s3, s27
	s_cselect_b32 s3, s9, s8
	s_xor_b32 s3, s3, s2
	s_sub_i32 s16, s3, s2
	s_add_i32 s2, s25, 15
	s_ashr_i32 s3, s2, 31
	s_lshr_b32 s3, s3, 28
	s_add_i32 s2, s2, s3
	s_ashr_i32 s48, s2, 4
	v_lshrrev_b32_e32 v1, 6, v0
	v_cmp_gt_i32_e64 s[2:3], s48, v1
	v_mov_b32_e32 v17, 0xff7fffff
	s_mul_i32 s49, s49, s18
	v_lshrrev_b32_e32 v12, 4, v0
	v_lshlrev_b32_e32 v15, 4, v1
	v_mbcnt_lo_u32_b32 v13, -1, 0
	s_and_saveexec_b64 s[18:19], s[2:3]
	s_cbranch_execz .LBB242_275
; %bb.10:
	s_load_dwordx2 s[0:1], s[0:1], 0x10
	s_sub_i32 s51, s16, s21
	s_ashr_i32 s8, s49, 31
	v_bfe_u32 v14, v0, 2, 4
	v_lshlrev_b32_e32 v2, 4, v14
	s_waitcnt lgkmcnt(0)
	s_add_u32 s0, s0, s49
	s_addc_u32 s1, s1, s8
	s_abs_i32 s52, s22
	v_cvt_f32_u32_e32 v4, s52
	v_mov_b32_e32 v3, 0
	s_sub_i32 s8, 0, s52
	v_cmp_eq_u32_e32 vcc, 0, v7
	v_rcp_iflag_f32_e32 v8, v4
	v_lshl_add_u64 v[4:5], s[0:1], 0, v[2:3]
	s_mov_b32 s53, s17
	v_lshlrev_b32_e32 v6, 1, v7
	v_mul_f32_e32 v2, 0x4f7ffffe, v8
	v_cvt_u32_f32_e32 v2, v2
	v_lshlrev_b32_e32 v16, 6, v7
	v_cmp_neq_f32_e64 s[0:1], s50, 0
	v_mov_b32_e32 v7, v3
	v_mul_lo_u32 v8, s8, v2
	s_lshl_b64 s[8:9], s[34:35], 2
	v_mul_hi_u32 v8, v2, v8
	s_add_u32 s8, s30, s8
	v_add_u32_e32 v18, v2, v8
	v_and_b32_e32 v2, 60, v12
	s_addc_u32 s9, s31, s9
	v_lshl_add_u64 v[8:9], s[8:9], 0, v[2:3]
	v_lshlrev_b32_e32 v2, 2, v14
	v_lshl_or_b32 v2, v1, 6, v2
	v_add_u32_e32 v20, 0x110, v2
	v_subrev_u32_e32 v2, s25, v14
	v_lshlrev_b32_e32 v19, 4, v1
	v_add_u32_e32 v21, 1, v2
	s_mov_b64 s[40:41], 0
	v_mov_b32_e32 v22, 0xff7fffff
	s_movk_i32 s54, 0x7f
	s_movk_i32 s55, 0x80
	s_mov_b32 s56, 0x8000
	v_mov_b32_e32 v23, 0x1c00
	v_mbcnt_hi_u32_b32 v24, -1, v13
	v_mov_b32_e32 v17, 0xff7fffff
	v_mov_b32_e32 v25, v1
	s_branch .LBB242_13
.LBB242_11:                             ;   in Loop: Header=BB242_13 Depth=1
	s_or_b64 exec, exec, s[42:43]
.LBB242_12:                             ;   in Loop: Header=BB242_13 Depth=1
	s_or_b64 exec, exec, s[10:11]
	v_add_u32_e32 v25, 2, v25
	v_cmp_le_i32_e64 s[8:9], s48, v25
	v_lshl_add_u64 v[8:9], v[8:9], 0, 8
	v_add_u32_e32 v19, 32, v19
	s_or_b64 s[40:41], s[8:9], s[40:41]
	v_add_u32_e32 v20, 0x80, v20
	s_andn2_b64 exec, exec, s[40:41]
	s_cbranch_execz .LBB242_274
.LBB242_13:                             ; =>This Inner Loop Header: Depth=1
	v_mul_hi_u32 v2, v19, s33
	s_waitcnt lgkmcnt(0)
	v_mul_lo_u32 v10, v2, s27
	v_sub_u32_e32 v10, v19, v10
	v_add_u32_e32 v11, 1, v2
	v_cmp_le_u32_e64 s[8:9], s27, v10
	s_nop 1
	v_cndmask_b32_e64 v2, v2, v11, s[8:9]
	v_subrev_u32_e32 v11, s27, v10
	v_cndmask_b32_e64 v10, v10, v11, s[8:9]
	v_add_u32_e32 v11, 1, v2
	v_cmp_le_u32_e64 s[8:9], s27, v10
	s_nop 1
	v_cndmask_b32_e64 v2, v2, v11, s[8:9]
	v_xor_b32_e32 v2, s23, v2
	v_subrev_u32_e32 v2, s23, v2
	v_add_u32_e32 v10, s38, v2
	v_sub_u32_e32 v26, 0, v10
	v_ashrrev_i32_e32 v11, 31, v10
	v_max_i32_e32 v10, v10, v26
	v_mul_hi_u32 v26, v10, v18
	v_mul_lo_u32 v26, v26, s52
	v_sub_u32_e32 v10, v10, v26
	v_subrev_u32_e32 v26, s52, v10
	v_cmp_le_u32_e64 s[8:9], s52, v10
	v_cmp_ge_i32_e64 s[10:11], s51, v2
	s_nop 0
	v_cndmask_b32_e64 v10, v10, v26, s[8:9]
	v_subrev_u32_e32 v26, s52, v10
	v_cmp_le_u32_e64 s[8:9], s52, v10
	s_nop 1
	v_cndmask_b32_e64 v10, v10, v26, s[8:9]
	v_xor_b32_e32 v10, v10, v11
	v_sub_u32_e32 v10, v10, v11
	v_cmp_ne_u32_e64 s[8:9], 0, v10
	s_and_b64 s[8:9], s[8:9], s[10:11]
	s_and_b64 s[42:43], vcc, s[8:9]
	s_and_saveexec_b64 s[10:11], s[42:43]
	s_cbranch_execz .LBB242_15
; %bb.14:                               ;   in Loop: Header=BB242_13 Depth=1
	ds_write_b32 v20, v22
.LBB242_15:                             ;   in Loop: Header=BB242_13 Depth=1
	s_or_b64 exec, exec, s[10:11]
	s_xor_b64 s[8:9], s[8:9], -1
	s_and_saveexec_b64 s[10:11], s[8:9]
	s_cbranch_execz .LBB242_12
; %bb.16:                               ;   in Loop: Header=BB242_13 Depth=1
	global_load_dword v2, v[8:9], off
                                        ; implicit-def: $sgpr46
	s_waitcnt vmcnt(0)
	v_mad_i64_i32 v[10:11], s[8:9], v2, s53, v[4:5]
	v_lshl_add_u64 v[10:11], v[10:11], 0, v[6:7]
	global_load_ushort v2, v[10:11], off
	global_load_dword v26, v3, s[12:13]
	s_mov_b64 s[8:9], 0
	s_waitcnt vmcnt(1)
	v_cmp_gt_i16_sdwa s[42:43], v2, s54 src0_sel:BYTE_0 src1_sel:DWORD
	s_and_saveexec_b64 s[44:45], s[42:43]
	s_xor_b64 s[42:43], exec, s[44:45]
	s_cbranch_execnz .LBB242_146
; %bb.17:                               ;   in Loop: Header=BB242_13 Depth=1
	s_or_saveexec_b64 s[42:43], s[42:43]
	v_mov_b32_e32 v27, s46
	s_xor_b64 exec, exec, s[42:43]
	s_cbranch_execnz .LBB242_149
.LBB242_18:                             ;   in Loop: Header=BB242_13 Depth=1
	s_or_b64 exec, exec, s[42:43]
	v_and_b32_e32 v2, 0xffff, v2
	s_and_saveexec_b64 s[42:43], s[8:9]
	s_cbranch_execz .LBB242_20
.LBB242_19:                             ;   in Loop: Header=BB242_13 Depth=1
	v_and_b32_e32 v27, 7, v2
	v_ffbh_u32_e32 v28, v27
	v_min_u32_e32 v31, 32, v28
	v_subrev_u32_e32 v28, 28, v31
	v_bfe_u32 v30, v2, 3, 4
	v_lshlrev_b64 v[28:29], v28, v[2:3]
	v_sub_u32_e32 v29, 29, v31
	v_cmp_eq_u32_e64 s[8:9], 0, v30
	v_and_b32_e32 v28, 7, v28
	s_nop 0
	v_cndmask_b32_e64 v29, v30, v29, s[8:9]
	v_cndmask_b32_e64 v27, v27, v28, s[8:9]
	v_lshlrev_b32_e32 v28, 8, v2
	v_lshl_add_u32 v29, v29, 10, v23
	v_and_or_b32 v28, v28, s56, v29
	v_lshl_or_b32 v27, v27, 7, v28
	v_cvt_f32_f16_e32 v27, v27
.LBB242_20:                             ;   in Loop: Header=BB242_13 Depth=1
	s_or_b64 exec, exec, s[42:43]
	v_lshrrev_b16_e32 v2, 8, v2
	v_cmp_lt_i16_e64 s[8:9], s54, v2
	s_mov_b64 s[42:43], 0
                                        ; implicit-def: $sgpr57
	s_and_saveexec_b64 s[44:45], s[8:9]
	s_xor_b64 s[44:45], exec, s[44:45]
	s_cbranch_execnz .LBB242_150
; %bb.21:                               ;   in Loop: Header=BB242_13 Depth=1
	s_or_saveexec_b64 s[44:45], s[44:45]
	v_mov_b32_e32 v28, s57
	s_xor_b64 exec, exec, s[44:45]
	s_cbranch_execnz .LBB242_153
.LBB242_22:                             ;   in Loop: Header=BB242_13 Depth=1
	s_or_b64 exec, exec, s[44:45]
	s_and_saveexec_b64 s[44:45], s[42:43]
	s_cbranch_execz .LBB242_24
.LBB242_23:                             ;   in Loop: Header=BB242_13 Depth=1
	v_and_b32_e32 v30, 7, v2
	v_ffbh_u32_e32 v28, v30
	v_min_u32_e32 v32, 32, v28
	v_subrev_u32_e32 v28, 28, v32
	v_bfe_u32 v31, v2, 3, 4
	v_lshlrev_b64 v[28:29], v28, v[2:3]
	v_sub_u32_e32 v29, 29, v32
	v_cmp_eq_u32_e64 s[8:9], 0, v31
	v_and_b32_e32 v28, 7, v28
	v_lshlrev_b32_e32 v2, 8, v2
	v_cndmask_b32_e64 v29, v31, v29, s[8:9]
	v_lshl_add_u32 v29, v29, 10, v23
	v_cndmask_b32_e64 v28, v30, v28, s[8:9]
	v_and_or_b32 v2, v2, s56, v29
	v_lshl_or_b32 v2, v28, 7, v2
	v_cvt_f32_f16_e32 v28, v2
.LBB242_24:                             ;   in Loop: Header=BB242_13 Depth=1
	s_or_b64 exec, exec, s[44:45]
	global_load_ushort v2, v[10:11], off offset:8
	s_mov_b64 s[8:9], 0
                                        ; implicit-def: $sgpr46
	s_waitcnt vmcnt(0)
	v_cmp_gt_i16_sdwa s[42:43], v2, s54 src0_sel:BYTE_0 src1_sel:DWORD
	s_and_saveexec_b64 s[44:45], s[42:43]
	s_xor_b64 s[42:43], exec, s[44:45]
	s_cbranch_execnz .LBB242_154
; %bb.25:                               ;   in Loop: Header=BB242_13 Depth=1
	s_or_saveexec_b64 s[42:43], s[42:43]
	v_mov_b32_e32 v29, s46
	s_xor_b64 exec, exec, s[42:43]
	s_cbranch_execnz .LBB242_157
.LBB242_26:                             ;   in Loop: Header=BB242_13 Depth=1
	s_or_b64 exec, exec, s[42:43]
	v_and_b32_e32 v2, 0xffff, v2
	s_and_saveexec_b64 s[42:43], s[8:9]
	s_cbranch_execz .LBB242_28
.LBB242_27:                             ;   in Loop: Header=BB242_13 Depth=1
	v_and_b32_e32 v29, 7, v2
	v_ffbh_u32_e32 v30, v29
	v_min_u32_e32 v33, 32, v30
	v_subrev_u32_e32 v30, 28, v33
	v_bfe_u32 v32, v2, 3, 4
	v_lshlrev_b64 v[30:31], v30, v[2:3]
	v_sub_u32_e32 v31, 29, v33
	v_cmp_eq_u32_e64 s[8:9], 0, v32
	v_and_b32_e32 v30, 7, v30
	s_nop 0
	v_cndmask_b32_e64 v31, v32, v31, s[8:9]
	v_cndmask_b32_e64 v29, v29, v30, s[8:9]
	v_lshlrev_b32_e32 v30, 8, v2
	v_lshl_add_u32 v31, v31, 10, v23
	v_and_or_b32 v30, v30, s56, v31
	v_lshl_or_b32 v29, v29, 7, v30
	v_cvt_f32_f16_e32 v29, v29
.LBB242_28:                             ;   in Loop: Header=BB242_13 Depth=1
	s_or_b64 exec, exec, s[42:43]
	v_lshrrev_b16_e32 v2, 8, v2
	v_cmp_lt_i16_e64 s[8:9], s54, v2
	s_mov_b64 s[42:43], 0
                                        ; implicit-def: $sgpr57
	s_and_saveexec_b64 s[44:45], s[8:9]
	s_xor_b64 s[44:45], exec, s[44:45]
	s_cbranch_execnz .LBB242_158
; %bb.29:                               ;   in Loop: Header=BB242_13 Depth=1
	s_or_saveexec_b64 s[44:45], s[44:45]
	v_mov_b32_e32 v30, s57
	s_xor_b64 exec, exec, s[44:45]
	s_cbranch_execnz .LBB242_161
.LBB242_30:                             ;   in Loop: Header=BB242_13 Depth=1
	s_or_b64 exec, exec, s[44:45]
	s_and_saveexec_b64 s[44:45], s[42:43]
	s_cbranch_execz .LBB242_32
.LBB242_31:                             ;   in Loop: Header=BB242_13 Depth=1
	v_and_b32_e32 v32, 7, v2
	v_ffbh_u32_e32 v30, v32
	v_min_u32_e32 v34, 32, v30
	v_subrev_u32_e32 v30, 28, v34
	v_bfe_u32 v33, v2, 3, 4
	v_lshlrev_b64 v[30:31], v30, v[2:3]
	v_sub_u32_e32 v31, 29, v34
	v_cmp_eq_u32_e64 s[8:9], 0, v33
	v_and_b32_e32 v30, 7, v30
	v_lshlrev_b32_e32 v2, 8, v2
	v_cndmask_b32_e64 v31, v33, v31, s[8:9]
	v_lshl_add_u32 v31, v31, 10, v23
	v_cndmask_b32_e64 v30, v32, v30, s[8:9]
	v_and_or_b32 v2, v2, s56, v31
	v_lshl_or_b32 v2, v30, 7, v2
	v_cvt_f32_f16_e32 v30, v2
.LBB242_32:                             ;   in Loop: Header=BB242_13 Depth=1
	s_or_b64 exec, exec, s[44:45]
	global_load_ushort v2, v[10:11], off offset:256
	s_mov_b64 s[8:9], 0
                                        ; implicit-def: $sgpr46
	s_waitcnt vmcnt(0)
	v_cmp_gt_i16_sdwa s[42:43], v2, s54 src0_sel:BYTE_0 src1_sel:DWORD
	s_and_saveexec_b64 s[44:45], s[42:43]
	s_xor_b64 s[42:43], exec, s[44:45]
	s_cbranch_execnz .LBB242_162
; %bb.33:                               ;   in Loop: Header=BB242_13 Depth=1
	s_or_saveexec_b64 s[42:43], s[42:43]
	v_mov_b32_e32 v31, s46
	s_xor_b64 exec, exec, s[42:43]
	s_cbranch_execnz .LBB242_165
.LBB242_34:                             ;   in Loop: Header=BB242_13 Depth=1
	s_or_b64 exec, exec, s[42:43]
	v_and_b32_e32 v2, 0xffff, v2
	s_and_saveexec_b64 s[42:43], s[8:9]
	s_cbranch_execz .LBB242_36
.LBB242_35:                             ;   in Loop: Header=BB242_13 Depth=1
	v_and_b32_e32 v31, 7, v2
	v_ffbh_u32_e32 v32, v31
	v_min_u32_e32 v35, 32, v32
	v_subrev_u32_e32 v32, 28, v35
	v_bfe_u32 v34, v2, 3, 4
	v_lshlrev_b64 v[32:33], v32, v[2:3]
	v_sub_u32_e32 v33, 29, v35
	v_cmp_eq_u32_e64 s[8:9], 0, v34
	v_and_b32_e32 v32, 7, v32
	s_nop 0
	v_cndmask_b32_e64 v33, v34, v33, s[8:9]
	v_cndmask_b32_e64 v31, v31, v32, s[8:9]
	v_lshlrev_b32_e32 v32, 8, v2
	v_lshl_add_u32 v33, v33, 10, v23
	v_and_or_b32 v32, v32, s56, v33
	v_lshl_or_b32 v31, v31, 7, v32
	v_cvt_f32_f16_e32 v31, v31
.LBB242_36:                             ;   in Loop: Header=BB242_13 Depth=1
	s_or_b64 exec, exec, s[42:43]
	v_lshrrev_b16_e32 v2, 8, v2
	v_cmp_lt_i16_e64 s[8:9], s54, v2
	s_mov_b64 s[42:43], 0
                                        ; implicit-def: $sgpr57
	s_and_saveexec_b64 s[44:45], s[8:9]
	s_xor_b64 s[44:45], exec, s[44:45]
	s_cbranch_execnz .LBB242_166
; %bb.37:                               ;   in Loop: Header=BB242_13 Depth=1
	s_or_saveexec_b64 s[44:45], s[44:45]
	v_mov_b32_e32 v32, s57
	s_xor_b64 exec, exec, s[44:45]
	s_cbranch_execnz .LBB242_169
.LBB242_38:                             ;   in Loop: Header=BB242_13 Depth=1
	s_or_b64 exec, exec, s[44:45]
	s_and_saveexec_b64 s[44:45], s[42:43]
	s_cbranch_execz .LBB242_40
.LBB242_39:                             ;   in Loop: Header=BB242_13 Depth=1
	v_and_b32_e32 v34, 7, v2
	v_ffbh_u32_e32 v32, v34
	v_min_u32_e32 v36, 32, v32
	v_subrev_u32_e32 v32, 28, v36
	v_bfe_u32 v35, v2, 3, 4
	v_lshlrev_b64 v[32:33], v32, v[2:3]
	v_sub_u32_e32 v33, 29, v36
	v_cmp_eq_u32_e64 s[8:9], 0, v35
	v_and_b32_e32 v32, 7, v32
	v_lshlrev_b32_e32 v2, 8, v2
	v_cndmask_b32_e64 v33, v35, v33, s[8:9]
	v_lshl_add_u32 v33, v33, 10, v23
	v_cndmask_b32_e64 v32, v34, v32, s[8:9]
	v_and_or_b32 v2, v2, s56, v33
	v_lshl_or_b32 v2, v32, 7, v2
	v_cvt_f32_f16_e32 v32, v2
.LBB242_40:                             ;   in Loop: Header=BB242_13 Depth=1
	s_or_b64 exec, exec, s[44:45]
	global_load_ushort v2, v[10:11], off offset:264
	s_mov_b64 s[8:9], 0
                                        ; implicit-def: $sgpr46
	s_waitcnt vmcnt(0)
	v_cmp_gt_i16_sdwa s[42:43], v2, s54 src0_sel:BYTE_0 src1_sel:DWORD
	s_and_saveexec_b64 s[44:45], s[42:43]
	s_xor_b64 s[42:43], exec, s[44:45]
	s_cbranch_execnz .LBB242_170
; %bb.41:                               ;   in Loop: Header=BB242_13 Depth=1
	s_or_saveexec_b64 s[42:43], s[42:43]
	v_mov_b32_e32 v33, s46
	s_xor_b64 exec, exec, s[42:43]
	s_cbranch_execnz .LBB242_173
.LBB242_42:                             ;   in Loop: Header=BB242_13 Depth=1
	s_or_b64 exec, exec, s[42:43]
	v_and_b32_e32 v2, 0xffff, v2
	s_and_saveexec_b64 s[42:43], s[8:9]
	s_cbranch_execz .LBB242_44
.LBB242_43:                             ;   in Loop: Header=BB242_13 Depth=1
	v_and_b32_e32 v33, 7, v2
	v_ffbh_u32_e32 v34, v33
	v_min_u32_e32 v37, 32, v34
	v_subrev_u32_e32 v34, 28, v37
	v_bfe_u32 v36, v2, 3, 4
	v_lshlrev_b64 v[34:35], v34, v[2:3]
	v_sub_u32_e32 v35, 29, v37
	v_cmp_eq_u32_e64 s[8:9], 0, v36
	v_and_b32_e32 v34, 7, v34
	s_nop 0
	v_cndmask_b32_e64 v35, v36, v35, s[8:9]
	v_cndmask_b32_e64 v33, v33, v34, s[8:9]
	v_lshlrev_b32_e32 v34, 8, v2
	v_lshl_add_u32 v35, v35, 10, v23
	v_and_or_b32 v34, v34, s56, v35
	v_lshl_or_b32 v33, v33, 7, v34
	v_cvt_f32_f16_e32 v33, v33
.LBB242_44:                             ;   in Loop: Header=BB242_13 Depth=1
	s_or_b64 exec, exec, s[42:43]
	v_lshrrev_b16_e32 v2, 8, v2
	v_cmp_lt_i16_e64 s[8:9], s54, v2
	s_mov_b64 s[42:43], 0
                                        ; implicit-def: $sgpr57
	s_and_saveexec_b64 s[44:45], s[8:9]
	s_xor_b64 s[44:45], exec, s[44:45]
	s_cbranch_execnz .LBB242_174
; %bb.45:                               ;   in Loop: Header=BB242_13 Depth=1
	s_or_saveexec_b64 s[44:45], s[44:45]
	v_mov_b32_e32 v34, s57
	s_xor_b64 exec, exec, s[44:45]
	s_cbranch_execnz .LBB242_177
.LBB242_46:                             ;   in Loop: Header=BB242_13 Depth=1
	s_or_b64 exec, exec, s[44:45]
	s_and_saveexec_b64 s[44:45], s[42:43]
	s_cbranch_execz .LBB242_48
.LBB242_47:                             ;   in Loop: Header=BB242_13 Depth=1
	v_and_b32_e32 v36, 7, v2
	v_ffbh_u32_e32 v34, v36
	v_min_u32_e32 v38, 32, v34
	v_subrev_u32_e32 v34, 28, v38
	v_bfe_u32 v37, v2, 3, 4
	v_lshlrev_b64 v[34:35], v34, v[2:3]
	v_sub_u32_e32 v35, 29, v38
	v_cmp_eq_u32_e64 s[8:9], 0, v37
	v_and_b32_e32 v34, 7, v34
	v_lshlrev_b32_e32 v2, 8, v2
	v_cndmask_b32_e64 v35, v37, v35, s[8:9]
	v_lshl_add_u32 v35, v35, 10, v23
	v_cndmask_b32_e64 v34, v36, v34, s[8:9]
	v_and_or_b32 v2, v2, s56, v35
	v_lshl_or_b32 v2, v34, 7, v2
	v_cvt_f32_f16_e32 v34, v2
.LBB242_48:                             ;   in Loop: Header=BB242_13 Depth=1
	s_or_b64 exec, exec, s[44:45]
	global_load_ushort v2, v[10:11], off offset:512
	s_mov_b64 s[8:9], 0
                                        ; implicit-def: $sgpr46
	s_waitcnt vmcnt(0)
	v_cmp_gt_i16_sdwa s[42:43], v2, s54 src0_sel:BYTE_0 src1_sel:DWORD
	s_and_saveexec_b64 s[44:45], s[42:43]
	s_xor_b64 s[42:43], exec, s[44:45]
	s_cbranch_execnz .LBB242_178
; %bb.49:                               ;   in Loop: Header=BB242_13 Depth=1
	s_or_saveexec_b64 s[42:43], s[42:43]
	v_mov_b32_e32 v35, s46
	s_xor_b64 exec, exec, s[42:43]
	s_cbranch_execnz .LBB242_181
.LBB242_50:                             ;   in Loop: Header=BB242_13 Depth=1
	s_or_b64 exec, exec, s[42:43]
	v_and_b32_e32 v2, 0xffff, v2
	s_and_saveexec_b64 s[42:43], s[8:9]
	s_cbranch_execz .LBB242_52
.LBB242_51:                             ;   in Loop: Header=BB242_13 Depth=1
	v_and_b32_e32 v35, 7, v2
	v_ffbh_u32_e32 v36, v35
	v_min_u32_e32 v39, 32, v36
	v_subrev_u32_e32 v36, 28, v39
	v_bfe_u32 v38, v2, 3, 4
	v_lshlrev_b64 v[36:37], v36, v[2:3]
	v_sub_u32_e32 v37, 29, v39
	v_cmp_eq_u32_e64 s[8:9], 0, v38
	v_and_b32_e32 v36, 7, v36
	s_nop 0
	v_cndmask_b32_e64 v37, v38, v37, s[8:9]
	v_cndmask_b32_e64 v35, v35, v36, s[8:9]
	v_lshlrev_b32_e32 v36, 8, v2
	v_lshl_add_u32 v37, v37, 10, v23
	v_and_or_b32 v36, v36, s56, v37
	v_lshl_or_b32 v35, v35, 7, v36
	v_cvt_f32_f16_e32 v35, v35
.LBB242_52:                             ;   in Loop: Header=BB242_13 Depth=1
	s_or_b64 exec, exec, s[42:43]
	v_lshrrev_b16_e32 v2, 8, v2
	v_cmp_lt_i16_e64 s[8:9], s54, v2
	s_mov_b64 s[42:43], 0
                                        ; implicit-def: $sgpr57
	s_and_saveexec_b64 s[44:45], s[8:9]
	s_xor_b64 s[44:45], exec, s[44:45]
	s_cbranch_execnz .LBB242_182
; %bb.53:                               ;   in Loop: Header=BB242_13 Depth=1
	s_or_saveexec_b64 s[44:45], s[44:45]
	v_mov_b32_e32 v36, s57
	s_xor_b64 exec, exec, s[44:45]
	s_cbranch_execnz .LBB242_185
.LBB242_54:                             ;   in Loop: Header=BB242_13 Depth=1
	s_or_b64 exec, exec, s[44:45]
	s_and_saveexec_b64 s[44:45], s[42:43]
	s_cbranch_execz .LBB242_56
.LBB242_55:                             ;   in Loop: Header=BB242_13 Depth=1
	v_and_b32_e32 v38, 7, v2
	v_ffbh_u32_e32 v36, v38
	v_min_u32_e32 v40, 32, v36
	v_subrev_u32_e32 v36, 28, v40
	v_bfe_u32 v39, v2, 3, 4
	v_lshlrev_b64 v[36:37], v36, v[2:3]
	v_sub_u32_e32 v37, 29, v40
	v_cmp_eq_u32_e64 s[8:9], 0, v39
	v_and_b32_e32 v36, 7, v36
	v_lshlrev_b32_e32 v2, 8, v2
	v_cndmask_b32_e64 v37, v39, v37, s[8:9]
	v_lshl_add_u32 v37, v37, 10, v23
	v_cndmask_b32_e64 v36, v38, v36, s[8:9]
	v_and_or_b32 v2, v2, s56, v37
	v_lshl_or_b32 v2, v36, 7, v2
	v_cvt_f32_f16_e32 v36, v2
.LBB242_56:                             ;   in Loop: Header=BB242_13 Depth=1
	s_or_b64 exec, exec, s[44:45]
	global_load_ushort v2, v[10:11], off offset:520
	s_mov_b64 s[8:9], 0
                                        ; implicit-def: $sgpr46
	s_waitcnt vmcnt(0)
	v_cmp_gt_i16_sdwa s[42:43], v2, s54 src0_sel:BYTE_0 src1_sel:DWORD
	s_and_saveexec_b64 s[44:45], s[42:43]
	s_xor_b64 s[42:43], exec, s[44:45]
	s_cbranch_execnz .LBB242_186
; %bb.57:                               ;   in Loop: Header=BB242_13 Depth=1
	s_or_saveexec_b64 s[42:43], s[42:43]
	v_mov_b32_e32 v37, s46
	s_xor_b64 exec, exec, s[42:43]
	s_cbranch_execnz .LBB242_189
.LBB242_58:                             ;   in Loop: Header=BB242_13 Depth=1
	s_or_b64 exec, exec, s[42:43]
	v_and_b32_e32 v2, 0xffff, v2
	s_and_saveexec_b64 s[42:43], s[8:9]
	s_cbranch_execz .LBB242_60
.LBB242_59:                             ;   in Loop: Header=BB242_13 Depth=1
	v_and_b32_e32 v37, 7, v2
	v_ffbh_u32_e32 v38, v37
	v_min_u32_e32 v41, 32, v38
	v_subrev_u32_e32 v38, 28, v41
	v_bfe_u32 v40, v2, 3, 4
	v_lshlrev_b64 v[38:39], v38, v[2:3]
	v_sub_u32_e32 v39, 29, v41
	v_cmp_eq_u32_e64 s[8:9], 0, v40
	v_and_b32_e32 v38, 7, v38
	s_nop 0
	v_cndmask_b32_e64 v39, v40, v39, s[8:9]
	v_cndmask_b32_e64 v37, v37, v38, s[8:9]
	v_lshlrev_b32_e32 v38, 8, v2
	v_lshl_add_u32 v39, v39, 10, v23
	v_and_or_b32 v38, v38, s56, v39
	v_lshl_or_b32 v37, v37, 7, v38
	v_cvt_f32_f16_e32 v37, v37
.LBB242_60:                             ;   in Loop: Header=BB242_13 Depth=1
	s_or_b64 exec, exec, s[42:43]
	v_lshrrev_b16_e32 v2, 8, v2
	v_cmp_lt_i16_e64 s[8:9], s54, v2
	s_mov_b64 s[42:43], 0
                                        ; implicit-def: $sgpr57
	s_and_saveexec_b64 s[44:45], s[8:9]
	s_xor_b64 s[44:45], exec, s[44:45]
	s_cbranch_execnz .LBB242_190
; %bb.61:                               ;   in Loop: Header=BB242_13 Depth=1
	s_or_saveexec_b64 s[44:45], s[44:45]
	v_mov_b32_e32 v38, s57
	s_xor_b64 exec, exec, s[44:45]
	s_cbranch_execnz .LBB242_193
.LBB242_62:                             ;   in Loop: Header=BB242_13 Depth=1
	s_or_b64 exec, exec, s[44:45]
	s_and_saveexec_b64 s[44:45], s[42:43]
	s_cbranch_execz .LBB242_64
.LBB242_63:                             ;   in Loop: Header=BB242_13 Depth=1
	v_and_b32_e32 v40, 7, v2
	v_ffbh_u32_e32 v38, v40
	v_min_u32_e32 v42, 32, v38
	v_subrev_u32_e32 v38, 28, v42
	v_bfe_u32 v41, v2, 3, 4
	v_lshlrev_b64 v[38:39], v38, v[2:3]
	v_sub_u32_e32 v39, 29, v42
	v_cmp_eq_u32_e64 s[8:9], 0, v41
	v_and_b32_e32 v38, 7, v38
	v_lshlrev_b32_e32 v2, 8, v2
	v_cndmask_b32_e64 v39, v41, v39, s[8:9]
	v_lshl_add_u32 v39, v39, 10, v23
	v_cndmask_b32_e64 v38, v40, v38, s[8:9]
	v_and_or_b32 v2, v2, s56, v39
	v_lshl_or_b32 v2, v38, 7, v2
	v_cvt_f32_f16_e32 v38, v2
.LBB242_64:                             ;   in Loop: Header=BB242_13 Depth=1
	s_or_b64 exec, exec, s[44:45]
	global_load_ushort v2, v[10:11], off offset:768
	s_mov_b64 s[8:9], 0
                                        ; implicit-def: $sgpr46
	s_waitcnt vmcnt(0)
	v_cmp_gt_i16_sdwa s[42:43], v2, s54 src0_sel:BYTE_0 src1_sel:DWORD
	s_and_saveexec_b64 s[44:45], s[42:43]
	s_xor_b64 s[42:43], exec, s[44:45]
	s_cbranch_execnz .LBB242_194
; %bb.65:                               ;   in Loop: Header=BB242_13 Depth=1
	s_or_saveexec_b64 s[42:43], s[42:43]
	v_mov_b32_e32 v39, s46
	s_xor_b64 exec, exec, s[42:43]
	s_cbranch_execnz .LBB242_197
.LBB242_66:                             ;   in Loop: Header=BB242_13 Depth=1
	s_or_b64 exec, exec, s[42:43]
	v_and_b32_e32 v2, 0xffff, v2
	s_and_saveexec_b64 s[42:43], s[8:9]
	s_cbranch_execz .LBB242_68
.LBB242_67:                             ;   in Loop: Header=BB242_13 Depth=1
	v_and_b32_e32 v39, 7, v2
	v_ffbh_u32_e32 v40, v39
	v_min_u32_e32 v43, 32, v40
	v_subrev_u32_e32 v40, 28, v43
	v_bfe_u32 v42, v2, 3, 4
	v_lshlrev_b64 v[40:41], v40, v[2:3]
	v_sub_u32_e32 v41, 29, v43
	v_cmp_eq_u32_e64 s[8:9], 0, v42
	v_and_b32_e32 v40, 7, v40
	s_nop 0
	v_cndmask_b32_e64 v41, v42, v41, s[8:9]
	v_cndmask_b32_e64 v39, v39, v40, s[8:9]
	v_lshlrev_b32_e32 v40, 8, v2
	v_lshl_add_u32 v41, v41, 10, v23
	v_and_or_b32 v40, v40, s56, v41
	v_lshl_or_b32 v39, v39, 7, v40
	v_cvt_f32_f16_e32 v39, v39
.LBB242_68:                             ;   in Loop: Header=BB242_13 Depth=1
	s_or_b64 exec, exec, s[42:43]
	v_lshrrev_b16_e32 v2, 8, v2
	v_cmp_lt_i16_e64 s[8:9], s54, v2
	s_mov_b64 s[42:43], 0
                                        ; implicit-def: $sgpr57
	s_and_saveexec_b64 s[44:45], s[8:9]
	s_xor_b64 s[44:45], exec, s[44:45]
	s_cbranch_execnz .LBB242_198
; %bb.69:                               ;   in Loop: Header=BB242_13 Depth=1
	s_or_saveexec_b64 s[44:45], s[44:45]
	v_mov_b32_e32 v40, s57
	s_xor_b64 exec, exec, s[44:45]
	s_cbranch_execnz .LBB242_201
.LBB242_70:                             ;   in Loop: Header=BB242_13 Depth=1
	s_or_b64 exec, exec, s[44:45]
	s_and_saveexec_b64 s[44:45], s[42:43]
	s_cbranch_execz .LBB242_72
.LBB242_71:                             ;   in Loop: Header=BB242_13 Depth=1
	v_and_b32_e32 v42, 7, v2
	v_ffbh_u32_e32 v40, v42
	v_min_u32_e32 v44, 32, v40
	v_subrev_u32_e32 v40, 28, v44
	v_bfe_u32 v43, v2, 3, 4
	v_lshlrev_b64 v[40:41], v40, v[2:3]
	v_sub_u32_e32 v41, 29, v44
	v_cmp_eq_u32_e64 s[8:9], 0, v43
	v_and_b32_e32 v40, 7, v40
	v_lshlrev_b32_e32 v2, 8, v2
	v_cndmask_b32_e64 v41, v43, v41, s[8:9]
	v_lshl_add_u32 v41, v41, 10, v23
	v_cndmask_b32_e64 v40, v42, v40, s[8:9]
	v_and_or_b32 v2, v2, s56, v41
	v_lshl_or_b32 v2, v40, 7, v2
	v_cvt_f32_f16_e32 v40, v2
.LBB242_72:                             ;   in Loop: Header=BB242_13 Depth=1
	s_or_b64 exec, exec, s[44:45]
	global_load_ushort v2, v[10:11], off offset:776
	s_mov_b64 s[8:9], 0
                                        ; implicit-def: $sgpr46
	s_waitcnt vmcnt(0)
	v_cmp_gt_i16_sdwa s[42:43], v2, s54 src0_sel:BYTE_0 src1_sel:DWORD
	s_and_saveexec_b64 s[44:45], s[42:43]
	s_xor_b64 s[42:43], exec, s[44:45]
	s_cbranch_execnz .LBB242_202
; %bb.73:                               ;   in Loop: Header=BB242_13 Depth=1
	s_or_saveexec_b64 s[42:43], s[42:43]
	v_mov_b32_e32 v41, s46
	s_xor_b64 exec, exec, s[42:43]
	s_cbranch_execnz .LBB242_205
.LBB242_74:                             ;   in Loop: Header=BB242_13 Depth=1
	s_or_b64 exec, exec, s[42:43]
	v_and_b32_e32 v2, 0xffff, v2
	s_and_saveexec_b64 s[42:43], s[8:9]
	s_cbranch_execz .LBB242_76
.LBB242_75:                             ;   in Loop: Header=BB242_13 Depth=1
	v_and_b32_e32 v41, 7, v2
	v_ffbh_u32_e32 v42, v41
	v_min_u32_e32 v45, 32, v42
	v_subrev_u32_e32 v42, 28, v45
	v_bfe_u32 v44, v2, 3, 4
	v_lshlrev_b64 v[42:43], v42, v[2:3]
	v_sub_u32_e32 v43, 29, v45
	v_cmp_eq_u32_e64 s[8:9], 0, v44
	v_and_b32_e32 v42, 7, v42
	s_nop 0
	v_cndmask_b32_e64 v43, v44, v43, s[8:9]
	v_cndmask_b32_e64 v41, v41, v42, s[8:9]
	v_lshlrev_b32_e32 v42, 8, v2
	v_lshl_add_u32 v43, v43, 10, v23
	v_and_or_b32 v42, v42, s56, v43
	v_lshl_or_b32 v41, v41, 7, v42
	v_cvt_f32_f16_e32 v41, v41
.LBB242_76:                             ;   in Loop: Header=BB242_13 Depth=1
	s_or_b64 exec, exec, s[42:43]
	v_lshrrev_b16_e32 v2, 8, v2
	v_cmp_lt_i16_e64 s[8:9], s54, v2
	s_mov_b64 s[42:43], 0
                                        ; implicit-def: $sgpr57
	s_and_saveexec_b64 s[44:45], s[8:9]
	s_xor_b64 s[44:45], exec, s[44:45]
	s_cbranch_execnz .LBB242_206
; %bb.77:                               ;   in Loop: Header=BB242_13 Depth=1
	s_or_saveexec_b64 s[44:45], s[44:45]
	v_mov_b32_e32 v42, s57
	s_xor_b64 exec, exec, s[44:45]
	s_cbranch_execnz .LBB242_209
.LBB242_78:                             ;   in Loop: Header=BB242_13 Depth=1
	s_or_b64 exec, exec, s[44:45]
	s_and_saveexec_b64 s[44:45], s[42:43]
	s_cbranch_execz .LBB242_80
.LBB242_79:                             ;   in Loop: Header=BB242_13 Depth=1
	v_and_b32_e32 v44, 7, v2
	v_ffbh_u32_e32 v42, v44
	v_min_u32_e32 v46, 32, v42
	v_subrev_u32_e32 v42, 28, v46
	v_bfe_u32 v45, v2, 3, 4
	v_lshlrev_b64 v[42:43], v42, v[2:3]
	v_sub_u32_e32 v43, 29, v46
	v_cmp_eq_u32_e64 s[8:9], 0, v45
	v_and_b32_e32 v42, 7, v42
	v_lshlrev_b32_e32 v2, 8, v2
	v_cndmask_b32_e64 v43, v45, v43, s[8:9]
	v_lshl_add_u32 v43, v43, 10, v23
	v_cndmask_b32_e64 v42, v44, v42, s[8:9]
	v_and_or_b32 v2, v2, s56, v43
	v_lshl_or_b32 v2, v42, 7, v2
	v_cvt_f32_f16_e32 v42, v2
.LBB242_80:                             ;   in Loop: Header=BB242_13 Depth=1
	s_or_b64 exec, exec, s[44:45]
	global_load_ushort v2, v[10:11], off offset:1024
	s_mov_b64 s[8:9], 0
                                        ; implicit-def: $sgpr46
	s_waitcnt vmcnt(0)
	v_cmp_gt_i16_sdwa s[42:43], v2, s54 src0_sel:BYTE_0 src1_sel:DWORD
	s_and_saveexec_b64 s[44:45], s[42:43]
	s_xor_b64 s[42:43], exec, s[44:45]
	s_cbranch_execnz .LBB242_210
; %bb.81:                               ;   in Loop: Header=BB242_13 Depth=1
	s_or_saveexec_b64 s[42:43], s[42:43]
	v_mov_b32_e32 v43, s46
	s_xor_b64 exec, exec, s[42:43]
	s_cbranch_execnz .LBB242_213
.LBB242_82:                             ;   in Loop: Header=BB242_13 Depth=1
	s_or_b64 exec, exec, s[42:43]
	v_and_b32_e32 v2, 0xffff, v2
	s_and_saveexec_b64 s[42:43], s[8:9]
	s_cbranch_execz .LBB242_84
.LBB242_83:                             ;   in Loop: Header=BB242_13 Depth=1
	v_and_b32_e32 v43, 7, v2
	v_ffbh_u32_e32 v44, v43
	v_min_u32_e32 v47, 32, v44
	v_subrev_u32_e32 v44, 28, v47
	v_bfe_u32 v46, v2, 3, 4
	v_lshlrev_b64 v[44:45], v44, v[2:3]
	v_sub_u32_e32 v45, 29, v47
	v_cmp_eq_u32_e64 s[8:9], 0, v46
	v_and_b32_e32 v44, 7, v44
	s_nop 0
	v_cndmask_b32_e64 v45, v46, v45, s[8:9]
	v_cndmask_b32_e64 v43, v43, v44, s[8:9]
	v_lshlrev_b32_e32 v44, 8, v2
	v_lshl_add_u32 v45, v45, 10, v23
	v_and_or_b32 v44, v44, s56, v45
	v_lshl_or_b32 v43, v43, 7, v44
	v_cvt_f32_f16_e32 v43, v43
.LBB242_84:                             ;   in Loop: Header=BB242_13 Depth=1
	s_or_b64 exec, exec, s[42:43]
	v_lshrrev_b16_e32 v2, 8, v2
	v_cmp_lt_i16_e64 s[8:9], s54, v2
	s_mov_b64 s[42:43], 0
                                        ; implicit-def: $sgpr57
	s_and_saveexec_b64 s[44:45], s[8:9]
	s_xor_b64 s[44:45], exec, s[44:45]
	s_cbranch_execnz .LBB242_214
; %bb.85:                               ;   in Loop: Header=BB242_13 Depth=1
	s_or_saveexec_b64 s[44:45], s[44:45]
	v_mov_b32_e32 v44, s57
	s_xor_b64 exec, exec, s[44:45]
	s_cbranch_execnz .LBB242_217
.LBB242_86:                             ;   in Loop: Header=BB242_13 Depth=1
	s_or_b64 exec, exec, s[44:45]
	s_and_saveexec_b64 s[44:45], s[42:43]
	s_cbranch_execz .LBB242_88
.LBB242_87:                             ;   in Loop: Header=BB242_13 Depth=1
	v_and_b32_e32 v46, 7, v2
	v_ffbh_u32_e32 v44, v46
	v_min_u32_e32 v48, 32, v44
	v_subrev_u32_e32 v44, 28, v48
	v_bfe_u32 v47, v2, 3, 4
	v_lshlrev_b64 v[44:45], v44, v[2:3]
	v_sub_u32_e32 v45, 29, v48
	v_cmp_eq_u32_e64 s[8:9], 0, v47
	v_and_b32_e32 v44, 7, v44
	v_lshlrev_b32_e32 v2, 8, v2
	v_cndmask_b32_e64 v45, v47, v45, s[8:9]
	v_lshl_add_u32 v45, v45, 10, v23
	v_cndmask_b32_e64 v44, v46, v44, s[8:9]
	v_and_or_b32 v2, v2, s56, v45
	v_lshl_or_b32 v2, v44, 7, v2
	v_cvt_f32_f16_e32 v44, v2
.LBB242_88:                             ;   in Loop: Header=BB242_13 Depth=1
	s_or_b64 exec, exec, s[44:45]
	global_load_ushort v2, v[10:11], off offset:1032
	s_mov_b64 s[8:9], 0
                                        ; implicit-def: $sgpr46
	s_waitcnt vmcnt(0)
	v_cmp_gt_i16_sdwa s[42:43], v2, s54 src0_sel:BYTE_0 src1_sel:DWORD
	s_and_saveexec_b64 s[44:45], s[42:43]
	s_xor_b64 s[42:43], exec, s[44:45]
	s_cbranch_execnz .LBB242_218
; %bb.89:                               ;   in Loop: Header=BB242_13 Depth=1
	s_or_saveexec_b64 s[42:43], s[42:43]
	v_mov_b32_e32 v45, s46
	s_xor_b64 exec, exec, s[42:43]
	s_cbranch_execnz .LBB242_221
.LBB242_90:                             ;   in Loop: Header=BB242_13 Depth=1
	s_or_b64 exec, exec, s[42:43]
	v_and_b32_e32 v2, 0xffff, v2
	s_and_saveexec_b64 s[42:43], s[8:9]
	s_cbranch_execz .LBB242_92
.LBB242_91:                             ;   in Loop: Header=BB242_13 Depth=1
	v_and_b32_e32 v45, 7, v2
	v_ffbh_u32_e32 v46, v45
	v_min_u32_e32 v49, 32, v46
	v_subrev_u32_e32 v46, 28, v49
	v_bfe_u32 v48, v2, 3, 4
	v_lshlrev_b64 v[46:47], v46, v[2:3]
	v_sub_u32_e32 v47, 29, v49
	v_cmp_eq_u32_e64 s[8:9], 0, v48
	v_and_b32_e32 v46, 7, v46
	s_nop 0
	v_cndmask_b32_e64 v47, v48, v47, s[8:9]
	v_cndmask_b32_e64 v45, v45, v46, s[8:9]
	v_lshlrev_b32_e32 v46, 8, v2
	v_lshl_add_u32 v47, v47, 10, v23
	v_and_or_b32 v46, v46, s56, v47
	v_lshl_or_b32 v45, v45, 7, v46
	v_cvt_f32_f16_e32 v45, v45
.LBB242_92:                             ;   in Loop: Header=BB242_13 Depth=1
	s_or_b64 exec, exec, s[42:43]
	v_lshrrev_b16_e32 v2, 8, v2
	v_cmp_lt_i16_e64 s[8:9], s54, v2
	s_mov_b64 s[42:43], 0
                                        ; implicit-def: $sgpr57
	s_and_saveexec_b64 s[44:45], s[8:9]
	s_xor_b64 s[44:45], exec, s[44:45]
	s_cbranch_execnz .LBB242_222
; %bb.93:                               ;   in Loop: Header=BB242_13 Depth=1
	s_or_saveexec_b64 s[44:45], s[44:45]
	v_mov_b32_e32 v46, s57
	s_xor_b64 exec, exec, s[44:45]
	s_cbranch_execnz .LBB242_225
.LBB242_94:                             ;   in Loop: Header=BB242_13 Depth=1
	s_or_b64 exec, exec, s[44:45]
	s_and_saveexec_b64 s[44:45], s[42:43]
	s_cbranch_execz .LBB242_96
.LBB242_95:                             ;   in Loop: Header=BB242_13 Depth=1
	v_and_b32_e32 v48, 7, v2
	v_ffbh_u32_e32 v46, v48
	v_min_u32_e32 v50, 32, v46
	v_subrev_u32_e32 v46, 28, v50
	v_bfe_u32 v49, v2, 3, 4
	v_lshlrev_b64 v[46:47], v46, v[2:3]
	v_sub_u32_e32 v47, 29, v50
	v_cmp_eq_u32_e64 s[8:9], 0, v49
	v_and_b32_e32 v46, 7, v46
	v_lshlrev_b32_e32 v2, 8, v2
	v_cndmask_b32_e64 v47, v49, v47, s[8:9]
	v_lshl_add_u32 v47, v47, 10, v23
	v_cndmask_b32_e64 v46, v48, v46, s[8:9]
	v_and_or_b32 v2, v2, s56, v47
	v_lshl_or_b32 v2, v46, 7, v2
	v_cvt_f32_f16_e32 v46, v2
.LBB242_96:                             ;   in Loop: Header=BB242_13 Depth=1
	s_or_b64 exec, exec, s[44:45]
	global_load_ushort v2, v[10:11], off offset:1280
	s_mov_b64 s[8:9], 0
                                        ; implicit-def: $sgpr46
	s_waitcnt vmcnt(0)
	v_cmp_gt_i16_sdwa s[42:43], v2, s54 src0_sel:BYTE_0 src1_sel:DWORD
	s_and_saveexec_b64 s[44:45], s[42:43]
	s_xor_b64 s[42:43], exec, s[44:45]
	s_cbranch_execnz .LBB242_226
; %bb.97:                               ;   in Loop: Header=BB242_13 Depth=1
	s_or_saveexec_b64 s[42:43], s[42:43]
	v_mov_b32_e32 v47, s46
	s_xor_b64 exec, exec, s[42:43]
	s_cbranch_execnz .LBB242_229
.LBB242_98:                             ;   in Loop: Header=BB242_13 Depth=1
	s_or_b64 exec, exec, s[42:43]
	v_and_b32_e32 v2, 0xffff, v2
	s_and_saveexec_b64 s[42:43], s[8:9]
	s_cbranch_execz .LBB242_100
.LBB242_99:                             ;   in Loop: Header=BB242_13 Depth=1
	v_and_b32_e32 v47, 7, v2
	v_ffbh_u32_e32 v48, v47
	v_min_u32_e32 v51, 32, v48
	v_subrev_u32_e32 v48, 28, v51
	v_bfe_u32 v50, v2, 3, 4
	v_lshlrev_b64 v[48:49], v48, v[2:3]
	v_sub_u32_e32 v49, 29, v51
	v_cmp_eq_u32_e64 s[8:9], 0, v50
	v_and_b32_e32 v48, 7, v48
	s_nop 0
	v_cndmask_b32_e64 v49, v50, v49, s[8:9]
	v_cndmask_b32_e64 v47, v47, v48, s[8:9]
	v_lshlrev_b32_e32 v48, 8, v2
	v_lshl_add_u32 v49, v49, 10, v23
	v_and_or_b32 v48, v48, s56, v49
	v_lshl_or_b32 v47, v47, 7, v48
	v_cvt_f32_f16_e32 v47, v47
.LBB242_100:                            ;   in Loop: Header=BB242_13 Depth=1
	s_or_b64 exec, exec, s[42:43]
	v_lshrrev_b16_e32 v2, 8, v2
	v_cmp_lt_i16_e64 s[8:9], s54, v2
	s_mov_b64 s[42:43], 0
                                        ; implicit-def: $sgpr57
	s_and_saveexec_b64 s[44:45], s[8:9]
	s_xor_b64 s[44:45], exec, s[44:45]
	s_cbranch_execnz .LBB242_230
; %bb.101:                              ;   in Loop: Header=BB242_13 Depth=1
	s_or_saveexec_b64 s[44:45], s[44:45]
	v_mov_b32_e32 v48, s57
	s_xor_b64 exec, exec, s[44:45]
	s_cbranch_execnz .LBB242_233
.LBB242_102:                            ;   in Loop: Header=BB242_13 Depth=1
	s_or_b64 exec, exec, s[44:45]
	s_and_saveexec_b64 s[44:45], s[42:43]
	s_cbranch_execz .LBB242_104
.LBB242_103:                            ;   in Loop: Header=BB242_13 Depth=1
	v_and_b32_e32 v50, 7, v2
	v_ffbh_u32_e32 v48, v50
	v_min_u32_e32 v52, 32, v48
	v_subrev_u32_e32 v48, 28, v52
	v_bfe_u32 v51, v2, 3, 4
	v_lshlrev_b64 v[48:49], v48, v[2:3]
	v_sub_u32_e32 v49, 29, v52
	v_cmp_eq_u32_e64 s[8:9], 0, v51
	v_and_b32_e32 v48, 7, v48
	v_lshlrev_b32_e32 v2, 8, v2
	v_cndmask_b32_e64 v49, v51, v49, s[8:9]
	v_lshl_add_u32 v49, v49, 10, v23
	v_cndmask_b32_e64 v48, v50, v48, s[8:9]
	v_and_or_b32 v2, v2, s56, v49
	v_lshl_or_b32 v2, v48, 7, v2
	v_cvt_f32_f16_e32 v48, v2
.LBB242_104:                            ;   in Loop: Header=BB242_13 Depth=1
	s_or_b64 exec, exec, s[44:45]
	global_load_ushort v2, v[10:11], off offset:1288
	s_mov_b64 s[8:9], 0
                                        ; implicit-def: $sgpr46
	s_waitcnt vmcnt(0)
	v_cmp_gt_i16_sdwa s[42:43], v2, s54 src0_sel:BYTE_0 src1_sel:DWORD
	s_and_saveexec_b64 s[44:45], s[42:43]
	s_xor_b64 s[42:43], exec, s[44:45]
	s_cbranch_execnz .LBB242_234
; %bb.105:                              ;   in Loop: Header=BB242_13 Depth=1
	s_or_saveexec_b64 s[42:43], s[42:43]
	v_mov_b32_e32 v49, s46
	s_xor_b64 exec, exec, s[42:43]
	s_cbranch_execnz .LBB242_237
.LBB242_106:                            ;   in Loop: Header=BB242_13 Depth=1
	s_or_b64 exec, exec, s[42:43]
	v_and_b32_e32 v2, 0xffff, v2
	s_and_saveexec_b64 s[42:43], s[8:9]
	s_cbranch_execz .LBB242_108
.LBB242_107:                            ;   in Loop: Header=BB242_13 Depth=1
	v_and_b32_e32 v49, 7, v2
	v_ffbh_u32_e32 v50, v49
	v_min_u32_e32 v53, 32, v50
	v_subrev_u32_e32 v50, 28, v53
	v_bfe_u32 v52, v2, 3, 4
	v_lshlrev_b64 v[50:51], v50, v[2:3]
	v_sub_u32_e32 v51, 29, v53
	v_cmp_eq_u32_e64 s[8:9], 0, v52
	v_and_b32_e32 v50, 7, v50
	s_nop 0
	v_cndmask_b32_e64 v51, v52, v51, s[8:9]
	v_cndmask_b32_e64 v49, v49, v50, s[8:9]
	v_lshlrev_b32_e32 v50, 8, v2
	v_lshl_add_u32 v51, v51, 10, v23
	v_and_or_b32 v50, v50, s56, v51
	v_lshl_or_b32 v49, v49, 7, v50
	v_cvt_f32_f16_e32 v49, v49
.LBB242_108:                            ;   in Loop: Header=BB242_13 Depth=1
	s_or_b64 exec, exec, s[42:43]
	v_lshrrev_b16_e32 v2, 8, v2
	v_cmp_lt_i16_e64 s[8:9], s54, v2
	s_mov_b64 s[42:43], 0
                                        ; implicit-def: $sgpr57
	s_and_saveexec_b64 s[44:45], s[8:9]
	s_xor_b64 s[44:45], exec, s[44:45]
	s_cbranch_execnz .LBB242_238
; %bb.109:                              ;   in Loop: Header=BB242_13 Depth=1
	s_or_saveexec_b64 s[44:45], s[44:45]
	v_mov_b32_e32 v50, s57
	s_xor_b64 exec, exec, s[44:45]
	s_cbranch_execnz .LBB242_241
.LBB242_110:                            ;   in Loop: Header=BB242_13 Depth=1
	s_or_b64 exec, exec, s[44:45]
	s_and_saveexec_b64 s[44:45], s[42:43]
	s_cbranch_execz .LBB242_112
.LBB242_111:                            ;   in Loop: Header=BB242_13 Depth=1
	v_and_b32_e32 v52, 7, v2
	v_ffbh_u32_e32 v50, v52
	v_min_u32_e32 v54, 32, v50
	v_subrev_u32_e32 v50, 28, v54
	v_bfe_u32 v53, v2, 3, 4
	v_lshlrev_b64 v[50:51], v50, v[2:3]
	v_sub_u32_e32 v51, 29, v54
	v_cmp_eq_u32_e64 s[8:9], 0, v53
	v_and_b32_e32 v50, 7, v50
	v_lshlrev_b32_e32 v2, 8, v2
	v_cndmask_b32_e64 v51, v53, v51, s[8:9]
	v_lshl_add_u32 v51, v51, 10, v23
	v_cndmask_b32_e64 v50, v52, v50, s[8:9]
	v_and_or_b32 v2, v2, s56, v51
	v_lshl_or_b32 v2, v50, 7, v2
	v_cvt_f32_f16_e32 v50, v2
.LBB242_112:                            ;   in Loop: Header=BB242_13 Depth=1
	s_or_b64 exec, exec, s[44:45]
	global_load_ushort v2, v[10:11], off offset:1536
	s_mov_b64 s[8:9], 0
                                        ; implicit-def: $sgpr46
	s_waitcnt vmcnt(0)
	v_cmp_gt_i16_sdwa s[42:43], v2, s54 src0_sel:BYTE_0 src1_sel:DWORD
	s_and_saveexec_b64 s[44:45], s[42:43]
	s_xor_b64 s[42:43], exec, s[44:45]
	s_cbranch_execnz .LBB242_242
; %bb.113:                              ;   in Loop: Header=BB242_13 Depth=1
	s_or_saveexec_b64 s[42:43], s[42:43]
	v_mov_b32_e32 v51, s46
	s_xor_b64 exec, exec, s[42:43]
	s_cbranch_execnz .LBB242_245
.LBB242_114:                            ;   in Loop: Header=BB242_13 Depth=1
	s_or_b64 exec, exec, s[42:43]
	v_and_b32_e32 v2, 0xffff, v2
	s_and_saveexec_b64 s[42:43], s[8:9]
	s_cbranch_execz .LBB242_116
.LBB242_115:                            ;   in Loop: Header=BB242_13 Depth=1
	v_and_b32_e32 v51, 7, v2
	v_ffbh_u32_e32 v52, v51
	v_min_u32_e32 v55, 32, v52
	v_subrev_u32_e32 v52, 28, v55
	v_bfe_u32 v54, v2, 3, 4
	v_lshlrev_b64 v[52:53], v52, v[2:3]
	v_sub_u32_e32 v53, 29, v55
	v_cmp_eq_u32_e64 s[8:9], 0, v54
	v_and_b32_e32 v52, 7, v52
	s_nop 0
	v_cndmask_b32_e64 v53, v54, v53, s[8:9]
	v_cndmask_b32_e64 v51, v51, v52, s[8:9]
	v_lshlrev_b32_e32 v52, 8, v2
	v_lshl_add_u32 v53, v53, 10, v23
	v_and_or_b32 v52, v52, s56, v53
	v_lshl_or_b32 v51, v51, 7, v52
	v_cvt_f32_f16_e32 v51, v51
.LBB242_116:                            ;   in Loop: Header=BB242_13 Depth=1
	s_or_b64 exec, exec, s[42:43]
	v_lshrrev_b16_e32 v2, 8, v2
	v_cmp_lt_i16_e64 s[8:9], s54, v2
	s_mov_b64 s[42:43], 0
                                        ; implicit-def: $sgpr57
	s_and_saveexec_b64 s[44:45], s[8:9]
	s_xor_b64 s[44:45], exec, s[44:45]
	s_cbranch_execnz .LBB242_246
; %bb.117:                              ;   in Loop: Header=BB242_13 Depth=1
	s_or_saveexec_b64 s[44:45], s[44:45]
	v_mov_b32_e32 v52, s57
	s_xor_b64 exec, exec, s[44:45]
	s_cbranch_execnz .LBB242_249
.LBB242_118:                            ;   in Loop: Header=BB242_13 Depth=1
	s_or_b64 exec, exec, s[44:45]
	s_and_saveexec_b64 s[44:45], s[42:43]
	s_cbranch_execz .LBB242_120
.LBB242_119:                            ;   in Loop: Header=BB242_13 Depth=1
	v_and_b32_e32 v54, 7, v2
	v_ffbh_u32_e32 v52, v54
	v_min_u32_e32 v56, 32, v52
	v_subrev_u32_e32 v52, 28, v56
	v_bfe_u32 v55, v2, 3, 4
	v_lshlrev_b64 v[52:53], v52, v[2:3]
	v_sub_u32_e32 v53, 29, v56
	v_cmp_eq_u32_e64 s[8:9], 0, v55
	v_and_b32_e32 v52, 7, v52
	v_lshlrev_b32_e32 v2, 8, v2
	v_cndmask_b32_e64 v53, v55, v53, s[8:9]
	v_lshl_add_u32 v53, v53, 10, v23
	v_cndmask_b32_e64 v52, v54, v52, s[8:9]
	v_and_or_b32 v2, v2, s56, v53
	v_lshl_or_b32 v2, v52, 7, v2
	v_cvt_f32_f16_e32 v52, v2
.LBB242_120:                            ;   in Loop: Header=BB242_13 Depth=1
	s_or_b64 exec, exec, s[44:45]
	global_load_ushort v2, v[10:11], off offset:1544
	s_mov_b64 s[8:9], 0
                                        ; implicit-def: $sgpr46
	s_waitcnt vmcnt(0)
	v_cmp_gt_i16_sdwa s[42:43], v2, s54 src0_sel:BYTE_0 src1_sel:DWORD
	s_and_saveexec_b64 s[44:45], s[42:43]
	s_xor_b64 s[42:43], exec, s[44:45]
	s_cbranch_execnz .LBB242_250
; %bb.121:                              ;   in Loop: Header=BB242_13 Depth=1
	s_or_saveexec_b64 s[42:43], s[42:43]
	v_mov_b32_e32 v53, s46
	s_xor_b64 exec, exec, s[42:43]
	s_cbranch_execnz .LBB242_253
.LBB242_122:                            ;   in Loop: Header=BB242_13 Depth=1
	s_or_b64 exec, exec, s[42:43]
	v_and_b32_e32 v2, 0xffff, v2
	s_and_saveexec_b64 s[42:43], s[8:9]
	s_cbranch_execz .LBB242_124
.LBB242_123:                            ;   in Loop: Header=BB242_13 Depth=1
	v_and_b32_e32 v53, 7, v2
	v_ffbh_u32_e32 v54, v53
	v_min_u32_e32 v57, 32, v54
	v_subrev_u32_e32 v54, 28, v57
	v_bfe_u32 v56, v2, 3, 4
	v_lshlrev_b64 v[54:55], v54, v[2:3]
	v_sub_u32_e32 v55, 29, v57
	v_cmp_eq_u32_e64 s[8:9], 0, v56
	v_and_b32_e32 v54, 7, v54
	s_nop 0
	v_cndmask_b32_e64 v55, v56, v55, s[8:9]
	v_cndmask_b32_e64 v53, v53, v54, s[8:9]
	v_lshlrev_b32_e32 v54, 8, v2
	v_lshl_add_u32 v55, v55, 10, v23
	v_and_or_b32 v54, v54, s56, v55
	v_lshl_or_b32 v53, v53, 7, v54
	v_cvt_f32_f16_e32 v53, v53
.LBB242_124:                            ;   in Loop: Header=BB242_13 Depth=1
	s_or_b64 exec, exec, s[42:43]
	v_lshrrev_b16_e32 v2, 8, v2
	v_cmp_lt_i16_e64 s[8:9], s54, v2
	s_mov_b64 s[42:43], 0
                                        ; implicit-def: $sgpr57
	s_and_saveexec_b64 s[44:45], s[8:9]
	s_xor_b64 s[44:45], exec, s[44:45]
	s_cbranch_execnz .LBB242_254
; %bb.125:                              ;   in Loop: Header=BB242_13 Depth=1
	s_or_saveexec_b64 s[44:45], s[44:45]
	v_mov_b32_e32 v54, s57
	s_xor_b64 exec, exec, s[44:45]
	s_cbranch_execnz .LBB242_257
.LBB242_126:                            ;   in Loop: Header=BB242_13 Depth=1
	s_or_b64 exec, exec, s[44:45]
	s_and_saveexec_b64 s[44:45], s[42:43]
	s_cbranch_execz .LBB242_128
.LBB242_127:                            ;   in Loop: Header=BB242_13 Depth=1
	v_and_b32_e32 v56, 7, v2
	v_ffbh_u32_e32 v54, v56
	v_min_u32_e32 v58, 32, v54
	v_subrev_u32_e32 v54, 28, v58
	v_bfe_u32 v57, v2, 3, 4
	v_lshlrev_b64 v[54:55], v54, v[2:3]
	v_sub_u32_e32 v55, 29, v58
	v_cmp_eq_u32_e64 s[8:9], 0, v57
	v_and_b32_e32 v54, 7, v54
	v_lshlrev_b32_e32 v2, 8, v2
	v_cndmask_b32_e64 v55, v57, v55, s[8:9]
	v_lshl_add_u32 v55, v55, 10, v23
	v_cndmask_b32_e64 v54, v56, v54, s[8:9]
	v_and_or_b32 v2, v2, s56, v55
	v_lshl_or_b32 v2, v54, 7, v2
	v_cvt_f32_f16_e32 v54, v2
.LBB242_128:                            ;   in Loop: Header=BB242_13 Depth=1
	s_or_b64 exec, exec, s[44:45]
	global_load_ushort v2, v[10:11], off offset:1792
	s_mov_b64 s[8:9], 0
                                        ; implicit-def: $sgpr46
	s_waitcnt vmcnt(0)
	v_cmp_gt_i16_sdwa s[42:43], v2, s54 src0_sel:BYTE_0 src1_sel:DWORD
	s_and_saveexec_b64 s[44:45], s[42:43]
	s_xor_b64 s[42:43], exec, s[44:45]
	s_cbranch_execnz .LBB242_258
; %bb.129:                              ;   in Loop: Header=BB242_13 Depth=1
	s_or_saveexec_b64 s[42:43], s[42:43]
	v_mov_b32_e32 v55, s46
	s_xor_b64 exec, exec, s[42:43]
	s_cbranch_execnz .LBB242_261
.LBB242_130:                            ;   in Loop: Header=BB242_13 Depth=1
	s_or_b64 exec, exec, s[42:43]
	v_and_b32_e32 v2, 0xffff, v2
	s_and_saveexec_b64 s[42:43], s[8:9]
	s_cbranch_execz .LBB242_132
.LBB242_131:                            ;   in Loop: Header=BB242_13 Depth=1
	v_and_b32_e32 v55, 7, v2
	v_ffbh_u32_e32 v56, v55
	v_min_u32_e32 v59, 32, v56
	v_subrev_u32_e32 v56, 28, v59
	v_bfe_u32 v58, v2, 3, 4
	v_lshlrev_b64 v[56:57], v56, v[2:3]
	v_sub_u32_e32 v57, 29, v59
	v_cmp_eq_u32_e64 s[8:9], 0, v58
	v_and_b32_e32 v56, 7, v56
	s_nop 0
	v_cndmask_b32_e64 v57, v58, v57, s[8:9]
	v_cndmask_b32_e64 v55, v55, v56, s[8:9]
	v_lshlrev_b32_e32 v56, 8, v2
	v_lshl_add_u32 v57, v57, 10, v23
	v_and_or_b32 v56, v56, s56, v57
	v_lshl_or_b32 v55, v55, 7, v56
	v_cvt_f32_f16_e32 v55, v55
.LBB242_132:                            ;   in Loop: Header=BB242_13 Depth=1
	s_or_b64 exec, exec, s[42:43]
	v_lshrrev_b16_e32 v2, 8, v2
	v_cmp_lt_i16_e64 s[8:9], s54, v2
	s_mov_b64 s[42:43], 0
                                        ; implicit-def: $sgpr57
	s_and_saveexec_b64 s[44:45], s[8:9]
	s_xor_b64 s[44:45], exec, s[44:45]
	s_cbranch_execnz .LBB242_262
; %bb.133:                              ;   in Loop: Header=BB242_13 Depth=1
	s_or_saveexec_b64 s[44:45], s[44:45]
	v_mov_b32_e32 v56, s57
	s_xor_b64 exec, exec, s[44:45]
	s_cbranch_execnz .LBB242_265
.LBB242_134:                            ;   in Loop: Header=BB242_13 Depth=1
	s_or_b64 exec, exec, s[44:45]
	s_and_saveexec_b64 s[44:45], s[42:43]
	s_cbranch_execz .LBB242_136
.LBB242_135:                            ;   in Loop: Header=BB242_13 Depth=1
	v_and_b32_e32 v58, 7, v2
	v_ffbh_u32_e32 v56, v58
	v_min_u32_e32 v60, 32, v56
	v_subrev_u32_e32 v56, 28, v60
	v_bfe_u32 v59, v2, 3, 4
	v_lshlrev_b64 v[56:57], v56, v[2:3]
	v_sub_u32_e32 v57, 29, v60
	v_cmp_eq_u32_e64 s[8:9], 0, v59
	v_and_b32_e32 v56, 7, v56
	v_lshlrev_b32_e32 v2, 8, v2
	v_cndmask_b32_e64 v57, v59, v57, s[8:9]
	v_lshl_add_u32 v57, v57, 10, v23
	v_cndmask_b32_e64 v56, v58, v56, s[8:9]
	v_and_or_b32 v2, v2, s56, v57
	v_lshl_or_b32 v2, v56, 7, v2
	v_cvt_f32_f16_e32 v56, v2
.LBB242_136:                            ;   in Loop: Header=BB242_13 Depth=1
	s_or_b64 exec, exec, s[44:45]
	global_load_ushort v2, v[10:11], off offset:1800
	s_mov_b64 s[8:9], 0
                                        ; implicit-def: $sgpr46
	s_waitcnt vmcnt(0)
	v_cmp_gt_i16_sdwa s[42:43], v2, s54 src0_sel:BYTE_0 src1_sel:DWORD
	s_and_saveexec_b64 s[44:45], s[42:43]
	s_xor_b64 s[42:43], exec, s[44:45]
	s_cbranch_execnz .LBB242_266
; %bb.137:                              ;   in Loop: Header=BB242_13 Depth=1
	s_or_saveexec_b64 s[42:43], s[42:43]
	v_mov_b32_e32 v10, s46
	s_xor_b64 exec, exec, s[42:43]
	s_cbranch_execnz .LBB242_269
.LBB242_138:                            ;   in Loop: Header=BB242_13 Depth=1
	s_or_b64 exec, exec, s[42:43]
	v_and_b32_e32 v2, 0xffff, v2
	s_and_saveexec_b64 s[42:43], s[8:9]
	s_cbranch_execz .LBB242_140
.LBB242_139:                            ;   in Loop: Header=BB242_13 Depth=1
	v_and_b32_e32 v57, 7, v2
	v_ffbh_u32_e32 v10, v57
	v_min_u32_e32 v59, 32, v10
	v_subrev_u32_e32 v10, 28, v59
	v_bfe_u32 v58, v2, 3, 4
	v_lshlrev_b64 v[10:11], v10, v[2:3]
	v_sub_u32_e32 v11, 29, v59
	v_cmp_eq_u32_e64 s[8:9], 0, v58
	v_and_b32_e32 v10, 7, v10
	s_nop 0
	v_cndmask_b32_e64 v11, v58, v11, s[8:9]
	v_cndmask_b32_e64 v10, v57, v10, s[8:9]
	v_lshlrev_b32_e32 v57, 8, v2
	v_lshl_add_u32 v11, v11, 10, v23
	v_and_or_b32 v11, v57, s56, v11
	v_lshl_or_b32 v10, v10, 7, v11
	v_cvt_f32_f16_e32 v10, v10
.LBB242_140:                            ;   in Loop: Header=BB242_13 Depth=1
	s_or_b64 exec, exec, s[42:43]
	v_lshrrev_b16_e32 v2, 8, v2
	v_cmp_lt_i16_e64 s[8:9], s54, v2
	s_mov_b64 s[42:43], 0
                                        ; implicit-def: $sgpr57
	s_and_saveexec_b64 s[44:45], s[8:9]
	s_xor_b64 s[44:45], exec, s[44:45]
	s_cbranch_execnz .LBB242_270
; %bb.141:                              ;   in Loop: Header=BB242_13 Depth=1
	s_or_saveexec_b64 s[44:45], s[44:45]
	v_mov_b32_e32 v11, s57
	s_xor_b64 exec, exec, s[44:45]
	s_cbranch_execnz .LBB242_273
.LBB242_142:                            ;   in Loop: Header=BB242_13 Depth=1
	s_or_b64 exec, exec, s[44:45]
	s_and_saveexec_b64 s[44:45], s[42:43]
	s_cbranch_execz .LBB242_144
.LBB242_143:                            ;   in Loop: Header=BB242_13 Depth=1
	v_and_b32_e32 v11, 7, v2
	v_ffbh_u32_e32 v58, v11
	v_min_u32_e32 v60, 32, v58
	v_subrev_u32_e32 v58, 28, v60
	v_bfe_u32 v57, v2, 3, 4
	v_lshlrev_b64 v[58:59], v58, v[2:3]
	v_sub_u32_e32 v59, 29, v60
	v_cmp_eq_u32_e64 s[8:9], 0, v57
	v_and_b32_e32 v58, 7, v58
	v_lshlrev_b32_e32 v2, 8, v2
	v_cndmask_b32_e64 v57, v57, v59, s[8:9]
	v_lshl_add_u32 v57, v57, 10, v23
	v_cndmask_b32_e64 v11, v11, v58, s[8:9]
	v_and_or_b32 v2, v2, s56, v57
	v_lshl_or_b32 v2, v11, 7, v2
	v_cvt_f32_f16_e32 v11, v2
.LBB242_144:                            ;   in Loop: Header=BB242_13 Depth=1
	s_or_b64 exec, exec, s[44:45]
	ds_read_b32 v2, v16
	v_fma_mixlo_f16 v27, v26, v27, 0
	v_fma_mixlo_f16 v28, v26, v28, 0
	v_and_b32_e32 v27, 0xffff, v27
	v_and_b32_e32 v28, 0xffff, v28
	s_waitcnt lgkmcnt(0)
	v_lshrrev_b32_e32 v57, 16, v2
	v_and_b32_e32 v2, 0xffff, v2
	;;#ASMSTART
	v_cvt_f32_f16 v2, v2;
	;;#ASMEND
	;;#ASMSTART
	v_cvt_f32_f16 v57, v57;
	;;#ASMEND
	;;#ASMSTART
	v_cvt_f32_f16 v27, v27;
	;;#ASMEND
	;;#ASMSTART
	v_cvt_f32_f16 v28, v28;
	;;#ASMEND
	ds_read_b32 v58, v16 offset:4
	v_fma_mixlo_f16 v29, v26, v29, 0
	v_fma_mixlo_f16 v30, v26, v30, 0
	v_and_b32_e32 v29, 0xffff, v29
	v_and_b32_e32 v30, 0xffff, v30
	s_waitcnt lgkmcnt(0)
	v_lshrrev_b32_e32 v59, 16, v58
	v_and_b32_e32 v58, 0xffff, v58
	;;#ASMSTART
	v_cvt_f32_f16 v58, v58;
	;;#ASMEND
	;;#ASMSTART
	v_cvt_f32_f16 v59, v59;
	;;#ASMEND
	;;#ASMSTART
	v_cvt_f32_f16 v29, v29;
	;;#ASMEND
	;;#ASMSTART
	v_cvt_f32_f16 v30, v30;
	;;#ASMEND
	ds_read_b32 v60, v16 offset:8
	;; [unrolled: 20-line block ×8, first 2 shown]
	v_fma_mixlo_f16 v55, v26, v55, 0
	v_fma_mixlo_f16 v56, v26, v56, 0
	;; [unrolled: 1-line block ×16, first 2 shown]
	v_mul_f32_e32 v26, v58, v29
	v_fmac_f32_e32 v26, v2, v27
	s_waitcnt lgkmcnt(0)
	v_lshrrev_b32_e32 v2, 16, v72
	v_and_b32_e32 v27, 0xffff, v72
	v_and_b32_e32 v29, 0xffff, v43
	;; [unrolled: 1-line block ×3, first 2 shown]
	;;#ASMSTART
	v_cvt_f32_f16 v27, v27;
	;;#ASMEND
	;;#ASMSTART
	v_cvt_f32_f16 v2, v2;
	;;#ASMEND
	;; [unrolled: 3-line block ×4, first 2 shown]
	ds_read_b32 v44, v16 offset:36
	v_mul_f32_e32 v30, v59, v30
	v_fmac_f32_e32 v30, v57, v28
	v_fmac_f32_e32 v26, v60, v31
	v_fmac_f32_e32 v30, v61, v32
	s_waitcnt lgkmcnt(0)
	v_lshrrev_b32_e32 v28, 16, v44
	v_and_b32_e32 v31, 0xffff, v44
	v_and_b32_e32 v32, 0xffff, v45
	v_and_b32_e32 v44, 0xffff, v46
	;;#ASMSTART
	v_cvt_f32_f16 v31, v31;
	;;#ASMEND
	;;#ASMSTART
	v_cvt_f32_f16 v28, v28;
	;;#ASMEND
	;;#ASMSTART
	v_cvt_f32_f16 v32, v32;
	;;#ASMEND
	;;#ASMSTART
	v_cvt_f32_f16 v44, v44;
	;;#ASMEND
	ds_read_b32 v45, v16 offset:40
	v_fmac_f32_e32 v26, v62, v33
	v_fmac_f32_e32 v30, v63, v34
	v_fmac_f32_e32 v26, v64, v35
	v_fmac_f32_e32 v30, v65, v36
	s_waitcnt lgkmcnt(0)
	v_lshrrev_b32_e32 v33, 16, v45
	v_and_b32_e32 v34, 0xffff, v45
	v_and_b32_e32 v35, 0xffff, v47
	v_and_b32_e32 v36, 0xffff, v48
	;;#ASMSTART
	v_cvt_f32_f16 v34, v34;
	;;#ASMEND
	;;#ASMSTART
	v_cvt_f32_f16 v33, v33;
	;;#ASMEND
	;;#ASMSTART
	v_cvt_f32_f16 v35, v35;
	;;#ASMEND
	;;#ASMSTART
	v_cvt_f32_f16 v36, v36;
	;;#ASMEND
	ds_read_b32 v45, v16 offset:44
	v_fmac_f32_e32 v26, v66, v37
	;; [unrolled: 22-line block ×4, first 2 shown]
	v_fmac_f32_e32 v26, v31, v32
	v_fmac_f32_e32 v30, v33, v36
	v_and_b32_e32 v32, 0xffff, v53
	s_waitcnt lgkmcnt(0)
	v_lshrrev_b32_e32 v28, 16, v42
	v_and_b32_e32 v31, 0xffff, v42
	v_and_b32_e32 v33, 0xffff, v54
	v_fmac_f32_e32 v26, v34, v35
	;;#ASMSTART
	v_cvt_f32_f16 v31, v31;
	;;#ASMEND
	;;#ASMSTART
	v_cvt_f32_f16 v28, v28;
	;;#ASMEND
	;;#ASMSTART
	v_cvt_f32_f16 v32, v32;
	;;#ASMEND
	;;#ASMSTART
	v_cvt_f32_f16 v33, v33;
	;;#ASMEND
	ds_read_b32 v34, v16 offset:56
	v_fmac_f32_e32 v26, v38, v39
	v_fmac_f32_e32 v30, v37, v40
	;; [unrolled: 1-line block ×4, first 2 shown]
	s_waitcnt lgkmcnt(0)
	v_lshrrev_b32_e32 v2, 16, v34
	v_and_b32_e32 v27, 0xffff, v34
	v_and_b32_e32 v29, 0xffff, v55
	;; [unrolled: 1-line block ×3, first 2 shown]
	;;#ASMSTART
	v_cvt_f32_f16 v27, v27;
	;;#ASMEND
	;;#ASMSTART
	v_cvt_f32_f16 v2, v2;
	;;#ASMEND
	;;#ASMSTART
	v_cvt_f32_f16 v29, v29;
	;;#ASMEND
	;;#ASMSTART
	v_cvt_f32_f16 v34, v34;
	;;#ASMEND
	ds_read_b32 v35, v16 offset:60
	v_fmac_f32_e32 v26, v31, v32
	v_fmac_f32_e32 v30, v28, v33
	;; [unrolled: 1-line block ×4, first 2 shown]
	s_waitcnt lgkmcnt(0)
	v_lshrrev_b32_e32 v2, 16, v35
	v_and_b32_e32 v27, 0xffff, v35
	v_and_b32_e32 v10, 0xffff, v10
	;;#ASMSTART
	v_cvt_f32_f16 v27, v27;
	;;#ASMEND
	;;#ASMSTART
	v_cvt_f32_f16 v2, v2;
	;;#ASMEND
	;; [unrolled: 3-line block ×3, first 2 shown]
	v_and_b32_e32 v11, 0xffff, v11
	;;#ASMSTART
	v_cvt_f32_f16 v11, v11;
	;;#ASMEND
	v_fmac_f32_e32 v26, v27, v10
	v_and_b32_e32 v10, 64, v24
	v_fmac_f32_e32 v30, v2, v11
	v_add_u32_e32 v10, 64, v10
	v_xor_b32_e32 v11, 2, v24
	v_cmp_lt_i32_e64 s[8:9], v11, v10
	v_add_f32_e32 v2, v26, v30
	s_nop 0
	v_cndmask_b32_e64 v11, v24, v11, s[8:9]
	v_lshlrev_b32_e32 v11, 2, v11
	ds_bpermute_b32 v11, v11, v2
	s_waitcnt lgkmcnt(0)
	v_add_f32_e32 v2, v2, v11
	v_xor_b32_e32 v11, 1, v24
	v_cmp_lt_i32_e64 s[8:9], v11, v10
	s_nop 1
	v_cndmask_b32_e64 v10, v24, v11, s[8:9]
	v_lshlrev_b32_e32 v10, 2, v10
	ds_bpermute_b32 v10, v10, v2
	s_and_saveexec_b64 s[42:43], vcc
	s_cbranch_execz .LBB242_11
; %bb.145:                              ;   in Loop: Header=BB242_13 Depth=1
	v_add_u32_e32 v11, v21, v19
	v_cvt_f32_i32_e32 v11, v11
	s_waitcnt lgkmcnt(0)
	v_add_f32_e32 v2, v2, v10
	v_add_u32_e32 v26, v14, v19
	v_cmp_gt_i32_e64 s[8:9], s25, v26
	v_mul_f32_e32 v10, s50, v11
	v_cndmask_b32_e64 v10, 0, v10, s[0:1]
	v_fmac_f32_e32 v10, s39, v2
	v_cndmask_b32_e64 v2, 0, v10, s[8:9]
	ds_write_b32 v20, v2
	v_max_f32_e32 v2, v17, v17
	v_max_f32_e32 v2, v2, v10
	v_cndmask_b32_e64 v17, v17, v2, s[8:9]
	s_branch .LBB242_11
.LBB242_146:                            ;   in Loop: Header=BB242_13 Depth=1
	v_cmp_eq_u16_sdwa s[58:59], v2, s55 src0_sel:BYTE_0 src1_sel:DWORD
	s_mov_b64 s[8:9], -1
                                        ; implicit-def: $sgpr46
	s_and_saveexec_b64 s[44:45], s[58:59]
; %bb.147:                              ;   in Loop: Header=BB242_13 Depth=1
	s_mov_b32 s46, 0x7fc02000
	s_xor_b64 s[8:9], exec, -1
; %bb.148:                              ;   in Loop: Header=BB242_13 Depth=1
	s_or_b64 exec, exec, s[44:45]
	s_and_b64 s[8:9], s[8:9], exec
	s_or_saveexec_b64 s[42:43], s[42:43]
	v_mov_b32_e32 v27, s46
	s_xor_b64 exec, exec, s[42:43]
	s_cbranch_execz .LBB242_18
.LBB242_149:                            ;   in Loop: Header=BB242_13 Depth=1
	v_cmp_ne_u16_sdwa s[44:45], v2, v3 src0_sel:BYTE_0 src1_sel:DWORD
	s_andn2_b64 s[8:9], s[8:9], exec
	s_and_b64 s[44:45], s[44:45], exec
	v_mov_b32_e32 v27, 0
	s_or_b64 s[8:9], s[8:9], s[44:45]
	s_or_b64 exec, exec, s[42:43]
	v_and_b32_e32 v2, 0xffff, v2
	s_and_saveexec_b64 s[42:43], s[8:9]
	s_cbranch_execnz .LBB242_19
	s_branch .LBB242_20
.LBB242_150:                            ;   in Loop: Header=BB242_13 Depth=1
	v_cmp_eq_u16_e64 s[8:9], s55, v2
	s_mov_b64 s[42:43], -1
                                        ; implicit-def: $sgpr57
	s_and_saveexec_b64 s[46:47], s[8:9]
; %bb.151:                              ;   in Loop: Header=BB242_13 Depth=1
	s_mov_b32 s57, 0x7fc02000
	s_xor_b64 s[42:43], exec, -1
; %bb.152:                              ;   in Loop: Header=BB242_13 Depth=1
	s_or_b64 exec, exec, s[46:47]
	s_and_b64 s[42:43], s[42:43], exec
	s_or_saveexec_b64 s[44:45], s[44:45]
	v_mov_b32_e32 v28, s57
	s_xor_b64 exec, exec, s[44:45]
	s_cbranch_execz .LBB242_22
.LBB242_153:                            ;   in Loop: Header=BB242_13 Depth=1
	v_cmp_ne_u16_e64 s[8:9], 0, v2
	s_andn2_b64 s[42:43], s[42:43], exec
	s_and_b64 s[8:9], s[8:9], exec
	v_mov_b32_e32 v28, 0
	s_or_b64 s[42:43], s[42:43], s[8:9]
	s_or_b64 exec, exec, s[44:45]
	s_and_saveexec_b64 s[44:45], s[42:43]
	s_cbranch_execnz .LBB242_23
	s_branch .LBB242_24
.LBB242_154:                            ;   in Loop: Header=BB242_13 Depth=1
	v_cmp_eq_u16_sdwa s[58:59], v2, s55 src0_sel:BYTE_0 src1_sel:DWORD
	s_mov_b64 s[8:9], -1
                                        ; implicit-def: $sgpr46
	s_and_saveexec_b64 s[44:45], s[58:59]
; %bb.155:                              ;   in Loop: Header=BB242_13 Depth=1
	s_mov_b32 s46, 0x7fc02000
	s_xor_b64 s[8:9], exec, -1
; %bb.156:                              ;   in Loop: Header=BB242_13 Depth=1
	s_or_b64 exec, exec, s[44:45]
	s_and_b64 s[8:9], s[8:9], exec
	s_or_saveexec_b64 s[42:43], s[42:43]
	v_mov_b32_e32 v29, s46
	s_xor_b64 exec, exec, s[42:43]
	s_cbranch_execz .LBB242_26
.LBB242_157:                            ;   in Loop: Header=BB242_13 Depth=1
	v_cmp_ne_u16_sdwa s[44:45], v2, v3 src0_sel:BYTE_0 src1_sel:DWORD
	s_andn2_b64 s[8:9], s[8:9], exec
	s_and_b64 s[44:45], s[44:45], exec
	v_mov_b32_e32 v29, 0
	s_or_b64 s[8:9], s[8:9], s[44:45]
	s_or_b64 exec, exec, s[42:43]
	v_and_b32_e32 v2, 0xffff, v2
	s_and_saveexec_b64 s[42:43], s[8:9]
	s_cbranch_execnz .LBB242_27
	s_branch .LBB242_28
.LBB242_158:                            ;   in Loop: Header=BB242_13 Depth=1
	v_cmp_eq_u16_e64 s[8:9], s55, v2
	s_mov_b64 s[42:43], -1
                                        ; implicit-def: $sgpr57
	s_and_saveexec_b64 s[46:47], s[8:9]
; %bb.159:                              ;   in Loop: Header=BB242_13 Depth=1
	s_mov_b32 s57, 0x7fc02000
	s_xor_b64 s[42:43], exec, -1
; %bb.160:                              ;   in Loop: Header=BB242_13 Depth=1
	s_or_b64 exec, exec, s[46:47]
	s_and_b64 s[42:43], s[42:43], exec
	s_or_saveexec_b64 s[44:45], s[44:45]
	v_mov_b32_e32 v30, s57
	s_xor_b64 exec, exec, s[44:45]
	s_cbranch_execz .LBB242_30
.LBB242_161:                            ;   in Loop: Header=BB242_13 Depth=1
	v_cmp_ne_u16_e64 s[8:9], 0, v2
	s_andn2_b64 s[42:43], s[42:43], exec
	s_and_b64 s[8:9], s[8:9], exec
	v_mov_b32_e32 v30, 0
	s_or_b64 s[42:43], s[42:43], s[8:9]
	s_or_b64 exec, exec, s[44:45]
	s_and_saveexec_b64 s[44:45], s[42:43]
	s_cbranch_execnz .LBB242_31
	s_branch .LBB242_32
.LBB242_162:                            ;   in Loop: Header=BB242_13 Depth=1
	v_cmp_eq_u16_sdwa s[58:59], v2, s55 src0_sel:BYTE_0 src1_sel:DWORD
	s_mov_b64 s[8:9], -1
                                        ; implicit-def: $sgpr46
	s_and_saveexec_b64 s[44:45], s[58:59]
; %bb.163:                              ;   in Loop: Header=BB242_13 Depth=1
	s_mov_b32 s46, 0x7fc02000
	s_xor_b64 s[8:9], exec, -1
; %bb.164:                              ;   in Loop: Header=BB242_13 Depth=1
	s_or_b64 exec, exec, s[44:45]
	s_and_b64 s[8:9], s[8:9], exec
	s_or_saveexec_b64 s[42:43], s[42:43]
	v_mov_b32_e32 v31, s46
	s_xor_b64 exec, exec, s[42:43]
	s_cbranch_execz .LBB242_34
.LBB242_165:                            ;   in Loop: Header=BB242_13 Depth=1
	v_cmp_ne_u16_sdwa s[44:45], v2, v3 src0_sel:BYTE_0 src1_sel:DWORD
	s_andn2_b64 s[8:9], s[8:9], exec
	s_and_b64 s[44:45], s[44:45], exec
	v_mov_b32_e32 v31, 0
	s_or_b64 s[8:9], s[8:9], s[44:45]
	s_or_b64 exec, exec, s[42:43]
	v_and_b32_e32 v2, 0xffff, v2
	s_and_saveexec_b64 s[42:43], s[8:9]
	s_cbranch_execnz .LBB242_35
	s_branch .LBB242_36
.LBB242_166:                            ;   in Loop: Header=BB242_13 Depth=1
	v_cmp_eq_u16_e64 s[8:9], s55, v2
	s_mov_b64 s[42:43], -1
                                        ; implicit-def: $sgpr57
	s_and_saveexec_b64 s[46:47], s[8:9]
; %bb.167:                              ;   in Loop: Header=BB242_13 Depth=1
	s_mov_b32 s57, 0x7fc02000
	s_xor_b64 s[42:43], exec, -1
; %bb.168:                              ;   in Loop: Header=BB242_13 Depth=1
	s_or_b64 exec, exec, s[46:47]
	s_and_b64 s[42:43], s[42:43], exec
	s_or_saveexec_b64 s[44:45], s[44:45]
	v_mov_b32_e32 v32, s57
	s_xor_b64 exec, exec, s[44:45]
	s_cbranch_execz .LBB242_38
.LBB242_169:                            ;   in Loop: Header=BB242_13 Depth=1
	v_cmp_ne_u16_e64 s[8:9], 0, v2
	s_andn2_b64 s[42:43], s[42:43], exec
	s_and_b64 s[8:9], s[8:9], exec
	v_mov_b32_e32 v32, 0
	s_or_b64 s[42:43], s[42:43], s[8:9]
	s_or_b64 exec, exec, s[44:45]
	s_and_saveexec_b64 s[44:45], s[42:43]
	s_cbranch_execnz .LBB242_39
	s_branch .LBB242_40
.LBB242_170:                            ;   in Loop: Header=BB242_13 Depth=1
	v_cmp_eq_u16_sdwa s[58:59], v2, s55 src0_sel:BYTE_0 src1_sel:DWORD
	s_mov_b64 s[8:9], -1
                                        ; implicit-def: $sgpr46
	s_and_saveexec_b64 s[44:45], s[58:59]
; %bb.171:                              ;   in Loop: Header=BB242_13 Depth=1
	s_mov_b32 s46, 0x7fc02000
	s_xor_b64 s[8:9], exec, -1
; %bb.172:                              ;   in Loop: Header=BB242_13 Depth=1
	s_or_b64 exec, exec, s[44:45]
	s_and_b64 s[8:9], s[8:9], exec
	s_or_saveexec_b64 s[42:43], s[42:43]
	v_mov_b32_e32 v33, s46
	s_xor_b64 exec, exec, s[42:43]
	s_cbranch_execz .LBB242_42
.LBB242_173:                            ;   in Loop: Header=BB242_13 Depth=1
	v_cmp_ne_u16_sdwa s[44:45], v2, v3 src0_sel:BYTE_0 src1_sel:DWORD
	s_andn2_b64 s[8:9], s[8:9], exec
	s_and_b64 s[44:45], s[44:45], exec
	v_mov_b32_e32 v33, 0
	s_or_b64 s[8:9], s[8:9], s[44:45]
	s_or_b64 exec, exec, s[42:43]
	v_and_b32_e32 v2, 0xffff, v2
	s_and_saveexec_b64 s[42:43], s[8:9]
	s_cbranch_execnz .LBB242_43
	s_branch .LBB242_44
.LBB242_174:                            ;   in Loop: Header=BB242_13 Depth=1
	v_cmp_eq_u16_e64 s[8:9], s55, v2
	s_mov_b64 s[42:43], -1
                                        ; implicit-def: $sgpr57
	s_and_saveexec_b64 s[46:47], s[8:9]
; %bb.175:                              ;   in Loop: Header=BB242_13 Depth=1
	s_mov_b32 s57, 0x7fc02000
	s_xor_b64 s[42:43], exec, -1
; %bb.176:                              ;   in Loop: Header=BB242_13 Depth=1
	s_or_b64 exec, exec, s[46:47]
	s_and_b64 s[42:43], s[42:43], exec
	s_or_saveexec_b64 s[44:45], s[44:45]
	v_mov_b32_e32 v34, s57
	s_xor_b64 exec, exec, s[44:45]
	s_cbranch_execz .LBB242_46
.LBB242_177:                            ;   in Loop: Header=BB242_13 Depth=1
	v_cmp_ne_u16_e64 s[8:9], 0, v2
	s_andn2_b64 s[42:43], s[42:43], exec
	s_and_b64 s[8:9], s[8:9], exec
	v_mov_b32_e32 v34, 0
	s_or_b64 s[42:43], s[42:43], s[8:9]
	s_or_b64 exec, exec, s[44:45]
	s_and_saveexec_b64 s[44:45], s[42:43]
	s_cbranch_execnz .LBB242_47
	s_branch .LBB242_48
.LBB242_178:                            ;   in Loop: Header=BB242_13 Depth=1
	v_cmp_eq_u16_sdwa s[58:59], v2, s55 src0_sel:BYTE_0 src1_sel:DWORD
	s_mov_b64 s[8:9], -1
                                        ; implicit-def: $sgpr46
	s_and_saveexec_b64 s[44:45], s[58:59]
; %bb.179:                              ;   in Loop: Header=BB242_13 Depth=1
	s_mov_b32 s46, 0x7fc02000
	s_xor_b64 s[8:9], exec, -1
; %bb.180:                              ;   in Loop: Header=BB242_13 Depth=1
	s_or_b64 exec, exec, s[44:45]
	s_and_b64 s[8:9], s[8:9], exec
	s_or_saveexec_b64 s[42:43], s[42:43]
	v_mov_b32_e32 v35, s46
	s_xor_b64 exec, exec, s[42:43]
	s_cbranch_execz .LBB242_50
.LBB242_181:                            ;   in Loop: Header=BB242_13 Depth=1
	v_cmp_ne_u16_sdwa s[44:45], v2, v3 src0_sel:BYTE_0 src1_sel:DWORD
	s_andn2_b64 s[8:9], s[8:9], exec
	s_and_b64 s[44:45], s[44:45], exec
	v_mov_b32_e32 v35, 0
	s_or_b64 s[8:9], s[8:9], s[44:45]
	s_or_b64 exec, exec, s[42:43]
	v_and_b32_e32 v2, 0xffff, v2
	s_and_saveexec_b64 s[42:43], s[8:9]
	s_cbranch_execnz .LBB242_51
	s_branch .LBB242_52
.LBB242_182:                            ;   in Loop: Header=BB242_13 Depth=1
	v_cmp_eq_u16_e64 s[8:9], s55, v2
	s_mov_b64 s[42:43], -1
                                        ; implicit-def: $sgpr57
	s_and_saveexec_b64 s[46:47], s[8:9]
; %bb.183:                              ;   in Loop: Header=BB242_13 Depth=1
	s_mov_b32 s57, 0x7fc02000
	s_xor_b64 s[42:43], exec, -1
; %bb.184:                              ;   in Loop: Header=BB242_13 Depth=1
	s_or_b64 exec, exec, s[46:47]
	s_and_b64 s[42:43], s[42:43], exec
	s_or_saveexec_b64 s[44:45], s[44:45]
	v_mov_b32_e32 v36, s57
	s_xor_b64 exec, exec, s[44:45]
	s_cbranch_execz .LBB242_54
.LBB242_185:                            ;   in Loop: Header=BB242_13 Depth=1
	v_cmp_ne_u16_e64 s[8:9], 0, v2
	s_andn2_b64 s[42:43], s[42:43], exec
	s_and_b64 s[8:9], s[8:9], exec
	v_mov_b32_e32 v36, 0
	s_or_b64 s[42:43], s[42:43], s[8:9]
	s_or_b64 exec, exec, s[44:45]
	s_and_saveexec_b64 s[44:45], s[42:43]
	s_cbranch_execnz .LBB242_55
	s_branch .LBB242_56
.LBB242_186:                            ;   in Loop: Header=BB242_13 Depth=1
	v_cmp_eq_u16_sdwa s[58:59], v2, s55 src0_sel:BYTE_0 src1_sel:DWORD
	s_mov_b64 s[8:9], -1
                                        ; implicit-def: $sgpr46
	s_and_saveexec_b64 s[44:45], s[58:59]
; %bb.187:                              ;   in Loop: Header=BB242_13 Depth=1
	s_mov_b32 s46, 0x7fc02000
	s_xor_b64 s[8:9], exec, -1
; %bb.188:                              ;   in Loop: Header=BB242_13 Depth=1
	s_or_b64 exec, exec, s[44:45]
	s_and_b64 s[8:9], s[8:9], exec
	s_or_saveexec_b64 s[42:43], s[42:43]
	v_mov_b32_e32 v37, s46
	s_xor_b64 exec, exec, s[42:43]
	s_cbranch_execz .LBB242_58
.LBB242_189:                            ;   in Loop: Header=BB242_13 Depth=1
	v_cmp_ne_u16_sdwa s[44:45], v2, v3 src0_sel:BYTE_0 src1_sel:DWORD
	s_andn2_b64 s[8:9], s[8:9], exec
	s_and_b64 s[44:45], s[44:45], exec
	v_mov_b32_e32 v37, 0
	s_or_b64 s[8:9], s[8:9], s[44:45]
	s_or_b64 exec, exec, s[42:43]
	v_and_b32_e32 v2, 0xffff, v2
	s_and_saveexec_b64 s[42:43], s[8:9]
	s_cbranch_execnz .LBB242_59
	s_branch .LBB242_60
.LBB242_190:                            ;   in Loop: Header=BB242_13 Depth=1
	v_cmp_eq_u16_e64 s[8:9], s55, v2
	s_mov_b64 s[42:43], -1
                                        ; implicit-def: $sgpr57
	s_and_saveexec_b64 s[46:47], s[8:9]
; %bb.191:                              ;   in Loop: Header=BB242_13 Depth=1
	s_mov_b32 s57, 0x7fc02000
	s_xor_b64 s[42:43], exec, -1
; %bb.192:                              ;   in Loop: Header=BB242_13 Depth=1
	s_or_b64 exec, exec, s[46:47]
	s_and_b64 s[42:43], s[42:43], exec
	s_or_saveexec_b64 s[44:45], s[44:45]
	v_mov_b32_e32 v38, s57
	s_xor_b64 exec, exec, s[44:45]
	s_cbranch_execz .LBB242_62
.LBB242_193:                            ;   in Loop: Header=BB242_13 Depth=1
	v_cmp_ne_u16_e64 s[8:9], 0, v2
	s_andn2_b64 s[42:43], s[42:43], exec
	s_and_b64 s[8:9], s[8:9], exec
	v_mov_b32_e32 v38, 0
	s_or_b64 s[42:43], s[42:43], s[8:9]
	s_or_b64 exec, exec, s[44:45]
	s_and_saveexec_b64 s[44:45], s[42:43]
	s_cbranch_execnz .LBB242_63
	s_branch .LBB242_64
.LBB242_194:                            ;   in Loop: Header=BB242_13 Depth=1
	v_cmp_eq_u16_sdwa s[58:59], v2, s55 src0_sel:BYTE_0 src1_sel:DWORD
	s_mov_b64 s[8:9], -1
                                        ; implicit-def: $sgpr46
	s_and_saveexec_b64 s[44:45], s[58:59]
; %bb.195:                              ;   in Loop: Header=BB242_13 Depth=1
	s_mov_b32 s46, 0x7fc02000
	s_xor_b64 s[8:9], exec, -1
; %bb.196:                              ;   in Loop: Header=BB242_13 Depth=1
	s_or_b64 exec, exec, s[44:45]
	s_and_b64 s[8:9], s[8:9], exec
	s_or_saveexec_b64 s[42:43], s[42:43]
	v_mov_b32_e32 v39, s46
	s_xor_b64 exec, exec, s[42:43]
	s_cbranch_execz .LBB242_66
.LBB242_197:                            ;   in Loop: Header=BB242_13 Depth=1
	v_cmp_ne_u16_sdwa s[44:45], v2, v3 src0_sel:BYTE_0 src1_sel:DWORD
	s_andn2_b64 s[8:9], s[8:9], exec
	s_and_b64 s[44:45], s[44:45], exec
	v_mov_b32_e32 v39, 0
	s_or_b64 s[8:9], s[8:9], s[44:45]
	s_or_b64 exec, exec, s[42:43]
	v_and_b32_e32 v2, 0xffff, v2
	s_and_saveexec_b64 s[42:43], s[8:9]
	s_cbranch_execnz .LBB242_67
	s_branch .LBB242_68
.LBB242_198:                            ;   in Loop: Header=BB242_13 Depth=1
	v_cmp_eq_u16_e64 s[8:9], s55, v2
	s_mov_b64 s[42:43], -1
                                        ; implicit-def: $sgpr57
	s_and_saveexec_b64 s[46:47], s[8:9]
; %bb.199:                              ;   in Loop: Header=BB242_13 Depth=1
	s_mov_b32 s57, 0x7fc02000
	s_xor_b64 s[42:43], exec, -1
; %bb.200:                              ;   in Loop: Header=BB242_13 Depth=1
	s_or_b64 exec, exec, s[46:47]
	s_and_b64 s[42:43], s[42:43], exec
	s_or_saveexec_b64 s[44:45], s[44:45]
	v_mov_b32_e32 v40, s57
	s_xor_b64 exec, exec, s[44:45]
	s_cbranch_execz .LBB242_70
.LBB242_201:                            ;   in Loop: Header=BB242_13 Depth=1
	v_cmp_ne_u16_e64 s[8:9], 0, v2
	s_andn2_b64 s[42:43], s[42:43], exec
	s_and_b64 s[8:9], s[8:9], exec
	v_mov_b32_e32 v40, 0
	s_or_b64 s[42:43], s[42:43], s[8:9]
	s_or_b64 exec, exec, s[44:45]
	s_and_saveexec_b64 s[44:45], s[42:43]
	s_cbranch_execnz .LBB242_71
	s_branch .LBB242_72
.LBB242_202:                            ;   in Loop: Header=BB242_13 Depth=1
	v_cmp_eq_u16_sdwa s[58:59], v2, s55 src0_sel:BYTE_0 src1_sel:DWORD
	s_mov_b64 s[8:9], -1
                                        ; implicit-def: $sgpr46
	s_and_saveexec_b64 s[44:45], s[58:59]
; %bb.203:                              ;   in Loop: Header=BB242_13 Depth=1
	s_mov_b32 s46, 0x7fc02000
	s_xor_b64 s[8:9], exec, -1
; %bb.204:                              ;   in Loop: Header=BB242_13 Depth=1
	s_or_b64 exec, exec, s[44:45]
	s_and_b64 s[8:9], s[8:9], exec
	s_or_saveexec_b64 s[42:43], s[42:43]
	v_mov_b32_e32 v41, s46
	s_xor_b64 exec, exec, s[42:43]
	s_cbranch_execz .LBB242_74
.LBB242_205:                            ;   in Loop: Header=BB242_13 Depth=1
	v_cmp_ne_u16_sdwa s[44:45], v2, v3 src0_sel:BYTE_0 src1_sel:DWORD
	s_andn2_b64 s[8:9], s[8:9], exec
	s_and_b64 s[44:45], s[44:45], exec
	v_mov_b32_e32 v41, 0
	s_or_b64 s[8:9], s[8:9], s[44:45]
	s_or_b64 exec, exec, s[42:43]
	v_and_b32_e32 v2, 0xffff, v2
	s_and_saveexec_b64 s[42:43], s[8:9]
	s_cbranch_execnz .LBB242_75
	s_branch .LBB242_76
.LBB242_206:                            ;   in Loop: Header=BB242_13 Depth=1
	v_cmp_eq_u16_e64 s[8:9], s55, v2
	s_mov_b64 s[42:43], -1
                                        ; implicit-def: $sgpr57
	s_and_saveexec_b64 s[46:47], s[8:9]
; %bb.207:                              ;   in Loop: Header=BB242_13 Depth=1
	s_mov_b32 s57, 0x7fc02000
	s_xor_b64 s[42:43], exec, -1
; %bb.208:                              ;   in Loop: Header=BB242_13 Depth=1
	s_or_b64 exec, exec, s[46:47]
	s_and_b64 s[42:43], s[42:43], exec
	s_or_saveexec_b64 s[44:45], s[44:45]
	v_mov_b32_e32 v42, s57
	s_xor_b64 exec, exec, s[44:45]
	s_cbranch_execz .LBB242_78
.LBB242_209:                            ;   in Loop: Header=BB242_13 Depth=1
	v_cmp_ne_u16_e64 s[8:9], 0, v2
	s_andn2_b64 s[42:43], s[42:43], exec
	s_and_b64 s[8:9], s[8:9], exec
	v_mov_b32_e32 v42, 0
	s_or_b64 s[42:43], s[42:43], s[8:9]
	s_or_b64 exec, exec, s[44:45]
	s_and_saveexec_b64 s[44:45], s[42:43]
	s_cbranch_execnz .LBB242_79
	s_branch .LBB242_80
.LBB242_210:                            ;   in Loop: Header=BB242_13 Depth=1
	v_cmp_eq_u16_sdwa s[58:59], v2, s55 src0_sel:BYTE_0 src1_sel:DWORD
	s_mov_b64 s[8:9], -1
                                        ; implicit-def: $sgpr46
	s_and_saveexec_b64 s[44:45], s[58:59]
; %bb.211:                              ;   in Loop: Header=BB242_13 Depth=1
	s_mov_b32 s46, 0x7fc02000
	s_xor_b64 s[8:9], exec, -1
; %bb.212:                              ;   in Loop: Header=BB242_13 Depth=1
	s_or_b64 exec, exec, s[44:45]
	s_and_b64 s[8:9], s[8:9], exec
	s_or_saveexec_b64 s[42:43], s[42:43]
	v_mov_b32_e32 v43, s46
	s_xor_b64 exec, exec, s[42:43]
	s_cbranch_execz .LBB242_82
.LBB242_213:                            ;   in Loop: Header=BB242_13 Depth=1
	v_cmp_ne_u16_sdwa s[44:45], v2, v3 src0_sel:BYTE_0 src1_sel:DWORD
	s_andn2_b64 s[8:9], s[8:9], exec
	s_and_b64 s[44:45], s[44:45], exec
	v_mov_b32_e32 v43, 0
	s_or_b64 s[8:9], s[8:9], s[44:45]
	s_or_b64 exec, exec, s[42:43]
	v_and_b32_e32 v2, 0xffff, v2
	s_and_saveexec_b64 s[42:43], s[8:9]
	s_cbranch_execnz .LBB242_83
	s_branch .LBB242_84
.LBB242_214:                            ;   in Loop: Header=BB242_13 Depth=1
	v_cmp_eq_u16_e64 s[8:9], s55, v2
	s_mov_b64 s[42:43], -1
                                        ; implicit-def: $sgpr57
	s_and_saveexec_b64 s[46:47], s[8:9]
; %bb.215:                              ;   in Loop: Header=BB242_13 Depth=1
	s_mov_b32 s57, 0x7fc02000
	s_xor_b64 s[42:43], exec, -1
; %bb.216:                              ;   in Loop: Header=BB242_13 Depth=1
	s_or_b64 exec, exec, s[46:47]
	s_and_b64 s[42:43], s[42:43], exec
	s_or_saveexec_b64 s[44:45], s[44:45]
	v_mov_b32_e32 v44, s57
	s_xor_b64 exec, exec, s[44:45]
	s_cbranch_execz .LBB242_86
.LBB242_217:                            ;   in Loop: Header=BB242_13 Depth=1
	v_cmp_ne_u16_e64 s[8:9], 0, v2
	s_andn2_b64 s[42:43], s[42:43], exec
	s_and_b64 s[8:9], s[8:9], exec
	v_mov_b32_e32 v44, 0
	s_or_b64 s[42:43], s[42:43], s[8:9]
	s_or_b64 exec, exec, s[44:45]
	s_and_saveexec_b64 s[44:45], s[42:43]
	s_cbranch_execnz .LBB242_87
	s_branch .LBB242_88
.LBB242_218:                            ;   in Loop: Header=BB242_13 Depth=1
	v_cmp_eq_u16_sdwa s[58:59], v2, s55 src0_sel:BYTE_0 src1_sel:DWORD
	s_mov_b64 s[8:9], -1
                                        ; implicit-def: $sgpr46
	s_and_saveexec_b64 s[44:45], s[58:59]
; %bb.219:                              ;   in Loop: Header=BB242_13 Depth=1
	s_mov_b32 s46, 0x7fc02000
	s_xor_b64 s[8:9], exec, -1
; %bb.220:                              ;   in Loop: Header=BB242_13 Depth=1
	s_or_b64 exec, exec, s[44:45]
	s_and_b64 s[8:9], s[8:9], exec
	s_or_saveexec_b64 s[42:43], s[42:43]
	v_mov_b32_e32 v45, s46
	s_xor_b64 exec, exec, s[42:43]
	s_cbranch_execz .LBB242_90
.LBB242_221:                            ;   in Loop: Header=BB242_13 Depth=1
	v_cmp_ne_u16_sdwa s[44:45], v2, v3 src0_sel:BYTE_0 src1_sel:DWORD
	s_andn2_b64 s[8:9], s[8:9], exec
	s_and_b64 s[44:45], s[44:45], exec
	v_mov_b32_e32 v45, 0
	s_or_b64 s[8:9], s[8:9], s[44:45]
	s_or_b64 exec, exec, s[42:43]
	v_and_b32_e32 v2, 0xffff, v2
	s_and_saveexec_b64 s[42:43], s[8:9]
	s_cbranch_execnz .LBB242_91
	s_branch .LBB242_92
.LBB242_222:                            ;   in Loop: Header=BB242_13 Depth=1
	v_cmp_eq_u16_e64 s[8:9], s55, v2
	s_mov_b64 s[42:43], -1
                                        ; implicit-def: $sgpr57
	s_and_saveexec_b64 s[46:47], s[8:9]
; %bb.223:                              ;   in Loop: Header=BB242_13 Depth=1
	s_mov_b32 s57, 0x7fc02000
	s_xor_b64 s[42:43], exec, -1
; %bb.224:                              ;   in Loop: Header=BB242_13 Depth=1
	s_or_b64 exec, exec, s[46:47]
	s_and_b64 s[42:43], s[42:43], exec
	s_or_saveexec_b64 s[44:45], s[44:45]
	v_mov_b32_e32 v46, s57
	s_xor_b64 exec, exec, s[44:45]
	s_cbranch_execz .LBB242_94
.LBB242_225:                            ;   in Loop: Header=BB242_13 Depth=1
	v_cmp_ne_u16_e64 s[8:9], 0, v2
	s_andn2_b64 s[42:43], s[42:43], exec
	s_and_b64 s[8:9], s[8:9], exec
	v_mov_b32_e32 v46, 0
	s_or_b64 s[42:43], s[42:43], s[8:9]
	s_or_b64 exec, exec, s[44:45]
	s_and_saveexec_b64 s[44:45], s[42:43]
	s_cbranch_execnz .LBB242_95
	s_branch .LBB242_96
.LBB242_226:                            ;   in Loop: Header=BB242_13 Depth=1
	v_cmp_eq_u16_sdwa s[58:59], v2, s55 src0_sel:BYTE_0 src1_sel:DWORD
	s_mov_b64 s[8:9], -1
                                        ; implicit-def: $sgpr46
	s_and_saveexec_b64 s[44:45], s[58:59]
; %bb.227:                              ;   in Loop: Header=BB242_13 Depth=1
	s_mov_b32 s46, 0x7fc02000
	s_xor_b64 s[8:9], exec, -1
; %bb.228:                              ;   in Loop: Header=BB242_13 Depth=1
	s_or_b64 exec, exec, s[44:45]
	s_and_b64 s[8:9], s[8:9], exec
	s_or_saveexec_b64 s[42:43], s[42:43]
	v_mov_b32_e32 v47, s46
	s_xor_b64 exec, exec, s[42:43]
	s_cbranch_execz .LBB242_98
.LBB242_229:                            ;   in Loop: Header=BB242_13 Depth=1
	v_cmp_ne_u16_sdwa s[44:45], v2, v3 src0_sel:BYTE_0 src1_sel:DWORD
	s_andn2_b64 s[8:9], s[8:9], exec
	s_and_b64 s[44:45], s[44:45], exec
	v_mov_b32_e32 v47, 0
	s_or_b64 s[8:9], s[8:9], s[44:45]
	s_or_b64 exec, exec, s[42:43]
	v_and_b32_e32 v2, 0xffff, v2
	s_and_saveexec_b64 s[42:43], s[8:9]
	s_cbranch_execnz .LBB242_99
	s_branch .LBB242_100
.LBB242_230:                            ;   in Loop: Header=BB242_13 Depth=1
	v_cmp_eq_u16_e64 s[8:9], s55, v2
	s_mov_b64 s[42:43], -1
                                        ; implicit-def: $sgpr57
	s_and_saveexec_b64 s[46:47], s[8:9]
; %bb.231:                              ;   in Loop: Header=BB242_13 Depth=1
	s_mov_b32 s57, 0x7fc02000
	s_xor_b64 s[42:43], exec, -1
; %bb.232:                              ;   in Loop: Header=BB242_13 Depth=1
	s_or_b64 exec, exec, s[46:47]
	s_and_b64 s[42:43], s[42:43], exec
	s_or_saveexec_b64 s[44:45], s[44:45]
	v_mov_b32_e32 v48, s57
	s_xor_b64 exec, exec, s[44:45]
	s_cbranch_execz .LBB242_102
.LBB242_233:                            ;   in Loop: Header=BB242_13 Depth=1
	v_cmp_ne_u16_e64 s[8:9], 0, v2
	s_andn2_b64 s[42:43], s[42:43], exec
	s_and_b64 s[8:9], s[8:9], exec
	v_mov_b32_e32 v48, 0
	s_or_b64 s[42:43], s[42:43], s[8:9]
	s_or_b64 exec, exec, s[44:45]
	s_and_saveexec_b64 s[44:45], s[42:43]
	s_cbranch_execnz .LBB242_103
	s_branch .LBB242_104
.LBB242_234:                            ;   in Loop: Header=BB242_13 Depth=1
	v_cmp_eq_u16_sdwa s[58:59], v2, s55 src0_sel:BYTE_0 src1_sel:DWORD
	s_mov_b64 s[8:9], -1
                                        ; implicit-def: $sgpr46
	s_and_saveexec_b64 s[44:45], s[58:59]
; %bb.235:                              ;   in Loop: Header=BB242_13 Depth=1
	s_mov_b32 s46, 0x7fc02000
	s_xor_b64 s[8:9], exec, -1
; %bb.236:                              ;   in Loop: Header=BB242_13 Depth=1
	s_or_b64 exec, exec, s[44:45]
	s_and_b64 s[8:9], s[8:9], exec
	s_or_saveexec_b64 s[42:43], s[42:43]
	v_mov_b32_e32 v49, s46
	s_xor_b64 exec, exec, s[42:43]
	s_cbranch_execz .LBB242_106
.LBB242_237:                            ;   in Loop: Header=BB242_13 Depth=1
	v_cmp_ne_u16_sdwa s[44:45], v2, v3 src0_sel:BYTE_0 src1_sel:DWORD
	s_andn2_b64 s[8:9], s[8:9], exec
	s_and_b64 s[44:45], s[44:45], exec
	v_mov_b32_e32 v49, 0
	s_or_b64 s[8:9], s[8:9], s[44:45]
	s_or_b64 exec, exec, s[42:43]
	v_and_b32_e32 v2, 0xffff, v2
	s_and_saveexec_b64 s[42:43], s[8:9]
	s_cbranch_execnz .LBB242_107
	s_branch .LBB242_108
.LBB242_238:                            ;   in Loop: Header=BB242_13 Depth=1
	v_cmp_eq_u16_e64 s[8:9], s55, v2
	s_mov_b64 s[42:43], -1
                                        ; implicit-def: $sgpr57
	s_and_saveexec_b64 s[46:47], s[8:9]
; %bb.239:                              ;   in Loop: Header=BB242_13 Depth=1
	s_mov_b32 s57, 0x7fc02000
	s_xor_b64 s[42:43], exec, -1
; %bb.240:                              ;   in Loop: Header=BB242_13 Depth=1
	s_or_b64 exec, exec, s[46:47]
	s_and_b64 s[42:43], s[42:43], exec
	s_or_saveexec_b64 s[44:45], s[44:45]
	v_mov_b32_e32 v50, s57
	s_xor_b64 exec, exec, s[44:45]
	s_cbranch_execz .LBB242_110
.LBB242_241:                            ;   in Loop: Header=BB242_13 Depth=1
	v_cmp_ne_u16_e64 s[8:9], 0, v2
	s_andn2_b64 s[42:43], s[42:43], exec
	s_and_b64 s[8:9], s[8:9], exec
	v_mov_b32_e32 v50, 0
	s_or_b64 s[42:43], s[42:43], s[8:9]
	s_or_b64 exec, exec, s[44:45]
	s_and_saveexec_b64 s[44:45], s[42:43]
	s_cbranch_execnz .LBB242_111
	s_branch .LBB242_112
.LBB242_242:                            ;   in Loop: Header=BB242_13 Depth=1
	v_cmp_eq_u16_sdwa s[58:59], v2, s55 src0_sel:BYTE_0 src1_sel:DWORD
	s_mov_b64 s[8:9], -1
                                        ; implicit-def: $sgpr46
	s_and_saveexec_b64 s[44:45], s[58:59]
; %bb.243:                              ;   in Loop: Header=BB242_13 Depth=1
	s_mov_b32 s46, 0x7fc02000
	s_xor_b64 s[8:9], exec, -1
; %bb.244:                              ;   in Loop: Header=BB242_13 Depth=1
	s_or_b64 exec, exec, s[44:45]
	s_and_b64 s[8:9], s[8:9], exec
	s_or_saveexec_b64 s[42:43], s[42:43]
	v_mov_b32_e32 v51, s46
	s_xor_b64 exec, exec, s[42:43]
	s_cbranch_execz .LBB242_114
.LBB242_245:                            ;   in Loop: Header=BB242_13 Depth=1
	v_cmp_ne_u16_sdwa s[44:45], v2, v3 src0_sel:BYTE_0 src1_sel:DWORD
	s_andn2_b64 s[8:9], s[8:9], exec
	s_and_b64 s[44:45], s[44:45], exec
	v_mov_b32_e32 v51, 0
	s_or_b64 s[8:9], s[8:9], s[44:45]
	s_or_b64 exec, exec, s[42:43]
	v_and_b32_e32 v2, 0xffff, v2
	s_and_saveexec_b64 s[42:43], s[8:9]
	s_cbranch_execnz .LBB242_115
	s_branch .LBB242_116
.LBB242_246:                            ;   in Loop: Header=BB242_13 Depth=1
	v_cmp_eq_u16_e64 s[8:9], s55, v2
	s_mov_b64 s[42:43], -1
                                        ; implicit-def: $sgpr57
	s_and_saveexec_b64 s[46:47], s[8:9]
; %bb.247:                              ;   in Loop: Header=BB242_13 Depth=1
	s_mov_b32 s57, 0x7fc02000
	s_xor_b64 s[42:43], exec, -1
; %bb.248:                              ;   in Loop: Header=BB242_13 Depth=1
	s_or_b64 exec, exec, s[46:47]
	s_and_b64 s[42:43], s[42:43], exec
	s_or_saveexec_b64 s[44:45], s[44:45]
	v_mov_b32_e32 v52, s57
	s_xor_b64 exec, exec, s[44:45]
	s_cbranch_execz .LBB242_118
.LBB242_249:                            ;   in Loop: Header=BB242_13 Depth=1
	v_cmp_ne_u16_e64 s[8:9], 0, v2
	s_andn2_b64 s[42:43], s[42:43], exec
	s_and_b64 s[8:9], s[8:9], exec
	v_mov_b32_e32 v52, 0
	s_or_b64 s[42:43], s[42:43], s[8:9]
	s_or_b64 exec, exec, s[44:45]
	s_and_saveexec_b64 s[44:45], s[42:43]
	s_cbranch_execnz .LBB242_119
	s_branch .LBB242_120
.LBB242_250:                            ;   in Loop: Header=BB242_13 Depth=1
	v_cmp_eq_u16_sdwa s[58:59], v2, s55 src0_sel:BYTE_0 src1_sel:DWORD
	s_mov_b64 s[8:9], -1
                                        ; implicit-def: $sgpr46
	s_and_saveexec_b64 s[44:45], s[58:59]
; %bb.251:                              ;   in Loop: Header=BB242_13 Depth=1
	s_mov_b32 s46, 0x7fc02000
	s_xor_b64 s[8:9], exec, -1
; %bb.252:                              ;   in Loop: Header=BB242_13 Depth=1
	s_or_b64 exec, exec, s[44:45]
	s_and_b64 s[8:9], s[8:9], exec
	s_or_saveexec_b64 s[42:43], s[42:43]
	v_mov_b32_e32 v53, s46
	s_xor_b64 exec, exec, s[42:43]
	s_cbranch_execz .LBB242_122
.LBB242_253:                            ;   in Loop: Header=BB242_13 Depth=1
	v_cmp_ne_u16_sdwa s[44:45], v2, v3 src0_sel:BYTE_0 src1_sel:DWORD
	s_andn2_b64 s[8:9], s[8:9], exec
	s_and_b64 s[44:45], s[44:45], exec
	v_mov_b32_e32 v53, 0
	s_or_b64 s[8:9], s[8:9], s[44:45]
	s_or_b64 exec, exec, s[42:43]
	v_and_b32_e32 v2, 0xffff, v2
	s_and_saveexec_b64 s[42:43], s[8:9]
	s_cbranch_execnz .LBB242_123
	s_branch .LBB242_124
.LBB242_254:                            ;   in Loop: Header=BB242_13 Depth=1
	v_cmp_eq_u16_e64 s[8:9], s55, v2
	s_mov_b64 s[42:43], -1
                                        ; implicit-def: $sgpr57
	s_and_saveexec_b64 s[46:47], s[8:9]
; %bb.255:                              ;   in Loop: Header=BB242_13 Depth=1
	s_mov_b32 s57, 0x7fc02000
	s_xor_b64 s[42:43], exec, -1
; %bb.256:                              ;   in Loop: Header=BB242_13 Depth=1
	s_or_b64 exec, exec, s[46:47]
	s_and_b64 s[42:43], s[42:43], exec
	s_or_saveexec_b64 s[44:45], s[44:45]
	v_mov_b32_e32 v54, s57
	s_xor_b64 exec, exec, s[44:45]
	s_cbranch_execz .LBB242_126
.LBB242_257:                            ;   in Loop: Header=BB242_13 Depth=1
	v_cmp_ne_u16_e64 s[8:9], 0, v2
	s_andn2_b64 s[42:43], s[42:43], exec
	s_and_b64 s[8:9], s[8:9], exec
	v_mov_b32_e32 v54, 0
	s_or_b64 s[42:43], s[42:43], s[8:9]
	s_or_b64 exec, exec, s[44:45]
	s_and_saveexec_b64 s[44:45], s[42:43]
	s_cbranch_execnz .LBB242_127
	s_branch .LBB242_128
.LBB242_258:                            ;   in Loop: Header=BB242_13 Depth=1
	v_cmp_eq_u16_sdwa s[58:59], v2, s55 src0_sel:BYTE_0 src1_sel:DWORD
	s_mov_b64 s[8:9], -1
                                        ; implicit-def: $sgpr46
	s_and_saveexec_b64 s[44:45], s[58:59]
; %bb.259:                              ;   in Loop: Header=BB242_13 Depth=1
	s_mov_b32 s46, 0x7fc02000
	s_xor_b64 s[8:9], exec, -1
; %bb.260:                              ;   in Loop: Header=BB242_13 Depth=1
	s_or_b64 exec, exec, s[44:45]
	s_and_b64 s[8:9], s[8:9], exec
	s_or_saveexec_b64 s[42:43], s[42:43]
	v_mov_b32_e32 v55, s46
	s_xor_b64 exec, exec, s[42:43]
	s_cbranch_execz .LBB242_130
.LBB242_261:                            ;   in Loop: Header=BB242_13 Depth=1
	v_cmp_ne_u16_sdwa s[44:45], v2, v3 src0_sel:BYTE_0 src1_sel:DWORD
	s_andn2_b64 s[8:9], s[8:9], exec
	s_and_b64 s[44:45], s[44:45], exec
	v_mov_b32_e32 v55, 0
	s_or_b64 s[8:9], s[8:9], s[44:45]
	s_or_b64 exec, exec, s[42:43]
	v_and_b32_e32 v2, 0xffff, v2
	s_and_saveexec_b64 s[42:43], s[8:9]
	s_cbranch_execnz .LBB242_131
	s_branch .LBB242_132
.LBB242_262:                            ;   in Loop: Header=BB242_13 Depth=1
	v_cmp_eq_u16_e64 s[8:9], s55, v2
	s_mov_b64 s[42:43], -1
                                        ; implicit-def: $sgpr57
	s_and_saveexec_b64 s[46:47], s[8:9]
; %bb.263:                              ;   in Loop: Header=BB242_13 Depth=1
	s_mov_b32 s57, 0x7fc02000
	s_xor_b64 s[42:43], exec, -1
; %bb.264:                              ;   in Loop: Header=BB242_13 Depth=1
	s_or_b64 exec, exec, s[46:47]
	s_and_b64 s[42:43], s[42:43], exec
	s_or_saveexec_b64 s[44:45], s[44:45]
	v_mov_b32_e32 v56, s57
	s_xor_b64 exec, exec, s[44:45]
	s_cbranch_execz .LBB242_134
.LBB242_265:                            ;   in Loop: Header=BB242_13 Depth=1
	v_cmp_ne_u16_e64 s[8:9], 0, v2
	s_andn2_b64 s[42:43], s[42:43], exec
	s_and_b64 s[8:9], s[8:9], exec
	v_mov_b32_e32 v56, 0
	s_or_b64 s[42:43], s[42:43], s[8:9]
	s_or_b64 exec, exec, s[44:45]
	s_and_saveexec_b64 s[44:45], s[42:43]
	s_cbranch_execnz .LBB242_135
	s_branch .LBB242_136
.LBB242_266:                            ;   in Loop: Header=BB242_13 Depth=1
	v_cmp_eq_u16_sdwa s[58:59], v2, s55 src0_sel:BYTE_0 src1_sel:DWORD
	s_mov_b64 s[8:9], -1
                                        ; implicit-def: $sgpr46
	s_and_saveexec_b64 s[44:45], s[58:59]
; %bb.267:                              ;   in Loop: Header=BB242_13 Depth=1
	s_mov_b32 s46, 0x7fc02000
	s_xor_b64 s[8:9], exec, -1
; %bb.268:                              ;   in Loop: Header=BB242_13 Depth=1
	s_or_b64 exec, exec, s[44:45]
	s_and_b64 s[8:9], s[8:9], exec
	s_or_saveexec_b64 s[42:43], s[42:43]
	v_mov_b32_e32 v10, s46
	s_xor_b64 exec, exec, s[42:43]
	s_cbranch_execz .LBB242_138
.LBB242_269:                            ;   in Loop: Header=BB242_13 Depth=1
	v_cmp_ne_u16_sdwa s[44:45], v2, v3 src0_sel:BYTE_0 src1_sel:DWORD
	s_andn2_b64 s[8:9], s[8:9], exec
	s_and_b64 s[44:45], s[44:45], exec
	v_mov_b32_e32 v10, 0
	s_or_b64 s[8:9], s[8:9], s[44:45]
	s_or_b64 exec, exec, s[42:43]
	v_and_b32_e32 v2, 0xffff, v2
	s_and_saveexec_b64 s[42:43], s[8:9]
	s_cbranch_execnz .LBB242_139
	s_branch .LBB242_140
.LBB242_270:                            ;   in Loop: Header=BB242_13 Depth=1
	v_cmp_eq_u16_e64 s[8:9], s55, v2
	s_mov_b64 s[42:43], -1
                                        ; implicit-def: $sgpr57
	s_and_saveexec_b64 s[46:47], s[8:9]
; %bb.271:                              ;   in Loop: Header=BB242_13 Depth=1
	s_mov_b32 s57, 0x7fc02000
	s_xor_b64 s[42:43], exec, -1
; %bb.272:                              ;   in Loop: Header=BB242_13 Depth=1
	s_or_b64 exec, exec, s[46:47]
	s_and_b64 s[42:43], s[42:43], exec
	s_or_saveexec_b64 s[44:45], s[44:45]
	v_mov_b32_e32 v11, s57
	s_xor_b64 exec, exec, s[44:45]
	s_cbranch_execz .LBB242_142
.LBB242_273:                            ;   in Loop: Header=BB242_13 Depth=1
	v_cmp_ne_u16_e64 s[8:9], 0, v2
	s_andn2_b64 s[42:43], s[42:43], exec
	s_and_b64 s[8:9], s[8:9], exec
	v_mov_b32_e32 v11, 0
	s_or_b64 s[42:43], s[42:43], s[8:9]
	s_or_b64 exec, exec, s[44:45]
	s_and_saveexec_b64 s[44:45], s[42:43]
	s_cbranch_execnz .LBB242_143
	s_branch .LBB242_144
.LBB242_274:
	s_or_b64 exec, exec, s[40:41]
.LBB242_275:
	s_or_b64 exec, exec, s[18:19]
	v_mbcnt_hi_u32_b32 v2, -1, v13
	v_and_b32_e32 v3, 64, v2
	v_add_u32_e32 v3, 64, v3
	v_xor_b32_e32 v4, 32, v2
	v_cmp_lt_i32_e32 vcc, v4, v3
	v_xor_b32_e32 v7, 16, v2
	v_max_f32_e32 v6, v17, v17
	v_cndmask_b32_e32 v4, v2, v4, vcc
	v_lshlrev_b32_e32 v4, 2, v4
	ds_bpermute_b32 v5, v4, v17
	v_cmp_lt_i32_e32 vcc, v7, v3
	v_xor_b32_e32 v8, 8, v2
	v_xor_b32_e32 v9, 4, v2
	v_and_b32_e32 v22, 63, v0
	s_waitcnt lgkmcnt(0)
	v_max_f32_e32 v5, v5, v5
	v_max_f32_e32 v6, v6, v5
	v_cndmask_b32_e32 v5, v2, v7, vcc
	v_lshlrev_b32_e32 v5, 2, v5
	ds_bpermute_b32 v7, v5, v6
	v_cmp_lt_i32_e32 vcc, v8, v3
	s_waitcnt lgkmcnt(0)
	v_max_f32_e32 v7, v7, v7
	v_max_f32_e32 v6, v6, v7
	v_cndmask_b32_e32 v7, v2, v8, vcc
	v_lshlrev_b32_e32 v8, 2, v7
	ds_bpermute_b32 v7, v8, v6
	v_cmp_lt_i32_e32 vcc, v9, v3
	s_waitcnt lgkmcnt(0)
	v_max_f32_e32 v7, v7, v7
	v_max_f32_e32 v7, v6, v7
	v_cndmask_b32_e32 v6, v2, v9, vcc
	v_lshlrev_b32_e32 v9, 2, v6
	ds_bpermute_b32 v10, v9, v7
	v_cmp_eq_u32_e32 vcc, 0, v22
	v_lshlrev_b32_e32 v6, 2, v1
	s_and_saveexec_b64 s[0:1], vcc
	s_cbranch_execz .LBB242_277
; %bb.276:
	s_waitcnt lgkmcnt(0)
	v_max_f32_e32 v10, v10, v10
	v_max_f32_e32 v7, v7, v7
	v_max_f32_e32 v7, v7, v10
	ds_write_b32 v6, v7 offset:256
.LBB242_277:
	s_or_b64 exec, exec, s[0:1]
	v_cmp_gt_u32_e64 s[0:1], 2, v22
	s_waitcnt lgkmcnt(0)
	v_mov_b32_e32 v10, 0xff7fffff
	v_lshlrev_b32_e32 v7, 2, v22
	s_barrier
	s_and_saveexec_b64 s[8:9], s[0:1]
	s_cbranch_execz .LBB242_279
; %bb.278:
	ds_read_b32 v10, v7 offset:256
.LBB242_279:
	s_or_b64 exec, exec, s[8:9]
	v_xor_b32_e32 v11, 1, v2
	v_cmp_lt_i32_e64 s[8:9], v11, v3
	v_lshlrev_b32_e32 v13, 2, v2
	s_nop 0
	v_cndmask_b32_e64 v11, v2, v11, s[8:9]
	v_lshlrev_b32_e32 v23, 2, v11
	s_waitcnt lgkmcnt(0)
	ds_bpermute_b32 v11, v23, v10
	v_max_f32_e32 v10, v10, v10
	s_lshl_b32 s8, s48, 4
	s_min_i32 s39, s8, s25
	v_cmp_gt_i32_e64 s[8:9], s39, v0
	s_waitcnt lgkmcnt(0)
	v_max_f32_e32 v11, v11, v11
	v_max_f32_e32 v11, v10, v11
	v_and_b32_e32 v10, 0x100, v13
	ds_bpermute_b32 v13, v10, v11
	v_mov_b32_e32 v11, 0
	s_and_saveexec_b64 s[12:13], s[8:9]
	s_cbranch_execz .LBB242_283
; %bb.280:
	v_mov_b32_e32 v11, 0x110
	v_lshl_add_u32 v14, v0, 2, v11
	s_mov_b64 s[18:19], 0
	v_mov_b32_e32 v11, 0
	v_mov_b32_e32 v16, v0
.LBB242_281:                            ; =>This Inner Loop Header: Depth=1
	ds_read_b32 v17, v14
	v_add_u32_e32 v16, 0x80, v16
	v_cmp_le_i32_e64 s[10:11], s39, v16
	s_or_b64 s[18:19], s[10:11], s[18:19]
	s_waitcnt lgkmcnt(0)
	v_sub_f32_e32 v17, v17, v13
	v_mul_f32_e32 v17, 0x3fb8aa3b, v17
	v_exp_f32_e32 v17, v17
	ds_write_b32 v14, v17
	v_add_f32_e32 v11, v11, v17
	v_add_u32_e32 v14, 0x200, v14
	s_andn2_b64 exec, exec, s[18:19]
	s_cbranch_execnz .LBB242_281
; %bb.282:
	s_or_b64 exec, exec, s[18:19]
.LBB242_283:
	s_or_b64 exec, exec, s[12:13]
	ds_bpermute_b32 v4, v4, v11
	s_waitcnt lgkmcnt(0)
	v_add_f32_e32 v4, v11, v4
	ds_bpermute_b32 v5, v5, v4
	s_waitcnt lgkmcnt(0)
	v_add_f32_e32 v4, v4, v5
	ds_bpermute_b32 v5, v8, v4
	v_xor_b32_e32 v8, 2, v2
	v_cmp_lt_i32_e64 s[10:11], v8, v3
	s_waitcnt lgkmcnt(0)
	v_add_f32_e32 v4, v4, v5
	ds_bpermute_b32 v5, v9, v4
	v_cndmask_b32_e64 v2, v2, v8, s[10:11]
	v_lshlrev_b32_e32 v2, 2, v2
	s_waitcnt lgkmcnt(0)
	v_add_f32_e32 v3, v4, v5
	ds_bpermute_b32 v2, v2, v3
	s_waitcnt lgkmcnt(0)
	v_add_f32_e32 v2, v3, v2
	ds_bpermute_b32 v3, v23, v2
	s_waitcnt lgkmcnt(0)
	v_add_f32_e32 v2, v2, v3
	s_and_saveexec_b64 s[10:11], vcc
	s_cbranch_execz .LBB242_285
; %bb.284:
	ds_write_b32 v6, v2 offset:264
.LBB242_285:
	s_or_b64 exec, exec, s[10:11]
	s_waitcnt lgkmcnt(0)
	s_barrier
	s_and_saveexec_b64 s[10:11], s[0:1]
	s_cbranch_execz .LBB242_287
; %bb.286:
	ds_read_b32 v2, v7 offset:264
.LBB242_287:
	s_or_b64 exec, exec, s[10:11]
	s_waitcnt lgkmcnt(0)
	ds_bpermute_b32 v3, v23, v2
	s_waitcnt lgkmcnt(0)
	v_add_f32_e32 v2, v2, v3
	ds_bpermute_b32 v2, v10, v2
	s_and_saveexec_b64 s[0:1], s[8:9]
	s_cbranch_execz .LBB242_300
; %bb.288:
	s_waitcnt lgkmcnt(0)
	v_add_f32_e32 v2, 0x358637bd, v2
	v_div_scale_f32 v3, s[8:9], v2, v2, 1.0
	v_rcp_f32_e32 v4, v3
	v_div_scale_f32 v5, vcc, 1.0, v2, 1.0
	s_movk_i32 s8, 0x7f
	v_fma_f32 v6, -v3, v4, 1.0
	v_fmac_f32_e32 v4, v6, v4
	v_mul_f32_e32 v6, v5, v4
	v_fma_f32 v7, -v3, v6, v5
	v_fmac_f32_e32 v6, v7, v4
	v_fma_f32 v3, -v3, v6, v5
	v_div_fmas_f32 v3, v3, v4, v6
	v_xad_u32 v4, v0, -1, s39
	v_div_fixup_f32 v2, v3, v2, 1.0
	v_cmp_lt_u32_e32 vcc, s8, v4
	s_mov_b64 s[10:11], -1
	v_mov_b32_e32 v3, v0
	s_and_saveexec_b64 s[8:9], vcc
	s_cbranch_execz .LBB242_297
; %bb.289:
	v_lshrrev_b32_e32 v4, 7, v4
	v_add_u32_e32 v6, -1, v4
	v_lshrrev_b32_e32 v5, 1, v6
	v_mov_b32_e32 v3, v2
	v_add_u32_e32 v5, 1, v5
	v_cmp_lt_u32_e32 vcc, 13, v6
	v_mov_b32_e32 v8, 0
	s_and_saveexec_b64 s[10:11], vcc
	s_cbranch_execz .LBB242_293
; %bb.290:
	v_mov_b32_e32 v7, 0x110
	v_and_b32_e32 v6, -8, v5
	v_lshl_add_u32 v7, v0, 2, v7
	s_mov_b32 s18, 0
	s_mov_b64 s[12:13], 0
.LBB242_291:                            ; =>This Inner Loop Header: Depth=1
	ds_read2st64_b32 v[8:9], v7 offset1:2
	ds_read2st64_b32 v[10:11], v7 offset0:4 offset1:6
	ds_read2st64_b32 v[16:17], v7 offset0:8 offset1:10
	;; [unrolled: 1-line block ×3, first 2 shown]
	v_add_u32_e32 v6, -8, v6
	s_waitcnt lgkmcnt(3)
	v_pk_mul_f32 v[8:9], v[2:3], v[8:9]
	s_waitcnt lgkmcnt(2)
	v_pk_mul_f32 v[10:11], v[2:3], v[10:11]
	ds_write2st64_b32 v7, v8, v9 offset1:2
	ds_write2st64_b32 v7, v10, v11 offset0:4 offset1:6
	ds_read2st64_b32 v[10:11], v7 offset0:16 offset1:18
	s_waitcnt lgkmcnt(4)
	v_pk_mul_f32 v[8:9], v[2:3], v[16:17]
	ds_write2st64_b32 v7, v8, v9 offset0:8 offset1:10
	s_waitcnt lgkmcnt(4)
	v_pk_mul_f32 v[8:9], v[2:3], v[18:19]
	ds_write2st64_b32 v7, v8, v9 offset0:12 offset1:14
	ds_read2st64_b32 v[8:9], v7 offset0:20 offset1:22
	s_waitcnt lgkmcnt(3)
	v_pk_mul_f32 v[10:11], v[2:3], v[10:11]
	ds_read2st64_b32 v[16:17], v7 offset0:24 offset1:26
	ds_write2st64_b32 v7, v10, v11 offset0:16 offset1:18
	ds_read2st64_b32 v[10:11], v7 offset0:28 offset1:30
	s_waitcnt lgkmcnt(3)
	v_pk_mul_f32 v[8:9], v[2:3], v[8:9]
	ds_write2st64_b32 v7, v8, v9 offset0:20 offset1:22
	s_waitcnt lgkmcnt(3)
	v_pk_mul_f32 v[8:9], v[2:3], v[16:17]
	ds_write2st64_b32 v7, v8, v9 offset0:24 offset1:26
	s_waitcnt lgkmcnt(2)
	v_pk_mul_f32 v[8:9], v[2:3], v[10:11]
	s_add_i32 s18, s18, 16
	v_cmp_eq_u32_e32 vcc, 0, v6
	ds_write2st64_b32 v7, v8, v9 offset0:28 offset1:30
	v_add_u32_e32 v7, 0x2000, v7
	s_or_b64 s[12:13], vcc, s[12:13]
	v_mov_b32_e32 v8, s18
	s_andn2_b64 exec, exec, s[12:13]
	s_cbranch_execnz .LBB242_291
; %bb.292:
	s_or_b64 exec, exec, s[12:13]
.LBB242_293:
	s_or_b64 exec, exec, s[10:11]
	v_and_b32_e32 v5, 7, v5
	v_cmp_ne_u32_e32 vcc, 0, v5
	s_and_saveexec_b64 s[10:11], vcc
	s_cbranch_execz .LBB242_296
; %bb.294:
	v_lshlrev_b32_e32 v6, 9, v8
	v_lshlrev_b32_e32 v7, 2, v0
	s_movk_i32 s12, 0x110
	v_add3_u32 v6, v6, v7, s12
	s_mov_b64 s[12:13], 0
.LBB242_295:                            ; =>This Inner Loop Header: Depth=1
	ds_read2st64_b32 v[8:9], v6 offset1:2
	v_add_u32_e32 v5, -1, v5
	v_cmp_eq_u32_e32 vcc, 0, v5
	s_or_b64 s[12:13], vcc, s[12:13]
	s_waitcnt lgkmcnt(0)
	v_pk_mul_f32 v[8:9], v[2:3], v[8:9]
	ds_write2st64_b32 v6, v8, v9 offset1:2
	v_add_u32_e32 v6, 0x400, v6
	s_andn2_b64 exec, exec, s[12:13]
	s_cbranch_execnz .LBB242_295
.LBB242_296:
	s_or_b64 exec, exec, s[10:11]
	v_add_u32_e32 v4, 1, v4
	v_and_b32_e32 v5, 0x3fffffe, v4
	v_cmp_ne_u32_e32 vcc, v4, v5
	v_lshl_add_u32 v3, v5, 7, v0
	s_orn2_b64 s[10:11], vcc, exec
.LBB242_297:
	s_or_b64 exec, exec, s[8:9]
	s_and_b64 exec, exec, s[10:11]
	s_cbranch_execz .LBB242_300
; %bb.298:
	v_mov_b32_e32 v4, 0x110
	v_lshl_add_u32 v4, v3, 2, v4
	s_mov_b64 s[8:9], 0
.LBB242_299:                            ; =>This Inner Loop Header: Depth=1
	ds_read_b32 v5, v4
	v_add_u32_e32 v3, 0x80, v3
	v_cmp_le_i32_e32 vcc, s39, v3
	s_or_b64 s[8:9], vcc, s[8:9]
	s_waitcnt lgkmcnt(0)
	v_mul_f32_e32 v5, v2, v5
	ds_write_b32 v4, v5
	v_add_u32_e32 v4, 0x200, v4
	s_andn2_b64 exec, exec, s[8:9]
	s_cbranch_execnz .LBB242_299
.LBB242_300:
	s_or_b64 exec, exec, s[0:1]
	s_mov_b32 s0, 0
	v_mov_b32_e32 v5, 0
	v_and_b32_e32 v24, 1, v0
	v_mov_b32_e32 v4, 0
	v_mov_b32_e32 v3, 0
	s_waitcnt lgkmcnt(0)
	v_mov_b32_e32 v2, 0
	s_barrier
	s_and_saveexec_b64 s[8:9], s[2:3]
	s_cbranch_execz .LBB242_570
; %bb.301:
	s_sub_i32 s21, s16, s21
	s_ashr_i32 s1, s49, 31
	s_add_u32 s2, s36, s49
	s_addc_u32 s3, s37, s1
	s_abs_i32 s22, s22
	v_cvt_f32_u32_e32 v2, s22
	v_lshlrev_b32_e32 v3, 3, v0
	v_and_b32_e32 v6, 0x1f8, v3
	v_mov_b32_e32 v7, 0
	v_rcp_iflag_f32_e32 v2, v2
	s_sub_i32 s1, 0, s22
	v_and_b32_e32 v25, 8, v3
	s_add_i32 s37, s48, -1
	v_mul_f32_e32 v2, 0x4f7ffffe, v2
	v_cvt_u32_f32_e32 v2, v2
	v_lshl_add_u64 v[8:9], s[2:3], 0, v[6:7]
	s_lshl_b64 s[2:3], s[34:35], 2
	s_add_u32 s2, s30, s2
	v_mul_lo_u32 v3, s1, v2
	v_mul_hi_u32 v3, v2, v3
	v_add_u32_e32 v26, v2, v3
	v_and_b32_e32 v6, 60, v12
	s_addc_u32 s3, s31, s3
	v_lshlrev_b32_e32 v2, 5, v24
	v_lshl_add_u64 v[10:11], s[2:3], 0, v[6:7]
	v_lshl_or_b32 v2, v1, 6, v2
	s_mov_b32 s2, s0
	s_mov_b32 s3, s0
	v_add_u32_e32 v27, 0x110, v2
	s_mov_b32 s1, s0
	v_mov_b64_e32 v[4:5], s[2:3]
	s_mov_b32 s36, s17
	s_mov_b32 s39, s25
	s_mov_b64 s[10:11], 0
	v_mov_b64_e32 v[2:3], s[0:1]
	s_movk_i32 s30, 0x7f
	s_movk_i32 s31, 0x80
	s_mov_b32 s34, 0x8000
	s_movk_i32 s35, 0x380
	s_mov_b32 s40, 0x3020706
	s_mov_b32 s41, 0x1000504
	;; [unrolled: 1-line block ×3, first 2 shown]
	v_mov_b32_e32 v28, 0x1c00
	s_branch .LBB242_304
.LBB242_302:                            ;   in Loop: Header=BB242_304 Depth=1
	s_or_b64 exec, exec, s[0:1]
	;;#ASMSTART
	v_pk_mul_f16 v13, v40, v13;

	;;#ASMEND
	;;#ASMSTART
	v_pk_mul_f16 v6, v39, v6;

	;;#ASMEND
	;; [unrolled: 4-line block ×4, first 2 shown]
	v_add_f32_e32 v16, v41, v42
	;;#ASMSTART
	v_pk_add_f16 v6, v13, v6;

	;;#ASMEND
	v_add_f32_e32 v2, v2, v16
	;;#ASMSTART
	v_pk_add_f16 v6, v6, v12;

	;;#ASMEND
	;; [unrolled: 5-line block ×3, first 2 shown]
	v_add_f32_e32 v3, v3, v16
	v_lshrrev_b32_e32 v12, 16, v6
	v_and_b32_e32 v6, 0xffff, v6
	;;#ASMSTART
	v_cvt_f32_f16 v6, v6;
	;;#ASMEND
	v_add_f32_e32 v16, v20, v21
	;;#ASMSTART
	v_cvt_f32_f16 v12, v12;
	;;#ASMEND
	v_add_f32_e32 v4, v4, v16
	v_add_f32_e32 v6, v6, v12
	;; [unrolled: 1-line block ×3, first 2 shown]
.LBB242_303:                            ;   in Loop: Header=BB242_304 Depth=1
	s_or_b64 exec, exec, s[2:3]
	v_add_u32_e32 v1, 2, v1
	v_cmp_le_i32_e32 vcc, s48, v1
	v_lshl_add_u64 v[10:11], v[10:11], 0, 8
	v_add_u32_e32 v15, 32, v15
	s_or_b64 s[10:11], vcc, s[10:11]
	v_add_u32_e32 v27, 0x80, v27
	s_andn2_b64 exec, exec, s[10:11]
	s_cbranch_execz .LBB242_569
.LBB242_304:                            ; =>This Inner Loop Header: Depth=1
	v_mul_hi_u32 v6, v15, s33
	v_mul_lo_u32 v12, v6, s27
	v_sub_u32_e32 v12, v15, v12
	v_add_u32_e32 v13, 1, v6
	v_cmp_le_u32_e32 vcc, s27, v12
	s_nop 1
	v_cndmask_b32_e32 v6, v6, v13, vcc
	v_subrev_u32_e32 v13, s27, v12
	v_cndmask_b32_e32 v12, v12, v13, vcc
	v_add_u32_e32 v13, 1, v6
	v_cmp_le_u32_e32 vcc, s27, v12
	s_nop 1
	v_cndmask_b32_e32 v6, v6, v13, vcc
	v_xor_b32_e32 v6, s23, v6
	v_subrev_u32_e32 v6, s23, v6
	v_add_u32_e32 v12, s38, v6
	v_sub_u32_e32 v14, 0, v12
	v_ashrrev_i32_e32 v13, 31, v12
	v_max_i32_e32 v12, v12, v14
	v_mul_hi_u32 v14, v12, v26
	v_mul_lo_u32 v14, v14, s22
	v_sub_u32_e32 v12, v12, v14
	v_subrev_u32_e32 v14, s22, v12
	v_cmp_le_u32_e32 vcc, s22, v12
	v_cmp_lt_i32_e64 s[0:1], s21, v6
	s_nop 0
	v_cndmask_b32_e32 v12, v12, v14, vcc
	v_subrev_u32_e32 v14, s22, v12
	v_cmp_le_u32_e32 vcc, s22, v12
	s_nop 1
	v_cndmask_b32_e32 v12, v12, v14, vcc
	v_xor_b32_e32 v12, v12, v13
	v_sub_u32_e32 v12, v12, v13
	v_cmp_eq_u32_e32 vcc, 0, v12
	s_or_b64 s[0:1], vcc, s[0:1]
	s_and_saveexec_b64 s[2:3], s[0:1]
	s_cbranch_execz .LBB242_303
; %bb.305:                              ;   in Loop: Header=BB242_304 Depth=1
	ds_read2_b64 v[16:19], v27 offset1:1
	ds_read2_b64 v[30:33], v27 offset0:2 offset1:3
                                        ; implicit-def: $sgpr18
	s_waitcnt lgkmcnt(1)
	;;#ASMSTART
	v_cvt_f16_f32 v37, v16;

	;;#ASMEND
	;;#ASMSTART
	v_cvt_f16_f32 v38, v17;

	;;#ASMEND
	;;#ASMSTART
	v_cvt_f16_f32 v39, v18;

	;;#ASMEND
	;;#ASMSTART
	v_cvt_f16_f32 v41, v19;

	;;#ASMEND
	s_waitcnt lgkmcnt(0)
	;;#ASMSTART
	v_cvt_f16_f32 v42, v30;

	;;#ASMEND
	;;#ASMSTART
	v_cvt_f16_f32 v43, v31;

	;;#ASMEND
	;; [unrolled: 4-line block ×4, first 2 shown]
	global_load_dword v6, v[10:11], off
	s_waitcnt vmcnt(0)
	v_mad_i64_i32 v[12:13], s[0:1], v6, s36, v[8:9]
	global_load_dwordx2 v[16:17], v[12:13], off
	global_load_dword v14, v7, s[14:15]
	s_mov_b64 s[0:1], 0
	s_waitcnt vmcnt(1)
	v_cmp_gt_i16_sdwa s[12:13], v16, s30 src0_sel:BYTE_0 src1_sel:DWORD
	s_and_saveexec_b64 s[16:17], s[12:13]
	s_xor_b64 s[12:13], exec, s[16:17]
	s_cbranch_execnz .LBB242_441
; %bb.306:                              ;   in Loop: Header=BB242_304 Depth=1
	s_or_saveexec_b64 s[12:13], s[12:13]
	v_mov_b32_e32 v18, s18
	s_xor_b64 exec, exec, s[12:13]
	s_cbranch_execnz .LBB242_444
.LBB242_307:                            ;   in Loop: Header=BB242_304 Depth=1
	s_or_b64 exec, exec, s[12:13]
	s_and_saveexec_b64 s[12:13], s[0:1]
	s_cbranch_execz .LBB242_309
.LBB242_308:                            ;   in Loop: Header=BB242_304 Depth=1
	v_and_b32_e32 v6, 7, v16
	v_ffbh_u32_e32 v6, v6
	v_bfe_u32 v18, v16, 3, 4
	v_min_u32_e32 v6, 32, v6
	v_subrev_u32_e32 v19, 28, v6
	v_sub_u32_e32 v6, 29, v6
	v_cmp_eq_u32_e32 vcc, 0, v18
	s_nop 1
	v_cndmask_b32_e32 v6, v18, v6, vcc
	v_cndmask_b32_e32 v18, 0, v19, vcc
	v_lshlrev_b64 v[18:19], v18, v[16:17]
	v_lshlrev_b32_e32 v19, 8, v16
	v_lshl_add_u32 v6, v6, 10, v28
	v_lshlrev_b32_e32 v18, 7, v18
	v_and_or_b32 v6, v19, s34, v6
	v_and_or_b32 v6, v18, s35, v6
	v_cvt_f32_f16_e32 v18, v6
.LBB242_309:                            ;   in Loop: Header=BB242_304 Depth=1
	s_or_b64 exec, exec, s[12:13]
	v_lshrrev_b16_e32 v6, 8, v16
	v_cmp_lt_i16_e32 vcc, s30, v6
	s_mov_b64 s[0:1], 0
                                        ; implicit-def: $sgpr18
	s_and_saveexec_b64 s[12:13], vcc
	s_xor_b64 s[12:13], exec, s[12:13]
	s_cbranch_execnz .LBB242_445
; %bb.310:                              ;   in Loop: Header=BB242_304 Depth=1
	s_or_saveexec_b64 s[12:13], s[12:13]
	v_mov_b32_e32 v20, s18
	s_xor_b64 exec, exec, s[12:13]
	s_cbranch_execnz .LBB242_448
.LBB242_311:                            ;   in Loop: Header=BB242_304 Depth=1
	s_or_b64 exec, exec, s[12:13]
	s_and_saveexec_b64 s[12:13], s[0:1]
	s_cbranch_execz .LBB242_313
.LBB242_312:                            ;   in Loop: Header=BB242_304 Depth=1
	v_and_b32_e32 v19, 7, v6
	v_ffbh_u32_e32 v20, v19
	v_min_u32_e32 v30, 32, v20
	v_subrev_u32_e32 v20, 28, v30
	v_bfe_u32 v29, v6, 3, 4
	v_lshlrev_b64 v[20:21], v20, v[6:7]
	v_sub_u32_e32 v21, 29, v30
	v_cmp_eq_u32_e32 vcc, 0, v29
	v_and_b32_e32 v20, 7, v20
	v_lshlrev_b32_e32 v6, 8, v6
	v_cndmask_b32_e32 v21, v29, v21, vcc
	v_cndmask_b32_e32 v19, v19, v20, vcc
	v_lshl_add_u32 v20, v21, 10, v28
	v_and_or_b32 v6, v6, s34, v20
	v_lshl_or_b32 v6, v19, 7, v6
	v_cvt_f32_f16_e32 v20, v6
.LBB242_313:                            ;   in Loop: Header=BB242_304 Depth=1
	s_or_b64 exec, exec, s[12:13]
	v_lshrrev_b32_e32 v6, 16, v16
	v_cmp_gt_i16_sdwa s[12:13], v6, s30 src0_sel:BYTE_0 src1_sel:DWORD
	s_mov_b64 s[0:1], 0
                                        ; implicit-def: $sgpr18
	s_and_saveexec_b64 s[16:17], s[12:13]
	s_xor_b64 s[12:13], exec, s[16:17]
	s_cbranch_execnz .LBB242_449
; %bb.314:                              ;   in Loop: Header=BB242_304 Depth=1
	s_or_saveexec_b64 s[12:13], s[12:13]
	v_mov_b32_e32 v19, s18
	s_xor_b64 exec, exec, s[12:13]
	s_cbranch_execnz .LBB242_452
.LBB242_315:                            ;   in Loop: Header=BB242_304 Depth=1
	s_or_b64 exec, exec, s[12:13]
	s_and_saveexec_b64 s[12:13], s[0:1]
	s_cbranch_execz .LBB242_317
.LBB242_316:                            ;   in Loop: Header=BB242_304 Depth=1
	v_bfe_u32 v19, v16, 16, 3
	v_ffbh_u32_e32 v29, v19
	v_bfe_u32 v21, v16, 19, 4
	v_min_u32_e32 v29, 32, v29
	v_subrev_u32_e32 v30, 28, v29
	v_sub_u32_e32 v29, 29, v29
	v_cmp_eq_u32_e32 vcc, 0, v21
	v_lshlrev_b64 v[30:31], v30, v[6:7]
	v_and_b32_e32 v30, 7, v30
	v_cndmask_b32_e32 v21, v21, v29, vcc
	v_lshlrev_b32_e32 v6, 8, v6
	v_lshl_add_u32 v21, v21, 10, v28
	v_cndmask_b32_e32 v19, v19, v30, vcc
	v_and_or_b32 v6, v6, s34, v21
	v_lshl_or_b32 v6, v19, 7, v6
	v_cvt_f32_f16_e32 v19, v6
.LBB242_317:                            ;   in Loop: Header=BB242_304 Depth=1
	s_or_b64 exec, exec, s[12:13]
	v_lshrrev_b32_e32 v6, 24, v16
	v_cmp_lt_i16_e32 vcc, s30, v6
	s_mov_b64 s[0:1], 0
                                        ; implicit-def: $sgpr18
	s_and_saveexec_b64 s[12:13], vcc
	s_xor_b64 s[12:13], exec, s[12:13]
	s_cbranch_execnz .LBB242_453
; %bb.318:                              ;   in Loop: Header=BB242_304 Depth=1
	s_or_saveexec_b64 s[12:13], s[12:13]
	v_mov_b32_e32 v21, s18
	s_xor_b64 exec, exec, s[12:13]
	s_cbranch_execnz .LBB242_456
.LBB242_319:                            ;   in Loop: Header=BB242_304 Depth=1
	s_or_b64 exec, exec, s[12:13]
	s_and_saveexec_b64 s[12:13], s[0:1]
	s_cbranch_execz .LBB242_321
.LBB242_320:                            ;   in Loop: Header=BB242_304 Depth=1
	v_bfe_u32 v21, v16, 24, 3
	v_ffbh_u32_e32 v29, v21
	v_bfe_u32 v16, v16, 27, 4
	v_min_u32_e32 v29, 32, v29
	v_subrev_u32_e32 v30, 28, v29
	v_sub_u32_e32 v29, 29, v29
	v_cmp_eq_u32_e32 vcc, 0, v16
	v_lshlrev_b64 v[30:31], v30, v[6:7]
	v_and_b32_e32 v30, 7, v30
	v_cndmask_b32_e32 v16, v16, v29, vcc
	v_lshlrev_b32_e32 v6, 8, v6
	v_lshl_add_u32 v16, v16, 10, v28
	v_cndmask_b32_e32 v21, v21, v30, vcc
	v_and_or_b32 v6, v6, s34, v16
	v_lshl_or_b32 v6, v21, 7, v6
	v_cvt_f32_f16_e32 v21, v6
.LBB242_321:                            ;   in Loop: Header=BB242_304 Depth=1
	s_or_b64 exec, exec, s[12:13]
	v_cmp_gt_i16_sdwa s[12:13], v17, s30 src0_sel:BYTE_0 src1_sel:DWORD
	s_mov_b64 s[0:1], 0
                                        ; implicit-def: $sgpr18
	s_and_saveexec_b64 s[16:17], s[12:13]
	s_xor_b64 s[12:13], exec, s[16:17]
	s_cbranch_execnz .LBB242_457
; %bb.322:                              ;   in Loop: Header=BB242_304 Depth=1
	s_or_saveexec_b64 s[12:13], s[12:13]
	v_mov_b32_e32 v16, s18
	s_xor_b64 exec, exec, s[12:13]
	s_cbranch_execnz .LBB242_460
.LBB242_323:                            ;   in Loop: Header=BB242_304 Depth=1
	s_or_b64 exec, exec, s[12:13]
	v_mov_b32_e32 v6, v17
	s_and_saveexec_b64 s[12:13], s[0:1]
	s_cbranch_execz .LBB242_325
.LBB242_324:                            ;   in Loop: Header=BB242_304 Depth=1
	v_and_b32_e32 v16, 7, v17
	v_ffbh_u32_e32 v16, v16
	v_bfe_u32 v29, v17, 3, 4
	v_min_u32_e32 v16, 32, v16
	v_subrev_u32_e32 v30, 28, v16
	v_sub_u32_e32 v16, 29, v16
	v_cmp_eq_u32_e32 vcc, 0, v29
	s_nop 1
	v_cndmask_b32_e32 v16, v29, v16, vcc
	v_cndmask_b32_e32 v29, 0, v30, vcc
	v_lshlrev_b64 v[30:31], v29, v[6:7]
	v_lshlrev_b32_e32 v29, 7, v30
	v_lshlrev_b32_e32 v30, 8, v17
	v_lshl_add_u32 v16, v16, 10, v28
	v_and_or_b32 v16, v30, s34, v16
	v_and_or_b32 v16, v29, s35, v16
	v_cvt_f32_f16_e32 v16, v16
.LBB242_325:                            ;   in Loop: Header=BB242_304 Depth=1
	s_or_b64 exec, exec, s[12:13]
	v_lshrrev_b16_e32 v6, 8, v6
	v_cmp_lt_i16_e32 vcc, s30, v6
	s_mov_b64 s[0:1], 0
                                        ; implicit-def: $sgpr18
	s_and_saveexec_b64 s[12:13], vcc
	s_xor_b64 s[12:13], exec, s[12:13]
	s_cbranch_execnz .LBB242_461
; %bb.326:                              ;   in Loop: Header=BB242_304 Depth=1
	s_or_saveexec_b64 s[12:13], s[12:13]
	v_mov_b32_e32 v29, s18
	s_xor_b64 exec, exec, s[12:13]
	s_cbranch_execnz .LBB242_464
.LBB242_327:                            ;   in Loop: Header=BB242_304 Depth=1
	s_or_b64 exec, exec, s[12:13]
	s_and_saveexec_b64 s[12:13], s[0:1]
	s_cbranch_execz .LBB242_329
.LBB242_328:                            ;   in Loop: Header=BB242_304 Depth=1
	v_and_b32_e32 v29, 7, v6
	v_ffbh_u32_e32 v30, v29
	v_min_u32_e32 v33, 32, v30
	v_subrev_u32_e32 v30, 28, v33
	v_bfe_u32 v32, v6, 3, 4
	v_lshlrev_b64 v[30:31], v30, v[6:7]
	v_sub_u32_e32 v31, 29, v33
	v_cmp_eq_u32_e32 vcc, 0, v32
	v_and_b32_e32 v30, 7, v30
	v_lshlrev_b32_e32 v6, 8, v6
	v_cndmask_b32_e32 v31, v32, v31, vcc
	v_cndmask_b32_e32 v29, v29, v30, vcc
	v_lshl_add_u32 v30, v31, 10, v28
	v_and_or_b32 v6, v6, s34, v30
	v_lshl_or_b32 v6, v29, 7, v6
	v_cvt_f32_f16_e32 v29, v6
.LBB242_329:                            ;   in Loop: Header=BB242_304 Depth=1
	s_or_b64 exec, exec, s[12:13]
	v_lshrrev_b32_e32 v6, 16, v17
	v_cmp_gt_i16_sdwa s[12:13], v6, s30 src0_sel:BYTE_0 src1_sel:DWORD
	s_mov_b64 s[0:1], 0
                                        ; implicit-def: $sgpr18
	s_and_saveexec_b64 s[16:17], s[12:13]
	s_xor_b64 s[12:13], exec, s[16:17]
	s_cbranch_execnz .LBB242_465
; %bb.330:                              ;   in Loop: Header=BB242_304 Depth=1
	s_or_saveexec_b64 s[12:13], s[12:13]
	v_mov_b32_e32 v30, s18
	s_xor_b64 exec, exec, s[12:13]
	s_cbranch_execnz .LBB242_468
.LBB242_331:                            ;   in Loop: Header=BB242_304 Depth=1
	s_or_b64 exec, exec, s[12:13]
	s_and_saveexec_b64 s[12:13], s[0:1]
	s_cbranch_execz .LBB242_333
.LBB242_332:                            ;   in Loop: Header=BB242_304 Depth=1
	v_bfe_u32 v32, v17, 16, 3
	v_ffbh_u32_e32 v30, v32
	v_min_u32_e32 v34, 32, v30
	v_subrev_u32_e32 v30, 28, v34
	v_bfe_u32 v33, v17, 19, 4
	v_lshlrev_b64 v[30:31], v30, v[6:7]
	v_sub_u32_e32 v31, 29, v34
	v_cmp_eq_u32_e32 vcc, 0, v33
	v_and_b32_e32 v30, 7, v30
	v_lshlrev_b32_e32 v6, 8, v6
	v_cndmask_b32_e32 v31, v33, v31, vcc
	v_lshl_add_u32 v31, v31, 10, v28
	v_cndmask_b32_e32 v30, v32, v30, vcc
	v_and_or_b32 v6, v6, s34, v31
	v_lshl_or_b32 v6, v30, 7, v6
	v_cvt_f32_f16_e32 v30, v6
.LBB242_333:                            ;   in Loop: Header=BB242_304 Depth=1
	s_or_b64 exec, exec, s[12:13]
	v_lshrrev_b32_e32 v6, 24, v17
	v_cmp_lt_i16_e32 vcc, s30, v6
	s_mov_b64 s[0:1], 0
                                        ; implicit-def: $sgpr18
	s_and_saveexec_b64 s[12:13], vcc
	s_xor_b64 s[12:13], exec, s[12:13]
	s_cbranch_execnz .LBB242_469
; %bb.334:                              ;   in Loop: Header=BB242_304 Depth=1
	s_or_saveexec_b64 s[12:13], s[12:13]
	v_mov_b32_e32 v32, s18
	s_xor_b64 exec, exec, s[12:13]
	s_cbranch_execnz .LBB242_472
.LBB242_335:                            ;   in Loop: Header=BB242_304 Depth=1
	s_or_b64 exec, exec, s[12:13]
	s_and_saveexec_b64 s[12:13], s[0:1]
	s_cbranch_execz .LBB242_337
.LBB242_336:                            ;   in Loop: Header=BB242_304 Depth=1
	v_bfe_u32 v31, v17, 24, 3
	v_ffbh_u32_e32 v32, v31
	v_min_u32_e32 v34, 32, v32
	v_subrev_u32_e32 v32, 28, v34
	v_bfe_u32 v17, v17, 27, 4
	v_lshlrev_b64 v[32:33], v32, v[6:7]
	v_sub_u32_e32 v33, 29, v34
	v_cmp_eq_u32_e32 vcc, 0, v17
	v_and_b32_e32 v32, 7, v32
	v_lshlrev_b32_e32 v6, 8, v6
	v_cndmask_b32_e32 v17, v17, v33, vcc
	v_lshl_add_u32 v17, v17, 10, v28
	v_cndmask_b32_e32 v31, v31, v32, vcc
	v_and_or_b32 v6, v6, s34, v17
	v_lshl_or_b32 v6, v31, 7, v6
	v_cvt_f32_f16_e32 v32, v6
.LBB242_337:                            ;   in Loop: Header=BB242_304 Depth=1
	s_or_b64 exec, exec, s[12:13]
	s_waitcnt vmcnt(0)
	v_pk_mul_f32 v[20:21], v[14:15], v[20:21] op_sel_hi:[0,1]
	v_pk_mul_f32 v[18:19], v[14:15], v[18:19] op_sel_hi:[0,1]
	v_cvt_f16_f32_e32 v6, v21
	v_cvt_f16_f32_e32 v17, v20
	;; [unrolled: 1-line block ×4, first 2 shown]
	v_fma_mixlo_f16 v16, v14, v16, 0
	v_pack_b32_f16 v17, v17, v6
	v_add_u32_e32 v31, v25, v15
	v_pack_b32_f16 v18, v18, v19
	v_perm_b32 v6, v18, v17, s40
	v_perm_b32 v17, v18, v17, s41
	v_fma_mixlo_f16 v18, v14, v29, 0
	v_lshlrev_b32_e32 v18, 16, v18
	v_or_b32_sdwa v16, v18, v16 dst_sel:DWORD dst_unused:UNUSED_PAD src0_sel:DWORD src1_sel:WORD_0
	v_fma_mixlo_f16 v18, v14, v30, 0
	v_fma_mixlo_f16 v14, v14, v32, 0
	v_lshlrev_b32_e32 v14, 16, v14
	v_cmp_eq_u32_e32 vcc, s37, v1
	v_or_b32_sdwa v14, v14, v18 dst_sel:DWORD dst_unused:UNUSED_PAD src0_sel:DWORD src1_sel:WORD_0
	v_add_u32_e32 v36, 1, v31
	v_or_b32_e32 v35, 3, v31
	v_or_b32_e32 v34, 2, v31
	;; [unrolled: 1-line block ×6, first 2 shown]
	s_and_saveexec_b64 s[12:13], vcc
	s_cbranch_execz .LBB242_339
; %bb.338:                              ;   in Loop: Header=BB242_304 Depth=1
	v_lshrrev_b32_e32 v19, 16, v17
	v_cmp_gt_i32_e64 s[0:1], s39, v36
	v_lshrrev_b32_e32 v14, 16, v14
	s_nop 0
	v_cndmask_b32_e64 v19, 0, v19, s[0:1]
	v_cmp_gt_i32_e64 s[0:1], s25, v31
	s_nop 1
	v_cndmask_b32_e64 v17, 0, v17, s[0:1]
	v_perm_b32 v17, v19, v17, s42
	v_lshrrev_b32_e32 v19, 16, v6
	v_cmp_gt_i32_e64 s[0:1], s39, v35
	s_nop 1
	v_cndmask_b32_e64 v19, 0, v19, s[0:1]
	v_cmp_gt_i32_e64 s[0:1], s25, v34
	s_nop 1
	v_cndmask_b32_e64 v6, 0, v6, s[0:1]
	v_perm_b32 v6, v19, v6, s42
	v_lshrrev_b32_e32 v19, 16, v16
	v_cmp_gt_i32_e64 s[0:1], s39, v33
	s_nop 1
	v_cndmask_b32_e64 v19, 0, v19, s[0:1]
	v_cmp_gt_i32_e64 s[0:1], s25, v32
	s_nop 1
	v_cndmask_b32_e64 v16, 0, v16, s[0:1]
	v_cmp_gt_i32_e64 s[0:1], s39, v30
	v_perm_b32 v16, v19, v16, s42
	s_nop 0
	v_cndmask_b32_e64 v14, 0, v14, s[0:1]
	v_cmp_gt_i32_e64 s[0:1], s25, v29
	s_nop 1
	v_cndmask_b32_e64 v18, 0, v18, s[0:1]
	v_perm_b32 v14, v14, v18, s42
.LBB242_339:                            ;   in Loop: Header=BB242_304 Depth=1
	s_or_b64 exec, exec, s[12:13]
	v_and_b32_e32 v18, 0xffff, v37
	v_lshl_or_b32 v40, v38, 16, v18
	v_and_b32_e32 v18, 0xffff, v39
	v_lshl_or_b32 v39, v41, 16, v18
	;; [unrolled: 2-line block ×3, first 2 shown]
	v_and_b32_e32 v18, 0xffff, v44
	;;#ASMSTART
	v_pk_mul_f16 v17, v40, v17;

	;;#ASMEND
	;;#ASMSTART
	v_pk_mul_f16 v6, v39, v6;

	;;#ASMEND
	v_lshl_or_b32 v37, v45, 16, v18
	;;#ASMSTART
	v_pk_mul_f16 v16, v38, v16;

	;;#ASMEND
	;;#ASMSTART
	v_pk_mul_f16 v14, v37, v14;

	;;#ASMEND
	;;#ASMSTART
	v_pk_add_f16 v6, v17, v6;

	;;#ASMEND
	s_mov_b64 s[0:1], 0
	;;#ASMSTART
	v_pk_add_f16 v6, v6, v16;

	;;#ASMEND
                                        ; implicit-def: $sgpr18
	s_nop 0
	;;#ASMSTART
	v_pk_add_f16 v6, v6, v14;

	;;#ASMEND
	s_nop 0
	v_lshrrev_b32_e32 v14, 16, v6
	v_and_b32_e32 v6, 0xffff, v6
	;;#ASMSTART
	v_cvt_f32_f16 v41, v6;
	;;#ASMEND
	;;#ASMSTART
	v_cvt_f32_f16 v42, v14;
	;;#ASMEND
	global_load_dwordx2 v[16:17], v[12:13], off offset:512
	global_load_dword v14, v7, s[14:15]
	s_waitcnt vmcnt(1)
	v_cmp_gt_i16_sdwa s[12:13], v16, s30 src0_sel:BYTE_0 src1_sel:DWORD
	s_and_saveexec_b64 s[16:17], s[12:13]
	s_xor_b64 s[12:13], exec, s[16:17]
	s_cbranch_execnz .LBB242_473
; %bb.340:                              ;   in Loop: Header=BB242_304 Depth=1
	s_or_saveexec_b64 s[12:13], s[12:13]
	v_mov_b32_e32 v18, s18
	s_xor_b64 exec, exec, s[12:13]
	s_cbranch_execnz .LBB242_476
.LBB242_341:                            ;   in Loop: Header=BB242_304 Depth=1
	s_or_b64 exec, exec, s[12:13]
	s_and_saveexec_b64 s[12:13], s[0:1]
	s_cbranch_execz .LBB242_343
.LBB242_342:                            ;   in Loop: Header=BB242_304 Depth=1
	v_and_b32_e32 v6, 7, v16
	v_ffbh_u32_e32 v6, v6
	v_bfe_u32 v18, v16, 3, 4
	v_min_u32_e32 v6, 32, v6
	v_subrev_u32_e32 v19, 28, v6
	v_sub_u32_e32 v6, 29, v6
	v_cmp_eq_u32_e64 s[0:1], 0, v18
	s_nop 1
	v_cndmask_b32_e64 v6, v18, v6, s[0:1]
	v_cndmask_b32_e64 v18, 0, v19, s[0:1]
	v_lshlrev_b64 v[18:19], v18, v[16:17]
	v_lshlrev_b32_e32 v19, 8, v16
	v_lshl_add_u32 v6, v6, 10, v28
	v_lshlrev_b32_e32 v18, 7, v18
	v_and_or_b32 v6, v19, s34, v6
	v_and_or_b32 v6, v18, s35, v6
	v_cvt_f32_f16_e32 v18, v6
.LBB242_343:                            ;   in Loop: Header=BB242_304 Depth=1
	s_or_b64 exec, exec, s[12:13]
	v_lshrrev_b16_e32 v6, 8, v16
	v_cmp_lt_i16_e64 s[0:1], s30, v6
	s_mov_b64 s[12:13], 0
                                        ; implicit-def: $sgpr43
	s_and_saveexec_b64 s[16:17], s[0:1]
	s_xor_b64 s[16:17], exec, s[16:17]
	s_cbranch_execnz .LBB242_477
; %bb.344:                              ;   in Loop: Header=BB242_304 Depth=1
	s_or_saveexec_b64 s[16:17], s[16:17]
	v_mov_b32_e32 v20, s43
	s_xor_b64 exec, exec, s[16:17]
	s_cbranch_execnz .LBB242_480
.LBB242_345:                            ;   in Loop: Header=BB242_304 Depth=1
	s_or_b64 exec, exec, s[16:17]
	s_and_saveexec_b64 s[16:17], s[12:13]
	s_cbranch_execz .LBB242_347
.LBB242_346:                            ;   in Loop: Header=BB242_304 Depth=1
	v_and_b32_e32 v19, 7, v6
	v_ffbh_u32_e32 v20, v19
	v_min_u32_e32 v44, 32, v20
	v_subrev_u32_e32 v20, 28, v44
	v_bfe_u32 v43, v6, 3, 4
	v_lshlrev_b64 v[20:21], v20, v[6:7]
	v_sub_u32_e32 v21, 29, v44
	v_cmp_eq_u32_e64 s[0:1], 0, v43
	v_and_b32_e32 v20, 7, v20
	v_lshlrev_b32_e32 v6, 8, v6
	v_cndmask_b32_e64 v21, v43, v21, s[0:1]
	v_cndmask_b32_e64 v19, v19, v20, s[0:1]
	v_lshl_add_u32 v20, v21, 10, v28
	v_and_or_b32 v6, v6, s34, v20
	v_lshl_or_b32 v6, v19, 7, v6
	v_cvt_f32_f16_e32 v20, v6
.LBB242_347:                            ;   in Loop: Header=BB242_304 Depth=1
	s_or_b64 exec, exec, s[16:17]
	v_lshrrev_b32_e32 v6, 16, v16
	v_cmp_gt_i16_sdwa s[12:13], v6, s30 src0_sel:BYTE_0 src1_sel:DWORD
	s_mov_b64 s[0:1], 0
                                        ; implicit-def: $sgpr18
	s_and_saveexec_b64 s[16:17], s[12:13]
	s_xor_b64 s[12:13], exec, s[16:17]
	s_cbranch_execnz .LBB242_481
; %bb.348:                              ;   in Loop: Header=BB242_304 Depth=1
	s_or_saveexec_b64 s[12:13], s[12:13]
	v_mov_b32_e32 v19, s18
	s_xor_b64 exec, exec, s[12:13]
	s_cbranch_execnz .LBB242_484
.LBB242_349:                            ;   in Loop: Header=BB242_304 Depth=1
	s_or_b64 exec, exec, s[12:13]
	s_and_saveexec_b64 s[12:13], s[0:1]
	s_cbranch_execz .LBB242_351
.LBB242_350:                            ;   in Loop: Header=BB242_304 Depth=1
	v_bfe_u32 v19, v16, 16, 3
	v_ffbh_u32_e32 v43, v19
	v_bfe_u32 v21, v16, 19, 4
	v_min_u32_e32 v43, 32, v43
	v_subrev_u32_e32 v44, 28, v43
	v_sub_u32_e32 v43, 29, v43
	v_cmp_eq_u32_e64 s[0:1], 0, v21
	v_lshlrev_b64 v[44:45], v44, v[6:7]
	v_and_b32_e32 v44, 7, v44
	v_cndmask_b32_e64 v21, v21, v43, s[0:1]
	v_lshlrev_b32_e32 v6, 8, v6
	v_lshl_add_u32 v21, v21, 10, v28
	v_cndmask_b32_e64 v19, v19, v44, s[0:1]
	v_and_or_b32 v6, v6, s34, v21
	v_lshl_or_b32 v6, v19, 7, v6
	v_cvt_f32_f16_e32 v19, v6
.LBB242_351:                            ;   in Loop: Header=BB242_304 Depth=1
	s_or_b64 exec, exec, s[12:13]
	v_lshrrev_b32_e32 v6, 24, v16
	v_cmp_lt_i16_e64 s[0:1], s30, v6
	s_mov_b64 s[12:13], 0
                                        ; implicit-def: $sgpr43
	s_and_saveexec_b64 s[16:17], s[0:1]
	s_xor_b64 s[16:17], exec, s[16:17]
	s_cbranch_execnz .LBB242_485
; %bb.352:                              ;   in Loop: Header=BB242_304 Depth=1
	s_or_saveexec_b64 s[16:17], s[16:17]
	v_mov_b32_e32 v21, s43
	s_xor_b64 exec, exec, s[16:17]
	s_cbranch_execnz .LBB242_488
.LBB242_353:                            ;   in Loop: Header=BB242_304 Depth=1
	s_or_b64 exec, exec, s[16:17]
	s_and_saveexec_b64 s[16:17], s[12:13]
	s_cbranch_execz .LBB242_355
.LBB242_354:                            ;   in Loop: Header=BB242_304 Depth=1
	v_bfe_u32 v21, v16, 24, 3
	v_ffbh_u32_e32 v43, v21
	v_bfe_u32 v16, v16, 27, 4
	v_min_u32_e32 v43, 32, v43
	v_subrev_u32_e32 v44, 28, v43
	v_sub_u32_e32 v43, 29, v43
	v_cmp_eq_u32_e64 s[0:1], 0, v16
	v_lshlrev_b64 v[44:45], v44, v[6:7]
	v_and_b32_e32 v44, 7, v44
	v_cndmask_b32_e64 v16, v16, v43, s[0:1]
	v_lshlrev_b32_e32 v6, 8, v6
	v_lshl_add_u32 v16, v16, 10, v28
	v_cndmask_b32_e64 v21, v21, v44, s[0:1]
	v_and_or_b32 v6, v6, s34, v16
	v_lshl_or_b32 v6, v21, 7, v6
	v_cvt_f32_f16_e32 v21, v6
.LBB242_355:                            ;   in Loop: Header=BB242_304 Depth=1
	s_or_b64 exec, exec, s[16:17]
	v_cmp_gt_i16_sdwa s[12:13], v17, s30 src0_sel:BYTE_0 src1_sel:DWORD
	s_mov_b64 s[0:1], 0
                                        ; implicit-def: $sgpr18
	s_and_saveexec_b64 s[16:17], s[12:13]
	s_xor_b64 s[12:13], exec, s[16:17]
	s_cbranch_execnz .LBB242_489
; %bb.356:                              ;   in Loop: Header=BB242_304 Depth=1
	s_or_saveexec_b64 s[12:13], s[12:13]
	v_mov_b32_e32 v16, s18
	s_xor_b64 exec, exec, s[12:13]
	s_cbranch_execnz .LBB242_492
.LBB242_357:                            ;   in Loop: Header=BB242_304 Depth=1
	s_or_b64 exec, exec, s[12:13]
	v_mov_b32_e32 v6, v17
	s_and_saveexec_b64 s[12:13], s[0:1]
	s_cbranch_execz .LBB242_359
.LBB242_358:                            ;   in Loop: Header=BB242_304 Depth=1
	v_and_b32_e32 v16, 7, v17
	v_ffbh_u32_e32 v16, v16
	v_bfe_u32 v43, v17, 3, 4
	v_min_u32_e32 v16, 32, v16
	v_subrev_u32_e32 v44, 28, v16
	v_sub_u32_e32 v16, 29, v16
	v_cmp_eq_u32_e64 s[0:1], 0, v43
	s_nop 1
	v_cndmask_b32_e64 v16, v43, v16, s[0:1]
	v_cndmask_b32_e64 v43, 0, v44, s[0:1]
	v_lshlrev_b64 v[44:45], v43, v[6:7]
	v_lshlrev_b32_e32 v43, 7, v44
	v_lshlrev_b32_e32 v44, 8, v17
	v_lshl_add_u32 v16, v16, 10, v28
	v_and_or_b32 v16, v44, s34, v16
	v_and_or_b32 v16, v43, s35, v16
	v_cvt_f32_f16_e32 v16, v16
.LBB242_359:                            ;   in Loop: Header=BB242_304 Depth=1
	s_or_b64 exec, exec, s[12:13]
	v_lshrrev_b16_e32 v6, 8, v6
	v_cmp_lt_i16_e64 s[0:1], s30, v6
	s_mov_b64 s[12:13], 0
                                        ; implicit-def: $sgpr43
	s_and_saveexec_b64 s[16:17], s[0:1]
	s_xor_b64 s[16:17], exec, s[16:17]
	s_cbranch_execnz .LBB242_493
; %bb.360:                              ;   in Loop: Header=BB242_304 Depth=1
	s_or_saveexec_b64 s[16:17], s[16:17]
	v_mov_b32_e32 v43, s43
	s_xor_b64 exec, exec, s[16:17]
	s_cbranch_execnz .LBB242_496
.LBB242_361:                            ;   in Loop: Header=BB242_304 Depth=1
	s_or_b64 exec, exec, s[16:17]
	s_and_saveexec_b64 s[16:17], s[12:13]
	s_cbranch_execz .LBB242_363
.LBB242_362:                            ;   in Loop: Header=BB242_304 Depth=1
	v_and_b32_e32 v43, 7, v6
	v_ffbh_u32_e32 v44, v43
	v_min_u32_e32 v47, 32, v44
	v_subrev_u32_e32 v44, 28, v47
	v_bfe_u32 v46, v6, 3, 4
	v_lshlrev_b64 v[44:45], v44, v[6:7]
	v_sub_u32_e32 v45, 29, v47
	v_cmp_eq_u32_e64 s[0:1], 0, v46
	v_and_b32_e32 v44, 7, v44
	v_lshlrev_b32_e32 v6, 8, v6
	v_cndmask_b32_e64 v45, v46, v45, s[0:1]
	v_cndmask_b32_e64 v43, v43, v44, s[0:1]
	v_lshl_add_u32 v44, v45, 10, v28
	v_and_or_b32 v6, v6, s34, v44
	v_lshl_or_b32 v6, v43, 7, v6
	v_cvt_f32_f16_e32 v43, v6
.LBB242_363:                            ;   in Loop: Header=BB242_304 Depth=1
	s_or_b64 exec, exec, s[16:17]
	v_lshrrev_b32_e32 v6, 16, v17
	v_cmp_gt_i16_sdwa s[12:13], v6, s30 src0_sel:BYTE_0 src1_sel:DWORD
	s_mov_b64 s[0:1], 0
                                        ; implicit-def: $sgpr18
	s_and_saveexec_b64 s[16:17], s[12:13]
	s_xor_b64 s[12:13], exec, s[16:17]
	s_cbranch_execnz .LBB242_497
; %bb.364:                              ;   in Loop: Header=BB242_304 Depth=1
	s_or_saveexec_b64 s[12:13], s[12:13]
	v_mov_b32_e32 v44, s18
	s_xor_b64 exec, exec, s[12:13]
	s_cbranch_execnz .LBB242_500
.LBB242_365:                            ;   in Loop: Header=BB242_304 Depth=1
	s_or_b64 exec, exec, s[12:13]
	s_and_saveexec_b64 s[12:13], s[0:1]
	s_cbranch_execz .LBB242_367
.LBB242_366:                            ;   in Loop: Header=BB242_304 Depth=1
	v_bfe_u32 v46, v17, 16, 3
	v_ffbh_u32_e32 v44, v46
	v_min_u32_e32 v48, 32, v44
	v_subrev_u32_e32 v44, 28, v48
	v_bfe_u32 v47, v17, 19, 4
	v_lshlrev_b64 v[44:45], v44, v[6:7]
	v_sub_u32_e32 v45, 29, v48
	v_cmp_eq_u32_e64 s[0:1], 0, v47
	v_and_b32_e32 v44, 7, v44
	v_lshlrev_b32_e32 v6, 8, v6
	v_cndmask_b32_e64 v45, v47, v45, s[0:1]
	v_lshl_add_u32 v45, v45, 10, v28
	v_cndmask_b32_e64 v44, v46, v44, s[0:1]
	v_and_or_b32 v6, v6, s34, v45
	v_lshl_or_b32 v6, v44, 7, v6
	v_cvt_f32_f16_e32 v44, v6
.LBB242_367:                            ;   in Loop: Header=BB242_304 Depth=1
	s_or_b64 exec, exec, s[12:13]
	v_lshrrev_b32_e32 v6, 24, v17
	v_cmp_lt_i16_e64 s[0:1], s30, v6
	s_mov_b64 s[12:13], 0
                                        ; implicit-def: $sgpr43
	s_and_saveexec_b64 s[16:17], s[0:1]
	s_xor_b64 s[16:17], exec, s[16:17]
	s_cbranch_execnz .LBB242_501
; %bb.368:                              ;   in Loop: Header=BB242_304 Depth=1
	s_or_saveexec_b64 s[16:17], s[16:17]
	v_mov_b32_e32 v45, s43
	s_xor_b64 exec, exec, s[16:17]
	s_cbranch_execnz .LBB242_504
.LBB242_369:                            ;   in Loop: Header=BB242_304 Depth=1
	s_or_b64 exec, exec, s[16:17]
	s_and_saveexec_b64 s[16:17], s[12:13]
	s_cbranch_execz .LBB242_371
.LBB242_370:                            ;   in Loop: Header=BB242_304 Depth=1
	v_bfe_u32 v45, v17, 24, 3
	v_ffbh_u32_e32 v46, v45
	v_min_u32_e32 v48, 32, v46
	v_subrev_u32_e32 v46, 28, v48
	v_bfe_u32 v17, v17, 27, 4
	v_lshlrev_b64 v[46:47], v46, v[6:7]
	v_sub_u32_e32 v47, 29, v48
	v_cmp_eq_u32_e64 s[0:1], 0, v17
	v_and_b32_e32 v46, 7, v46
	v_lshlrev_b32_e32 v6, 8, v6
	v_cndmask_b32_e64 v17, v17, v47, s[0:1]
	v_lshl_add_u32 v17, v17, 10, v28
	v_cndmask_b32_e64 v45, v45, v46, s[0:1]
	v_and_or_b32 v6, v6, s34, v17
	v_lshl_or_b32 v6, v45, 7, v6
	v_cvt_f32_f16_e32 v45, v6
.LBB242_371:                            ;   in Loop: Header=BB242_304 Depth=1
	s_or_b64 exec, exec, s[16:17]
	s_waitcnt vmcnt(0)
	v_pk_mul_f32 v[20:21], v[14:15], v[20:21] op_sel_hi:[0,1]
	v_pk_mul_f32 v[18:19], v[14:15], v[18:19] op_sel_hi:[0,1]
	v_cvt_f16_f32_e32 v6, v21
	v_cvt_f16_f32_e32 v17, v20
	;; [unrolled: 1-line block ×4, first 2 shown]
	v_fma_mixlo_f16 v16, v14, v16, 0
	v_pack_b32_f16 v17, v17, v6
	v_pack_b32_f16 v18, v18, v19
	v_perm_b32 v6, v18, v17, s40
	v_perm_b32 v17, v18, v17, s41
	v_fma_mixlo_f16 v18, v14, v43, 0
	v_lshlrev_b32_e32 v18, 16, v18
	v_or_b32_sdwa v16, v18, v16 dst_sel:DWORD dst_unused:UNUSED_PAD src0_sel:DWORD src1_sel:WORD_0
	v_fma_mixlo_f16 v18, v14, v44, 0
	v_fma_mixlo_f16 v14, v14, v45, 0
	v_lshlrev_b32_e32 v14, 16, v14
	v_or_b32_sdwa v14, v14, v18 dst_sel:DWORD dst_unused:UNUSED_PAD src0_sel:DWORD src1_sel:WORD_0
	s_and_saveexec_b64 s[12:13], vcc
	s_cbranch_execz .LBB242_373
; %bb.372:                              ;   in Loop: Header=BB242_304 Depth=1
	v_lshrrev_b32_e32 v19, 16, v17
	v_cmp_gt_i32_e64 s[0:1], s39, v36
	v_lshrrev_b32_e32 v14, 16, v14
	s_nop 0
	v_cndmask_b32_e64 v19, 0, v19, s[0:1]
	v_cmp_gt_i32_e64 s[0:1], s25, v31
	s_nop 1
	v_cndmask_b32_e64 v17, 0, v17, s[0:1]
	v_perm_b32 v17, v19, v17, s42
	v_lshrrev_b32_e32 v19, 16, v6
	v_cmp_gt_i32_e64 s[0:1], s39, v35
	s_nop 1
	v_cndmask_b32_e64 v19, 0, v19, s[0:1]
	v_cmp_gt_i32_e64 s[0:1], s25, v34
	s_nop 1
	v_cndmask_b32_e64 v6, 0, v6, s[0:1]
	v_perm_b32 v6, v19, v6, s42
	v_lshrrev_b32_e32 v19, 16, v16
	v_cmp_gt_i32_e64 s[0:1], s39, v33
	s_nop 1
	v_cndmask_b32_e64 v19, 0, v19, s[0:1]
	v_cmp_gt_i32_e64 s[0:1], s25, v32
	s_nop 1
	v_cndmask_b32_e64 v16, 0, v16, s[0:1]
	v_cmp_gt_i32_e64 s[0:1], s39, v30
	v_perm_b32 v16, v19, v16, s42
	s_nop 0
	v_cndmask_b32_e64 v14, 0, v14, s[0:1]
	v_cmp_gt_i32_e64 s[0:1], s25, v29
	s_nop 1
	v_cndmask_b32_e64 v18, 0, v18, s[0:1]
	v_perm_b32 v14, v14, v18, s42
.LBB242_373:                            ;   in Loop: Header=BB242_304 Depth=1
	s_or_b64 exec, exec, s[12:13]
	;;#ASMSTART
	v_pk_mul_f16 v17, v40, v17;

	;;#ASMEND
	;;#ASMSTART
	v_pk_mul_f16 v6, v39, v6;

	;;#ASMEND
	;; [unrolled: 4-line block ×4, first 2 shown]
	s_mov_b64 s[0:1], 0
	;;#ASMSTART
	v_pk_add_f16 v6, v17, v6;

	;;#ASMEND
                                        ; implicit-def: $sgpr18
	s_nop 0
	;;#ASMSTART
	v_pk_add_f16 v6, v6, v16;

	;;#ASMEND
	s_nop 0
	;;#ASMSTART
	v_pk_add_f16 v6, v6, v14;

	;;#ASMEND
	s_nop 0
	v_lshrrev_b32_e32 v14, 16, v6
	v_and_b32_e32 v6, 0xffff, v6
	;;#ASMSTART
	v_cvt_f32_f16 v43, v6;
	;;#ASMEND
	;;#ASMSTART
	v_cvt_f32_f16 v44, v14;
	;;#ASMEND
	global_load_dwordx2 v[16:17], v[12:13], off offset:1024
	global_load_dword v14, v7, s[14:15]
	s_waitcnt vmcnt(1)
	v_cmp_gt_i16_sdwa s[12:13], v16, s30 src0_sel:BYTE_0 src1_sel:DWORD
	s_and_saveexec_b64 s[16:17], s[12:13]
	s_xor_b64 s[12:13], exec, s[16:17]
	s_cbranch_execnz .LBB242_505
; %bb.374:                              ;   in Loop: Header=BB242_304 Depth=1
	s_or_saveexec_b64 s[12:13], s[12:13]
	v_mov_b32_e32 v18, s18
	s_xor_b64 exec, exec, s[12:13]
	s_cbranch_execnz .LBB242_508
.LBB242_375:                            ;   in Loop: Header=BB242_304 Depth=1
	s_or_b64 exec, exec, s[12:13]
	s_and_saveexec_b64 s[12:13], s[0:1]
	s_cbranch_execz .LBB242_377
.LBB242_376:                            ;   in Loop: Header=BB242_304 Depth=1
	v_and_b32_e32 v6, 7, v16
	v_ffbh_u32_e32 v6, v6
	v_bfe_u32 v18, v16, 3, 4
	v_min_u32_e32 v6, 32, v6
	v_subrev_u32_e32 v19, 28, v6
	v_sub_u32_e32 v6, 29, v6
	v_cmp_eq_u32_e64 s[0:1], 0, v18
	s_nop 1
	v_cndmask_b32_e64 v6, v18, v6, s[0:1]
	v_cndmask_b32_e64 v18, 0, v19, s[0:1]
	v_lshlrev_b64 v[18:19], v18, v[16:17]
	v_lshlrev_b32_e32 v19, 8, v16
	v_lshl_add_u32 v6, v6, 10, v28
	v_lshlrev_b32_e32 v18, 7, v18
	v_and_or_b32 v6, v19, s34, v6
	v_and_or_b32 v6, v18, s35, v6
	v_cvt_f32_f16_e32 v18, v6
.LBB242_377:                            ;   in Loop: Header=BB242_304 Depth=1
	s_or_b64 exec, exec, s[12:13]
	v_lshrrev_b16_e32 v6, 8, v16
	v_cmp_lt_i16_e64 s[0:1], s30, v6
	s_mov_b64 s[12:13], 0
                                        ; implicit-def: $sgpr43
	s_and_saveexec_b64 s[16:17], s[0:1]
	s_xor_b64 s[16:17], exec, s[16:17]
	s_cbranch_execnz .LBB242_509
; %bb.378:                              ;   in Loop: Header=BB242_304 Depth=1
	s_or_saveexec_b64 s[16:17], s[16:17]
	v_mov_b32_e32 v20, s43
	s_xor_b64 exec, exec, s[16:17]
	s_cbranch_execnz .LBB242_512
.LBB242_379:                            ;   in Loop: Header=BB242_304 Depth=1
	s_or_b64 exec, exec, s[16:17]
	s_and_saveexec_b64 s[16:17], s[12:13]
	s_cbranch_execz .LBB242_381
.LBB242_380:                            ;   in Loop: Header=BB242_304 Depth=1
	v_and_b32_e32 v19, 7, v6
	v_ffbh_u32_e32 v20, v19
	v_min_u32_e32 v46, 32, v20
	v_subrev_u32_e32 v20, 28, v46
	v_bfe_u32 v45, v6, 3, 4
	v_lshlrev_b64 v[20:21], v20, v[6:7]
	v_sub_u32_e32 v21, 29, v46
	v_cmp_eq_u32_e64 s[0:1], 0, v45
	v_and_b32_e32 v20, 7, v20
	v_lshlrev_b32_e32 v6, 8, v6
	v_cndmask_b32_e64 v21, v45, v21, s[0:1]
	v_cndmask_b32_e64 v19, v19, v20, s[0:1]
	v_lshl_add_u32 v20, v21, 10, v28
	v_and_or_b32 v6, v6, s34, v20
	v_lshl_or_b32 v6, v19, 7, v6
	v_cvt_f32_f16_e32 v20, v6
.LBB242_381:                            ;   in Loop: Header=BB242_304 Depth=1
	s_or_b64 exec, exec, s[16:17]
	v_lshrrev_b32_e32 v6, 16, v16
	v_cmp_gt_i16_sdwa s[12:13], v6, s30 src0_sel:BYTE_0 src1_sel:DWORD
	s_mov_b64 s[0:1], 0
                                        ; implicit-def: $sgpr18
	s_and_saveexec_b64 s[16:17], s[12:13]
	s_xor_b64 s[12:13], exec, s[16:17]
	s_cbranch_execnz .LBB242_513
; %bb.382:                              ;   in Loop: Header=BB242_304 Depth=1
	s_or_saveexec_b64 s[12:13], s[12:13]
	v_mov_b32_e32 v19, s18
	s_xor_b64 exec, exec, s[12:13]
	s_cbranch_execnz .LBB242_516
.LBB242_383:                            ;   in Loop: Header=BB242_304 Depth=1
	s_or_b64 exec, exec, s[12:13]
	s_and_saveexec_b64 s[12:13], s[0:1]
	s_cbranch_execz .LBB242_385
.LBB242_384:                            ;   in Loop: Header=BB242_304 Depth=1
	v_bfe_u32 v19, v16, 16, 3
	v_ffbh_u32_e32 v45, v19
	v_bfe_u32 v21, v16, 19, 4
	v_min_u32_e32 v45, 32, v45
	v_subrev_u32_e32 v46, 28, v45
	v_sub_u32_e32 v45, 29, v45
	v_cmp_eq_u32_e64 s[0:1], 0, v21
	v_lshlrev_b64 v[46:47], v46, v[6:7]
	v_and_b32_e32 v46, 7, v46
	v_cndmask_b32_e64 v21, v21, v45, s[0:1]
	v_lshlrev_b32_e32 v6, 8, v6
	v_lshl_add_u32 v21, v21, 10, v28
	v_cndmask_b32_e64 v19, v19, v46, s[0:1]
	v_and_or_b32 v6, v6, s34, v21
	v_lshl_or_b32 v6, v19, 7, v6
	v_cvt_f32_f16_e32 v19, v6
.LBB242_385:                            ;   in Loop: Header=BB242_304 Depth=1
	s_or_b64 exec, exec, s[12:13]
	v_lshrrev_b32_e32 v6, 24, v16
	v_cmp_lt_i16_e64 s[0:1], s30, v6
	s_mov_b64 s[12:13], 0
                                        ; implicit-def: $sgpr43
	s_and_saveexec_b64 s[16:17], s[0:1]
	s_xor_b64 s[16:17], exec, s[16:17]
	s_cbranch_execnz .LBB242_517
; %bb.386:                              ;   in Loop: Header=BB242_304 Depth=1
	s_or_saveexec_b64 s[16:17], s[16:17]
	v_mov_b32_e32 v21, s43
	s_xor_b64 exec, exec, s[16:17]
	s_cbranch_execnz .LBB242_520
.LBB242_387:                            ;   in Loop: Header=BB242_304 Depth=1
	s_or_b64 exec, exec, s[16:17]
	s_and_saveexec_b64 s[16:17], s[12:13]
	s_cbranch_execz .LBB242_389
.LBB242_388:                            ;   in Loop: Header=BB242_304 Depth=1
	v_bfe_u32 v21, v16, 24, 3
	v_ffbh_u32_e32 v45, v21
	v_bfe_u32 v16, v16, 27, 4
	v_min_u32_e32 v45, 32, v45
	v_subrev_u32_e32 v46, 28, v45
	v_sub_u32_e32 v45, 29, v45
	v_cmp_eq_u32_e64 s[0:1], 0, v16
	v_lshlrev_b64 v[46:47], v46, v[6:7]
	v_and_b32_e32 v46, 7, v46
	v_cndmask_b32_e64 v16, v16, v45, s[0:1]
	v_lshlrev_b32_e32 v6, 8, v6
	v_lshl_add_u32 v16, v16, 10, v28
	v_cndmask_b32_e64 v21, v21, v46, s[0:1]
	v_and_or_b32 v6, v6, s34, v16
	v_lshl_or_b32 v6, v21, 7, v6
	v_cvt_f32_f16_e32 v21, v6
.LBB242_389:                            ;   in Loop: Header=BB242_304 Depth=1
	s_or_b64 exec, exec, s[16:17]
	v_cmp_gt_i16_sdwa s[12:13], v17, s30 src0_sel:BYTE_0 src1_sel:DWORD
	s_mov_b64 s[0:1], 0
                                        ; implicit-def: $sgpr18
	s_and_saveexec_b64 s[16:17], s[12:13]
	s_xor_b64 s[12:13], exec, s[16:17]
	s_cbranch_execnz .LBB242_521
; %bb.390:                              ;   in Loop: Header=BB242_304 Depth=1
	s_or_saveexec_b64 s[12:13], s[12:13]
	v_mov_b32_e32 v16, s18
	s_xor_b64 exec, exec, s[12:13]
	s_cbranch_execnz .LBB242_524
.LBB242_391:                            ;   in Loop: Header=BB242_304 Depth=1
	s_or_b64 exec, exec, s[12:13]
	v_mov_b32_e32 v6, v17
	s_and_saveexec_b64 s[12:13], s[0:1]
	s_cbranch_execz .LBB242_393
.LBB242_392:                            ;   in Loop: Header=BB242_304 Depth=1
	v_and_b32_e32 v16, 7, v17
	v_ffbh_u32_e32 v16, v16
	v_bfe_u32 v45, v17, 3, 4
	v_min_u32_e32 v16, 32, v16
	v_subrev_u32_e32 v46, 28, v16
	v_sub_u32_e32 v16, 29, v16
	v_cmp_eq_u32_e64 s[0:1], 0, v45
	s_nop 1
	v_cndmask_b32_e64 v16, v45, v16, s[0:1]
	v_cndmask_b32_e64 v45, 0, v46, s[0:1]
	v_lshlrev_b64 v[46:47], v45, v[6:7]
	v_lshlrev_b32_e32 v45, 7, v46
	v_lshlrev_b32_e32 v46, 8, v17
	v_lshl_add_u32 v16, v16, 10, v28
	v_and_or_b32 v16, v46, s34, v16
	v_and_or_b32 v16, v45, s35, v16
	v_cvt_f32_f16_e32 v16, v16
.LBB242_393:                            ;   in Loop: Header=BB242_304 Depth=1
	s_or_b64 exec, exec, s[12:13]
	v_lshrrev_b16_e32 v6, 8, v6
	v_cmp_lt_i16_e64 s[0:1], s30, v6
	s_mov_b64 s[12:13], 0
                                        ; implicit-def: $sgpr43
	s_and_saveexec_b64 s[16:17], s[0:1]
	s_xor_b64 s[16:17], exec, s[16:17]
	s_cbranch_execnz .LBB242_525
; %bb.394:                              ;   in Loop: Header=BB242_304 Depth=1
	s_or_saveexec_b64 s[16:17], s[16:17]
	v_mov_b32_e32 v45, s43
	s_xor_b64 exec, exec, s[16:17]
	s_cbranch_execnz .LBB242_528
.LBB242_395:                            ;   in Loop: Header=BB242_304 Depth=1
	s_or_b64 exec, exec, s[16:17]
	s_and_saveexec_b64 s[16:17], s[12:13]
	s_cbranch_execz .LBB242_397
.LBB242_396:                            ;   in Loop: Header=BB242_304 Depth=1
	v_and_b32_e32 v45, 7, v6
	v_ffbh_u32_e32 v46, v45
	v_min_u32_e32 v49, 32, v46
	v_subrev_u32_e32 v46, 28, v49
	v_bfe_u32 v48, v6, 3, 4
	v_lshlrev_b64 v[46:47], v46, v[6:7]
	v_sub_u32_e32 v47, 29, v49
	v_cmp_eq_u32_e64 s[0:1], 0, v48
	v_and_b32_e32 v46, 7, v46
	v_lshlrev_b32_e32 v6, 8, v6
	v_cndmask_b32_e64 v47, v48, v47, s[0:1]
	v_cndmask_b32_e64 v45, v45, v46, s[0:1]
	v_lshl_add_u32 v46, v47, 10, v28
	v_and_or_b32 v6, v6, s34, v46
	v_lshl_or_b32 v6, v45, 7, v6
	v_cvt_f32_f16_e32 v45, v6
.LBB242_397:                            ;   in Loop: Header=BB242_304 Depth=1
	s_or_b64 exec, exec, s[16:17]
	v_lshrrev_b32_e32 v6, 16, v17
	v_cmp_gt_i16_sdwa s[12:13], v6, s30 src0_sel:BYTE_0 src1_sel:DWORD
	s_mov_b64 s[0:1], 0
                                        ; implicit-def: $sgpr18
	s_and_saveexec_b64 s[16:17], s[12:13]
	s_xor_b64 s[12:13], exec, s[16:17]
	s_cbranch_execnz .LBB242_529
; %bb.398:                              ;   in Loop: Header=BB242_304 Depth=1
	s_or_saveexec_b64 s[12:13], s[12:13]
	v_mov_b32_e32 v46, s18
	s_xor_b64 exec, exec, s[12:13]
	s_cbranch_execnz .LBB242_532
.LBB242_399:                            ;   in Loop: Header=BB242_304 Depth=1
	s_or_b64 exec, exec, s[12:13]
	s_and_saveexec_b64 s[12:13], s[0:1]
	s_cbranch_execz .LBB242_401
.LBB242_400:                            ;   in Loop: Header=BB242_304 Depth=1
	v_bfe_u32 v48, v17, 16, 3
	v_ffbh_u32_e32 v46, v48
	v_min_u32_e32 v50, 32, v46
	v_subrev_u32_e32 v46, 28, v50
	v_bfe_u32 v49, v17, 19, 4
	v_lshlrev_b64 v[46:47], v46, v[6:7]
	v_sub_u32_e32 v47, 29, v50
	v_cmp_eq_u32_e64 s[0:1], 0, v49
	v_and_b32_e32 v46, 7, v46
	v_lshlrev_b32_e32 v6, 8, v6
	v_cndmask_b32_e64 v47, v49, v47, s[0:1]
	v_lshl_add_u32 v47, v47, 10, v28
	v_cndmask_b32_e64 v46, v48, v46, s[0:1]
	v_and_or_b32 v6, v6, s34, v47
	v_lshl_or_b32 v6, v46, 7, v6
	v_cvt_f32_f16_e32 v46, v6
.LBB242_401:                            ;   in Loop: Header=BB242_304 Depth=1
	s_or_b64 exec, exec, s[12:13]
	v_lshrrev_b32_e32 v6, 24, v17
	v_cmp_lt_i16_e64 s[0:1], s30, v6
	s_mov_b64 s[12:13], 0
                                        ; implicit-def: $sgpr43
	s_and_saveexec_b64 s[16:17], s[0:1]
	s_xor_b64 s[16:17], exec, s[16:17]
	s_cbranch_execnz .LBB242_533
; %bb.402:                              ;   in Loop: Header=BB242_304 Depth=1
	s_or_saveexec_b64 s[16:17], s[16:17]
	v_mov_b32_e32 v47, s43
	s_xor_b64 exec, exec, s[16:17]
	s_cbranch_execnz .LBB242_536
.LBB242_403:                            ;   in Loop: Header=BB242_304 Depth=1
	s_or_b64 exec, exec, s[16:17]
	s_and_saveexec_b64 s[16:17], s[12:13]
	s_cbranch_execz .LBB242_405
.LBB242_404:                            ;   in Loop: Header=BB242_304 Depth=1
	v_bfe_u32 v47, v17, 24, 3
	v_ffbh_u32_e32 v48, v47
	v_min_u32_e32 v50, 32, v48
	v_subrev_u32_e32 v48, 28, v50
	v_bfe_u32 v17, v17, 27, 4
	v_lshlrev_b64 v[48:49], v48, v[6:7]
	v_sub_u32_e32 v49, 29, v50
	v_cmp_eq_u32_e64 s[0:1], 0, v17
	v_and_b32_e32 v48, 7, v48
	v_lshlrev_b32_e32 v6, 8, v6
	v_cndmask_b32_e64 v17, v17, v49, s[0:1]
	v_lshl_add_u32 v17, v17, 10, v28
	v_cndmask_b32_e64 v47, v47, v48, s[0:1]
	v_and_or_b32 v6, v6, s34, v17
	v_lshl_or_b32 v6, v47, 7, v6
	v_cvt_f32_f16_e32 v47, v6
.LBB242_405:                            ;   in Loop: Header=BB242_304 Depth=1
	s_or_b64 exec, exec, s[16:17]
	s_waitcnt vmcnt(0)
	v_pk_mul_f32 v[20:21], v[14:15], v[20:21] op_sel_hi:[0,1]
	v_pk_mul_f32 v[18:19], v[14:15], v[18:19] op_sel_hi:[0,1]
	v_cvt_f16_f32_e32 v6, v21
	v_cvt_f16_f32_e32 v17, v20
	;; [unrolled: 1-line block ×4, first 2 shown]
	v_fma_mixlo_f16 v16, v14, v16, 0
	v_pack_b32_f16 v17, v17, v6
	v_pack_b32_f16 v18, v18, v19
	v_perm_b32 v6, v18, v17, s40
	v_perm_b32 v17, v18, v17, s41
	v_fma_mixlo_f16 v18, v14, v45, 0
	v_lshlrev_b32_e32 v18, 16, v18
	v_or_b32_sdwa v16, v18, v16 dst_sel:DWORD dst_unused:UNUSED_PAD src0_sel:DWORD src1_sel:WORD_0
	v_fma_mixlo_f16 v18, v14, v46, 0
	v_fma_mixlo_f16 v14, v14, v47, 0
	v_lshlrev_b32_e32 v14, 16, v14
	v_or_b32_sdwa v14, v14, v18 dst_sel:DWORD dst_unused:UNUSED_PAD src0_sel:DWORD src1_sel:WORD_0
	s_and_saveexec_b64 s[12:13], vcc
	s_cbranch_execz .LBB242_407
; %bb.406:                              ;   in Loop: Header=BB242_304 Depth=1
	v_lshrrev_b32_e32 v19, 16, v17
	v_cmp_gt_i32_e64 s[0:1], s39, v36
	v_lshrrev_b32_e32 v14, 16, v14
	s_nop 0
	v_cndmask_b32_e64 v19, 0, v19, s[0:1]
	v_cmp_gt_i32_e64 s[0:1], s25, v31
	s_nop 1
	v_cndmask_b32_e64 v17, 0, v17, s[0:1]
	v_perm_b32 v17, v19, v17, s42
	v_lshrrev_b32_e32 v19, 16, v6
	v_cmp_gt_i32_e64 s[0:1], s39, v35
	s_nop 1
	v_cndmask_b32_e64 v19, 0, v19, s[0:1]
	v_cmp_gt_i32_e64 s[0:1], s25, v34
	s_nop 1
	v_cndmask_b32_e64 v6, 0, v6, s[0:1]
	v_perm_b32 v6, v19, v6, s42
	v_lshrrev_b32_e32 v19, 16, v16
	v_cmp_gt_i32_e64 s[0:1], s39, v33
	s_nop 1
	v_cndmask_b32_e64 v19, 0, v19, s[0:1]
	v_cmp_gt_i32_e64 s[0:1], s25, v32
	s_nop 1
	v_cndmask_b32_e64 v16, 0, v16, s[0:1]
	v_cmp_gt_i32_e64 s[0:1], s39, v30
	v_perm_b32 v16, v19, v16, s42
	s_nop 0
	v_cndmask_b32_e64 v14, 0, v14, s[0:1]
	v_cmp_gt_i32_e64 s[0:1], s25, v29
	s_nop 1
	v_cndmask_b32_e64 v18, 0, v18, s[0:1]
	v_perm_b32 v14, v14, v18, s42
.LBB242_407:                            ;   in Loop: Header=BB242_304 Depth=1
	s_or_b64 exec, exec, s[12:13]
	;;#ASMSTART
	v_pk_mul_f16 v17, v40, v17;

	;;#ASMEND
	;;#ASMSTART
	v_pk_mul_f16 v6, v39, v6;

	;;#ASMEND
	;; [unrolled: 4-line block ×4, first 2 shown]
	s_mov_b64 s[0:1], 0
	;;#ASMSTART
	v_pk_add_f16 v6, v17, v6;

	;;#ASMEND
                                        ; implicit-def: $sgpr18
	s_nop 0
	;;#ASMSTART
	v_pk_add_f16 v6, v6, v16;

	;;#ASMEND
	s_nop 0
	;;#ASMSTART
	v_pk_add_f16 v6, v6, v14;

	;;#ASMEND
	s_nop 0
	v_lshrrev_b32_e32 v14, 16, v6
	v_and_b32_e32 v6, 0xffff, v6
	;;#ASMSTART
	v_cvt_f32_f16 v20, v6;
	;;#ASMEND
	;;#ASMSTART
	v_cvt_f32_f16 v21, v14;
	;;#ASMEND
	global_load_dwordx2 v[16:17], v[12:13], off offset:1536
	global_load_dword v14, v7, s[14:15]
	s_waitcnt vmcnt(1)
	v_cmp_gt_i16_sdwa s[12:13], v16, s30 src0_sel:BYTE_0 src1_sel:DWORD
	s_and_saveexec_b64 s[16:17], s[12:13]
	s_xor_b64 s[12:13], exec, s[16:17]
	s_cbranch_execnz .LBB242_537
; %bb.408:                              ;   in Loop: Header=BB242_304 Depth=1
	s_or_saveexec_b64 s[12:13], s[12:13]
	v_mov_b32_e32 v12, s18
	s_xor_b64 exec, exec, s[12:13]
	s_cbranch_execnz .LBB242_540
.LBB242_409:                            ;   in Loop: Header=BB242_304 Depth=1
	s_or_b64 exec, exec, s[12:13]
	s_and_saveexec_b64 s[12:13], s[0:1]
	s_cbranch_execz .LBB242_411
.LBB242_410:                            ;   in Loop: Header=BB242_304 Depth=1
	v_and_b32_e32 v6, 7, v16
	v_ffbh_u32_e32 v6, v6
	v_bfe_u32 v12, v16, 3, 4
	v_min_u32_e32 v6, 32, v6
	v_subrev_u32_e32 v13, 28, v6
	v_sub_u32_e32 v6, 29, v6
	v_cmp_eq_u32_e64 s[0:1], 0, v12
	s_nop 1
	v_cndmask_b32_e64 v6, v12, v6, s[0:1]
	v_cndmask_b32_e64 v12, 0, v13, s[0:1]
	v_lshlrev_b64 v[12:13], v12, v[16:17]
	v_lshlrev_b32_e32 v13, 8, v16
	v_lshl_add_u32 v6, v6, 10, v28
	v_lshlrev_b32_e32 v12, 7, v12
	v_and_or_b32 v6, v13, s34, v6
	v_and_or_b32 v6, v12, s35, v6
	v_cvt_f32_f16_e32 v12, v6
.LBB242_411:                            ;   in Loop: Header=BB242_304 Depth=1
	s_or_b64 exec, exec, s[12:13]
	v_lshrrev_b16_e32 v6, 8, v16
	v_cmp_lt_i16_e64 s[0:1], s30, v6
	s_mov_b64 s[12:13], 0
                                        ; implicit-def: $sgpr43
	s_and_saveexec_b64 s[16:17], s[0:1]
	s_xor_b64 s[16:17], exec, s[16:17]
	s_cbranch_execnz .LBB242_541
; %bb.412:                              ;   in Loop: Header=BB242_304 Depth=1
	s_or_saveexec_b64 s[16:17], s[16:17]
	v_mov_b32_e32 v18, s43
	s_xor_b64 exec, exec, s[16:17]
	s_cbranch_execnz .LBB242_544
.LBB242_413:                            ;   in Loop: Header=BB242_304 Depth=1
	s_or_b64 exec, exec, s[16:17]
	s_and_saveexec_b64 s[16:17], s[12:13]
	s_cbranch_execz .LBB242_415
.LBB242_414:                            ;   in Loop: Header=BB242_304 Depth=1
	v_and_b32_e32 v13, 7, v6
	v_ffbh_u32_e32 v18, v13
	v_min_u32_e32 v46, 32, v18
	v_subrev_u32_e32 v18, 28, v46
	v_bfe_u32 v45, v6, 3, 4
	v_lshlrev_b64 v[18:19], v18, v[6:7]
	v_sub_u32_e32 v19, 29, v46
	v_cmp_eq_u32_e64 s[0:1], 0, v45
	v_and_b32_e32 v18, 7, v18
	v_lshlrev_b32_e32 v6, 8, v6
	v_cndmask_b32_e64 v19, v45, v19, s[0:1]
	v_cndmask_b32_e64 v13, v13, v18, s[0:1]
	v_lshl_add_u32 v18, v19, 10, v28
	v_and_or_b32 v6, v6, s34, v18
	v_lshl_or_b32 v6, v13, 7, v6
	v_cvt_f32_f16_e32 v18, v6
.LBB242_415:                            ;   in Loop: Header=BB242_304 Depth=1
	s_or_b64 exec, exec, s[16:17]
	v_lshrrev_b32_e32 v6, 16, v16
	v_cmp_gt_i16_sdwa s[12:13], v6, s30 src0_sel:BYTE_0 src1_sel:DWORD
	s_mov_b64 s[0:1], 0
                                        ; implicit-def: $sgpr18
	s_and_saveexec_b64 s[16:17], s[12:13]
	s_xor_b64 s[12:13], exec, s[16:17]
	s_cbranch_execnz .LBB242_545
; %bb.416:                              ;   in Loop: Header=BB242_304 Depth=1
	s_or_saveexec_b64 s[12:13], s[12:13]
	v_mov_b32_e32 v13, s18
	s_xor_b64 exec, exec, s[12:13]
	s_cbranch_execnz .LBB242_548
.LBB242_417:                            ;   in Loop: Header=BB242_304 Depth=1
	s_or_b64 exec, exec, s[12:13]
	s_and_saveexec_b64 s[12:13], s[0:1]
	s_cbranch_execz .LBB242_419
.LBB242_418:                            ;   in Loop: Header=BB242_304 Depth=1
	v_bfe_u32 v13, v16, 16, 3
	v_ffbh_u32_e32 v45, v13
	v_bfe_u32 v19, v16, 19, 4
	v_min_u32_e32 v45, 32, v45
	v_subrev_u32_e32 v46, 28, v45
	v_sub_u32_e32 v45, 29, v45
	v_cmp_eq_u32_e64 s[0:1], 0, v19
	v_lshlrev_b64 v[46:47], v46, v[6:7]
	v_and_b32_e32 v46, 7, v46
	v_cndmask_b32_e64 v19, v19, v45, s[0:1]
	v_lshlrev_b32_e32 v6, 8, v6
	v_lshl_add_u32 v19, v19, 10, v28
	v_cndmask_b32_e64 v13, v13, v46, s[0:1]
	v_and_or_b32 v6, v6, s34, v19
	v_lshl_or_b32 v6, v13, 7, v6
	v_cvt_f32_f16_e32 v13, v6
.LBB242_419:                            ;   in Loop: Header=BB242_304 Depth=1
	s_or_b64 exec, exec, s[12:13]
	v_lshrrev_b32_e32 v6, 24, v16
	v_cmp_lt_i16_e64 s[0:1], s30, v6
	s_mov_b64 s[12:13], 0
                                        ; implicit-def: $sgpr43
	s_and_saveexec_b64 s[16:17], s[0:1]
	s_xor_b64 s[16:17], exec, s[16:17]
	s_cbranch_execnz .LBB242_549
; %bb.420:                              ;   in Loop: Header=BB242_304 Depth=1
	s_or_saveexec_b64 s[16:17], s[16:17]
	v_mov_b32_e32 v19, s43
	s_xor_b64 exec, exec, s[16:17]
	s_cbranch_execnz .LBB242_552
.LBB242_421:                            ;   in Loop: Header=BB242_304 Depth=1
	s_or_b64 exec, exec, s[16:17]
	s_and_saveexec_b64 s[16:17], s[12:13]
	s_cbranch_execz .LBB242_423
.LBB242_422:                            ;   in Loop: Header=BB242_304 Depth=1
	v_bfe_u32 v19, v16, 24, 3
	v_ffbh_u32_e32 v45, v19
	v_bfe_u32 v16, v16, 27, 4
	v_min_u32_e32 v45, 32, v45
	v_subrev_u32_e32 v46, 28, v45
	v_sub_u32_e32 v45, 29, v45
	v_cmp_eq_u32_e64 s[0:1], 0, v16
	v_lshlrev_b64 v[46:47], v46, v[6:7]
	v_and_b32_e32 v46, 7, v46
	v_cndmask_b32_e64 v16, v16, v45, s[0:1]
	v_lshlrev_b32_e32 v6, 8, v6
	v_lshl_add_u32 v16, v16, 10, v28
	v_cndmask_b32_e64 v19, v19, v46, s[0:1]
	v_and_or_b32 v6, v6, s34, v16
	v_lshl_or_b32 v6, v19, 7, v6
	v_cvt_f32_f16_e32 v19, v6
.LBB242_423:                            ;   in Loop: Header=BB242_304 Depth=1
	s_or_b64 exec, exec, s[16:17]
	v_cmp_gt_i16_sdwa s[12:13], v17, s30 src0_sel:BYTE_0 src1_sel:DWORD
	s_mov_b64 s[0:1], 0
                                        ; implicit-def: $sgpr18
	s_and_saveexec_b64 s[16:17], s[12:13]
	s_xor_b64 s[12:13], exec, s[16:17]
	s_cbranch_execnz .LBB242_553
; %bb.424:                              ;   in Loop: Header=BB242_304 Depth=1
	s_or_saveexec_b64 s[12:13], s[12:13]
	v_mov_b32_e32 v16, s18
	s_xor_b64 exec, exec, s[12:13]
	s_cbranch_execnz .LBB242_556
.LBB242_425:                            ;   in Loop: Header=BB242_304 Depth=1
	s_or_b64 exec, exec, s[12:13]
	v_mov_b32_e32 v6, v17
	s_and_saveexec_b64 s[12:13], s[0:1]
	s_cbranch_execz .LBB242_427
.LBB242_426:                            ;   in Loop: Header=BB242_304 Depth=1
	v_and_b32_e32 v16, 7, v17
	v_ffbh_u32_e32 v16, v16
	v_bfe_u32 v45, v17, 3, 4
	v_min_u32_e32 v16, 32, v16
	v_subrev_u32_e32 v46, 28, v16
	v_sub_u32_e32 v16, 29, v16
	v_cmp_eq_u32_e64 s[0:1], 0, v45
	s_nop 1
	v_cndmask_b32_e64 v16, v45, v16, s[0:1]
	v_cndmask_b32_e64 v45, 0, v46, s[0:1]
	v_lshlrev_b64 v[46:47], v45, v[6:7]
	v_lshlrev_b32_e32 v45, 7, v46
	v_lshlrev_b32_e32 v46, 8, v17
	v_lshl_add_u32 v16, v16, 10, v28
	v_and_or_b32 v16, v46, s34, v16
	v_and_or_b32 v16, v45, s35, v16
	v_cvt_f32_f16_e32 v16, v16
.LBB242_427:                            ;   in Loop: Header=BB242_304 Depth=1
	s_or_b64 exec, exec, s[12:13]
	v_lshrrev_b16_e32 v6, 8, v6
	v_cmp_lt_i16_e64 s[0:1], s30, v6
	s_mov_b64 s[12:13], 0
                                        ; implicit-def: $sgpr43
	s_and_saveexec_b64 s[16:17], s[0:1]
	s_xor_b64 s[16:17], exec, s[16:17]
	s_cbranch_execnz .LBB242_557
; %bb.428:                              ;   in Loop: Header=BB242_304 Depth=1
	s_or_saveexec_b64 s[16:17], s[16:17]
	v_mov_b32_e32 v45, s43
	s_xor_b64 exec, exec, s[16:17]
	s_cbranch_execnz .LBB242_560
.LBB242_429:                            ;   in Loop: Header=BB242_304 Depth=1
	s_or_b64 exec, exec, s[16:17]
	s_and_saveexec_b64 s[16:17], s[12:13]
	s_cbranch_execz .LBB242_431
.LBB242_430:                            ;   in Loop: Header=BB242_304 Depth=1
	v_and_b32_e32 v45, 7, v6
	v_ffbh_u32_e32 v46, v45
	v_min_u32_e32 v49, 32, v46
	v_subrev_u32_e32 v46, 28, v49
	v_bfe_u32 v48, v6, 3, 4
	v_lshlrev_b64 v[46:47], v46, v[6:7]
	v_sub_u32_e32 v47, 29, v49
	v_cmp_eq_u32_e64 s[0:1], 0, v48
	v_and_b32_e32 v46, 7, v46
	v_lshlrev_b32_e32 v6, 8, v6
	v_cndmask_b32_e64 v47, v48, v47, s[0:1]
	v_cndmask_b32_e64 v45, v45, v46, s[0:1]
	v_lshl_add_u32 v46, v47, 10, v28
	v_and_or_b32 v6, v6, s34, v46
	v_lshl_or_b32 v6, v45, 7, v6
	v_cvt_f32_f16_e32 v45, v6
.LBB242_431:                            ;   in Loop: Header=BB242_304 Depth=1
	s_or_b64 exec, exec, s[16:17]
	v_lshrrev_b32_e32 v6, 16, v17
	v_cmp_gt_i16_sdwa s[12:13], v6, s30 src0_sel:BYTE_0 src1_sel:DWORD
	s_mov_b64 s[0:1], 0
                                        ; implicit-def: $sgpr18
	s_and_saveexec_b64 s[16:17], s[12:13]
	s_xor_b64 s[12:13], exec, s[16:17]
	s_cbranch_execnz .LBB242_561
; %bb.432:                              ;   in Loop: Header=BB242_304 Depth=1
	s_or_saveexec_b64 s[12:13], s[12:13]
	v_mov_b32_e32 v46, s18
	s_xor_b64 exec, exec, s[12:13]
	s_cbranch_execnz .LBB242_564
.LBB242_433:                            ;   in Loop: Header=BB242_304 Depth=1
	s_or_b64 exec, exec, s[12:13]
	s_and_saveexec_b64 s[12:13], s[0:1]
	s_cbranch_execz .LBB242_435
.LBB242_434:                            ;   in Loop: Header=BB242_304 Depth=1
	v_bfe_u32 v48, v17, 16, 3
	v_ffbh_u32_e32 v46, v48
	v_min_u32_e32 v50, 32, v46
	v_subrev_u32_e32 v46, 28, v50
	v_bfe_u32 v49, v17, 19, 4
	v_lshlrev_b64 v[46:47], v46, v[6:7]
	v_sub_u32_e32 v47, 29, v50
	v_cmp_eq_u32_e64 s[0:1], 0, v49
	v_and_b32_e32 v46, 7, v46
	v_lshlrev_b32_e32 v6, 8, v6
	v_cndmask_b32_e64 v47, v49, v47, s[0:1]
	v_lshl_add_u32 v47, v47, 10, v28
	v_cndmask_b32_e64 v46, v48, v46, s[0:1]
	v_and_or_b32 v6, v6, s34, v47
	v_lshl_or_b32 v6, v46, 7, v6
	v_cvt_f32_f16_e32 v46, v6
.LBB242_435:                            ;   in Loop: Header=BB242_304 Depth=1
	s_or_b64 exec, exec, s[12:13]
	v_lshrrev_b32_e32 v6, 24, v17
	v_cmp_lt_i16_e64 s[0:1], s30, v6
	s_mov_b64 s[12:13], 0
                                        ; implicit-def: $sgpr43
	s_and_saveexec_b64 s[16:17], s[0:1]
	s_xor_b64 s[16:17], exec, s[16:17]
	s_cbranch_execnz .LBB242_565
; %bb.436:                              ;   in Loop: Header=BB242_304 Depth=1
	s_or_saveexec_b64 s[16:17], s[16:17]
	v_mov_b32_e32 v47, s43
	s_xor_b64 exec, exec, s[16:17]
	s_cbranch_execnz .LBB242_568
.LBB242_437:                            ;   in Loop: Header=BB242_304 Depth=1
	s_or_b64 exec, exec, s[16:17]
	s_and_saveexec_b64 s[16:17], s[12:13]
	s_cbranch_execz .LBB242_439
.LBB242_438:                            ;   in Loop: Header=BB242_304 Depth=1
	v_bfe_u32 v47, v17, 24, 3
	v_ffbh_u32_e32 v48, v47
	v_min_u32_e32 v50, 32, v48
	v_subrev_u32_e32 v48, 28, v50
	v_bfe_u32 v17, v17, 27, 4
	v_lshlrev_b64 v[48:49], v48, v[6:7]
	v_sub_u32_e32 v49, 29, v50
	v_cmp_eq_u32_e64 s[0:1], 0, v17
	v_and_b32_e32 v48, 7, v48
	v_lshlrev_b32_e32 v6, 8, v6
	v_cndmask_b32_e64 v17, v17, v49, s[0:1]
	v_lshl_add_u32 v17, v17, 10, v28
	v_cndmask_b32_e64 v47, v47, v48, s[0:1]
	v_and_or_b32 v6, v6, s34, v17
	v_lshl_or_b32 v6, v47, 7, v6
	v_cvt_f32_f16_e32 v47, v6
.LBB242_439:                            ;   in Loop: Header=BB242_304 Depth=1
	s_or_b64 exec, exec, s[16:17]
	s_waitcnt vmcnt(0)
	v_pk_mul_f32 v[18:19], v[14:15], v[18:19] op_sel_hi:[0,1]
	v_pk_mul_f32 v[12:13], v[14:15], v[12:13] op_sel_hi:[0,1]
	v_cvt_f16_f32_e32 v6, v19
	v_cvt_f16_f32_e32 v17, v18
	;; [unrolled: 1-line block ×4, first 2 shown]
	v_fma_mixlo_f16 v16, v14, v16, 0
	v_pack_b32_f16 v17, v17, v6
	v_pack_b32_f16 v12, v12, v13
	v_perm_b32 v6, v12, v17, s40
	v_perm_b32 v13, v12, v17, s41
	v_fma_mixlo_f16 v12, v14, v45, 0
	v_lshlrev_b32_e32 v12, 16, v12
	v_or_b32_sdwa v12, v12, v16 dst_sel:DWORD dst_unused:UNUSED_PAD src0_sel:DWORD src1_sel:WORD_0
	v_fma_mixlo_f16 v16, v14, v46, 0
	v_fma_mixlo_f16 v14, v14, v47, 0
	v_lshlrev_b32_e32 v14, 16, v14
	v_or_b32_sdwa v14, v14, v16 dst_sel:DWORD dst_unused:UNUSED_PAD src0_sel:DWORD src1_sel:WORD_0
	s_and_saveexec_b64 s[0:1], vcc
	s_cbranch_execz .LBB242_302
; %bb.440:                              ;   in Loop: Header=BB242_304 Depth=1
	v_lshrrev_b32_e32 v17, 16, v13
	v_cmp_gt_i32_e32 vcc, s39, v36
	v_lshrrev_b32_e32 v14, 16, v14
	s_nop 0
	v_cndmask_b32_e32 v17, 0, v17, vcc
	v_cmp_gt_i32_e32 vcc, s25, v31
	s_nop 1
	v_cndmask_b32_e32 v13, 0, v13, vcc
	v_perm_b32 v13, v17, v13, s42
	v_lshrrev_b32_e32 v17, 16, v6
	v_cmp_gt_i32_e32 vcc, s39, v35
	s_nop 1
	v_cndmask_b32_e32 v17, 0, v17, vcc
	v_cmp_gt_i32_e32 vcc, s25, v34
	s_nop 1
	v_cndmask_b32_e32 v6, 0, v6, vcc
	v_perm_b32 v6, v17, v6, s42
	v_lshrrev_b32_e32 v17, 16, v12
	v_cmp_gt_i32_e32 vcc, s39, v33
	s_nop 1
	v_cndmask_b32_e32 v17, 0, v17, vcc
	v_cmp_gt_i32_e32 vcc, s25, v32
	s_nop 1
	v_cndmask_b32_e32 v12, 0, v12, vcc
	v_cmp_gt_i32_e32 vcc, s39, v30
	v_perm_b32 v12, v17, v12, s42
	s_nop 0
	v_cndmask_b32_e32 v14, 0, v14, vcc
	v_cmp_gt_i32_e32 vcc, s25, v29
	s_nop 1
	v_cndmask_b32_e32 v16, 0, v16, vcc
	v_perm_b32 v14, v14, v16, s42
	s_branch .LBB242_302
.LBB242_441:                            ;   in Loop: Header=BB242_304 Depth=1
	v_cmp_eq_u16_sdwa s[44:45], v16, s31 src0_sel:BYTE_0 src1_sel:DWORD
	s_mov_b64 s[0:1], -1
                                        ; implicit-def: $sgpr18
	s_and_saveexec_b64 s[16:17], s[44:45]
; %bb.442:                              ;   in Loop: Header=BB242_304 Depth=1
	s_mov_b32 s18, 0x7fc02000
	s_xor_b64 s[0:1], exec, -1
; %bb.443:                              ;   in Loop: Header=BB242_304 Depth=1
	s_or_b64 exec, exec, s[16:17]
	s_and_b64 s[0:1], s[0:1], exec
	s_or_saveexec_b64 s[12:13], s[12:13]
	v_mov_b32_e32 v18, s18
	s_xor_b64 exec, exec, s[12:13]
	s_cbranch_execz .LBB242_307
.LBB242_444:                            ;   in Loop: Header=BB242_304 Depth=1
	v_cmp_ne_u16_sdwa s[16:17], v16, v7 src0_sel:BYTE_0 src1_sel:DWORD
	s_andn2_b64 s[0:1], s[0:1], exec
	s_and_b64 s[16:17], s[16:17], exec
	v_mov_b32_e32 v18, 0
	s_or_b64 s[0:1], s[0:1], s[16:17]
	s_or_b64 exec, exec, s[12:13]
	s_and_saveexec_b64 s[12:13], s[0:1]
	s_cbranch_execnz .LBB242_308
	s_branch .LBB242_309
.LBB242_445:                            ;   in Loop: Header=BB242_304 Depth=1
	v_cmp_eq_u16_e32 vcc, s31, v6
	s_mov_b64 s[0:1], -1
                                        ; implicit-def: $sgpr18
	s_and_saveexec_b64 s[16:17], vcc
; %bb.446:                              ;   in Loop: Header=BB242_304 Depth=1
	s_mov_b32 s18, 0x7fc02000
	s_xor_b64 s[0:1], exec, -1
; %bb.447:                              ;   in Loop: Header=BB242_304 Depth=1
	s_or_b64 exec, exec, s[16:17]
	s_and_b64 s[0:1], s[0:1], exec
	s_or_saveexec_b64 s[12:13], s[12:13]
	v_mov_b32_e32 v20, s18
	s_xor_b64 exec, exec, s[12:13]
	s_cbranch_execz .LBB242_311
.LBB242_448:                            ;   in Loop: Header=BB242_304 Depth=1
	v_cmp_ne_u16_e32 vcc, 0, v6
	s_andn2_b64 s[0:1], s[0:1], exec
	s_and_b64 s[16:17], vcc, exec
	v_mov_b32_e32 v20, 0
	s_or_b64 s[0:1], s[0:1], s[16:17]
	s_or_b64 exec, exec, s[12:13]
	s_and_saveexec_b64 s[12:13], s[0:1]
	s_cbranch_execnz .LBB242_312
	s_branch .LBB242_313
.LBB242_449:                            ;   in Loop: Header=BB242_304 Depth=1
	v_cmp_eq_u16_sdwa s[44:45], v6, s31 src0_sel:BYTE_0 src1_sel:DWORD
	s_mov_b64 s[0:1], -1
                                        ; implicit-def: $sgpr18
	s_and_saveexec_b64 s[16:17], s[44:45]
; %bb.450:                              ;   in Loop: Header=BB242_304 Depth=1
	s_mov_b32 s18, 0x7fc02000
	s_xor_b64 s[0:1], exec, -1
; %bb.451:                              ;   in Loop: Header=BB242_304 Depth=1
	s_or_b64 exec, exec, s[16:17]
	s_and_b64 s[0:1], s[0:1], exec
	s_or_saveexec_b64 s[12:13], s[12:13]
	v_mov_b32_e32 v19, s18
	s_xor_b64 exec, exec, s[12:13]
	s_cbranch_execz .LBB242_315
.LBB242_452:                            ;   in Loop: Header=BB242_304 Depth=1
	v_cmp_ne_u16_sdwa s[16:17], v6, v7 src0_sel:BYTE_0 src1_sel:DWORD
	s_andn2_b64 s[0:1], s[0:1], exec
	s_and_b64 s[16:17], s[16:17], exec
	v_mov_b32_e32 v19, 0
	s_or_b64 s[0:1], s[0:1], s[16:17]
	s_or_b64 exec, exec, s[12:13]
	s_and_saveexec_b64 s[12:13], s[0:1]
	s_cbranch_execnz .LBB242_316
	s_branch .LBB242_317
.LBB242_453:                            ;   in Loop: Header=BB242_304 Depth=1
	v_cmp_eq_u16_e32 vcc, s31, v6
	s_mov_b64 s[0:1], -1
                                        ; implicit-def: $sgpr18
	s_and_saveexec_b64 s[16:17], vcc
; %bb.454:                              ;   in Loop: Header=BB242_304 Depth=1
	s_mov_b32 s18, 0x7fc02000
	s_xor_b64 s[0:1], exec, -1
; %bb.455:                              ;   in Loop: Header=BB242_304 Depth=1
	s_or_b64 exec, exec, s[16:17]
	s_and_b64 s[0:1], s[0:1], exec
	s_or_saveexec_b64 s[12:13], s[12:13]
	v_mov_b32_e32 v21, s18
	s_xor_b64 exec, exec, s[12:13]
	s_cbranch_execz .LBB242_319
.LBB242_456:                            ;   in Loop: Header=BB242_304 Depth=1
	v_cmp_ne_u16_e32 vcc, 0, v6
	s_andn2_b64 s[0:1], s[0:1], exec
	s_and_b64 s[16:17], vcc, exec
	v_mov_b32_e32 v21, 0
	s_or_b64 s[0:1], s[0:1], s[16:17]
	s_or_b64 exec, exec, s[12:13]
	s_and_saveexec_b64 s[12:13], s[0:1]
	s_cbranch_execnz .LBB242_320
	s_branch .LBB242_321
.LBB242_457:                            ;   in Loop: Header=BB242_304 Depth=1
	v_cmp_eq_u16_sdwa s[44:45], v17, s31 src0_sel:BYTE_0 src1_sel:DWORD
	s_mov_b64 s[0:1], -1
                                        ; implicit-def: $sgpr18
	s_and_saveexec_b64 s[16:17], s[44:45]
; %bb.458:                              ;   in Loop: Header=BB242_304 Depth=1
	s_mov_b32 s18, 0x7fc02000
	s_xor_b64 s[0:1], exec, -1
; %bb.459:                              ;   in Loop: Header=BB242_304 Depth=1
	s_or_b64 exec, exec, s[16:17]
	s_and_b64 s[0:1], s[0:1], exec
	s_or_saveexec_b64 s[12:13], s[12:13]
	v_mov_b32_e32 v16, s18
	s_xor_b64 exec, exec, s[12:13]
	s_cbranch_execz .LBB242_323
.LBB242_460:                            ;   in Loop: Header=BB242_304 Depth=1
	v_cmp_ne_u16_sdwa s[16:17], v17, v7 src0_sel:BYTE_0 src1_sel:DWORD
	s_andn2_b64 s[0:1], s[0:1], exec
	s_and_b64 s[16:17], s[16:17], exec
	v_mov_b32_e32 v16, 0
	s_or_b64 s[0:1], s[0:1], s[16:17]
	s_or_b64 exec, exec, s[12:13]
	v_mov_b32_e32 v6, v17
	s_and_saveexec_b64 s[12:13], s[0:1]
	s_cbranch_execnz .LBB242_324
	s_branch .LBB242_325
.LBB242_461:                            ;   in Loop: Header=BB242_304 Depth=1
	v_cmp_eq_u16_e32 vcc, s31, v6
	s_mov_b64 s[0:1], -1
                                        ; implicit-def: $sgpr18
	s_and_saveexec_b64 s[16:17], vcc
; %bb.462:                              ;   in Loop: Header=BB242_304 Depth=1
	s_mov_b32 s18, 0x7fc02000
	s_xor_b64 s[0:1], exec, -1
; %bb.463:                              ;   in Loop: Header=BB242_304 Depth=1
	s_or_b64 exec, exec, s[16:17]
	s_and_b64 s[0:1], s[0:1], exec
	s_or_saveexec_b64 s[12:13], s[12:13]
	v_mov_b32_e32 v29, s18
	s_xor_b64 exec, exec, s[12:13]
	s_cbranch_execz .LBB242_327
.LBB242_464:                            ;   in Loop: Header=BB242_304 Depth=1
	v_cmp_ne_u16_e32 vcc, 0, v6
	s_andn2_b64 s[0:1], s[0:1], exec
	s_and_b64 s[16:17], vcc, exec
	v_mov_b32_e32 v29, 0
	s_or_b64 s[0:1], s[0:1], s[16:17]
	s_or_b64 exec, exec, s[12:13]
	s_and_saveexec_b64 s[12:13], s[0:1]
	s_cbranch_execnz .LBB242_328
	s_branch .LBB242_329
.LBB242_465:                            ;   in Loop: Header=BB242_304 Depth=1
	v_cmp_eq_u16_sdwa s[44:45], v6, s31 src0_sel:BYTE_0 src1_sel:DWORD
	s_mov_b64 s[0:1], -1
                                        ; implicit-def: $sgpr18
	s_and_saveexec_b64 s[16:17], s[44:45]
; %bb.466:                              ;   in Loop: Header=BB242_304 Depth=1
	s_mov_b32 s18, 0x7fc02000
	s_xor_b64 s[0:1], exec, -1
; %bb.467:                              ;   in Loop: Header=BB242_304 Depth=1
	s_or_b64 exec, exec, s[16:17]
	s_and_b64 s[0:1], s[0:1], exec
	s_or_saveexec_b64 s[12:13], s[12:13]
	v_mov_b32_e32 v30, s18
	s_xor_b64 exec, exec, s[12:13]
	s_cbranch_execz .LBB242_331
.LBB242_468:                            ;   in Loop: Header=BB242_304 Depth=1
	v_cmp_ne_u16_sdwa s[16:17], v6, v7 src0_sel:BYTE_0 src1_sel:DWORD
	s_andn2_b64 s[0:1], s[0:1], exec
	s_and_b64 s[16:17], s[16:17], exec
	v_mov_b32_e32 v30, 0
	s_or_b64 s[0:1], s[0:1], s[16:17]
	s_or_b64 exec, exec, s[12:13]
	s_and_saveexec_b64 s[12:13], s[0:1]
	s_cbranch_execnz .LBB242_332
	s_branch .LBB242_333
.LBB242_469:                            ;   in Loop: Header=BB242_304 Depth=1
	v_cmp_eq_u16_e32 vcc, s31, v6
	s_mov_b64 s[0:1], -1
                                        ; implicit-def: $sgpr18
	s_and_saveexec_b64 s[16:17], vcc
; %bb.470:                              ;   in Loop: Header=BB242_304 Depth=1
	s_mov_b32 s18, 0x7fc02000
	s_xor_b64 s[0:1], exec, -1
; %bb.471:                              ;   in Loop: Header=BB242_304 Depth=1
	s_or_b64 exec, exec, s[16:17]
	s_and_b64 s[0:1], s[0:1], exec
	s_or_saveexec_b64 s[12:13], s[12:13]
	v_mov_b32_e32 v32, s18
	s_xor_b64 exec, exec, s[12:13]
	s_cbranch_execz .LBB242_335
.LBB242_472:                            ;   in Loop: Header=BB242_304 Depth=1
	v_cmp_ne_u16_e32 vcc, 0, v6
	s_andn2_b64 s[0:1], s[0:1], exec
	s_and_b64 s[16:17], vcc, exec
	v_mov_b32_e32 v32, 0
	s_or_b64 s[0:1], s[0:1], s[16:17]
	s_or_b64 exec, exec, s[12:13]
	s_and_saveexec_b64 s[12:13], s[0:1]
	s_cbranch_execnz .LBB242_336
	s_branch .LBB242_337
.LBB242_473:                            ;   in Loop: Header=BB242_304 Depth=1
	v_cmp_eq_u16_sdwa s[44:45], v16, s31 src0_sel:BYTE_0 src1_sel:DWORD
	s_mov_b64 s[0:1], -1
                                        ; implicit-def: $sgpr18
	s_and_saveexec_b64 s[16:17], s[44:45]
; %bb.474:                              ;   in Loop: Header=BB242_304 Depth=1
	s_mov_b32 s18, 0x7fc02000
	s_xor_b64 s[0:1], exec, -1
; %bb.475:                              ;   in Loop: Header=BB242_304 Depth=1
	s_or_b64 exec, exec, s[16:17]
	s_and_b64 s[0:1], s[0:1], exec
	s_or_saveexec_b64 s[12:13], s[12:13]
	v_mov_b32_e32 v18, s18
	s_xor_b64 exec, exec, s[12:13]
	s_cbranch_execz .LBB242_341
.LBB242_476:                            ;   in Loop: Header=BB242_304 Depth=1
	v_cmp_ne_u16_sdwa s[16:17], v16, v7 src0_sel:BYTE_0 src1_sel:DWORD
	s_andn2_b64 s[0:1], s[0:1], exec
	s_and_b64 s[16:17], s[16:17], exec
	v_mov_b32_e32 v18, 0
	s_or_b64 s[0:1], s[0:1], s[16:17]
	s_or_b64 exec, exec, s[12:13]
	s_and_saveexec_b64 s[12:13], s[0:1]
	s_cbranch_execnz .LBB242_342
	s_branch .LBB242_343
.LBB242_477:                            ;   in Loop: Header=BB242_304 Depth=1
	v_cmp_eq_u16_e64 s[0:1], s31, v6
	s_mov_b64 s[12:13], -1
                                        ; implicit-def: $sgpr43
	s_and_saveexec_b64 s[18:19], s[0:1]
; %bb.478:                              ;   in Loop: Header=BB242_304 Depth=1
	s_mov_b32 s43, 0x7fc02000
	s_xor_b64 s[12:13], exec, -1
; %bb.479:                              ;   in Loop: Header=BB242_304 Depth=1
	s_or_b64 exec, exec, s[18:19]
	s_and_b64 s[12:13], s[12:13], exec
	s_or_saveexec_b64 s[16:17], s[16:17]
	v_mov_b32_e32 v20, s43
	s_xor_b64 exec, exec, s[16:17]
	s_cbranch_execz .LBB242_345
.LBB242_480:                            ;   in Loop: Header=BB242_304 Depth=1
	v_cmp_ne_u16_e64 s[0:1], 0, v6
	s_andn2_b64 s[12:13], s[12:13], exec
	s_and_b64 s[0:1], s[0:1], exec
	v_mov_b32_e32 v20, 0
	s_or_b64 s[12:13], s[12:13], s[0:1]
	s_or_b64 exec, exec, s[16:17]
	s_and_saveexec_b64 s[16:17], s[12:13]
	s_cbranch_execnz .LBB242_346
	s_branch .LBB242_347
.LBB242_481:                            ;   in Loop: Header=BB242_304 Depth=1
	v_cmp_eq_u16_sdwa s[44:45], v6, s31 src0_sel:BYTE_0 src1_sel:DWORD
	s_mov_b64 s[0:1], -1
                                        ; implicit-def: $sgpr18
	s_and_saveexec_b64 s[16:17], s[44:45]
; %bb.482:                              ;   in Loop: Header=BB242_304 Depth=1
	s_mov_b32 s18, 0x7fc02000
	s_xor_b64 s[0:1], exec, -1
; %bb.483:                              ;   in Loop: Header=BB242_304 Depth=1
	s_or_b64 exec, exec, s[16:17]
	s_and_b64 s[0:1], s[0:1], exec
	s_or_saveexec_b64 s[12:13], s[12:13]
	v_mov_b32_e32 v19, s18
	s_xor_b64 exec, exec, s[12:13]
	s_cbranch_execz .LBB242_349
.LBB242_484:                            ;   in Loop: Header=BB242_304 Depth=1
	v_cmp_ne_u16_sdwa s[16:17], v6, v7 src0_sel:BYTE_0 src1_sel:DWORD
	s_andn2_b64 s[0:1], s[0:1], exec
	s_and_b64 s[16:17], s[16:17], exec
	v_mov_b32_e32 v19, 0
	s_or_b64 s[0:1], s[0:1], s[16:17]
	s_or_b64 exec, exec, s[12:13]
	s_and_saveexec_b64 s[12:13], s[0:1]
	s_cbranch_execnz .LBB242_350
	s_branch .LBB242_351
.LBB242_485:                            ;   in Loop: Header=BB242_304 Depth=1
	v_cmp_eq_u16_e64 s[0:1], s31, v6
	s_mov_b64 s[12:13], -1
                                        ; implicit-def: $sgpr43
	s_and_saveexec_b64 s[18:19], s[0:1]
; %bb.486:                              ;   in Loop: Header=BB242_304 Depth=1
	s_mov_b32 s43, 0x7fc02000
	s_xor_b64 s[12:13], exec, -1
; %bb.487:                              ;   in Loop: Header=BB242_304 Depth=1
	s_or_b64 exec, exec, s[18:19]
	s_and_b64 s[12:13], s[12:13], exec
	s_or_saveexec_b64 s[16:17], s[16:17]
	v_mov_b32_e32 v21, s43
	s_xor_b64 exec, exec, s[16:17]
	s_cbranch_execz .LBB242_353
.LBB242_488:                            ;   in Loop: Header=BB242_304 Depth=1
	v_cmp_ne_u16_e64 s[0:1], 0, v6
	s_andn2_b64 s[12:13], s[12:13], exec
	s_and_b64 s[0:1], s[0:1], exec
	v_mov_b32_e32 v21, 0
	s_or_b64 s[12:13], s[12:13], s[0:1]
	s_or_b64 exec, exec, s[16:17]
	s_and_saveexec_b64 s[16:17], s[12:13]
	s_cbranch_execnz .LBB242_354
	s_branch .LBB242_355
.LBB242_489:                            ;   in Loop: Header=BB242_304 Depth=1
	v_cmp_eq_u16_sdwa s[44:45], v17, s31 src0_sel:BYTE_0 src1_sel:DWORD
	s_mov_b64 s[0:1], -1
                                        ; implicit-def: $sgpr18
	s_and_saveexec_b64 s[16:17], s[44:45]
; %bb.490:                              ;   in Loop: Header=BB242_304 Depth=1
	s_mov_b32 s18, 0x7fc02000
	s_xor_b64 s[0:1], exec, -1
; %bb.491:                              ;   in Loop: Header=BB242_304 Depth=1
	s_or_b64 exec, exec, s[16:17]
	s_and_b64 s[0:1], s[0:1], exec
	s_or_saveexec_b64 s[12:13], s[12:13]
	v_mov_b32_e32 v16, s18
	s_xor_b64 exec, exec, s[12:13]
	s_cbranch_execz .LBB242_357
.LBB242_492:                            ;   in Loop: Header=BB242_304 Depth=1
	v_cmp_ne_u16_sdwa s[16:17], v17, v7 src0_sel:BYTE_0 src1_sel:DWORD
	s_andn2_b64 s[0:1], s[0:1], exec
	s_and_b64 s[16:17], s[16:17], exec
	v_mov_b32_e32 v16, 0
	s_or_b64 s[0:1], s[0:1], s[16:17]
	s_or_b64 exec, exec, s[12:13]
	v_mov_b32_e32 v6, v17
	s_and_saveexec_b64 s[12:13], s[0:1]
	s_cbranch_execnz .LBB242_358
	s_branch .LBB242_359
.LBB242_493:                            ;   in Loop: Header=BB242_304 Depth=1
	v_cmp_eq_u16_e64 s[0:1], s31, v6
	s_mov_b64 s[12:13], -1
                                        ; implicit-def: $sgpr43
	s_and_saveexec_b64 s[18:19], s[0:1]
; %bb.494:                              ;   in Loop: Header=BB242_304 Depth=1
	s_mov_b32 s43, 0x7fc02000
	s_xor_b64 s[12:13], exec, -1
; %bb.495:                              ;   in Loop: Header=BB242_304 Depth=1
	s_or_b64 exec, exec, s[18:19]
	s_and_b64 s[12:13], s[12:13], exec
	s_or_saveexec_b64 s[16:17], s[16:17]
	v_mov_b32_e32 v43, s43
	s_xor_b64 exec, exec, s[16:17]
	s_cbranch_execz .LBB242_361
.LBB242_496:                            ;   in Loop: Header=BB242_304 Depth=1
	v_cmp_ne_u16_e64 s[0:1], 0, v6
	s_andn2_b64 s[12:13], s[12:13], exec
	s_and_b64 s[0:1], s[0:1], exec
	v_mov_b32_e32 v43, 0
	s_or_b64 s[12:13], s[12:13], s[0:1]
	s_or_b64 exec, exec, s[16:17]
	s_and_saveexec_b64 s[16:17], s[12:13]
	s_cbranch_execnz .LBB242_362
	s_branch .LBB242_363
.LBB242_497:                            ;   in Loop: Header=BB242_304 Depth=1
	v_cmp_eq_u16_sdwa s[44:45], v6, s31 src0_sel:BYTE_0 src1_sel:DWORD
	s_mov_b64 s[0:1], -1
                                        ; implicit-def: $sgpr18
	s_and_saveexec_b64 s[16:17], s[44:45]
; %bb.498:                              ;   in Loop: Header=BB242_304 Depth=1
	s_mov_b32 s18, 0x7fc02000
	s_xor_b64 s[0:1], exec, -1
; %bb.499:                              ;   in Loop: Header=BB242_304 Depth=1
	s_or_b64 exec, exec, s[16:17]
	s_and_b64 s[0:1], s[0:1], exec
	s_or_saveexec_b64 s[12:13], s[12:13]
	v_mov_b32_e32 v44, s18
	s_xor_b64 exec, exec, s[12:13]
	s_cbranch_execz .LBB242_365
.LBB242_500:                            ;   in Loop: Header=BB242_304 Depth=1
	v_cmp_ne_u16_sdwa s[16:17], v6, v7 src0_sel:BYTE_0 src1_sel:DWORD
	s_andn2_b64 s[0:1], s[0:1], exec
	s_and_b64 s[16:17], s[16:17], exec
	v_mov_b32_e32 v44, 0
	s_or_b64 s[0:1], s[0:1], s[16:17]
	s_or_b64 exec, exec, s[12:13]
	s_and_saveexec_b64 s[12:13], s[0:1]
	s_cbranch_execnz .LBB242_366
	s_branch .LBB242_367
.LBB242_501:                            ;   in Loop: Header=BB242_304 Depth=1
	v_cmp_eq_u16_e64 s[0:1], s31, v6
	s_mov_b64 s[12:13], -1
                                        ; implicit-def: $sgpr43
	s_and_saveexec_b64 s[18:19], s[0:1]
; %bb.502:                              ;   in Loop: Header=BB242_304 Depth=1
	s_mov_b32 s43, 0x7fc02000
	s_xor_b64 s[12:13], exec, -1
; %bb.503:                              ;   in Loop: Header=BB242_304 Depth=1
	s_or_b64 exec, exec, s[18:19]
	s_and_b64 s[12:13], s[12:13], exec
	s_or_saveexec_b64 s[16:17], s[16:17]
	v_mov_b32_e32 v45, s43
	s_xor_b64 exec, exec, s[16:17]
	s_cbranch_execz .LBB242_369
.LBB242_504:                            ;   in Loop: Header=BB242_304 Depth=1
	v_cmp_ne_u16_e64 s[0:1], 0, v6
	s_andn2_b64 s[12:13], s[12:13], exec
	s_and_b64 s[0:1], s[0:1], exec
	v_mov_b32_e32 v45, 0
	s_or_b64 s[12:13], s[12:13], s[0:1]
	s_or_b64 exec, exec, s[16:17]
	s_and_saveexec_b64 s[16:17], s[12:13]
	s_cbranch_execnz .LBB242_370
	s_branch .LBB242_371
.LBB242_505:                            ;   in Loop: Header=BB242_304 Depth=1
	v_cmp_eq_u16_sdwa s[44:45], v16, s31 src0_sel:BYTE_0 src1_sel:DWORD
	s_mov_b64 s[0:1], -1
                                        ; implicit-def: $sgpr18
	s_and_saveexec_b64 s[16:17], s[44:45]
; %bb.506:                              ;   in Loop: Header=BB242_304 Depth=1
	s_mov_b32 s18, 0x7fc02000
	s_xor_b64 s[0:1], exec, -1
; %bb.507:                              ;   in Loop: Header=BB242_304 Depth=1
	s_or_b64 exec, exec, s[16:17]
	s_and_b64 s[0:1], s[0:1], exec
	s_or_saveexec_b64 s[12:13], s[12:13]
	v_mov_b32_e32 v18, s18
	s_xor_b64 exec, exec, s[12:13]
	s_cbranch_execz .LBB242_375
.LBB242_508:                            ;   in Loop: Header=BB242_304 Depth=1
	v_cmp_ne_u16_sdwa s[16:17], v16, v7 src0_sel:BYTE_0 src1_sel:DWORD
	s_andn2_b64 s[0:1], s[0:1], exec
	s_and_b64 s[16:17], s[16:17], exec
	v_mov_b32_e32 v18, 0
	s_or_b64 s[0:1], s[0:1], s[16:17]
	s_or_b64 exec, exec, s[12:13]
	s_and_saveexec_b64 s[12:13], s[0:1]
	s_cbranch_execnz .LBB242_376
	s_branch .LBB242_377
.LBB242_509:                            ;   in Loop: Header=BB242_304 Depth=1
	v_cmp_eq_u16_e64 s[0:1], s31, v6
	s_mov_b64 s[12:13], -1
                                        ; implicit-def: $sgpr43
	s_and_saveexec_b64 s[18:19], s[0:1]
; %bb.510:                              ;   in Loop: Header=BB242_304 Depth=1
	s_mov_b32 s43, 0x7fc02000
	s_xor_b64 s[12:13], exec, -1
; %bb.511:                              ;   in Loop: Header=BB242_304 Depth=1
	s_or_b64 exec, exec, s[18:19]
	s_and_b64 s[12:13], s[12:13], exec
	s_or_saveexec_b64 s[16:17], s[16:17]
	v_mov_b32_e32 v20, s43
	s_xor_b64 exec, exec, s[16:17]
	s_cbranch_execz .LBB242_379
.LBB242_512:                            ;   in Loop: Header=BB242_304 Depth=1
	v_cmp_ne_u16_e64 s[0:1], 0, v6
	s_andn2_b64 s[12:13], s[12:13], exec
	s_and_b64 s[0:1], s[0:1], exec
	v_mov_b32_e32 v20, 0
	s_or_b64 s[12:13], s[12:13], s[0:1]
	s_or_b64 exec, exec, s[16:17]
	s_and_saveexec_b64 s[16:17], s[12:13]
	s_cbranch_execnz .LBB242_380
	s_branch .LBB242_381
.LBB242_513:                            ;   in Loop: Header=BB242_304 Depth=1
	v_cmp_eq_u16_sdwa s[44:45], v6, s31 src0_sel:BYTE_0 src1_sel:DWORD
	s_mov_b64 s[0:1], -1
                                        ; implicit-def: $sgpr18
	s_and_saveexec_b64 s[16:17], s[44:45]
; %bb.514:                              ;   in Loop: Header=BB242_304 Depth=1
	s_mov_b32 s18, 0x7fc02000
	s_xor_b64 s[0:1], exec, -1
; %bb.515:                              ;   in Loop: Header=BB242_304 Depth=1
	s_or_b64 exec, exec, s[16:17]
	s_and_b64 s[0:1], s[0:1], exec
	s_or_saveexec_b64 s[12:13], s[12:13]
	v_mov_b32_e32 v19, s18
	s_xor_b64 exec, exec, s[12:13]
	s_cbranch_execz .LBB242_383
.LBB242_516:                            ;   in Loop: Header=BB242_304 Depth=1
	v_cmp_ne_u16_sdwa s[16:17], v6, v7 src0_sel:BYTE_0 src1_sel:DWORD
	s_andn2_b64 s[0:1], s[0:1], exec
	s_and_b64 s[16:17], s[16:17], exec
	v_mov_b32_e32 v19, 0
	s_or_b64 s[0:1], s[0:1], s[16:17]
	s_or_b64 exec, exec, s[12:13]
	s_and_saveexec_b64 s[12:13], s[0:1]
	s_cbranch_execnz .LBB242_384
	s_branch .LBB242_385
.LBB242_517:                            ;   in Loop: Header=BB242_304 Depth=1
	v_cmp_eq_u16_e64 s[0:1], s31, v6
	s_mov_b64 s[12:13], -1
                                        ; implicit-def: $sgpr43
	s_and_saveexec_b64 s[18:19], s[0:1]
; %bb.518:                              ;   in Loop: Header=BB242_304 Depth=1
	s_mov_b32 s43, 0x7fc02000
	s_xor_b64 s[12:13], exec, -1
; %bb.519:                              ;   in Loop: Header=BB242_304 Depth=1
	s_or_b64 exec, exec, s[18:19]
	s_and_b64 s[12:13], s[12:13], exec
	s_or_saveexec_b64 s[16:17], s[16:17]
	v_mov_b32_e32 v21, s43
	s_xor_b64 exec, exec, s[16:17]
	s_cbranch_execz .LBB242_387
.LBB242_520:                            ;   in Loop: Header=BB242_304 Depth=1
	v_cmp_ne_u16_e64 s[0:1], 0, v6
	s_andn2_b64 s[12:13], s[12:13], exec
	s_and_b64 s[0:1], s[0:1], exec
	v_mov_b32_e32 v21, 0
	s_or_b64 s[12:13], s[12:13], s[0:1]
	s_or_b64 exec, exec, s[16:17]
	s_and_saveexec_b64 s[16:17], s[12:13]
	s_cbranch_execnz .LBB242_388
	s_branch .LBB242_389
.LBB242_521:                            ;   in Loop: Header=BB242_304 Depth=1
	v_cmp_eq_u16_sdwa s[44:45], v17, s31 src0_sel:BYTE_0 src1_sel:DWORD
	s_mov_b64 s[0:1], -1
                                        ; implicit-def: $sgpr18
	s_and_saveexec_b64 s[16:17], s[44:45]
; %bb.522:                              ;   in Loop: Header=BB242_304 Depth=1
	s_mov_b32 s18, 0x7fc02000
	s_xor_b64 s[0:1], exec, -1
; %bb.523:                              ;   in Loop: Header=BB242_304 Depth=1
	s_or_b64 exec, exec, s[16:17]
	s_and_b64 s[0:1], s[0:1], exec
	s_or_saveexec_b64 s[12:13], s[12:13]
	v_mov_b32_e32 v16, s18
	s_xor_b64 exec, exec, s[12:13]
	s_cbranch_execz .LBB242_391
.LBB242_524:                            ;   in Loop: Header=BB242_304 Depth=1
	v_cmp_ne_u16_sdwa s[16:17], v17, v7 src0_sel:BYTE_0 src1_sel:DWORD
	s_andn2_b64 s[0:1], s[0:1], exec
	s_and_b64 s[16:17], s[16:17], exec
	v_mov_b32_e32 v16, 0
	s_or_b64 s[0:1], s[0:1], s[16:17]
	s_or_b64 exec, exec, s[12:13]
	v_mov_b32_e32 v6, v17
	s_and_saveexec_b64 s[12:13], s[0:1]
	s_cbranch_execnz .LBB242_392
	s_branch .LBB242_393
.LBB242_525:                            ;   in Loop: Header=BB242_304 Depth=1
	v_cmp_eq_u16_e64 s[0:1], s31, v6
	s_mov_b64 s[12:13], -1
                                        ; implicit-def: $sgpr43
	s_and_saveexec_b64 s[18:19], s[0:1]
; %bb.526:                              ;   in Loop: Header=BB242_304 Depth=1
	s_mov_b32 s43, 0x7fc02000
	s_xor_b64 s[12:13], exec, -1
; %bb.527:                              ;   in Loop: Header=BB242_304 Depth=1
	s_or_b64 exec, exec, s[18:19]
	s_and_b64 s[12:13], s[12:13], exec
	s_or_saveexec_b64 s[16:17], s[16:17]
	v_mov_b32_e32 v45, s43
	s_xor_b64 exec, exec, s[16:17]
	s_cbranch_execz .LBB242_395
.LBB242_528:                            ;   in Loop: Header=BB242_304 Depth=1
	v_cmp_ne_u16_e64 s[0:1], 0, v6
	s_andn2_b64 s[12:13], s[12:13], exec
	s_and_b64 s[0:1], s[0:1], exec
	v_mov_b32_e32 v45, 0
	s_or_b64 s[12:13], s[12:13], s[0:1]
	s_or_b64 exec, exec, s[16:17]
	s_and_saveexec_b64 s[16:17], s[12:13]
	s_cbranch_execnz .LBB242_396
	s_branch .LBB242_397
.LBB242_529:                            ;   in Loop: Header=BB242_304 Depth=1
	v_cmp_eq_u16_sdwa s[44:45], v6, s31 src0_sel:BYTE_0 src1_sel:DWORD
	s_mov_b64 s[0:1], -1
                                        ; implicit-def: $sgpr18
	s_and_saveexec_b64 s[16:17], s[44:45]
; %bb.530:                              ;   in Loop: Header=BB242_304 Depth=1
	s_mov_b32 s18, 0x7fc02000
	s_xor_b64 s[0:1], exec, -1
; %bb.531:                              ;   in Loop: Header=BB242_304 Depth=1
	s_or_b64 exec, exec, s[16:17]
	s_and_b64 s[0:1], s[0:1], exec
	s_or_saveexec_b64 s[12:13], s[12:13]
	v_mov_b32_e32 v46, s18
	s_xor_b64 exec, exec, s[12:13]
	s_cbranch_execz .LBB242_399
.LBB242_532:                            ;   in Loop: Header=BB242_304 Depth=1
	v_cmp_ne_u16_sdwa s[16:17], v6, v7 src0_sel:BYTE_0 src1_sel:DWORD
	s_andn2_b64 s[0:1], s[0:1], exec
	s_and_b64 s[16:17], s[16:17], exec
	v_mov_b32_e32 v46, 0
	s_or_b64 s[0:1], s[0:1], s[16:17]
	s_or_b64 exec, exec, s[12:13]
	s_and_saveexec_b64 s[12:13], s[0:1]
	s_cbranch_execnz .LBB242_400
	s_branch .LBB242_401
.LBB242_533:                            ;   in Loop: Header=BB242_304 Depth=1
	v_cmp_eq_u16_e64 s[0:1], s31, v6
	s_mov_b64 s[12:13], -1
                                        ; implicit-def: $sgpr43
	s_and_saveexec_b64 s[18:19], s[0:1]
; %bb.534:                              ;   in Loop: Header=BB242_304 Depth=1
	s_mov_b32 s43, 0x7fc02000
	s_xor_b64 s[12:13], exec, -1
; %bb.535:                              ;   in Loop: Header=BB242_304 Depth=1
	s_or_b64 exec, exec, s[18:19]
	s_and_b64 s[12:13], s[12:13], exec
	s_or_saveexec_b64 s[16:17], s[16:17]
	v_mov_b32_e32 v47, s43
	s_xor_b64 exec, exec, s[16:17]
	s_cbranch_execz .LBB242_403
.LBB242_536:                            ;   in Loop: Header=BB242_304 Depth=1
	v_cmp_ne_u16_e64 s[0:1], 0, v6
	s_andn2_b64 s[12:13], s[12:13], exec
	s_and_b64 s[0:1], s[0:1], exec
	v_mov_b32_e32 v47, 0
	s_or_b64 s[12:13], s[12:13], s[0:1]
	s_or_b64 exec, exec, s[16:17]
	s_and_saveexec_b64 s[16:17], s[12:13]
	s_cbranch_execnz .LBB242_404
	s_branch .LBB242_405
.LBB242_537:                            ;   in Loop: Header=BB242_304 Depth=1
	v_cmp_eq_u16_sdwa s[44:45], v16, s31 src0_sel:BYTE_0 src1_sel:DWORD
	s_mov_b64 s[0:1], -1
                                        ; implicit-def: $sgpr18
	s_and_saveexec_b64 s[16:17], s[44:45]
; %bb.538:                              ;   in Loop: Header=BB242_304 Depth=1
	s_mov_b32 s18, 0x7fc02000
	s_xor_b64 s[0:1], exec, -1
; %bb.539:                              ;   in Loop: Header=BB242_304 Depth=1
	s_or_b64 exec, exec, s[16:17]
	s_and_b64 s[0:1], s[0:1], exec
	s_or_saveexec_b64 s[12:13], s[12:13]
	v_mov_b32_e32 v12, s18
	s_xor_b64 exec, exec, s[12:13]
	s_cbranch_execz .LBB242_409
.LBB242_540:                            ;   in Loop: Header=BB242_304 Depth=1
	v_cmp_ne_u16_sdwa s[16:17], v16, v7 src0_sel:BYTE_0 src1_sel:DWORD
	s_andn2_b64 s[0:1], s[0:1], exec
	s_and_b64 s[16:17], s[16:17], exec
	v_mov_b32_e32 v12, 0
	s_or_b64 s[0:1], s[0:1], s[16:17]
	s_or_b64 exec, exec, s[12:13]
	s_and_saveexec_b64 s[12:13], s[0:1]
	s_cbranch_execnz .LBB242_410
	s_branch .LBB242_411
.LBB242_541:                            ;   in Loop: Header=BB242_304 Depth=1
	v_cmp_eq_u16_e64 s[0:1], s31, v6
	s_mov_b64 s[12:13], -1
                                        ; implicit-def: $sgpr43
	s_and_saveexec_b64 s[18:19], s[0:1]
; %bb.542:                              ;   in Loop: Header=BB242_304 Depth=1
	s_mov_b32 s43, 0x7fc02000
	s_xor_b64 s[12:13], exec, -1
; %bb.543:                              ;   in Loop: Header=BB242_304 Depth=1
	s_or_b64 exec, exec, s[18:19]
	s_and_b64 s[12:13], s[12:13], exec
	s_or_saveexec_b64 s[16:17], s[16:17]
	v_mov_b32_e32 v18, s43
	s_xor_b64 exec, exec, s[16:17]
	s_cbranch_execz .LBB242_413
.LBB242_544:                            ;   in Loop: Header=BB242_304 Depth=1
	v_cmp_ne_u16_e64 s[0:1], 0, v6
	s_andn2_b64 s[12:13], s[12:13], exec
	s_and_b64 s[0:1], s[0:1], exec
	v_mov_b32_e32 v18, 0
	s_or_b64 s[12:13], s[12:13], s[0:1]
	s_or_b64 exec, exec, s[16:17]
	s_and_saveexec_b64 s[16:17], s[12:13]
	s_cbranch_execnz .LBB242_414
	s_branch .LBB242_415
.LBB242_545:                            ;   in Loop: Header=BB242_304 Depth=1
	v_cmp_eq_u16_sdwa s[44:45], v6, s31 src0_sel:BYTE_0 src1_sel:DWORD
	s_mov_b64 s[0:1], -1
                                        ; implicit-def: $sgpr18
	s_and_saveexec_b64 s[16:17], s[44:45]
; %bb.546:                              ;   in Loop: Header=BB242_304 Depth=1
	s_mov_b32 s18, 0x7fc02000
	s_xor_b64 s[0:1], exec, -1
; %bb.547:                              ;   in Loop: Header=BB242_304 Depth=1
	s_or_b64 exec, exec, s[16:17]
	s_and_b64 s[0:1], s[0:1], exec
	s_or_saveexec_b64 s[12:13], s[12:13]
	v_mov_b32_e32 v13, s18
	s_xor_b64 exec, exec, s[12:13]
	s_cbranch_execz .LBB242_417
.LBB242_548:                            ;   in Loop: Header=BB242_304 Depth=1
	v_cmp_ne_u16_sdwa s[16:17], v6, v7 src0_sel:BYTE_0 src1_sel:DWORD
	s_andn2_b64 s[0:1], s[0:1], exec
	s_and_b64 s[16:17], s[16:17], exec
	v_mov_b32_e32 v13, 0
	s_or_b64 s[0:1], s[0:1], s[16:17]
	s_or_b64 exec, exec, s[12:13]
	s_and_saveexec_b64 s[12:13], s[0:1]
	s_cbranch_execnz .LBB242_418
	s_branch .LBB242_419
.LBB242_549:                            ;   in Loop: Header=BB242_304 Depth=1
	v_cmp_eq_u16_e64 s[0:1], s31, v6
	s_mov_b64 s[12:13], -1
                                        ; implicit-def: $sgpr43
	s_and_saveexec_b64 s[18:19], s[0:1]
; %bb.550:                              ;   in Loop: Header=BB242_304 Depth=1
	s_mov_b32 s43, 0x7fc02000
	s_xor_b64 s[12:13], exec, -1
; %bb.551:                              ;   in Loop: Header=BB242_304 Depth=1
	s_or_b64 exec, exec, s[18:19]
	s_and_b64 s[12:13], s[12:13], exec
	s_or_saveexec_b64 s[16:17], s[16:17]
	v_mov_b32_e32 v19, s43
	s_xor_b64 exec, exec, s[16:17]
	s_cbranch_execz .LBB242_421
.LBB242_552:                            ;   in Loop: Header=BB242_304 Depth=1
	v_cmp_ne_u16_e64 s[0:1], 0, v6
	s_andn2_b64 s[12:13], s[12:13], exec
	s_and_b64 s[0:1], s[0:1], exec
	v_mov_b32_e32 v19, 0
	s_or_b64 s[12:13], s[12:13], s[0:1]
	s_or_b64 exec, exec, s[16:17]
	s_and_saveexec_b64 s[16:17], s[12:13]
	s_cbranch_execnz .LBB242_422
	s_branch .LBB242_423
.LBB242_553:                            ;   in Loop: Header=BB242_304 Depth=1
	v_cmp_eq_u16_sdwa s[44:45], v17, s31 src0_sel:BYTE_0 src1_sel:DWORD
	s_mov_b64 s[0:1], -1
                                        ; implicit-def: $sgpr18
	s_and_saveexec_b64 s[16:17], s[44:45]
; %bb.554:                              ;   in Loop: Header=BB242_304 Depth=1
	s_mov_b32 s18, 0x7fc02000
	s_xor_b64 s[0:1], exec, -1
; %bb.555:                              ;   in Loop: Header=BB242_304 Depth=1
	s_or_b64 exec, exec, s[16:17]
	s_and_b64 s[0:1], s[0:1], exec
	s_or_saveexec_b64 s[12:13], s[12:13]
	v_mov_b32_e32 v16, s18
	s_xor_b64 exec, exec, s[12:13]
	s_cbranch_execz .LBB242_425
.LBB242_556:                            ;   in Loop: Header=BB242_304 Depth=1
	v_cmp_ne_u16_sdwa s[16:17], v17, v7 src0_sel:BYTE_0 src1_sel:DWORD
	s_andn2_b64 s[0:1], s[0:1], exec
	s_and_b64 s[16:17], s[16:17], exec
	v_mov_b32_e32 v16, 0
	s_or_b64 s[0:1], s[0:1], s[16:17]
	s_or_b64 exec, exec, s[12:13]
	v_mov_b32_e32 v6, v17
	s_and_saveexec_b64 s[12:13], s[0:1]
	s_cbranch_execnz .LBB242_426
	s_branch .LBB242_427
.LBB242_557:                            ;   in Loop: Header=BB242_304 Depth=1
	v_cmp_eq_u16_e64 s[0:1], s31, v6
	s_mov_b64 s[12:13], -1
                                        ; implicit-def: $sgpr43
	s_and_saveexec_b64 s[18:19], s[0:1]
; %bb.558:                              ;   in Loop: Header=BB242_304 Depth=1
	s_mov_b32 s43, 0x7fc02000
	s_xor_b64 s[12:13], exec, -1
; %bb.559:                              ;   in Loop: Header=BB242_304 Depth=1
	s_or_b64 exec, exec, s[18:19]
	s_and_b64 s[12:13], s[12:13], exec
	s_or_saveexec_b64 s[16:17], s[16:17]
	v_mov_b32_e32 v45, s43
	s_xor_b64 exec, exec, s[16:17]
	s_cbranch_execz .LBB242_429
.LBB242_560:                            ;   in Loop: Header=BB242_304 Depth=1
	v_cmp_ne_u16_e64 s[0:1], 0, v6
	s_andn2_b64 s[12:13], s[12:13], exec
	s_and_b64 s[0:1], s[0:1], exec
	v_mov_b32_e32 v45, 0
	s_or_b64 s[12:13], s[12:13], s[0:1]
	s_or_b64 exec, exec, s[16:17]
	s_and_saveexec_b64 s[16:17], s[12:13]
	s_cbranch_execnz .LBB242_430
	s_branch .LBB242_431
.LBB242_561:                            ;   in Loop: Header=BB242_304 Depth=1
	v_cmp_eq_u16_sdwa s[44:45], v6, s31 src0_sel:BYTE_0 src1_sel:DWORD
	s_mov_b64 s[0:1], -1
                                        ; implicit-def: $sgpr18
	s_and_saveexec_b64 s[16:17], s[44:45]
; %bb.562:                              ;   in Loop: Header=BB242_304 Depth=1
	s_mov_b32 s18, 0x7fc02000
	s_xor_b64 s[0:1], exec, -1
; %bb.563:                              ;   in Loop: Header=BB242_304 Depth=1
	s_or_b64 exec, exec, s[16:17]
	s_and_b64 s[0:1], s[0:1], exec
	s_or_saveexec_b64 s[12:13], s[12:13]
	v_mov_b32_e32 v46, s18
	s_xor_b64 exec, exec, s[12:13]
	s_cbranch_execz .LBB242_433
.LBB242_564:                            ;   in Loop: Header=BB242_304 Depth=1
	v_cmp_ne_u16_sdwa s[16:17], v6, v7 src0_sel:BYTE_0 src1_sel:DWORD
	s_andn2_b64 s[0:1], s[0:1], exec
	s_and_b64 s[16:17], s[16:17], exec
	v_mov_b32_e32 v46, 0
	s_or_b64 s[0:1], s[0:1], s[16:17]
	s_or_b64 exec, exec, s[12:13]
	s_and_saveexec_b64 s[12:13], s[0:1]
	s_cbranch_execnz .LBB242_434
	s_branch .LBB242_435
.LBB242_565:                            ;   in Loop: Header=BB242_304 Depth=1
	v_cmp_eq_u16_e64 s[0:1], s31, v6
	s_mov_b64 s[12:13], -1
                                        ; implicit-def: $sgpr43
	s_and_saveexec_b64 s[18:19], s[0:1]
; %bb.566:                              ;   in Loop: Header=BB242_304 Depth=1
	s_mov_b32 s43, 0x7fc02000
	s_xor_b64 s[12:13], exec, -1
; %bb.567:                              ;   in Loop: Header=BB242_304 Depth=1
	s_or_b64 exec, exec, s[18:19]
	s_and_b64 s[12:13], s[12:13], exec
	s_or_saveexec_b64 s[16:17], s[16:17]
	v_mov_b32_e32 v47, s43
	s_xor_b64 exec, exec, s[16:17]
	s_cbranch_execz .LBB242_437
.LBB242_568:                            ;   in Loop: Header=BB242_304 Depth=1
	v_cmp_ne_u16_e64 s[0:1], 0, v6
	s_andn2_b64 s[12:13], s[12:13], exec
	s_and_b64 s[0:1], s[0:1], exec
	v_mov_b32_e32 v47, 0
	s_or_b64 s[12:13], s[12:13], s[0:1]
	s_or_b64 exec, exec, s[16:17]
	s_and_saveexec_b64 s[16:17], s[12:13]
	s_cbranch_execnz .LBB242_438
	s_branch .LBB242_439
.LBB242_569:
	s_or_b64 exec, exec, s[10:11]
.LBB242_570:
	s_or_b64 exec, exec, s[8:9]
	ds_bpermute_b32 v6, v23, v2
	ds_bpermute_b32 v7, v23, v3
	;; [unrolled: 1-line block ×4, first 2 shown]
	v_and_b32_e32 v1, 0x3c1, v0
	v_cmp_eq_u32_e32 vcc, 64, v1
	s_waitcnt lgkmcnt(2)
	v_pk_add_f32 v[6:7], v[2:3], v[6:7]
	s_waitcnt lgkmcnt(0)
	v_pk_add_f32 v[2:3], v[4:5], v[8:9]
	s_barrier
	s_and_saveexec_b64 s[0:1], vcc
	s_cbranch_execz .LBB242_572
; %bb.571:
	v_mov_b32_e32 v4, 0x110
	v_lshl_add_u32 v4, v22, 1, v4
	ds_write2_b32 v4, v6, v7 offset1:32
	ds_write2_b32 v4, v2, v3 offset0:64 offset1:96
.LBB242_572:
	s_or_b64 exec, exec, s[0:1]
	s_waitcnt lgkmcnt(0)
	s_barrier
	s_and_saveexec_b64 s[0:1], s[6:7]
	s_cbranch_execz .LBB242_579
; %bb.573:
	v_cmp_eq_u32_e32 vcc, 0, v24
	v_lshrrev_b32_e32 v4, 1, v0
	s_and_saveexec_b64 s[2:3], vcc
	s_cbranch_execnz .LBB242_582
; %bb.574:
	s_or_b64 exec, exec, s[2:3]
	s_and_saveexec_b64 s[2:3], vcc
	s_cbranch_execnz .LBB242_583
.LBB242_575:
	s_or_b64 exec, exec, s[2:3]
	s_and_saveexec_b64 s[2:3], vcc
	s_cbranch_execnz .LBB242_584
.LBB242_576:
	s_or_b64 exec, exec, s[2:3]
	s_and_saveexec_b64 s[2:3], vcc
	s_cbranch_execz .LBB242_578
.LBB242_577:
	v_mov_b32_e32 v5, 0x110
	v_lshl_add_u32 v4, v4, 2, v5
	ds_read_b32 v4, v4 offset:384
	s_waitcnt lgkmcnt(0)
	v_add_f32_e32 v3, v3, v4
.LBB242_578:
	s_or_b64 exec, exec, s[2:3]
.LBB242_579:
	s_or_b64 exec, exec, s[0:1]
	v_cmp_eq_u32_e32 vcc, 0, v1
	s_barrier
	s_and_saveexec_b64 s[0:1], vcc
	s_cbranch_execz .LBB242_581
; %bb.580:
	s_mul_i32 s0, s24, s20
	s_mul_i32 s0, s0, s5
	s_lshl_b32 s0, s0, 7
	s_ashr_i32 s1, s0, 31
	s_lshl_b64 s[0:1], s[0:1], 1
	s_add_u32 s2, s28, s0
	s_mul_i32 s0, s20, s26
	s_addc_u32 s3, s29, s1
	s_ashr_i32 s1, s0, 31
	s_lshl_b64 s[0:1], s[0:1], 1
	s_add_u32 s2, s2, s0
	s_addc_u32 s3, s3, s1
	s_lshl_b32 s0, s4, 7
	s_ashr_i32 s1, s0, 31
	s_lshl_b64 s[0:1], s[0:1], 1
	s_add_u32 s0, s2, s0
	s_addc_u32 s1, s3, s1
	;;#ASMSTART
	v_cvt_f16_f32 v1, v6;

	;;#ASMEND
	global_store_short v0, v1, s[0:1]
	;;#ASMSTART
	v_cvt_f16_f32 v1, v7;

	;;#ASMEND
	global_store_short v0, v1, s[0:1] offset:64
	;;#ASMSTART
	v_cvt_f16_f32 v1, v2;

	;;#ASMEND
	global_store_short v0, v1, s[0:1] offset:128
	;; [unrolled: 5-line block ×3, first 2 shown]
.LBB242_581:
	s_endpgm
.LBB242_582:
	v_mov_b32_e32 v5, 0x110
	v_lshl_add_u32 v5, v4, 2, v5
	ds_read_b32 v5, v5
	s_waitcnt lgkmcnt(0)
	v_add_f32_e32 v6, v6, v5
	s_or_b64 exec, exec, s[2:3]
	s_and_saveexec_b64 s[2:3], vcc
	s_cbranch_execz .LBB242_575
.LBB242_583:
	v_mov_b32_e32 v5, 0x110
	v_lshl_add_u32 v5, v4, 2, v5
	ds_read_b32 v5, v5 offset:128
	s_waitcnt lgkmcnt(0)
	v_add_f32_e32 v7, v7, v5
	s_or_b64 exec, exec, s[2:3]
	s_and_saveexec_b64 s[2:3], vcc
	s_cbranch_execz .LBB242_576
.LBB242_584:
	v_mov_b32_e32 v5, 0x110
	v_lshl_add_u32 v5, v4, 2, v5
	ds_read_b32 v5, v5 offset:256
	s_waitcnt lgkmcnt(0)
	v_add_f32_e32 v2, v2, v5
	s_or_b64 exec, exec, s[2:3]
	s_and_saveexec_b64 s[2:3], vcc
	s_cbranch_execnz .LBB242_577
	s_branch .LBB242_578
	.section	.rodata,"a",@progbits
	.p2align	6, 0x0
	.amdhsa_kernel _ZN4vllm25paged_attention_v1_kernelIthLi128ELi16ELi128ELNS_18Fp8KVCacheDataTypeE1ELb1EEEvPT_PKS2_PKT0_S8_ifPKiSA_iPKfiiiSC_SC_iiiii
		.amdhsa_group_segment_fixed_size 272
		.amdhsa_private_segment_fixed_size 0
		.amdhsa_kernarg_size 384
		.amdhsa_user_sgpr_count 2
		.amdhsa_user_sgpr_dispatch_ptr 0
		.amdhsa_user_sgpr_queue_ptr 0
		.amdhsa_user_sgpr_kernarg_segment_ptr 1
		.amdhsa_user_sgpr_dispatch_id 0
		.amdhsa_user_sgpr_kernarg_preload_length 0
		.amdhsa_user_sgpr_kernarg_preload_offset 0
		.amdhsa_user_sgpr_private_segment_size 0
		.amdhsa_uses_dynamic_stack 0
		.amdhsa_enable_private_segment 0
		.amdhsa_system_sgpr_workgroup_id_x 1
		.amdhsa_system_sgpr_workgroup_id_y 1
		.amdhsa_system_sgpr_workgroup_id_z 1
		.amdhsa_system_sgpr_workgroup_info 0
		.amdhsa_system_vgpr_workitem_id 0
		.amdhsa_next_free_vgpr 73
		.amdhsa_next_free_sgpr 60
		.amdhsa_accum_offset 76
		.amdhsa_reserve_vcc 1
		.amdhsa_float_round_mode_32 0
		.amdhsa_float_round_mode_16_64 0
		.amdhsa_float_denorm_mode_32 3
		.amdhsa_float_denorm_mode_16_64 3
		.amdhsa_dx10_clamp 1
		.amdhsa_ieee_mode 1
		.amdhsa_fp16_overflow 0
		.amdhsa_tg_split 0
		.amdhsa_exception_fp_ieee_invalid_op 0
		.amdhsa_exception_fp_denorm_src 0
		.amdhsa_exception_fp_ieee_div_zero 0
		.amdhsa_exception_fp_ieee_overflow 0
		.amdhsa_exception_fp_ieee_underflow 0
		.amdhsa_exception_fp_ieee_inexact 0
		.amdhsa_exception_int_div_zero 0
	.end_amdhsa_kernel
	.section	.text._ZN4vllm25paged_attention_v1_kernelIthLi128ELi16ELi128ELNS_18Fp8KVCacheDataTypeE1ELb1EEEvPT_PKS2_PKT0_S8_ifPKiSA_iPKfiiiSC_SC_iiiii,"axG",@progbits,_ZN4vllm25paged_attention_v1_kernelIthLi128ELi16ELi128ELNS_18Fp8KVCacheDataTypeE1ELb1EEEvPT_PKS2_PKT0_S8_ifPKiSA_iPKfiiiSC_SC_iiiii,comdat
.Lfunc_end242:
	.size	_ZN4vllm25paged_attention_v1_kernelIthLi128ELi16ELi128ELNS_18Fp8KVCacheDataTypeE1ELb1EEEvPT_PKS2_PKT0_S8_ifPKiSA_iPKfiiiSC_SC_iiiii, .Lfunc_end242-_ZN4vllm25paged_attention_v1_kernelIthLi128ELi16ELi128ELNS_18Fp8KVCacheDataTypeE1ELb1EEEvPT_PKS2_PKT0_S8_ifPKiSA_iPKfiiiSC_SC_iiiii
                                        ; -- End function
	.section	.AMDGPU.csdata,"",@progbits
; Kernel info:
; codeLenInByte = 23696
; NumSgprs: 66
; NumVgprs: 73
; NumAgprs: 0
; TotalNumVgprs: 73
; ScratchSize: 0
; MemoryBound: 0
; FloatMode: 240
; IeeeMode: 1
; LDSByteSize: 272 bytes/workgroup (compile time only)
; SGPRBlocks: 8
; VGPRBlocks: 9
; NumSGPRsForWavesPerEU: 66
; NumVGPRsForWavesPerEU: 73
; AccumOffset: 76
; Occupancy: 6
; WaveLimiterHint : 1
; COMPUTE_PGM_RSRC2:SCRATCH_EN: 0
; COMPUTE_PGM_RSRC2:USER_SGPR: 2
; COMPUTE_PGM_RSRC2:TRAP_HANDLER: 0
; COMPUTE_PGM_RSRC2:TGID_X_EN: 1
; COMPUTE_PGM_RSRC2:TGID_Y_EN: 1
; COMPUTE_PGM_RSRC2:TGID_Z_EN: 1
; COMPUTE_PGM_RSRC2:TIDIG_COMP_CNT: 0
; COMPUTE_PGM_RSRC3_GFX90A:ACCUM_OFFSET: 18
; COMPUTE_PGM_RSRC3_GFX90A:TG_SPLIT: 0
	.text
	.p2align	2                               ; -- Begin function _ZN4vllm22paged_attention_kernelIthLi192ELi16ELi128ELNS_18Fp8KVCacheDataTypeE1ELb1ELi0EEEvPfS2_PT_PKS3_PKT0_S9_ifPKiSB_iPKfiiiSD_SD_iiiii
	.type	_ZN4vllm22paged_attention_kernelIthLi192ELi16ELi128ELNS_18Fp8KVCacheDataTypeE1ELb1ELi0EEEvPfS2_PT_PKS3_PKT0_S9_ifPKiSB_iPKfiiiSD_SD_iiiii,@function
_ZN4vllm22paged_attention_kernelIthLi192ELi16ELi128ELNS_18Fp8KVCacheDataTypeE1ELb1ELi0EEEvPfS2_PT_PKS3_PKT0_S9_ifPKiSB_iPKfiiiSD_SD_iiiii: ; @_ZN4vllm22paged_attention_kernelIthLi192ELi16ELi128ELNS_18Fp8KVCacheDataTypeE1ELb1ELi0EEEvPfS2_PT_PKS3_PKT0_S9_ifPKiSB_iPKfiiiSD_SD_iiiii
; %bb.0:
	s_waitcnt vmcnt(0) expcnt(0) lgkmcnt(0)
	s_or_saveexec_b64 s[0:1], -1
	scratch_store_dword off, v63, s32 offset:152 ; 4-byte Folded Spill
	s_mov_b64 exec, s[0:1]
	scratch_store_dword off, v40, s32 offset:140 ; 4-byte Folded Spill
	scratch_store_dword off, v41, s32 offset:136 ; 4-byte Folded Spill
	;; [unrolled: 1-line block ×35, first 2 shown]
	scratch_store_dword off, a52, s32       ; 4-byte Folded Spill
	v_writelane_b32 v63, s30, 0
	s_nop 1
	v_writelane_b32 v63, s31, 1
	s_mov_b32 s10, s13
	v_accvgpr_write_b32 a0, v0
	s_ashr_i32 s11, s13, 31
	v_accvgpr_write_b32 a1, v1
	v_lshl_add_u64 v[0:1], s[10:11], 2, v[12:13]
	flat_load_dword a8, v[0:1]
	v_sub_u32_e32 v0, 0, v8
	v_max_i32_e32 v0, v8, v0
	v_cvt_f32_u32_e32 v1, v0
	s_load_dword s0, s[8:9], 0x10
	s_load_dword s2, s[8:9], 0x0
	v_accvgpr_write_b32 a27, v21
	v_accvgpr_write_b32 a26, v20
	v_rcp_iflag_f32_e32 v1, v1
	s_waitcnt lgkmcnt(0)
	s_lshr_b32 s0, s0, 16
	s_cmp_lg_u32 s0, 0
	v_mov_b32_e32 v21, v7
	v_mul_f32_e32 v1, 0x4f7ffffe, v1
	v_cvt_u32_f32_e32 v1, v1
	s_cselect_b64 s[0:1], -1, 0
	v_sub_u32_e32 v7, 0, v0
	s_cmp_lg_u64 s[0:1], 0
	v_mul_lo_u32 v7, v7, v1
	s_addc_u32 s11, s2, 0
	v_mul_hi_u32 v7, v1, v7
	s_abs_i32 s0, s11
	v_add_u32_e32 v1, v1, v7
	v_mul_hi_u32 v1, s0, v1
	v_mul_lo_u32 v7, v1, v0
	v_sub_u32_e32 v7, s0, v7
	v_accvgpr_write_b32 a28, v9
	v_add_u32_e32 v9, 1, v1
	v_cmp_ge_u32_e32 vcc, v7, v0
	v_mov_b32_e32 v20, v6
	v_xor_b32_e32 v6, s11, v8
	v_cndmask_b32_e32 v1, v1, v9, vcc
	v_sub_u32_e32 v9, v7, v0
	v_cndmask_b32_e32 v7, v7, v9, vcc
	v_add_u32_e32 v9, 1, v1
	v_cmp_ge_u32_e32 vcc, v7, v0
	v_ashrrev_i32_e32 v6, 31, v6
	v_mov_b32_e32 v35, v16
	v_cndmask_b32_e32 v0, v1, v9, vcc
	v_xor_b32_e32 v0, v0, v6
	v_sub_u32_e32 v0, v0, v6
	v_sub_u32_e32 v1, 0, v0
	v_max_i32_e32 v1, v0, v1
	v_cvt_f32_u32_e32 v6, v1
	v_sub_u32_e32 v7, 0, v1
	v_mov_b32_e32 v34, v15
	v_accvgpr_write_b32 a4, v22
	v_rcp_iflag_f32_e32 v6, v6
	v_accvgpr_write_b32 a17, v11
	s_abs_i32 s2, s12
	v_accvgpr_write_b32 a5, v23
	v_mul_f32_e32 v6, 0x4f7ffffe, v6
	v_cvt_u32_f32_e32 v6, v6
	v_accvgpr_write_b32 a6, v18
	v_accvgpr_write_b32 a16, v10
	s_mov_b32 s16, s15
	v_mul_lo_u32 v7, v7, v6
	v_mul_hi_u32 v7, v6, v7
	v_add_u32_e32 v6, v6, v7
	v_mad_u64_u32 v[12:13], s[0:1], s2, v6, 0
	v_cmp_ne_u64_e32 vcc, 0, v[34:35]
	v_mov_b32_e32 v6, 0
	scratch_store_dword off, v6, s32 offset:148 ; 4-byte Folded Spill
	s_and_saveexec_b64 s[0:1], vcc
	s_cbranch_execz .LBB243_2
; %bb.1:
	s_ashr_i32 s13, s12, 31
	v_lshl_add_u64 v[6:7], s[12:13], 2, v[34:35]
	flat_load_dword v6, v[6:7]
	s_waitcnt vmcnt(0) lgkmcnt(0)
	scratch_store_dword off, v6, s32 offset:148 ; 4-byte Folded Spill
.LBB243_2:
	s_or_b64 exec, exec, s[0:1]
	v_and_b32_e32 v18, 0x3ff, v31
	s_movk_i32 s4, 0x60
	s_ashr_i32 s3, s12, 31
	v_ashrrev_i32_e32 v6, 31, v0
	v_and_b32_e32 v0, 3, v18
	s_mul_i32 s18, s12, 0xc0
	v_cmp_gt_u32_e32 vcc, s4, v18
	s_and_saveexec_b64 s[0:1], vcc
	s_cbranch_execz .LBB243_4
; %bb.3:
	v_mul_lo_u32 v10, s10, v17
	v_ashrrev_i32_e32 v11, 31, v10
	v_lshl_add_u64 v[2:3], v[10:11], 1, v[2:3]
	s_ashr_i32 s19, s18, 31
	v_lshl_add_u64 v[2:3], s[18:19], 1, v[2:3]
	v_lshlrev_b32_e32 v10, 2, v18
	v_mov_b32_e32 v11, 0
	v_lshl_add_u64 v[2:3], v[2:3], 0, v[10:11]
	flat_load_dword v2, v[2:3]
	v_and_b32_e32 v3, 0x3fc, v18
	v_mad_u32_u24 v3, v0, s4, v3
	s_waitcnt vmcnt(0) lgkmcnt(0)
	ds_write_b32 v3, v2
.LBB243_4:
	s_or_b64 exec, exec, s[0:1]
	v_mul_lo_u32 v3, v13, v1
	v_sub_u32_e32 v3, s2, v3
	v_xor_b32_e32 v2, s3, v6
	v_add_u32_e32 v6, 1, v13
	v_cmp_ge_u32_e32 vcc, v3, v1
	v_sub_u32_e32 v7, v3, v1
	s_waitcnt lgkmcnt(0)
	v_cndmask_b32_e32 v6, v13, v6, vcc
	v_cndmask_b32_e32 v3, v3, v7, vcc
	v_add_u32_e32 v7, 1, v6
	v_cmp_ge_u32_e32 vcc, v3, v1
	v_sub_u32_e32 v3, 0, v27
	s_barrier
	v_cndmask_b32_e32 v1, v6, v7, vcc
	v_max_i32_e32 v6, v27, v3
	v_cvt_f32_u32_e32 v3, v6
	v_xor_b32_e32 v1, v1, v2
	v_sub_u32_e32 v12, v1, v2
	s_waitcnt vmcnt(0)
	v_accvgpr_read_b32 v2, a8
	v_rcp_iflag_f32_e32 v1, v3
	v_accvgpr_write_b32 a3, v6
	v_sub_u32_e32 v6, 0, v6
	v_add_u32_e32 v2, -1, v2
	v_mul_f32_e32 v1, 0x4f7ffffe, v1
	v_cvt_u32_f32_e32 v3, v1
	v_sub_u32_e32 v1, 0, v2
	v_max_i32_e32 v1, v2, v1
	v_cmp_gt_i32_e32 vcc, 0, v28
	v_mul_lo_u32 v6, v6, v3
	v_mul_hi_u32 v6, v3, v6
	v_add_u32_e32 v3, v3, v6
	v_accvgpr_write_b32 a7, v3
	v_mad_u64_u32 v[16:17], s[0:1], v1, v3, 0
	s_waitcnt lgkmcnt(0)
                                        ; implicit-def: $agpr10
	s_and_saveexec_b64 s[0:1], vcc
	s_xor_b64 s[0:1], exec, s[0:1]
; %bb.5:
	v_mad_u64_u32 v[6:7], s[2:3], v24, v8, v[12:13]
	v_mul_lo_u32 v3, v6, v28
	v_sub_u32_e32 v6, 1, v3
	v_accvgpr_write_b32 a10, v6
                                        ; implicit-def: $vgpr24
                                        ; implicit-def: $vgpr28
; %bb.6:
	s_or_saveexec_b64 s[0:1], s[0:1]
	v_ashrrev_i32_e32 v3, 31, v27
	v_ashrrev_i32_e32 v2, 31, v2
	v_accvgpr_write_b32 a9, v3
	s_xor_b64 exec, exec, s[0:1]
; %bb.7:
	v_mul_lo_u32 v3, s11, v24
	v_add_u32_e32 v3, s12, v3
	v_mad_u64_u32 v[6:7], s[2:3], v3, v28, 1
	v_accvgpr_write_b32 a10, v6
; %bb.8:
	s_or_b64 exec, exec, s[0:1]
	v_mul_lo_u32 v6, s10, v14
	v_ashrrev_i32_e32 v7, 31, v6
	v_accvgpr_write_b32 a21, v7
	v_accvgpr_write_b32 a20, v6
	v_accvgpr_read_b32 v3, a9
	v_accvgpr_read_b32 v7, a3
	v_xor_b32_e32 v2, v2, v3
	v_mul_lo_u32 v3, v17, v7
	v_sub_u32_e32 v1, v1, v3
	v_add_u32_e32 v3, 1, v17
	v_cmp_ge_u32_e32 vcc, v1, v7
	v_sub_u32_e32 v6, v1, v7
	s_load_dword s19, s[8:9], 0x14
	s_load_dword s15, s[8:9], 0x8
	v_cndmask_b32_e32 v3, v17, v3, vcc
	v_cndmask_b32_e32 v1, v1, v6, vcc
	v_add_u32_e32 v6, 1, v3
	v_cmp_ge_u32_e32 vcc, v1, v7
	v_mul_lo_u32 v22, v12, v19
	v_mov_b32_e32 v7, 0xff7fffff
	v_cndmask_b32_e32 v1, v3, v6, vcc
	v_xor_b32_e32 v1, v1, v2
	v_sub_u32_e32 v1, v1, v2
	v_accvgpr_read_b32 v2, a8
	v_add_u32_e32 v2, 15, v2
	v_ashrrev_i32_e32 v3, 31, v2
	v_lshrrev_b32_e32 v3, 28, v3
	v_add_u32_e32 v2, v2, v3
	v_ashrrev_i32_e32 v2, 4, v2
	v_lshrrev_b32_e32 v3, 6, v18
	v_accvgpr_write_b32 a11, v2
	v_cmp_lt_i32_e64 s[0:1], v3, v2
	v_sub_u32_e32 v1, v1, v25
	v_lshrrev_b32_e32 v2, 4, v18
	v_accvgpr_write_b32 a13, v1
	v_ashrrev_i32_e32 v23, 31, v22
	v_sub_u32_e32 v19, 0, v26
	v_accvgpr_write_b32 a12, v3
	v_accvgpr_write_b32 a22, v2
	v_mbcnt_lo_u32_b32 v6, -1, 0
	v_lshlrev_b32_e32 v1, 4, v3
	s_mov_b64 s[8:9], exec
	s_and_b64 s[2:3], s[8:9], s[0:1]
	v_accvgpr_write_b32 a14, v1
	s_mov_b64 exec, s[2:3]
	s_cbranch_execz .LBB243_402
; %bb.9:
	v_max_i32_e32 v8, v26, v19
	v_cvt_f32_u32_e32 v1, v8
	v_bfe_u32 v7, v18, 2, 4
	v_lshl_add_u64 v[2:3], v[4:5], 0, v[22:23]
	v_lshlrev_b32_e32 v4, 4, v7
	v_mov_b32_e32 v5, 0
	v_rcp_iflag_f32_e32 v1, v1
	v_lshl_add_u64 v[2:3], v[2:3], 0, v[4:5]
	v_accvgpr_write_b32 a33, v3
	v_cmp_eq_u32_e32 vcc, 0, v0
	v_accvgpr_write_b32 a32, v2
	v_lshlrev_b32_e32 v2, 1, v0
	v_mul_u32_u24_e32 v0, 0x60, v0
	v_accvgpr_write_b32 a36, v0
	v_mul_f32_e32 v0, 0x4f7ffffe, v1
	scratch_load_dword v1, off, s32 offset:148 ; 4-byte Folded Reload
	v_cvt_u32_f32_e32 v0, v0
	v_accvgpr_read_b32 v44, a12
	v_mov_b32_e32 v3, v5
	v_accvgpr_write_b32 a35, v3
	v_accvgpr_write_b32 a34, v2
	v_accvgpr_read_b32 v2, a16
	s_ashr_i32 s17, s16, 31
	v_accvgpr_read_b32 v3, a17
	s_lshl_b64 s[4:5], s[16:17], 2
	s_getpc_b64 s[6:7]
	s_add_u32 s6, s6, llvm.amdgcn.dynlds.offset.table@rel32@lo+4
	s_addc_u32 s7, s7, llvm.amdgcn.dynlds.offset.table@rel32@hi+12
	v_accvgpr_write_b32 a18, v20
	v_accvgpr_write_b32 a25, v23
	s_add_u32 s12, s4, s6
	v_accvgpr_write_b32 a19, v21
	v_accvgpr_write_b32 a2, v18
	;; [unrolled: 1-line block ×6, first 2 shown]
	s_addc_u32 s13, s5, s7
	v_lshlrev_b32_e32 v54, 4, v44
	v_accvgpr_write_b32 a30, v7
	s_mov_b64 s[20:21], 0
	s_movk_i32 s17, 0x7f
	s_movk_i32 s28, 0x80
	s_mov_b32 s29, 0x8000
	v_accvgpr_write_b32 a29, v6
	s_waitcnt vmcnt(0)
	v_cmp_neq_f32_e64 s[2:3], 0, v1
	v_sub_u32_e32 v1, 0, v8
	v_mul_lo_u32 v1, v1, v0
	v_mul_hi_u32 v1, v0, v1
	v_add_u32_e32 v0, v0, v1
	v_accvgpr_write_b32 a38, v0
	v_accvgpr_read_b32 v0, a8
	v_sub_u32_e32 v0, v7, v0
	v_add_u32_e32 v0, 1, v0
	v_accvgpr_write_b32 a37, v0
	v_lshlrev_b32_e32 v0, 2, v7
	v_lshl_or_b32 v0, v44, 6, v0
	v_accvgpr_write_b32 a39, v0
	v_accvgpr_read_b32 v0, a22
	v_and_b32_e32 v4, 60, v0
	v_accvgpr_read_b32 v0, a20
	v_accvgpr_read_b32 v1, a21
	v_lshl_add_u64 v[0:1], v[0:1], 2, v[4:5]
	v_lshl_add_u64 v[0:1], v[2:3], 0, v[0:1]
	v_accvgpr_write_b32 a41, v1
	v_accvgpr_write_b32 a40, v0
	v_mbcnt_hi_u32_b32 v0, -1, v6
	v_accvgpr_write_b32 a42, v0
	v_mov_b32_e32 v0, 0xff7fffff
	scratch_store_dword off, v0, s32 offset:144 ; 4-byte Folded Spill
	s_branch .LBB243_12
.LBB243_10:                             ;   in Loop: Header=BB243_12 Depth=1
	s_or_b64 exec, exec, s[22:23]
.LBB243_11:                             ;   in Loop: Header=BB243_12 Depth=1
	s_or_b64 exec, exec, s[6:7]
	v_accvgpr_read_b32 v0, a39
	v_accvgpr_read_b32 v44, a43
	v_add_u32_e32 v0, 0x80, v0
	v_add_u32_e32 v44, 2, v44
	v_accvgpr_write_b32 a39, v0
	v_accvgpr_read_b32 v0, a11
	v_cmp_ge_i32_e64 s[4:5], v44, v0
	s_waitcnt lgkmcnt(0)
	v_accvgpr_read_b32 v0, a40
	v_accvgpr_read_b32 v1, a41
	v_lshl_add_u64 v[0:1], v[0:1], 0, 8
	v_accvgpr_write_b32 a41, v1
	v_add_u32_e32 v54, 32, v54
	s_or_b64 s[20:21], s[4:5], s[20:21]
	v_accvgpr_write_b32 a40, v0
	s_andn2_b64 exec, exec, s[20:21]
	s_cbranch_execz .LBB243_401
.LBB243_12:                             ; =>This Inner Loop Header: Depth=1
	v_accvgpr_read_b32 v0, a7
	v_mul_hi_u32 v0, v54, v0
	v_accvgpr_read_b32 v3, a3
	v_mul_lo_u32 v1, v0, v3
	v_sub_u32_e32 v1, v54, v1
	v_add_u32_e32 v2, 1, v0
	v_cmp_ge_u32_e64 s[4:5], v1, v3
	v_accvgpr_read_b32 v4, a38
	v_accvgpr_write_b32 a43, v44
	v_cndmask_b32_e64 v0, v0, v2, s[4:5]
	v_sub_u32_e32 v2, v1, v3
	v_cndmask_b32_e64 v1, v1, v2, s[4:5]
	v_add_u32_e32 v2, 1, v0
	v_cmp_ge_u32_e64 s[4:5], v1, v3
	v_accvgpr_read_b32 v1, a9
	s_nop 0
	v_cndmask_b32_e64 v0, v0, v2, s[4:5]
	v_xor_b32_e32 v0, v0, v1
	v_sub_u32_e32 v0, v0, v1
	v_accvgpr_read_b32 v2, a10
	v_add_u32_e32 v1, v0, v2
	v_sub_u32_e32 v3, 0, v1
	v_ashrrev_i32_e32 v2, 31, v1
	v_max_i32_e32 v1, v1, v3
	v_mul_hi_u32 v3, v1, v4
	v_accvgpr_read_b32 v4, a31
	v_mul_lo_u32 v3, v3, v4
	v_sub_u32_e32 v1, v1, v3
	v_sub_u32_e32 v3, v1, v4
	v_cmp_ge_u32_e64 s[4:5], v1, v4
	s_nop 1
	v_cndmask_b32_e64 v1, v1, v3, s[4:5]
	v_sub_u32_e32 v3, v1, v4
	v_cmp_ge_u32_e64 s[4:5], v1, v4
	s_nop 1
	v_cndmask_b32_e64 v1, v1, v3, s[4:5]
	v_xor_b32_e32 v1, v1, v2
	v_sub_u32_e32 v1, v1, v2
	v_cmp_ne_u32_e64 s[4:5], 0, v1
	v_accvgpr_read_b32 v1, a13
	v_cmp_le_i32_e64 s[6:7], v0, v1
	s_and_b64 s[4:5], s[4:5], s[6:7]
	s_and_b64 s[22:23], vcc, s[4:5]
	s_and_saveexec_b64 s[6:7], s[22:23]
	s_cbranch_execz .LBB243_14
; %bb.13:                               ;   in Loop: Header=BB243_12 Depth=1
	s_load_dword s22, s[12:13], 0x0
	v_accvgpr_read_b32 v0, a39
	v_mov_b32_e32 v1, 0xff7fffff
	s_waitcnt lgkmcnt(0)
	v_add_u32_e32 v0, s22, v0
	ds_write_b32 v0, v1
.LBB243_14:                             ;   in Loop: Header=BB243_12 Depth=1
	s_or_b64 exec, exec, s[6:7]
	s_xor_b64 s[4:5], s[4:5], -1
	s_and_saveexec_b64 s[6:7], s[4:5]
	s_cbranch_execz .LBB243_11
; %bb.15:                               ;   in Loop: Header=BB243_12 Depth=1
	v_accvgpr_read_b32 v0, a40
	v_accvgpr_read_b32 v1, a41
	flat_load_dword v0, v[0:1]
	v_accvgpr_read_b32 v6, a32
	v_accvgpr_read_b32 v2, a6
	;; [unrolled: 1-line block ×3, first 2 shown]
                                        ; implicit-def: $sgpr26
	s_waitcnt vmcnt(0) lgkmcnt(0)
	v_mad_i64_i32 v[0:1], s[4:5], v0, v2, v[6:7]
	v_accvgpr_read_b32 v2, a34
	v_accvgpr_read_b32 v3, a35
	v_lshl_add_u64 v[34:35], v[0:1], 0, v[2:3]
	v_accvgpr_read_b32 v2, a26
	flat_load_ushort v0, v[34:35]
	v_accvgpr_read_b32 v3, a27
	flat_load_dword v45, v[2:3]
	s_mov_b64 s[4:5], 0
	s_waitcnt vmcnt(0) lgkmcnt(0)
	v_cmp_gt_i16_sdwa s[22:23], v0, s17 src0_sel:BYTE_0 src1_sel:DWORD
	s_and_saveexec_b64 s[24:25], s[22:23]
	s_xor_b64 s[22:23], exec, s[24:25]
	s_cbranch_execnz .LBB243_213
; %bb.16:                               ;   in Loop: Header=BB243_12 Depth=1
	s_or_saveexec_b64 s[22:23], s[22:23]
	v_mov_b32_e32 v16, s26
	s_xor_b64 exec, exec, s[22:23]
	s_cbranch_execnz .LBB243_216
.LBB243_17:                             ;   in Loop: Header=BB243_12 Depth=1
	s_or_b64 exec, exec, s[22:23]
	v_and_b32_e32 v4, 0xffff, v0
	s_and_saveexec_b64 s[22:23], s[4:5]
	s_cbranch_execz .LBB243_19
.LBB243_18:                             ;   in Loop: Header=BB243_12 Depth=1
	v_and_b32_e32 v2, 7, v4
	v_ffbh_u32_e32 v0, v2
	v_min_u32_e32 v6, 32, v0
	v_subrev_u32_e32 v0, 28, v6
	v_bfe_u32 v3, v4, 3, 4
	v_lshlrev_b64 v[0:1], v0, v[4:5]
	v_sub_u32_e32 v1, 29, v6
	v_cmp_eq_u32_e64 s[4:5], 0, v3
	v_and_b32_e32 v0, 7, v0
	s_nop 0
	v_cndmask_b32_e64 v1, v3, v1, s[4:5]
	v_mov_b32_e32 v3, 0x1c00
	v_cndmask_b32_e64 v0, v2, v0, s[4:5]
	v_lshlrev_b32_e32 v2, 8, v4
	v_lshl_add_u32 v1, v1, 10, v3
	v_and_or_b32 v1, v2, s29, v1
	v_lshl_or_b32 v0, v0, 7, v1
	v_cvt_f32_f16_e32 v16, v0
.LBB243_19:                             ;   in Loop: Header=BB243_12 Depth=1
	s_or_b64 exec, exec, s[22:23]
	v_lshrrev_b16_e32 v4, 8, v4
	v_cmp_lt_i16_e64 s[4:5], s17, v4
	s_mov_b64 s[22:23], 0
                                        ; implicit-def: $sgpr30
	s_and_saveexec_b64 s[24:25], s[4:5]
	s_xor_b64 s[24:25], exec, s[24:25]
	s_cbranch_execnz .LBB243_217
; %bb.20:                               ;   in Loop: Header=BB243_12 Depth=1
	s_or_saveexec_b64 s[24:25], s[24:25]
	v_mov_b32_e32 v17, s30
	s_xor_b64 exec, exec, s[24:25]
	s_cbranch_execnz .LBB243_220
.LBB243_21:                             ;   in Loop: Header=BB243_12 Depth=1
	s_or_b64 exec, exec, s[24:25]
	s_and_saveexec_b64 s[24:25], s[22:23]
	s_cbranch_execz .LBB243_23
.LBB243_22:                             ;   in Loop: Header=BB243_12 Depth=1
	v_and_b32_e32 v2, 7, v4
	v_ffbh_u32_e32 v0, v2
	v_min_u32_e32 v6, 32, v0
	v_subrev_u32_e32 v0, 28, v6
	v_bfe_u32 v3, v4, 3, 4
	v_lshlrev_b64 v[0:1], v0, v[4:5]
	v_sub_u32_e32 v1, 29, v6
	v_cmp_eq_u32_e64 s[4:5], 0, v3
	v_and_b32_e32 v0, 7, v0
	s_nop 0
	v_cndmask_b32_e64 v1, v3, v1, s[4:5]
	v_mov_b32_e32 v3, 0x1c00
	v_cndmask_b32_e64 v0, v2, v0, s[4:5]
	v_lshlrev_b32_e32 v2, 8, v4
	v_lshl_add_u32 v1, v1, 10, v3
	v_and_or_b32 v1, v2, s29, v1
	v_lshl_or_b32 v0, v0, 7, v1
	v_cvt_f32_f16_e32 v17, v0
.LBB243_23:                             ;   in Loop: Header=BB243_12 Depth=1
	s_or_b64 exec, exec, s[24:25]
	flat_load_ushort v0, v[34:35] offset:8
	s_mov_b64 s[4:5], 0
                                        ; implicit-def: $sgpr26
	s_waitcnt vmcnt(0) lgkmcnt(0)
	v_cmp_gt_i16_sdwa s[22:23], v0, s17 src0_sel:BYTE_0 src1_sel:DWORD
	s_and_saveexec_b64 s[24:25], s[22:23]
	s_xor_b64 s[22:23], exec, s[24:25]
	s_cbranch_execnz .LBB243_221
; %bb.24:                               ;   in Loop: Header=BB243_12 Depth=1
	s_or_saveexec_b64 s[22:23], s[22:23]
	v_mov_b32_e32 v18, s26
	s_xor_b64 exec, exec, s[22:23]
	s_cbranch_execnz .LBB243_224
.LBB243_25:                             ;   in Loop: Header=BB243_12 Depth=1
	s_or_b64 exec, exec, s[22:23]
	v_and_b32_e32 v4, 0xffff, v0
	s_and_saveexec_b64 s[22:23], s[4:5]
	s_cbranch_execz .LBB243_27
.LBB243_26:                             ;   in Loop: Header=BB243_12 Depth=1
	v_and_b32_e32 v2, 7, v4
	v_ffbh_u32_e32 v0, v2
	v_min_u32_e32 v6, 32, v0
	v_subrev_u32_e32 v0, 28, v6
	v_bfe_u32 v3, v4, 3, 4
	v_lshlrev_b64 v[0:1], v0, v[4:5]
	v_sub_u32_e32 v1, 29, v6
	v_cmp_eq_u32_e64 s[4:5], 0, v3
	v_and_b32_e32 v0, 7, v0
	s_nop 0
	v_cndmask_b32_e64 v1, v3, v1, s[4:5]
	v_mov_b32_e32 v3, 0x1c00
	v_cndmask_b32_e64 v0, v2, v0, s[4:5]
	v_lshlrev_b32_e32 v2, 8, v4
	v_lshl_add_u32 v1, v1, 10, v3
	v_and_or_b32 v1, v2, s29, v1
	v_lshl_or_b32 v0, v0, 7, v1
	v_cvt_f32_f16_e32 v18, v0
.LBB243_27:                             ;   in Loop: Header=BB243_12 Depth=1
	s_or_b64 exec, exec, s[22:23]
	v_lshrrev_b16_e32 v4, 8, v4
	v_cmp_lt_i16_e64 s[4:5], s17, v4
	s_mov_b64 s[22:23], 0
                                        ; implicit-def: $sgpr30
	s_and_saveexec_b64 s[24:25], s[4:5]
	s_xor_b64 s[24:25], exec, s[24:25]
	s_cbranch_execnz .LBB243_225
; %bb.28:                               ;   in Loop: Header=BB243_12 Depth=1
	s_or_saveexec_b64 s[24:25], s[24:25]
	v_mov_b32_e32 v19, s30
	s_xor_b64 exec, exec, s[24:25]
	s_cbranch_execnz .LBB243_228
.LBB243_29:                             ;   in Loop: Header=BB243_12 Depth=1
	s_or_b64 exec, exec, s[24:25]
	s_and_saveexec_b64 s[24:25], s[22:23]
	s_cbranch_execz .LBB243_31
.LBB243_30:                             ;   in Loop: Header=BB243_12 Depth=1
	v_and_b32_e32 v2, 7, v4
	v_ffbh_u32_e32 v0, v2
	v_min_u32_e32 v6, 32, v0
	v_subrev_u32_e32 v0, 28, v6
	v_bfe_u32 v3, v4, 3, 4
	v_lshlrev_b64 v[0:1], v0, v[4:5]
	v_sub_u32_e32 v1, 29, v6
	v_cmp_eq_u32_e64 s[4:5], 0, v3
	v_and_b32_e32 v0, 7, v0
	s_nop 0
	v_cndmask_b32_e64 v1, v3, v1, s[4:5]
	v_mov_b32_e32 v3, 0x1c00
	v_cndmask_b32_e64 v0, v2, v0, s[4:5]
	v_lshlrev_b32_e32 v2, 8, v4
	v_lshl_add_u32 v1, v1, 10, v3
	v_and_or_b32 v1, v2, s29, v1
	v_lshl_or_b32 v0, v0, 7, v1
	v_cvt_f32_f16_e32 v19, v0
.LBB243_31:                             ;   in Loop: Header=BB243_12 Depth=1
	s_or_b64 exec, exec, s[24:25]
	flat_load_ushort v0, v[34:35] offset:256
	s_mov_b64 s[4:5], 0
                                        ; implicit-def: $sgpr26
	s_waitcnt vmcnt(0) lgkmcnt(0)
	v_cmp_gt_i16_sdwa s[22:23], v0, s17 src0_sel:BYTE_0 src1_sel:DWORD
	s_and_saveexec_b64 s[24:25], s[22:23]
	s_xor_b64 s[22:23], exec, s[24:25]
	s_cbranch_execnz .LBB243_229
; %bb.32:                               ;   in Loop: Header=BB243_12 Depth=1
	s_or_saveexec_b64 s[22:23], s[22:23]
	v_mov_b32_e32 v24, s26
	s_xor_b64 exec, exec, s[22:23]
	s_cbranch_execnz .LBB243_232
.LBB243_33:                             ;   in Loop: Header=BB243_12 Depth=1
	s_or_b64 exec, exec, s[22:23]
	v_and_b32_e32 v4, 0xffff, v0
	s_and_saveexec_b64 s[22:23], s[4:5]
	s_cbranch_execz .LBB243_35
.LBB243_34:                             ;   in Loop: Header=BB243_12 Depth=1
	v_and_b32_e32 v2, 7, v4
	v_ffbh_u32_e32 v0, v2
	v_min_u32_e32 v6, 32, v0
	v_subrev_u32_e32 v0, 28, v6
	v_bfe_u32 v3, v4, 3, 4
	v_lshlrev_b64 v[0:1], v0, v[4:5]
	v_sub_u32_e32 v1, 29, v6
	v_cmp_eq_u32_e64 s[4:5], 0, v3
	v_and_b32_e32 v0, 7, v0
	s_nop 0
	v_cndmask_b32_e64 v1, v3, v1, s[4:5]
	v_mov_b32_e32 v3, 0x1c00
	v_cndmask_b32_e64 v0, v2, v0, s[4:5]
	v_lshlrev_b32_e32 v2, 8, v4
	v_lshl_add_u32 v1, v1, 10, v3
	v_and_or_b32 v1, v2, s29, v1
	v_lshl_or_b32 v0, v0, 7, v1
	v_cvt_f32_f16_e32 v24, v0
.LBB243_35:                             ;   in Loop: Header=BB243_12 Depth=1
	s_or_b64 exec, exec, s[22:23]
	v_lshrrev_b16_e32 v4, 8, v4
	v_cmp_lt_i16_e64 s[4:5], s17, v4
	s_mov_b64 s[22:23], 0
                                        ; implicit-def: $sgpr30
	s_and_saveexec_b64 s[24:25], s[4:5]
	s_xor_b64 s[24:25], exec, s[24:25]
	s_cbranch_execnz .LBB243_233
; %bb.36:                               ;   in Loop: Header=BB243_12 Depth=1
	s_or_saveexec_b64 s[24:25], s[24:25]
	v_mov_b32_e32 v25, s30
	s_xor_b64 exec, exec, s[24:25]
	s_cbranch_execnz .LBB243_236
.LBB243_37:                             ;   in Loop: Header=BB243_12 Depth=1
	s_or_b64 exec, exec, s[24:25]
	s_and_saveexec_b64 s[24:25], s[22:23]
	s_cbranch_execz .LBB243_39
.LBB243_38:                             ;   in Loop: Header=BB243_12 Depth=1
	v_and_b32_e32 v2, 7, v4
	v_ffbh_u32_e32 v0, v2
	v_min_u32_e32 v6, 32, v0
	v_subrev_u32_e32 v0, 28, v6
	v_bfe_u32 v3, v4, 3, 4
	v_lshlrev_b64 v[0:1], v0, v[4:5]
	v_sub_u32_e32 v1, 29, v6
	v_cmp_eq_u32_e64 s[4:5], 0, v3
	v_and_b32_e32 v0, 7, v0
	s_nop 0
	v_cndmask_b32_e64 v1, v3, v1, s[4:5]
	v_mov_b32_e32 v3, 0x1c00
	v_cndmask_b32_e64 v0, v2, v0, s[4:5]
	v_lshlrev_b32_e32 v2, 8, v4
	v_lshl_add_u32 v1, v1, 10, v3
	v_and_or_b32 v1, v2, s29, v1
	v_lshl_or_b32 v0, v0, 7, v1
	v_cvt_f32_f16_e32 v25, v0
.LBB243_39:                             ;   in Loop: Header=BB243_12 Depth=1
	s_or_b64 exec, exec, s[24:25]
	flat_load_ushort v0, v[34:35] offset:264
	s_mov_b64 s[4:5], 0
                                        ; implicit-def: $sgpr26
	s_waitcnt vmcnt(0) lgkmcnt(0)
	v_cmp_gt_i16_sdwa s[22:23], v0, s17 src0_sel:BYTE_0 src1_sel:DWORD
	s_and_saveexec_b64 s[24:25], s[22:23]
	s_xor_b64 s[22:23], exec, s[24:25]
	s_cbranch_execnz .LBB243_237
; %bb.40:                               ;   in Loop: Header=BB243_12 Depth=1
	s_or_saveexec_b64 s[22:23], s[22:23]
	v_mov_b32_e32 v26, s26
	s_xor_b64 exec, exec, s[22:23]
	s_cbranch_execnz .LBB243_240
.LBB243_41:                             ;   in Loop: Header=BB243_12 Depth=1
	s_or_b64 exec, exec, s[22:23]
	v_and_b32_e32 v4, 0xffff, v0
	s_and_saveexec_b64 s[22:23], s[4:5]
	s_cbranch_execz .LBB243_43
.LBB243_42:                             ;   in Loop: Header=BB243_12 Depth=1
	v_and_b32_e32 v2, 7, v4
	v_ffbh_u32_e32 v0, v2
	v_min_u32_e32 v6, 32, v0
	v_subrev_u32_e32 v0, 28, v6
	v_bfe_u32 v3, v4, 3, 4
	v_lshlrev_b64 v[0:1], v0, v[4:5]
	v_sub_u32_e32 v1, 29, v6
	v_cmp_eq_u32_e64 s[4:5], 0, v3
	v_and_b32_e32 v0, 7, v0
	s_nop 0
	v_cndmask_b32_e64 v1, v3, v1, s[4:5]
	v_mov_b32_e32 v3, 0x1c00
	v_cndmask_b32_e64 v0, v2, v0, s[4:5]
	v_lshlrev_b32_e32 v2, 8, v4
	v_lshl_add_u32 v1, v1, 10, v3
	v_and_or_b32 v1, v2, s29, v1
	v_lshl_or_b32 v0, v0, 7, v1
	v_cvt_f32_f16_e32 v26, v0
.LBB243_43:                             ;   in Loop: Header=BB243_12 Depth=1
	s_or_b64 exec, exec, s[22:23]
	v_lshrrev_b16_e32 v4, 8, v4
	v_cmp_lt_i16_e64 s[4:5], s17, v4
	s_mov_b64 s[22:23], 0
                                        ; implicit-def: $sgpr30
	s_and_saveexec_b64 s[24:25], s[4:5]
	s_xor_b64 s[24:25], exec, s[24:25]
	s_cbranch_execnz .LBB243_241
; %bb.44:                               ;   in Loop: Header=BB243_12 Depth=1
	s_or_saveexec_b64 s[24:25], s[24:25]
	v_mov_b32_e32 v30, s30
	s_xor_b64 exec, exec, s[24:25]
	s_cbranch_execnz .LBB243_244
.LBB243_45:                             ;   in Loop: Header=BB243_12 Depth=1
	s_or_b64 exec, exec, s[24:25]
	s_and_saveexec_b64 s[24:25], s[22:23]
	s_cbranch_execz .LBB243_47
.LBB243_46:                             ;   in Loop: Header=BB243_12 Depth=1
	v_and_b32_e32 v2, 7, v4
	v_ffbh_u32_e32 v0, v2
	v_min_u32_e32 v6, 32, v0
	v_subrev_u32_e32 v0, 28, v6
	v_bfe_u32 v3, v4, 3, 4
	v_lshlrev_b64 v[0:1], v0, v[4:5]
	v_sub_u32_e32 v1, 29, v6
	v_cmp_eq_u32_e64 s[4:5], 0, v3
	v_and_b32_e32 v0, 7, v0
	s_nop 0
	v_cndmask_b32_e64 v1, v3, v1, s[4:5]
	v_mov_b32_e32 v3, 0x1c00
	v_cndmask_b32_e64 v0, v2, v0, s[4:5]
	v_lshlrev_b32_e32 v2, 8, v4
	v_lshl_add_u32 v1, v1, 10, v3
	v_and_or_b32 v1, v2, s29, v1
	v_lshl_or_b32 v0, v0, 7, v1
	v_cvt_f32_f16_e32 v30, v0
.LBB243_47:                             ;   in Loop: Header=BB243_12 Depth=1
	s_or_b64 exec, exec, s[24:25]
	flat_load_ushort v0, v[34:35] offset:512
	s_mov_b64 s[4:5], 0
                                        ; implicit-def: $sgpr26
	s_waitcnt vmcnt(0) lgkmcnt(0)
	v_cmp_gt_i16_sdwa s[22:23], v0, s17 src0_sel:BYTE_0 src1_sel:DWORD
	s_and_saveexec_b64 s[24:25], s[22:23]
	s_xor_b64 s[22:23], exec, s[24:25]
	s_cbranch_execnz .LBB243_245
; %bb.48:                               ;   in Loop: Header=BB243_12 Depth=1
	s_or_saveexec_b64 s[22:23], s[22:23]
	v_mov_b32_e32 v32, s26
	s_xor_b64 exec, exec, s[22:23]
	s_cbranch_execnz .LBB243_248
.LBB243_49:                             ;   in Loop: Header=BB243_12 Depth=1
	s_or_b64 exec, exec, s[22:23]
	v_and_b32_e32 v4, 0xffff, v0
	s_and_saveexec_b64 s[22:23], s[4:5]
	s_cbranch_execz .LBB243_51
.LBB243_50:                             ;   in Loop: Header=BB243_12 Depth=1
	v_and_b32_e32 v2, 7, v4
	v_ffbh_u32_e32 v0, v2
	v_min_u32_e32 v6, 32, v0
	v_subrev_u32_e32 v0, 28, v6
	v_bfe_u32 v3, v4, 3, 4
	v_lshlrev_b64 v[0:1], v0, v[4:5]
	v_sub_u32_e32 v1, 29, v6
	v_cmp_eq_u32_e64 s[4:5], 0, v3
	v_and_b32_e32 v0, 7, v0
	s_nop 0
	v_cndmask_b32_e64 v1, v3, v1, s[4:5]
	v_mov_b32_e32 v3, 0x1c00
	v_cndmask_b32_e64 v0, v2, v0, s[4:5]
	v_lshlrev_b32_e32 v2, 8, v4
	v_lshl_add_u32 v1, v1, 10, v3
	v_and_or_b32 v1, v2, s29, v1
	v_lshl_or_b32 v0, v0, 7, v1
	v_cvt_f32_f16_e32 v32, v0
.LBB243_51:                             ;   in Loop: Header=BB243_12 Depth=1
	s_or_b64 exec, exec, s[22:23]
	v_lshrrev_b16_e32 v4, 8, v4
	v_cmp_lt_i16_e64 s[4:5], s17, v4
	s_mov_b64 s[22:23], 0
                                        ; implicit-def: $sgpr30
	s_and_saveexec_b64 s[24:25], s[4:5]
	s_xor_b64 s[24:25], exec, s[24:25]
	s_cbranch_execnz .LBB243_249
; %bb.52:                               ;   in Loop: Header=BB243_12 Depth=1
	s_or_saveexec_b64 s[24:25], s[24:25]
	v_mov_b32_e32 v27, s30
	s_xor_b64 exec, exec, s[24:25]
	s_cbranch_execnz .LBB243_252
.LBB243_53:                             ;   in Loop: Header=BB243_12 Depth=1
	s_or_b64 exec, exec, s[24:25]
	s_and_saveexec_b64 s[24:25], s[22:23]
	s_cbranch_execz .LBB243_55
.LBB243_54:                             ;   in Loop: Header=BB243_12 Depth=1
	v_and_b32_e32 v2, 7, v4
	v_ffbh_u32_e32 v0, v2
	v_min_u32_e32 v6, 32, v0
	v_subrev_u32_e32 v0, 28, v6
	v_bfe_u32 v3, v4, 3, 4
	v_lshlrev_b64 v[0:1], v0, v[4:5]
	v_sub_u32_e32 v1, 29, v6
	v_cmp_eq_u32_e64 s[4:5], 0, v3
	v_and_b32_e32 v0, 7, v0
	s_nop 0
	v_cndmask_b32_e64 v1, v3, v1, s[4:5]
	v_mov_b32_e32 v3, 0x1c00
	v_cndmask_b32_e64 v0, v2, v0, s[4:5]
	v_lshlrev_b32_e32 v2, 8, v4
	v_lshl_add_u32 v1, v1, 10, v3
	v_and_or_b32 v1, v2, s29, v1
	v_lshl_or_b32 v0, v0, 7, v1
	v_cvt_f32_f16_e32 v27, v0
.LBB243_55:                             ;   in Loop: Header=BB243_12 Depth=1
	s_or_b64 exec, exec, s[24:25]
	flat_load_ushort v0, v[34:35] offset:520
	s_mov_b64 s[4:5], 0
                                        ; implicit-def: $sgpr26
	s_waitcnt vmcnt(0) lgkmcnt(0)
	v_cmp_gt_i16_sdwa s[22:23], v0, s17 src0_sel:BYTE_0 src1_sel:DWORD
	s_and_saveexec_b64 s[24:25], s[22:23]
	s_xor_b64 s[22:23], exec, s[24:25]
	s_cbranch_execnz .LBB243_253
; %bb.56:                               ;   in Loop: Header=BB243_12 Depth=1
	s_or_saveexec_b64 s[22:23], s[22:23]
	v_mov_b32_e32 v3, s26
	s_xor_b64 exec, exec, s[22:23]
	s_cbranch_execnz .LBB243_256
.LBB243_57:                             ;   in Loop: Header=BB243_12 Depth=1
	s_or_b64 exec, exec, s[22:23]
	v_and_b32_e32 v4, 0xffff, v0
	s_and_saveexec_b64 s[22:23], s[4:5]
	s_cbranch_execz .LBB243_59
.LBB243_58:                             ;   in Loop: Header=BB243_12 Depth=1
	v_and_b32_e32 v2, 7, v4
	v_ffbh_u32_e32 v0, v2
	v_min_u32_e32 v6, 32, v0
	v_subrev_u32_e32 v0, 28, v6
	v_bfe_u32 v3, v4, 3, 4
	v_lshlrev_b64 v[0:1], v0, v[4:5]
	v_sub_u32_e32 v1, 29, v6
	v_cmp_eq_u32_e64 s[4:5], 0, v3
	v_and_b32_e32 v0, 7, v0
	s_nop 0
	v_cndmask_b32_e64 v1, v3, v1, s[4:5]
	v_mov_b32_e32 v3, 0x1c00
	v_cndmask_b32_e64 v0, v2, v0, s[4:5]
	v_lshlrev_b32_e32 v2, 8, v4
	v_lshl_add_u32 v1, v1, 10, v3
	v_and_or_b32 v1, v2, s29, v1
	v_lshl_or_b32 v0, v0, 7, v1
	v_cvt_f32_f16_e32 v3, v0
.LBB243_59:                             ;   in Loop: Header=BB243_12 Depth=1
	s_or_b64 exec, exec, s[22:23]
	v_lshrrev_b16_e32 v4, 8, v4
	v_cmp_lt_i16_e64 s[4:5], s17, v4
	s_mov_b64 s[22:23], 0
                                        ; implicit-def: $sgpr30
	s_and_saveexec_b64 s[24:25], s[4:5]
	s_xor_b64 s[24:25], exec, s[24:25]
	s_cbranch_execnz .LBB243_257
; %bb.60:                               ;   in Loop: Header=BB243_12 Depth=1
	s_or_saveexec_b64 s[24:25], s[24:25]
	v_mov_b32_e32 v49, s30
	s_xor_b64 exec, exec, s[24:25]
	s_cbranch_execnz .LBB243_260
.LBB243_61:                             ;   in Loop: Header=BB243_12 Depth=1
	s_or_b64 exec, exec, s[24:25]
	s_and_saveexec_b64 s[24:25], s[22:23]
	s_cbranch_execz .LBB243_63
.LBB243_62:                             ;   in Loop: Header=BB243_12 Depth=1
	v_and_b32_e32 v2, 7, v4
	v_ffbh_u32_e32 v0, v2
	v_min_u32_e32 v7, 32, v0
	v_subrev_u32_e32 v0, 28, v7
	v_bfe_u32 v6, v4, 3, 4
	v_lshlrev_b64 v[0:1], v0, v[4:5]
	v_sub_u32_e32 v1, 29, v7
	v_and_b32_e32 v0, 7, v0
	v_cmp_eq_u32_e64 s[4:5], 0, v6
	s_nop 1
	v_cndmask_b32_e64 v1, v6, v1, s[4:5]
	v_cndmask_b32_e64 v0, v2, v0, s[4:5]
	v_lshlrev_b32_e32 v2, 8, v4
	v_mov_b32_e32 v4, 0x1c00
	v_lshl_add_u32 v1, v1, 10, v4
	v_and_or_b32 v1, v2, s29, v1
	v_lshl_or_b32 v0, v0, 7, v1
	v_cvt_f32_f16_e32 v49, v0
.LBB243_63:                             ;   in Loop: Header=BB243_12 Depth=1
	s_or_b64 exec, exec, s[24:25]
	flat_load_ushort v0, v[34:35] offset:768
	s_mov_b64 s[4:5], 0
                                        ; implicit-def: $sgpr26
	s_waitcnt vmcnt(0) lgkmcnt(0)
	v_cmp_gt_i16_sdwa s[22:23], v0, s17 src0_sel:BYTE_0 src1_sel:DWORD
	s_and_saveexec_b64 s[24:25], s[22:23]
	s_xor_b64 s[22:23], exec, s[24:25]
	s_cbranch_execnz .LBB243_261
; %bb.64:                               ;   in Loop: Header=BB243_12 Depth=1
	s_or_saveexec_b64 s[22:23], s[22:23]
	v_mov_b32_e32 v28, s26
	s_xor_b64 exec, exec, s[22:23]
	s_cbranch_execnz .LBB243_264
.LBB243_65:                             ;   in Loop: Header=BB243_12 Depth=1
	s_or_b64 exec, exec, s[22:23]
	v_and_b32_e32 v4, 0xffff, v0
	s_and_saveexec_b64 s[22:23], s[4:5]
	s_cbranch_execz .LBB243_67
.LBB243_66:                             ;   in Loop: Header=BB243_12 Depth=1
	v_and_b32_e32 v2, 7, v4
	v_ffbh_u32_e32 v0, v2
	v_min_u32_e32 v7, 32, v0
	v_subrev_u32_e32 v0, 28, v7
	v_bfe_u32 v6, v4, 3, 4
	v_lshlrev_b64 v[0:1], v0, v[4:5]
	v_sub_u32_e32 v1, 29, v7
	v_cmp_eq_u32_e64 s[4:5], 0, v6
	v_and_b32_e32 v0, 7, v0
	s_nop 0
	v_cndmask_b32_e64 v1, v6, v1, s[4:5]
	v_mov_b32_e32 v6, 0x1c00
	v_cndmask_b32_e64 v0, v2, v0, s[4:5]
	v_lshlrev_b32_e32 v2, 8, v4
	v_lshl_add_u32 v1, v1, 10, v6
	v_and_or_b32 v1, v2, s29, v1
	v_lshl_or_b32 v0, v0, 7, v1
	v_cvt_f32_f16_e32 v28, v0
.LBB243_67:                             ;   in Loop: Header=BB243_12 Depth=1
	s_or_b64 exec, exec, s[22:23]
	v_lshrrev_b16_e32 v4, 8, v4
	v_cmp_lt_i16_e64 s[4:5], s17, v4
	s_mov_b64 s[22:23], 0
                                        ; implicit-def: $sgpr30
	s_and_saveexec_b64 s[24:25], s[4:5]
	s_xor_b64 s[24:25], exec, s[24:25]
	s_cbranch_execnz .LBB243_265
; %bb.68:                               ;   in Loop: Header=BB243_12 Depth=1
	s_or_saveexec_b64 s[24:25], s[24:25]
	v_mov_b32_e32 v29, s30
	s_xor_b64 exec, exec, s[24:25]
	s_cbranch_execnz .LBB243_268
.LBB243_69:                             ;   in Loop: Header=BB243_12 Depth=1
	s_or_b64 exec, exec, s[24:25]
	s_and_saveexec_b64 s[24:25], s[22:23]
	s_cbranch_execz .LBB243_71
.LBB243_70:                             ;   in Loop: Header=BB243_12 Depth=1
	v_and_b32_e32 v2, 7, v4
	v_ffbh_u32_e32 v0, v2
	v_min_u32_e32 v7, 32, v0
	v_subrev_u32_e32 v0, 28, v7
	v_bfe_u32 v6, v4, 3, 4
	v_lshlrev_b64 v[0:1], v0, v[4:5]
	v_sub_u32_e32 v1, 29, v7
	v_and_b32_e32 v0, 7, v0
	v_cmp_eq_u32_e64 s[4:5], 0, v6
	s_nop 1
	v_cndmask_b32_e64 v1, v6, v1, s[4:5]
	v_cndmask_b32_e64 v0, v2, v0, s[4:5]
	v_lshlrev_b32_e32 v2, 8, v4
	v_mov_b32_e32 v4, 0x1c00
	v_lshl_add_u32 v1, v1, 10, v4
	v_and_or_b32 v1, v2, s29, v1
	v_lshl_or_b32 v0, v0, 7, v1
	v_cvt_f32_f16_e32 v29, v0
.LBB243_71:                             ;   in Loop: Header=BB243_12 Depth=1
	s_or_b64 exec, exec, s[24:25]
	flat_load_ushort v1, v[34:35] offset:776
	s_mov_b64 s[4:5], 0
                                        ; implicit-def: $sgpr26
	s_waitcnt vmcnt(0) lgkmcnt(0)
	v_cmp_gt_i16_sdwa s[22:23], v1, s17 src0_sel:BYTE_0 src1_sel:DWORD
	s_and_saveexec_b64 s[24:25], s[22:23]
	s_xor_b64 s[22:23], exec, s[24:25]
	s_cbranch_execnz .LBB243_269
; %bb.72:                               ;   in Loop: Header=BB243_12 Depth=1
	s_or_saveexec_b64 s[22:23], s[22:23]
	v_mov_b32_e32 v38, s26
	s_xor_b64 exec, exec, s[22:23]
	s_cbranch_execnz .LBB243_272
.LBB243_73:                             ;   in Loop: Header=BB243_12 Depth=1
	s_or_b64 exec, exec, s[22:23]
	v_and_b32_e32 v4, 0xffff, v1
	s_and_saveexec_b64 s[22:23], s[4:5]
	s_cbranch_execz .LBB243_75
.LBB243_74:                             ;   in Loop: Header=BB243_12 Depth=1
	v_and_b32_e32 v2, 7, v4
	v_ffbh_u32_e32 v0, v2
	v_min_u32_e32 v7, 32, v0
	v_subrev_u32_e32 v0, 28, v7
	v_bfe_u32 v6, v4, 3, 4
	v_lshlrev_b64 v[0:1], v0, v[4:5]
	v_sub_u32_e32 v1, 29, v7
	v_cmp_eq_u32_e64 s[4:5], 0, v6
	v_and_b32_e32 v0, 7, v0
	s_nop 0
	v_cndmask_b32_e64 v1, v6, v1, s[4:5]
	v_mov_b32_e32 v6, 0x1c00
	v_cndmask_b32_e64 v0, v2, v0, s[4:5]
	v_lshlrev_b32_e32 v2, 8, v4
	v_lshl_add_u32 v1, v1, 10, v6
	v_and_or_b32 v1, v2, s29, v1
	v_lshl_or_b32 v0, v0, 7, v1
	v_cvt_f32_f16_e32 v38, v0
.LBB243_75:                             ;   in Loop: Header=BB243_12 Depth=1
	s_or_b64 exec, exec, s[22:23]
	v_lshrrev_b16_e32 v4, 8, v4
	v_cmp_lt_i16_e64 s[4:5], s17, v4
	s_mov_b64 s[22:23], 0
                                        ; implicit-def: $sgpr30
	s_and_saveexec_b64 s[24:25], s[4:5]
	s_xor_b64 s[24:25], exec, s[24:25]
	s_cbranch_execnz .LBB243_273
; %bb.76:                               ;   in Loop: Header=BB243_12 Depth=1
	s_or_saveexec_b64 s[24:25], s[24:25]
	v_mov_b32_e32 v39, s30
	s_xor_b64 exec, exec, s[24:25]
	s_cbranch_execnz .LBB243_276
.LBB243_77:                             ;   in Loop: Header=BB243_12 Depth=1
	s_or_b64 exec, exec, s[24:25]
	s_and_saveexec_b64 s[24:25], s[22:23]
	s_cbranch_execz .LBB243_79
.LBB243_78:                             ;   in Loop: Header=BB243_12 Depth=1
	v_and_b32_e32 v1, 7, v4
	v_ffbh_u32_e32 v6, v1
	v_min_u32_e32 v8, 32, v6
	v_subrev_u32_e32 v6, 28, v8
	v_bfe_u32 v2, v4, 3, 4
	v_lshlrev_b64 v[6:7], v6, v[4:5]
	v_sub_u32_e32 v7, 29, v8
	v_cmp_eq_u32_e64 s[4:5], 0, v2
	v_mov_b32_e32 v0, 0x1c00
	v_and_b32_e32 v6, 7, v6
	v_cndmask_b32_e64 v2, v2, v7, s[4:5]
	v_lshlrev_b32_e32 v4, 8, v4
	v_lshl_add_u32 v2, v2, 10, v0
	v_cndmask_b32_e64 v1, v1, v6, s[4:5]
	v_and_or_b32 v2, v4, s29, v2
	v_lshl_or_b32 v1, v1, 7, v2
	v_cvt_f32_f16_e32 v39, v1
.LBB243_79:                             ;   in Loop: Header=BB243_12 Depth=1
	s_or_b64 exec, exec, s[24:25]
	flat_load_ushort v2, v[34:35] offset:1024
	s_mov_b64 s[4:5], 0
                                        ; implicit-def: $sgpr26
	s_waitcnt vmcnt(0) lgkmcnt(0)
	v_cmp_gt_i16_sdwa s[22:23], v2, s17 src0_sel:BYTE_0 src1_sel:DWORD
	s_and_saveexec_b64 s[24:25], s[22:23]
	s_xor_b64 s[22:23], exec, s[24:25]
	s_cbranch_execnz .LBB243_277
; %bb.80:                               ;   in Loop: Header=BB243_12 Depth=1
	s_or_saveexec_b64 s[22:23], s[22:23]
	v_mov_b32_e32 v48, s26
	s_xor_b64 exec, exec, s[22:23]
	s_cbranch_execnz .LBB243_280
.LBB243_81:                             ;   in Loop: Header=BB243_12 Depth=1
	s_or_b64 exec, exec, s[22:23]
	v_and_b32_e32 v4, 0xffff, v2
	s_and_saveexec_b64 s[22:23], s[4:5]
	s_cbranch_execz .LBB243_83
.LBB243_82:                             ;   in Loop: Header=BB243_12 Depth=1
	v_and_b32_e32 v2, 7, v4
	v_ffbh_u32_e32 v6, v2
	v_min_u32_e32 v9, 32, v6
	v_subrev_u32_e32 v6, 28, v9
	v_bfe_u32 v8, v4, 3, 4
	v_lshlrev_b64 v[6:7], v6, v[4:5]
	v_sub_u32_e32 v7, 29, v9
	v_cmp_eq_u32_e64 s[4:5], 0, v8
	v_and_b32_e32 v6, 7, v6
	v_mov_b32_e32 v0, 0x1c00
	v_cndmask_b32_e64 v7, v8, v7, s[4:5]
	v_cndmask_b32_e64 v2, v2, v6, s[4:5]
	v_lshlrev_b32_e32 v6, 8, v4
	v_lshl_add_u32 v7, v7, 10, v0
	v_and_or_b32 v6, v6, s29, v7
	v_lshl_or_b32 v2, v2, 7, v6
	v_cvt_f32_f16_e32 v48, v2
.LBB243_83:                             ;   in Loop: Header=BB243_12 Depth=1
	s_or_b64 exec, exec, s[22:23]
	v_lshrrev_b16_e32 v4, 8, v4
	v_cmp_lt_i16_e64 s[4:5], s17, v4
	s_mov_b64 s[22:23], 0
                                        ; implicit-def: $sgpr30
	s_and_saveexec_b64 s[24:25], s[4:5]
	s_xor_b64 s[24:25], exec, s[24:25]
	s_cbranch_execnz .LBB243_281
; %bb.84:                               ;   in Loop: Header=BB243_12 Depth=1
	s_or_saveexec_b64 s[24:25], s[24:25]
	v_mov_b32_e32 v52, s30
	s_xor_b64 exec, exec, s[24:25]
	s_cbranch_execnz .LBB243_284
.LBB243_85:                             ;   in Loop: Header=BB243_12 Depth=1
	s_or_b64 exec, exec, s[24:25]
	s_and_saveexec_b64 s[24:25], s[22:23]
	s_cbranch_execz .LBB243_87
.LBB243_86:                             ;   in Loop: Header=BB243_12 Depth=1
	v_and_b32_e32 v2, 7, v4
	v_ffbh_u32_e32 v6, v2
	v_min_u32_e32 v9, 32, v6
	v_subrev_u32_e32 v6, 28, v9
	v_bfe_u32 v8, v4, 3, 4
	v_lshlrev_b64 v[6:7], v6, v[4:5]
	v_sub_u32_e32 v7, 29, v9
	v_cmp_eq_u32_e64 s[4:5], 0, v8
	v_and_b32_e32 v6, 7, v6
	v_mov_b32_e32 v0, 0x1c00
	v_cndmask_b32_e64 v7, v8, v7, s[4:5]
	v_cndmask_b32_e64 v2, v2, v6, s[4:5]
	v_lshlrev_b32_e32 v4, 8, v4
	v_lshl_add_u32 v6, v7, 10, v0
	v_and_or_b32 v4, v4, s29, v6
	v_lshl_or_b32 v2, v2, 7, v4
	v_cvt_f32_f16_e32 v52, v2
.LBB243_87:                             ;   in Loop: Header=BB243_12 Depth=1
	s_or_b64 exec, exec, s[24:25]
	flat_load_ushort v2, v[34:35] offset:1032
	s_mov_b64 s[4:5], 0
                                        ; implicit-def: $sgpr26
	s_waitcnt vmcnt(0) lgkmcnt(0)
	v_cmp_gt_i16_sdwa s[22:23], v2, s17 src0_sel:BYTE_0 src1_sel:DWORD
	s_and_saveexec_b64 s[24:25], s[22:23]
	s_xor_b64 s[22:23], exec, s[24:25]
	s_cbranch_execnz .LBB243_285
; %bb.88:                               ;   in Loop: Header=BB243_12 Depth=1
	s_or_saveexec_b64 s[22:23], s[22:23]
	v_mov_b32_e32 v40, s26
	s_xor_b64 exec, exec, s[22:23]
	s_cbranch_execnz .LBB243_288
.LBB243_89:                             ;   in Loop: Header=BB243_12 Depth=1
	s_or_b64 exec, exec, s[22:23]
	v_and_b32_e32 v4, 0xffff, v2
	s_and_saveexec_b64 s[22:23], s[4:5]
	s_cbranch_execz .LBB243_91
.LBB243_90:                             ;   in Loop: Header=BB243_12 Depth=1
	v_and_b32_e32 v2, 7, v4
	v_ffbh_u32_e32 v6, v2
	v_min_u32_e32 v9, 32, v6
	v_subrev_u32_e32 v6, 28, v9
	v_bfe_u32 v8, v4, 3, 4
	v_lshlrev_b64 v[6:7], v6, v[4:5]
	v_sub_u32_e32 v7, 29, v9
	v_cmp_eq_u32_e64 s[4:5], 0, v8
	v_and_b32_e32 v6, 7, v6
	v_mov_b32_e32 v0, 0x1c00
	v_cndmask_b32_e64 v7, v8, v7, s[4:5]
	v_cndmask_b32_e64 v2, v2, v6, s[4:5]
	v_lshlrev_b32_e32 v6, 8, v4
	v_lshl_add_u32 v7, v7, 10, v0
	v_and_or_b32 v6, v6, s29, v7
	v_lshl_or_b32 v2, v2, 7, v6
	v_cvt_f32_f16_e32 v40, v2
.LBB243_91:                             ;   in Loop: Header=BB243_12 Depth=1
	s_or_b64 exec, exec, s[22:23]
	v_lshrrev_b16_e32 v4, 8, v4
	v_cmp_lt_i16_e64 s[4:5], s17, v4
	s_mov_b64 s[22:23], 0
                                        ; implicit-def: $sgpr30
	s_and_saveexec_b64 s[24:25], s[4:5]
	s_xor_b64 s[24:25], exec, s[24:25]
	s_cbranch_execnz .LBB243_289
; %bb.92:                               ;   in Loop: Header=BB243_12 Depth=1
	s_or_saveexec_b64 s[24:25], s[24:25]
	v_mov_b32_e32 v41, s30
	s_xor_b64 exec, exec, s[24:25]
	s_cbranch_execnz .LBB243_292
.LBB243_93:                             ;   in Loop: Header=BB243_12 Depth=1
	s_or_b64 exec, exec, s[24:25]
	s_and_saveexec_b64 s[24:25], s[22:23]
	s_cbranch_execz .LBB243_95
.LBB243_94:                             ;   in Loop: Header=BB243_12 Depth=1
	v_and_b32_e32 v2, 7, v4
	v_ffbh_u32_e32 v6, v2
	v_min_u32_e32 v9, 32, v6
	v_subrev_u32_e32 v6, 28, v9
	v_bfe_u32 v8, v4, 3, 4
	v_lshlrev_b64 v[6:7], v6, v[4:5]
	v_sub_u32_e32 v7, 29, v9
	v_cmp_eq_u32_e64 s[4:5], 0, v8
	v_and_b32_e32 v6, 7, v6
	v_mov_b32_e32 v0, 0x1c00
	v_cndmask_b32_e64 v7, v8, v7, s[4:5]
	v_cndmask_b32_e64 v2, v2, v6, s[4:5]
	v_lshlrev_b32_e32 v4, 8, v4
	v_lshl_add_u32 v6, v7, 10, v0
	v_and_or_b32 v4, v4, s29, v6
	v_lshl_or_b32 v2, v2, 7, v4
	v_cvt_f32_f16_e32 v41, v2
.LBB243_95:                             ;   in Loop: Header=BB243_12 Depth=1
	s_or_b64 exec, exec, s[24:25]
	flat_load_ushort v2, v[34:35] offset:1280
	s_mov_b64 s[4:5], 0
                                        ; implicit-def: $sgpr26
	s_waitcnt vmcnt(0) lgkmcnt(0)
	v_cmp_gt_i16_sdwa s[22:23], v2, s17 src0_sel:BYTE_0 src1_sel:DWORD
	s_and_saveexec_b64 s[24:25], s[22:23]
	s_xor_b64 s[22:23], exec, s[24:25]
	s_cbranch_execnz .LBB243_293
; %bb.96:                               ;   in Loop: Header=BB243_12 Depth=1
	s_or_saveexec_b64 s[22:23], s[22:23]
	v_mov_b32_e32 v42, s26
	s_xor_b64 exec, exec, s[22:23]
	s_cbranch_execnz .LBB243_296
.LBB243_97:                             ;   in Loop: Header=BB243_12 Depth=1
	s_or_b64 exec, exec, s[22:23]
	v_and_b32_e32 v4, 0xffff, v2
	s_and_saveexec_b64 s[22:23], s[4:5]
	s_cbranch_execz .LBB243_99
.LBB243_98:                             ;   in Loop: Header=BB243_12 Depth=1
	v_and_b32_e32 v2, 7, v4
	v_ffbh_u32_e32 v6, v2
	v_min_u32_e32 v9, 32, v6
	v_subrev_u32_e32 v6, 28, v9
	v_bfe_u32 v8, v4, 3, 4
	v_lshlrev_b64 v[6:7], v6, v[4:5]
	v_sub_u32_e32 v7, 29, v9
	v_cmp_eq_u32_e64 s[4:5], 0, v8
	v_and_b32_e32 v6, 7, v6
	v_mov_b32_e32 v0, 0x1c00
	v_cndmask_b32_e64 v7, v8, v7, s[4:5]
	v_cndmask_b32_e64 v2, v2, v6, s[4:5]
	v_lshlrev_b32_e32 v6, 8, v4
	v_lshl_add_u32 v7, v7, 10, v0
	v_and_or_b32 v6, v6, s29, v7
	v_lshl_or_b32 v2, v2, 7, v6
	v_cvt_f32_f16_e32 v42, v2
.LBB243_99:                             ;   in Loop: Header=BB243_12 Depth=1
	s_or_b64 exec, exec, s[22:23]
	v_lshrrev_b16_e32 v4, 8, v4
	v_cmp_lt_i16_e64 s[4:5], s17, v4
	s_mov_b64 s[22:23], 0
                                        ; implicit-def: $sgpr30
	s_and_saveexec_b64 s[24:25], s[4:5]
	s_xor_b64 s[24:25], exec, s[24:25]
	s_cbranch_execnz .LBB243_297
; %bb.100:                              ;   in Loop: Header=BB243_12 Depth=1
	s_or_saveexec_b64 s[24:25], s[24:25]
	v_mov_b32_e32 v1, s30
	s_xor_b64 exec, exec, s[24:25]
	s_cbranch_execnz .LBB243_300
.LBB243_101:                            ;   in Loop: Header=BB243_12 Depth=1
	s_or_b64 exec, exec, s[24:25]
	s_and_saveexec_b64 s[24:25], s[22:23]
	s_cbranch_execz .LBB243_103
.LBB243_102:                            ;   in Loop: Header=BB243_12 Depth=1
	v_and_b32_e32 v2, 7, v4
	v_ffbh_u32_e32 v6, v2
	v_min_u32_e32 v9, 32, v6
	v_subrev_u32_e32 v6, 28, v9
	v_bfe_u32 v8, v4, 3, 4
	v_lshlrev_b64 v[6:7], v6, v[4:5]
	v_sub_u32_e32 v7, 29, v9
	v_cmp_eq_u32_e64 s[4:5], 0, v8
	v_and_b32_e32 v6, 7, v6
	v_mov_b32_e32 v0, 0x1c00
	v_cndmask_b32_e64 v7, v8, v7, s[4:5]
	v_cndmask_b32_e64 v2, v2, v6, s[4:5]
	v_lshlrev_b32_e32 v4, 8, v4
	v_lshl_add_u32 v6, v7, 10, v0
	v_and_or_b32 v4, v4, s29, v6
	v_lshl_or_b32 v2, v2, 7, v4
	v_cvt_f32_f16_e32 v1, v2
.LBB243_103:                            ;   in Loop: Header=BB243_12 Depth=1
	s_or_b64 exec, exec, s[24:25]
	flat_load_ushort v2, v[34:35] offset:1288
	s_mov_b64 s[4:5], 0
                                        ; implicit-def: $sgpr26
	s_waitcnt vmcnt(0) lgkmcnt(0)
	v_cmp_gt_i16_sdwa s[22:23], v2, s17 src0_sel:BYTE_0 src1_sel:DWORD
	s_and_saveexec_b64 s[24:25], s[22:23]
	s_xor_b64 s[22:23], exec, s[24:25]
	s_cbranch_execnz .LBB243_301
; %bb.104:                              ;   in Loop: Header=BB243_12 Depth=1
	s_or_saveexec_b64 s[22:23], s[22:23]
	v_mov_b32_e32 v6, s26
	s_xor_b64 exec, exec, s[22:23]
	s_cbranch_execnz .LBB243_304
.LBB243_105:                            ;   in Loop: Header=BB243_12 Depth=1
	s_or_b64 exec, exec, s[22:23]
	v_and_b32_e32 v4, 0xffff, v2
	s_and_saveexec_b64 s[22:23], s[4:5]
	s_cbranch_execz .LBB243_107
.LBB243_106:                            ;   in Loop: Header=BB243_12 Depth=1
	v_and_b32_e32 v2, 7, v4
	v_ffbh_u32_e32 v8, v2
	v_min_u32_e32 v10, 32, v8
	v_subrev_u32_e32 v8, 28, v10
	v_bfe_u32 v7, v4, 3, 4
	v_lshlrev_b64 v[8:9], v8, v[4:5]
	v_sub_u32_e32 v9, 29, v10
	v_cmp_eq_u32_e64 s[4:5], 0, v7
	v_and_b32_e32 v8, 7, v8
	v_mov_b32_e32 v0, 0x1c00
	v_cndmask_b32_e64 v7, v7, v9, s[4:5]
	v_cndmask_b32_e64 v2, v2, v8, s[4:5]
	v_lshlrev_b32_e32 v8, 8, v4
	v_lshl_add_u32 v7, v7, 10, v0
	v_and_or_b32 v7, v8, s29, v7
	v_lshl_or_b32 v2, v2, 7, v7
	v_cvt_f32_f16_e32 v6, v2
.LBB243_107:                            ;   in Loop: Header=BB243_12 Depth=1
	s_or_b64 exec, exec, s[22:23]
	v_lshrrev_b16_e32 v4, 8, v4
	v_cmp_lt_i16_e64 s[4:5], s17, v4
	s_mov_b64 s[22:23], 0
                                        ; implicit-def: $sgpr30
	s_and_saveexec_b64 s[24:25], s[4:5]
	s_xor_b64 s[24:25], exec, s[24:25]
	s_cbranch_execnz .LBB243_305
; %bb.108:                              ;   in Loop: Header=BB243_12 Depth=1
	s_or_saveexec_b64 s[24:25], s[24:25]
	v_mov_b32_e32 v0, s30
	s_xor_b64 exec, exec, s[24:25]
	s_cbranch_execnz .LBB243_308
.LBB243_109:                            ;   in Loop: Header=BB243_12 Depth=1
	s_or_b64 exec, exec, s[24:25]
	s_and_saveexec_b64 s[24:25], s[22:23]
	s_cbranch_execz .LBB243_111
.LBB243_110:                            ;   in Loop: Header=BB243_12 Depth=1
	v_and_b32_e32 v2, 7, v4
	v_ffbh_u32_e32 v8, v2
	v_min_u32_e32 v11, 32, v8
	v_subrev_u32_e32 v8, 28, v11
	v_bfe_u32 v10, v4, 3, 4
	v_lshlrev_b64 v[8:9], v8, v[4:5]
	v_sub_u32_e32 v9, 29, v11
	v_cmp_eq_u32_e64 s[4:5], 0, v10
	v_and_b32_e32 v8, 7, v8
	v_mov_b32_e32 v0, 0x1c00
	v_cndmask_b32_e64 v9, v10, v9, s[4:5]
	v_cndmask_b32_e64 v2, v2, v8, s[4:5]
	v_lshlrev_b32_e32 v4, 8, v4
	v_lshl_add_u32 v8, v9, 10, v0
	v_and_or_b32 v4, v4, s29, v8
	v_lshl_or_b32 v2, v2, 7, v4
	v_cvt_f32_f16_e32 v0, v2
.LBB243_111:                            ;   in Loop: Header=BB243_12 Depth=1
	s_or_b64 exec, exec, s[24:25]
	flat_load_ushort v2, v[34:35] offset:1536
	v_accvgpr_write_b32 a45, v0
	s_mov_b64 s[4:5], 0
                                        ; implicit-def: $sgpr26
	s_waitcnt vmcnt(0) lgkmcnt(0)
	v_cmp_gt_i16_sdwa s[22:23], v2, s17 src0_sel:BYTE_0 src1_sel:DWORD
	s_and_saveexec_b64 s[24:25], s[22:23]
	s_xor_b64 s[22:23], exec, s[24:25]
	s_cbranch_execnz .LBB243_309
; %bb.112:                              ;   in Loop: Header=BB243_12 Depth=1
	s_or_saveexec_b64 s[22:23], s[22:23]
	v_mov_b32_e32 v7, s26
	s_xor_b64 exec, exec, s[22:23]
	s_cbranch_execnz .LBB243_312
.LBB243_113:                            ;   in Loop: Header=BB243_12 Depth=1
	s_or_b64 exec, exec, s[22:23]
	v_and_b32_e32 v4, 0xffff, v2
	s_and_saveexec_b64 s[22:23], s[4:5]
	s_cbranch_execz .LBB243_115
.LBB243_114:                            ;   in Loop: Header=BB243_12 Depth=1
	v_and_b32_e32 v2, 7, v4
	v_ffbh_u32_e32 v8, v2
	v_min_u32_e32 v12, 32, v8
	v_subrev_u32_e32 v8, 28, v12
	v_bfe_u32 v11, v4, 3, 4
	v_lshlrev_b64 v[8:9], v8, v[4:5]
	v_sub_u32_e32 v9, 29, v12
	v_cmp_eq_u32_e64 s[4:5], 0, v11
	v_and_b32_e32 v8, 7, v8
	v_mov_b32_e32 v0, 0x1c00
	v_cndmask_b32_e64 v9, v11, v9, s[4:5]
	v_cndmask_b32_e64 v2, v2, v8, s[4:5]
	v_lshlrev_b32_e32 v8, 8, v4
	v_lshl_add_u32 v9, v9, 10, v0
	v_and_or_b32 v8, v8, s29, v9
	v_lshl_or_b32 v2, v2, 7, v8
	v_cvt_f32_f16_e32 v7, v2
.LBB243_115:                            ;   in Loop: Header=BB243_12 Depth=1
	s_or_b64 exec, exec, s[22:23]
	v_lshrrev_b16_e32 v4, 8, v4
	v_cmp_lt_i16_e64 s[4:5], s17, v4
	s_mov_b64 s[22:23], 0
                                        ; implicit-def: $sgpr30
	s_and_saveexec_b64 s[24:25], s[4:5]
	s_xor_b64 s[24:25], exec, s[24:25]
	s_cbranch_execnz .LBB243_313
; %bb.116:                              ;   in Loop: Header=BB243_12 Depth=1
	s_or_saveexec_b64 s[24:25], s[24:25]
	v_mov_b32_e32 v0, s30
	s_xor_b64 exec, exec, s[24:25]
	s_cbranch_execnz .LBB243_316
.LBB243_117:                            ;   in Loop: Header=BB243_12 Depth=1
	s_or_b64 exec, exec, s[24:25]
	s_and_saveexec_b64 s[24:25], s[22:23]
	s_cbranch_execz .LBB243_119
.LBB243_118:                            ;   in Loop: Header=BB243_12 Depth=1
	v_and_b32_e32 v2, 7, v4
	v_ffbh_u32_e32 v8, v2
	v_min_u32_e32 v13, 32, v8
	v_subrev_u32_e32 v8, 28, v13
	v_bfe_u32 v12, v4, 3, 4
	v_lshlrev_b64 v[8:9], v8, v[4:5]
	v_sub_u32_e32 v9, 29, v13
	v_cmp_eq_u32_e64 s[4:5], 0, v12
	v_and_b32_e32 v8, 7, v8
	v_mov_b32_e32 v0, 0x1c00
	v_cndmask_b32_e64 v9, v12, v9, s[4:5]
	v_cndmask_b32_e64 v2, v2, v8, s[4:5]
	v_lshlrev_b32_e32 v4, 8, v4
	v_lshl_add_u32 v8, v9, 10, v0
	v_and_or_b32 v4, v4, s29, v8
	v_lshl_or_b32 v2, v2, 7, v4
	v_cvt_f32_f16_e32 v0, v2
.LBB243_119:                            ;   in Loop: Header=BB243_12 Depth=1
	s_or_b64 exec, exec, s[24:25]
	flat_load_ushort v2, v[34:35] offset:1544
	v_accvgpr_write_b32 a47, v0
	s_mov_b64 s[4:5], 0
                                        ; implicit-def: $sgpr26
	s_waitcnt vmcnt(0) lgkmcnt(0)
	v_cmp_gt_i16_sdwa s[22:23], v2, s17 src0_sel:BYTE_0 src1_sel:DWORD
	s_and_saveexec_b64 s[24:25], s[22:23]
	s_xor_b64 s[22:23], exec, s[24:25]
	s_cbranch_execnz .LBB243_317
; %bb.120:                              ;   in Loop: Header=BB243_12 Depth=1
	s_or_saveexec_b64 s[22:23], s[22:23]
	v_mov_b32_e32 v10, s26
	s_xor_b64 exec, exec, s[22:23]
	s_cbranch_execnz .LBB243_320
.LBB243_121:                            ;   in Loop: Header=BB243_12 Depth=1
	s_or_b64 exec, exec, s[22:23]
	v_and_b32_e32 v4, 0xffff, v2
	s_and_saveexec_b64 s[22:23], s[4:5]
	s_cbranch_execz .LBB243_123
.LBB243_122:                            ;   in Loop: Header=BB243_12 Depth=1
	v_and_b32_e32 v2, 7, v4
	v_ffbh_u32_e32 v8, v2
	v_min_u32_e32 v13, 32, v8
	v_subrev_u32_e32 v8, 28, v13
	v_bfe_u32 v12, v4, 3, 4
	v_lshlrev_b64 v[8:9], v8, v[4:5]
	v_sub_u32_e32 v9, 29, v13
	v_cmp_eq_u32_e64 s[4:5], 0, v12
	v_and_b32_e32 v8, 7, v8
	v_mov_b32_e32 v0, 0x1c00
	v_cndmask_b32_e64 v9, v12, v9, s[4:5]
	v_cndmask_b32_e64 v2, v2, v8, s[4:5]
	v_lshlrev_b32_e32 v8, 8, v4
	v_lshl_add_u32 v9, v9, 10, v0
	v_and_or_b32 v8, v8, s29, v9
	v_lshl_or_b32 v2, v2, 7, v8
	v_cvt_f32_f16_e32 v10, v2
.LBB243_123:                            ;   in Loop: Header=BB243_12 Depth=1
	s_or_b64 exec, exec, s[22:23]
	v_lshrrev_b16_e32 v4, 8, v4
	v_cmp_lt_i16_e64 s[4:5], s17, v4
	s_mov_b64 s[22:23], 0
                                        ; implicit-def: $sgpr30
	s_and_saveexec_b64 s[24:25], s[4:5]
	s_xor_b64 s[24:25], exec, s[24:25]
	s_cbranch_execnz .LBB243_321
; %bb.124:                              ;   in Loop: Header=BB243_12 Depth=1
	s_or_saveexec_b64 s[24:25], s[24:25]
	v_mov_b32_e32 v0, s30
	s_xor_b64 exec, exec, s[24:25]
	s_cbranch_execnz .LBB243_324
.LBB243_125:                            ;   in Loop: Header=BB243_12 Depth=1
	s_or_b64 exec, exec, s[24:25]
	s_and_saveexec_b64 s[24:25], s[22:23]
	s_cbranch_execz .LBB243_127
.LBB243_126:                            ;   in Loop: Header=BB243_12 Depth=1
	v_and_b32_e32 v2, 7, v4
	v_ffbh_u32_e32 v8, v2
	v_min_u32_e32 v13, 32, v8
	v_subrev_u32_e32 v8, 28, v13
	v_bfe_u32 v12, v4, 3, 4
	v_lshlrev_b64 v[8:9], v8, v[4:5]
	v_sub_u32_e32 v9, 29, v13
	v_cmp_eq_u32_e64 s[4:5], 0, v12
	v_and_b32_e32 v8, 7, v8
	v_mov_b32_e32 v0, 0x1c00
	v_cndmask_b32_e64 v9, v12, v9, s[4:5]
	v_cndmask_b32_e64 v2, v2, v8, s[4:5]
	v_lshlrev_b32_e32 v4, 8, v4
	v_lshl_add_u32 v8, v9, 10, v0
	v_and_or_b32 v4, v4, s29, v8
	v_lshl_or_b32 v2, v2, 7, v4
	v_cvt_f32_f16_e32 v0, v2
.LBB243_127:                            ;   in Loop: Header=BB243_12 Depth=1
	s_or_b64 exec, exec, s[24:25]
	flat_load_ushort v2, v[34:35] offset:1792
	v_accvgpr_write_b32 a49, v0
	s_mov_b64 s[4:5], 0
                                        ; implicit-def: $sgpr26
	s_waitcnt vmcnt(0) lgkmcnt(0)
	v_cmp_gt_i16_sdwa s[22:23], v2, s17 src0_sel:BYTE_0 src1_sel:DWORD
	s_and_saveexec_b64 s[24:25], s[22:23]
	s_xor_b64 s[22:23], exec, s[24:25]
	s_cbranch_execnz .LBB243_325
; %bb.128:                              ;   in Loop: Header=BB243_12 Depth=1
	s_or_saveexec_b64 s[22:23], s[22:23]
	v_mov_b32_e32 v9, s26
	s_xor_b64 exec, exec, s[22:23]
	s_cbranch_execnz .LBB243_328
.LBB243_129:                            ;   in Loop: Header=BB243_12 Depth=1
	s_or_b64 exec, exec, s[22:23]
	v_and_b32_e32 v4, 0xffff, v2
	s_and_saveexec_b64 s[22:23], s[4:5]
	s_cbranch_execz .LBB243_131
.LBB243_130:                            ;   in Loop: Header=BB243_12 Depth=1
	v_and_b32_e32 v2, 7, v4
	v_ffbh_u32_e32 v8, v2
	v_min_u32_e32 v13, 32, v8
	v_subrev_u32_e32 v8, 28, v13
	v_bfe_u32 v12, v4, 3, 4
	v_lshlrev_b64 v[8:9], v8, v[4:5]
	v_sub_u32_e32 v9, 29, v13
	v_cmp_eq_u32_e64 s[4:5], 0, v12
	v_and_b32_e32 v8, 7, v8
	v_mov_b32_e32 v0, 0x1c00
	v_cndmask_b32_e64 v9, v12, v9, s[4:5]
	v_cndmask_b32_e64 v2, v2, v8, s[4:5]
	v_lshlrev_b32_e32 v8, 8, v4
	v_lshl_add_u32 v9, v9, 10, v0
	v_and_or_b32 v8, v8, s29, v9
	v_lshl_or_b32 v2, v2, 7, v8
	v_cvt_f32_f16_e32 v9, v2
.LBB243_131:                            ;   in Loop: Header=BB243_12 Depth=1
	s_or_b64 exec, exec, s[22:23]
	v_lshrrev_b16_e32 v4, 8, v4
	v_cmp_lt_i16_e64 s[4:5], s17, v4
	s_mov_b64 s[22:23], 0
                                        ; implicit-def: $sgpr30
	s_and_saveexec_b64 s[24:25], s[4:5]
	s_xor_b64 s[24:25], exec, s[24:25]
	s_cbranch_execnz .LBB243_329
; %bb.132:                              ;   in Loop: Header=BB243_12 Depth=1
	s_or_saveexec_b64 s[24:25], s[24:25]
	v_mov_b32_e32 v0, s30
	s_xor_b64 exec, exec, s[24:25]
	s_cbranch_execnz .LBB243_332
.LBB243_133:                            ;   in Loop: Header=BB243_12 Depth=1
	s_or_b64 exec, exec, s[24:25]
	s_and_saveexec_b64 s[24:25], s[22:23]
	s_cbranch_execz .LBB243_135
.LBB243_134:                            ;   in Loop: Header=BB243_12 Depth=1
	v_and_b32_e32 v2, 7, v4
	v_ffbh_u32_e32 v12, v2
	v_min_u32_e32 v14, 32, v12
	v_subrev_u32_e32 v12, 28, v14
	v_bfe_u32 v8, v4, 3, 4
	v_lshlrev_b64 v[12:13], v12, v[4:5]
	v_sub_u32_e32 v13, 29, v14
	v_cmp_eq_u32_e64 s[4:5], 0, v8
	v_mov_b32_e32 v0, 0x1c00
	v_and_b32_e32 v12, 7, v12
	v_cndmask_b32_e64 v8, v8, v13, s[4:5]
	v_lshlrev_b32_e32 v4, 8, v4
	v_lshl_add_u32 v8, v8, 10, v0
	v_cndmask_b32_e64 v2, v2, v12, s[4:5]
	v_and_or_b32 v4, v4, s29, v8
	v_lshl_or_b32 v2, v2, 7, v4
	v_cvt_f32_f16_e32 v0, v2
.LBB243_135:                            ;   in Loop: Header=BB243_12 Depth=1
	s_or_b64 exec, exec, s[24:25]
	flat_load_ushort v2, v[34:35] offset:1800
	v_accvgpr_write_b32 a51, v0
	s_mov_b64 s[4:5], 0
                                        ; implicit-def: $sgpr26
	s_waitcnt vmcnt(0) lgkmcnt(0)
	v_cmp_gt_i16_sdwa s[22:23], v2, s17 src0_sel:BYTE_0 src1_sel:DWORD
	s_and_saveexec_b64 s[24:25], s[22:23]
	s_xor_b64 s[22:23], exec, s[24:25]
	s_cbranch_execnz .LBB243_333
; %bb.136:                              ;   in Loop: Header=BB243_12 Depth=1
	s_or_saveexec_b64 s[22:23], s[22:23]
	v_mov_b32_e32 v33, s26
	s_xor_b64 exec, exec, s[22:23]
	s_cbranch_execnz .LBB243_336
.LBB243_137:                            ;   in Loop: Header=BB243_12 Depth=1
	s_or_b64 exec, exec, s[22:23]
	v_and_b32_e32 v4, 0xffff, v2
	s_and_saveexec_b64 s[22:23], s[4:5]
	s_cbranch_execz .LBB243_139
.LBB243_138:                            ;   in Loop: Header=BB243_12 Depth=1
	v_and_b32_e32 v2, 7, v4
	v_ffbh_u32_e32 v12, v2
	v_min_u32_e32 v14, 32, v12
	v_subrev_u32_e32 v12, 28, v14
	v_bfe_u32 v8, v4, 3, 4
	v_lshlrev_b64 v[12:13], v12, v[4:5]
	v_sub_u32_e32 v13, 29, v14
	v_cmp_eq_u32_e64 s[4:5], 0, v8
	v_and_b32_e32 v12, 7, v12
	v_mov_b32_e32 v0, 0x1c00
	v_cndmask_b32_e64 v8, v8, v13, s[4:5]
	v_cndmask_b32_e64 v2, v2, v12, s[4:5]
	v_lshlrev_b32_e32 v12, 8, v4
	v_lshl_add_u32 v8, v8, 10, v0
	v_and_or_b32 v8, v12, s29, v8
	v_lshl_or_b32 v2, v2, 7, v8
	v_cvt_f32_f16_e32 v33, v2
.LBB243_139:                            ;   in Loop: Header=BB243_12 Depth=1
	s_or_b64 exec, exec, s[22:23]
	v_lshrrev_b16_e32 v4, 8, v4
	v_cmp_lt_i16_e64 s[4:5], s17, v4
	s_mov_b64 s[22:23], 0
                                        ; implicit-def: $sgpr30
	s_and_saveexec_b64 s[24:25], s[4:5]
	s_xor_b64 s[24:25], exec, s[24:25]
	s_cbranch_execnz .LBB243_337
; %bb.140:                              ;   in Loop: Header=BB243_12 Depth=1
	s_or_saveexec_b64 s[24:25], s[24:25]
	v_mov_b32_e32 v0, s30
	s_xor_b64 exec, exec, s[24:25]
	s_cbranch_execnz .LBB243_340
.LBB243_141:                            ;   in Loop: Header=BB243_12 Depth=1
	s_or_b64 exec, exec, s[24:25]
	s_and_saveexec_b64 s[24:25], s[22:23]
	s_cbranch_execz .LBB243_143
.LBB243_142:                            ;   in Loop: Header=BB243_12 Depth=1
	v_and_b32_e32 v2, 7, v4
	v_ffbh_u32_e32 v12, v2
	v_min_u32_e32 v14, 32, v12
	v_subrev_u32_e32 v12, 28, v14
	v_bfe_u32 v8, v4, 3, 4
	v_lshlrev_b64 v[12:13], v12, v[4:5]
	v_sub_u32_e32 v13, 29, v14
	v_cmp_eq_u32_e64 s[4:5], 0, v8
	v_mov_b32_e32 v0, 0x1c00
	v_and_b32_e32 v12, 7, v12
	v_cndmask_b32_e64 v8, v8, v13, s[4:5]
	v_lshlrev_b32_e32 v4, 8, v4
	v_lshl_add_u32 v8, v8, 10, v0
	v_cndmask_b32_e64 v2, v2, v12, s[4:5]
	v_and_or_b32 v4, v4, s29, v8
	v_lshl_or_b32 v2, v2, 7, v4
	v_cvt_f32_f16_e32 v0, v2
.LBB243_143:                            ;   in Loop: Header=BB243_12 Depth=1
	s_or_b64 exec, exec, s[24:25]
	flat_load_ushort v2, v[34:35] offset:2048
	v_accvgpr_write_b32 a52, v0
	s_mov_b64 s[4:5], 0
                                        ; implicit-def: $sgpr26
	s_waitcnt vmcnt(0) lgkmcnt(0)
	v_cmp_gt_i16_sdwa s[22:23], v2, s17 src0_sel:BYTE_0 src1_sel:DWORD
	s_and_saveexec_b64 s[24:25], s[22:23]
	s_xor_b64 s[22:23], exec, s[24:25]
	s_cbranch_execnz .LBB243_341
; %bb.144:                              ;   in Loop: Header=BB243_12 Depth=1
	s_or_saveexec_b64 s[22:23], s[22:23]
	v_mov_b32_e32 v8, s26
	s_xor_b64 exec, exec, s[22:23]
	s_cbranch_execnz .LBB243_344
.LBB243_145:                            ;   in Loop: Header=BB243_12 Depth=1
	s_or_b64 exec, exec, s[22:23]
	v_and_b32_e32 v4, 0xffff, v2
	s_and_saveexec_b64 s[22:23], s[4:5]
	s_cbranch_execz .LBB243_147
.LBB243_146:                            ;   in Loop: Header=BB243_12 Depth=1
	v_and_b32_e32 v2, 7, v4
	v_ffbh_u32_e32 v12, v2
	v_min_u32_e32 v14, 32, v12
	v_subrev_u32_e32 v12, 28, v14
	v_bfe_u32 v8, v4, 3, 4
	v_lshlrev_b64 v[12:13], v12, v[4:5]
	v_sub_u32_e32 v13, 29, v14
	v_cmp_eq_u32_e64 s[4:5], 0, v8
	v_and_b32_e32 v12, 7, v12
	v_mov_b32_e32 v0, 0x1c00
	v_cndmask_b32_e64 v8, v8, v13, s[4:5]
	v_cndmask_b32_e64 v2, v2, v12, s[4:5]
	v_lshlrev_b32_e32 v12, 8, v4
	v_lshl_add_u32 v8, v8, 10, v0
	v_and_or_b32 v8, v12, s29, v8
	v_lshl_or_b32 v2, v2, 7, v8
	v_cvt_f32_f16_e32 v8, v2
.LBB243_147:                            ;   in Loop: Header=BB243_12 Depth=1
	s_or_b64 exec, exec, s[22:23]
	v_lshrrev_b16_e32 v4, 8, v4
	v_cmp_lt_i16_e64 s[4:5], s17, v4
	s_mov_b64 s[22:23], 0
                                        ; implicit-def: $sgpr30
	s_and_saveexec_b64 s[24:25], s[4:5]
	s_xor_b64 s[24:25], exec, s[24:25]
	s_cbranch_execnz .LBB243_345
; %bb.148:                              ;   in Loop: Header=BB243_12 Depth=1
	s_or_saveexec_b64 s[24:25], s[24:25]
	v_mov_b32_e32 v37, s30
	s_xor_b64 exec, exec, s[24:25]
	s_cbranch_execnz .LBB243_348
.LBB243_149:                            ;   in Loop: Header=BB243_12 Depth=1
	s_or_b64 exec, exec, s[24:25]
	s_and_saveexec_b64 s[24:25], s[22:23]
	s_cbranch_execz .LBB243_151
.LBB243_150:                            ;   in Loop: Header=BB243_12 Depth=1
	v_and_b32_e32 v2, 7, v4
	v_ffbh_u32_e32 v12, v2
	v_min_u32_e32 v15, 32, v12
	v_subrev_u32_e32 v12, 28, v15
	v_bfe_u32 v14, v4, 3, 4
	v_lshlrev_b64 v[12:13], v12, v[4:5]
	v_sub_u32_e32 v13, 29, v15
	v_cmp_eq_u32_e64 s[4:5], 0, v14
	v_and_b32_e32 v12, 7, v12
	v_mov_b32_e32 v0, 0x1c00
	v_cndmask_b32_e64 v13, v14, v13, s[4:5]
	v_cndmask_b32_e64 v2, v2, v12, s[4:5]
	v_lshlrev_b32_e32 v4, 8, v4
	v_lshl_add_u32 v12, v13, 10, v0
	v_and_or_b32 v4, v4, s29, v12
	v_lshl_or_b32 v2, v2, 7, v4
	v_cvt_f32_f16_e32 v37, v2
.LBB243_151:                            ;   in Loop: Header=BB243_12 Depth=1
	s_or_b64 exec, exec, s[24:25]
	flat_load_ushort v2, v[34:35] offset:2056
	s_mov_b64 s[4:5], 0
                                        ; implicit-def: $sgpr26
	s_waitcnt vmcnt(0) lgkmcnt(0)
	v_cmp_gt_i16_sdwa s[22:23], v2, s17 src0_sel:BYTE_0 src1_sel:DWORD
	s_and_saveexec_b64 s[24:25], s[22:23]
	s_xor_b64 s[22:23], exec, s[24:25]
	s_cbranch_execnz .LBB243_349
; %bb.152:                              ;   in Loop: Header=BB243_12 Depth=1
	s_or_saveexec_b64 s[22:23], s[22:23]
	v_mov_b32_e32 v12, s26
	s_xor_b64 exec, exec, s[22:23]
	s_cbranch_execnz .LBB243_352
.LBB243_153:                            ;   in Loop: Header=BB243_12 Depth=1
	s_or_b64 exec, exec, s[22:23]
	v_and_b32_e32 v4, 0xffff, v2
	s_and_saveexec_b64 s[22:23], s[4:5]
	s_cbranch_execz .LBB243_155
.LBB243_154:                            ;   in Loop: Header=BB243_12 Depth=1
	v_and_b32_e32 v2, 7, v4
	v_ffbh_u32_e32 v12, v2
	v_min_u32_e32 v15, 32, v12
	v_subrev_u32_e32 v12, 28, v15
	v_bfe_u32 v14, v4, 3, 4
	v_lshlrev_b64 v[12:13], v12, v[4:5]
	v_sub_u32_e32 v13, 29, v15
	v_cmp_eq_u32_e64 s[4:5], 0, v14
	v_and_b32_e32 v12, 7, v12
	v_mov_b32_e32 v0, 0x1c00
	v_cndmask_b32_e64 v13, v14, v13, s[4:5]
	v_cndmask_b32_e64 v2, v2, v12, s[4:5]
	v_lshlrev_b32_e32 v12, 8, v4
	v_lshl_add_u32 v13, v13, 10, v0
	v_and_or_b32 v12, v12, s29, v13
	v_lshl_or_b32 v2, v2, 7, v12
	v_cvt_f32_f16_e32 v12, v2
.LBB243_155:                            ;   in Loop: Header=BB243_12 Depth=1
	s_or_b64 exec, exec, s[22:23]
	v_lshrrev_b16_e32 v4, 8, v4
	v_cmp_lt_i16_e64 s[4:5], s17, v4
	s_mov_b64 s[22:23], 0
                                        ; implicit-def: $sgpr30
	s_and_saveexec_b64 s[24:25], s[4:5]
	s_xor_b64 s[24:25], exec, s[24:25]
	s_cbranch_execnz .LBB243_353
; %bb.156:                              ;   in Loop: Header=BB243_12 Depth=1
	s_or_saveexec_b64 s[24:25], s[24:25]
	v_mov_b32_e32 v13, s30
	s_xor_b64 exec, exec, s[24:25]
	s_cbranch_execnz .LBB243_356
.LBB243_157:                            ;   in Loop: Header=BB243_12 Depth=1
	s_or_b64 exec, exec, s[24:25]
	s_and_saveexec_b64 s[24:25], s[22:23]
	s_cbranch_execz .LBB243_159
.LBB243_158:                            ;   in Loop: Header=BB243_12 Depth=1
	v_and_b32_e32 v2, 7, v4
	v_ffbh_u32_e32 v14, v2
	v_min_u32_e32 v20, 32, v14
	v_subrev_u32_e32 v14, 28, v20
	v_bfe_u32 v13, v4, 3, 4
	v_lshlrev_b64 v[14:15], v14, v[4:5]
	v_sub_u32_e32 v15, 29, v20
	v_cmp_eq_u32_e64 s[4:5], 0, v13
	v_mov_b32_e32 v0, 0x1c00
	v_and_b32_e32 v14, 7, v14
	v_cndmask_b32_e64 v13, v13, v15, s[4:5]
	v_lshlrev_b32_e32 v4, 8, v4
	v_lshl_add_u32 v13, v13, 10, v0
	v_cndmask_b32_e64 v2, v2, v14, s[4:5]
	v_and_or_b32 v4, v4, s29, v13
	v_lshl_or_b32 v2, v2, 7, v4
	v_cvt_f32_f16_e32 v13, v2
.LBB243_159:                            ;   in Loop: Header=BB243_12 Depth=1
	s_or_b64 exec, exec, s[24:25]
	flat_load_ushort v2, v[34:35] offset:2304
	s_mov_b64 s[4:5], 0
                                        ; implicit-def: $sgpr26
	s_waitcnt vmcnt(0) lgkmcnt(0)
	v_cmp_gt_i16_sdwa s[22:23], v2, s17 src0_sel:BYTE_0 src1_sel:DWORD
	s_and_saveexec_b64 s[24:25], s[22:23]
	s_xor_b64 s[22:23], exec, s[24:25]
	s_cbranch_execnz .LBB243_357
; %bb.160:                              ;   in Loop: Header=BB243_12 Depth=1
	s_or_saveexec_b64 s[22:23], s[22:23]
	v_mov_b32_e32 v14, s26
	s_xor_b64 exec, exec, s[22:23]
	s_cbranch_execnz .LBB243_360
.LBB243_161:                            ;   in Loop: Header=BB243_12 Depth=1
	s_or_b64 exec, exec, s[22:23]
	v_and_b32_e32 v4, 0xffff, v2
	s_and_saveexec_b64 s[22:23], s[4:5]
	s_cbranch_execz .LBB243_163
.LBB243_162:                            ;   in Loop: Header=BB243_12 Depth=1
	v_and_b32_e32 v2, 7, v4
	v_ffbh_u32_e32 v14, v2
	v_min_u32_e32 v21, 32, v14
	v_subrev_u32_e32 v14, 28, v21
	v_bfe_u32 v20, v4, 3, 4
	v_lshlrev_b64 v[14:15], v14, v[4:5]
	v_sub_u32_e32 v15, 29, v21
	v_cmp_eq_u32_e64 s[4:5], 0, v20
	v_and_b32_e32 v14, 7, v14
	v_mov_b32_e32 v0, 0x1c00
	v_cndmask_b32_e64 v15, v20, v15, s[4:5]
	v_cndmask_b32_e64 v2, v2, v14, s[4:5]
	v_lshlrev_b32_e32 v14, 8, v4
	v_lshl_add_u32 v15, v15, 10, v0
	v_and_or_b32 v14, v14, s29, v15
	v_lshl_or_b32 v2, v2, 7, v14
	v_cvt_f32_f16_e32 v14, v2
.LBB243_163:                            ;   in Loop: Header=BB243_12 Depth=1
	s_or_b64 exec, exec, s[22:23]
	v_lshrrev_b16_e32 v4, 8, v4
	v_cmp_lt_i16_e64 s[4:5], s17, v4
	s_mov_b64 s[22:23], 0
                                        ; implicit-def: $sgpr30
	s_and_saveexec_b64 s[24:25], s[4:5]
	s_xor_b64 s[24:25], exec, s[24:25]
	s_cbranch_execnz .LBB243_361
; %bb.164:                              ;   in Loop: Header=BB243_12 Depth=1
	s_or_saveexec_b64 s[24:25], s[24:25]
	v_mov_b32_e32 v15, s30
	s_xor_b64 exec, exec, s[24:25]
	s_cbranch_execnz .LBB243_364
.LBB243_165:                            ;   in Loop: Header=BB243_12 Depth=1
	s_or_b64 exec, exec, s[24:25]
	s_and_saveexec_b64 s[24:25], s[22:23]
	s_cbranch_execz .LBB243_167
.LBB243_166:                            ;   in Loop: Header=BB243_12 Depth=1
	v_and_b32_e32 v2, 7, v4
	v_ffbh_u32_e32 v20, v2
	v_min_u32_e32 v22, 32, v20
	v_subrev_u32_e32 v20, 28, v22
	v_bfe_u32 v15, v4, 3, 4
	v_lshlrev_b64 v[20:21], v20, v[4:5]
	v_sub_u32_e32 v21, 29, v22
	v_cmp_eq_u32_e64 s[4:5], 0, v15
	v_mov_b32_e32 v0, 0x1c00
	v_and_b32_e32 v20, 7, v20
	v_cndmask_b32_e64 v15, v15, v21, s[4:5]
	v_lshlrev_b32_e32 v4, 8, v4
	v_lshl_add_u32 v15, v15, 10, v0
	v_cndmask_b32_e64 v2, v2, v20, s[4:5]
	v_and_or_b32 v4, v4, s29, v15
	v_lshl_or_b32 v2, v2, 7, v4
	v_cvt_f32_f16_e32 v15, v2
.LBB243_167:                            ;   in Loop: Header=BB243_12 Depth=1
	s_or_b64 exec, exec, s[24:25]
	flat_load_ushort v4, v[34:35] offset:2312
	s_mov_b64 s[4:5], 0
                                        ; implicit-def: $sgpr26
	s_waitcnt vmcnt(0) lgkmcnt(0)
	v_cmp_gt_i16_sdwa s[22:23], v4, s17 src0_sel:BYTE_0 src1_sel:DWORD
	s_and_saveexec_b64 s[24:25], s[22:23]
	s_xor_b64 s[22:23], exec, s[24:25]
	s_cbranch_execnz .LBB243_365
; %bb.168:                              ;   in Loop: Header=BB243_12 Depth=1
	s_or_saveexec_b64 s[22:23], s[22:23]
	v_mov_b32_e32 v2, s26
	s_xor_b64 exec, exec, s[22:23]
	s_cbranch_execnz .LBB243_368
.LBB243_169:                            ;   in Loop: Header=BB243_12 Depth=1
	s_or_b64 exec, exec, s[22:23]
	v_and_b32_e32 v4, 0xffff, v4
	s_and_saveexec_b64 s[22:23], s[4:5]
	s_cbranch_execz .LBB243_171
.LBB243_170:                            ;   in Loop: Header=BB243_12 Depth=1
	v_and_b32_e32 v2, 7, v4
	v_ffbh_u32_e32 v20, v2
	v_min_u32_e32 v23, 32, v20
	v_subrev_u32_e32 v20, 28, v23
	v_bfe_u32 v22, v4, 3, 4
	v_lshlrev_b64 v[20:21], v20, v[4:5]
	v_sub_u32_e32 v21, 29, v23
	v_cmp_eq_u32_e64 s[4:5], 0, v22
	v_and_b32_e32 v20, 7, v20
	v_mov_b32_e32 v0, 0x1c00
	v_cndmask_b32_e64 v21, v22, v21, s[4:5]
	v_cndmask_b32_e64 v2, v2, v20, s[4:5]
	v_lshlrev_b32_e32 v20, 8, v4
	v_lshl_add_u32 v21, v21, 10, v0
	v_and_or_b32 v20, v20, s29, v21
	v_lshl_or_b32 v2, v2, 7, v20
	v_cvt_f32_f16_e32 v2, v2
.LBB243_171:                            ;   in Loop: Header=BB243_12 Depth=1
	s_or_b64 exec, exec, s[22:23]
	v_lshrrev_b16_e32 v4, 8, v4
	v_cmp_lt_i16_e64 s[4:5], s17, v4
	s_mov_b64 s[22:23], 0
                                        ; implicit-def: $sgpr30
	s_and_saveexec_b64 s[24:25], s[4:5]
	s_xor_b64 s[24:25], exec, s[24:25]
	s_cbranch_execnz .LBB243_369
; %bb.172:                              ;   in Loop: Header=BB243_12 Depth=1
	s_or_saveexec_b64 s[24:25], s[24:25]
	v_mov_b32_e32 v36, s30
	s_xor_b64 exec, exec, s[24:25]
	s_cbranch_execnz .LBB243_372
.LBB243_173:                            ;   in Loop: Header=BB243_12 Depth=1
	s_or_b64 exec, exec, s[24:25]
	s_and_saveexec_b64 s[24:25], s[22:23]
	s_cbranch_execz .LBB243_175
.LBB243_174:                            ;   in Loop: Header=BB243_12 Depth=1
	v_and_b32_e32 v22, 7, v4
	v_ffbh_u32_e32 v20, v22
	v_min_u32_e32 v36, 32, v20
	v_subrev_u32_e32 v20, 28, v36
	v_bfe_u32 v23, v4, 3, 4
	v_lshlrev_b64 v[20:21], v20, v[4:5]
	v_sub_u32_e32 v21, 29, v36
	v_cmp_eq_u32_e64 s[4:5], 0, v23
	v_mov_b32_e32 v0, 0x1c00
	v_and_b32_e32 v20, 7, v20
	v_cndmask_b32_e64 v21, v23, v21, s[4:5]
	v_lshlrev_b32_e32 v4, 8, v4
	v_lshl_add_u32 v21, v21, 10, v0
	v_cndmask_b32_e64 v20, v22, v20, s[4:5]
	v_and_or_b32 v4, v4, s29, v21
	v_lshl_or_b32 v4, v20, 7, v4
	v_cvt_f32_f16_e32 v36, v4
.LBB243_175:                            ;   in Loop: Header=BB243_12 Depth=1
	s_or_b64 exec, exec, s[24:25]
	flat_load_ushort v4, v[34:35] offset:2560
	s_mov_b64 s[4:5], 0
                                        ; implicit-def: $sgpr26
	s_waitcnt vmcnt(0) lgkmcnt(0)
	v_cmp_gt_i16_sdwa s[22:23], v4, s17 src0_sel:BYTE_0 src1_sel:DWORD
	s_and_saveexec_b64 s[24:25], s[22:23]
	s_xor_b64 s[22:23], exec, s[24:25]
	s_cbranch_execnz .LBB243_373
; %bb.176:                              ;   in Loop: Header=BB243_12 Depth=1
	s_or_saveexec_b64 s[22:23], s[22:23]
	v_mov_b32_e32 v53, s26
	s_xor_b64 exec, exec, s[22:23]
	s_cbranch_execnz .LBB243_376
.LBB243_177:                            ;   in Loop: Header=BB243_12 Depth=1
	s_or_b64 exec, exec, s[22:23]
	v_and_b32_e32 v4, 0xffff, v4
	s_and_saveexec_b64 s[22:23], s[4:5]
	s_cbranch_execz .LBB243_179
.LBB243_178:                            ;   in Loop: Header=BB243_12 Depth=1
	v_and_b32_e32 v22, 7, v4
	v_ffbh_u32_e32 v20, v22
	v_min_u32_e32 v53, 32, v20
	v_subrev_u32_e32 v20, 28, v53
	v_bfe_u32 v23, v4, 3, 4
	v_lshlrev_b64 v[20:21], v20, v[4:5]
	v_sub_u32_e32 v21, 29, v53
	v_cmp_eq_u32_e64 s[4:5], 0, v23
	v_and_b32_e32 v20, 7, v20
	v_mov_b32_e32 v0, 0x1c00
	v_cndmask_b32_e64 v21, v23, v21, s[4:5]
	v_cndmask_b32_e64 v20, v22, v20, s[4:5]
	v_lshlrev_b32_e32 v22, 8, v4
	v_lshl_add_u32 v21, v21, 10, v0
	v_and_or_b32 v21, v22, s29, v21
	v_lshl_or_b32 v20, v20, 7, v21
	v_cvt_f32_f16_e32 v53, v20
.LBB243_179:                            ;   in Loop: Header=BB243_12 Depth=1
	s_or_b64 exec, exec, s[22:23]
	v_lshrrev_b16_e32 v4, 8, v4
	v_cmp_lt_i16_e64 s[4:5], s17, v4
	s_mov_b64 s[22:23], 0
                                        ; implicit-def: $sgpr30
	s_and_saveexec_b64 s[24:25], s[4:5]
	s_xor_b64 s[24:25], exec, s[24:25]
	s_cbranch_execnz .LBB243_377
; %bb.180:                              ;   in Loop: Header=BB243_12 Depth=1
	s_or_saveexec_b64 s[24:25], s[24:25]
	v_mov_b32_e32 v21, s30
	s_xor_b64 exec, exec, s[24:25]
	s_cbranch_execnz .LBB243_380
.LBB243_181:                            ;   in Loop: Header=BB243_12 Depth=1
	s_or_b64 exec, exec, s[24:25]
	s_and_saveexec_b64 s[24:25], s[22:23]
	s_cbranch_execz .LBB243_183
.LBB243_182:                            ;   in Loop: Header=BB243_12 Depth=1
	v_and_b32_e32 v22, 7, v4
	v_ffbh_u32_e32 v20, v22
	v_min_u32_e32 v43, 32, v20
	v_subrev_u32_e32 v20, 28, v43
	v_bfe_u32 v23, v4, 3, 4
	v_lshlrev_b64 v[20:21], v20, v[4:5]
	v_sub_u32_e32 v21, 29, v43
	v_cmp_eq_u32_e64 s[4:5], 0, v23
	v_mov_b32_e32 v0, 0x1c00
	v_and_b32_e32 v20, 7, v20
	v_cndmask_b32_e64 v21, v23, v21, s[4:5]
	v_lshlrev_b32_e32 v4, 8, v4
	v_lshl_add_u32 v21, v21, 10, v0
	v_cndmask_b32_e64 v20, v22, v20, s[4:5]
	v_and_or_b32 v4, v4, s29, v21
	v_lshl_or_b32 v4, v20, 7, v4
	v_cvt_f32_f16_e32 v21, v4
.LBB243_183:                            ;   in Loop: Header=BB243_12 Depth=1
	s_or_b64 exec, exec, s[24:25]
	flat_load_ushort v4, v[34:35] offset:2568
	s_mov_b64 s[4:5], 0
                                        ; implicit-def: $sgpr26
	s_waitcnt vmcnt(0) lgkmcnt(0)
	v_cmp_gt_i16_sdwa s[22:23], v4, s17 src0_sel:BYTE_0 src1_sel:DWORD
	s_and_saveexec_b64 s[24:25], s[22:23]
	s_xor_b64 s[22:23], exec, s[24:25]
	s_cbranch_execnz .LBB243_381
; %bb.184:                              ;   in Loop: Header=BB243_12 Depth=1
	s_or_saveexec_b64 s[22:23], s[22:23]
	v_mov_b32_e32 v20, s26
	s_xor_b64 exec, exec, s[22:23]
	s_cbranch_execnz .LBB243_384
.LBB243_185:                            ;   in Loop: Header=BB243_12 Depth=1
	s_or_b64 exec, exec, s[22:23]
	v_and_b32_e32 v4, 0xffff, v4
	s_and_saveexec_b64 s[22:23], s[4:5]
	s_cbranch_execz .LBB243_187
.LBB243_186:                            ;   in Loop: Header=BB243_12 Depth=1
	v_and_b32_e32 v20, 7, v4
	v_ffbh_u32_e32 v23, v20
	v_bfe_u32 v22, v4, 3, 4
	v_min_u32_e32 v23, 32, v23
	v_subrev_u32_e32 v43, 28, v23
	v_sub_u32_e32 v23, 29, v23
	v_cmp_eq_u32_e64 s[4:5], 0, v22
	v_lshlrev_b64 v[46:47], v43, v[4:5]
	v_mov_b32_e32 v0, 0x1c00
	v_cndmask_b32_e64 v22, v22, v23, s[4:5]
	v_and_b32_e32 v43, 7, v46
	v_lshlrev_b32_e32 v23, 8, v4
	v_lshl_add_u32 v22, v22, 10, v0
	v_cndmask_b32_e64 v20, v20, v43, s[4:5]
	v_and_or_b32 v22, v23, s29, v22
	v_lshl_or_b32 v20, v20, 7, v22
	v_cvt_f32_f16_e32 v20, v20
.LBB243_187:                            ;   in Loop: Header=BB243_12 Depth=1
	s_or_b64 exec, exec, s[22:23]
	v_lshrrev_b16_e32 v4, 8, v4
	v_cmp_lt_i16_e64 s[4:5], s17, v4
	s_mov_b64 s[22:23], 0
                                        ; implicit-def: $sgpr30
	s_and_saveexec_b64 s[24:25], s[4:5]
	s_xor_b64 s[24:25], exec, s[24:25]
	s_cbranch_execnz .LBB243_385
; %bb.188:                              ;   in Loop: Header=BB243_12 Depth=1
	s_or_saveexec_b64 s[24:25], s[24:25]
	v_mov_b32_e32 v43, s30
	s_xor_b64 exec, exec, s[24:25]
	s_cbranch_execnz .LBB243_388
.LBB243_189:                            ;   in Loop: Header=BB243_12 Depth=1
	s_or_b64 exec, exec, s[24:25]
	s_and_saveexec_b64 s[24:25], s[22:23]
	s_cbranch_execz .LBB243_191
.LBB243_190:                            ;   in Loop: Header=BB243_12 Depth=1
	v_and_b32_e32 v22, 7, v4
	v_ffbh_u32_e32 v43, v22
	v_bfe_u32 v23, v4, 3, 4
	v_min_u32_e32 v43, 32, v43
	v_subrev_u32_e32 v46, 28, v43
	v_sub_u32_e32 v43, 29, v43
	v_cmp_eq_u32_e64 s[4:5], 0, v23
	v_lshlrev_b64 v[46:47], v46, v[4:5]
	v_mov_b32_e32 v0, 0x1c00
	v_cndmask_b32_e64 v23, v23, v43, s[4:5]
	v_and_b32_e32 v46, 7, v46
	v_lshlrev_b32_e32 v4, 8, v4
	v_lshl_add_u32 v23, v23, 10, v0
	v_cndmask_b32_e64 v22, v22, v46, s[4:5]
	v_and_or_b32 v4, v4, s29, v23
	v_lshl_or_b32 v4, v22, 7, v4
	v_cvt_f32_f16_e32 v43, v4
.LBB243_191:                            ;   in Loop: Header=BB243_12 Depth=1
	s_or_b64 exec, exec, s[24:25]
	flat_load_ushort v4, v[34:35] offset:2816
	s_mov_b64 s[4:5], 0
                                        ; implicit-def: $sgpr26
	s_waitcnt vmcnt(0) lgkmcnt(0)
	v_cmp_gt_i16_sdwa s[22:23], v4, s17 src0_sel:BYTE_0 src1_sel:DWORD
	s_and_saveexec_b64 s[24:25], s[22:23]
	s_xor_b64 s[22:23], exec, s[24:25]
	s_cbranch_execnz .LBB243_389
; %bb.192:                              ;   in Loop: Header=BB243_12 Depth=1
	s_or_saveexec_b64 s[22:23], s[22:23]
	v_mov_b32_e32 v46, s26
	s_xor_b64 exec, exec, s[22:23]
	s_cbranch_execnz .LBB243_392
.LBB243_193:                            ;   in Loop: Header=BB243_12 Depth=1
	s_or_b64 exec, exec, s[22:23]
	v_and_b32_e32 v4, 0xffff, v4
	s_and_saveexec_b64 s[22:23], s[4:5]
	s_cbranch_execz .LBB243_195
.LBB243_194:                            ;   in Loop: Header=BB243_12 Depth=1
	v_and_b32_e32 v22, 7, v4
	v_ffbh_u32_e32 v46, v22
	v_min_u32_e32 v56, 32, v46
	v_subrev_u32_e32 v46, 28, v56
	v_bfe_u32 v23, v4, 3, 4
	v_lshlrev_b64 v[46:47], v46, v[4:5]
	v_sub_u32_e32 v47, 29, v56
	v_cmp_eq_u32_e64 s[4:5], 0, v23
	v_and_b32_e32 v46, 7, v46
	v_mov_b32_e32 v0, 0x1c00
	v_cndmask_b32_e64 v23, v23, v47, s[4:5]
	v_cndmask_b32_e64 v22, v22, v46, s[4:5]
	v_lshlrev_b32_e32 v46, 8, v4
	v_lshl_add_u32 v23, v23, 10, v0
	v_and_or_b32 v23, v46, s29, v23
	v_lshl_or_b32 v22, v22, 7, v23
	v_cvt_f32_f16_e32 v46, v22
.LBB243_195:                            ;   in Loop: Header=BB243_12 Depth=1
	s_or_b64 exec, exec, s[22:23]
	v_lshrrev_b16_e32 v4, 8, v4
	v_cmp_lt_i16_e64 s[4:5], s17, v4
	s_mov_b64 s[22:23], 0
                                        ; implicit-def: $sgpr30
	s_and_saveexec_b64 s[24:25], s[4:5]
	s_xor_b64 s[24:25], exec, s[24:25]
	s_cbranch_execnz .LBB243_393
; %bb.196:                              ;   in Loop: Header=BB243_12 Depth=1
	s_or_saveexec_b64 s[24:25], s[24:25]
	v_mov_b32_e32 v22, s30
	s_xor_b64 exec, exec, s[24:25]
	s_cbranch_execnz .LBB243_396
.LBB243_197:                            ;   in Loop: Header=BB243_12 Depth=1
	s_or_b64 exec, exec, s[24:25]
	s_and_saveexec_b64 s[24:25], s[22:23]
	s_cbranch_execz .LBB243_199
.LBB243_198:                            ;   in Loop: Header=BB243_12 Depth=1
	v_and_b32_e32 v47, 7, v4
	v_ffbh_u32_e32 v22, v47
	v_min_u32_e32 v57, 32, v22
	v_subrev_u32_e32 v22, 28, v57
	v_bfe_u32 v56, v4, 3, 4
	v_lshlrev_b64 v[22:23], v22, v[4:5]
	v_sub_u32_e32 v23, 29, v57
	v_cmp_eq_u32_e64 s[4:5], 0, v56
	v_mov_b32_e32 v0, 0x1c00
	v_and_b32_e32 v22, 7, v22
	v_cndmask_b32_e64 v23, v56, v23, s[4:5]
	v_lshlrev_b32_e32 v4, 8, v4
	v_lshl_add_u32 v23, v23, 10, v0
	v_cndmask_b32_e64 v22, v47, v22, s[4:5]
	v_and_or_b32 v4, v4, s29, v23
	v_lshl_or_b32 v4, v22, 7, v4
	v_cvt_f32_f16_e32 v22, v4
.LBB243_199:                            ;   in Loop: Header=BB243_12 Depth=1
	s_or_b64 exec, exec, s[24:25]
	flat_load_ushort v4, v[34:35] offset:2824
	s_mov_b64 s[4:5], 0
                                        ; implicit-def: $sgpr26
	s_waitcnt vmcnt(0) lgkmcnt(0)
	v_cmp_gt_i16_sdwa s[22:23], v4, s17 src0_sel:BYTE_0 src1_sel:DWORD
	s_and_saveexec_b64 s[24:25], s[22:23]
	s_xor_b64 s[22:23], exec, s[24:25]
	s_cbranch_execnz .LBB243_397
; %bb.200:                              ;   in Loop: Header=BB243_12 Depth=1
	s_or_saveexec_b64 s[22:23], s[22:23]
	v_mov_b32_e32 v34, s26
	s_xor_b64 exec, exec, s[22:23]
	s_cbranch_execnz .LBB243_400
.LBB243_201:                            ;   in Loop: Header=BB243_12 Depth=1
	s_or_b64 exec, exec, s[22:23]
	v_and_b32_e32 v4, 0xffff, v4
	s_and_saveexec_b64 s[22:23], s[4:5]
	s_cbranch_execz .LBB243_203
.LBB243_202:                            ;   in Loop: Header=BB243_12 Depth=1
	v_and_b32_e32 v23, 7, v4
	v_ffbh_u32_e32 v34, v23
	v_min_u32_e32 v56, 32, v34
	v_subrev_u32_e32 v34, 28, v56
	v_bfe_u32 v47, v4, 3, 4
	v_lshlrev_b64 v[34:35], v34, v[4:5]
	v_sub_u32_e32 v35, 29, v56
	v_cmp_eq_u32_e64 s[4:5], 0, v47
	v_and_b32_e32 v34, 7, v34
	v_mov_b32_e32 v0, 0x1c00
	v_cndmask_b32_e64 v35, v47, v35, s[4:5]
	v_cndmask_b32_e64 v23, v23, v34, s[4:5]
	v_lshlrev_b32_e32 v34, 8, v4
	v_lshl_add_u32 v35, v35, 10, v0
	v_and_or_b32 v34, v34, s29, v35
	v_lshl_or_b32 v23, v23, 7, v34
	v_cvt_f32_f16_e32 v34, v23
.LBB243_203:                            ;   in Loop: Header=BB243_12 Depth=1
	s_or_b64 exec, exec, s[22:23]
	v_lshrrev_b16_e32 v4, 8, v4
	v_cmp_lt_i16_e64 s[4:5], s17, v4
	s_mov_b64 s[22:23], 0
                                        ; implicit-def: $sgpr30
	s_and_saveexec_b64 s[24:25], s[4:5]
	s_xor_b64 s[24:25], exec, s[24:25]
	s_cbranch_execz .LBB243_207
; %bb.204:                              ;   in Loop: Header=BB243_12 Depth=1
	v_cmp_eq_u16_e64 s[4:5], s28, v4
	s_mov_b64 s[22:23], -1
                                        ; implicit-def: $sgpr30
	s_and_saveexec_b64 s[26:27], s[4:5]
; %bb.205:                              ;   in Loop: Header=BB243_12 Depth=1
	s_mov_b32 s30, 0x7fc02000
	s_xor_b64 s[22:23], exec, -1
; %bb.206:                              ;   in Loop: Header=BB243_12 Depth=1
	s_or_b64 exec, exec, s[26:27]
	s_and_b64 s[22:23], s[22:23], exec
.LBB243_207:                            ;   in Loop: Header=BB243_12 Depth=1
	s_or_saveexec_b64 s[24:25], s[24:25]
	v_mov_b32_e32 v47, s30
	s_xor_b64 exec, exec, s[24:25]
; %bb.208:                              ;   in Loop: Header=BB243_12 Depth=1
	v_cmp_ne_u16_e64 s[4:5], 0, v4
	s_andn2_b64 s[22:23], s[22:23], exec
	s_and_b64 s[4:5], s[4:5], exec
	v_mov_b32_e32 v47, 0
	s_or_b64 s[22:23], s[22:23], s[4:5]
; %bb.209:                              ;   in Loop: Header=BB243_12 Depth=1
	s_or_b64 exec, exec, s[24:25]
	v_accvgpr_write_b32 a50, v9
	v_accvgpr_write_b32 a48, v10
	;; [unrolled: 1-line block ×4, first 2 shown]
	v_mov_b32_e32 v9, v1
	s_and_saveexec_b64 s[24:25], s[22:23]
	s_cbranch_execz .LBB243_211
; %bb.210:                              ;   in Loop: Header=BB243_12 Depth=1
	v_and_b32_e32 v23, 7, v4
	v_ffbh_u32_e32 v47, v23
	v_bfe_u32 v35, v4, 3, 4
	v_min_u32_e32 v47, 32, v47
	v_subrev_u32_e32 v56, 28, v47
	v_sub_u32_e32 v47, 29, v47
	v_cmp_eq_u32_e64 s[4:5], 0, v35
	v_lshlrev_b64 v[56:57], v56, v[4:5]
	v_mov_b32_e32 v0, 0x1c00
	v_cndmask_b32_e64 v35, v35, v47, s[4:5]
	v_and_b32_e32 v56, 7, v56
	v_lshlrev_b32_e32 v4, 8, v4
	v_lshl_add_u32 v35, v35, 10, v0
	v_cndmask_b32_e64 v23, v23, v56, s[4:5]
	v_and_or_b32 v4, v4, s29, v35
	v_lshl_or_b32 v4, v23, 7, v4
	v_cvt_f32_f16_e32 v47, v4
.LBB243_211:                            ;   in Loop: Header=BB243_12 Depth=1
	s_or_b64 exec, exec, s[24:25]
	v_accvgpr_read_b32 v44, a36
	ds_read_b32 v4, v44
	v_fma_mixlo_f16 v23, v45, v16, 0
	v_fma_mixlo_f16 v35, v45, v17, 0
	;; [unrolled: 1-line block ×3, first 2 shown]
	v_and_b32_e32 v27, 0xffff, v27
	s_waitcnt lgkmcnt(0)
	v_lshrrev_b32_e32 v56, 16, v4
	v_and_b32_e32 v4, 0xffff, v4
	;;#ASMSTART
	v_cvt_f32_f16 v57, v4;
	;;#ASMEND
	v_and_b32_e32 v4, 0xffff, v23
	;;#ASMSTART
	v_cvt_f32_f16 v56, v56;
	;;#ASMEND
	;;#ASMSTART
	v_cvt_f32_f16 v51, v4;
	;;#ASMEND
	v_and_b32_e32 v4, 0xffff, v35
	;;#ASMSTART
	v_cvt_f32_f16 v31, v4;
	;;#ASMEND
	ds_read_b32 v23, v44 offset:4
	v_fma_mixlo_f16 v4, v45, v22, 0
	v_fma_mixlo_f16 v22, v45, v18, 0
	v_fma_mixlo_f16 v35, v45, v46, 0
	v_fma_mixlo_f16 v46, v45, v19, 0
	s_waitcnt lgkmcnt(0)
	v_lshrrev_b32_e32 v58, 16, v23
	v_and_b32_e32 v22, 0xffff, v22
	v_and_b32_e32 v23, 0xffff, v23
	;;#ASMSTART
	v_cvt_f32_f16 v59, v23;
	;;#ASMEND
	;;#ASMSTART
	v_cvt_f32_f16 v58, v58;
	;;#ASMEND
	;; [unrolled: 3-line block ×3, first 2 shown]
	v_and_b32_e32 v22, 0xffff, v46
	;;#ASMSTART
	v_cvt_f32_f16 v46, v22;
	;;#ASMEND
	ds_read_b32 v61, v44 offset:8
	v_fma_mixlo_f16 v23, v45, v20, 0
	v_fma_mixlo_f16 v20, v45, v24, 0
	;; [unrolled: 1-line block ×4, first 2 shown]
	v_and_b32_e32 v20, 0xffff, v20
	s_waitcnt lgkmcnt(0)
	v_lshrrev_b32_e32 v62, 16, v61
	v_and_b32_e32 v61, 0xffff, v61
	;;#ASMSTART
	v_cvt_f32_f16 v0, v61;
	;;#ASMEND
	;;#ASMSTART
	v_cvt_f32_f16 v55, v62;
	;;#ASMEND
	;;#ASMSTART
	v_cvt_f32_f16 v1, v20;
	;;#ASMEND
	v_and_b32_e32 v20, 0xffff, v43
	;;#ASMSTART
	v_cvt_f32_f16 v50, v20;
	;;#ASMEND
	ds_read_b32 v20, v44 offset:12
	v_fma_mixlo_f16 v43, v45, v26, 0
	v_fma_mixlo_f16 v61, v45, v30, 0
	;; [unrolled: 1-line block ×3, first 2 shown]
	v_and_b32_e32 v3, 0xffff, v3
	s_waitcnt lgkmcnt(0)
	v_lshrrev_b32_e32 v62, 16, v20
	v_and_b32_e32 v20, 0xffff, v20
	;;#ASMSTART
	v_cvt_f32_f16 v26, v20;
	;;#ASMEND
	v_and_b32_e32 v20, 0xffff, v43
	;;#ASMSTART
	v_cvt_f32_f16 v25, v62;
	;;#ASMEND
	;;#ASMSTART
	v_cvt_f32_f16 v24, v20;
	;;#ASMEND
	v_and_b32_e32 v20, 0xffff, v61
	;;#ASMSTART
	v_cvt_f32_f16 v6, v20;
	;;#ASMEND
	ds_read_b32 v43, v44 offset:16
	v_mul_f32_e32 v20, v59, v60
	v_fma_mixlo_f16 v61, v45, v32, 0
	v_fmac_f32_e32 v20, v57, v51
	v_fma_mixlo_f16 v57, v45, v29, 0
	s_waitcnt lgkmcnt(0)
	v_lshrrev_b32_e32 v51, 16, v43
	v_and_b32_e32 v43, 0xffff, v43
	;;#ASMSTART
	v_cvt_f32_f16 v7, v43;
	;;#ASMEND
	;;#ASMSTART
	v_cvt_f32_f16 v60, v51;
	;;#ASMEND
	v_and_b32_e32 v51, 0xffff, v61
	;;#ASMSTART
	v_cvt_f32_f16 v32, v51;
	;;#ASMEND
	;;#ASMSTART
	v_cvt_f32_f16 v62, v27;
	;;#ASMEND
	ds_read_b32 v51, v44 offset:20
	v_fma_mixlo_f16 v43, v45, v49, 0
	v_fma_mixlo_f16 v27, v45, v2, 0
	v_mul_f32_e32 v2, v58, v46
	v_fmac_f32_e32 v2, v56, v31
	s_waitcnt lgkmcnt(0)
	v_lshrrev_b32_e32 v49, 16, v51
	v_and_b32_e32 v51, 0xffff, v51
	;;#ASMSTART
	v_cvt_f32_f16 v59, v51;
	;;#ASMEND
	;;#ASMSTART
	v_cvt_f32_f16 v49, v49;
	;;#ASMEND
	;;#ASMSTART
	v_cvt_f32_f16 v61, v3;
	;;#ASMEND
	v_and_b32_e32 v3, 0xffff, v43
	;;#ASMSTART
	v_cvt_f32_f16 v46, v3;
	;;#ASMEND
	ds_read_b32 v51, v44 offset:24
	v_fma_mixlo_f16 v3, v45, v36, 0
	v_fma_mixlo_f16 v36, v45, v28, 0
	v_and_b32_e32 v31, 0xffff, v36
	v_fmac_f32_e32 v20, v0, v1
	s_waitcnt lgkmcnt(0)
	v_lshrrev_b32_e32 v29, 16, v51
	v_and_b32_e32 v28, 0xffff, v51
	;;#ASMSTART
	v_cvt_f32_f16 v28, v28;
	;;#ASMEND
	;;#ASMSTART
	v_cvt_f32_f16 v29, v29;
	;;#ASMEND
	;;#ASMSTART
	v_cvt_f32_f16 v43, v31;
	;;#ASMEND
	v_and_b32_e32 v31, 0xffff, v57
	;;#ASMSTART
	v_cvt_f32_f16 v56, v31;
	;;#ASMEND
	ds_read_b32 v31, v44 offset:28
	v_fma_mixlo_f16 v51, v45, v38, 0
	v_fma_mixlo_f16 v58, v45, v39, 0
	;; [unrolled: 1-line block ×3, first 2 shown]
	v_fmac_f32_e32 v2, v55, v50
	s_waitcnt lgkmcnt(0)
	v_lshrrev_b32_e32 v0, 16, v31
	v_and_b32_e32 v1, 0xffff, v31
	;;#ASMSTART
	v_cvt_f32_f16 v1, v1;
	;;#ASMEND
	;;#ASMSTART
	v_cvt_f32_f16 v36, v0;
	;;#ASMEND
	v_and_b32_e32 v0, 0xffff, v51
	;;#ASMSTART
	v_cvt_f32_f16 v57, v0;
	;;#ASMEND
	v_and_b32_e32 v0, 0xffff, v58
	;;#ASMSTART
	v_cvt_f32_f16 v58, v0;
	;;#ASMEND
	ds_read_b32 v31, v44 offset:32
	v_fma_mixlo_f16 v51, v45, v48, 0
	v_fma_mixlo_f16 v0, v45, v15, 0
	v_and_b32_e32 v10, 0xffff, v10
	v_fmac_f32_e32 v20, v26, v24
	s_waitcnt lgkmcnt(0)
	v_lshrrev_b32_e32 v50, 16, v31
	v_and_b32_e32 v15, 0xffff, v31
	v_and_b32_e32 v31, 0xffff, v51
	;;#ASMSTART
	v_cvt_f32_f16 v15, v15;
	;;#ASMEND
	;;#ASMSTART
	v_cvt_f32_f16 v50, v50;
	;;#ASMEND
	;; [unrolled: 3-line block ×4, first 2 shown]
	ds_read_b32 v10, v44 offset:36
	v_fma_mixlo_f16 v51, v45, v40, 0
	v_fma_mixlo_f16 v11, v45, v41, 0
	v_fma_mixlo_f16 v30, v45, v42, 0
	v_fmac_f32_e32 v2, v25, v6
	s_waitcnt lgkmcnt(0)
	v_lshrrev_b32_e32 v26, 16, v10
	v_and_b32_e32 v10, 0xffff, v10
	;;#ASMSTART
	v_cvt_f32_f16 v24, v10;
	;;#ASMEND
	v_and_b32_e32 v10, 0xffff, v51
	;;#ASMSTART
	v_cvt_f32_f16 v26, v26;
	;;#ASMEND
	;;#ASMSTART
	v_cvt_f32_f16 v51, v10;
	;;#ASMEND
	v_and_b32_e32 v10, 0xffff, v11
	;;#ASMSTART
	v_cvt_f32_f16 v10, v10;
	;;#ASMEND
	ds_read_b32 v11, v44 offset:40
	v_fma_mixlo_f16 v41, v45, v9, 0
	v_accvgpr_read_b32 v9, a44
	v_fma_mixlo_f16 v48, v45, v9, 0
	v_accvgpr_read_b32 v9, a45
	s_waitcnt lgkmcnt(0)
	v_lshrrev_b32_e32 v6, 16, v11
	v_and_b32_e32 v11, 0xffff, v11
	;;#ASMSTART
	v_cvt_f32_f16 v11, v11;
	;;#ASMEND
	;;#ASMSTART
	v_cvt_f32_f16 v25, v6;
	;;#ASMEND
	v_and_b32_e32 v6, 0xffff, v30
	;;#ASMSTART
	v_cvt_f32_f16 v30, v6;
	;;#ASMEND
	v_and_b32_e32 v6, 0xffff, v41
	;;#ASMSTART
	v_cvt_f32_f16 v41, v6;
	;;#ASMEND
	ds_read_b32 v6, v44 offset:44
	v_fmac_f32_e32 v20, v7, v32
	v_fma_mixlo_f16 v9, v45, v9, 0
	v_accvgpr_read_b32 v16, a47
	v_fmac_f32_e32 v2, v60, v62
	s_waitcnt lgkmcnt(0)
	v_lshrrev_b32_e32 v7, 16, v6
	v_and_b32_e32 v6, 0xffff, v6
	;;#ASMSTART
	v_cvt_f32_f16 v32, v6;
	;;#ASMEND
	v_and_b32_e32 v6, 0xffff, v48
	;;#ASMSTART
	v_cvt_f32_f16 v38, v7;
	;;#ASMEND
	;;#ASMSTART
	v_cvt_f32_f16 v48, v6;
	;;#ASMEND
	v_and_b32_e32 v6, 0xffff, v9
	;;#ASMSTART
	v_cvt_f32_f16 v9, v6;
	;;#ASMEND
	ds_read_b32 v6, v44 offset:48
	v_accvgpr_read_b32 v7, a46
	v_fma_mixlo_f16 v7, v45, v7, 0
	v_fma_mixlo_f16 v39, v45, v16, 0
	v_accvgpr_read_b32 v16, a49
	s_waitcnt lgkmcnt(0)
	v_lshrrev_b32_e32 v60, 16, v6
	v_and_b32_e32 v6, 0xffff, v6
	;;#ASMSTART
	v_cvt_f32_f16 v62, v6;
	;;#ASMEND
	v_and_b32_e32 v6, 0xffff, v7
	;;#ASMSTART
	v_cvt_f32_f16 v60, v60;
	;;#ASMEND
	;;#ASMSTART
	v_cvt_f32_f16 v19, v6;
	;;#ASMEND
	v_and_b32_e32 v6, 0xffff, v39
	;;#ASMSTART
	v_cvt_f32_f16 v39, v6;
	;;#ASMEND
	ds_read_b32 v6, v44 offset:52
	v_accvgpr_read_b32 v7, a48
	v_fma_mixlo_f16 v7, v45, v7, 0
	v_fmac_f32_e32 v20, v59, v61
	v_fma_mixlo_f16 v18, v45, v16, 0
	s_waitcnt lgkmcnt(0)
	v_lshrrev_b32_e32 v59, 16, v6
	v_and_b32_e32 v6, 0xffff, v6
	;;#ASMSTART
	v_cvt_f32_f16 v61, v6;
	;;#ASMEND
	v_and_b32_e32 v6, 0xffff, v7
	;;#ASMSTART
	v_cvt_f32_f16 v59, v59;
	;;#ASMEND
	;;#ASMSTART
	v_cvt_f32_f16 v52, v6;
	;;#ASMEND
	v_and_b32_e32 v6, 0xffff, v18
	;;#ASMSTART
	v_cvt_f32_f16 v18, v6;
	;;#ASMEND
	ds_read_b32 v6, v44 offset:56
	v_accvgpr_read_b32 v7, a52
	v_fma_mixlo_f16 v42, v45, v7, 0
	v_accvgpr_read_b32 v7, a50
	v_fma_mixlo_f16 v7, v45, v7, 0
	v_accvgpr_read_b32 v16, a51
	s_waitcnt lgkmcnt(0)
	v_lshrrev_b32_e32 v17, 16, v6
	v_and_b32_e32 v6, 0xffff, v6
	v_fma_mixlo_f16 v16, v45, v16, 0
	v_fmac_f32_e32 v2, v49, v46
	;;#ASMSTART
	v_cvt_f32_f16 v49, v6;
	;;#ASMEND
	v_and_b32_e32 v6, 0xffff, v7
	;;#ASMSTART
	v_cvt_f32_f16 v17, v17;
	;;#ASMEND
	;;#ASMSTART
	v_cvt_f32_f16 v46, v6;
	;;#ASMEND
	v_and_b32_e32 v6, 0xffff, v16
	;;#ASMSTART
	v_cvt_f32_f16 v16, v6;
	;;#ASMEND
	ds_read_b32 v40, v44 offset:60
	v_fma_mixlo_f16 v33, v45, v33, 0
	v_fma_mixlo_f16 v7, v45, v34, 0
	v_fmac_f32_e32 v20, v28, v43
	v_fmac_f32_e32 v2, v29, v56
	s_waitcnt lgkmcnt(0)
	v_lshrrev_b32_e32 v28, 16, v40
	v_and_b32_e32 v29, 0xffff, v40
	v_and_b32_e32 v33, 0xffff, v33
	;; [unrolled: 1-line block ×3, first 2 shown]
	;;#ASMSTART
	v_cvt_f32_f16 v29, v29;
	;;#ASMEND
	;;#ASMSTART
	v_cvt_f32_f16 v28, v28;
	;;#ASMEND
	;; [unrolled: 3-line block ×4, first 2 shown]
	ds_read_b32 v40, v44 offset:64
	v_fma_mixlo_f16 v8, v45, v8, 0
	v_fma_mixlo_f16 v37, v45, v37, 0
	v_fmac_f32_e32 v20, v1, v57
	v_fmac_f32_e32 v2, v36, v58
	;; [unrolled: 1-line block ×4, first 2 shown]
	s_waitcnt lgkmcnt(0)
	v_lshrrev_b32_e32 v1, 16, v40
	v_and_b32_e32 v15, 0xffff, v40
	v_and_b32_e32 v8, 0xffff, v8
	;; [unrolled: 1-line block ×3, first 2 shown]
	;;#ASMSTART
	v_cvt_f32_f16 v15, v15;
	;;#ASMEND
	;;#ASMSTART
	v_cvt_f32_f16 v1, v1;
	;;#ASMEND
	;; [unrolled: 3-line block ×4, first 2 shown]
	ds_read_b32 v36, v44 offset:68
	v_fma_mixlo_f16 v12, v45, v12, 0
	v_fma_mixlo_f16 v13, v45, v13, 0
	v_fmac_f32_e32 v20, v24, v51
	v_fmac_f32_e32 v2, v26, v10
	v_fmac_f32_e32 v20, v11, v30
	s_waitcnt lgkmcnt(0)
	v_lshrrev_b32_e32 v10, 16, v36
	v_and_b32_e32 v11, 0xffff, v36
	v_and_b32_e32 v12, 0xffff, v12
	;; [unrolled: 1-line block ×3, first 2 shown]
	;;#ASMSTART
	v_cvt_f32_f16 v11, v11;
	;;#ASMEND
	;;#ASMSTART
	v_cvt_f32_f16 v10, v10;
	;;#ASMEND
	;; [unrolled: 3-line block ×4, first 2 shown]
	ds_read_b32 v24, v44 offset:72
	v_fma_mixlo_f16 v14, v45, v14, 0
	v_fmac_f32_e32 v2, v25, v41
	v_fmac_f32_e32 v20, v32, v48
	;; [unrolled: 1-line block ×4, first 2 shown]
	s_waitcnt lgkmcnt(0)
	v_lshrrev_b32_e32 v9, 16, v24
	v_and_b32_e32 v19, 0xffff, v24
	v_and_b32_e32 v14, 0xffff, v14
	;; [unrolled: 1-line block ×3, first 2 shown]
	;;#ASMSTART
	v_cvt_f32_f16 v19, v19;
	;;#ASMEND
	;;#ASMSTART
	v_cvt_f32_f16 v9, v9;
	;;#ASMEND
	;; [unrolled: 3-line block ×4, first 2 shown]
	ds_read_b32 v24, v44 offset:76
	v_fmac_f32_e32 v2, v60, v39
	v_fmac_f32_e32 v2, v59, v18
	;; [unrolled: 1-line block ×3, first 2 shown]
	v_and_b32_e32 v18, 0xffff, v27
	s_waitcnt lgkmcnt(0)
	v_lshrrev_b32_e32 v16, 16, v24
	v_and_b32_e32 v17, 0xffff, v24
	v_and_b32_e32 v3, 0xffff, v3
	;;#ASMSTART
	v_cvt_f32_f16 v17, v17;
	;;#ASMEND
	;;#ASMSTART
	v_cvt_f32_f16 v16, v16;
	;;#ASMEND
	;; [unrolled: 3-line block ×4, first 2 shown]
	ds_read_b32 v24, v44 offset:80
	v_fmac_f32_e32 v20, v61, v52
	v_fmac_f32_e32 v20, v49, v46
	v_fma_mixlo_f16 v53, v45, v53, 0
	v_fma_mixlo_f16 v21, v45, v21, 0
	v_fmac_f32_e32 v20, v29, v33
	v_fmac_f32_e32 v2, v28, v34
	;; [unrolled: 1-line block ×4, first 2 shown]
	s_waitcnt lgkmcnt(0)
	v_lshrrev_b32_e32 v1, 16, v24
	v_and_b32_e32 v8, 0xffff, v24
	v_and_b32_e32 v15, 0xffff, v53
	;; [unrolled: 1-line block ×3, first 2 shown]
	;;#ASMSTART
	v_cvt_f32_f16 v8, v8;
	;;#ASMEND
	;;#ASMSTART
	v_cvt_f32_f16 v1, v1;
	;;#ASMEND
	;; [unrolled: 3-line block ×4, first 2 shown]
	ds_read_b32 v24, v44 offset:84
	v_fmac_f32_e32 v2, v10, v13
	v_fmac_f32_e32 v20, v11, v12
	;; [unrolled: 1-line block ×3, first 2 shown]
	v_and_b32_e32 v10, 0xffff, v23
	s_waitcnt lgkmcnt(0)
	v_lshrrev_b32_e32 v0, 16, v24
	v_and_b32_e32 v9, 0xffff, v24
	v_and_b32_e32 v11, 0xffff, v22
	;;#ASMSTART
	v_cvt_f32_f16 v9, v9;
	;;#ASMEND
	;;#ASMSTART
	v_cvt_f32_f16 v0, v0;
	;;#ASMEND
	;; [unrolled: 3-line block ×4, first 2 shown]
	ds_read_b32 v12, v44 offset:88
	v_fmac_f32_e32 v20, v19, v14
	v_fmac_f32_e32 v20, v17, v18
	;; [unrolled: 1-line block ×5, first 2 shown]
	s_waitcnt lgkmcnt(0)
	v_lshrrev_b32_e32 v1, 16, v12
	v_and_b32_e32 v3, 0xffff, v12
	v_and_b32_e32 v8, 0xffff, v35
	;; [unrolled: 1-line block ×3, first 2 shown]
	;;#ASMSTART
	v_cvt_f32_f16 v3, v3;
	;;#ASMEND
	;;#ASMSTART
	v_cvt_f32_f16 v1, v1;
	;;#ASMEND
	;; [unrolled: 3-line block ×4, first 2 shown]
	ds_read_b32 v12, v44 offset:92
	v_fmac_f32_e32 v20, v9, v10
	v_fmac_f32_e32 v2, v0, v11
	v_fmac_f32_e32 v20, v3, v8
	v_fmac_f32_e32 v2, v1, v4
	s_waitcnt lgkmcnt(0)
	v_lshrrev_b32_e32 v0, 16, v12
	v_and_b32_e32 v1, 0xffff, v12
	v_and_b32_e32 v3, 0xffff, v7
	v_fma_mixlo_f16 v6, v45, v47, 0
	;;#ASMSTART
	v_cvt_f32_f16 v1, v1;
	;;#ASMEND
	;;#ASMSTART
	v_cvt_f32_f16 v0, v0;
	;;#ASMEND
	;; [unrolled: 3-line block ×3, first 2 shown]
	v_and_b32_e32 v4, 0xffff, v6
	v_fmac_f32_e32 v20, v1, v3
	v_accvgpr_read_b32 v3, a42
	;;#ASMSTART
	v_cvt_f32_f16 v4, v4;
	;;#ASMEND
	v_and_b32_e32 v1, 64, v3
	v_fmac_f32_e32 v2, v0, v4
	v_add_f32_e32 v0, v20, v2
	v_add_u32_e32 v1, 64, v1
	v_xor_b32_e32 v2, 2, v3
	v_cmp_lt_i32_e64 s[4:5], v2, v1
	s_nop 1
	v_cndmask_b32_e64 v2, v3, v2, s[4:5]
	v_lshlrev_b32_e32 v2, 2, v2
	ds_bpermute_b32 v2, v2, v0
	s_waitcnt lgkmcnt(0)
	v_add_f32_e32 v0, v0, v2
	v_xor_b32_e32 v2, 1, v3
	v_cmp_lt_i32_e64 s[4:5], v2, v1
	s_nop 1
	v_cndmask_b32_e64 v1, v3, v2, s[4:5]
	v_lshlrev_b32_e32 v1, 2, v1
	ds_bpermute_b32 v1, v1, v0
	s_and_saveexec_b64 s[22:23], vcc
	s_cbranch_execz .LBB243_10
; %bb.212:                              ;   in Loop: Header=BB243_12 Depth=1
	scratch_load_dword v4, off, s32 offset:148 ; 4-byte Folded Reload
	v_accvgpr_read_b32 v2, a37
	v_add_u32_e32 v2, v2, v54
	v_cvt_f32_i32_e32 v2, v2
	s_waitcnt lgkmcnt(0)
	v_add_f32_e32 v0, v0, v1
	v_accvgpr_read_b32 v1, a28
	s_load_dword s4, s[12:13], 0x0
	v_accvgpr_read_b32 v3, a30
	v_add_u32_e32 v3, v3, v54
	s_waitcnt vmcnt(0)
	v_mul_f32_e32 v2, v4, v2
	v_cndmask_b32_e64 v2, 0, v2, s[2:3]
	v_fmac_f32_e32 v2, v0, v1
	scratch_load_dword v1, off, s32 offset:144 ; 4-byte Folded Reload
	v_accvgpr_read_b32 v4, a39
	v_accvgpr_read_b32 v0, a8
	s_waitcnt lgkmcnt(0)
	v_add_u32_e32 v4, s4, v4
	v_cmp_lt_i32_e64 s[4:5], v3, v0
	s_nop 1
	v_cndmask_b32_e64 v0, 0, v2, s[4:5]
	ds_write_b32 v4, v0
	s_waitcnt vmcnt(0)
	v_max_f32_e32 v0, v1, v1
	v_max_f32_e32 v0, v0, v2
	v_cndmask_b32_e64 v1, v1, v0, s[4:5]
	scratch_store_dword off, v1, s32 offset:144 ; 4-byte Folded Spill
	s_branch .LBB243_10
.LBB243_213:                            ;   in Loop: Header=BB243_12 Depth=1
	v_cmp_eq_u16_sdwa s[30:31], v0, s28 src0_sel:BYTE_0 src1_sel:DWORD
	s_mov_b64 s[4:5], -1
                                        ; implicit-def: $sgpr26
	s_and_saveexec_b64 s[24:25], s[30:31]
; %bb.214:                              ;   in Loop: Header=BB243_12 Depth=1
	s_mov_b32 s26, 0x7fc02000
	s_xor_b64 s[4:5], exec, -1
; %bb.215:                              ;   in Loop: Header=BB243_12 Depth=1
	s_or_b64 exec, exec, s[24:25]
	s_and_b64 s[4:5], s[4:5], exec
	s_or_saveexec_b64 s[22:23], s[22:23]
	v_mov_b32_e32 v16, s26
	s_xor_b64 exec, exec, s[22:23]
	s_cbranch_execz .LBB243_17
.LBB243_216:                            ;   in Loop: Header=BB243_12 Depth=1
	v_cmp_ne_u16_sdwa s[24:25], v0, v5 src0_sel:BYTE_0 src1_sel:DWORD
	s_andn2_b64 s[4:5], s[4:5], exec
	s_and_b64 s[24:25], s[24:25], exec
	v_mov_b32_e32 v16, 0
	s_or_b64 s[4:5], s[4:5], s[24:25]
	s_or_b64 exec, exec, s[22:23]
	v_and_b32_e32 v4, 0xffff, v0
	s_and_saveexec_b64 s[22:23], s[4:5]
	s_cbranch_execnz .LBB243_18
	s_branch .LBB243_19
.LBB243_217:                            ;   in Loop: Header=BB243_12 Depth=1
	v_cmp_eq_u16_e64 s[4:5], s28, v4
	s_mov_b64 s[22:23], -1
                                        ; implicit-def: $sgpr30
	s_and_saveexec_b64 s[26:27], s[4:5]
; %bb.218:                              ;   in Loop: Header=BB243_12 Depth=1
	s_mov_b32 s30, 0x7fc02000
	s_xor_b64 s[22:23], exec, -1
; %bb.219:                              ;   in Loop: Header=BB243_12 Depth=1
	s_or_b64 exec, exec, s[26:27]
	s_and_b64 s[22:23], s[22:23], exec
	s_or_saveexec_b64 s[24:25], s[24:25]
	v_mov_b32_e32 v17, s30
	s_xor_b64 exec, exec, s[24:25]
	s_cbranch_execz .LBB243_21
.LBB243_220:                            ;   in Loop: Header=BB243_12 Depth=1
	v_cmp_ne_u16_e64 s[4:5], 0, v4
	s_andn2_b64 s[22:23], s[22:23], exec
	s_and_b64 s[4:5], s[4:5], exec
	v_mov_b32_e32 v17, 0
	s_or_b64 s[22:23], s[22:23], s[4:5]
	s_or_b64 exec, exec, s[24:25]
	s_and_saveexec_b64 s[24:25], s[22:23]
	s_cbranch_execnz .LBB243_22
	s_branch .LBB243_23
.LBB243_221:                            ;   in Loop: Header=BB243_12 Depth=1
	v_cmp_eq_u16_sdwa s[30:31], v0, s28 src0_sel:BYTE_0 src1_sel:DWORD
	s_mov_b64 s[4:5], -1
                                        ; implicit-def: $sgpr26
	s_and_saveexec_b64 s[24:25], s[30:31]
; %bb.222:                              ;   in Loop: Header=BB243_12 Depth=1
	s_mov_b32 s26, 0x7fc02000
	s_xor_b64 s[4:5], exec, -1
; %bb.223:                              ;   in Loop: Header=BB243_12 Depth=1
	s_or_b64 exec, exec, s[24:25]
	s_and_b64 s[4:5], s[4:5], exec
	s_or_saveexec_b64 s[22:23], s[22:23]
	v_mov_b32_e32 v18, s26
	s_xor_b64 exec, exec, s[22:23]
	s_cbranch_execz .LBB243_25
.LBB243_224:                            ;   in Loop: Header=BB243_12 Depth=1
	v_cmp_ne_u16_sdwa s[24:25], v0, v5 src0_sel:BYTE_0 src1_sel:DWORD
	s_andn2_b64 s[4:5], s[4:5], exec
	s_and_b64 s[24:25], s[24:25], exec
	v_mov_b32_e32 v18, 0
	s_or_b64 s[4:5], s[4:5], s[24:25]
	s_or_b64 exec, exec, s[22:23]
	v_and_b32_e32 v4, 0xffff, v0
	s_and_saveexec_b64 s[22:23], s[4:5]
	s_cbranch_execnz .LBB243_26
	s_branch .LBB243_27
.LBB243_225:                            ;   in Loop: Header=BB243_12 Depth=1
	v_cmp_eq_u16_e64 s[4:5], s28, v4
	s_mov_b64 s[22:23], -1
                                        ; implicit-def: $sgpr30
	s_and_saveexec_b64 s[26:27], s[4:5]
; %bb.226:                              ;   in Loop: Header=BB243_12 Depth=1
	s_mov_b32 s30, 0x7fc02000
	s_xor_b64 s[22:23], exec, -1
; %bb.227:                              ;   in Loop: Header=BB243_12 Depth=1
	s_or_b64 exec, exec, s[26:27]
	s_and_b64 s[22:23], s[22:23], exec
	s_or_saveexec_b64 s[24:25], s[24:25]
	v_mov_b32_e32 v19, s30
	s_xor_b64 exec, exec, s[24:25]
	s_cbranch_execz .LBB243_29
.LBB243_228:                            ;   in Loop: Header=BB243_12 Depth=1
	v_cmp_ne_u16_e64 s[4:5], 0, v4
	s_andn2_b64 s[22:23], s[22:23], exec
	s_and_b64 s[4:5], s[4:5], exec
	v_mov_b32_e32 v19, 0
	s_or_b64 s[22:23], s[22:23], s[4:5]
	s_or_b64 exec, exec, s[24:25]
	s_and_saveexec_b64 s[24:25], s[22:23]
	s_cbranch_execnz .LBB243_30
	s_branch .LBB243_31
.LBB243_229:                            ;   in Loop: Header=BB243_12 Depth=1
	v_cmp_eq_u16_sdwa s[30:31], v0, s28 src0_sel:BYTE_0 src1_sel:DWORD
	s_mov_b64 s[4:5], -1
                                        ; implicit-def: $sgpr26
	s_and_saveexec_b64 s[24:25], s[30:31]
; %bb.230:                              ;   in Loop: Header=BB243_12 Depth=1
	s_mov_b32 s26, 0x7fc02000
	s_xor_b64 s[4:5], exec, -1
; %bb.231:                              ;   in Loop: Header=BB243_12 Depth=1
	s_or_b64 exec, exec, s[24:25]
	s_and_b64 s[4:5], s[4:5], exec
	s_or_saveexec_b64 s[22:23], s[22:23]
	v_mov_b32_e32 v24, s26
	s_xor_b64 exec, exec, s[22:23]
	s_cbranch_execz .LBB243_33
.LBB243_232:                            ;   in Loop: Header=BB243_12 Depth=1
	v_cmp_ne_u16_sdwa s[24:25], v0, v5 src0_sel:BYTE_0 src1_sel:DWORD
	s_andn2_b64 s[4:5], s[4:5], exec
	s_and_b64 s[24:25], s[24:25], exec
	v_mov_b32_e32 v24, 0
	s_or_b64 s[4:5], s[4:5], s[24:25]
	s_or_b64 exec, exec, s[22:23]
	v_and_b32_e32 v4, 0xffff, v0
	s_and_saveexec_b64 s[22:23], s[4:5]
	s_cbranch_execnz .LBB243_34
	s_branch .LBB243_35
.LBB243_233:                            ;   in Loop: Header=BB243_12 Depth=1
	v_cmp_eq_u16_e64 s[4:5], s28, v4
	s_mov_b64 s[22:23], -1
                                        ; implicit-def: $sgpr30
	s_and_saveexec_b64 s[26:27], s[4:5]
; %bb.234:                              ;   in Loop: Header=BB243_12 Depth=1
	s_mov_b32 s30, 0x7fc02000
	s_xor_b64 s[22:23], exec, -1
; %bb.235:                              ;   in Loop: Header=BB243_12 Depth=1
	s_or_b64 exec, exec, s[26:27]
	s_and_b64 s[22:23], s[22:23], exec
	s_or_saveexec_b64 s[24:25], s[24:25]
	v_mov_b32_e32 v25, s30
	s_xor_b64 exec, exec, s[24:25]
	s_cbranch_execz .LBB243_37
.LBB243_236:                            ;   in Loop: Header=BB243_12 Depth=1
	v_cmp_ne_u16_e64 s[4:5], 0, v4
	s_andn2_b64 s[22:23], s[22:23], exec
	s_and_b64 s[4:5], s[4:5], exec
	v_mov_b32_e32 v25, 0
	s_or_b64 s[22:23], s[22:23], s[4:5]
	s_or_b64 exec, exec, s[24:25]
	s_and_saveexec_b64 s[24:25], s[22:23]
	s_cbranch_execnz .LBB243_38
	s_branch .LBB243_39
.LBB243_237:                            ;   in Loop: Header=BB243_12 Depth=1
	v_cmp_eq_u16_sdwa s[30:31], v0, s28 src0_sel:BYTE_0 src1_sel:DWORD
	s_mov_b64 s[4:5], -1
                                        ; implicit-def: $sgpr26
	s_and_saveexec_b64 s[24:25], s[30:31]
; %bb.238:                              ;   in Loop: Header=BB243_12 Depth=1
	s_mov_b32 s26, 0x7fc02000
	s_xor_b64 s[4:5], exec, -1
; %bb.239:                              ;   in Loop: Header=BB243_12 Depth=1
	s_or_b64 exec, exec, s[24:25]
	s_and_b64 s[4:5], s[4:5], exec
	s_or_saveexec_b64 s[22:23], s[22:23]
	v_mov_b32_e32 v26, s26
	s_xor_b64 exec, exec, s[22:23]
	s_cbranch_execz .LBB243_41
.LBB243_240:                            ;   in Loop: Header=BB243_12 Depth=1
	v_cmp_ne_u16_sdwa s[24:25], v0, v5 src0_sel:BYTE_0 src1_sel:DWORD
	s_andn2_b64 s[4:5], s[4:5], exec
	s_and_b64 s[24:25], s[24:25], exec
	v_mov_b32_e32 v26, 0
	s_or_b64 s[4:5], s[4:5], s[24:25]
	s_or_b64 exec, exec, s[22:23]
	v_and_b32_e32 v4, 0xffff, v0
	s_and_saveexec_b64 s[22:23], s[4:5]
	s_cbranch_execnz .LBB243_42
	s_branch .LBB243_43
.LBB243_241:                            ;   in Loop: Header=BB243_12 Depth=1
	v_cmp_eq_u16_e64 s[4:5], s28, v4
	s_mov_b64 s[22:23], -1
                                        ; implicit-def: $sgpr30
	s_and_saveexec_b64 s[26:27], s[4:5]
; %bb.242:                              ;   in Loop: Header=BB243_12 Depth=1
	s_mov_b32 s30, 0x7fc02000
	s_xor_b64 s[22:23], exec, -1
; %bb.243:                              ;   in Loop: Header=BB243_12 Depth=1
	s_or_b64 exec, exec, s[26:27]
	s_and_b64 s[22:23], s[22:23], exec
	s_or_saveexec_b64 s[24:25], s[24:25]
	v_mov_b32_e32 v30, s30
	s_xor_b64 exec, exec, s[24:25]
	s_cbranch_execz .LBB243_45
.LBB243_244:                            ;   in Loop: Header=BB243_12 Depth=1
	v_cmp_ne_u16_e64 s[4:5], 0, v4
	s_andn2_b64 s[22:23], s[22:23], exec
	s_and_b64 s[4:5], s[4:5], exec
	v_mov_b32_e32 v30, 0
	s_or_b64 s[22:23], s[22:23], s[4:5]
	s_or_b64 exec, exec, s[24:25]
	s_and_saveexec_b64 s[24:25], s[22:23]
	s_cbranch_execnz .LBB243_46
	s_branch .LBB243_47
.LBB243_245:                            ;   in Loop: Header=BB243_12 Depth=1
	v_cmp_eq_u16_sdwa s[30:31], v0, s28 src0_sel:BYTE_0 src1_sel:DWORD
	s_mov_b64 s[4:5], -1
                                        ; implicit-def: $sgpr26
	s_and_saveexec_b64 s[24:25], s[30:31]
; %bb.246:                              ;   in Loop: Header=BB243_12 Depth=1
	s_mov_b32 s26, 0x7fc02000
	s_xor_b64 s[4:5], exec, -1
; %bb.247:                              ;   in Loop: Header=BB243_12 Depth=1
	s_or_b64 exec, exec, s[24:25]
	s_and_b64 s[4:5], s[4:5], exec
	s_or_saveexec_b64 s[22:23], s[22:23]
	v_mov_b32_e32 v32, s26
	s_xor_b64 exec, exec, s[22:23]
	s_cbranch_execz .LBB243_49
.LBB243_248:                            ;   in Loop: Header=BB243_12 Depth=1
	v_cmp_ne_u16_sdwa s[24:25], v0, v5 src0_sel:BYTE_0 src1_sel:DWORD
	s_andn2_b64 s[4:5], s[4:5], exec
	s_and_b64 s[24:25], s[24:25], exec
	v_mov_b32_e32 v32, 0
	s_or_b64 s[4:5], s[4:5], s[24:25]
	s_or_b64 exec, exec, s[22:23]
	v_and_b32_e32 v4, 0xffff, v0
	s_and_saveexec_b64 s[22:23], s[4:5]
	s_cbranch_execnz .LBB243_50
	s_branch .LBB243_51
.LBB243_249:                            ;   in Loop: Header=BB243_12 Depth=1
	v_cmp_eq_u16_e64 s[4:5], s28, v4
	s_mov_b64 s[22:23], -1
                                        ; implicit-def: $sgpr30
	s_and_saveexec_b64 s[26:27], s[4:5]
; %bb.250:                              ;   in Loop: Header=BB243_12 Depth=1
	s_mov_b32 s30, 0x7fc02000
	s_xor_b64 s[22:23], exec, -1
; %bb.251:                              ;   in Loop: Header=BB243_12 Depth=1
	s_or_b64 exec, exec, s[26:27]
	s_and_b64 s[22:23], s[22:23], exec
	s_or_saveexec_b64 s[24:25], s[24:25]
	v_mov_b32_e32 v27, s30
	s_xor_b64 exec, exec, s[24:25]
	s_cbranch_execz .LBB243_53
.LBB243_252:                            ;   in Loop: Header=BB243_12 Depth=1
	v_cmp_ne_u16_e64 s[4:5], 0, v4
	s_andn2_b64 s[22:23], s[22:23], exec
	s_and_b64 s[4:5], s[4:5], exec
	v_mov_b32_e32 v27, 0
	s_or_b64 s[22:23], s[22:23], s[4:5]
	s_or_b64 exec, exec, s[24:25]
	s_and_saveexec_b64 s[24:25], s[22:23]
	s_cbranch_execnz .LBB243_54
	s_branch .LBB243_55
.LBB243_253:                            ;   in Loop: Header=BB243_12 Depth=1
	v_cmp_eq_u16_sdwa s[30:31], v0, s28 src0_sel:BYTE_0 src1_sel:DWORD
	s_mov_b64 s[4:5], -1
                                        ; implicit-def: $sgpr26
	s_and_saveexec_b64 s[24:25], s[30:31]
; %bb.254:                              ;   in Loop: Header=BB243_12 Depth=1
	s_mov_b32 s26, 0x7fc02000
	s_xor_b64 s[4:5], exec, -1
; %bb.255:                              ;   in Loop: Header=BB243_12 Depth=1
	s_or_b64 exec, exec, s[24:25]
	s_and_b64 s[4:5], s[4:5], exec
	s_or_saveexec_b64 s[22:23], s[22:23]
	v_mov_b32_e32 v3, s26
	s_xor_b64 exec, exec, s[22:23]
	s_cbranch_execz .LBB243_57
.LBB243_256:                            ;   in Loop: Header=BB243_12 Depth=1
	v_cmp_ne_u16_sdwa s[24:25], v0, v5 src0_sel:BYTE_0 src1_sel:DWORD
	s_andn2_b64 s[4:5], s[4:5], exec
	s_and_b64 s[24:25], s[24:25], exec
	v_mov_b32_e32 v3, 0
	s_or_b64 s[4:5], s[4:5], s[24:25]
	s_or_b64 exec, exec, s[22:23]
	v_and_b32_e32 v4, 0xffff, v0
	s_and_saveexec_b64 s[22:23], s[4:5]
	s_cbranch_execnz .LBB243_58
	s_branch .LBB243_59
.LBB243_257:                            ;   in Loop: Header=BB243_12 Depth=1
	v_cmp_eq_u16_e64 s[4:5], s28, v4
	s_mov_b64 s[22:23], -1
                                        ; implicit-def: $sgpr30
	s_and_saveexec_b64 s[26:27], s[4:5]
; %bb.258:                              ;   in Loop: Header=BB243_12 Depth=1
	s_mov_b32 s30, 0x7fc02000
	s_xor_b64 s[22:23], exec, -1
; %bb.259:                              ;   in Loop: Header=BB243_12 Depth=1
	s_or_b64 exec, exec, s[26:27]
	s_and_b64 s[22:23], s[22:23], exec
	s_or_saveexec_b64 s[24:25], s[24:25]
	v_mov_b32_e32 v49, s30
	s_xor_b64 exec, exec, s[24:25]
	s_cbranch_execz .LBB243_61
.LBB243_260:                            ;   in Loop: Header=BB243_12 Depth=1
	v_cmp_ne_u16_e64 s[4:5], 0, v4
	s_andn2_b64 s[22:23], s[22:23], exec
	s_and_b64 s[4:5], s[4:5], exec
	v_mov_b32_e32 v49, 0
	s_or_b64 s[22:23], s[22:23], s[4:5]
	s_or_b64 exec, exec, s[24:25]
	s_and_saveexec_b64 s[24:25], s[22:23]
	s_cbranch_execnz .LBB243_62
	s_branch .LBB243_63
.LBB243_261:                            ;   in Loop: Header=BB243_12 Depth=1
	v_cmp_eq_u16_sdwa s[30:31], v0, s28 src0_sel:BYTE_0 src1_sel:DWORD
	s_mov_b64 s[4:5], -1
                                        ; implicit-def: $sgpr26
	s_and_saveexec_b64 s[24:25], s[30:31]
; %bb.262:                              ;   in Loop: Header=BB243_12 Depth=1
	s_mov_b32 s26, 0x7fc02000
	s_xor_b64 s[4:5], exec, -1
; %bb.263:                              ;   in Loop: Header=BB243_12 Depth=1
	s_or_b64 exec, exec, s[24:25]
	s_and_b64 s[4:5], s[4:5], exec
	s_or_saveexec_b64 s[22:23], s[22:23]
	v_mov_b32_e32 v28, s26
	s_xor_b64 exec, exec, s[22:23]
	s_cbranch_execz .LBB243_65
.LBB243_264:                            ;   in Loop: Header=BB243_12 Depth=1
	v_cmp_ne_u16_sdwa s[24:25], v0, v5 src0_sel:BYTE_0 src1_sel:DWORD
	s_andn2_b64 s[4:5], s[4:5], exec
	s_and_b64 s[24:25], s[24:25], exec
	v_mov_b32_e32 v28, 0
	s_or_b64 s[4:5], s[4:5], s[24:25]
	s_or_b64 exec, exec, s[22:23]
	v_and_b32_e32 v4, 0xffff, v0
	s_and_saveexec_b64 s[22:23], s[4:5]
	s_cbranch_execnz .LBB243_66
	s_branch .LBB243_67
.LBB243_265:                            ;   in Loop: Header=BB243_12 Depth=1
	v_cmp_eq_u16_e64 s[4:5], s28, v4
	s_mov_b64 s[22:23], -1
                                        ; implicit-def: $sgpr30
	s_and_saveexec_b64 s[26:27], s[4:5]
; %bb.266:                              ;   in Loop: Header=BB243_12 Depth=1
	s_mov_b32 s30, 0x7fc02000
	s_xor_b64 s[22:23], exec, -1
; %bb.267:                              ;   in Loop: Header=BB243_12 Depth=1
	s_or_b64 exec, exec, s[26:27]
	s_and_b64 s[22:23], s[22:23], exec
	s_or_saveexec_b64 s[24:25], s[24:25]
	v_mov_b32_e32 v29, s30
	s_xor_b64 exec, exec, s[24:25]
	s_cbranch_execz .LBB243_69
.LBB243_268:                            ;   in Loop: Header=BB243_12 Depth=1
	v_cmp_ne_u16_e64 s[4:5], 0, v4
	s_andn2_b64 s[22:23], s[22:23], exec
	s_and_b64 s[4:5], s[4:5], exec
	v_mov_b32_e32 v29, 0
	s_or_b64 s[22:23], s[22:23], s[4:5]
	s_or_b64 exec, exec, s[24:25]
	s_and_saveexec_b64 s[24:25], s[22:23]
	s_cbranch_execnz .LBB243_70
	s_branch .LBB243_71
.LBB243_269:                            ;   in Loop: Header=BB243_12 Depth=1
	v_cmp_eq_u16_sdwa s[30:31], v1, s28 src0_sel:BYTE_0 src1_sel:DWORD
	s_mov_b64 s[4:5], -1
                                        ; implicit-def: $sgpr26
	s_and_saveexec_b64 s[24:25], s[30:31]
; %bb.270:                              ;   in Loop: Header=BB243_12 Depth=1
	s_mov_b32 s26, 0x7fc02000
	s_xor_b64 s[4:5], exec, -1
; %bb.271:                              ;   in Loop: Header=BB243_12 Depth=1
	s_or_b64 exec, exec, s[24:25]
	s_and_b64 s[4:5], s[4:5], exec
	s_or_saveexec_b64 s[22:23], s[22:23]
	v_mov_b32_e32 v38, s26
	s_xor_b64 exec, exec, s[22:23]
	s_cbranch_execz .LBB243_73
.LBB243_272:                            ;   in Loop: Header=BB243_12 Depth=1
	v_cmp_ne_u16_sdwa s[24:25], v1, v5 src0_sel:BYTE_0 src1_sel:DWORD
	s_andn2_b64 s[4:5], s[4:5], exec
	s_and_b64 s[24:25], s[24:25], exec
	v_mov_b32_e32 v38, 0
	s_or_b64 s[4:5], s[4:5], s[24:25]
	s_or_b64 exec, exec, s[22:23]
	v_and_b32_e32 v4, 0xffff, v1
	s_and_saveexec_b64 s[22:23], s[4:5]
	s_cbranch_execnz .LBB243_74
	s_branch .LBB243_75
.LBB243_273:                            ;   in Loop: Header=BB243_12 Depth=1
	v_cmp_eq_u16_e64 s[4:5], s28, v4
	s_mov_b64 s[22:23], -1
                                        ; implicit-def: $sgpr30
	s_and_saveexec_b64 s[26:27], s[4:5]
; %bb.274:                              ;   in Loop: Header=BB243_12 Depth=1
	s_mov_b32 s30, 0x7fc02000
	s_xor_b64 s[22:23], exec, -1
; %bb.275:                              ;   in Loop: Header=BB243_12 Depth=1
	s_or_b64 exec, exec, s[26:27]
	s_and_b64 s[22:23], s[22:23], exec
	s_or_saveexec_b64 s[24:25], s[24:25]
	v_mov_b32_e32 v39, s30
	s_xor_b64 exec, exec, s[24:25]
	s_cbranch_execz .LBB243_77
.LBB243_276:                            ;   in Loop: Header=BB243_12 Depth=1
	v_cmp_ne_u16_e64 s[4:5], 0, v4
	s_andn2_b64 s[22:23], s[22:23], exec
	s_and_b64 s[4:5], s[4:5], exec
	v_mov_b32_e32 v39, 0
	s_or_b64 s[22:23], s[22:23], s[4:5]
	s_or_b64 exec, exec, s[24:25]
	s_and_saveexec_b64 s[24:25], s[22:23]
	s_cbranch_execnz .LBB243_78
	s_branch .LBB243_79
.LBB243_277:                            ;   in Loop: Header=BB243_12 Depth=1
	v_cmp_eq_u16_sdwa s[30:31], v2, s28 src0_sel:BYTE_0 src1_sel:DWORD
	s_mov_b64 s[4:5], -1
                                        ; implicit-def: $sgpr26
	s_and_saveexec_b64 s[24:25], s[30:31]
; %bb.278:                              ;   in Loop: Header=BB243_12 Depth=1
	s_mov_b32 s26, 0x7fc02000
	s_xor_b64 s[4:5], exec, -1
; %bb.279:                              ;   in Loop: Header=BB243_12 Depth=1
	s_or_b64 exec, exec, s[24:25]
	s_and_b64 s[4:5], s[4:5], exec
	s_or_saveexec_b64 s[22:23], s[22:23]
	v_mov_b32_e32 v48, s26
	s_xor_b64 exec, exec, s[22:23]
	s_cbranch_execz .LBB243_81
.LBB243_280:                            ;   in Loop: Header=BB243_12 Depth=1
	v_cmp_ne_u16_sdwa s[24:25], v2, v5 src0_sel:BYTE_0 src1_sel:DWORD
	s_andn2_b64 s[4:5], s[4:5], exec
	s_and_b64 s[24:25], s[24:25], exec
	v_mov_b32_e32 v48, 0
	s_or_b64 s[4:5], s[4:5], s[24:25]
	s_or_b64 exec, exec, s[22:23]
	v_and_b32_e32 v4, 0xffff, v2
	s_and_saveexec_b64 s[22:23], s[4:5]
	s_cbranch_execnz .LBB243_82
	s_branch .LBB243_83
.LBB243_281:                            ;   in Loop: Header=BB243_12 Depth=1
	v_cmp_eq_u16_e64 s[4:5], s28, v4
	s_mov_b64 s[22:23], -1
                                        ; implicit-def: $sgpr30
	s_and_saveexec_b64 s[26:27], s[4:5]
; %bb.282:                              ;   in Loop: Header=BB243_12 Depth=1
	s_mov_b32 s30, 0x7fc02000
	s_xor_b64 s[22:23], exec, -1
; %bb.283:                              ;   in Loop: Header=BB243_12 Depth=1
	s_or_b64 exec, exec, s[26:27]
	s_and_b64 s[22:23], s[22:23], exec
	s_or_saveexec_b64 s[24:25], s[24:25]
	v_mov_b32_e32 v52, s30
	s_xor_b64 exec, exec, s[24:25]
	s_cbranch_execz .LBB243_85
.LBB243_284:                            ;   in Loop: Header=BB243_12 Depth=1
	v_cmp_ne_u16_e64 s[4:5], 0, v4
	s_andn2_b64 s[22:23], s[22:23], exec
	s_and_b64 s[4:5], s[4:5], exec
	v_mov_b32_e32 v52, 0
	s_or_b64 s[22:23], s[22:23], s[4:5]
	s_or_b64 exec, exec, s[24:25]
	s_and_saveexec_b64 s[24:25], s[22:23]
	s_cbranch_execnz .LBB243_86
	s_branch .LBB243_87
.LBB243_285:                            ;   in Loop: Header=BB243_12 Depth=1
	v_cmp_eq_u16_sdwa s[30:31], v2, s28 src0_sel:BYTE_0 src1_sel:DWORD
	s_mov_b64 s[4:5], -1
                                        ; implicit-def: $sgpr26
	s_and_saveexec_b64 s[24:25], s[30:31]
; %bb.286:                              ;   in Loop: Header=BB243_12 Depth=1
	s_mov_b32 s26, 0x7fc02000
	s_xor_b64 s[4:5], exec, -1
; %bb.287:                              ;   in Loop: Header=BB243_12 Depth=1
	s_or_b64 exec, exec, s[24:25]
	s_and_b64 s[4:5], s[4:5], exec
	s_or_saveexec_b64 s[22:23], s[22:23]
	v_mov_b32_e32 v40, s26
	s_xor_b64 exec, exec, s[22:23]
	s_cbranch_execz .LBB243_89
.LBB243_288:                            ;   in Loop: Header=BB243_12 Depth=1
	v_cmp_ne_u16_sdwa s[24:25], v2, v5 src0_sel:BYTE_0 src1_sel:DWORD
	s_andn2_b64 s[4:5], s[4:5], exec
	s_and_b64 s[24:25], s[24:25], exec
	v_mov_b32_e32 v40, 0
	s_or_b64 s[4:5], s[4:5], s[24:25]
	s_or_b64 exec, exec, s[22:23]
	v_and_b32_e32 v4, 0xffff, v2
	s_and_saveexec_b64 s[22:23], s[4:5]
	s_cbranch_execnz .LBB243_90
	s_branch .LBB243_91
.LBB243_289:                            ;   in Loop: Header=BB243_12 Depth=1
	v_cmp_eq_u16_e64 s[4:5], s28, v4
	s_mov_b64 s[22:23], -1
                                        ; implicit-def: $sgpr30
	s_and_saveexec_b64 s[26:27], s[4:5]
; %bb.290:                              ;   in Loop: Header=BB243_12 Depth=1
	s_mov_b32 s30, 0x7fc02000
	s_xor_b64 s[22:23], exec, -1
; %bb.291:                              ;   in Loop: Header=BB243_12 Depth=1
	s_or_b64 exec, exec, s[26:27]
	s_and_b64 s[22:23], s[22:23], exec
	s_or_saveexec_b64 s[24:25], s[24:25]
	v_mov_b32_e32 v41, s30
	s_xor_b64 exec, exec, s[24:25]
	s_cbranch_execz .LBB243_93
.LBB243_292:                            ;   in Loop: Header=BB243_12 Depth=1
	v_cmp_ne_u16_e64 s[4:5], 0, v4
	s_andn2_b64 s[22:23], s[22:23], exec
	s_and_b64 s[4:5], s[4:5], exec
	v_mov_b32_e32 v41, 0
	s_or_b64 s[22:23], s[22:23], s[4:5]
	s_or_b64 exec, exec, s[24:25]
	s_and_saveexec_b64 s[24:25], s[22:23]
	s_cbranch_execnz .LBB243_94
	s_branch .LBB243_95
.LBB243_293:                            ;   in Loop: Header=BB243_12 Depth=1
	v_cmp_eq_u16_sdwa s[30:31], v2, s28 src0_sel:BYTE_0 src1_sel:DWORD
	s_mov_b64 s[4:5], -1
                                        ; implicit-def: $sgpr26
	s_and_saveexec_b64 s[24:25], s[30:31]
; %bb.294:                              ;   in Loop: Header=BB243_12 Depth=1
	s_mov_b32 s26, 0x7fc02000
	s_xor_b64 s[4:5], exec, -1
; %bb.295:                              ;   in Loop: Header=BB243_12 Depth=1
	s_or_b64 exec, exec, s[24:25]
	s_and_b64 s[4:5], s[4:5], exec
	s_or_saveexec_b64 s[22:23], s[22:23]
	v_mov_b32_e32 v42, s26
	s_xor_b64 exec, exec, s[22:23]
	s_cbranch_execz .LBB243_97
.LBB243_296:                            ;   in Loop: Header=BB243_12 Depth=1
	v_cmp_ne_u16_sdwa s[24:25], v2, v5 src0_sel:BYTE_0 src1_sel:DWORD
	s_andn2_b64 s[4:5], s[4:5], exec
	s_and_b64 s[24:25], s[24:25], exec
	v_mov_b32_e32 v42, 0
	s_or_b64 s[4:5], s[4:5], s[24:25]
	s_or_b64 exec, exec, s[22:23]
	v_and_b32_e32 v4, 0xffff, v2
	s_and_saveexec_b64 s[22:23], s[4:5]
	s_cbranch_execnz .LBB243_98
	s_branch .LBB243_99
.LBB243_297:                            ;   in Loop: Header=BB243_12 Depth=1
	v_cmp_eq_u16_e64 s[4:5], s28, v4
	s_mov_b64 s[22:23], -1
                                        ; implicit-def: $sgpr30
	s_and_saveexec_b64 s[26:27], s[4:5]
; %bb.298:                              ;   in Loop: Header=BB243_12 Depth=1
	s_mov_b32 s30, 0x7fc02000
	s_xor_b64 s[22:23], exec, -1
; %bb.299:                              ;   in Loop: Header=BB243_12 Depth=1
	s_or_b64 exec, exec, s[26:27]
	s_and_b64 s[22:23], s[22:23], exec
	s_or_saveexec_b64 s[24:25], s[24:25]
	v_mov_b32_e32 v1, s30
	s_xor_b64 exec, exec, s[24:25]
	s_cbranch_execz .LBB243_101
.LBB243_300:                            ;   in Loop: Header=BB243_12 Depth=1
	v_cmp_ne_u16_e64 s[4:5], 0, v4
	s_andn2_b64 s[22:23], s[22:23], exec
	s_and_b64 s[4:5], s[4:5], exec
	v_mov_b32_e32 v1, 0
	s_or_b64 s[22:23], s[22:23], s[4:5]
	s_or_b64 exec, exec, s[24:25]
	s_and_saveexec_b64 s[24:25], s[22:23]
	s_cbranch_execnz .LBB243_102
	s_branch .LBB243_103
.LBB243_301:                            ;   in Loop: Header=BB243_12 Depth=1
	v_cmp_eq_u16_sdwa s[30:31], v2, s28 src0_sel:BYTE_0 src1_sel:DWORD
	s_mov_b64 s[4:5], -1
                                        ; implicit-def: $sgpr26
	s_and_saveexec_b64 s[24:25], s[30:31]
; %bb.302:                              ;   in Loop: Header=BB243_12 Depth=1
	s_mov_b32 s26, 0x7fc02000
	s_xor_b64 s[4:5], exec, -1
; %bb.303:                              ;   in Loop: Header=BB243_12 Depth=1
	s_or_b64 exec, exec, s[24:25]
	s_and_b64 s[4:5], s[4:5], exec
	s_or_saveexec_b64 s[22:23], s[22:23]
	v_mov_b32_e32 v6, s26
	s_xor_b64 exec, exec, s[22:23]
	s_cbranch_execz .LBB243_105
.LBB243_304:                            ;   in Loop: Header=BB243_12 Depth=1
	v_cmp_ne_u16_sdwa s[24:25], v2, v5 src0_sel:BYTE_0 src1_sel:DWORD
	s_andn2_b64 s[4:5], s[4:5], exec
	s_and_b64 s[24:25], s[24:25], exec
	v_mov_b32_e32 v6, 0
	s_or_b64 s[4:5], s[4:5], s[24:25]
	s_or_b64 exec, exec, s[22:23]
	v_and_b32_e32 v4, 0xffff, v2
	s_and_saveexec_b64 s[22:23], s[4:5]
	s_cbranch_execnz .LBB243_106
	s_branch .LBB243_107
.LBB243_305:                            ;   in Loop: Header=BB243_12 Depth=1
	v_cmp_eq_u16_e64 s[4:5], s28, v4
	s_mov_b64 s[22:23], -1
                                        ; implicit-def: $sgpr30
	s_and_saveexec_b64 s[26:27], s[4:5]
; %bb.306:                              ;   in Loop: Header=BB243_12 Depth=1
	s_mov_b32 s30, 0x7fc02000
	s_xor_b64 s[22:23], exec, -1
; %bb.307:                              ;   in Loop: Header=BB243_12 Depth=1
	s_or_b64 exec, exec, s[26:27]
	s_and_b64 s[22:23], s[22:23], exec
	s_or_saveexec_b64 s[24:25], s[24:25]
	v_mov_b32_e32 v0, s30
	s_xor_b64 exec, exec, s[24:25]
	s_cbranch_execz .LBB243_109
.LBB243_308:                            ;   in Loop: Header=BB243_12 Depth=1
	v_cmp_ne_u16_e64 s[4:5], 0, v4
	s_andn2_b64 s[22:23], s[22:23], exec
	s_and_b64 s[4:5], s[4:5], exec
	v_mov_b32_e32 v0, 0
	s_or_b64 s[22:23], s[22:23], s[4:5]
	s_or_b64 exec, exec, s[24:25]
	s_and_saveexec_b64 s[24:25], s[22:23]
	s_cbranch_execnz .LBB243_110
	s_branch .LBB243_111
.LBB243_309:                            ;   in Loop: Header=BB243_12 Depth=1
	v_cmp_eq_u16_sdwa s[30:31], v2, s28 src0_sel:BYTE_0 src1_sel:DWORD
	s_mov_b64 s[4:5], -1
                                        ; implicit-def: $sgpr26
	s_and_saveexec_b64 s[24:25], s[30:31]
; %bb.310:                              ;   in Loop: Header=BB243_12 Depth=1
	s_mov_b32 s26, 0x7fc02000
	s_xor_b64 s[4:5], exec, -1
; %bb.311:                              ;   in Loop: Header=BB243_12 Depth=1
	s_or_b64 exec, exec, s[24:25]
	s_and_b64 s[4:5], s[4:5], exec
	s_or_saveexec_b64 s[22:23], s[22:23]
	v_mov_b32_e32 v7, s26
	s_xor_b64 exec, exec, s[22:23]
	s_cbranch_execz .LBB243_113
.LBB243_312:                            ;   in Loop: Header=BB243_12 Depth=1
	v_cmp_ne_u16_sdwa s[24:25], v2, v5 src0_sel:BYTE_0 src1_sel:DWORD
	s_andn2_b64 s[4:5], s[4:5], exec
	s_and_b64 s[24:25], s[24:25], exec
	v_mov_b32_e32 v7, 0
	s_or_b64 s[4:5], s[4:5], s[24:25]
	s_or_b64 exec, exec, s[22:23]
	v_and_b32_e32 v4, 0xffff, v2
	s_and_saveexec_b64 s[22:23], s[4:5]
	s_cbranch_execnz .LBB243_114
	s_branch .LBB243_115
.LBB243_313:                            ;   in Loop: Header=BB243_12 Depth=1
	v_cmp_eq_u16_e64 s[4:5], s28, v4
	s_mov_b64 s[22:23], -1
                                        ; implicit-def: $sgpr30
	s_and_saveexec_b64 s[26:27], s[4:5]
; %bb.314:                              ;   in Loop: Header=BB243_12 Depth=1
	s_mov_b32 s30, 0x7fc02000
	s_xor_b64 s[22:23], exec, -1
; %bb.315:                              ;   in Loop: Header=BB243_12 Depth=1
	s_or_b64 exec, exec, s[26:27]
	s_and_b64 s[22:23], s[22:23], exec
	s_or_saveexec_b64 s[24:25], s[24:25]
	v_mov_b32_e32 v0, s30
	s_xor_b64 exec, exec, s[24:25]
	s_cbranch_execz .LBB243_117
.LBB243_316:                            ;   in Loop: Header=BB243_12 Depth=1
	v_cmp_ne_u16_e64 s[4:5], 0, v4
	s_andn2_b64 s[22:23], s[22:23], exec
	s_and_b64 s[4:5], s[4:5], exec
	v_mov_b32_e32 v0, 0
	s_or_b64 s[22:23], s[22:23], s[4:5]
	s_or_b64 exec, exec, s[24:25]
	s_and_saveexec_b64 s[24:25], s[22:23]
	s_cbranch_execnz .LBB243_118
	s_branch .LBB243_119
.LBB243_317:                            ;   in Loop: Header=BB243_12 Depth=1
	v_cmp_eq_u16_sdwa s[30:31], v2, s28 src0_sel:BYTE_0 src1_sel:DWORD
	s_mov_b64 s[4:5], -1
                                        ; implicit-def: $sgpr26
	s_and_saveexec_b64 s[24:25], s[30:31]
; %bb.318:                              ;   in Loop: Header=BB243_12 Depth=1
	s_mov_b32 s26, 0x7fc02000
	s_xor_b64 s[4:5], exec, -1
; %bb.319:                              ;   in Loop: Header=BB243_12 Depth=1
	s_or_b64 exec, exec, s[24:25]
	s_and_b64 s[4:5], s[4:5], exec
	s_or_saveexec_b64 s[22:23], s[22:23]
	v_mov_b32_e32 v10, s26
	s_xor_b64 exec, exec, s[22:23]
	s_cbranch_execz .LBB243_121
.LBB243_320:                            ;   in Loop: Header=BB243_12 Depth=1
	v_cmp_ne_u16_sdwa s[24:25], v2, v5 src0_sel:BYTE_0 src1_sel:DWORD
	s_andn2_b64 s[4:5], s[4:5], exec
	s_and_b64 s[24:25], s[24:25], exec
	v_mov_b32_e32 v10, 0
	s_or_b64 s[4:5], s[4:5], s[24:25]
	s_or_b64 exec, exec, s[22:23]
	v_and_b32_e32 v4, 0xffff, v2
	s_and_saveexec_b64 s[22:23], s[4:5]
	s_cbranch_execnz .LBB243_122
	s_branch .LBB243_123
.LBB243_321:                            ;   in Loop: Header=BB243_12 Depth=1
	v_cmp_eq_u16_e64 s[4:5], s28, v4
	s_mov_b64 s[22:23], -1
                                        ; implicit-def: $sgpr30
	s_and_saveexec_b64 s[26:27], s[4:5]
; %bb.322:                              ;   in Loop: Header=BB243_12 Depth=1
	s_mov_b32 s30, 0x7fc02000
	s_xor_b64 s[22:23], exec, -1
; %bb.323:                              ;   in Loop: Header=BB243_12 Depth=1
	s_or_b64 exec, exec, s[26:27]
	s_and_b64 s[22:23], s[22:23], exec
	s_or_saveexec_b64 s[24:25], s[24:25]
	v_mov_b32_e32 v0, s30
	s_xor_b64 exec, exec, s[24:25]
	s_cbranch_execz .LBB243_125
.LBB243_324:                            ;   in Loop: Header=BB243_12 Depth=1
	v_cmp_ne_u16_e64 s[4:5], 0, v4
	s_andn2_b64 s[22:23], s[22:23], exec
	s_and_b64 s[4:5], s[4:5], exec
	v_mov_b32_e32 v0, 0
	s_or_b64 s[22:23], s[22:23], s[4:5]
	s_or_b64 exec, exec, s[24:25]
	s_and_saveexec_b64 s[24:25], s[22:23]
	s_cbranch_execnz .LBB243_126
	s_branch .LBB243_127
.LBB243_325:                            ;   in Loop: Header=BB243_12 Depth=1
	v_cmp_eq_u16_sdwa s[30:31], v2, s28 src0_sel:BYTE_0 src1_sel:DWORD
	s_mov_b64 s[4:5], -1
                                        ; implicit-def: $sgpr26
	s_and_saveexec_b64 s[24:25], s[30:31]
; %bb.326:                              ;   in Loop: Header=BB243_12 Depth=1
	s_mov_b32 s26, 0x7fc02000
	s_xor_b64 s[4:5], exec, -1
; %bb.327:                              ;   in Loop: Header=BB243_12 Depth=1
	s_or_b64 exec, exec, s[24:25]
	s_and_b64 s[4:5], s[4:5], exec
	s_or_saveexec_b64 s[22:23], s[22:23]
	v_mov_b32_e32 v9, s26
	s_xor_b64 exec, exec, s[22:23]
	s_cbranch_execz .LBB243_129
.LBB243_328:                            ;   in Loop: Header=BB243_12 Depth=1
	v_cmp_ne_u16_sdwa s[24:25], v2, v5 src0_sel:BYTE_0 src1_sel:DWORD
	s_andn2_b64 s[4:5], s[4:5], exec
	s_and_b64 s[24:25], s[24:25], exec
	v_mov_b32_e32 v9, 0
	s_or_b64 s[4:5], s[4:5], s[24:25]
	s_or_b64 exec, exec, s[22:23]
	v_and_b32_e32 v4, 0xffff, v2
	s_and_saveexec_b64 s[22:23], s[4:5]
	s_cbranch_execnz .LBB243_130
	s_branch .LBB243_131
.LBB243_329:                            ;   in Loop: Header=BB243_12 Depth=1
	v_cmp_eq_u16_e64 s[4:5], s28, v4
	s_mov_b64 s[22:23], -1
                                        ; implicit-def: $sgpr30
	s_and_saveexec_b64 s[26:27], s[4:5]
; %bb.330:                              ;   in Loop: Header=BB243_12 Depth=1
	s_mov_b32 s30, 0x7fc02000
	s_xor_b64 s[22:23], exec, -1
; %bb.331:                              ;   in Loop: Header=BB243_12 Depth=1
	s_or_b64 exec, exec, s[26:27]
	s_and_b64 s[22:23], s[22:23], exec
	s_or_saveexec_b64 s[24:25], s[24:25]
	v_mov_b32_e32 v0, s30
	s_xor_b64 exec, exec, s[24:25]
	s_cbranch_execz .LBB243_133
.LBB243_332:                            ;   in Loop: Header=BB243_12 Depth=1
	v_cmp_ne_u16_e64 s[4:5], 0, v4
	s_andn2_b64 s[22:23], s[22:23], exec
	s_and_b64 s[4:5], s[4:5], exec
	v_mov_b32_e32 v0, 0
	s_or_b64 s[22:23], s[22:23], s[4:5]
	s_or_b64 exec, exec, s[24:25]
	s_and_saveexec_b64 s[24:25], s[22:23]
	s_cbranch_execnz .LBB243_134
	s_branch .LBB243_135
.LBB243_333:                            ;   in Loop: Header=BB243_12 Depth=1
	v_cmp_eq_u16_sdwa s[30:31], v2, s28 src0_sel:BYTE_0 src1_sel:DWORD
	s_mov_b64 s[4:5], -1
                                        ; implicit-def: $sgpr26
	s_and_saveexec_b64 s[24:25], s[30:31]
; %bb.334:                              ;   in Loop: Header=BB243_12 Depth=1
	s_mov_b32 s26, 0x7fc02000
	s_xor_b64 s[4:5], exec, -1
; %bb.335:                              ;   in Loop: Header=BB243_12 Depth=1
	s_or_b64 exec, exec, s[24:25]
	s_and_b64 s[4:5], s[4:5], exec
	s_or_saveexec_b64 s[22:23], s[22:23]
	v_mov_b32_e32 v33, s26
	s_xor_b64 exec, exec, s[22:23]
	s_cbranch_execz .LBB243_137
.LBB243_336:                            ;   in Loop: Header=BB243_12 Depth=1
	v_cmp_ne_u16_sdwa s[24:25], v2, v5 src0_sel:BYTE_0 src1_sel:DWORD
	s_andn2_b64 s[4:5], s[4:5], exec
	s_and_b64 s[24:25], s[24:25], exec
	v_mov_b32_e32 v33, 0
	s_or_b64 s[4:5], s[4:5], s[24:25]
	s_or_b64 exec, exec, s[22:23]
	v_and_b32_e32 v4, 0xffff, v2
	s_and_saveexec_b64 s[22:23], s[4:5]
	s_cbranch_execnz .LBB243_138
	s_branch .LBB243_139
.LBB243_337:                            ;   in Loop: Header=BB243_12 Depth=1
	v_cmp_eq_u16_e64 s[4:5], s28, v4
	s_mov_b64 s[22:23], -1
                                        ; implicit-def: $sgpr30
	s_and_saveexec_b64 s[26:27], s[4:5]
; %bb.338:                              ;   in Loop: Header=BB243_12 Depth=1
	s_mov_b32 s30, 0x7fc02000
	s_xor_b64 s[22:23], exec, -1
; %bb.339:                              ;   in Loop: Header=BB243_12 Depth=1
	s_or_b64 exec, exec, s[26:27]
	s_and_b64 s[22:23], s[22:23], exec
	s_or_saveexec_b64 s[24:25], s[24:25]
	v_mov_b32_e32 v0, s30
	s_xor_b64 exec, exec, s[24:25]
	s_cbranch_execz .LBB243_141
.LBB243_340:                            ;   in Loop: Header=BB243_12 Depth=1
	v_cmp_ne_u16_e64 s[4:5], 0, v4
	s_andn2_b64 s[22:23], s[22:23], exec
	s_and_b64 s[4:5], s[4:5], exec
	v_mov_b32_e32 v0, 0
	s_or_b64 s[22:23], s[22:23], s[4:5]
	s_or_b64 exec, exec, s[24:25]
	s_and_saveexec_b64 s[24:25], s[22:23]
	s_cbranch_execnz .LBB243_142
	s_branch .LBB243_143
.LBB243_341:                            ;   in Loop: Header=BB243_12 Depth=1
	v_cmp_eq_u16_sdwa s[30:31], v2, s28 src0_sel:BYTE_0 src1_sel:DWORD
	s_mov_b64 s[4:5], -1
                                        ; implicit-def: $sgpr26
	s_and_saveexec_b64 s[24:25], s[30:31]
; %bb.342:                              ;   in Loop: Header=BB243_12 Depth=1
	s_mov_b32 s26, 0x7fc02000
	s_xor_b64 s[4:5], exec, -1
; %bb.343:                              ;   in Loop: Header=BB243_12 Depth=1
	s_or_b64 exec, exec, s[24:25]
	s_and_b64 s[4:5], s[4:5], exec
	s_or_saveexec_b64 s[22:23], s[22:23]
	v_mov_b32_e32 v8, s26
	s_xor_b64 exec, exec, s[22:23]
	s_cbranch_execz .LBB243_145
.LBB243_344:                            ;   in Loop: Header=BB243_12 Depth=1
	v_cmp_ne_u16_sdwa s[24:25], v2, v5 src0_sel:BYTE_0 src1_sel:DWORD
	s_andn2_b64 s[4:5], s[4:5], exec
	s_and_b64 s[24:25], s[24:25], exec
	v_mov_b32_e32 v8, 0
	s_or_b64 s[4:5], s[4:5], s[24:25]
	s_or_b64 exec, exec, s[22:23]
	v_and_b32_e32 v4, 0xffff, v2
	s_and_saveexec_b64 s[22:23], s[4:5]
	s_cbranch_execnz .LBB243_146
	s_branch .LBB243_147
.LBB243_345:                            ;   in Loop: Header=BB243_12 Depth=1
	v_cmp_eq_u16_e64 s[4:5], s28, v4
	s_mov_b64 s[22:23], -1
                                        ; implicit-def: $sgpr30
	s_and_saveexec_b64 s[26:27], s[4:5]
; %bb.346:                              ;   in Loop: Header=BB243_12 Depth=1
	s_mov_b32 s30, 0x7fc02000
	s_xor_b64 s[22:23], exec, -1
; %bb.347:                              ;   in Loop: Header=BB243_12 Depth=1
	s_or_b64 exec, exec, s[26:27]
	s_and_b64 s[22:23], s[22:23], exec
	s_or_saveexec_b64 s[24:25], s[24:25]
	v_mov_b32_e32 v37, s30
	s_xor_b64 exec, exec, s[24:25]
	s_cbranch_execz .LBB243_149
.LBB243_348:                            ;   in Loop: Header=BB243_12 Depth=1
	v_cmp_ne_u16_e64 s[4:5], 0, v4
	s_andn2_b64 s[22:23], s[22:23], exec
	s_and_b64 s[4:5], s[4:5], exec
	v_mov_b32_e32 v37, 0
	s_or_b64 s[22:23], s[22:23], s[4:5]
	s_or_b64 exec, exec, s[24:25]
	s_and_saveexec_b64 s[24:25], s[22:23]
	s_cbranch_execnz .LBB243_150
	s_branch .LBB243_151
.LBB243_349:                            ;   in Loop: Header=BB243_12 Depth=1
	v_cmp_eq_u16_sdwa s[30:31], v2, s28 src0_sel:BYTE_0 src1_sel:DWORD
	s_mov_b64 s[4:5], -1
                                        ; implicit-def: $sgpr26
	s_and_saveexec_b64 s[24:25], s[30:31]
; %bb.350:                              ;   in Loop: Header=BB243_12 Depth=1
	s_mov_b32 s26, 0x7fc02000
	s_xor_b64 s[4:5], exec, -1
; %bb.351:                              ;   in Loop: Header=BB243_12 Depth=1
	s_or_b64 exec, exec, s[24:25]
	s_and_b64 s[4:5], s[4:5], exec
	s_or_saveexec_b64 s[22:23], s[22:23]
	v_mov_b32_e32 v12, s26
	s_xor_b64 exec, exec, s[22:23]
	s_cbranch_execz .LBB243_153
.LBB243_352:                            ;   in Loop: Header=BB243_12 Depth=1
	v_cmp_ne_u16_sdwa s[24:25], v2, v5 src0_sel:BYTE_0 src1_sel:DWORD
	s_andn2_b64 s[4:5], s[4:5], exec
	s_and_b64 s[24:25], s[24:25], exec
	v_mov_b32_e32 v12, 0
	s_or_b64 s[4:5], s[4:5], s[24:25]
	s_or_b64 exec, exec, s[22:23]
	v_and_b32_e32 v4, 0xffff, v2
	s_and_saveexec_b64 s[22:23], s[4:5]
	s_cbranch_execnz .LBB243_154
	s_branch .LBB243_155
.LBB243_353:                            ;   in Loop: Header=BB243_12 Depth=1
	v_cmp_eq_u16_e64 s[4:5], s28, v4
	s_mov_b64 s[22:23], -1
                                        ; implicit-def: $sgpr30
	s_and_saveexec_b64 s[26:27], s[4:5]
; %bb.354:                              ;   in Loop: Header=BB243_12 Depth=1
	s_mov_b32 s30, 0x7fc02000
	s_xor_b64 s[22:23], exec, -1
; %bb.355:                              ;   in Loop: Header=BB243_12 Depth=1
	s_or_b64 exec, exec, s[26:27]
	s_and_b64 s[22:23], s[22:23], exec
	s_or_saveexec_b64 s[24:25], s[24:25]
	v_mov_b32_e32 v13, s30
	s_xor_b64 exec, exec, s[24:25]
	s_cbranch_execz .LBB243_157
.LBB243_356:                            ;   in Loop: Header=BB243_12 Depth=1
	v_cmp_ne_u16_e64 s[4:5], 0, v4
	s_andn2_b64 s[22:23], s[22:23], exec
	s_and_b64 s[4:5], s[4:5], exec
	v_mov_b32_e32 v13, 0
	s_or_b64 s[22:23], s[22:23], s[4:5]
	s_or_b64 exec, exec, s[24:25]
	s_and_saveexec_b64 s[24:25], s[22:23]
	s_cbranch_execnz .LBB243_158
	s_branch .LBB243_159
.LBB243_357:                            ;   in Loop: Header=BB243_12 Depth=1
	v_cmp_eq_u16_sdwa s[30:31], v2, s28 src0_sel:BYTE_0 src1_sel:DWORD
	s_mov_b64 s[4:5], -1
                                        ; implicit-def: $sgpr26
	s_and_saveexec_b64 s[24:25], s[30:31]
; %bb.358:                              ;   in Loop: Header=BB243_12 Depth=1
	s_mov_b32 s26, 0x7fc02000
	s_xor_b64 s[4:5], exec, -1
; %bb.359:                              ;   in Loop: Header=BB243_12 Depth=1
	s_or_b64 exec, exec, s[24:25]
	s_and_b64 s[4:5], s[4:5], exec
	s_or_saveexec_b64 s[22:23], s[22:23]
	v_mov_b32_e32 v14, s26
	s_xor_b64 exec, exec, s[22:23]
	s_cbranch_execz .LBB243_161
.LBB243_360:                            ;   in Loop: Header=BB243_12 Depth=1
	v_cmp_ne_u16_sdwa s[24:25], v2, v5 src0_sel:BYTE_0 src1_sel:DWORD
	s_andn2_b64 s[4:5], s[4:5], exec
	s_and_b64 s[24:25], s[24:25], exec
	v_mov_b32_e32 v14, 0
	s_or_b64 s[4:5], s[4:5], s[24:25]
	s_or_b64 exec, exec, s[22:23]
	v_and_b32_e32 v4, 0xffff, v2
	s_and_saveexec_b64 s[22:23], s[4:5]
	s_cbranch_execnz .LBB243_162
	s_branch .LBB243_163
.LBB243_361:                            ;   in Loop: Header=BB243_12 Depth=1
	v_cmp_eq_u16_e64 s[4:5], s28, v4
	s_mov_b64 s[22:23], -1
                                        ; implicit-def: $sgpr30
	s_and_saveexec_b64 s[26:27], s[4:5]
; %bb.362:                              ;   in Loop: Header=BB243_12 Depth=1
	s_mov_b32 s30, 0x7fc02000
	s_xor_b64 s[22:23], exec, -1
; %bb.363:                              ;   in Loop: Header=BB243_12 Depth=1
	s_or_b64 exec, exec, s[26:27]
	s_and_b64 s[22:23], s[22:23], exec
	s_or_saveexec_b64 s[24:25], s[24:25]
	v_mov_b32_e32 v15, s30
	s_xor_b64 exec, exec, s[24:25]
	s_cbranch_execz .LBB243_165
.LBB243_364:                            ;   in Loop: Header=BB243_12 Depth=1
	v_cmp_ne_u16_e64 s[4:5], 0, v4
	s_andn2_b64 s[22:23], s[22:23], exec
	s_and_b64 s[4:5], s[4:5], exec
	v_mov_b32_e32 v15, 0
	s_or_b64 s[22:23], s[22:23], s[4:5]
	s_or_b64 exec, exec, s[24:25]
	s_and_saveexec_b64 s[24:25], s[22:23]
	s_cbranch_execnz .LBB243_166
	s_branch .LBB243_167
.LBB243_365:                            ;   in Loop: Header=BB243_12 Depth=1
	v_cmp_eq_u16_sdwa s[30:31], v4, s28 src0_sel:BYTE_0 src1_sel:DWORD
	s_mov_b64 s[4:5], -1
                                        ; implicit-def: $sgpr26
	s_and_saveexec_b64 s[24:25], s[30:31]
; %bb.366:                              ;   in Loop: Header=BB243_12 Depth=1
	s_mov_b32 s26, 0x7fc02000
	s_xor_b64 s[4:5], exec, -1
; %bb.367:                              ;   in Loop: Header=BB243_12 Depth=1
	s_or_b64 exec, exec, s[24:25]
	s_and_b64 s[4:5], s[4:5], exec
	s_or_saveexec_b64 s[22:23], s[22:23]
	v_mov_b32_e32 v2, s26
	s_xor_b64 exec, exec, s[22:23]
	s_cbranch_execz .LBB243_169
.LBB243_368:                            ;   in Loop: Header=BB243_12 Depth=1
	v_cmp_ne_u16_sdwa s[24:25], v4, v5 src0_sel:BYTE_0 src1_sel:DWORD
	s_andn2_b64 s[4:5], s[4:5], exec
	s_and_b64 s[24:25], s[24:25], exec
	v_mov_b32_e32 v2, 0
	s_or_b64 s[4:5], s[4:5], s[24:25]
	s_or_b64 exec, exec, s[22:23]
	v_and_b32_e32 v4, 0xffff, v4
	s_and_saveexec_b64 s[22:23], s[4:5]
	s_cbranch_execnz .LBB243_170
	s_branch .LBB243_171
.LBB243_369:                            ;   in Loop: Header=BB243_12 Depth=1
	v_cmp_eq_u16_e64 s[4:5], s28, v4
	s_mov_b64 s[22:23], -1
                                        ; implicit-def: $sgpr30
	s_and_saveexec_b64 s[26:27], s[4:5]
; %bb.370:                              ;   in Loop: Header=BB243_12 Depth=1
	s_mov_b32 s30, 0x7fc02000
	s_xor_b64 s[22:23], exec, -1
; %bb.371:                              ;   in Loop: Header=BB243_12 Depth=1
	s_or_b64 exec, exec, s[26:27]
	s_and_b64 s[22:23], s[22:23], exec
	s_or_saveexec_b64 s[24:25], s[24:25]
	v_mov_b32_e32 v36, s30
	s_xor_b64 exec, exec, s[24:25]
	s_cbranch_execz .LBB243_173
.LBB243_372:                            ;   in Loop: Header=BB243_12 Depth=1
	v_cmp_ne_u16_e64 s[4:5], 0, v4
	s_andn2_b64 s[22:23], s[22:23], exec
	s_and_b64 s[4:5], s[4:5], exec
	v_mov_b32_e32 v36, 0
	s_or_b64 s[22:23], s[22:23], s[4:5]
	s_or_b64 exec, exec, s[24:25]
	s_and_saveexec_b64 s[24:25], s[22:23]
	s_cbranch_execnz .LBB243_174
	s_branch .LBB243_175
.LBB243_373:                            ;   in Loop: Header=BB243_12 Depth=1
	v_cmp_eq_u16_sdwa s[30:31], v4, s28 src0_sel:BYTE_0 src1_sel:DWORD
	s_mov_b64 s[4:5], -1
                                        ; implicit-def: $sgpr26
	s_and_saveexec_b64 s[24:25], s[30:31]
; %bb.374:                              ;   in Loop: Header=BB243_12 Depth=1
	s_mov_b32 s26, 0x7fc02000
	s_xor_b64 s[4:5], exec, -1
; %bb.375:                              ;   in Loop: Header=BB243_12 Depth=1
	s_or_b64 exec, exec, s[24:25]
	s_and_b64 s[4:5], s[4:5], exec
	s_or_saveexec_b64 s[22:23], s[22:23]
	v_mov_b32_e32 v53, s26
	s_xor_b64 exec, exec, s[22:23]
	s_cbranch_execz .LBB243_177
.LBB243_376:                            ;   in Loop: Header=BB243_12 Depth=1
	v_cmp_ne_u16_sdwa s[24:25], v4, v5 src0_sel:BYTE_0 src1_sel:DWORD
	s_andn2_b64 s[4:5], s[4:5], exec
	s_and_b64 s[24:25], s[24:25], exec
	v_mov_b32_e32 v53, 0
	s_or_b64 s[4:5], s[4:5], s[24:25]
	s_or_b64 exec, exec, s[22:23]
	v_and_b32_e32 v4, 0xffff, v4
	s_and_saveexec_b64 s[22:23], s[4:5]
	s_cbranch_execnz .LBB243_178
	s_branch .LBB243_179
.LBB243_377:                            ;   in Loop: Header=BB243_12 Depth=1
	v_cmp_eq_u16_e64 s[4:5], s28, v4
	s_mov_b64 s[22:23], -1
                                        ; implicit-def: $sgpr30
	s_and_saveexec_b64 s[26:27], s[4:5]
; %bb.378:                              ;   in Loop: Header=BB243_12 Depth=1
	s_mov_b32 s30, 0x7fc02000
	s_xor_b64 s[22:23], exec, -1
; %bb.379:                              ;   in Loop: Header=BB243_12 Depth=1
	s_or_b64 exec, exec, s[26:27]
	s_and_b64 s[22:23], s[22:23], exec
	s_or_saveexec_b64 s[24:25], s[24:25]
	v_mov_b32_e32 v21, s30
	s_xor_b64 exec, exec, s[24:25]
	s_cbranch_execz .LBB243_181
.LBB243_380:                            ;   in Loop: Header=BB243_12 Depth=1
	v_cmp_ne_u16_e64 s[4:5], 0, v4
	s_andn2_b64 s[22:23], s[22:23], exec
	s_and_b64 s[4:5], s[4:5], exec
	v_mov_b32_e32 v21, 0
	s_or_b64 s[22:23], s[22:23], s[4:5]
	s_or_b64 exec, exec, s[24:25]
	s_and_saveexec_b64 s[24:25], s[22:23]
	s_cbranch_execnz .LBB243_182
	s_branch .LBB243_183
.LBB243_381:                            ;   in Loop: Header=BB243_12 Depth=1
	v_cmp_eq_u16_sdwa s[30:31], v4, s28 src0_sel:BYTE_0 src1_sel:DWORD
	s_mov_b64 s[4:5], -1
                                        ; implicit-def: $sgpr26
	s_and_saveexec_b64 s[24:25], s[30:31]
; %bb.382:                              ;   in Loop: Header=BB243_12 Depth=1
	s_mov_b32 s26, 0x7fc02000
	s_xor_b64 s[4:5], exec, -1
; %bb.383:                              ;   in Loop: Header=BB243_12 Depth=1
	s_or_b64 exec, exec, s[24:25]
	s_and_b64 s[4:5], s[4:5], exec
	s_or_saveexec_b64 s[22:23], s[22:23]
	v_mov_b32_e32 v20, s26
	s_xor_b64 exec, exec, s[22:23]
	s_cbranch_execz .LBB243_185
.LBB243_384:                            ;   in Loop: Header=BB243_12 Depth=1
	v_cmp_ne_u16_sdwa s[24:25], v4, v5 src0_sel:BYTE_0 src1_sel:DWORD
	s_andn2_b64 s[4:5], s[4:5], exec
	s_and_b64 s[24:25], s[24:25], exec
	v_mov_b32_e32 v20, 0
	s_or_b64 s[4:5], s[4:5], s[24:25]
	s_or_b64 exec, exec, s[22:23]
	v_and_b32_e32 v4, 0xffff, v4
	s_and_saveexec_b64 s[22:23], s[4:5]
	s_cbranch_execnz .LBB243_186
	s_branch .LBB243_187
.LBB243_385:                            ;   in Loop: Header=BB243_12 Depth=1
	v_cmp_eq_u16_e64 s[4:5], s28, v4
	s_mov_b64 s[22:23], -1
                                        ; implicit-def: $sgpr30
	s_and_saveexec_b64 s[26:27], s[4:5]
; %bb.386:                              ;   in Loop: Header=BB243_12 Depth=1
	s_mov_b32 s30, 0x7fc02000
	s_xor_b64 s[22:23], exec, -1
; %bb.387:                              ;   in Loop: Header=BB243_12 Depth=1
	s_or_b64 exec, exec, s[26:27]
	s_and_b64 s[22:23], s[22:23], exec
	s_or_saveexec_b64 s[24:25], s[24:25]
	v_mov_b32_e32 v43, s30
	s_xor_b64 exec, exec, s[24:25]
	s_cbranch_execz .LBB243_189
.LBB243_388:                            ;   in Loop: Header=BB243_12 Depth=1
	v_cmp_ne_u16_e64 s[4:5], 0, v4
	s_andn2_b64 s[22:23], s[22:23], exec
	s_and_b64 s[4:5], s[4:5], exec
	v_mov_b32_e32 v43, 0
	s_or_b64 s[22:23], s[22:23], s[4:5]
	s_or_b64 exec, exec, s[24:25]
	s_and_saveexec_b64 s[24:25], s[22:23]
	s_cbranch_execnz .LBB243_190
	s_branch .LBB243_191
.LBB243_389:                            ;   in Loop: Header=BB243_12 Depth=1
	v_cmp_eq_u16_sdwa s[30:31], v4, s28 src0_sel:BYTE_0 src1_sel:DWORD
	s_mov_b64 s[4:5], -1
                                        ; implicit-def: $sgpr26
	s_and_saveexec_b64 s[24:25], s[30:31]
; %bb.390:                              ;   in Loop: Header=BB243_12 Depth=1
	s_mov_b32 s26, 0x7fc02000
	s_xor_b64 s[4:5], exec, -1
; %bb.391:                              ;   in Loop: Header=BB243_12 Depth=1
	s_or_b64 exec, exec, s[24:25]
	s_and_b64 s[4:5], s[4:5], exec
	s_or_saveexec_b64 s[22:23], s[22:23]
	v_mov_b32_e32 v46, s26
	s_xor_b64 exec, exec, s[22:23]
	s_cbranch_execz .LBB243_193
.LBB243_392:                            ;   in Loop: Header=BB243_12 Depth=1
	v_cmp_ne_u16_sdwa s[24:25], v4, v5 src0_sel:BYTE_0 src1_sel:DWORD
	s_andn2_b64 s[4:5], s[4:5], exec
	s_and_b64 s[24:25], s[24:25], exec
	v_mov_b32_e32 v46, 0
	s_or_b64 s[4:5], s[4:5], s[24:25]
	s_or_b64 exec, exec, s[22:23]
	v_and_b32_e32 v4, 0xffff, v4
	s_and_saveexec_b64 s[22:23], s[4:5]
	s_cbranch_execnz .LBB243_194
	s_branch .LBB243_195
.LBB243_393:                            ;   in Loop: Header=BB243_12 Depth=1
	v_cmp_eq_u16_e64 s[4:5], s28, v4
	s_mov_b64 s[22:23], -1
                                        ; implicit-def: $sgpr30
	s_and_saveexec_b64 s[26:27], s[4:5]
; %bb.394:                              ;   in Loop: Header=BB243_12 Depth=1
	s_mov_b32 s30, 0x7fc02000
	s_xor_b64 s[22:23], exec, -1
; %bb.395:                              ;   in Loop: Header=BB243_12 Depth=1
	s_or_b64 exec, exec, s[26:27]
	s_and_b64 s[22:23], s[22:23], exec
	s_or_saveexec_b64 s[24:25], s[24:25]
	v_mov_b32_e32 v22, s30
	s_xor_b64 exec, exec, s[24:25]
	s_cbranch_execz .LBB243_197
.LBB243_396:                            ;   in Loop: Header=BB243_12 Depth=1
	v_cmp_ne_u16_e64 s[4:5], 0, v4
	s_andn2_b64 s[22:23], s[22:23], exec
	s_and_b64 s[4:5], s[4:5], exec
	v_mov_b32_e32 v22, 0
	s_or_b64 s[22:23], s[22:23], s[4:5]
	s_or_b64 exec, exec, s[24:25]
	s_and_saveexec_b64 s[24:25], s[22:23]
	s_cbranch_execnz .LBB243_198
	s_branch .LBB243_199
.LBB243_397:                            ;   in Loop: Header=BB243_12 Depth=1
	v_cmp_eq_u16_sdwa s[30:31], v4, s28 src0_sel:BYTE_0 src1_sel:DWORD
	s_mov_b64 s[4:5], -1
                                        ; implicit-def: $sgpr26
	s_and_saveexec_b64 s[24:25], s[30:31]
; %bb.398:                              ;   in Loop: Header=BB243_12 Depth=1
	s_mov_b32 s26, 0x7fc02000
	s_xor_b64 s[4:5], exec, -1
; %bb.399:                              ;   in Loop: Header=BB243_12 Depth=1
	s_or_b64 exec, exec, s[24:25]
	s_and_b64 s[4:5], s[4:5], exec
	s_or_saveexec_b64 s[22:23], s[22:23]
	v_mov_b32_e32 v34, s26
	s_xor_b64 exec, exec, s[22:23]
	s_cbranch_execz .LBB243_201
.LBB243_400:                            ;   in Loop: Header=BB243_12 Depth=1
	v_cmp_ne_u16_sdwa s[24:25], v4, v5 src0_sel:BYTE_0 src1_sel:DWORD
	s_andn2_b64 s[4:5], s[4:5], exec
	s_and_b64 s[24:25], s[24:25], exec
	v_mov_b32_e32 v34, 0
	s_or_b64 s[4:5], s[4:5], s[24:25]
	s_or_b64 exec, exec, s[22:23]
	v_and_b32_e32 v4, 0xffff, v4
	s_and_saveexec_b64 s[22:23], s[4:5]
	s_cbranch_execnz .LBB243_202
	s_branch .LBB243_203
.LBB243_401:
	s_or_b64 exec, exec, s[20:21]
	scratch_load_dword v7, off, s32 offset:144 ; 4-byte Folded Reload
	v_accvgpr_read_b32 v21, a19
	v_accvgpr_read_b32 v22, a24
	;; [unrolled: 1-line block ×8, first 2 shown]
.LBB243_402:
	s_or_b64 exec, exec, s[8:9]
	v_mbcnt_hi_u32_b32 v1, -1, v6
	v_and_b32_e32 v0, 64, v1
	v_add_u32_e32 v2, 64, v0
	v_xor_b32_e32 v0, 32, v1
	v_cmp_lt_i32_e32 vcc, v0, v2
	v_xor_b32_e32 v5, 16, v1
	s_waitcnt vmcnt(0)
	v_max_f32_e32 v4, v7, v7
	v_cndmask_b32_e32 v0, v1, v0, vcc
	v_lshlrev_b32_e32 v3, 2, v0
	ds_bpermute_b32 v0, v3, v7
	v_cmp_lt_i32_e32 vcc, v5, v2
	v_xor_b32_e32 v6, 8, v1
	v_and_b32_e32 v48, 63, v18
	s_waitcnt lgkmcnt(0)
	s_lshr_b32 s19, s19, 16
	v_max_f32_e32 v0, v0, v0
	v_max_f32_e32 v0, v4, v0
	v_cndmask_b32_e32 v4, v1, v5, vcc
	v_lshlrev_b32_e32 v4, 2, v4
	ds_bpermute_b32 v5, v4, v0
	v_cmp_lt_i32_e32 vcc, v6, v2
	s_waitcnt lgkmcnt(0)
	v_max_f32_e32 v5, v5, v5
	v_max_f32_e32 v0, v0, v5
	v_cndmask_b32_e32 v5, v1, v6, vcc
	v_lshlrev_b32_e32 v7, 2, v5
	ds_bpermute_b32 v5, v7, v0
	v_xor_b32_e32 v6, 4, v1
	v_cmp_lt_i32_e32 vcc, v6, v2
	s_waitcnt lgkmcnt(0)
	v_max_f32_e32 v5, v5, v5
	v_max_f32_e32 v0, v0, v5
	v_cndmask_b32_e32 v5, v1, v6, vcc
	v_lshlrev_b32_e32 v8, 2, v5
	ds_bpermute_b32 v6, v8, v0
	v_accvgpr_read_b32 v5, a12
	v_cmp_eq_u32_e32 vcc, 0, v48
	v_lshlrev_b32_e32 v5, 2, v5
	s_and_saveexec_b64 s[2:3], vcc
	s_cbranch_execz .LBB243_404
; %bb.403:
	s_waitcnt lgkmcnt(0)
	v_max_f32_e32 v6, v6, v6
	v_max_f32_e32 v0, v0, v0
	;; [unrolled: 1-line block ×3, first 2 shown]
	ds_write_b32 v5, v0 offset:384
.LBB243_404:
	s_or_b64 exec, exec, s[2:3]
	v_cmp_gt_u32_e64 s[2:3], 2, v48
	v_mov_b32_e32 v0, 0xff7fffff
	s_waitcnt lgkmcnt(0)
	v_lshlrev_b32_e32 v6, 2, v48
	s_barrier
	s_and_saveexec_b64 s[4:5], s[2:3]
	s_cbranch_execz .LBB243_406
; %bb.405:
	ds_read_b32 v0, v6 offset:384
.LBB243_406:
	s_or_b64 exec, exec, s[4:5]
	v_xor_b32_e32 v9, 1, v1
	v_cmp_lt_i32_e64 s[4:5], v9, v2
	v_lshlrev_b32_e32 v10, 2, v1
	v_accvgpr_read_b32 v12, a8
	v_cndmask_b32_e64 v9, v1, v9, s[4:5]
	v_lshlrev_b32_e32 v49, 2, v9
	s_waitcnt lgkmcnt(0)
	ds_bpermute_b32 v9, v49, v0
	v_max_f32_e32 v0, v0, v0
	v_mov_b32_e32 v11, 0
	s_waitcnt lgkmcnt(0)
	v_max_f32_e32 v9, v9, v9
	v_max_f32_e32 v0, v0, v9
	v_and_b32_e32 v9, 0x100, v10
	ds_bpermute_b32 v10, v9, v0
	v_accvgpr_read_b32 v0, a11
	v_lshlrev_b32_e32 v0, 4, v0
	v_min_i32_e32 v0, v0, v12
	v_cmp_lt_i32_e64 s[4:5], v18, v0
	s_and_saveexec_b64 s[8:9], s[4:5]
	s_cbranch_execz .LBB243_410
; %bb.407:
	s_ashr_i32 s17, s16, 31
	s_lshl_b64 s[6:7], s[16:17], 2
	s_getpc_b64 s[12:13]
	s_add_u32 s12, s12, llvm.amdgcn.dynlds.offset.table@rel32@lo+4
	s_addc_u32 s13, s13, llvm.amdgcn.dynlds.offset.table@rel32@hi+12
	s_add_u32 s6, s6, s12
	s_addc_u32 s7, s7, s13
	s_load_dword s6, s[6:7], 0x0
	s_mov_b64 s[12:13], 0
	v_mov_b32_e32 v11, 0
	v_mov_b32_e32 v13, v18
	s_waitcnt lgkmcnt(0)
	v_lshl_add_u32 v12, v18, 2, s6
.LBB243_408:                            ; =>This Inner Loop Header: Depth=1
	ds_read_b32 v14, v12
	v_add_u32_e32 v13, 0x80, v13
	v_cmp_ge_i32_e64 s[6:7], v13, v0
	s_or_b64 s[12:13], s[6:7], s[12:13]
	s_waitcnt lgkmcnt(0)
	v_sub_f32_e32 v14, v14, v10
	v_mul_f32_e32 v14, 0x3fb8aa3b, v14
	v_exp_f32_e32 v14, v14
	ds_write_b32 v12, v14
	v_add_f32_e32 v11, v11, v14
	v_add_u32_e32 v12, 0x200, v12
	s_andn2_b64 exec, exec, s[12:13]
	s_cbranch_execnz .LBB243_408
; %bb.409:
	s_or_b64 exec, exec, s[12:13]
.LBB243_410:
	s_or_b64 exec, exec, s[8:9]
	ds_bpermute_b32 v3, v3, v11
	s_waitcnt lgkmcnt(0)
	v_add_f32_e32 v3, v11, v3
	ds_bpermute_b32 v4, v4, v3
	s_waitcnt lgkmcnt(0)
	v_add_f32_e32 v3, v3, v4
	ds_bpermute_b32 v4, v7, v3
	v_xor_b32_e32 v7, 2, v1
	v_cmp_lt_i32_e64 s[6:7], v7, v2
	s_waitcnt lgkmcnt(0)
	v_add_f32_e32 v3, v3, v4
	ds_bpermute_b32 v4, v8, v3
	v_cndmask_b32_e64 v1, v1, v7, s[6:7]
	v_lshlrev_b32_e32 v1, 2, v1
	s_waitcnt lgkmcnt(0)
	v_add_f32_e32 v2, v3, v4
	ds_bpermute_b32 v1, v1, v2
	s_waitcnt lgkmcnt(0)
	v_add_f32_e32 v1, v2, v1
	ds_bpermute_b32 v2, v49, v1
	s_waitcnt lgkmcnt(0)
	v_add_f32_e32 v1, v1, v2
	s_and_saveexec_b64 s[6:7], vcc
	s_cbranch_execz .LBB243_412
; %bb.411:
	ds_write_b32 v5, v1 offset:392
.LBB243_412:
	s_or_b64 exec, exec, s[6:7]
	s_waitcnt lgkmcnt(0)
	s_barrier
	s_and_saveexec_b64 s[6:7], s[2:3]
	s_cbranch_execz .LBB243_414
; %bb.413:
	ds_read_b32 v1, v6 offset:392
.LBB243_414:
	s_or_b64 exec, exec, s[6:7]
	s_waitcnt lgkmcnt(0)
	ds_bpermute_b32 v2, v49, v1
	s_waitcnt lgkmcnt(0)
	v_add_f32_e32 v1, v1, v2
	ds_bpermute_b32 v1, v9, v1
	s_and_saveexec_b64 s[2:3], s[4:5]
	s_cbranch_execz .LBB243_427
; %bb.415:
	s_waitcnt lgkmcnt(0)
	v_add_f32_e32 v1, 0x358637bd, v1
	v_div_scale_f32 v2, s[4:5], v1, v1, 1.0
	v_rcp_f32_e32 v3, v2
	v_div_scale_f32 v4, vcc, 1.0, v1, 1.0
	s_movk_i32 s4, 0x7f
	v_fma_f32 v5, -v2, v3, 1.0
	v_fmac_f32_e32 v3, v5, v3
	v_mul_f32_e32 v5, v4, v3
	v_fma_f32 v6, -v2, v5, v4
	v_fmac_f32_e32 v5, v6, v3
	v_fma_f32 v2, -v2, v5, v4
	v_div_fmas_f32 v2, v2, v3, v5
	v_div_fixup_f32 v4, v2, v1, 1.0
	v_xad_u32 v2, v18, -1, v0
	v_cmp_lt_u32_e32 vcc, s4, v2
	s_mov_b64 s[6:7], -1
	v_mov_b32_e32 v1, v18
	s_and_saveexec_b64 s[4:5], vcc
	s_cbranch_execz .LBB243_424
; %bb.416:
	v_lshrrev_b32_e32 v1, 7, v2
	v_add_u32_e32 v3, -1, v1
	v_lshrrev_b32_e32 v2, 1, v3
	v_mov_b32_e32 v5, v4
	v_add_u32_e32 v2, 1, v2
	v_cmp_lt_u32_e32 vcc, 13, v3
	v_mov_b32_e32 v7, 0
	s_and_saveexec_b64 s[6:7], vcc
	s_cbranch_execz .LBB243_420
; %bb.417:
	s_ashr_i32 s17, s16, 31
	s_lshl_b64 s[8:9], s[16:17], 2
	s_getpc_b64 s[12:13]
	s_add_u32 s12, s12, llvm.amdgcn.dynlds.offset.table@rel32@lo+4
	s_addc_u32 s13, s13, llvm.amdgcn.dynlds.offset.table@rel32@hi+12
	s_add_u32 s8, s8, s12
	s_addc_u32 s9, s9, s13
	s_load_dword s8, s[8:9], 0x0
	v_and_b32_e32 v3, -8, v2
	s_mov_b32 s12, 0
	s_waitcnt lgkmcnt(0)
	v_lshl_add_u32 v6, v18, 2, s8
	s_mov_b64 s[8:9], 0
.LBB243_418:                            ; =>This Inner Loop Header: Depth=1
	ds_read2st64_b32 v[8:9], v6 offset1:2
	ds_read2st64_b32 v[10:11], v6 offset0:4 offset1:6
	ds_read2st64_b32 v[12:13], v6 offset0:8 offset1:10
	;; [unrolled: 1-line block ×3, first 2 shown]
	v_add_u32_e32 v3, -8, v3
	s_waitcnt lgkmcnt(3)
	v_pk_mul_f32 v[8:9], v[4:5], v[8:9]
	s_waitcnt lgkmcnt(2)
	v_pk_mul_f32 v[10:11], v[4:5], v[10:11]
	ds_write2st64_b32 v6, v8, v9 offset1:2
	ds_write2st64_b32 v6, v10, v11 offset0:4 offset1:6
	ds_read2st64_b32 v[10:11], v6 offset0:16 offset1:18
	s_waitcnt lgkmcnt(4)
	v_pk_mul_f32 v[8:9], v[4:5], v[12:13]
	ds_write2st64_b32 v6, v8, v9 offset0:8 offset1:10
	s_waitcnt lgkmcnt(4)
	v_pk_mul_f32 v[8:9], v[4:5], v[14:15]
	ds_write2st64_b32 v6, v8, v9 offset0:12 offset1:14
	ds_read2st64_b32 v[8:9], v6 offset0:20 offset1:22
	s_waitcnt lgkmcnt(3)
	v_pk_mul_f32 v[10:11], v[4:5], v[10:11]
	ds_read2st64_b32 v[12:13], v6 offset0:24 offset1:26
	ds_write2st64_b32 v6, v10, v11 offset0:16 offset1:18
	ds_read2st64_b32 v[10:11], v6 offset0:28 offset1:30
	s_waitcnt lgkmcnt(3)
	v_pk_mul_f32 v[8:9], v[4:5], v[8:9]
	ds_write2st64_b32 v6, v8, v9 offset0:20 offset1:22
	s_waitcnt lgkmcnt(3)
	v_pk_mul_f32 v[8:9], v[4:5], v[12:13]
	ds_write2st64_b32 v6, v8, v9 offset0:24 offset1:26
	s_waitcnt lgkmcnt(2)
	v_pk_mul_f32 v[8:9], v[4:5], v[10:11]
	s_add_i32 s12, s12, 16
	v_cmp_eq_u32_e32 vcc, 0, v3
	ds_write2st64_b32 v6, v8, v9 offset0:28 offset1:30
	v_add_u32_e32 v6, 0x2000, v6
	s_or_b64 s[8:9], vcc, s[8:9]
	v_mov_b32_e32 v7, s12
	s_andn2_b64 exec, exec, s[8:9]
	s_cbranch_execnz .LBB243_418
; %bb.419:
	s_or_b64 exec, exec, s[8:9]
.LBB243_420:
	s_or_b64 exec, exec, s[6:7]
	v_and_b32_e32 v2, 7, v2
	v_cmp_ne_u32_e32 vcc, 0, v2
	s_and_saveexec_b64 s[6:7], vcc
	s_cbranch_execz .LBB243_423
; %bb.421:
	s_ashr_i32 s17, s16, 31
	s_lshl_b64 s[8:9], s[16:17], 2
	s_getpc_b64 s[12:13]
	s_add_u32 s12, s12, llvm.amdgcn.dynlds.offset.table@rel32@lo+4
	s_addc_u32 s13, s13, llvm.amdgcn.dynlds.offset.table@rel32@hi+12
	s_add_u32 s8, s8, s12
	s_addc_u32 s9, s9, s13
	s_load_dword s8, s[8:9], 0x0
	v_lshlrev_b32_e32 v3, 9, v7
	v_lshlrev_b32_e32 v6, 2, v18
	s_waitcnt lgkmcnt(0)
	v_add3_u32 v3, v3, v6, s8
	s_mov_b64 s[8:9], 0
.LBB243_422:                            ; =>This Inner Loop Header: Depth=1
	ds_read2st64_b32 v[6:7], v3 offset1:2
	v_add_u32_e32 v2, -1, v2
	v_cmp_eq_u32_e32 vcc, 0, v2
	s_or_b64 s[8:9], vcc, s[8:9]
	s_waitcnt lgkmcnt(0)
	v_pk_mul_f32 v[6:7], v[4:5], v[6:7]
	ds_write2st64_b32 v3, v6, v7 offset1:2
	v_add_u32_e32 v3, 0x400, v3
	s_andn2_b64 exec, exec, s[8:9]
	s_cbranch_execnz .LBB243_422
.LBB243_423:
	s_or_b64 exec, exec, s[6:7]
	v_add_u32_e32 v2, 1, v1
	v_and_b32_e32 v3, 0x3fffffe, v2
	v_cmp_ne_u32_e32 vcc, v2, v3
	v_lshl_add_u32 v1, v3, 7, v18
	s_orn2_b64 s[6:7], vcc, exec
.LBB243_424:
	s_or_b64 exec, exec, s[4:5]
	s_and_b64 exec, exec, s[6:7]
	s_cbranch_execz .LBB243_427
; %bb.425:
	s_ashr_i32 s17, s16, 31
	s_lshl_b64 s[4:5], s[16:17], 2
	s_getpc_b64 s[6:7]
	s_add_u32 s6, s6, llvm.amdgcn.dynlds.offset.table@rel32@lo+4
	s_addc_u32 s7, s7, llvm.amdgcn.dynlds.offset.table@rel32@hi+12
	s_add_u32 s4, s4, s6
	s_addc_u32 s5, s5, s7
	s_load_dword s4, s[4:5], 0x0
	s_waitcnt lgkmcnt(0)
	v_lshl_add_u32 v2, v1, 2, s4
	s_mov_b64 s[4:5], 0
.LBB243_426:                            ; =>This Inner Loop Header: Depth=1
	ds_read_b32 v3, v2
	v_add_u32_e32 v1, 0x80, v1
	v_cmp_ge_i32_e32 vcc, v1, v0
	s_or_b64 s[4:5], vcc, s[4:5]
	s_waitcnt lgkmcnt(0)
	v_mul_f32_e32 v3, v4, v3
	ds_write_b32 v2, v3
	v_add_u32_e32 v2, 0x200, v2
	s_andn2_b64 exec, exec, s[4:5]
	s_cbranch_execnz .LBB243_426
.LBB243_427:
	s_or_b64 exec, exec, s[2:3]
	s_mov_b32 s4, 0
	v_mov_b32_e32 v17, 0
	v_and_b32_e32 v50, 1, v18
	v_mov_b32_e32 v16, 0
	v_mov_b32_e32 v15, 0
	;; [unrolled: 1-line block ×5, first 2 shown]
	s_waitcnt lgkmcnt(0)
	s_barrier
	s_and_saveexec_b64 s[2:3], s[0:1]
	s_cbranch_execz .LBB243_829
; %bb.428:
	v_max_i32_e32 v51, v26, v19
	v_cvt_f32_u32_e32 v2, v51
	v_lshlrev_b32_e32 v4, 3, v18
	v_lshl_add_u64 v[0:1], v[20:21], 0, v[22:23]
	v_mov_b32_e32 v5, 0
	v_rcp_iflag_f32_e32 v2, v2
	v_and_b32_e32 v52, 8, v4
	v_and_b32_e32 v4, 0x1f8, v4
	s_ashr_i32 s17, s16, 31
	v_mul_f32_e32 v2, 0x4f7ffffe, v2
	v_cvt_u32_f32_e32 v2, v2
	v_lshl_add_u64 v[8:9], v[0:1], 0, v[4:5]
	v_lshlrev_b32_e32 v0, 5, v50
	v_accvgpr_read_b32 v1, a12
	s_lshl_b64 s[0:1], s[16:17], 2
	v_lshl_or_b32 v53, v1, 6, v0
	v_accvgpr_read_b32 v0, a22
	v_sub_u32_e32 v6, 0, v51
	s_getpc_b64 s[6:7]
	s_add_u32 s6, s6, llvm.amdgcn.dynlds.offset.table@rel32@lo+4
	s_addc_u32 s7, s7, llvm.amdgcn.dynlds.offset.table@rel32@hi+12
	v_and_b32_e32 v4, 60, v0
	v_accvgpr_read_b32 v0, a20
	v_mul_lo_u32 v6, v6, v2
	s_add_u32 s12, s0, s6
	v_accvgpr_read_b32 v1, a21
	v_accvgpr_read_b32 v10, a16
	s_mov_b32 s8, s4
	s_mov_b32 s9, s4
	v_accvgpr_read_b32 v3, a11
	v_mul_hi_u32 v6, v2, v6
	s_addc_u32 s13, s1, s7
	v_lshl_add_u64 v[0:1], v[0:1], 2, v[4:5]
	v_accvgpr_read_b32 v11, a17
	s_mov_b32 s5, s4
	s_mov_b32 s6, s4
	;; [unrolled: 1-line block ×3, first 2 shown]
	v_mov_b64_e32 v[16:17], s[8:9]
	v_mov_b32_e32 v38, v18
	v_add_u32_e32 v7, -1, v3
	v_accvgpr_read_b32 v3, a8
	v_add_u32_e32 v6, v2, v6
	v_lshl_add_u64 v[10:11], v[10:11], 0, v[0:1]
	s_mov_b64 s[20:21], 0
	v_mov_b64_e32 v[14:15], s[6:7]
	v_mov_b64_e32 v[12:13], s[4:5]
	s_movk_i32 s17, 0x7f
	s_movk_i32 s24, 0x80
	s_mov_b32 s25, 0x8000
	s_movk_i32 s26, 0x380
	s_mov_b32 s27, 0x3020706
	s_mov_b32 s28, 0x1000504
	;; [unrolled: 1-line block ×3, first 2 shown]
	v_mov_b32_e32 v54, 0x1c00
	v_accvgpr_read_b32 v2, a14
	s_branch .LBB243_431
.LBB243_429:                            ;   in Loop: Header=BB243_431 Depth=1
	s_or_b64 exec, exec, s[0:1]
	v_add_f32_e32 v0, v0, v1
	v_add_f32_e32 v13, v13, v0
	;; [unrolled: 1-line block ×8, first 2 shown]
	;;#ASMSTART
	v_pk_mul_f16 v0, v58, v24;

	;;#ASMEND
	;;#ASMSTART
	v_pk_mul_f16 v1, v57, v4;

	;;#ASMEND
	;; [unrolled: 4-line block ×4, first 2 shown]
	v_add_f32_e32 v19, v59, v60
	;;#ASMSTART
	v_pk_add_f16 v0, v0, v1;

	;;#ASMEND
	v_add_f32_e32 v12, v12, v19
	;;#ASMSTART
	v_pk_add_f16 v0, v0, v2;

	;;#ASMEND
	s_nop 0
	;;#ASMSTART
	v_pk_add_f16 v0, v0, v4;

	;;#ASMEND
	s_nop 0
	v_lshrrev_b32_e32 v1, 16, v0
	v_and_b32_e32 v0, 0xffff, v0
	;;#ASMSTART
	v_cvt_f32_f16 v0, v0;
	;;#ASMEND
	;;#ASMSTART
	v_cvt_f32_f16 v1, v1;
	;;#ASMEND
	s_nop 0
	v_add_f32_e32 v0, v0, v1
	v_add_f32_e32 v17, v17, v0
.LBB243_430:                            ;   in Loop: Header=BB243_431 Depth=1
	s_or_b64 exec, exec, s[4:5]
	v_accvgpr_read_b32 v1, a12
	v_add_u32_e32 v1, 2, v1
	v_accvgpr_read_b32 v0, a11
	v_mov_b32_e32 v2, v39
	v_cmp_ge_i32_e32 vcc, v1, v0
	v_add_u32_e32 v2, 32, v2
	v_add_u32_e32 v53, 0x80, v53
	v_accvgpr_write_b32 a12, v1
	s_or_b64 s[20:21], vcc, s[20:21]
	v_lshl_add_u64 v[10:11], v[10:11], 0, 8
	s_andn2_b64 exec, exec, s[20:21]
	s_cbranch_execz .LBB243_828
.LBB243_431:                            ; =>This Inner Loop Header: Depth=1
	v_accvgpr_read_b32 v0, a7
	v_mul_hi_u32 v0, v2, v0
	v_accvgpr_read_b32 v4, a3
	v_mul_lo_u32 v1, v0, v4
	v_sub_u32_e32 v1, v2, v1
	v_mov_b32_e32 v39, v2
	v_add_u32_e32 v2, 1, v0
	v_cmp_ge_u32_e32 vcc, v1, v4
	s_nop 1
	v_cndmask_b32_e32 v0, v0, v2, vcc
	v_sub_u32_e32 v2, v1, v4
	v_cndmask_b32_e32 v1, v1, v2, vcc
	v_add_u32_e32 v2, 1, v0
	v_cmp_ge_u32_e32 vcc, v1, v4
	v_accvgpr_read_b32 v1, a9
	s_nop 0
	v_cndmask_b32_e32 v0, v0, v2, vcc
	v_xor_b32_e32 v0, v0, v1
	v_sub_u32_e32 v0, v0, v1
	v_accvgpr_read_b32 v2, a10
	v_add_u32_e32 v1, v0, v2
	v_sub_u32_e32 v4, 0, v1
	v_ashrrev_i32_e32 v2, 31, v1
	v_max_i32_e32 v1, v1, v4
	v_mul_hi_u32 v4, v1, v6
	v_mul_lo_u32 v4, v4, v51
	v_sub_u32_e32 v1, v1, v4
	v_sub_u32_e32 v4, v1, v51
	v_cmp_ge_u32_e32 vcc, v1, v51
	s_nop 1
	v_cndmask_b32_e32 v1, v1, v4, vcc
	v_sub_u32_e32 v4, v1, v51
	v_cmp_ge_u32_e32 vcc, v1, v51
	s_nop 1
	v_cndmask_b32_e32 v1, v1, v4, vcc
	v_xor_b32_e32 v1, v1, v2
	v_sub_u32_e32 v1, v1, v2
	v_cmp_eq_u32_e32 vcc, 0, v1
	v_accvgpr_read_b32 v1, a13
	v_cmp_gt_i32_e64 s[0:1], v0, v1
	s_or_b64 s[0:1], vcc, s[0:1]
	s_and_saveexec_b64 s[4:5], s[0:1]
	s_cbranch_execz .LBB243_430
; %bb.432:                              ;   in Loop: Header=BB243_431 Depth=1
	s_load_dword s0, s[12:13], 0x0
                                        ; implicit-def: $sgpr22
	s_waitcnt lgkmcnt(0)
	v_add_u32_e32 v0, s0, v53
	ds_read2_b64 v[20:23], v0 offset1:1
	ds_read2_b64 v[26:29], v0 offset0:2 offset1:3
	s_waitcnt lgkmcnt(1)
	;;#ASMSTART
	v_cvt_f16_f32 v0, v20;

	;;#ASMEND
	;;#ASMSTART
	v_cvt_f16_f32 v1, v21;

	;;#ASMEND
	;; [unrolled: 4-line block ×4, first 2 shown]
	s_waitcnt lgkmcnt(0)
	;;#ASMSTART
	v_cvt_f16_f32 v25, v26;

	;;#ASMEND
	;;#ASMSTART
	v_cvt_f16_f32 v30, v27;

	;;#ASMEND
	;; [unrolled: 4-line block ×4, first 2 shown]
	flat_load_dword v4, v[10:11]
	v_accvgpr_read_b32 v20, a6
	v_accvgpr_read_b32 v23, a5
	;; [unrolled: 1-line block ×3, first 2 shown]
	flat_load_dword v24, v[22:23]
	s_waitcnt vmcnt(0) lgkmcnt(0)
	v_mad_i64_i32 v[20:21], s[0:1], v4, v20, v[8:9]
	flat_load_dwordx2 v[26:27], v[20:21]
	s_mov_b64 s[0:1], 0
	s_waitcnt vmcnt(0) lgkmcnt(0)
	v_cmp_gt_i16_sdwa s[6:7], v26, s17 src0_sel:BYTE_0 src1_sel:DWORD
	s_and_saveexec_b64 s[8:9], s[6:7]
	s_xor_b64 s[6:7], exec, s[8:9]
	s_cbranch_execnz .LBB243_636
; %bb.433:                              ;   in Loop: Header=BB243_431 Depth=1
	s_or_saveexec_b64 s[6:7], s[6:7]
	v_mov_b32_e32 v28, s22
	s_xor_b64 exec, exec, s[6:7]
	s_cbranch_execnz .LBB243_639
.LBB243_434:                            ;   in Loop: Header=BB243_431 Depth=1
	s_or_b64 exec, exec, s[6:7]
	s_and_saveexec_b64 s[6:7], s[0:1]
	s_cbranch_execz .LBB243_436
.LBB243_435:                            ;   in Loop: Header=BB243_431 Depth=1
	v_and_b32_e32 v4, 7, v26
	v_ffbh_u32_e32 v4, v4
	v_bfe_u32 v19, v26, 3, 4
	v_min_u32_e32 v4, 32, v4
	v_subrev_u32_e32 v22, 28, v4
	v_sub_u32_e32 v4, 29, v4
	v_cmp_eq_u32_e32 vcc, 0, v19
	s_nop 1
	v_cndmask_b32_e32 v4, v19, v4, vcc
	v_cndmask_b32_e32 v19, 0, v22, vcc
	v_lshlrev_b64 v[22:23], v19, v[26:27]
	v_lshlrev_b32_e32 v19, 7, v22
	v_lshlrev_b32_e32 v22, 8, v26
	v_lshl_add_u32 v4, v4, 10, v54
	v_and_or_b32 v4, v22, s25, v4
	v_and_or_b32 v4, v19, s26, v4
	v_cvt_f32_f16_e32 v28, v4
.LBB243_436:                            ;   in Loop: Header=BB243_431 Depth=1
	s_or_b64 exec, exec, s[6:7]
	v_lshrrev_b16_e32 v4, 8, v26
	v_cmp_lt_i16_e32 vcc, s17, v4
	s_mov_b64 s[0:1], 0
                                        ; implicit-def: $sgpr22
	s_and_saveexec_b64 s[6:7], vcc
	s_xor_b64 s[6:7], exec, s[6:7]
	s_cbranch_execnz .LBB243_640
; %bb.437:                              ;   in Loop: Header=BB243_431 Depth=1
	s_or_saveexec_b64 s[6:7], s[6:7]
	v_mov_b32_e32 v34, s22
	s_xor_b64 exec, exec, s[6:7]
	s_cbranch_execnz .LBB243_643
.LBB243_438:                            ;   in Loop: Header=BB243_431 Depth=1
	s_or_b64 exec, exec, s[6:7]
	s_and_saveexec_b64 s[6:7], s[0:1]
	s_cbranch_execz .LBB243_440
.LBB243_439:                            ;   in Loop: Header=BB243_431 Depth=1
	v_and_b32_e32 v19, 7, v4
	v_ffbh_u32_e32 v22, v19
	v_min_u32_e32 v31, 32, v22
	v_subrev_u32_e32 v22, 28, v31
	v_bfe_u32 v29, v4, 3, 4
	v_lshlrev_b64 v[22:23], v22, v[4:5]
	v_sub_u32_e32 v23, 29, v31
	v_cmp_eq_u32_e32 vcc, 0, v29
	v_and_b32_e32 v22, 7, v22
	v_lshlrev_b32_e32 v4, 8, v4
	v_cndmask_b32_e32 v23, v29, v23, vcc
	v_cndmask_b32_e32 v19, v19, v22, vcc
	v_lshl_add_u32 v22, v23, 10, v54
	v_and_or_b32 v4, v4, s25, v22
	v_lshl_or_b32 v4, v19, 7, v4
	v_cvt_f32_f16_e32 v34, v4
.LBB243_440:                            ;   in Loop: Header=BB243_431 Depth=1
	s_or_b64 exec, exec, s[6:7]
	v_lshrrev_b32_e32 v4, 16, v26
	v_cmp_gt_i16_sdwa s[6:7], v4, s17 src0_sel:BYTE_0 src1_sel:DWORD
	s_mov_b64 s[0:1], 0
                                        ; implicit-def: $sgpr22
	s_and_saveexec_b64 s[8:9], s[6:7]
	s_xor_b64 s[6:7], exec, s[8:9]
	s_cbranch_execnz .LBB243_644
; %bb.441:                              ;   in Loop: Header=BB243_431 Depth=1
	s_or_saveexec_b64 s[6:7], s[6:7]
	v_mov_b32_e32 v29, s22
	s_xor_b64 exec, exec, s[6:7]
	s_cbranch_execnz .LBB243_647
.LBB243_442:                            ;   in Loop: Header=BB243_431 Depth=1
	s_or_b64 exec, exec, s[6:7]
	s_and_saveexec_b64 s[6:7], s[0:1]
	s_cbranch_execz .LBB243_444
.LBB243_443:                            ;   in Loop: Header=BB243_431 Depth=1
	v_bfe_u32 v19, v26, 16, 3
	v_ffbh_u32_e32 v22, v19
	v_min_u32_e32 v31, 32, v22
	v_subrev_u32_e32 v22, 28, v31
	v_bfe_u32 v29, v26, 19, 4
	v_lshlrev_b64 v[22:23], v22, v[4:5]
	v_sub_u32_e32 v23, 29, v31
	v_cmp_eq_u32_e32 vcc, 0, v29
	v_and_b32_e32 v22, 7, v22
	v_lshlrev_b32_e32 v4, 8, v4
	v_cndmask_b32_e32 v23, v29, v23, vcc
	v_cndmask_b32_e32 v19, v19, v22, vcc
	v_lshl_add_u32 v22, v23, 10, v54
	v_and_or_b32 v4, v4, s25, v22
	v_lshl_or_b32 v4, v19, 7, v4
	v_cvt_f32_f16_e32 v29, v4
.LBB243_444:                            ;   in Loop: Header=BB243_431 Depth=1
	s_or_b64 exec, exec, s[6:7]
	v_lshrrev_b32_e32 v4, 24, v26
	v_cmp_lt_i16_e32 vcc, s17, v4
	s_mov_b64 s[0:1], 0
                                        ; implicit-def: $sgpr22
	s_and_saveexec_b64 s[6:7], vcc
	s_xor_b64 s[6:7], exec, s[6:7]
	s_cbranch_execnz .LBB243_648
; %bb.445:                              ;   in Loop: Header=BB243_431 Depth=1
	s_or_saveexec_b64 s[6:7], s[6:7]
	v_mov_b32_e32 v35, s22
	s_xor_b64 exec, exec, s[6:7]
	s_cbranch_execnz .LBB243_651
.LBB243_446:                            ;   in Loop: Header=BB243_431 Depth=1
	s_or_b64 exec, exec, s[6:7]
	s_and_saveexec_b64 s[6:7], s[0:1]
	s_cbranch_execz .LBB243_448
.LBB243_447:                            ;   in Loop: Header=BB243_431 Depth=1
	v_bfe_u32 v19, v26, 24, 3
	v_ffbh_u32_e32 v22, v19
	v_min_u32_e32 v31, 32, v22
	v_subrev_u32_e32 v22, 28, v31
	v_bfe_u32 v26, v26, 27, 4
	v_lshlrev_b64 v[22:23], v22, v[4:5]
	v_sub_u32_e32 v23, 29, v31
	v_cmp_eq_u32_e32 vcc, 0, v26
	v_and_b32_e32 v22, 7, v22
	v_lshlrev_b32_e32 v4, 8, v4
	v_cndmask_b32_e32 v23, v26, v23, vcc
	v_cndmask_b32_e32 v19, v19, v22, vcc
	v_lshl_add_u32 v22, v23, 10, v54
	v_and_or_b32 v4, v4, s25, v22
	v_lshl_or_b32 v4, v19, 7, v4
	v_cvt_f32_f16_e32 v35, v4
.LBB243_448:                            ;   in Loop: Header=BB243_431 Depth=1
	s_or_b64 exec, exec, s[6:7]
	v_cmp_gt_i16_sdwa s[6:7], v27, s17 src0_sel:BYTE_0 src1_sel:DWORD
	s_mov_b64 s[0:1], 0
                                        ; implicit-def: $sgpr22
	s_and_saveexec_b64 s[8:9], s[6:7]
	s_xor_b64 s[6:7], exec, s[8:9]
	s_cbranch_execnz .LBB243_652
; %bb.449:                              ;   in Loop: Header=BB243_431 Depth=1
	s_or_saveexec_b64 s[6:7], s[6:7]
	v_mov_b32_e32 v22, s22
	s_xor_b64 exec, exec, s[6:7]
	s_cbranch_execnz .LBB243_655
.LBB243_450:                            ;   in Loop: Header=BB243_431 Depth=1
	s_or_b64 exec, exec, s[6:7]
	v_mov_b32_e32 v4, v27
	s_and_saveexec_b64 s[6:7], s[0:1]
	s_cbranch_execz .LBB243_452
.LBB243_451:                            ;   in Loop: Header=BB243_431 Depth=1
	v_and_b32_e32 v19, 7, v27
	v_ffbh_u32_e32 v19, v19
	v_bfe_u32 v22, v27, 3, 4
	v_min_u32_e32 v19, 32, v19
	v_subrev_u32_e32 v23, 28, v19
	v_sub_u32_e32 v19, 29, v19
	v_cmp_eq_u32_e32 vcc, 0, v22
	s_nop 1
	v_cndmask_b32_e32 v19, v22, v19, vcc
	v_cndmask_b32_e32 v22, 0, v23, vcc
	v_lshlrev_b64 v[22:23], v22, v[4:5]
	v_lshlrev_b32_e32 v23, 8, v27
	v_lshl_add_u32 v19, v19, 10, v54
	v_lshlrev_b32_e32 v22, 7, v22
	v_and_or_b32 v19, v23, s25, v19
	v_and_or_b32 v19, v22, s26, v19
	v_cvt_f32_f16_e32 v22, v19
.LBB243_452:                            ;   in Loop: Header=BB243_431 Depth=1
	s_or_b64 exec, exec, s[6:7]
	v_lshrrev_b16_e32 v4, 8, v4
	v_cmp_lt_i16_e32 vcc, s17, v4
	s_mov_b64 s[0:1], 0
                                        ; implicit-def: $sgpr22
	s_and_saveexec_b64 s[6:7], vcc
	s_xor_b64 s[6:7], exec, s[6:7]
	s_cbranch_execnz .LBB243_656
; %bb.453:                              ;   in Loop: Header=BB243_431 Depth=1
	s_or_saveexec_b64 s[6:7], s[6:7]
	v_mov_b32_e32 v23, s22
	s_xor_b64 exec, exec, s[6:7]
	s_cbranch_execnz .LBB243_659
.LBB243_454:                            ;   in Loop: Header=BB243_431 Depth=1
	s_or_b64 exec, exec, s[6:7]
	s_and_saveexec_b64 s[6:7], s[0:1]
	s_cbranch_execz .LBB243_456
.LBB243_455:                            ;   in Loop: Header=BB243_431 Depth=1
	v_and_b32_e32 v19, 7, v4
	v_ffbh_u32_e32 v26, v19
	v_bfe_u32 v23, v4, 3, 4
	v_min_u32_e32 v26, 32, v26
	v_subrev_u32_e32 v31, 28, v26
	v_sub_u32_e32 v26, 29, v26
	v_cmp_eq_u32_e32 vcc, 0, v23
	v_lshlrev_b64 v[40:41], v31, v[4:5]
	v_and_b32_e32 v31, 7, v40
	v_cndmask_b32_e32 v23, v23, v26, vcc
	v_lshlrev_b32_e32 v4, 8, v4
	v_lshl_add_u32 v23, v23, 10, v54
	v_cndmask_b32_e32 v19, v19, v31, vcc
	v_and_or_b32 v4, v4, s25, v23
	v_lshl_or_b32 v4, v19, 7, v4
	v_cvt_f32_f16_e32 v23, v4
.LBB243_456:                            ;   in Loop: Header=BB243_431 Depth=1
	s_or_b64 exec, exec, s[6:7]
	v_lshrrev_b32_e32 v4, 16, v27
	v_cmp_gt_i16_sdwa s[6:7], v4, s17 src0_sel:BYTE_0 src1_sel:DWORD
	s_mov_b64 s[0:1], 0
                                        ; implicit-def: $sgpr22
	s_and_saveexec_b64 s[8:9], s[6:7]
	s_xor_b64 s[6:7], exec, s[8:9]
	s_cbranch_execnz .LBB243_660
; %bb.457:                              ;   in Loop: Header=BB243_431 Depth=1
	s_or_saveexec_b64 s[6:7], s[6:7]
	v_mov_b32_e32 v26, s22
	s_xor_b64 exec, exec, s[6:7]
	s_cbranch_execnz .LBB243_663
.LBB243_458:                            ;   in Loop: Header=BB243_431 Depth=1
	s_or_b64 exec, exec, s[6:7]
	s_and_saveexec_b64 s[6:7], s[0:1]
	s_cbranch_execz .LBB243_460
.LBB243_459:                            ;   in Loop: Header=BB243_431 Depth=1
	v_bfe_u32 v19, v27, 16, 3
	v_ffbh_u32_e32 v31, v19
	v_bfe_u32 v26, v27, 19, 4
	v_min_u32_e32 v31, 32, v31
	v_subrev_u32_e32 v32, 28, v31
	v_sub_u32_e32 v31, 29, v31
	v_cmp_eq_u32_e32 vcc, 0, v26
	v_lshlrev_b64 v[40:41], v32, v[4:5]
	v_and_b32_e32 v32, 7, v40
	v_cndmask_b32_e32 v26, v26, v31, vcc
	v_lshlrev_b32_e32 v4, 8, v4
	v_lshl_add_u32 v26, v26, 10, v54
	v_cndmask_b32_e32 v19, v19, v32, vcc
	v_and_or_b32 v4, v4, s25, v26
	v_lshl_or_b32 v4, v19, 7, v4
	v_cvt_f32_f16_e32 v26, v4
.LBB243_460:                            ;   in Loop: Header=BB243_431 Depth=1
	s_or_b64 exec, exec, s[6:7]
	v_lshrrev_b32_e32 v4, 24, v27
	v_cmp_lt_i16_e32 vcc, s17, v4
	s_mov_b64 s[0:1], 0
                                        ; implicit-def: $sgpr22
	s_and_saveexec_b64 s[6:7], vcc
	s_xor_b64 s[6:7], exec, s[6:7]
	s_cbranch_execnz .LBB243_664
; %bb.461:                              ;   in Loop: Header=BB243_431 Depth=1
	s_or_saveexec_b64 s[6:7], s[6:7]
	v_mov_b32_e32 v31, s22
	s_xor_b64 exec, exec, s[6:7]
	s_cbranch_execnz .LBB243_667
.LBB243_462:                            ;   in Loop: Header=BB243_431 Depth=1
	s_or_b64 exec, exec, s[6:7]
	s_and_saveexec_b64 s[6:7], s[0:1]
	s_cbranch_execz .LBB243_464
.LBB243_463:                            ;   in Loop: Header=BB243_431 Depth=1
	v_bfe_u32 v19, v27, 24, 3
	v_ffbh_u32_e32 v31, v19
	v_bfe_u32 v27, v27, 27, 4
	v_min_u32_e32 v31, 32, v31
	v_subrev_u32_e32 v32, 28, v31
	v_sub_u32_e32 v31, 29, v31
	v_cmp_eq_u32_e32 vcc, 0, v27
	v_lshlrev_b64 v[40:41], v32, v[4:5]
	v_and_b32_e32 v32, 7, v40
	v_cndmask_b32_e32 v27, v27, v31, vcc
	v_lshlrev_b32_e32 v4, 8, v4
	v_lshl_add_u32 v27, v27, 10, v54
	v_cndmask_b32_e32 v19, v19, v32, vcc
	v_and_or_b32 v4, v4, s25, v27
	v_lshl_or_b32 v4, v19, 7, v4
	v_cvt_f32_f16_e32 v31, v4
.LBB243_464:                            ;   in Loop: Header=BB243_431 Depth=1
	s_or_b64 exec, exec, s[6:7]
	v_pk_mul_f32 v[34:35], v[24:25], v[34:35] op_sel_hi:[0,1]
	v_pk_mul_f32 v[28:29], v[24:25], v[28:29] op_sel_hi:[0,1]
	v_cvt_f16_f32_e32 v4, v35
	v_cvt_f16_f32_e32 v19, v34
	;; [unrolled: 1-line block ×4, first 2 shown]
	v_fma_mixlo_f16 v22, v24, v22, 0
	v_pack_b32_f16 v19, v19, v4
	v_mov_b32_e32 v29, v39
	v_pack_b32_f16 v27, v28, v27
	v_perm_b32 v4, v27, v19, s27
	v_perm_b32 v27, v27, v19, s28
	v_fma_mixlo_f16 v19, v24, v23, 0
	v_lshlrev_b32_e32 v19, 16, v19
	v_or_b32_sdwa v22, v19, v22 dst_sel:DWORD dst_unused:UNUSED_PAD src0_sel:DWORD src1_sel:WORD_0
	v_fma_mixlo_f16 v19, v24, v31, 0
	v_add_u32_e32 v41, v52, v29
	v_accvgpr_read_b32 v29, a12
	v_fma_mixlo_f16 v26, v24, v26, 0
	v_lshlrev_b32_e32 v19, 16, v19
	v_cmp_eq_u32_e32 vcc, v7, v29
	v_or_b32_sdwa v23, v19, v26 dst_sel:DWORD dst_unused:UNUSED_PAD src0_sel:DWORD src1_sel:WORD_0
	v_add_u32_e32 v46, 1, v41
	v_or_b32_e32 v45, 3, v41
	v_or_b32_e32 v44, 2, v41
	;; [unrolled: 1-line block ×6, first 2 shown]
	s_and_saveexec_b64 s[6:7], vcc
	s_cbranch_execz .LBB243_466
; %bb.465:                              ;   in Loop: Header=BB243_431 Depth=1
	v_lshrrev_b32_e32 v19, 16, v27
	v_cmp_lt_i32_e64 s[0:1], v46, v3
	v_accvgpr_read_b32 v28, a8
	s_nop 0
	v_cndmask_b32_e64 v19, 0, v19, s[0:1]
	v_cmp_lt_i32_e64 s[0:1], v41, v28
	s_nop 1
	v_cndmask_b32_e64 v24, 0, v27, s[0:1]
	v_perm_b32 v27, v19, v24, s29
	v_lshrrev_b32_e32 v19, 16, v4
	v_cmp_lt_i32_e64 s[0:1], v45, v3
	s_nop 1
	v_cndmask_b32_e64 v19, 0, v19, s[0:1]
	v_cmp_lt_i32_e64 s[0:1], v44, v28
	s_nop 1
	v_cndmask_b32_e64 v4, 0, v4, s[0:1]
	v_perm_b32 v4, v19, v4, s29
	v_lshrrev_b32_e32 v19, 16, v22
	v_cmp_lt_i32_e64 s[0:1], v43, v3
	;; [unrolled: 8-line block ×3, first 2 shown]
	s_nop 1
	v_cndmask_b32_e64 v19, 0, v19, s[0:1]
	v_cmp_lt_i32_e64 s[0:1], v55, v28
	s_nop 1
	v_cndmask_b32_e64 v23, 0, v26, s[0:1]
	v_perm_b32 v23, v19, v23, s29
.LBB243_466:                            ;   in Loop: Header=BB243_431 Depth=1
	s_or_b64 exec, exec, s[6:7]
	v_and_b32_e32 v0, 0xffff, v0
	v_lshl_or_b32 v58, v1, 16, v0
	v_and_b32_e32 v0, 0xffff, v2
	v_lshl_or_b32 v57, v18, 16, v0
	;; [unrolled: 2-line block ×4, first 2 shown]
	;;#ASMSTART
	v_pk_mul_f16 v0, v58, v27;

	;;#ASMEND
	;;#ASMSTART
	v_pk_mul_f16 v1, v57, v4;

	;;#ASMEND
	;; [unrolled: 4-line block ×4, first 2 shown]
	s_mov_b64 s[0:1], 0
	;;#ASMSTART
	v_pk_add_f16 v0, v0, v1;

	;;#ASMEND
                                        ; implicit-def: $sgpr22
	s_nop 0
	;;#ASMSTART
	v_pk_add_f16 v0, v0, v2;

	;;#ASMEND
	s_nop 0
	;;#ASMSTART
	v_pk_add_f16 v0, v0, v4;

	;;#ASMEND
	s_nop 0
	v_lshrrev_b32_e32 v1, 16, v0
	v_and_b32_e32 v0, 0xffff, v0
	;;#ASMSTART
	v_cvt_f32_f16 v59, v0;
	;;#ASMEND
	;;#ASMSTART
	v_cvt_f32_f16 v60, v1;
	;;#ASMEND
	v_accvgpr_read_b32 v0, a4
	flat_load_dwordx2 v[26:27], v[20:21] offset:512
	v_accvgpr_read_b32 v1, a5
	flat_load_dword v24, v[0:1]
	s_waitcnt vmcnt(0) lgkmcnt(0)
	v_cmp_gt_i16_sdwa s[6:7], v26, s17 src0_sel:BYTE_0 src1_sel:DWORD
	s_and_saveexec_b64 s[8:9], s[6:7]
	s_xor_b64 s[6:7], exec, s[8:9]
	s_cbranch_execnz .LBB243_668
; %bb.467:                              ;   in Loop: Header=BB243_431 Depth=1
	s_or_saveexec_b64 s[6:7], s[6:7]
	v_mov_b32_e32 v28, s22
	s_xor_b64 exec, exec, s[6:7]
	s_cbranch_execnz .LBB243_671
.LBB243_468:                            ;   in Loop: Header=BB243_431 Depth=1
	s_or_b64 exec, exec, s[6:7]
	s_and_saveexec_b64 s[6:7], s[0:1]
	s_cbranch_execz .LBB243_470
.LBB243_469:                            ;   in Loop: Header=BB243_431 Depth=1
	v_and_b32_e32 v0, 7, v26
	v_ffbh_u32_e32 v0, v0
	v_bfe_u32 v1, v26, 3, 4
	v_min_u32_e32 v0, 32, v0
	v_subrev_u32_e32 v2, 28, v0
	v_sub_u32_e32 v0, 29, v0
	v_cmp_eq_u32_e64 s[0:1], 0, v1
	s_nop 1
	v_cndmask_b32_e64 v4, v1, v0, s[0:1]
	v_cndmask_b32_e64 v0, 0, v2, s[0:1]
	v_lshlrev_b64 v[0:1], v0, v[26:27]
	v_lshlrev_b32_e32 v1, 8, v26
	v_lshl_add_u32 v2, v4, 10, v54
	v_lshlrev_b32_e32 v0, 7, v0
	v_and_or_b32 v1, v1, s25, v2
	v_and_or_b32 v0, v0, s26, v1
	v_cvt_f32_f16_e32 v28, v0
.LBB243_470:                            ;   in Loop: Header=BB243_431 Depth=1
	s_or_b64 exec, exec, s[6:7]
	v_lshrrev_b16_e32 v4, 8, v26
	v_cmp_lt_i16_e64 s[0:1], s17, v4
	s_mov_b64 s[6:7], 0
                                        ; implicit-def: $sgpr30
	s_and_saveexec_b64 s[8:9], s[0:1]
	s_xor_b64 s[8:9], exec, s[8:9]
	s_cbranch_execnz .LBB243_672
; %bb.471:                              ;   in Loop: Header=BB243_431 Depth=1
	s_or_saveexec_b64 s[8:9], s[8:9]
	v_mov_b32_e32 v34, s30
	s_xor_b64 exec, exec, s[8:9]
	s_cbranch_execnz .LBB243_675
.LBB243_472:                            ;   in Loop: Header=BB243_431 Depth=1
	s_or_b64 exec, exec, s[8:9]
	s_and_saveexec_b64 s[8:9], s[6:7]
	s_cbranch_execz .LBB243_474
.LBB243_473:                            ;   in Loop: Header=BB243_431 Depth=1
	v_and_b32_e32 v2, 7, v4
	v_ffbh_u32_e32 v0, v2
	v_min_u32_e32 v19, 32, v0
	v_subrev_u32_e32 v0, 28, v19
	v_bfe_u32 v18, v4, 3, 4
	v_lshlrev_b64 v[0:1], v0, v[4:5]
	v_sub_u32_e32 v1, 29, v19
	v_cmp_eq_u32_e64 s[0:1], 0, v18
	v_and_b32_e32 v0, 7, v0
	s_nop 0
	v_cndmask_b32_e64 v1, v18, v1, s[0:1]
	v_cndmask_b32_e64 v0, v2, v0, s[0:1]
	v_lshlrev_b32_e32 v2, 8, v4
	v_lshl_add_u32 v1, v1, 10, v54
	v_and_or_b32 v1, v2, s25, v1
	v_lshl_or_b32 v0, v0, 7, v1
	v_cvt_f32_f16_e32 v34, v0
.LBB243_474:                            ;   in Loop: Header=BB243_431 Depth=1
	s_or_b64 exec, exec, s[8:9]
	v_lshrrev_b32_e32 v4, 16, v26
	v_cmp_gt_i16_sdwa s[6:7], v4, s17 src0_sel:BYTE_0 src1_sel:DWORD
	s_mov_b64 s[0:1], 0
                                        ; implicit-def: $sgpr22
	s_and_saveexec_b64 s[8:9], s[6:7]
	s_xor_b64 s[6:7], exec, s[8:9]
	s_cbranch_execnz .LBB243_676
; %bb.475:                              ;   in Loop: Header=BB243_431 Depth=1
	s_or_saveexec_b64 s[6:7], s[6:7]
	v_mov_b32_e32 v29, s22
	s_xor_b64 exec, exec, s[6:7]
	s_cbranch_execnz .LBB243_679
.LBB243_476:                            ;   in Loop: Header=BB243_431 Depth=1
	s_or_b64 exec, exec, s[6:7]
	s_and_saveexec_b64 s[6:7], s[0:1]
	s_cbranch_execz .LBB243_478
.LBB243_477:                            ;   in Loop: Header=BB243_431 Depth=1
	v_bfe_u32 v2, v26, 16, 3
	v_ffbh_u32_e32 v0, v2
	v_min_u32_e32 v19, 32, v0
	v_subrev_u32_e32 v0, 28, v19
	v_bfe_u32 v18, v26, 19, 4
	v_lshlrev_b64 v[0:1], v0, v[4:5]
	v_sub_u32_e32 v1, 29, v19
	v_cmp_eq_u32_e64 s[0:1], 0, v18
	v_and_b32_e32 v0, 7, v0
	s_nop 0
	v_cndmask_b32_e64 v1, v18, v1, s[0:1]
	v_cndmask_b32_e64 v0, v2, v0, s[0:1]
	v_lshlrev_b32_e32 v2, 8, v4
	v_lshl_add_u32 v1, v1, 10, v54
	v_and_or_b32 v1, v2, s25, v1
	v_lshl_or_b32 v0, v0, 7, v1
	v_cvt_f32_f16_e32 v29, v0
.LBB243_478:                            ;   in Loop: Header=BB243_431 Depth=1
	s_or_b64 exec, exec, s[6:7]
	v_lshrrev_b32_e32 v4, 24, v26
	v_cmp_lt_i16_e64 s[0:1], s17, v4
	s_mov_b64 s[6:7], 0
                                        ; implicit-def: $sgpr30
	s_and_saveexec_b64 s[8:9], s[0:1]
	s_xor_b64 s[8:9], exec, s[8:9]
	s_cbranch_execnz .LBB243_680
; %bb.479:                              ;   in Loop: Header=BB243_431 Depth=1
	s_or_saveexec_b64 s[8:9], s[8:9]
	v_mov_b32_e32 v35, s30
	s_xor_b64 exec, exec, s[8:9]
	s_cbranch_execnz .LBB243_683
.LBB243_480:                            ;   in Loop: Header=BB243_431 Depth=1
	s_or_b64 exec, exec, s[8:9]
	s_and_saveexec_b64 s[8:9], s[6:7]
	s_cbranch_execz .LBB243_482
.LBB243_481:                            ;   in Loop: Header=BB243_431 Depth=1
	v_bfe_u32 v2, v26, 24, 3
	v_ffbh_u32_e32 v0, v2
	v_min_u32_e32 v19, 32, v0
	v_subrev_u32_e32 v0, 28, v19
	v_bfe_u32 v18, v26, 27, 4
	v_lshlrev_b64 v[0:1], v0, v[4:5]
	v_sub_u32_e32 v1, 29, v19
	v_cmp_eq_u32_e64 s[0:1], 0, v18
	v_and_b32_e32 v0, 7, v0
	s_nop 0
	v_cndmask_b32_e64 v1, v18, v1, s[0:1]
	v_cndmask_b32_e64 v0, v2, v0, s[0:1]
	v_lshlrev_b32_e32 v2, 8, v4
	v_lshl_add_u32 v1, v1, 10, v54
	v_and_or_b32 v1, v2, s25, v1
	v_lshl_or_b32 v0, v0, 7, v1
	v_cvt_f32_f16_e32 v35, v0
.LBB243_482:                            ;   in Loop: Header=BB243_431 Depth=1
	s_or_b64 exec, exec, s[8:9]
	v_cmp_gt_i16_sdwa s[6:7], v27, s17 src0_sel:BYTE_0 src1_sel:DWORD
	s_mov_b64 s[0:1], 0
                                        ; implicit-def: $sgpr22
	s_and_saveexec_b64 s[8:9], s[6:7]
	s_xor_b64 s[6:7], exec, s[8:9]
	s_cbranch_execnz .LBB243_684
; %bb.483:                              ;   in Loop: Header=BB243_431 Depth=1
	s_or_saveexec_b64 s[6:7], s[6:7]
	v_mov_b32_e32 v0, s22
	s_xor_b64 exec, exec, s[6:7]
	s_cbranch_execnz .LBB243_687
.LBB243_484:                            ;   in Loop: Header=BB243_431 Depth=1
	s_or_b64 exec, exec, s[6:7]
	v_mov_b32_e32 v4, v27
	s_and_saveexec_b64 s[6:7], s[0:1]
	s_cbranch_execz .LBB243_486
.LBB243_485:                            ;   in Loop: Header=BB243_431 Depth=1
	v_and_b32_e32 v0, 7, v27
	v_ffbh_u32_e32 v0, v0
	v_bfe_u32 v1, v27, 3, 4
	v_min_u32_e32 v0, 32, v0
	v_subrev_u32_e32 v2, 28, v0
	v_sub_u32_e32 v0, 29, v0
	v_cmp_eq_u32_e64 s[0:1], 0, v1
	s_nop 1
	v_cndmask_b32_e64 v18, v1, v0, s[0:1]
	v_cndmask_b32_e64 v0, 0, v2, s[0:1]
	v_lshlrev_b64 v[0:1], v0, v[4:5]
	v_lshlrev_b32_e32 v1, 8, v27
	v_lshl_add_u32 v2, v18, 10, v54
	v_lshlrev_b32_e32 v0, 7, v0
	v_and_or_b32 v1, v1, s25, v2
	v_and_or_b32 v0, v0, s26, v1
	v_cvt_f32_f16_e32 v0, v0
.LBB243_486:                            ;   in Loop: Header=BB243_431 Depth=1
	s_or_b64 exec, exec, s[6:7]
	v_lshrrev_b16_e32 v4, 8, v4
	v_cmp_lt_i16_e64 s[0:1], s17, v4
	s_mov_b64 s[6:7], 0
                                        ; implicit-def: $sgpr30
	s_and_saveexec_b64 s[8:9], s[0:1]
	s_xor_b64 s[8:9], exec, s[8:9]
	s_cbranch_execnz .LBB243_688
; %bb.487:                              ;   in Loop: Header=BB243_431 Depth=1
	s_or_saveexec_b64 s[8:9], s[8:9]
	v_mov_b32_e32 v1, s30
	s_xor_b64 exec, exec, s[8:9]
	s_cbranch_execnz .LBB243_691
.LBB243_488:                            ;   in Loop: Header=BB243_431 Depth=1
	s_or_b64 exec, exec, s[8:9]
	s_and_saveexec_b64 s[8:9], s[6:7]
	s_cbranch_execz .LBB243_490
.LBB243_489:                            ;   in Loop: Header=BB243_431 Depth=1
	v_and_b32_e32 v1, 7, v4
	v_ffbh_u32_e32 v18, v1
	v_bfe_u32 v2, v4, 3, 4
	v_min_u32_e32 v18, 32, v18
	v_subrev_u32_e32 v19, 28, v18
	v_sub_u32_e32 v18, 29, v18
	v_cmp_eq_u32_e64 s[0:1], 0, v2
	v_lshlrev_b64 v[22:23], v19, v[4:5]
	v_and_b32_e32 v19, 7, v22
	v_cndmask_b32_e64 v2, v2, v18, s[0:1]
	v_lshlrev_b32_e32 v4, 8, v4
	v_lshl_add_u32 v2, v2, 10, v54
	v_cndmask_b32_e64 v1, v1, v19, s[0:1]
	v_and_or_b32 v2, v4, s25, v2
	v_lshl_or_b32 v1, v1, 7, v2
	v_cvt_f32_f16_e32 v1, v1
.LBB243_490:                            ;   in Loop: Header=BB243_431 Depth=1
	s_or_b64 exec, exec, s[8:9]
	v_lshrrev_b32_e32 v4, 16, v27
	v_cmp_gt_i16_sdwa s[6:7], v4, s17 src0_sel:BYTE_0 src1_sel:DWORD
	s_mov_b64 s[0:1], 0
                                        ; implicit-def: $sgpr22
	s_and_saveexec_b64 s[8:9], s[6:7]
	s_xor_b64 s[6:7], exec, s[8:9]
	s_cbranch_execnz .LBB243_692
; %bb.491:                              ;   in Loop: Header=BB243_431 Depth=1
	s_or_saveexec_b64 s[6:7], s[6:7]
	v_mov_b32_e32 v2, s22
	s_xor_b64 exec, exec, s[6:7]
	s_cbranch_execnz .LBB243_695
.LBB243_492:                            ;   in Loop: Header=BB243_431 Depth=1
	s_or_b64 exec, exec, s[6:7]
	s_and_saveexec_b64 s[6:7], s[0:1]
	s_cbranch_execz .LBB243_494
.LBB243_493:                            ;   in Loop: Header=BB243_431 Depth=1
	v_bfe_u32 v2, v27, 16, 3
	v_ffbh_u32_e32 v19, v2
	v_bfe_u32 v18, v27, 19, 4
	v_min_u32_e32 v19, 32, v19
	v_subrev_u32_e32 v22, 28, v19
	v_sub_u32_e32 v19, 29, v19
	v_cmp_eq_u32_e64 s[0:1], 0, v18
	v_lshlrev_b64 v[22:23], v22, v[4:5]
	v_and_b32_e32 v22, 7, v22
	v_cndmask_b32_e64 v18, v18, v19, s[0:1]
	v_lshlrev_b32_e32 v4, 8, v4
	v_lshl_add_u32 v18, v18, 10, v54
	v_cndmask_b32_e64 v2, v2, v22, s[0:1]
	v_and_or_b32 v4, v4, s25, v18
	v_lshl_or_b32 v2, v2, 7, v4
	v_cvt_f32_f16_e32 v2, v2
.LBB243_494:                            ;   in Loop: Header=BB243_431 Depth=1
	s_or_b64 exec, exec, s[6:7]
	v_lshrrev_b32_e32 v4, 24, v27
	v_cmp_lt_i16_e64 s[0:1], s17, v4
	s_mov_b64 s[6:7], 0
                                        ; implicit-def: $sgpr30
	s_and_saveexec_b64 s[8:9], s[0:1]
	s_xor_b64 s[8:9], exec, s[8:9]
	s_cbranch_execnz .LBB243_696
; %bb.495:                              ;   in Loop: Header=BB243_431 Depth=1
	s_or_saveexec_b64 s[8:9], s[8:9]
	v_mov_b32_e32 v22, s30
	s_xor_b64 exec, exec, s[8:9]
	s_cbranch_execnz .LBB243_699
.LBB243_496:                            ;   in Loop: Header=BB243_431 Depth=1
	s_or_b64 exec, exec, s[8:9]
	s_and_saveexec_b64 s[8:9], s[6:7]
	s_cbranch_execz .LBB243_498
.LBB243_497:                            ;   in Loop: Header=BB243_431 Depth=1
	v_bfe_u32 v18, v27, 24, 3
	v_ffbh_u32_e32 v22, v18
	v_min_u32_e32 v25, 32, v22
	v_subrev_u32_e32 v22, 28, v25
	v_bfe_u32 v19, v27, 27, 4
	v_lshlrev_b64 v[22:23], v22, v[4:5]
	v_sub_u32_e32 v23, 29, v25
	v_cmp_eq_u32_e64 s[0:1], 0, v19
	v_and_b32_e32 v22, 7, v22
	v_lshlrev_b32_e32 v4, 8, v4
	v_cndmask_b32_e64 v19, v19, v23, s[0:1]
	v_lshl_add_u32 v19, v19, 10, v54
	v_cndmask_b32_e64 v18, v18, v22, s[0:1]
	v_and_or_b32 v4, v4, s25, v19
	v_lshl_or_b32 v4, v18, 7, v4
	v_cvt_f32_f16_e32 v22, v4
.LBB243_498:                            ;   in Loop: Header=BB243_431 Depth=1
	s_or_b64 exec, exec, s[8:9]
	v_pk_mul_f32 v[26:27], v[24:25], v[34:35] op_sel_hi:[0,1]
	v_pk_mul_f32 v[28:29], v[24:25], v[28:29] op_sel_hi:[0,1]
	v_cvt_f16_f32_e32 v4, v27
	v_cvt_f16_f32_e32 v18, v26
	;; [unrolled: 1-line block ×4, first 2 shown]
	v_fma_mixlo_f16 v1, v24, v1, 0
	v_lshlrev_b32_e32 v1, 16, v1
	v_fma_mixlo_f16 v0, v24, v0, 0
	v_or_b32_sdwa v0, v1, v0 dst_sel:DWORD dst_unused:UNUSED_PAD src0_sel:DWORD src1_sel:WORD_0
	v_fma_mixlo_f16 v1, v24, v22, 0
	v_pack_b32_f16 v18, v18, v4
	v_pack_b32_f16 v19, v23, v19
	v_fma_mixlo_f16 v2, v24, v2, 0
	v_lshlrev_b32_e32 v1, 16, v1
	v_perm_b32 v4, v19, v18, s27
	v_perm_b32 v18, v19, v18, s28
	v_or_b32_sdwa v1, v1, v2 dst_sel:DWORD dst_unused:UNUSED_PAD src0_sel:DWORD src1_sel:WORD_0
	s_and_saveexec_b64 s[6:7], vcc
	s_cbranch_execz .LBB243_500
; %bb.499:                              ;   in Loop: Header=BB243_431 Depth=1
	v_lshrrev_b32_e32 v19, 16, v18
	v_cmp_lt_i32_e64 s[0:1], v46, v3
	v_accvgpr_read_b32 v22, a8
	v_lshrrev_b32_e32 v1, 16, v1
	v_cndmask_b32_e64 v19, 0, v19, s[0:1]
	v_cmp_lt_i32_e64 s[0:1], v41, v22
	s_nop 1
	v_cndmask_b32_e64 v18, 0, v18, s[0:1]
	v_perm_b32 v18, v19, v18, s29
	v_lshrrev_b32_e32 v19, 16, v4
	v_cmp_lt_i32_e64 s[0:1], v45, v3
	s_nop 1
	v_cndmask_b32_e64 v19, 0, v19, s[0:1]
	v_cmp_lt_i32_e64 s[0:1], v44, v22
	s_nop 1
	v_cndmask_b32_e64 v4, 0, v4, s[0:1]
	v_perm_b32 v4, v19, v4, s29
	v_lshrrev_b32_e32 v19, 16, v0
	v_cmp_lt_i32_e64 s[0:1], v43, v3
	s_nop 1
	v_cndmask_b32_e64 v19, 0, v19, s[0:1]
	v_cmp_lt_i32_e64 s[0:1], v42, v22
	s_nop 1
	v_cndmask_b32_e64 v0, 0, v0, s[0:1]
	v_cmp_lt_i32_e64 s[0:1], v40, v3
	v_perm_b32 v0, v19, v0, s29
	s_nop 0
	v_cndmask_b32_e64 v1, 0, v1, s[0:1]
	v_cmp_lt_i32_e64 s[0:1], v55, v22
	s_nop 1
	v_cndmask_b32_e64 v2, 0, v2, s[0:1]
	v_perm_b32 v1, v1, v2, s29
.LBB243_500:                            ;   in Loop: Header=BB243_431 Depth=1
	s_or_b64 exec, exec, s[6:7]
	;;#ASMSTART
	v_pk_mul_f16 v2, v58, v18;

	;;#ASMEND
	;;#ASMSTART
	v_pk_mul_f16 v4, v57, v4;

	;;#ASMEND
	;; [unrolled: 4-line block ×4, first 2 shown]
	v_accvgpr_read_b32 v19, a5
	;;#ASMSTART
	v_pk_add_f16 v2, v2, v4;

	;;#ASMEND
	v_accvgpr_read_b32 v18, a4
	;;#ASMSTART
	v_pk_add_f16 v0, v2, v0;

	;;#ASMEND
	s_mov_b64 s[0:1], 0
	;;#ASMSTART
	v_pk_add_f16 v0, v0, v1;

	;;#ASMEND
                                        ; implicit-def: $sgpr22
	s_nop 0
	v_lshrrev_b32_e32 v1, 16, v0
	v_and_b32_e32 v0, 0xffff, v0
	;;#ASMSTART
	v_cvt_f32_f16 v0, v0;
	;;#ASMEND
	;;#ASMSTART
	v_cvt_f32_f16 v1, v1;
	;;#ASMEND
	flat_load_dwordx2 v[26:27], v[20:21] offset:1024
	flat_load_dword v24, v[18:19]
	s_waitcnt vmcnt(0) lgkmcnt(0)
	v_cmp_gt_i16_sdwa s[6:7], v26, s17 src0_sel:BYTE_0 src1_sel:DWORD
	s_and_saveexec_b64 s[8:9], s[6:7]
	s_xor_b64 s[6:7], exec, s[8:9]
	s_cbranch_execnz .LBB243_700
; %bb.501:                              ;   in Loop: Header=BB243_431 Depth=1
	s_or_saveexec_b64 s[6:7], s[6:7]
	v_mov_b32_e32 v28, s22
	s_xor_b64 exec, exec, s[6:7]
	s_cbranch_execnz .LBB243_703
.LBB243_502:                            ;   in Loop: Header=BB243_431 Depth=1
	s_or_b64 exec, exec, s[6:7]
	s_and_saveexec_b64 s[6:7], s[0:1]
	s_cbranch_execz .LBB243_504
.LBB243_503:                            ;   in Loop: Header=BB243_431 Depth=1
	v_and_b32_e32 v2, 7, v26
	v_ffbh_u32_e32 v2, v2
	v_bfe_u32 v4, v26, 3, 4
	v_min_u32_e32 v2, 32, v2
	v_subrev_u32_e32 v18, 28, v2
	v_sub_u32_e32 v2, 29, v2
	v_cmp_eq_u32_e64 s[0:1], 0, v4
	s_nop 1
	v_cndmask_b32_e64 v2, v4, v2, s[0:1]
	v_cndmask_b32_e64 v4, 0, v18, s[0:1]
	v_lshlrev_b64 v[22:23], v4, v[26:27]
	v_lshlrev_b32_e32 v18, 8, v26
	v_lshl_add_u32 v2, v2, 10, v54
	v_lshlrev_b32_e32 v4, 7, v22
	v_and_or_b32 v2, v18, s25, v2
	v_and_or_b32 v2, v4, s26, v2
	v_cvt_f32_f16_e32 v28, v2
.LBB243_504:                            ;   in Loop: Header=BB243_431 Depth=1
	s_or_b64 exec, exec, s[6:7]
	v_lshrrev_b16_e32 v4, 8, v26
	v_cmp_lt_i16_e64 s[0:1], s17, v4
	s_mov_b64 s[6:7], 0
                                        ; implicit-def: $sgpr30
	s_and_saveexec_b64 s[8:9], s[0:1]
	s_xor_b64 s[8:9], exec, s[8:9]
	s_cbranch_execnz .LBB243_704
; %bb.505:                              ;   in Loop: Header=BB243_431 Depth=1
	s_or_saveexec_b64 s[8:9], s[8:9]
	v_mov_b32_e32 v34, s30
	s_xor_b64 exec, exec, s[8:9]
	s_cbranch_execnz .LBB243_707
.LBB243_506:                            ;   in Loop: Header=BB243_431 Depth=1
	s_or_b64 exec, exec, s[8:9]
	s_and_saveexec_b64 s[8:9], s[6:7]
	s_cbranch_execz .LBB243_508
.LBB243_507:                            ;   in Loop: Header=BB243_431 Depth=1
	v_and_b32_e32 v2, 7, v4
	v_ffbh_u32_e32 v19, v2
	v_bfe_u32 v18, v4, 3, 4
	v_min_u32_e32 v19, 32, v19
	v_subrev_u32_e32 v22, 28, v19
	v_sub_u32_e32 v19, 29, v19
	v_cmp_eq_u32_e64 s[0:1], 0, v18
	v_lshlrev_b64 v[22:23], v22, v[4:5]
	v_and_b32_e32 v22, 7, v22
	v_cndmask_b32_e64 v18, v18, v19, s[0:1]
	v_lshlrev_b32_e32 v4, 8, v4
	v_lshl_add_u32 v18, v18, 10, v54
	v_cndmask_b32_e64 v2, v2, v22, s[0:1]
	v_and_or_b32 v4, v4, s25, v18
	v_lshl_or_b32 v2, v2, 7, v4
	v_cvt_f32_f16_e32 v34, v2
.LBB243_508:                            ;   in Loop: Header=BB243_431 Depth=1
	s_or_b64 exec, exec, s[8:9]
	v_lshrrev_b32_e32 v4, 16, v26
	v_cmp_gt_i16_sdwa s[6:7], v4, s17 src0_sel:BYTE_0 src1_sel:DWORD
	s_mov_b64 s[0:1], 0
                                        ; implicit-def: $sgpr22
	s_and_saveexec_b64 s[8:9], s[6:7]
	s_xor_b64 s[6:7], exec, s[8:9]
	s_cbranch_execnz .LBB243_708
; %bb.509:                              ;   in Loop: Header=BB243_431 Depth=1
	s_or_saveexec_b64 s[6:7], s[6:7]
	v_mov_b32_e32 v29, s22
	s_xor_b64 exec, exec, s[6:7]
	s_cbranch_execnz .LBB243_711
.LBB243_510:                            ;   in Loop: Header=BB243_431 Depth=1
	s_or_b64 exec, exec, s[6:7]
	s_and_saveexec_b64 s[6:7], s[0:1]
	s_cbranch_execz .LBB243_512
.LBB243_511:                            ;   in Loop: Header=BB243_431 Depth=1
	v_bfe_u32 v2, v26, 16, 3
	v_ffbh_u32_e32 v19, v2
	v_bfe_u32 v18, v26, 19, 4
	v_min_u32_e32 v19, 32, v19
	v_subrev_u32_e32 v22, 28, v19
	v_sub_u32_e32 v19, 29, v19
	v_cmp_eq_u32_e64 s[0:1], 0, v18
	v_lshlrev_b64 v[22:23], v22, v[4:5]
	v_and_b32_e32 v22, 7, v22
	v_cndmask_b32_e64 v18, v18, v19, s[0:1]
	v_lshlrev_b32_e32 v4, 8, v4
	v_lshl_add_u32 v18, v18, 10, v54
	v_cndmask_b32_e64 v2, v2, v22, s[0:1]
	v_and_or_b32 v4, v4, s25, v18
	v_lshl_or_b32 v2, v2, 7, v4
	v_cvt_f32_f16_e32 v29, v2
.LBB243_512:                            ;   in Loop: Header=BB243_431 Depth=1
	s_or_b64 exec, exec, s[6:7]
	v_lshrrev_b32_e32 v4, 24, v26
	v_cmp_lt_i16_e64 s[0:1], s17, v4
	s_mov_b64 s[6:7], 0
                                        ; implicit-def: $sgpr30
	s_and_saveexec_b64 s[8:9], s[0:1]
	s_xor_b64 s[8:9], exec, s[8:9]
	s_cbranch_execnz .LBB243_712
; %bb.513:                              ;   in Loop: Header=BB243_431 Depth=1
	s_or_saveexec_b64 s[8:9], s[8:9]
	v_mov_b32_e32 v35, s30
	s_xor_b64 exec, exec, s[8:9]
	s_cbranch_execnz .LBB243_715
.LBB243_514:                            ;   in Loop: Header=BB243_431 Depth=1
	s_or_b64 exec, exec, s[8:9]
	s_and_saveexec_b64 s[8:9], s[6:7]
	s_cbranch_execz .LBB243_516
.LBB243_515:                            ;   in Loop: Header=BB243_431 Depth=1
	v_bfe_u32 v2, v26, 24, 3
	v_ffbh_u32_e32 v19, v2
	v_bfe_u32 v18, v26, 27, 4
	v_min_u32_e32 v19, 32, v19
	v_subrev_u32_e32 v22, 28, v19
	v_sub_u32_e32 v19, 29, v19
	v_cmp_eq_u32_e64 s[0:1], 0, v18
	v_lshlrev_b64 v[22:23], v22, v[4:5]
	v_and_b32_e32 v22, 7, v22
	v_cndmask_b32_e64 v18, v18, v19, s[0:1]
	v_lshlrev_b32_e32 v4, 8, v4
	v_lshl_add_u32 v18, v18, 10, v54
	v_cndmask_b32_e64 v2, v2, v22, s[0:1]
	v_and_or_b32 v4, v4, s25, v18
	v_lshl_or_b32 v2, v2, 7, v4
	v_cvt_f32_f16_e32 v35, v2
.LBB243_516:                            ;   in Loop: Header=BB243_431 Depth=1
	s_or_b64 exec, exec, s[8:9]
	v_cmp_gt_i16_sdwa s[6:7], v27, s17 src0_sel:BYTE_0 src1_sel:DWORD
	s_mov_b64 s[0:1], 0
                                        ; implicit-def: $sgpr22
	s_and_saveexec_b64 s[8:9], s[6:7]
	s_xor_b64 s[6:7], exec, s[8:9]
	s_cbranch_execnz .LBB243_716
; %bb.517:                              ;   in Loop: Header=BB243_431 Depth=1
	s_or_saveexec_b64 s[6:7], s[6:7]
	v_mov_b32_e32 v2, s22
	s_xor_b64 exec, exec, s[6:7]
	s_cbranch_execnz .LBB243_719
.LBB243_518:                            ;   in Loop: Header=BB243_431 Depth=1
	s_or_b64 exec, exec, s[6:7]
	v_mov_b32_e32 v4, v27
	s_and_saveexec_b64 s[6:7], s[0:1]
	s_cbranch_execz .LBB243_520
.LBB243_519:                            ;   in Loop: Header=BB243_431 Depth=1
	v_and_b32_e32 v2, 7, v27
	v_ffbh_u32_e32 v2, v2
	v_bfe_u32 v18, v27, 3, 4
	v_min_u32_e32 v2, 32, v2
	v_subrev_u32_e32 v19, 28, v2
	v_sub_u32_e32 v2, 29, v2
	v_cmp_eq_u32_e64 s[0:1], 0, v18
	s_nop 1
	v_cndmask_b32_e64 v2, v18, v2, s[0:1]
	v_cndmask_b32_e64 v18, 0, v19, s[0:1]
	v_lshlrev_b64 v[22:23], v18, v[4:5]
	v_lshlrev_b32_e32 v19, 8, v27
	v_lshl_add_u32 v2, v2, 10, v54
	v_lshlrev_b32_e32 v18, 7, v22
	v_and_or_b32 v2, v19, s25, v2
	v_and_or_b32 v2, v18, s26, v2
	v_cvt_f32_f16_e32 v2, v2
.LBB243_520:                            ;   in Loop: Header=BB243_431 Depth=1
	s_or_b64 exec, exec, s[6:7]
	v_lshrrev_b16_e32 v4, 8, v4
	v_cmp_lt_i16_e64 s[0:1], s17, v4
	s_mov_b64 s[6:7], 0
                                        ; implicit-def: $sgpr30
	s_and_saveexec_b64 s[8:9], s[0:1]
	s_xor_b64 s[8:9], exec, s[8:9]
	s_cbranch_execnz .LBB243_720
; %bb.521:                              ;   in Loop: Header=BB243_431 Depth=1
	s_or_saveexec_b64 s[8:9], s[8:9]
	v_mov_b32_e32 v18, s30
	s_xor_b64 exec, exec, s[8:9]
	s_cbranch_execnz .LBB243_723
.LBB243_522:                            ;   in Loop: Header=BB243_431 Depth=1
	s_or_b64 exec, exec, s[8:9]
	s_and_saveexec_b64 s[8:9], s[6:7]
	s_cbranch_execz .LBB243_524
.LBB243_523:                            ;   in Loop: Header=BB243_431 Depth=1
	v_and_b32_e32 v18, 7, v4
	v_ffbh_u32_e32 v22, v18
	v_min_u32_e32 v25, 32, v22
	v_subrev_u32_e32 v22, 28, v25
	v_bfe_u32 v19, v4, 3, 4
	v_lshlrev_b64 v[22:23], v22, v[4:5]
	v_sub_u32_e32 v23, 29, v25
	v_cmp_eq_u32_e64 s[0:1], 0, v19
	v_and_b32_e32 v22, 7, v22
	v_lshlrev_b32_e32 v4, 8, v4
	v_cndmask_b32_e64 v19, v19, v23, s[0:1]
	v_lshl_add_u32 v19, v19, 10, v54
	v_cndmask_b32_e64 v18, v18, v22, s[0:1]
	v_and_or_b32 v4, v4, s25, v19
	v_lshl_or_b32 v4, v18, 7, v4
	v_cvt_f32_f16_e32 v18, v4
.LBB243_524:                            ;   in Loop: Header=BB243_431 Depth=1
	s_or_b64 exec, exec, s[8:9]
	v_lshrrev_b32_e32 v4, 16, v27
	v_cmp_gt_i16_sdwa s[6:7], v4, s17 src0_sel:BYTE_0 src1_sel:DWORD
	s_mov_b64 s[0:1], 0
                                        ; implicit-def: $sgpr22
	s_and_saveexec_b64 s[8:9], s[6:7]
	s_xor_b64 s[6:7], exec, s[8:9]
	s_cbranch_execnz .LBB243_724
; %bb.525:                              ;   in Loop: Header=BB243_431 Depth=1
	s_or_saveexec_b64 s[6:7], s[6:7]
	v_mov_b32_e32 v22, s22
	s_xor_b64 exec, exec, s[6:7]
	s_cbranch_execnz .LBB243_727
.LBB243_526:                            ;   in Loop: Header=BB243_431 Depth=1
	s_or_b64 exec, exec, s[6:7]
	s_and_saveexec_b64 s[6:7], s[0:1]
	s_cbranch_execz .LBB243_528
.LBB243_527:                            ;   in Loop: Header=BB243_431 Depth=1
	v_bfe_u32 v19, v27, 16, 3
	v_ffbh_u32_e32 v22, v19
	v_min_u32_e32 v26, 32, v22
	v_subrev_u32_e32 v22, 28, v26
	v_bfe_u32 v25, v27, 19, 4
	v_lshlrev_b64 v[22:23], v22, v[4:5]
	v_sub_u32_e32 v23, 29, v26
	v_cmp_eq_u32_e64 s[0:1], 0, v25
	v_and_b32_e32 v22, 7, v22
	v_lshlrev_b32_e32 v4, 8, v4
	v_cndmask_b32_e64 v23, v25, v23, s[0:1]
	v_cndmask_b32_e64 v19, v19, v22, s[0:1]
	v_lshl_add_u32 v22, v23, 10, v54
	v_and_or_b32 v4, v4, s25, v22
	v_lshl_or_b32 v4, v19, 7, v4
	v_cvt_f32_f16_e32 v22, v4
.LBB243_528:                            ;   in Loop: Header=BB243_431 Depth=1
	s_or_b64 exec, exec, s[6:7]
	v_lshrrev_b32_e32 v4, 24, v27
	v_cmp_lt_i16_e64 s[0:1], s17, v4
	s_mov_b64 s[6:7], 0
                                        ; implicit-def: $sgpr30
	s_and_saveexec_b64 s[8:9], s[0:1]
	s_xor_b64 s[8:9], exec, s[8:9]
	s_cbranch_execnz .LBB243_728
; %bb.529:                              ;   in Loop: Header=BB243_431 Depth=1
	s_or_saveexec_b64 s[8:9], s[8:9]
	v_mov_b32_e32 v25, s30
	s_xor_b64 exec, exec, s[8:9]
	s_cbranch_execnz .LBB243_731
.LBB243_530:                            ;   in Loop: Header=BB243_431 Depth=1
	s_or_b64 exec, exec, s[8:9]
	s_and_saveexec_b64 s[8:9], s[6:7]
	s_cbranch_execz .LBB243_532
.LBB243_531:                            ;   in Loop: Header=BB243_431 Depth=1
	v_bfe_u32 v19, v27, 24, 3
	v_ffbh_u32_e32 v25, v19
	v_bfe_u32 v23, v27, 27, 4
	v_min_u32_e32 v25, 32, v25
	v_subrev_u32_e32 v26, 28, v25
	v_sub_u32_e32 v25, 29, v25
	v_cmp_eq_u32_e64 s[0:1], 0, v23
	v_lshlrev_b64 v[26:27], v26, v[4:5]
	v_and_b32_e32 v26, 7, v26
	v_cndmask_b32_e64 v23, v23, v25, s[0:1]
	v_lshlrev_b32_e32 v4, 8, v4
	v_lshl_add_u32 v23, v23, 10, v54
	v_cndmask_b32_e64 v19, v19, v26, s[0:1]
	v_and_or_b32 v4, v4, s25, v23
	v_lshl_or_b32 v4, v19, 7, v4
	v_cvt_f32_f16_e32 v25, v4
.LBB243_532:                            ;   in Loop: Header=BB243_431 Depth=1
	s_or_b64 exec, exec, s[8:9]
	v_pk_mul_f32 v[26:27], v[24:25], v[34:35] op_sel_hi:[0,1]
	v_pk_mul_f32 v[28:29], v[24:25], v[28:29] op_sel_hi:[0,1]
	v_cvt_f16_f32_e32 v4, v27
	v_cvt_f16_f32_e32 v19, v26
	;; [unrolled: 1-line block ×4, first 2 shown]
	v_fma_mixlo_f16 v18, v24, v18, 0
	v_lshlrev_b32_e32 v18, 16, v18
	v_fma_mixlo_f16 v2, v24, v2, 0
	v_or_b32_sdwa v2, v18, v2 dst_sel:DWORD dst_unused:UNUSED_PAD src0_sel:DWORD src1_sel:WORD_0
	v_fma_mixlo_f16 v18, v24, v25, 0
	v_pack_b32_f16 v19, v19, v4
	v_pack_b32_f16 v23, v26, v23
	v_fma_mixlo_f16 v22, v24, v22, 0
	v_lshlrev_b32_e32 v18, 16, v18
	v_perm_b32 v4, v23, v19, s27
	v_perm_b32 v23, v23, v19, s28
	v_or_b32_sdwa v18, v18, v22 dst_sel:DWORD dst_unused:UNUSED_PAD src0_sel:DWORD src1_sel:WORD_0
	s_and_saveexec_b64 s[6:7], vcc
	s_cbranch_execz .LBB243_534
; %bb.533:                              ;   in Loop: Header=BB243_431 Depth=1
	v_lshrrev_b32_e32 v19, 16, v23
	v_cmp_lt_i32_e64 s[0:1], v46, v3
	v_accvgpr_read_b32 v24, a8
	v_lshrrev_b32_e32 v18, 16, v18
	v_cndmask_b32_e64 v19, 0, v19, s[0:1]
	v_cmp_lt_i32_e64 s[0:1], v41, v24
	s_nop 1
	v_cndmask_b32_e64 v23, 0, v23, s[0:1]
	v_perm_b32 v23, v19, v23, s29
	v_lshrrev_b32_e32 v19, 16, v4
	v_cmp_lt_i32_e64 s[0:1], v45, v3
	s_nop 1
	v_cndmask_b32_e64 v19, 0, v19, s[0:1]
	v_cmp_lt_i32_e64 s[0:1], v44, v24
	s_nop 1
	v_cndmask_b32_e64 v4, 0, v4, s[0:1]
	v_perm_b32 v4, v19, v4, s29
	v_lshrrev_b32_e32 v19, 16, v2
	v_cmp_lt_i32_e64 s[0:1], v43, v3
	s_nop 1
	v_cndmask_b32_e64 v19, 0, v19, s[0:1]
	v_cmp_lt_i32_e64 s[0:1], v42, v24
	s_nop 1
	v_cndmask_b32_e64 v2, 0, v2, s[0:1]
	v_cmp_lt_i32_e64 s[0:1], v40, v3
	v_perm_b32 v2, v19, v2, s29
	s_nop 0
	v_cndmask_b32_e64 v18, 0, v18, s[0:1]
	v_cmp_lt_i32_e64 s[0:1], v55, v24
	s_nop 1
	v_cndmask_b32_e64 v19, 0, v22, s[0:1]
	v_perm_b32 v18, v18, v19, s29
.LBB243_534:                            ;   in Loop: Header=BB243_431 Depth=1
	s_or_b64 exec, exec, s[6:7]
	;;#ASMSTART
	v_pk_mul_f16 v19, v58, v23;

	;;#ASMEND
	;;#ASMSTART
	v_pk_mul_f16 v4, v57, v4;

	;;#ASMEND
	;; [unrolled: 4-line block ×4, first 2 shown]
	s_mov_b64 s[0:1], 0
	;;#ASMSTART
	v_pk_add_f16 v4, v19, v4;

	;;#ASMEND
                                        ; implicit-def: $sgpr22
	s_nop 0
	;;#ASMSTART
	v_pk_add_f16 v2, v4, v2;

	;;#ASMEND
	s_nop 0
	;;#ASMSTART
	v_pk_add_f16 v2, v2, v18;

	;;#ASMEND
	v_accvgpr_read_b32 v19, a5
	v_lshrrev_b32_e32 v4, 16, v2
	v_and_b32_e32 v2, 0xffff, v2
	;;#ASMSTART
	v_cvt_f32_f16 v61, v2;
	;;#ASMEND
	;;#ASMSTART
	v_cvt_f32_f16 v62, v4;
	;;#ASMEND
	flat_load_dwordx2 v[26:27], v[20:21] offset:1536
	v_accvgpr_read_b32 v18, a4
	flat_load_dword v24, v[18:19]
	s_waitcnt vmcnt(0) lgkmcnt(0)
	v_cmp_gt_i16_sdwa s[6:7], v26, s17 src0_sel:BYTE_0 src1_sel:DWORD
	s_and_saveexec_b64 s[8:9], s[6:7]
	s_xor_b64 s[6:7], exec, s[8:9]
	s_cbranch_execnz .LBB243_732
; %bb.535:                              ;   in Loop: Header=BB243_431 Depth=1
	s_or_saveexec_b64 s[6:7], s[6:7]
	v_mov_b32_e32 v28, s22
	s_xor_b64 exec, exec, s[6:7]
	s_cbranch_execnz .LBB243_735
.LBB243_536:                            ;   in Loop: Header=BB243_431 Depth=1
	s_or_b64 exec, exec, s[6:7]
	s_and_saveexec_b64 s[6:7], s[0:1]
	s_cbranch_execz .LBB243_538
.LBB243_537:                            ;   in Loop: Header=BB243_431 Depth=1
	v_and_b32_e32 v2, 7, v26
	v_ffbh_u32_e32 v2, v2
	v_bfe_u32 v4, v26, 3, 4
	v_min_u32_e32 v2, 32, v2
	v_subrev_u32_e32 v18, 28, v2
	v_sub_u32_e32 v2, 29, v2
	v_cmp_eq_u32_e64 s[0:1], 0, v4
	s_nop 1
	v_cndmask_b32_e64 v2, v4, v2, s[0:1]
	v_cndmask_b32_e64 v4, 0, v18, s[0:1]
	v_lshlrev_b64 v[22:23], v4, v[26:27]
	v_lshlrev_b32_e32 v18, 8, v26
	v_lshl_add_u32 v2, v2, 10, v54
	v_lshlrev_b32_e32 v4, 7, v22
	v_and_or_b32 v2, v18, s25, v2
	v_and_or_b32 v2, v4, s26, v2
	v_cvt_f32_f16_e32 v28, v2
.LBB243_538:                            ;   in Loop: Header=BB243_431 Depth=1
	s_or_b64 exec, exec, s[6:7]
	v_lshrrev_b16_e32 v4, 8, v26
	v_cmp_lt_i16_e64 s[0:1], s17, v4
	s_mov_b64 s[6:7], 0
                                        ; implicit-def: $sgpr30
	s_and_saveexec_b64 s[8:9], s[0:1]
	s_xor_b64 s[8:9], exec, s[8:9]
	s_cbranch_execnz .LBB243_736
; %bb.539:                              ;   in Loop: Header=BB243_431 Depth=1
	s_or_saveexec_b64 s[8:9], s[8:9]
	v_mov_b32_e32 v34, s30
	s_xor_b64 exec, exec, s[8:9]
	s_cbranch_execnz .LBB243_739
.LBB243_540:                            ;   in Loop: Header=BB243_431 Depth=1
	s_or_b64 exec, exec, s[8:9]
	s_and_saveexec_b64 s[8:9], s[6:7]
	s_cbranch_execz .LBB243_542
.LBB243_541:                            ;   in Loop: Header=BB243_431 Depth=1
	v_and_b32_e32 v2, 7, v4
	v_ffbh_u32_e32 v19, v2
	v_bfe_u32 v18, v4, 3, 4
	v_min_u32_e32 v19, 32, v19
	v_subrev_u32_e32 v22, 28, v19
	v_sub_u32_e32 v19, 29, v19
	v_cmp_eq_u32_e64 s[0:1], 0, v18
	v_lshlrev_b64 v[22:23], v22, v[4:5]
	v_and_b32_e32 v22, 7, v22
	v_cndmask_b32_e64 v18, v18, v19, s[0:1]
	v_lshlrev_b32_e32 v4, 8, v4
	v_lshl_add_u32 v18, v18, 10, v54
	v_cndmask_b32_e64 v2, v2, v22, s[0:1]
	v_and_or_b32 v4, v4, s25, v18
	v_lshl_or_b32 v2, v2, 7, v4
	v_cvt_f32_f16_e32 v34, v2
.LBB243_542:                            ;   in Loop: Header=BB243_431 Depth=1
	s_or_b64 exec, exec, s[8:9]
	v_lshrrev_b32_e32 v4, 16, v26
	v_cmp_gt_i16_sdwa s[6:7], v4, s17 src0_sel:BYTE_0 src1_sel:DWORD
	s_mov_b64 s[0:1], 0
                                        ; implicit-def: $sgpr22
	s_and_saveexec_b64 s[8:9], s[6:7]
	s_xor_b64 s[6:7], exec, s[8:9]
	s_cbranch_execnz .LBB243_740
; %bb.543:                              ;   in Loop: Header=BB243_431 Depth=1
	s_or_saveexec_b64 s[6:7], s[6:7]
	v_mov_b32_e32 v29, s22
	s_xor_b64 exec, exec, s[6:7]
	s_cbranch_execnz .LBB243_743
.LBB243_544:                            ;   in Loop: Header=BB243_431 Depth=1
	s_or_b64 exec, exec, s[6:7]
	s_and_saveexec_b64 s[6:7], s[0:1]
	s_cbranch_execz .LBB243_546
.LBB243_545:                            ;   in Loop: Header=BB243_431 Depth=1
	v_bfe_u32 v2, v26, 16, 3
	v_ffbh_u32_e32 v19, v2
	v_bfe_u32 v18, v26, 19, 4
	v_min_u32_e32 v19, 32, v19
	v_subrev_u32_e32 v22, 28, v19
	v_sub_u32_e32 v19, 29, v19
	v_cmp_eq_u32_e64 s[0:1], 0, v18
	v_lshlrev_b64 v[22:23], v22, v[4:5]
	v_and_b32_e32 v22, 7, v22
	v_cndmask_b32_e64 v18, v18, v19, s[0:1]
	v_lshlrev_b32_e32 v4, 8, v4
	v_lshl_add_u32 v18, v18, 10, v54
	v_cndmask_b32_e64 v2, v2, v22, s[0:1]
	v_and_or_b32 v4, v4, s25, v18
	v_lshl_or_b32 v2, v2, 7, v4
	v_cvt_f32_f16_e32 v29, v2
.LBB243_546:                            ;   in Loop: Header=BB243_431 Depth=1
	s_or_b64 exec, exec, s[6:7]
	v_lshrrev_b32_e32 v4, 24, v26
	v_cmp_lt_i16_e64 s[0:1], s17, v4
	s_mov_b64 s[6:7], 0
                                        ; implicit-def: $sgpr30
	s_and_saveexec_b64 s[8:9], s[0:1]
	s_xor_b64 s[8:9], exec, s[8:9]
	s_cbranch_execnz .LBB243_744
; %bb.547:                              ;   in Loop: Header=BB243_431 Depth=1
	s_or_saveexec_b64 s[8:9], s[8:9]
	v_mov_b32_e32 v35, s30
	s_xor_b64 exec, exec, s[8:9]
	s_cbranch_execnz .LBB243_747
.LBB243_548:                            ;   in Loop: Header=BB243_431 Depth=1
	s_or_b64 exec, exec, s[8:9]
	s_and_saveexec_b64 s[8:9], s[6:7]
	s_cbranch_execz .LBB243_550
.LBB243_549:                            ;   in Loop: Header=BB243_431 Depth=1
	v_bfe_u32 v2, v26, 24, 3
	v_ffbh_u32_e32 v19, v2
	v_bfe_u32 v18, v26, 27, 4
	v_min_u32_e32 v19, 32, v19
	v_subrev_u32_e32 v22, 28, v19
	v_sub_u32_e32 v19, 29, v19
	v_cmp_eq_u32_e64 s[0:1], 0, v18
	v_lshlrev_b64 v[22:23], v22, v[4:5]
	v_and_b32_e32 v22, 7, v22
	v_cndmask_b32_e64 v18, v18, v19, s[0:1]
	v_lshlrev_b32_e32 v4, 8, v4
	v_lshl_add_u32 v18, v18, 10, v54
	v_cndmask_b32_e64 v2, v2, v22, s[0:1]
	v_and_or_b32 v4, v4, s25, v18
	v_lshl_or_b32 v2, v2, 7, v4
	v_cvt_f32_f16_e32 v35, v2
.LBB243_550:                            ;   in Loop: Header=BB243_431 Depth=1
	s_or_b64 exec, exec, s[8:9]
	v_cmp_gt_i16_sdwa s[6:7], v27, s17 src0_sel:BYTE_0 src1_sel:DWORD
	s_mov_b64 s[0:1], 0
                                        ; implicit-def: $sgpr22
	s_and_saveexec_b64 s[8:9], s[6:7]
	s_xor_b64 s[6:7], exec, s[8:9]
	s_cbranch_execnz .LBB243_748
; %bb.551:                              ;   in Loop: Header=BB243_431 Depth=1
	s_or_saveexec_b64 s[6:7], s[6:7]
	v_mov_b32_e32 v2, s22
	s_xor_b64 exec, exec, s[6:7]
	s_cbranch_execnz .LBB243_751
.LBB243_552:                            ;   in Loop: Header=BB243_431 Depth=1
	s_or_b64 exec, exec, s[6:7]
	v_mov_b32_e32 v4, v27
	s_and_saveexec_b64 s[6:7], s[0:1]
	s_cbranch_execz .LBB243_554
.LBB243_553:                            ;   in Loop: Header=BB243_431 Depth=1
	v_and_b32_e32 v2, 7, v27
	v_ffbh_u32_e32 v2, v2
	v_bfe_u32 v18, v27, 3, 4
	v_min_u32_e32 v2, 32, v2
	v_subrev_u32_e32 v19, 28, v2
	v_sub_u32_e32 v2, 29, v2
	v_cmp_eq_u32_e64 s[0:1], 0, v18
	s_nop 1
	v_cndmask_b32_e64 v2, v18, v2, s[0:1]
	v_cndmask_b32_e64 v18, 0, v19, s[0:1]
	v_lshlrev_b64 v[22:23], v18, v[4:5]
	v_lshlrev_b32_e32 v19, 8, v27
	v_lshl_add_u32 v2, v2, 10, v54
	v_lshlrev_b32_e32 v18, 7, v22
	v_and_or_b32 v2, v19, s25, v2
	v_and_or_b32 v2, v18, s26, v2
	v_cvt_f32_f16_e32 v2, v2
.LBB243_554:                            ;   in Loop: Header=BB243_431 Depth=1
	s_or_b64 exec, exec, s[6:7]
	v_lshrrev_b16_e32 v4, 8, v4
	v_cmp_lt_i16_e64 s[0:1], s17, v4
	s_mov_b64 s[6:7], 0
                                        ; implicit-def: $sgpr30
	s_and_saveexec_b64 s[8:9], s[0:1]
	s_xor_b64 s[8:9], exec, s[8:9]
	s_cbranch_execnz .LBB243_752
; %bb.555:                              ;   in Loop: Header=BB243_431 Depth=1
	s_or_saveexec_b64 s[8:9], s[8:9]
	v_mov_b32_e32 v18, s30
	s_xor_b64 exec, exec, s[8:9]
	s_cbranch_execnz .LBB243_755
.LBB243_556:                            ;   in Loop: Header=BB243_431 Depth=1
	s_or_b64 exec, exec, s[8:9]
	s_and_saveexec_b64 s[8:9], s[6:7]
	s_cbranch_execz .LBB243_558
.LBB243_557:                            ;   in Loop: Header=BB243_431 Depth=1
	v_and_b32_e32 v18, 7, v4
	v_ffbh_u32_e32 v22, v18
	v_min_u32_e32 v25, 32, v22
	v_subrev_u32_e32 v22, 28, v25
	v_bfe_u32 v19, v4, 3, 4
	v_lshlrev_b64 v[22:23], v22, v[4:5]
	v_sub_u32_e32 v23, 29, v25
	v_cmp_eq_u32_e64 s[0:1], 0, v19
	v_and_b32_e32 v22, 7, v22
	v_lshlrev_b32_e32 v4, 8, v4
	v_cndmask_b32_e64 v19, v19, v23, s[0:1]
	v_lshl_add_u32 v19, v19, 10, v54
	v_cndmask_b32_e64 v18, v18, v22, s[0:1]
	v_and_or_b32 v4, v4, s25, v19
	v_lshl_or_b32 v4, v18, 7, v4
	v_cvt_f32_f16_e32 v18, v4
.LBB243_558:                            ;   in Loop: Header=BB243_431 Depth=1
	s_or_b64 exec, exec, s[8:9]
	v_lshrrev_b32_e32 v4, 16, v27
	v_cmp_gt_i16_sdwa s[6:7], v4, s17 src0_sel:BYTE_0 src1_sel:DWORD
	s_mov_b64 s[0:1], 0
                                        ; implicit-def: $sgpr22
	s_and_saveexec_b64 s[8:9], s[6:7]
	s_xor_b64 s[6:7], exec, s[8:9]
	s_cbranch_execnz .LBB243_756
; %bb.559:                              ;   in Loop: Header=BB243_431 Depth=1
	s_or_saveexec_b64 s[6:7], s[6:7]
	v_mov_b32_e32 v22, s22
	s_xor_b64 exec, exec, s[6:7]
	s_cbranch_execnz .LBB243_759
.LBB243_560:                            ;   in Loop: Header=BB243_431 Depth=1
	s_or_b64 exec, exec, s[6:7]
	s_and_saveexec_b64 s[6:7], s[0:1]
	s_cbranch_execz .LBB243_562
.LBB243_561:                            ;   in Loop: Header=BB243_431 Depth=1
	v_bfe_u32 v19, v27, 16, 3
	v_ffbh_u32_e32 v22, v19
	v_min_u32_e32 v26, 32, v22
	v_subrev_u32_e32 v22, 28, v26
	v_bfe_u32 v25, v27, 19, 4
	v_lshlrev_b64 v[22:23], v22, v[4:5]
	v_sub_u32_e32 v23, 29, v26
	v_cmp_eq_u32_e64 s[0:1], 0, v25
	v_and_b32_e32 v22, 7, v22
	v_lshlrev_b32_e32 v4, 8, v4
	v_cndmask_b32_e64 v23, v25, v23, s[0:1]
	v_cndmask_b32_e64 v19, v19, v22, s[0:1]
	v_lshl_add_u32 v22, v23, 10, v54
	v_and_or_b32 v4, v4, s25, v22
	v_lshl_or_b32 v4, v19, 7, v4
	v_cvt_f32_f16_e32 v22, v4
.LBB243_562:                            ;   in Loop: Header=BB243_431 Depth=1
	s_or_b64 exec, exec, s[6:7]
	v_lshrrev_b32_e32 v4, 24, v27
	v_cmp_lt_i16_e64 s[0:1], s17, v4
	s_mov_b64 s[6:7], 0
                                        ; implicit-def: $sgpr30
	s_and_saveexec_b64 s[8:9], s[0:1]
	s_xor_b64 s[8:9], exec, s[8:9]
	s_cbranch_execnz .LBB243_760
; %bb.563:                              ;   in Loop: Header=BB243_431 Depth=1
	s_or_saveexec_b64 s[8:9], s[8:9]
	v_mov_b32_e32 v25, s30
	s_xor_b64 exec, exec, s[8:9]
	s_cbranch_execnz .LBB243_763
.LBB243_564:                            ;   in Loop: Header=BB243_431 Depth=1
	s_or_b64 exec, exec, s[8:9]
	s_and_saveexec_b64 s[8:9], s[6:7]
	s_cbranch_execz .LBB243_566
.LBB243_565:                            ;   in Loop: Header=BB243_431 Depth=1
	v_bfe_u32 v19, v27, 24, 3
	v_ffbh_u32_e32 v25, v19
	v_bfe_u32 v23, v27, 27, 4
	v_min_u32_e32 v25, 32, v25
	v_subrev_u32_e32 v26, 28, v25
	v_sub_u32_e32 v25, 29, v25
	v_cmp_eq_u32_e64 s[0:1], 0, v23
	v_lshlrev_b64 v[26:27], v26, v[4:5]
	v_and_b32_e32 v26, 7, v26
	v_cndmask_b32_e64 v23, v23, v25, s[0:1]
	v_lshlrev_b32_e32 v4, 8, v4
	v_lshl_add_u32 v23, v23, 10, v54
	v_cndmask_b32_e64 v19, v19, v26, s[0:1]
	v_and_or_b32 v4, v4, s25, v23
	v_lshl_or_b32 v4, v19, 7, v4
	v_cvt_f32_f16_e32 v25, v4
.LBB243_566:                            ;   in Loop: Header=BB243_431 Depth=1
	s_or_b64 exec, exec, s[8:9]
	v_pk_mul_f32 v[26:27], v[24:25], v[34:35] op_sel_hi:[0,1]
	v_pk_mul_f32 v[28:29], v[24:25], v[28:29] op_sel_hi:[0,1]
	v_cvt_f16_f32_e32 v4, v27
	v_cvt_f16_f32_e32 v19, v26
	;; [unrolled: 1-line block ×4, first 2 shown]
	v_fma_mixlo_f16 v18, v24, v18, 0
	v_lshlrev_b32_e32 v18, 16, v18
	v_fma_mixlo_f16 v2, v24, v2, 0
	v_or_b32_sdwa v2, v18, v2 dst_sel:DWORD dst_unused:UNUSED_PAD src0_sel:DWORD src1_sel:WORD_0
	v_fma_mixlo_f16 v18, v24, v25, 0
	v_pack_b32_f16 v19, v19, v4
	v_pack_b32_f16 v23, v26, v23
	v_fma_mixlo_f16 v22, v24, v22, 0
	v_lshlrev_b32_e32 v18, 16, v18
	v_perm_b32 v4, v23, v19, s27
	v_perm_b32 v23, v23, v19, s28
	v_or_b32_sdwa v18, v18, v22 dst_sel:DWORD dst_unused:UNUSED_PAD src0_sel:DWORD src1_sel:WORD_0
	s_and_saveexec_b64 s[6:7], vcc
	s_cbranch_execz .LBB243_568
; %bb.567:                              ;   in Loop: Header=BB243_431 Depth=1
	v_lshrrev_b32_e32 v19, 16, v23
	v_cmp_lt_i32_e64 s[0:1], v46, v3
	v_accvgpr_read_b32 v24, a8
	v_lshrrev_b32_e32 v18, 16, v18
	v_cndmask_b32_e64 v19, 0, v19, s[0:1]
	v_cmp_lt_i32_e64 s[0:1], v41, v24
	s_nop 1
	v_cndmask_b32_e64 v23, 0, v23, s[0:1]
	v_perm_b32 v23, v19, v23, s29
	v_lshrrev_b32_e32 v19, 16, v4
	v_cmp_lt_i32_e64 s[0:1], v45, v3
	s_nop 1
	v_cndmask_b32_e64 v19, 0, v19, s[0:1]
	v_cmp_lt_i32_e64 s[0:1], v44, v24
	s_nop 1
	v_cndmask_b32_e64 v4, 0, v4, s[0:1]
	v_perm_b32 v4, v19, v4, s29
	v_lshrrev_b32_e32 v19, 16, v2
	v_cmp_lt_i32_e64 s[0:1], v43, v3
	s_nop 1
	v_cndmask_b32_e64 v19, 0, v19, s[0:1]
	v_cmp_lt_i32_e64 s[0:1], v42, v24
	s_nop 1
	v_cndmask_b32_e64 v2, 0, v2, s[0:1]
	v_cmp_lt_i32_e64 s[0:1], v40, v3
	v_perm_b32 v2, v19, v2, s29
	s_nop 0
	v_cndmask_b32_e64 v18, 0, v18, s[0:1]
	v_cmp_lt_i32_e64 s[0:1], v55, v24
	s_nop 1
	v_cndmask_b32_e64 v19, 0, v22, s[0:1]
	v_perm_b32 v18, v18, v19, s29
.LBB243_568:                            ;   in Loop: Header=BB243_431 Depth=1
	s_or_b64 exec, exec, s[6:7]
	;;#ASMSTART
	v_pk_mul_f16 v19, v58, v23;

	;;#ASMEND
	;;#ASMSTART
	v_pk_mul_f16 v4, v57, v4;

	;;#ASMEND
	;; [unrolled: 4-line block ×4, first 2 shown]
	v_accvgpr_read_b32 v23, a5
	;;#ASMSTART
	v_pk_add_f16 v4, v19, v4;

	;;#ASMEND
	v_accvgpr_read_b32 v22, a4
	;;#ASMSTART
	v_pk_add_f16 v2, v4, v2;

	;;#ASMEND
	s_mov_b64 s[0:1], 0
	;;#ASMSTART
	v_pk_add_f16 v2, v2, v18;

	;;#ASMEND
                                        ; implicit-def: $sgpr22
	s_nop 0
	v_lshrrev_b32_e32 v4, 16, v2
	v_and_b32_e32 v2, 0xffff, v2
	;;#ASMSTART
	v_cvt_f32_f16 v18, v2;
	;;#ASMEND
	;;#ASMSTART
	v_cvt_f32_f16 v30, v4;
	;;#ASMEND
	flat_load_dwordx2 v[26:27], v[20:21] offset:2048
	flat_load_dword v24, v[22:23]
	s_waitcnt vmcnt(0) lgkmcnt(0)
	v_cmp_gt_i16_sdwa s[6:7], v26, s17 src0_sel:BYTE_0 src1_sel:DWORD
	s_and_saveexec_b64 s[8:9], s[6:7]
	s_xor_b64 s[6:7], exec, s[8:9]
	s_cbranch_execnz .LBB243_764
; %bb.569:                              ;   in Loop: Header=BB243_431 Depth=1
	s_or_saveexec_b64 s[6:7], s[6:7]
	v_mov_b32_e32 v28, s22
	s_xor_b64 exec, exec, s[6:7]
	s_cbranch_execnz .LBB243_767
.LBB243_570:                            ;   in Loop: Header=BB243_431 Depth=1
	s_or_b64 exec, exec, s[6:7]
	s_and_saveexec_b64 s[6:7], s[0:1]
	s_cbranch_execz .LBB243_572
.LBB243_571:                            ;   in Loop: Header=BB243_431 Depth=1
	v_and_b32_e32 v2, 7, v26
	v_ffbh_u32_e32 v2, v2
	v_bfe_u32 v4, v26, 3, 4
	v_min_u32_e32 v2, 32, v2
	v_subrev_u32_e32 v19, 28, v2
	v_sub_u32_e32 v2, 29, v2
	v_cmp_eq_u32_e64 s[0:1], 0, v4
	s_nop 1
	v_cndmask_b32_e64 v2, v4, v2, s[0:1]
	v_cndmask_b32_e64 v4, 0, v19, s[0:1]
	v_lshlrev_b64 v[22:23], v4, v[26:27]
	v_lshlrev_b32_e32 v19, 8, v26
	v_lshl_add_u32 v2, v2, 10, v54
	v_lshlrev_b32_e32 v4, 7, v22
	v_and_or_b32 v2, v19, s25, v2
	v_and_or_b32 v2, v4, s26, v2
	v_cvt_f32_f16_e32 v28, v2
.LBB243_572:                            ;   in Loop: Header=BB243_431 Depth=1
	s_or_b64 exec, exec, s[6:7]
	v_lshrrev_b16_e32 v4, 8, v26
	v_cmp_lt_i16_e64 s[0:1], s17, v4
	s_mov_b64 s[6:7], 0
                                        ; implicit-def: $sgpr30
	s_and_saveexec_b64 s[8:9], s[0:1]
	s_xor_b64 s[8:9], exec, s[8:9]
	s_cbranch_execnz .LBB243_768
; %bb.573:                              ;   in Loop: Header=BB243_431 Depth=1
	s_or_saveexec_b64 s[8:9], s[8:9]
	v_mov_b32_e32 v34, s30
	s_xor_b64 exec, exec, s[8:9]
	s_cbranch_execnz .LBB243_771
.LBB243_574:                            ;   in Loop: Header=BB243_431 Depth=1
	s_or_b64 exec, exec, s[8:9]
	s_and_saveexec_b64 s[8:9], s[6:7]
	s_cbranch_execz .LBB243_576
.LBB243_575:                            ;   in Loop: Header=BB243_431 Depth=1
	v_and_b32_e32 v2, 7, v4
	v_ffbh_u32_e32 v22, v2
	v_min_u32_e32 v25, 32, v22
	v_subrev_u32_e32 v22, 28, v25
	v_bfe_u32 v19, v4, 3, 4
	v_lshlrev_b64 v[22:23], v22, v[4:5]
	v_sub_u32_e32 v23, 29, v25
	v_cmp_eq_u32_e64 s[0:1], 0, v19
	v_and_b32_e32 v22, 7, v22
	v_lshlrev_b32_e32 v4, 8, v4
	v_cndmask_b32_e64 v19, v19, v23, s[0:1]
	v_lshl_add_u32 v19, v19, 10, v54
	v_cndmask_b32_e64 v2, v2, v22, s[0:1]
	v_and_or_b32 v4, v4, s25, v19
	v_lshl_or_b32 v2, v2, 7, v4
	v_cvt_f32_f16_e32 v34, v2
.LBB243_576:                            ;   in Loop: Header=BB243_431 Depth=1
	s_or_b64 exec, exec, s[8:9]
	v_lshrrev_b32_e32 v4, 16, v26
	v_cmp_gt_i16_sdwa s[6:7], v4, s17 src0_sel:BYTE_0 src1_sel:DWORD
	s_mov_b64 s[0:1], 0
                                        ; implicit-def: $sgpr22
	s_and_saveexec_b64 s[8:9], s[6:7]
	s_xor_b64 s[6:7], exec, s[8:9]
	s_cbranch_execnz .LBB243_772
; %bb.577:                              ;   in Loop: Header=BB243_431 Depth=1
	s_or_saveexec_b64 s[6:7], s[6:7]
	v_mov_b32_e32 v29, s22
	s_xor_b64 exec, exec, s[6:7]
	s_cbranch_execnz .LBB243_775
.LBB243_578:                            ;   in Loop: Header=BB243_431 Depth=1
	s_or_b64 exec, exec, s[6:7]
	s_and_saveexec_b64 s[6:7], s[0:1]
	s_cbranch_execz .LBB243_580
.LBB243_579:                            ;   in Loop: Header=BB243_431 Depth=1
	v_bfe_u32 v2, v26, 16, 3
	v_ffbh_u32_e32 v22, v2
	v_min_u32_e32 v25, 32, v22
	v_subrev_u32_e32 v22, 28, v25
	v_bfe_u32 v19, v26, 19, 4
	v_lshlrev_b64 v[22:23], v22, v[4:5]
	v_sub_u32_e32 v23, 29, v25
	v_cmp_eq_u32_e64 s[0:1], 0, v19
	v_and_b32_e32 v22, 7, v22
	v_lshlrev_b32_e32 v4, 8, v4
	v_cndmask_b32_e64 v19, v19, v23, s[0:1]
	v_lshl_add_u32 v19, v19, 10, v54
	v_cndmask_b32_e64 v2, v2, v22, s[0:1]
	v_and_or_b32 v4, v4, s25, v19
	v_lshl_or_b32 v2, v2, 7, v4
	v_cvt_f32_f16_e32 v29, v2
.LBB243_580:                            ;   in Loop: Header=BB243_431 Depth=1
	s_or_b64 exec, exec, s[6:7]
	v_lshrrev_b32_e32 v4, 24, v26
	v_cmp_lt_i16_e64 s[0:1], s17, v4
	s_mov_b64 s[6:7], 0
                                        ; implicit-def: $sgpr30
	s_and_saveexec_b64 s[8:9], s[0:1]
	s_xor_b64 s[8:9], exec, s[8:9]
	s_cbranch_execnz .LBB243_776
; %bb.581:                              ;   in Loop: Header=BB243_431 Depth=1
	s_or_saveexec_b64 s[8:9], s[8:9]
	v_mov_b32_e32 v35, s30
	s_xor_b64 exec, exec, s[8:9]
	s_cbranch_execnz .LBB243_779
.LBB243_582:                            ;   in Loop: Header=BB243_431 Depth=1
	s_or_b64 exec, exec, s[8:9]
	s_and_saveexec_b64 s[8:9], s[6:7]
	s_cbranch_execz .LBB243_584
.LBB243_583:                            ;   in Loop: Header=BB243_431 Depth=1
	v_bfe_u32 v2, v26, 24, 3
	v_ffbh_u32_e32 v22, v2
	v_min_u32_e32 v25, 32, v22
	v_subrev_u32_e32 v22, 28, v25
	v_bfe_u32 v19, v26, 27, 4
	v_lshlrev_b64 v[22:23], v22, v[4:5]
	v_sub_u32_e32 v23, 29, v25
	v_cmp_eq_u32_e64 s[0:1], 0, v19
	v_and_b32_e32 v22, 7, v22
	v_lshlrev_b32_e32 v4, 8, v4
	v_cndmask_b32_e64 v19, v19, v23, s[0:1]
	v_lshl_add_u32 v19, v19, 10, v54
	v_cndmask_b32_e64 v2, v2, v22, s[0:1]
	v_and_or_b32 v4, v4, s25, v19
	v_lshl_or_b32 v2, v2, 7, v4
	v_cvt_f32_f16_e32 v35, v2
.LBB243_584:                            ;   in Loop: Header=BB243_431 Depth=1
	s_or_b64 exec, exec, s[8:9]
	v_cmp_gt_i16_sdwa s[6:7], v27, s17 src0_sel:BYTE_0 src1_sel:DWORD
	s_mov_b64 s[0:1], 0
                                        ; implicit-def: $sgpr22
	s_and_saveexec_b64 s[8:9], s[6:7]
	s_xor_b64 s[6:7], exec, s[8:9]
	s_cbranch_execnz .LBB243_780
; %bb.585:                              ;   in Loop: Header=BB243_431 Depth=1
	s_or_saveexec_b64 s[6:7], s[6:7]
	v_mov_b32_e32 v2, s22
	s_xor_b64 exec, exec, s[6:7]
	s_cbranch_execnz .LBB243_783
.LBB243_586:                            ;   in Loop: Header=BB243_431 Depth=1
	s_or_b64 exec, exec, s[6:7]
	v_mov_b32_e32 v4, v27
	s_and_saveexec_b64 s[6:7], s[0:1]
	s_cbranch_execz .LBB243_588
.LBB243_587:                            ;   in Loop: Header=BB243_431 Depth=1
	v_and_b32_e32 v2, 7, v27
	v_ffbh_u32_e32 v2, v2
	v_bfe_u32 v19, v27, 3, 4
	v_min_u32_e32 v2, 32, v2
	v_subrev_u32_e32 v22, 28, v2
	v_sub_u32_e32 v2, 29, v2
	v_cmp_eq_u32_e64 s[0:1], 0, v19
	s_nop 1
	v_cndmask_b32_e64 v2, v19, v2, s[0:1]
	v_cndmask_b32_e64 v19, 0, v22, s[0:1]
	v_lshlrev_b64 v[22:23], v19, v[4:5]
	v_lshlrev_b32_e32 v19, 7, v22
	v_lshlrev_b32_e32 v22, 8, v27
	v_lshl_add_u32 v2, v2, 10, v54
	v_and_or_b32 v2, v22, s25, v2
	v_and_or_b32 v2, v19, s26, v2
	v_cvt_f32_f16_e32 v2, v2
.LBB243_588:                            ;   in Loop: Header=BB243_431 Depth=1
	s_or_b64 exec, exec, s[6:7]
	v_lshrrev_b16_e32 v4, 8, v4
	v_cmp_lt_i16_e64 s[0:1], s17, v4
	s_mov_b64 s[6:7], 0
                                        ; implicit-def: $sgpr30
	s_and_saveexec_b64 s[8:9], s[0:1]
	s_xor_b64 s[8:9], exec, s[8:9]
	s_cbranch_execnz .LBB243_784
; %bb.589:                              ;   in Loop: Header=BB243_431 Depth=1
	s_or_saveexec_b64 s[8:9], s[8:9]
	v_mov_b32_e32 v22, s30
	s_xor_b64 exec, exec, s[8:9]
	s_cbranch_execnz .LBB243_787
.LBB243_590:                            ;   in Loop: Header=BB243_431 Depth=1
	s_or_b64 exec, exec, s[8:9]
	s_and_saveexec_b64 s[8:9], s[6:7]
	s_cbranch_execz .LBB243_592
.LBB243_591:                            ;   in Loop: Header=BB243_431 Depth=1
	v_and_b32_e32 v19, 7, v4
	v_ffbh_u32_e32 v22, v19
	v_min_u32_e32 v26, 32, v22
	v_subrev_u32_e32 v22, 28, v26
	v_bfe_u32 v25, v4, 3, 4
	v_lshlrev_b64 v[22:23], v22, v[4:5]
	v_sub_u32_e32 v23, 29, v26
	v_cmp_eq_u32_e64 s[0:1], 0, v25
	v_and_b32_e32 v22, 7, v22
	v_lshlrev_b32_e32 v4, 8, v4
	v_cndmask_b32_e64 v23, v25, v23, s[0:1]
	v_cndmask_b32_e64 v19, v19, v22, s[0:1]
	v_lshl_add_u32 v22, v23, 10, v54
	v_and_or_b32 v4, v4, s25, v22
	v_lshl_or_b32 v4, v19, 7, v4
	v_cvt_f32_f16_e32 v22, v4
.LBB243_592:                            ;   in Loop: Header=BB243_431 Depth=1
	s_or_b64 exec, exec, s[8:9]
	v_lshrrev_b32_e32 v4, 16, v27
	v_cmp_gt_i16_sdwa s[6:7], v4, s17 src0_sel:BYTE_0 src1_sel:DWORD
	s_mov_b64 s[0:1], 0
                                        ; implicit-def: $sgpr22
	s_and_saveexec_b64 s[8:9], s[6:7]
	s_xor_b64 s[6:7], exec, s[8:9]
	s_cbranch_execnz .LBB243_788
; %bb.593:                              ;   in Loop: Header=BB243_431 Depth=1
	s_or_saveexec_b64 s[6:7], s[6:7]
	v_mov_b32_e32 v23, s22
	s_xor_b64 exec, exec, s[6:7]
	s_cbranch_execnz .LBB243_791
.LBB243_594:                            ;   in Loop: Header=BB243_431 Depth=1
	s_or_b64 exec, exec, s[6:7]
	s_and_saveexec_b64 s[6:7], s[0:1]
	s_cbranch_execz .LBB243_596
.LBB243_595:                            ;   in Loop: Header=BB243_431 Depth=1
	v_bfe_u32 v19, v27, 16, 3
	v_ffbh_u32_e32 v25, v19
	v_bfe_u32 v23, v27, 19, 4
	v_min_u32_e32 v25, 32, v25
	v_subrev_u32_e32 v26, 28, v25
	v_sub_u32_e32 v25, 29, v25
	v_cmp_eq_u32_e64 s[0:1], 0, v23
	v_lshlrev_b64 v[36:37], v26, v[4:5]
	v_and_b32_e32 v26, 7, v36
	v_cndmask_b32_e64 v23, v23, v25, s[0:1]
	v_lshlrev_b32_e32 v4, 8, v4
	v_lshl_add_u32 v23, v23, 10, v54
	v_cndmask_b32_e64 v19, v19, v26, s[0:1]
	v_and_or_b32 v4, v4, s25, v23
	v_lshl_or_b32 v4, v19, 7, v4
	v_cvt_f32_f16_e32 v23, v4
.LBB243_596:                            ;   in Loop: Header=BB243_431 Depth=1
	s_or_b64 exec, exec, s[6:7]
	v_lshrrev_b32_e32 v4, 24, v27
	v_cmp_lt_i16_e64 s[0:1], s17, v4
	s_mov_b64 s[6:7], 0
                                        ; implicit-def: $sgpr30
	s_and_saveexec_b64 s[8:9], s[0:1]
	s_xor_b64 s[8:9], exec, s[8:9]
	s_cbranch_execnz .LBB243_792
; %bb.597:                              ;   in Loop: Header=BB243_431 Depth=1
	s_or_saveexec_b64 s[8:9], s[8:9]
	v_mov_b32_e32 v26, s30
	s_xor_b64 exec, exec, s[8:9]
	s_cbranch_execnz .LBB243_795
.LBB243_598:                            ;   in Loop: Header=BB243_431 Depth=1
	s_or_b64 exec, exec, s[8:9]
	s_and_saveexec_b64 s[8:9], s[6:7]
	s_cbranch_execz .LBB243_600
.LBB243_599:                            ;   in Loop: Header=BB243_431 Depth=1
	v_bfe_u32 v19, v27, 24, 3
	v_ffbh_u32_e32 v26, v19
	v_min_u32_e32 v31, 32, v26
	v_subrev_u32_e32 v26, 28, v31
	v_bfe_u32 v25, v27, 27, 4
	v_lshlrev_b64 v[26:27], v26, v[4:5]
	v_sub_u32_e32 v27, 29, v31
	v_cmp_eq_u32_e64 s[0:1], 0, v25
	v_and_b32_e32 v26, 7, v26
	v_lshlrev_b32_e32 v4, 8, v4
	v_cndmask_b32_e64 v25, v25, v27, s[0:1]
	v_lshl_add_u32 v25, v25, 10, v54
	v_cndmask_b32_e64 v19, v19, v26, s[0:1]
	v_and_or_b32 v4, v4, s25, v25
	v_lshl_or_b32 v4, v19, 7, v4
	v_cvt_f32_f16_e32 v26, v4
.LBB243_600:                            ;   in Loop: Header=BB243_431 Depth=1
	s_or_b64 exec, exec, s[8:9]
	v_pk_mul_f32 v[34:35], v[24:25], v[34:35] op_sel_hi:[0,1]
	v_pk_mul_f32 v[28:29], v[24:25], v[28:29] op_sel_hi:[0,1]
	v_cvt_f16_f32_e32 v4, v35
	v_cvt_f16_f32_e32 v19, v34
	;; [unrolled: 1-line block ×4, first 2 shown]
	v_fma_mixlo_f16 v2, v24, v2, 0
	v_pack_b32_f16 v19, v19, v4
	v_fma_mixlo_f16 v23, v24, v23, 0
	v_pack_b32_f16 v25, v27, v25
	v_perm_b32 v4, v25, v19, s27
	v_perm_b32 v25, v25, v19, s28
	v_fma_mixlo_f16 v19, v24, v22, 0
	v_lshlrev_b32_e32 v19, 16, v19
	v_or_b32_sdwa v2, v19, v2 dst_sel:DWORD dst_unused:UNUSED_PAD src0_sel:DWORD src1_sel:WORD_0
	v_fma_mixlo_f16 v19, v24, v26, 0
	v_lshlrev_b32_e32 v19, 16, v19
	v_or_b32_sdwa v22, v19, v23 dst_sel:DWORD dst_unused:UNUSED_PAD src0_sel:DWORD src1_sel:WORD_0
	s_and_saveexec_b64 s[6:7], vcc
	s_cbranch_execz .LBB243_602
; %bb.601:                              ;   in Loop: Header=BB243_431 Depth=1
	v_lshrrev_b32_e32 v19, 16, v25
	v_cmp_lt_i32_e64 s[0:1], v46, v3
	v_accvgpr_read_b32 v26, a8
	s_nop 0
	v_cndmask_b32_e64 v19, 0, v19, s[0:1]
	v_cmp_lt_i32_e64 s[0:1], v41, v26
	s_nop 1
	v_cndmask_b32_e64 v24, 0, v25, s[0:1]
	v_perm_b32 v25, v19, v24, s29
	v_lshrrev_b32_e32 v19, 16, v4
	v_cmp_lt_i32_e64 s[0:1], v45, v3
	s_nop 1
	v_cndmask_b32_e64 v19, 0, v19, s[0:1]
	v_cmp_lt_i32_e64 s[0:1], v44, v26
	s_nop 1
	v_cndmask_b32_e64 v4, 0, v4, s[0:1]
	v_perm_b32 v4, v19, v4, s29
	v_lshrrev_b32_e32 v19, 16, v2
	v_cmp_lt_i32_e64 s[0:1], v43, v3
	;; [unrolled: 8-line block ×3, first 2 shown]
	s_nop 1
	v_cndmask_b32_e64 v19, 0, v19, s[0:1]
	v_cmp_lt_i32_e64 s[0:1], v55, v26
	s_nop 1
	v_cndmask_b32_e64 v22, 0, v23, s[0:1]
	v_perm_b32 v22, v19, v22, s29
.LBB243_602:                            ;   in Loop: Header=BB243_431 Depth=1
	s_or_b64 exec, exec, s[6:7]
	;;#ASMSTART
	v_pk_mul_f16 v19, v58, v25;

	;;#ASMEND
	;;#ASMSTART
	v_pk_mul_f16 v4, v57, v4;

	;;#ASMEND
	;; [unrolled: 4-line block ×4, first 2 shown]
	s_mov_b64 s[0:1], 0
	;;#ASMSTART
	v_pk_add_f16 v4, v19, v4;

	;;#ASMEND
                                        ; implicit-def: $sgpr22
	s_nop 0
	;;#ASMSTART
	v_pk_add_f16 v2, v4, v2;

	;;#ASMEND
	s_nop 0
	;;#ASMSTART
	v_pk_add_f16 v2, v2, v22;

	;;#ASMEND
	s_nop 0
	v_lshrrev_b32_e32 v4, 16, v2
	v_and_b32_e32 v2, 0xffff, v2
	;;#ASMSTART
	v_cvt_f32_f16 v2, v2;
	;;#ASMEND
	;;#ASMSTART
	v_cvt_f32_f16 v33, v4;
	;;#ASMEND
	flat_load_dwordx2 v[24:25], v[20:21] offset:2560
	v_accvgpr_read_b32 v21, a5
	v_accvgpr_read_b32 v20, a4
	flat_load_dword v20, v[20:21]
	s_waitcnt vmcnt(0) lgkmcnt(0)
	v_cmp_gt_i16_sdwa s[6:7], v24, s17 src0_sel:BYTE_0 src1_sel:DWORD
	s_and_saveexec_b64 s[8:9], s[6:7]
	s_xor_b64 s[6:7], exec, s[8:9]
	s_cbranch_execnz .LBB243_796
; %bb.603:                              ;   in Loop: Header=BB243_431 Depth=1
	s_or_saveexec_b64 s[6:7], s[6:7]
	v_mov_b32_e32 v26, s22
	s_xor_b64 exec, exec, s[6:7]
	s_cbranch_execnz .LBB243_799
.LBB243_604:                            ;   in Loop: Header=BB243_431 Depth=1
	s_or_b64 exec, exec, s[6:7]
	s_and_saveexec_b64 s[6:7], s[0:1]
	s_cbranch_execz .LBB243_606
.LBB243_605:                            ;   in Loop: Header=BB243_431 Depth=1
	v_and_b32_e32 v4, 7, v24
	v_ffbh_u32_e32 v4, v4
	v_bfe_u32 v19, v24, 3, 4
	v_min_u32_e32 v4, 32, v4
	v_subrev_u32_e32 v21, 28, v4
	v_sub_u32_e32 v4, 29, v4
	v_cmp_eq_u32_e64 s[0:1], 0, v19
	s_nop 1
	v_cndmask_b32_e64 v4, v19, v4, s[0:1]
	v_cndmask_b32_e64 v19, 0, v21, s[0:1]
	v_lshlrev_b64 v[22:23], v19, v[24:25]
	v_lshlrev_b32_e32 v21, 8, v24
	v_lshl_add_u32 v4, v4, 10, v54
	v_lshlrev_b32_e32 v19, 7, v22
	v_and_or_b32 v4, v21, s25, v4
	v_and_or_b32 v4, v19, s26, v4
	v_cvt_f32_f16_e32 v26, v4
.LBB243_606:                            ;   in Loop: Header=BB243_431 Depth=1
	s_or_b64 exec, exec, s[6:7]
	v_lshrrev_b16_e32 v4, 8, v24
	v_cmp_lt_i16_e64 s[0:1], s17, v4
	s_mov_b64 s[6:7], 0
                                        ; implicit-def: $sgpr30
	s_and_saveexec_b64 s[8:9], s[0:1]
	s_xor_b64 s[8:9], exec, s[8:9]
	s_cbranch_execnz .LBB243_800
; %bb.607:                              ;   in Loop: Header=BB243_431 Depth=1
	s_or_saveexec_b64 s[8:9], s[8:9]
	v_mov_b32_e32 v28, s30
	s_xor_b64 exec, exec, s[8:9]
	s_cbranch_execnz .LBB243_803
.LBB243_608:                            ;   in Loop: Header=BB243_431 Depth=1
	s_or_b64 exec, exec, s[8:9]
	s_and_saveexec_b64 s[8:9], s[6:7]
	s_cbranch_execz .LBB243_610
.LBB243_609:                            ;   in Loop: Header=BB243_431 Depth=1
	v_and_b32_e32 v19, 7, v4
	v_ffbh_u32_e32 v22, v19
	v_min_u32_e32 v27, 32, v22
	v_subrev_u32_e32 v22, 28, v27
	v_bfe_u32 v21, v4, 3, 4
	v_lshlrev_b64 v[22:23], v22, v[4:5]
	v_sub_u32_e32 v23, 29, v27
	v_cmp_eq_u32_e64 s[0:1], 0, v21
	v_and_b32_e32 v22, 7, v22
	v_lshlrev_b32_e32 v4, 8, v4
	v_cndmask_b32_e64 v21, v21, v23, s[0:1]
	v_lshl_add_u32 v21, v21, 10, v54
	v_cndmask_b32_e64 v19, v19, v22, s[0:1]
	v_and_or_b32 v4, v4, s25, v21
	v_lshl_or_b32 v4, v19, 7, v4
	v_cvt_f32_f16_e32 v28, v4
.LBB243_610:                            ;   in Loop: Header=BB243_431 Depth=1
	s_or_b64 exec, exec, s[8:9]
	v_lshrrev_b32_e32 v4, 16, v24
	v_cmp_gt_i16_sdwa s[6:7], v4, s17 src0_sel:BYTE_0 src1_sel:DWORD
	s_mov_b64 s[0:1], 0
                                        ; implicit-def: $sgpr22
	s_and_saveexec_b64 s[8:9], s[6:7]
	s_xor_b64 s[6:7], exec, s[8:9]
	s_cbranch_execnz .LBB243_804
; %bb.611:                              ;   in Loop: Header=BB243_431 Depth=1
	s_or_saveexec_b64 s[6:7], s[6:7]
	v_mov_b32_e32 v27, s22
	s_xor_b64 exec, exec, s[6:7]
	s_cbranch_execnz .LBB243_807
.LBB243_612:                            ;   in Loop: Header=BB243_431 Depth=1
	s_or_b64 exec, exec, s[6:7]
	s_and_saveexec_b64 s[6:7], s[0:1]
	s_cbranch_execz .LBB243_614
.LBB243_613:                            ;   in Loop: Header=BB243_431 Depth=1
	v_bfe_u32 v19, v24, 16, 3
	v_ffbh_u32_e32 v22, v19
	v_min_u32_e32 v27, 32, v22
	v_subrev_u32_e32 v22, 28, v27
	v_bfe_u32 v21, v24, 19, 4
	v_lshlrev_b64 v[22:23], v22, v[4:5]
	v_sub_u32_e32 v23, 29, v27
	v_cmp_eq_u32_e64 s[0:1], 0, v21
	v_and_b32_e32 v22, 7, v22
	v_lshlrev_b32_e32 v4, 8, v4
	v_cndmask_b32_e64 v21, v21, v23, s[0:1]
	v_lshl_add_u32 v21, v21, 10, v54
	v_cndmask_b32_e64 v19, v19, v22, s[0:1]
	v_and_or_b32 v4, v4, s25, v21
	v_lshl_or_b32 v4, v19, 7, v4
	v_cvt_f32_f16_e32 v27, v4
.LBB243_614:                            ;   in Loop: Header=BB243_431 Depth=1
	s_or_b64 exec, exec, s[6:7]
	v_lshrrev_b32_e32 v4, 24, v24
	v_cmp_lt_i16_e64 s[0:1], s17, v4
	s_mov_b64 s[6:7], 0
                                        ; implicit-def: $sgpr30
	s_and_saveexec_b64 s[8:9], s[0:1]
	s_xor_b64 s[8:9], exec, s[8:9]
	s_cbranch_execnz .LBB243_808
; %bb.615:                              ;   in Loop: Header=BB243_431 Depth=1
	s_or_saveexec_b64 s[8:9], s[8:9]
	v_mov_b32_e32 v29, s30
	s_xor_b64 exec, exec, s[8:9]
	s_cbranch_execnz .LBB243_811
.LBB243_616:                            ;   in Loop: Header=BB243_431 Depth=1
	s_or_b64 exec, exec, s[8:9]
	s_and_saveexec_b64 s[8:9], s[6:7]
	s_cbranch_execz .LBB243_618
.LBB243_617:                            ;   in Loop: Header=BB243_431 Depth=1
	v_bfe_u32 v19, v24, 24, 3
	v_ffbh_u32_e32 v22, v19
	v_bfe_u32 v21, v24, 27, 4
	v_min_u32_e32 v24, 32, v22
	v_subrev_u32_e32 v22, 28, v24
	v_lshlrev_b64 v[22:23], v22, v[4:5]
	v_sub_u32_e32 v23, 29, v24
	v_cmp_eq_u32_e64 s[0:1], 0, v21
	v_and_b32_e32 v22, 7, v22
	v_lshlrev_b32_e32 v4, 8, v4
	v_cndmask_b32_e64 v21, v21, v23, s[0:1]
	v_lshl_add_u32 v21, v21, 10, v54
	v_cndmask_b32_e64 v19, v19, v22, s[0:1]
	v_and_or_b32 v4, v4, s25, v21
	v_lshl_or_b32 v4, v19, 7, v4
	v_cvt_f32_f16_e32 v29, v4
.LBB243_618:                            ;   in Loop: Header=BB243_431 Depth=1
	s_or_b64 exec, exec, s[8:9]
	v_cmp_gt_i16_sdwa s[6:7], v25, s17 src0_sel:BYTE_0 src1_sel:DWORD
	s_mov_b64 s[0:1], 0
                                        ; implicit-def: $sgpr22
	s_and_saveexec_b64 s[8:9], s[6:7]
	s_xor_b64 s[6:7], exec, s[8:9]
	s_cbranch_execnz .LBB243_812
; %bb.619:                              ;   in Loop: Header=BB243_431 Depth=1
	s_or_saveexec_b64 s[6:7], s[6:7]
	v_mov_b32_e32 v21, s22
	s_xor_b64 exec, exec, s[6:7]
	s_cbranch_execnz .LBB243_815
.LBB243_620:                            ;   in Loop: Header=BB243_431 Depth=1
	s_or_b64 exec, exec, s[6:7]
	v_mov_b32_e32 v4, v25
	s_and_saveexec_b64 s[6:7], s[0:1]
	s_cbranch_execz .LBB243_622
.LBB243_621:                            ;   in Loop: Header=BB243_431 Depth=1
	v_and_b32_e32 v19, 7, v25
	v_ffbh_u32_e32 v19, v19
	v_bfe_u32 v21, v25, 3, 4
	v_min_u32_e32 v19, 32, v19
	v_subrev_u32_e32 v22, 28, v19
	v_sub_u32_e32 v19, 29, v19
	v_cmp_eq_u32_e64 s[0:1], 0, v21
	s_nop 1
	v_cndmask_b32_e64 v19, v21, v19, s[0:1]
	v_cndmask_b32_e64 v21, 0, v22, s[0:1]
	v_lshlrev_b64 v[22:23], v21, v[4:5]
	v_lshlrev_b32_e32 v21, 7, v22
	v_lshlrev_b32_e32 v22, 8, v25
	v_lshl_add_u32 v19, v19, 10, v54
	v_and_or_b32 v19, v22, s25, v19
	v_and_or_b32 v19, v21, s26, v19
	v_cvt_f32_f16_e32 v21, v19
.LBB243_622:                            ;   in Loop: Header=BB243_431 Depth=1
	s_or_b64 exec, exec, s[6:7]
	v_lshrrev_b16_e32 v4, 8, v4
	v_cmp_lt_i16_e64 s[0:1], s17, v4
	s_mov_b64 s[6:7], 0
                                        ; implicit-def: $sgpr30
	s_and_saveexec_b64 s[8:9], s[0:1]
	s_xor_b64 s[8:9], exec, s[8:9]
	s_cbranch_execnz .LBB243_816
; %bb.623:                              ;   in Loop: Header=BB243_431 Depth=1
	s_or_saveexec_b64 s[8:9], s[8:9]
	v_mov_b32_e32 v22, s30
	s_xor_b64 exec, exec, s[8:9]
	s_cbranch_execnz .LBB243_819
.LBB243_624:                            ;   in Loop: Header=BB243_431 Depth=1
	s_or_b64 exec, exec, s[8:9]
	s_and_saveexec_b64 s[8:9], s[6:7]
	s_cbranch_execz .LBB243_626
.LBB243_625:                            ;   in Loop: Header=BB243_431 Depth=1
	v_and_b32_e32 v19, 7, v4
	v_ffbh_u32_e32 v22, v19
	v_min_u32_e32 v31, 32, v22
	v_subrev_u32_e32 v22, 28, v31
	v_bfe_u32 v24, v4, 3, 4
	v_lshlrev_b64 v[22:23], v22, v[4:5]
	v_sub_u32_e32 v23, 29, v31
	v_cmp_eq_u32_e64 s[0:1], 0, v24
	v_and_b32_e32 v22, 7, v22
	v_lshlrev_b32_e32 v4, 8, v4
	v_cndmask_b32_e64 v23, v24, v23, s[0:1]
	v_cndmask_b32_e64 v19, v19, v22, s[0:1]
	v_lshl_add_u32 v22, v23, 10, v54
	v_and_or_b32 v4, v4, s25, v22
	v_lshl_or_b32 v4, v19, 7, v4
	v_cvt_f32_f16_e32 v22, v4
.LBB243_626:                            ;   in Loop: Header=BB243_431 Depth=1
	s_or_b64 exec, exec, s[8:9]
	v_lshrrev_b32_e32 v4, 16, v25
	v_cmp_gt_i16_sdwa s[6:7], v4, s17 src0_sel:BYTE_0 src1_sel:DWORD
	s_mov_b64 s[0:1], 0
                                        ; implicit-def: $sgpr22
	s_and_saveexec_b64 s[8:9], s[6:7]
	s_xor_b64 s[6:7], exec, s[8:9]
	s_cbranch_execnz .LBB243_820
; %bb.627:                              ;   in Loop: Header=BB243_431 Depth=1
	s_or_saveexec_b64 s[6:7], s[6:7]
	v_mov_b32_e32 v23, s22
	s_xor_b64 exec, exec, s[6:7]
	s_cbranch_execnz .LBB243_823
.LBB243_628:                            ;   in Loop: Header=BB243_431 Depth=1
	s_or_b64 exec, exec, s[6:7]
	s_and_saveexec_b64 s[6:7], s[0:1]
	s_cbranch_execz .LBB243_630
.LBB243_629:                            ;   in Loop: Header=BB243_431 Depth=1
	v_bfe_u32 v19, v25, 16, 3
	v_ffbh_u32_e32 v24, v19
	v_bfe_u32 v23, v25, 19, 4
	v_min_u32_e32 v24, 32, v24
	v_subrev_u32_e32 v31, 28, v24
	v_sub_u32_e32 v24, 29, v24
	v_cmp_eq_u32_e64 s[0:1], 0, v23
	v_lshlrev_b64 v[34:35], v31, v[4:5]
	v_and_b32_e32 v31, 7, v34
	v_cndmask_b32_e64 v23, v23, v24, s[0:1]
	v_lshlrev_b32_e32 v4, 8, v4
	v_lshl_add_u32 v23, v23, 10, v54
	v_cndmask_b32_e64 v19, v19, v31, s[0:1]
	v_and_or_b32 v4, v4, s25, v23
	v_lshl_or_b32 v4, v19, 7, v4
	v_cvt_f32_f16_e32 v23, v4
.LBB243_630:                            ;   in Loop: Header=BB243_431 Depth=1
	s_or_b64 exec, exec, s[6:7]
	v_lshrrev_b32_e32 v4, 24, v25
	v_cmp_lt_i16_e64 s[0:1], s17, v4
	s_mov_b64 s[6:7], 0
                                        ; implicit-def: $sgpr30
	s_and_saveexec_b64 s[8:9], s[0:1]
	s_xor_b64 s[8:9], exec, s[8:9]
	s_cbranch_execnz .LBB243_824
; %bb.631:                              ;   in Loop: Header=BB243_431 Depth=1
	s_or_saveexec_b64 s[8:9], s[8:9]
	v_mov_b32_e32 v31, s30
	s_xor_b64 exec, exec, s[8:9]
	s_cbranch_execnz .LBB243_827
.LBB243_632:                            ;   in Loop: Header=BB243_431 Depth=1
	s_or_b64 exec, exec, s[8:9]
	s_and_saveexec_b64 s[8:9], s[6:7]
	s_cbranch_execz .LBB243_634
.LBB243_633:                            ;   in Loop: Header=BB243_431 Depth=1
	v_bfe_u32 v19, v25, 24, 3
	v_ffbh_u32_e32 v24, v19
	v_min_u32_e32 v32, 32, v24
	v_subrev_u32_e32 v24, 28, v32
	v_bfe_u32 v31, v25, 27, 4
	v_lshlrev_b64 v[24:25], v24, v[4:5]
	v_sub_u32_e32 v25, 29, v32
	v_cmp_eq_u32_e64 s[0:1], 0, v31
	v_and_b32_e32 v24, 7, v24
	v_lshlrev_b32_e32 v4, 8, v4
	v_cndmask_b32_e64 v25, v31, v25, s[0:1]
	v_cndmask_b32_e64 v19, v19, v24, s[0:1]
	v_lshl_add_u32 v24, v25, 10, v54
	v_and_or_b32 v4, v4, s25, v24
	v_lshl_or_b32 v4, v19, 7, v4
	v_cvt_f32_f16_e32 v31, v4
.LBB243_634:                            ;   in Loop: Header=BB243_431 Depth=1
	s_or_b64 exec, exec, s[8:9]
	v_pk_mul_f32 v[24:25], v[20:21], v[28:29] op_sel_hi:[0,1]
	v_pk_mul_f32 v[26:27], v[20:21], v[26:27] op_sel_hi:[0,1]
	v_cvt_f16_f32_e32 v4, v25
	v_cvt_f16_f32_e32 v19, v24
	;; [unrolled: 1-line block ×4, first 2 shown]
	v_fma_mixlo_f16 v21, v20, v21, 0
	v_pack_b32_f16 v19, v19, v4
	v_pack_b32_f16 v24, v25, v24
	v_perm_b32 v4, v24, v19, s27
	v_perm_b32 v24, v24, v19, s28
	v_fma_mixlo_f16 v19, v20, v22, 0
	v_lshlrev_b32_e32 v19, 16, v19
	v_or_b32_sdwa v21, v19, v21 dst_sel:DWORD dst_unused:UNUSED_PAD src0_sel:DWORD src1_sel:WORD_0
	v_fma_mixlo_f16 v19, v20, v31, 0
	v_fma_mixlo_f16 v22, v20, v23, 0
	v_lshlrev_b32_e32 v19, 16, v19
	v_or_b32_sdwa v20, v19, v22 dst_sel:DWORD dst_unused:UNUSED_PAD src0_sel:DWORD src1_sel:WORD_0
	s_and_saveexec_b64 s[0:1], vcc
	s_cbranch_execz .LBB243_429
; %bb.635:                              ;   in Loop: Header=BB243_431 Depth=1
	v_lshrrev_b32_e32 v19, 16, v24
	v_cmp_lt_i32_e32 vcc, v46, v3
	v_accvgpr_read_b32 v26, a8
	s_nop 0
	v_cndmask_b32_e32 v19, 0, v19, vcc
	v_cmp_lt_i32_e32 vcc, v41, v26
	s_nop 1
	v_cndmask_b32_e32 v23, 0, v24, vcc
	v_perm_b32 v24, v19, v23, s29
	v_lshrrev_b32_e32 v19, 16, v4
	v_cmp_lt_i32_e32 vcc, v45, v3
	s_nop 1
	v_cndmask_b32_e32 v19, 0, v19, vcc
	v_cmp_lt_i32_e32 vcc, v44, v26
	s_nop 1
	v_cndmask_b32_e32 v4, 0, v4, vcc
	v_perm_b32 v4, v19, v4, s29
	v_lshrrev_b32_e32 v19, 16, v21
	v_cmp_lt_i32_e32 vcc, v43, v3
	;; [unrolled: 8-line block ×3, first 2 shown]
	s_nop 1
	v_cndmask_b32_e32 v19, 0, v19, vcc
	v_cmp_lt_i32_e32 vcc, v55, v26
	s_nop 1
	v_cndmask_b32_e32 v20, 0, v22, vcc
	v_perm_b32 v20, v19, v20, s29
	s_branch .LBB243_429
.LBB243_636:                            ;   in Loop: Header=BB243_431 Depth=1
	v_cmp_eq_u16_sdwa vcc, v26, s24 src0_sel:BYTE_0 src1_sel:DWORD
	s_mov_b64 s[0:1], -1
                                        ; implicit-def: $sgpr22
	s_and_saveexec_b64 s[8:9], vcc
; %bb.637:                              ;   in Loop: Header=BB243_431 Depth=1
	s_mov_b32 s22, 0x7fc02000
	s_xor_b64 s[0:1], exec, -1
; %bb.638:                              ;   in Loop: Header=BB243_431 Depth=1
	s_or_b64 exec, exec, s[8:9]
	s_and_b64 s[0:1], s[0:1], exec
	s_or_saveexec_b64 s[6:7], s[6:7]
	v_mov_b32_e32 v28, s22
	s_xor_b64 exec, exec, s[6:7]
	s_cbranch_execz .LBB243_434
.LBB243_639:                            ;   in Loop: Header=BB243_431 Depth=1
	v_cmp_ne_u16_sdwa s[8:9], v26, v5 src0_sel:BYTE_0 src1_sel:DWORD
	s_andn2_b64 s[0:1], s[0:1], exec
	s_and_b64 s[8:9], s[8:9], exec
	v_mov_b32_e32 v28, 0
	s_or_b64 s[0:1], s[0:1], s[8:9]
	s_or_b64 exec, exec, s[6:7]
	s_and_saveexec_b64 s[6:7], s[0:1]
	s_cbranch_execnz .LBB243_435
	s_branch .LBB243_436
.LBB243_640:                            ;   in Loop: Header=BB243_431 Depth=1
	v_cmp_eq_u16_e32 vcc, s24, v4
	s_mov_b64 s[0:1], -1
                                        ; implicit-def: $sgpr22
	s_and_saveexec_b64 s[8:9], vcc
; %bb.641:                              ;   in Loop: Header=BB243_431 Depth=1
	s_mov_b32 s22, 0x7fc02000
	s_xor_b64 s[0:1], exec, -1
; %bb.642:                              ;   in Loop: Header=BB243_431 Depth=1
	s_or_b64 exec, exec, s[8:9]
	s_and_b64 s[0:1], s[0:1], exec
	s_or_saveexec_b64 s[6:7], s[6:7]
	v_mov_b32_e32 v34, s22
	s_xor_b64 exec, exec, s[6:7]
	s_cbranch_execz .LBB243_438
.LBB243_643:                            ;   in Loop: Header=BB243_431 Depth=1
	v_cmp_ne_u16_e32 vcc, 0, v4
	s_andn2_b64 s[0:1], s[0:1], exec
	s_and_b64 s[8:9], vcc, exec
	v_mov_b32_e32 v34, 0
	s_or_b64 s[0:1], s[0:1], s[8:9]
	s_or_b64 exec, exec, s[6:7]
	s_and_saveexec_b64 s[6:7], s[0:1]
	s_cbranch_execnz .LBB243_439
	s_branch .LBB243_440
.LBB243_644:                            ;   in Loop: Header=BB243_431 Depth=1
	v_cmp_eq_u16_sdwa vcc, v4, s24 src0_sel:BYTE_0 src1_sel:DWORD
	s_mov_b64 s[0:1], -1
                                        ; implicit-def: $sgpr22
	s_and_saveexec_b64 s[8:9], vcc
; %bb.645:                              ;   in Loop: Header=BB243_431 Depth=1
	s_mov_b32 s22, 0x7fc02000
	s_xor_b64 s[0:1], exec, -1
; %bb.646:                              ;   in Loop: Header=BB243_431 Depth=1
	s_or_b64 exec, exec, s[8:9]
	s_and_b64 s[0:1], s[0:1], exec
	s_or_saveexec_b64 s[6:7], s[6:7]
	v_mov_b32_e32 v29, s22
	s_xor_b64 exec, exec, s[6:7]
	s_cbranch_execz .LBB243_442
.LBB243_647:                            ;   in Loop: Header=BB243_431 Depth=1
	v_cmp_ne_u16_sdwa s[8:9], v4, v5 src0_sel:BYTE_0 src1_sel:DWORD
	s_andn2_b64 s[0:1], s[0:1], exec
	s_and_b64 s[8:9], s[8:9], exec
	v_mov_b32_e32 v29, 0
	s_or_b64 s[0:1], s[0:1], s[8:9]
	s_or_b64 exec, exec, s[6:7]
	s_and_saveexec_b64 s[6:7], s[0:1]
	s_cbranch_execnz .LBB243_443
	s_branch .LBB243_444
.LBB243_648:                            ;   in Loop: Header=BB243_431 Depth=1
	v_cmp_eq_u16_e32 vcc, s24, v4
	s_mov_b64 s[0:1], -1
                                        ; implicit-def: $sgpr22
	s_and_saveexec_b64 s[8:9], vcc
; %bb.649:                              ;   in Loop: Header=BB243_431 Depth=1
	s_mov_b32 s22, 0x7fc02000
	s_xor_b64 s[0:1], exec, -1
; %bb.650:                              ;   in Loop: Header=BB243_431 Depth=1
	s_or_b64 exec, exec, s[8:9]
	s_and_b64 s[0:1], s[0:1], exec
	s_or_saveexec_b64 s[6:7], s[6:7]
	v_mov_b32_e32 v35, s22
	s_xor_b64 exec, exec, s[6:7]
	s_cbranch_execz .LBB243_446
.LBB243_651:                            ;   in Loop: Header=BB243_431 Depth=1
	v_cmp_ne_u16_e32 vcc, 0, v4
	s_andn2_b64 s[0:1], s[0:1], exec
	s_and_b64 s[8:9], vcc, exec
	v_mov_b32_e32 v35, 0
	s_or_b64 s[0:1], s[0:1], s[8:9]
	s_or_b64 exec, exec, s[6:7]
	s_and_saveexec_b64 s[6:7], s[0:1]
	s_cbranch_execnz .LBB243_447
	s_branch .LBB243_448
.LBB243_652:                            ;   in Loop: Header=BB243_431 Depth=1
	v_cmp_eq_u16_sdwa vcc, v27, s24 src0_sel:BYTE_0 src1_sel:DWORD
	s_mov_b64 s[0:1], -1
                                        ; implicit-def: $sgpr22
	s_and_saveexec_b64 s[8:9], vcc
; %bb.653:                              ;   in Loop: Header=BB243_431 Depth=1
	s_mov_b32 s22, 0x7fc02000
	s_xor_b64 s[0:1], exec, -1
; %bb.654:                              ;   in Loop: Header=BB243_431 Depth=1
	s_or_b64 exec, exec, s[8:9]
	s_and_b64 s[0:1], s[0:1], exec
	s_or_saveexec_b64 s[6:7], s[6:7]
	v_mov_b32_e32 v22, s22
	s_xor_b64 exec, exec, s[6:7]
	s_cbranch_execz .LBB243_450
.LBB243_655:                            ;   in Loop: Header=BB243_431 Depth=1
	v_cmp_ne_u16_sdwa s[8:9], v27, v5 src0_sel:BYTE_0 src1_sel:DWORD
	s_andn2_b64 s[0:1], s[0:1], exec
	s_and_b64 s[8:9], s[8:9], exec
	v_mov_b32_e32 v22, 0
	s_or_b64 s[0:1], s[0:1], s[8:9]
	s_or_b64 exec, exec, s[6:7]
	v_mov_b32_e32 v4, v27
	s_and_saveexec_b64 s[6:7], s[0:1]
	s_cbranch_execnz .LBB243_451
	s_branch .LBB243_452
.LBB243_656:                            ;   in Loop: Header=BB243_431 Depth=1
	v_cmp_eq_u16_e32 vcc, s24, v4
	s_mov_b64 s[0:1], -1
                                        ; implicit-def: $sgpr22
	s_and_saveexec_b64 s[8:9], vcc
; %bb.657:                              ;   in Loop: Header=BB243_431 Depth=1
	s_mov_b32 s22, 0x7fc02000
	s_xor_b64 s[0:1], exec, -1
; %bb.658:                              ;   in Loop: Header=BB243_431 Depth=1
	s_or_b64 exec, exec, s[8:9]
	s_and_b64 s[0:1], s[0:1], exec
	s_or_saveexec_b64 s[6:7], s[6:7]
	v_mov_b32_e32 v23, s22
	s_xor_b64 exec, exec, s[6:7]
	s_cbranch_execz .LBB243_454
.LBB243_659:                            ;   in Loop: Header=BB243_431 Depth=1
	v_cmp_ne_u16_e32 vcc, 0, v4
	s_andn2_b64 s[0:1], s[0:1], exec
	s_and_b64 s[8:9], vcc, exec
	v_mov_b32_e32 v23, 0
	s_or_b64 s[0:1], s[0:1], s[8:9]
	s_or_b64 exec, exec, s[6:7]
	s_and_saveexec_b64 s[6:7], s[0:1]
	s_cbranch_execnz .LBB243_455
	s_branch .LBB243_456
.LBB243_660:                            ;   in Loop: Header=BB243_431 Depth=1
	v_cmp_eq_u16_sdwa vcc, v4, s24 src0_sel:BYTE_0 src1_sel:DWORD
	s_mov_b64 s[0:1], -1
                                        ; implicit-def: $sgpr22
	s_and_saveexec_b64 s[8:9], vcc
; %bb.661:                              ;   in Loop: Header=BB243_431 Depth=1
	s_mov_b32 s22, 0x7fc02000
	s_xor_b64 s[0:1], exec, -1
; %bb.662:                              ;   in Loop: Header=BB243_431 Depth=1
	s_or_b64 exec, exec, s[8:9]
	s_and_b64 s[0:1], s[0:1], exec
	s_or_saveexec_b64 s[6:7], s[6:7]
	v_mov_b32_e32 v26, s22
	s_xor_b64 exec, exec, s[6:7]
	s_cbranch_execz .LBB243_458
.LBB243_663:                            ;   in Loop: Header=BB243_431 Depth=1
	v_cmp_ne_u16_sdwa s[8:9], v4, v5 src0_sel:BYTE_0 src1_sel:DWORD
	s_andn2_b64 s[0:1], s[0:1], exec
	s_and_b64 s[8:9], s[8:9], exec
	v_mov_b32_e32 v26, 0
	s_or_b64 s[0:1], s[0:1], s[8:9]
	s_or_b64 exec, exec, s[6:7]
	s_and_saveexec_b64 s[6:7], s[0:1]
	s_cbranch_execnz .LBB243_459
	s_branch .LBB243_460
.LBB243_664:                            ;   in Loop: Header=BB243_431 Depth=1
	v_cmp_eq_u16_e32 vcc, s24, v4
	s_mov_b64 s[0:1], -1
                                        ; implicit-def: $sgpr22
	s_and_saveexec_b64 s[8:9], vcc
; %bb.665:                              ;   in Loop: Header=BB243_431 Depth=1
	s_mov_b32 s22, 0x7fc02000
	s_xor_b64 s[0:1], exec, -1
; %bb.666:                              ;   in Loop: Header=BB243_431 Depth=1
	s_or_b64 exec, exec, s[8:9]
	s_and_b64 s[0:1], s[0:1], exec
	s_or_saveexec_b64 s[6:7], s[6:7]
	v_mov_b32_e32 v31, s22
	s_xor_b64 exec, exec, s[6:7]
	s_cbranch_execz .LBB243_462
.LBB243_667:                            ;   in Loop: Header=BB243_431 Depth=1
	v_cmp_ne_u16_e32 vcc, 0, v4
	s_andn2_b64 s[0:1], s[0:1], exec
	s_and_b64 s[8:9], vcc, exec
	v_mov_b32_e32 v31, 0
	s_or_b64 s[0:1], s[0:1], s[8:9]
	s_or_b64 exec, exec, s[6:7]
	s_and_saveexec_b64 s[6:7], s[0:1]
	s_cbranch_execnz .LBB243_463
	s_branch .LBB243_464
.LBB243_668:                            ;   in Loop: Header=BB243_431 Depth=1
	v_cmp_eq_u16_sdwa s[30:31], v26, s24 src0_sel:BYTE_0 src1_sel:DWORD
	s_mov_b64 s[0:1], -1
                                        ; implicit-def: $sgpr22
	s_and_saveexec_b64 s[8:9], s[30:31]
; %bb.669:                              ;   in Loop: Header=BB243_431 Depth=1
	s_mov_b32 s22, 0x7fc02000
	s_xor_b64 s[0:1], exec, -1
; %bb.670:                              ;   in Loop: Header=BB243_431 Depth=1
	s_or_b64 exec, exec, s[8:9]
	s_and_b64 s[0:1], s[0:1], exec
	s_or_saveexec_b64 s[6:7], s[6:7]
	v_mov_b32_e32 v28, s22
	s_xor_b64 exec, exec, s[6:7]
	s_cbranch_execz .LBB243_468
.LBB243_671:                            ;   in Loop: Header=BB243_431 Depth=1
	v_cmp_ne_u16_sdwa s[8:9], v26, v5 src0_sel:BYTE_0 src1_sel:DWORD
	s_andn2_b64 s[0:1], s[0:1], exec
	s_and_b64 s[8:9], s[8:9], exec
	v_mov_b32_e32 v28, 0
	s_or_b64 s[0:1], s[0:1], s[8:9]
	s_or_b64 exec, exec, s[6:7]
	s_and_saveexec_b64 s[6:7], s[0:1]
	s_cbranch_execnz .LBB243_469
	s_branch .LBB243_470
.LBB243_672:                            ;   in Loop: Header=BB243_431 Depth=1
	v_cmp_eq_u16_e64 s[0:1], s24, v4
	s_mov_b64 s[6:7], -1
                                        ; implicit-def: $sgpr30
	s_and_saveexec_b64 s[22:23], s[0:1]
; %bb.673:                              ;   in Loop: Header=BB243_431 Depth=1
	s_mov_b32 s30, 0x7fc02000
	s_xor_b64 s[6:7], exec, -1
; %bb.674:                              ;   in Loop: Header=BB243_431 Depth=1
	s_or_b64 exec, exec, s[22:23]
	s_and_b64 s[6:7], s[6:7], exec
	s_or_saveexec_b64 s[8:9], s[8:9]
	v_mov_b32_e32 v34, s30
	s_xor_b64 exec, exec, s[8:9]
	s_cbranch_execz .LBB243_472
.LBB243_675:                            ;   in Loop: Header=BB243_431 Depth=1
	v_cmp_ne_u16_e64 s[0:1], 0, v4
	s_andn2_b64 s[6:7], s[6:7], exec
	s_and_b64 s[0:1], s[0:1], exec
	v_mov_b32_e32 v34, 0
	s_or_b64 s[6:7], s[6:7], s[0:1]
	s_or_b64 exec, exec, s[8:9]
	s_and_saveexec_b64 s[8:9], s[6:7]
	s_cbranch_execnz .LBB243_473
	s_branch .LBB243_474
.LBB243_676:                            ;   in Loop: Header=BB243_431 Depth=1
	v_cmp_eq_u16_sdwa s[30:31], v4, s24 src0_sel:BYTE_0 src1_sel:DWORD
	s_mov_b64 s[0:1], -1
                                        ; implicit-def: $sgpr22
	s_and_saveexec_b64 s[8:9], s[30:31]
; %bb.677:                              ;   in Loop: Header=BB243_431 Depth=1
	s_mov_b32 s22, 0x7fc02000
	s_xor_b64 s[0:1], exec, -1
; %bb.678:                              ;   in Loop: Header=BB243_431 Depth=1
	s_or_b64 exec, exec, s[8:9]
	s_and_b64 s[0:1], s[0:1], exec
	s_or_saveexec_b64 s[6:7], s[6:7]
	v_mov_b32_e32 v29, s22
	s_xor_b64 exec, exec, s[6:7]
	s_cbranch_execz .LBB243_476
.LBB243_679:                            ;   in Loop: Header=BB243_431 Depth=1
	v_cmp_ne_u16_sdwa s[8:9], v4, v5 src0_sel:BYTE_0 src1_sel:DWORD
	s_andn2_b64 s[0:1], s[0:1], exec
	s_and_b64 s[8:9], s[8:9], exec
	v_mov_b32_e32 v29, 0
	s_or_b64 s[0:1], s[0:1], s[8:9]
	s_or_b64 exec, exec, s[6:7]
	s_and_saveexec_b64 s[6:7], s[0:1]
	s_cbranch_execnz .LBB243_477
	s_branch .LBB243_478
.LBB243_680:                            ;   in Loop: Header=BB243_431 Depth=1
	v_cmp_eq_u16_e64 s[0:1], s24, v4
	s_mov_b64 s[6:7], -1
                                        ; implicit-def: $sgpr30
	s_and_saveexec_b64 s[22:23], s[0:1]
; %bb.681:                              ;   in Loop: Header=BB243_431 Depth=1
	s_mov_b32 s30, 0x7fc02000
	s_xor_b64 s[6:7], exec, -1
; %bb.682:                              ;   in Loop: Header=BB243_431 Depth=1
	s_or_b64 exec, exec, s[22:23]
	s_and_b64 s[6:7], s[6:7], exec
	s_or_saveexec_b64 s[8:9], s[8:9]
	v_mov_b32_e32 v35, s30
	s_xor_b64 exec, exec, s[8:9]
	s_cbranch_execz .LBB243_480
.LBB243_683:                            ;   in Loop: Header=BB243_431 Depth=1
	v_cmp_ne_u16_e64 s[0:1], 0, v4
	s_andn2_b64 s[6:7], s[6:7], exec
	s_and_b64 s[0:1], s[0:1], exec
	v_mov_b32_e32 v35, 0
	s_or_b64 s[6:7], s[6:7], s[0:1]
	s_or_b64 exec, exec, s[8:9]
	s_and_saveexec_b64 s[8:9], s[6:7]
	s_cbranch_execnz .LBB243_481
	s_branch .LBB243_482
.LBB243_684:                            ;   in Loop: Header=BB243_431 Depth=1
	v_cmp_eq_u16_sdwa s[30:31], v27, s24 src0_sel:BYTE_0 src1_sel:DWORD
	s_mov_b64 s[0:1], -1
                                        ; implicit-def: $sgpr22
	s_and_saveexec_b64 s[8:9], s[30:31]
; %bb.685:                              ;   in Loop: Header=BB243_431 Depth=1
	s_mov_b32 s22, 0x7fc02000
	s_xor_b64 s[0:1], exec, -1
; %bb.686:                              ;   in Loop: Header=BB243_431 Depth=1
	s_or_b64 exec, exec, s[8:9]
	s_and_b64 s[0:1], s[0:1], exec
	s_or_saveexec_b64 s[6:7], s[6:7]
	v_mov_b32_e32 v0, s22
	s_xor_b64 exec, exec, s[6:7]
	s_cbranch_execz .LBB243_484
.LBB243_687:                            ;   in Loop: Header=BB243_431 Depth=1
	v_cmp_ne_u16_sdwa s[8:9], v27, v5 src0_sel:BYTE_0 src1_sel:DWORD
	s_andn2_b64 s[0:1], s[0:1], exec
	s_and_b64 s[8:9], s[8:9], exec
	v_mov_b32_e32 v0, 0
	s_or_b64 s[0:1], s[0:1], s[8:9]
	s_or_b64 exec, exec, s[6:7]
	v_mov_b32_e32 v4, v27
	s_and_saveexec_b64 s[6:7], s[0:1]
	s_cbranch_execnz .LBB243_485
	s_branch .LBB243_486
.LBB243_688:                            ;   in Loop: Header=BB243_431 Depth=1
	v_cmp_eq_u16_e64 s[0:1], s24, v4
	s_mov_b64 s[6:7], -1
                                        ; implicit-def: $sgpr30
	s_and_saveexec_b64 s[22:23], s[0:1]
; %bb.689:                              ;   in Loop: Header=BB243_431 Depth=1
	s_mov_b32 s30, 0x7fc02000
	s_xor_b64 s[6:7], exec, -1
; %bb.690:                              ;   in Loop: Header=BB243_431 Depth=1
	s_or_b64 exec, exec, s[22:23]
	s_and_b64 s[6:7], s[6:7], exec
	s_or_saveexec_b64 s[8:9], s[8:9]
	v_mov_b32_e32 v1, s30
	s_xor_b64 exec, exec, s[8:9]
	s_cbranch_execz .LBB243_488
.LBB243_691:                            ;   in Loop: Header=BB243_431 Depth=1
	v_cmp_ne_u16_e64 s[0:1], 0, v4
	s_andn2_b64 s[6:7], s[6:7], exec
	s_and_b64 s[0:1], s[0:1], exec
	v_mov_b32_e32 v1, 0
	s_or_b64 s[6:7], s[6:7], s[0:1]
	s_or_b64 exec, exec, s[8:9]
	s_and_saveexec_b64 s[8:9], s[6:7]
	s_cbranch_execnz .LBB243_489
	s_branch .LBB243_490
.LBB243_692:                            ;   in Loop: Header=BB243_431 Depth=1
	v_cmp_eq_u16_sdwa s[30:31], v4, s24 src0_sel:BYTE_0 src1_sel:DWORD
	s_mov_b64 s[0:1], -1
                                        ; implicit-def: $sgpr22
	s_and_saveexec_b64 s[8:9], s[30:31]
; %bb.693:                              ;   in Loop: Header=BB243_431 Depth=1
	s_mov_b32 s22, 0x7fc02000
	s_xor_b64 s[0:1], exec, -1
; %bb.694:                              ;   in Loop: Header=BB243_431 Depth=1
	s_or_b64 exec, exec, s[8:9]
	s_and_b64 s[0:1], s[0:1], exec
	s_or_saveexec_b64 s[6:7], s[6:7]
	v_mov_b32_e32 v2, s22
	s_xor_b64 exec, exec, s[6:7]
	s_cbranch_execz .LBB243_492
.LBB243_695:                            ;   in Loop: Header=BB243_431 Depth=1
	v_cmp_ne_u16_sdwa s[8:9], v4, v5 src0_sel:BYTE_0 src1_sel:DWORD
	s_andn2_b64 s[0:1], s[0:1], exec
	s_and_b64 s[8:9], s[8:9], exec
	v_mov_b32_e32 v2, 0
	s_or_b64 s[0:1], s[0:1], s[8:9]
	s_or_b64 exec, exec, s[6:7]
	s_and_saveexec_b64 s[6:7], s[0:1]
	s_cbranch_execnz .LBB243_493
	s_branch .LBB243_494
.LBB243_696:                            ;   in Loop: Header=BB243_431 Depth=1
	v_cmp_eq_u16_e64 s[0:1], s24, v4
	s_mov_b64 s[6:7], -1
                                        ; implicit-def: $sgpr30
	s_and_saveexec_b64 s[22:23], s[0:1]
; %bb.697:                              ;   in Loop: Header=BB243_431 Depth=1
	s_mov_b32 s30, 0x7fc02000
	s_xor_b64 s[6:7], exec, -1
; %bb.698:                              ;   in Loop: Header=BB243_431 Depth=1
	s_or_b64 exec, exec, s[22:23]
	s_and_b64 s[6:7], s[6:7], exec
	s_or_saveexec_b64 s[8:9], s[8:9]
	v_mov_b32_e32 v22, s30
	s_xor_b64 exec, exec, s[8:9]
	s_cbranch_execz .LBB243_496
.LBB243_699:                            ;   in Loop: Header=BB243_431 Depth=1
	v_cmp_ne_u16_e64 s[0:1], 0, v4
	s_andn2_b64 s[6:7], s[6:7], exec
	s_and_b64 s[0:1], s[0:1], exec
	v_mov_b32_e32 v22, 0
	s_or_b64 s[6:7], s[6:7], s[0:1]
	s_or_b64 exec, exec, s[8:9]
	s_and_saveexec_b64 s[8:9], s[6:7]
	s_cbranch_execnz .LBB243_497
	s_branch .LBB243_498
.LBB243_700:                            ;   in Loop: Header=BB243_431 Depth=1
	v_cmp_eq_u16_sdwa s[30:31], v26, s24 src0_sel:BYTE_0 src1_sel:DWORD
	s_mov_b64 s[0:1], -1
                                        ; implicit-def: $sgpr22
	s_and_saveexec_b64 s[8:9], s[30:31]
; %bb.701:                              ;   in Loop: Header=BB243_431 Depth=1
	s_mov_b32 s22, 0x7fc02000
	s_xor_b64 s[0:1], exec, -1
; %bb.702:                              ;   in Loop: Header=BB243_431 Depth=1
	s_or_b64 exec, exec, s[8:9]
	s_and_b64 s[0:1], s[0:1], exec
	s_or_saveexec_b64 s[6:7], s[6:7]
	v_mov_b32_e32 v28, s22
	s_xor_b64 exec, exec, s[6:7]
	s_cbranch_execz .LBB243_502
.LBB243_703:                            ;   in Loop: Header=BB243_431 Depth=1
	v_cmp_ne_u16_sdwa s[8:9], v26, v5 src0_sel:BYTE_0 src1_sel:DWORD
	s_andn2_b64 s[0:1], s[0:1], exec
	s_and_b64 s[8:9], s[8:9], exec
	v_mov_b32_e32 v28, 0
	s_or_b64 s[0:1], s[0:1], s[8:9]
	s_or_b64 exec, exec, s[6:7]
	s_and_saveexec_b64 s[6:7], s[0:1]
	s_cbranch_execnz .LBB243_503
	s_branch .LBB243_504
.LBB243_704:                            ;   in Loop: Header=BB243_431 Depth=1
	v_cmp_eq_u16_e64 s[0:1], s24, v4
	s_mov_b64 s[6:7], -1
                                        ; implicit-def: $sgpr30
	s_and_saveexec_b64 s[22:23], s[0:1]
; %bb.705:                              ;   in Loop: Header=BB243_431 Depth=1
	s_mov_b32 s30, 0x7fc02000
	s_xor_b64 s[6:7], exec, -1
; %bb.706:                              ;   in Loop: Header=BB243_431 Depth=1
	s_or_b64 exec, exec, s[22:23]
	s_and_b64 s[6:7], s[6:7], exec
	s_or_saveexec_b64 s[8:9], s[8:9]
	v_mov_b32_e32 v34, s30
	s_xor_b64 exec, exec, s[8:9]
	s_cbranch_execz .LBB243_506
.LBB243_707:                            ;   in Loop: Header=BB243_431 Depth=1
	v_cmp_ne_u16_e64 s[0:1], 0, v4
	s_andn2_b64 s[6:7], s[6:7], exec
	s_and_b64 s[0:1], s[0:1], exec
	v_mov_b32_e32 v34, 0
	s_or_b64 s[6:7], s[6:7], s[0:1]
	s_or_b64 exec, exec, s[8:9]
	s_and_saveexec_b64 s[8:9], s[6:7]
	s_cbranch_execnz .LBB243_507
	s_branch .LBB243_508
.LBB243_708:                            ;   in Loop: Header=BB243_431 Depth=1
	v_cmp_eq_u16_sdwa s[30:31], v4, s24 src0_sel:BYTE_0 src1_sel:DWORD
	s_mov_b64 s[0:1], -1
                                        ; implicit-def: $sgpr22
	s_and_saveexec_b64 s[8:9], s[30:31]
; %bb.709:                              ;   in Loop: Header=BB243_431 Depth=1
	s_mov_b32 s22, 0x7fc02000
	s_xor_b64 s[0:1], exec, -1
; %bb.710:                              ;   in Loop: Header=BB243_431 Depth=1
	s_or_b64 exec, exec, s[8:9]
	s_and_b64 s[0:1], s[0:1], exec
	s_or_saveexec_b64 s[6:7], s[6:7]
	v_mov_b32_e32 v29, s22
	s_xor_b64 exec, exec, s[6:7]
	s_cbranch_execz .LBB243_510
.LBB243_711:                            ;   in Loop: Header=BB243_431 Depth=1
	v_cmp_ne_u16_sdwa s[8:9], v4, v5 src0_sel:BYTE_0 src1_sel:DWORD
	s_andn2_b64 s[0:1], s[0:1], exec
	s_and_b64 s[8:9], s[8:9], exec
	v_mov_b32_e32 v29, 0
	s_or_b64 s[0:1], s[0:1], s[8:9]
	s_or_b64 exec, exec, s[6:7]
	s_and_saveexec_b64 s[6:7], s[0:1]
	s_cbranch_execnz .LBB243_511
	s_branch .LBB243_512
.LBB243_712:                            ;   in Loop: Header=BB243_431 Depth=1
	v_cmp_eq_u16_e64 s[0:1], s24, v4
	s_mov_b64 s[6:7], -1
                                        ; implicit-def: $sgpr30
	s_and_saveexec_b64 s[22:23], s[0:1]
; %bb.713:                              ;   in Loop: Header=BB243_431 Depth=1
	s_mov_b32 s30, 0x7fc02000
	s_xor_b64 s[6:7], exec, -1
; %bb.714:                              ;   in Loop: Header=BB243_431 Depth=1
	s_or_b64 exec, exec, s[22:23]
	s_and_b64 s[6:7], s[6:7], exec
	s_or_saveexec_b64 s[8:9], s[8:9]
	v_mov_b32_e32 v35, s30
	s_xor_b64 exec, exec, s[8:9]
	s_cbranch_execz .LBB243_514
.LBB243_715:                            ;   in Loop: Header=BB243_431 Depth=1
	v_cmp_ne_u16_e64 s[0:1], 0, v4
	s_andn2_b64 s[6:7], s[6:7], exec
	s_and_b64 s[0:1], s[0:1], exec
	v_mov_b32_e32 v35, 0
	s_or_b64 s[6:7], s[6:7], s[0:1]
	s_or_b64 exec, exec, s[8:9]
	s_and_saveexec_b64 s[8:9], s[6:7]
	s_cbranch_execnz .LBB243_515
	s_branch .LBB243_516
.LBB243_716:                            ;   in Loop: Header=BB243_431 Depth=1
	v_cmp_eq_u16_sdwa s[30:31], v27, s24 src0_sel:BYTE_0 src1_sel:DWORD
	s_mov_b64 s[0:1], -1
                                        ; implicit-def: $sgpr22
	s_and_saveexec_b64 s[8:9], s[30:31]
; %bb.717:                              ;   in Loop: Header=BB243_431 Depth=1
	s_mov_b32 s22, 0x7fc02000
	s_xor_b64 s[0:1], exec, -1
; %bb.718:                              ;   in Loop: Header=BB243_431 Depth=1
	s_or_b64 exec, exec, s[8:9]
	s_and_b64 s[0:1], s[0:1], exec
	s_or_saveexec_b64 s[6:7], s[6:7]
	v_mov_b32_e32 v2, s22
	s_xor_b64 exec, exec, s[6:7]
	s_cbranch_execz .LBB243_518
.LBB243_719:                            ;   in Loop: Header=BB243_431 Depth=1
	v_cmp_ne_u16_sdwa s[8:9], v27, v5 src0_sel:BYTE_0 src1_sel:DWORD
	s_andn2_b64 s[0:1], s[0:1], exec
	s_and_b64 s[8:9], s[8:9], exec
	v_mov_b32_e32 v2, 0
	s_or_b64 s[0:1], s[0:1], s[8:9]
	s_or_b64 exec, exec, s[6:7]
	v_mov_b32_e32 v4, v27
	s_and_saveexec_b64 s[6:7], s[0:1]
	s_cbranch_execnz .LBB243_519
	s_branch .LBB243_520
.LBB243_720:                            ;   in Loop: Header=BB243_431 Depth=1
	v_cmp_eq_u16_e64 s[0:1], s24, v4
	s_mov_b64 s[6:7], -1
                                        ; implicit-def: $sgpr30
	s_and_saveexec_b64 s[22:23], s[0:1]
; %bb.721:                              ;   in Loop: Header=BB243_431 Depth=1
	s_mov_b32 s30, 0x7fc02000
	s_xor_b64 s[6:7], exec, -1
; %bb.722:                              ;   in Loop: Header=BB243_431 Depth=1
	s_or_b64 exec, exec, s[22:23]
	s_and_b64 s[6:7], s[6:7], exec
	s_or_saveexec_b64 s[8:9], s[8:9]
	v_mov_b32_e32 v18, s30
	s_xor_b64 exec, exec, s[8:9]
	s_cbranch_execz .LBB243_522
.LBB243_723:                            ;   in Loop: Header=BB243_431 Depth=1
	v_cmp_ne_u16_e64 s[0:1], 0, v4
	s_andn2_b64 s[6:7], s[6:7], exec
	s_and_b64 s[0:1], s[0:1], exec
	v_mov_b32_e32 v18, 0
	s_or_b64 s[6:7], s[6:7], s[0:1]
	s_or_b64 exec, exec, s[8:9]
	s_and_saveexec_b64 s[8:9], s[6:7]
	s_cbranch_execnz .LBB243_523
	s_branch .LBB243_524
.LBB243_724:                            ;   in Loop: Header=BB243_431 Depth=1
	v_cmp_eq_u16_sdwa s[30:31], v4, s24 src0_sel:BYTE_0 src1_sel:DWORD
	s_mov_b64 s[0:1], -1
                                        ; implicit-def: $sgpr22
	s_and_saveexec_b64 s[8:9], s[30:31]
; %bb.725:                              ;   in Loop: Header=BB243_431 Depth=1
	s_mov_b32 s22, 0x7fc02000
	s_xor_b64 s[0:1], exec, -1
; %bb.726:                              ;   in Loop: Header=BB243_431 Depth=1
	s_or_b64 exec, exec, s[8:9]
	s_and_b64 s[0:1], s[0:1], exec
	s_or_saveexec_b64 s[6:7], s[6:7]
	v_mov_b32_e32 v22, s22
	s_xor_b64 exec, exec, s[6:7]
	s_cbranch_execz .LBB243_526
.LBB243_727:                            ;   in Loop: Header=BB243_431 Depth=1
	v_cmp_ne_u16_sdwa s[8:9], v4, v5 src0_sel:BYTE_0 src1_sel:DWORD
	s_andn2_b64 s[0:1], s[0:1], exec
	s_and_b64 s[8:9], s[8:9], exec
	v_mov_b32_e32 v22, 0
	s_or_b64 s[0:1], s[0:1], s[8:9]
	s_or_b64 exec, exec, s[6:7]
	s_and_saveexec_b64 s[6:7], s[0:1]
	s_cbranch_execnz .LBB243_527
	s_branch .LBB243_528
.LBB243_728:                            ;   in Loop: Header=BB243_431 Depth=1
	v_cmp_eq_u16_e64 s[0:1], s24, v4
	s_mov_b64 s[6:7], -1
                                        ; implicit-def: $sgpr30
	s_and_saveexec_b64 s[22:23], s[0:1]
; %bb.729:                              ;   in Loop: Header=BB243_431 Depth=1
	s_mov_b32 s30, 0x7fc02000
	s_xor_b64 s[6:7], exec, -1
; %bb.730:                              ;   in Loop: Header=BB243_431 Depth=1
	s_or_b64 exec, exec, s[22:23]
	s_and_b64 s[6:7], s[6:7], exec
	s_or_saveexec_b64 s[8:9], s[8:9]
	v_mov_b32_e32 v25, s30
	s_xor_b64 exec, exec, s[8:9]
	s_cbranch_execz .LBB243_530
.LBB243_731:                            ;   in Loop: Header=BB243_431 Depth=1
	v_cmp_ne_u16_e64 s[0:1], 0, v4
	s_andn2_b64 s[6:7], s[6:7], exec
	s_and_b64 s[0:1], s[0:1], exec
	v_mov_b32_e32 v25, 0
	s_or_b64 s[6:7], s[6:7], s[0:1]
	s_or_b64 exec, exec, s[8:9]
	s_and_saveexec_b64 s[8:9], s[6:7]
	s_cbranch_execnz .LBB243_531
	s_branch .LBB243_532
.LBB243_732:                            ;   in Loop: Header=BB243_431 Depth=1
	v_cmp_eq_u16_sdwa s[30:31], v26, s24 src0_sel:BYTE_0 src1_sel:DWORD
	s_mov_b64 s[0:1], -1
                                        ; implicit-def: $sgpr22
	s_and_saveexec_b64 s[8:9], s[30:31]
; %bb.733:                              ;   in Loop: Header=BB243_431 Depth=1
	s_mov_b32 s22, 0x7fc02000
	s_xor_b64 s[0:1], exec, -1
; %bb.734:                              ;   in Loop: Header=BB243_431 Depth=1
	s_or_b64 exec, exec, s[8:9]
	s_and_b64 s[0:1], s[0:1], exec
	s_or_saveexec_b64 s[6:7], s[6:7]
	v_mov_b32_e32 v28, s22
	s_xor_b64 exec, exec, s[6:7]
	s_cbranch_execz .LBB243_536
.LBB243_735:                            ;   in Loop: Header=BB243_431 Depth=1
	v_cmp_ne_u16_sdwa s[8:9], v26, v5 src0_sel:BYTE_0 src1_sel:DWORD
	s_andn2_b64 s[0:1], s[0:1], exec
	s_and_b64 s[8:9], s[8:9], exec
	v_mov_b32_e32 v28, 0
	s_or_b64 s[0:1], s[0:1], s[8:9]
	s_or_b64 exec, exec, s[6:7]
	s_and_saveexec_b64 s[6:7], s[0:1]
	s_cbranch_execnz .LBB243_537
	s_branch .LBB243_538
.LBB243_736:                            ;   in Loop: Header=BB243_431 Depth=1
	v_cmp_eq_u16_e64 s[0:1], s24, v4
	s_mov_b64 s[6:7], -1
                                        ; implicit-def: $sgpr30
	s_and_saveexec_b64 s[22:23], s[0:1]
; %bb.737:                              ;   in Loop: Header=BB243_431 Depth=1
	s_mov_b32 s30, 0x7fc02000
	s_xor_b64 s[6:7], exec, -1
; %bb.738:                              ;   in Loop: Header=BB243_431 Depth=1
	s_or_b64 exec, exec, s[22:23]
	s_and_b64 s[6:7], s[6:7], exec
	s_or_saveexec_b64 s[8:9], s[8:9]
	v_mov_b32_e32 v34, s30
	s_xor_b64 exec, exec, s[8:9]
	s_cbranch_execz .LBB243_540
.LBB243_739:                            ;   in Loop: Header=BB243_431 Depth=1
	v_cmp_ne_u16_e64 s[0:1], 0, v4
	s_andn2_b64 s[6:7], s[6:7], exec
	s_and_b64 s[0:1], s[0:1], exec
	v_mov_b32_e32 v34, 0
	s_or_b64 s[6:7], s[6:7], s[0:1]
	s_or_b64 exec, exec, s[8:9]
	s_and_saveexec_b64 s[8:9], s[6:7]
	s_cbranch_execnz .LBB243_541
	s_branch .LBB243_542
.LBB243_740:                            ;   in Loop: Header=BB243_431 Depth=1
	v_cmp_eq_u16_sdwa s[30:31], v4, s24 src0_sel:BYTE_0 src1_sel:DWORD
	s_mov_b64 s[0:1], -1
                                        ; implicit-def: $sgpr22
	s_and_saveexec_b64 s[8:9], s[30:31]
; %bb.741:                              ;   in Loop: Header=BB243_431 Depth=1
	s_mov_b32 s22, 0x7fc02000
	s_xor_b64 s[0:1], exec, -1
; %bb.742:                              ;   in Loop: Header=BB243_431 Depth=1
	s_or_b64 exec, exec, s[8:9]
	s_and_b64 s[0:1], s[0:1], exec
	s_or_saveexec_b64 s[6:7], s[6:7]
	v_mov_b32_e32 v29, s22
	s_xor_b64 exec, exec, s[6:7]
	s_cbranch_execz .LBB243_544
.LBB243_743:                            ;   in Loop: Header=BB243_431 Depth=1
	v_cmp_ne_u16_sdwa s[8:9], v4, v5 src0_sel:BYTE_0 src1_sel:DWORD
	s_andn2_b64 s[0:1], s[0:1], exec
	s_and_b64 s[8:9], s[8:9], exec
	v_mov_b32_e32 v29, 0
	s_or_b64 s[0:1], s[0:1], s[8:9]
	s_or_b64 exec, exec, s[6:7]
	s_and_saveexec_b64 s[6:7], s[0:1]
	s_cbranch_execnz .LBB243_545
	s_branch .LBB243_546
.LBB243_744:                            ;   in Loop: Header=BB243_431 Depth=1
	v_cmp_eq_u16_e64 s[0:1], s24, v4
	s_mov_b64 s[6:7], -1
                                        ; implicit-def: $sgpr30
	s_and_saveexec_b64 s[22:23], s[0:1]
; %bb.745:                              ;   in Loop: Header=BB243_431 Depth=1
	s_mov_b32 s30, 0x7fc02000
	s_xor_b64 s[6:7], exec, -1
; %bb.746:                              ;   in Loop: Header=BB243_431 Depth=1
	s_or_b64 exec, exec, s[22:23]
	s_and_b64 s[6:7], s[6:7], exec
	s_or_saveexec_b64 s[8:9], s[8:9]
	v_mov_b32_e32 v35, s30
	s_xor_b64 exec, exec, s[8:9]
	s_cbranch_execz .LBB243_548
.LBB243_747:                            ;   in Loop: Header=BB243_431 Depth=1
	v_cmp_ne_u16_e64 s[0:1], 0, v4
	s_andn2_b64 s[6:7], s[6:7], exec
	s_and_b64 s[0:1], s[0:1], exec
	v_mov_b32_e32 v35, 0
	s_or_b64 s[6:7], s[6:7], s[0:1]
	s_or_b64 exec, exec, s[8:9]
	s_and_saveexec_b64 s[8:9], s[6:7]
	s_cbranch_execnz .LBB243_549
	s_branch .LBB243_550
.LBB243_748:                            ;   in Loop: Header=BB243_431 Depth=1
	v_cmp_eq_u16_sdwa s[30:31], v27, s24 src0_sel:BYTE_0 src1_sel:DWORD
	s_mov_b64 s[0:1], -1
                                        ; implicit-def: $sgpr22
	s_and_saveexec_b64 s[8:9], s[30:31]
; %bb.749:                              ;   in Loop: Header=BB243_431 Depth=1
	s_mov_b32 s22, 0x7fc02000
	s_xor_b64 s[0:1], exec, -1
; %bb.750:                              ;   in Loop: Header=BB243_431 Depth=1
	s_or_b64 exec, exec, s[8:9]
	s_and_b64 s[0:1], s[0:1], exec
	s_or_saveexec_b64 s[6:7], s[6:7]
	v_mov_b32_e32 v2, s22
	s_xor_b64 exec, exec, s[6:7]
	s_cbranch_execz .LBB243_552
.LBB243_751:                            ;   in Loop: Header=BB243_431 Depth=1
	v_cmp_ne_u16_sdwa s[8:9], v27, v5 src0_sel:BYTE_0 src1_sel:DWORD
	s_andn2_b64 s[0:1], s[0:1], exec
	s_and_b64 s[8:9], s[8:9], exec
	v_mov_b32_e32 v2, 0
	s_or_b64 s[0:1], s[0:1], s[8:9]
	s_or_b64 exec, exec, s[6:7]
	v_mov_b32_e32 v4, v27
	s_and_saveexec_b64 s[6:7], s[0:1]
	s_cbranch_execnz .LBB243_553
	s_branch .LBB243_554
.LBB243_752:                            ;   in Loop: Header=BB243_431 Depth=1
	v_cmp_eq_u16_e64 s[0:1], s24, v4
	s_mov_b64 s[6:7], -1
                                        ; implicit-def: $sgpr30
	s_and_saveexec_b64 s[22:23], s[0:1]
; %bb.753:                              ;   in Loop: Header=BB243_431 Depth=1
	s_mov_b32 s30, 0x7fc02000
	s_xor_b64 s[6:7], exec, -1
; %bb.754:                              ;   in Loop: Header=BB243_431 Depth=1
	s_or_b64 exec, exec, s[22:23]
	s_and_b64 s[6:7], s[6:7], exec
	s_or_saveexec_b64 s[8:9], s[8:9]
	v_mov_b32_e32 v18, s30
	s_xor_b64 exec, exec, s[8:9]
	s_cbranch_execz .LBB243_556
.LBB243_755:                            ;   in Loop: Header=BB243_431 Depth=1
	v_cmp_ne_u16_e64 s[0:1], 0, v4
	s_andn2_b64 s[6:7], s[6:7], exec
	s_and_b64 s[0:1], s[0:1], exec
	v_mov_b32_e32 v18, 0
	s_or_b64 s[6:7], s[6:7], s[0:1]
	s_or_b64 exec, exec, s[8:9]
	s_and_saveexec_b64 s[8:9], s[6:7]
	s_cbranch_execnz .LBB243_557
	s_branch .LBB243_558
.LBB243_756:                            ;   in Loop: Header=BB243_431 Depth=1
	v_cmp_eq_u16_sdwa s[30:31], v4, s24 src0_sel:BYTE_0 src1_sel:DWORD
	s_mov_b64 s[0:1], -1
                                        ; implicit-def: $sgpr22
	s_and_saveexec_b64 s[8:9], s[30:31]
; %bb.757:                              ;   in Loop: Header=BB243_431 Depth=1
	s_mov_b32 s22, 0x7fc02000
	s_xor_b64 s[0:1], exec, -1
; %bb.758:                              ;   in Loop: Header=BB243_431 Depth=1
	s_or_b64 exec, exec, s[8:9]
	s_and_b64 s[0:1], s[0:1], exec
	s_or_saveexec_b64 s[6:7], s[6:7]
	v_mov_b32_e32 v22, s22
	s_xor_b64 exec, exec, s[6:7]
	s_cbranch_execz .LBB243_560
.LBB243_759:                            ;   in Loop: Header=BB243_431 Depth=1
	v_cmp_ne_u16_sdwa s[8:9], v4, v5 src0_sel:BYTE_0 src1_sel:DWORD
	s_andn2_b64 s[0:1], s[0:1], exec
	s_and_b64 s[8:9], s[8:9], exec
	v_mov_b32_e32 v22, 0
	s_or_b64 s[0:1], s[0:1], s[8:9]
	s_or_b64 exec, exec, s[6:7]
	s_and_saveexec_b64 s[6:7], s[0:1]
	s_cbranch_execnz .LBB243_561
	s_branch .LBB243_562
.LBB243_760:                            ;   in Loop: Header=BB243_431 Depth=1
	v_cmp_eq_u16_e64 s[0:1], s24, v4
	s_mov_b64 s[6:7], -1
                                        ; implicit-def: $sgpr30
	s_and_saveexec_b64 s[22:23], s[0:1]
; %bb.761:                              ;   in Loop: Header=BB243_431 Depth=1
	s_mov_b32 s30, 0x7fc02000
	s_xor_b64 s[6:7], exec, -1
; %bb.762:                              ;   in Loop: Header=BB243_431 Depth=1
	s_or_b64 exec, exec, s[22:23]
	s_and_b64 s[6:7], s[6:7], exec
	s_or_saveexec_b64 s[8:9], s[8:9]
	v_mov_b32_e32 v25, s30
	s_xor_b64 exec, exec, s[8:9]
	s_cbranch_execz .LBB243_564
.LBB243_763:                            ;   in Loop: Header=BB243_431 Depth=1
	v_cmp_ne_u16_e64 s[0:1], 0, v4
	s_andn2_b64 s[6:7], s[6:7], exec
	s_and_b64 s[0:1], s[0:1], exec
	v_mov_b32_e32 v25, 0
	s_or_b64 s[6:7], s[6:7], s[0:1]
	s_or_b64 exec, exec, s[8:9]
	s_and_saveexec_b64 s[8:9], s[6:7]
	s_cbranch_execnz .LBB243_565
	s_branch .LBB243_566
.LBB243_764:                            ;   in Loop: Header=BB243_431 Depth=1
	v_cmp_eq_u16_sdwa s[30:31], v26, s24 src0_sel:BYTE_0 src1_sel:DWORD
	s_mov_b64 s[0:1], -1
                                        ; implicit-def: $sgpr22
	s_and_saveexec_b64 s[8:9], s[30:31]
; %bb.765:                              ;   in Loop: Header=BB243_431 Depth=1
	s_mov_b32 s22, 0x7fc02000
	s_xor_b64 s[0:1], exec, -1
; %bb.766:                              ;   in Loop: Header=BB243_431 Depth=1
	s_or_b64 exec, exec, s[8:9]
	s_and_b64 s[0:1], s[0:1], exec
	s_or_saveexec_b64 s[6:7], s[6:7]
	v_mov_b32_e32 v28, s22
	s_xor_b64 exec, exec, s[6:7]
	s_cbranch_execz .LBB243_570
.LBB243_767:                            ;   in Loop: Header=BB243_431 Depth=1
	v_cmp_ne_u16_sdwa s[8:9], v26, v5 src0_sel:BYTE_0 src1_sel:DWORD
	s_andn2_b64 s[0:1], s[0:1], exec
	s_and_b64 s[8:9], s[8:9], exec
	v_mov_b32_e32 v28, 0
	s_or_b64 s[0:1], s[0:1], s[8:9]
	s_or_b64 exec, exec, s[6:7]
	s_and_saveexec_b64 s[6:7], s[0:1]
	s_cbranch_execnz .LBB243_571
	s_branch .LBB243_572
.LBB243_768:                            ;   in Loop: Header=BB243_431 Depth=1
	v_cmp_eq_u16_e64 s[0:1], s24, v4
	s_mov_b64 s[6:7], -1
                                        ; implicit-def: $sgpr30
	s_and_saveexec_b64 s[22:23], s[0:1]
; %bb.769:                              ;   in Loop: Header=BB243_431 Depth=1
	s_mov_b32 s30, 0x7fc02000
	s_xor_b64 s[6:7], exec, -1
; %bb.770:                              ;   in Loop: Header=BB243_431 Depth=1
	s_or_b64 exec, exec, s[22:23]
	s_and_b64 s[6:7], s[6:7], exec
	s_or_saveexec_b64 s[8:9], s[8:9]
	v_mov_b32_e32 v34, s30
	s_xor_b64 exec, exec, s[8:9]
	s_cbranch_execz .LBB243_574
.LBB243_771:                            ;   in Loop: Header=BB243_431 Depth=1
	v_cmp_ne_u16_e64 s[0:1], 0, v4
	s_andn2_b64 s[6:7], s[6:7], exec
	s_and_b64 s[0:1], s[0:1], exec
	v_mov_b32_e32 v34, 0
	s_or_b64 s[6:7], s[6:7], s[0:1]
	s_or_b64 exec, exec, s[8:9]
	s_and_saveexec_b64 s[8:9], s[6:7]
	s_cbranch_execnz .LBB243_575
	s_branch .LBB243_576
.LBB243_772:                            ;   in Loop: Header=BB243_431 Depth=1
	v_cmp_eq_u16_sdwa s[30:31], v4, s24 src0_sel:BYTE_0 src1_sel:DWORD
	s_mov_b64 s[0:1], -1
                                        ; implicit-def: $sgpr22
	s_and_saveexec_b64 s[8:9], s[30:31]
; %bb.773:                              ;   in Loop: Header=BB243_431 Depth=1
	s_mov_b32 s22, 0x7fc02000
	s_xor_b64 s[0:1], exec, -1
; %bb.774:                              ;   in Loop: Header=BB243_431 Depth=1
	s_or_b64 exec, exec, s[8:9]
	s_and_b64 s[0:1], s[0:1], exec
	s_or_saveexec_b64 s[6:7], s[6:7]
	v_mov_b32_e32 v29, s22
	s_xor_b64 exec, exec, s[6:7]
	s_cbranch_execz .LBB243_578
.LBB243_775:                            ;   in Loop: Header=BB243_431 Depth=1
	v_cmp_ne_u16_sdwa s[8:9], v4, v5 src0_sel:BYTE_0 src1_sel:DWORD
	s_andn2_b64 s[0:1], s[0:1], exec
	s_and_b64 s[8:9], s[8:9], exec
	v_mov_b32_e32 v29, 0
	s_or_b64 s[0:1], s[0:1], s[8:9]
	s_or_b64 exec, exec, s[6:7]
	s_and_saveexec_b64 s[6:7], s[0:1]
	s_cbranch_execnz .LBB243_579
	s_branch .LBB243_580
.LBB243_776:                            ;   in Loop: Header=BB243_431 Depth=1
	v_cmp_eq_u16_e64 s[0:1], s24, v4
	s_mov_b64 s[6:7], -1
                                        ; implicit-def: $sgpr30
	s_and_saveexec_b64 s[22:23], s[0:1]
; %bb.777:                              ;   in Loop: Header=BB243_431 Depth=1
	s_mov_b32 s30, 0x7fc02000
	s_xor_b64 s[6:7], exec, -1
; %bb.778:                              ;   in Loop: Header=BB243_431 Depth=1
	s_or_b64 exec, exec, s[22:23]
	s_and_b64 s[6:7], s[6:7], exec
	s_or_saveexec_b64 s[8:9], s[8:9]
	v_mov_b32_e32 v35, s30
	s_xor_b64 exec, exec, s[8:9]
	s_cbranch_execz .LBB243_582
.LBB243_779:                            ;   in Loop: Header=BB243_431 Depth=1
	v_cmp_ne_u16_e64 s[0:1], 0, v4
	s_andn2_b64 s[6:7], s[6:7], exec
	s_and_b64 s[0:1], s[0:1], exec
	v_mov_b32_e32 v35, 0
	s_or_b64 s[6:7], s[6:7], s[0:1]
	s_or_b64 exec, exec, s[8:9]
	s_and_saveexec_b64 s[8:9], s[6:7]
	s_cbranch_execnz .LBB243_583
	s_branch .LBB243_584
.LBB243_780:                            ;   in Loop: Header=BB243_431 Depth=1
	v_cmp_eq_u16_sdwa s[30:31], v27, s24 src0_sel:BYTE_0 src1_sel:DWORD
	s_mov_b64 s[0:1], -1
                                        ; implicit-def: $sgpr22
	s_and_saveexec_b64 s[8:9], s[30:31]
; %bb.781:                              ;   in Loop: Header=BB243_431 Depth=1
	s_mov_b32 s22, 0x7fc02000
	s_xor_b64 s[0:1], exec, -1
; %bb.782:                              ;   in Loop: Header=BB243_431 Depth=1
	s_or_b64 exec, exec, s[8:9]
	s_and_b64 s[0:1], s[0:1], exec
	s_or_saveexec_b64 s[6:7], s[6:7]
	v_mov_b32_e32 v2, s22
	s_xor_b64 exec, exec, s[6:7]
	s_cbranch_execz .LBB243_586
.LBB243_783:                            ;   in Loop: Header=BB243_431 Depth=1
	v_cmp_ne_u16_sdwa s[8:9], v27, v5 src0_sel:BYTE_0 src1_sel:DWORD
	s_andn2_b64 s[0:1], s[0:1], exec
	s_and_b64 s[8:9], s[8:9], exec
	v_mov_b32_e32 v2, 0
	s_or_b64 s[0:1], s[0:1], s[8:9]
	s_or_b64 exec, exec, s[6:7]
	v_mov_b32_e32 v4, v27
	s_and_saveexec_b64 s[6:7], s[0:1]
	s_cbranch_execnz .LBB243_587
	s_branch .LBB243_588
.LBB243_784:                            ;   in Loop: Header=BB243_431 Depth=1
	v_cmp_eq_u16_e64 s[0:1], s24, v4
	s_mov_b64 s[6:7], -1
                                        ; implicit-def: $sgpr30
	s_and_saveexec_b64 s[22:23], s[0:1]
; %bb.785:                              ;   in Loop: Header=BB243_431 Depth=1
	s_mov_b32 s30, 0x7fc02000
	s_xor_b64 s[6:7], exec, -1
; %bb.786:                              ;   in Loop: Header=BB243_431 Depth=1
	s_or_b64 exec, exec, s[22:23]
	s_and_b64 s[6:7], s[6:7], exec
	s_or_saveexec_b64 s[8:9], s[8:9]
	v_mov_b32_e32 v22, s30
	s_xor_b64 exec, exec, s[8:9]
	s_cbranch_execz .LBB243_590
.LBB243_787:                            ;   in Loop: Header=BB243_431 Depth=1
	v_cmp_ne_u16_e64 s[0:1], 0, v4
	s_andn2_b64 s[6:7], s[6:7], exec
	s_and_b64 s[0:1], s[0:1], exec
	v_mov_b32_e32 v22, 0
	s_or_b64 s[6:7], s[6:7], s[0:1]
	s_or_b64 exec, exec, s[8:9]
	s_and_saveexec_b64 s[8:9], s[6:7]
	s_cbranch_execnz .LBB243_591
	s_branch .LBB243_592
.LBB243_788:                            ;   in Loop: Header=BB243_431 Depth=1
	v_cmp_eq_u16_sdwa s[30:31], v4, s24 src0_sel:BYTE_0 src1_sel:DWORD
	s_mov_b64 s[0:1], -1
                                        ; implicit-def: $sgpr22
	s_and_saveexec_b64 s[8:9], s[30:31]
; %bb.789:                              ;   in Loop: Header=BB243_431 Depth=1
	s_mov_b32 s22, 0x7fc02000
	s_xor_b64 s[0:1], exec, -1
; %bb.790:                              ;   in Loop: Header=BB243_431 Depth=1
	s_or_b64 exec, exec, s[8:9]
	s_and_b64 s[0:1], s[0:1], exec
	s_or_saveexec_b64 s[6:7], s[6:7]
	v_mov_b32_e32 v23, s22
	s_xor_b64 exec, exec, s[6:7]
	s_cbranch_execz .LBB243_594
.LBB243_791:                            ;   in Loop: Header=BB243_431 Depth=1
	v_cmp_ne_u16_sdwa s[8:9], v4, v5 src0_sel:BYTE_0 src1_sel:DWORD
	s_andn2_b64 s[0:1], s[0:1], exec
	s_and_b64 s[8:9], s[8:9], exec
	v_mov_b32_e32 v23, 0
	s_or_b64 s[0:1], s[0:1], s[8:9]
	s_or_b64 exec, exec, s[6:7]
	s_and_saveexec_b64 s[6:7], s[0:1]
	s_cbranch_execnz .LBB243_595
	s_branch .LBB243_596
.LBB243_792:                            ;   in Loop: Header=BB243_431 Depth=1
	v_cmp_eq_u16_e64 s[0:1], s24, v4
	s_mov_b64 s[6:7], -1
                                        ; implicit-def: $sgpr30
	s_and_saveexec_b64 s[22:23], s[0:1]
; %bb.793:                              ;   in Loop: Header=BB243_431 Depth=1
	s_mov_b32 s30, 0x7fc02000
	s_xor_b64 s[6:7], exec, -1
; %bb.794:                              ;   in Loop: Header=BB243_431 Depth=1
	s_or_b64 exec, exec, s[22:23]
	s_and_b64 s[6:7], s[6:7], exec
	s_or_saveexec_b64 s[8:9], s[8:9]
	v_mov_b32_e32 v26, s30
	s_xor_b64 exec, exec, s[8:9]
	s_cbranch_execz .LBB243_598
.LBB243_795:                            ;   in Loop: Header=BB243_431 Depth=1
	v_cmp_ne_u16_e64 s[0:1], 0, v4
	s_andn2_b64 s[6:7], s[6:7], exec
	s_and_b64 s[0:1], s[0:1], exec
	v_mov_b32_e32 v26, 0
	s_or_b64 s[6:7], s[6:7], s[0:1]
	s_or_b64 exec, exec, s[8:9]
	s_and_saveexec_b64 s[8:9], s[6:7]
	s_cbranch_execnz .LBB243_599
	s_branch .LBB243_600
.LBB243_796:                            ;   in Loop: Header=BB243_431 Depth=1
	v_cmp_eq_u16_sdwa s[30:31], v24, s24 src0_sel:BYTE_0 src1_sel:DWORD
	s_mov_b64 s[0:1], -1
                                        ; implicit-def: $sgpr22
	s_and_saveexec_b64 s[8:9], s[30:31]
; %bb.797:                              ;   in Loop: Header=BB243_431 Depth=1
	s_mov_b32 s22, 0x7fc02000
	s_xor_b64 s[0:1], exec, -1
; %bb.798:                              ;   in Loop: Header=BB243_431 Depth=1
	s_or_b64 exec, exec, s[8:9]
	s_and_b64 s[0:1], s[0:1], exec
	s_or_saveexec_b64 s[6:7], s[6:7]
	v_mov_b32_e32 v26, s22
	s_xor_b64 exec, exec, s[6:7]
	s_cbranch_execz .LBB243_604
.LBB243_799:                            ;   in Loop: Header=BB243_431 Depth=1
	v_cmp_ne_u16_sdwa s[8:9], v24, v5 src0_sel:BYTE_0 src1_sel:DWORD
	s_andn2_b64 s[0:1], s[0:1], exec
	s_and_b64 s[8:9], s[8:9], exec
	v_mov_b32_e32 v26, 0
	s_or_b64 s[0:1], s[0:1], s[8:9]
	s_or_b64 exec, exec, s[6:7]
	s_and_saveexec_b64 s[6:7], s[0:1]
	s_cbranch_execnz .LBB243_605
	s_branch .LBB243_606
.LBB243_800:                            ;   in Loop: Header=BB243_431 Depth=1
	v_cmp_eq_u16_e64 s[0:1], s24, v4
	s_mov_b64 s[6:7], -1
                                        ; implicit-def: $sgpr30
	s_and_saveexec_b64 s[22:23], s[0:1]
; %bb.801:                              ;   in Loop: Header=BB243_431 Depth=1
	s_mov_b32 s30, 0x7fc02000
	s_xor_b64 s[6:7], exec, -1
; %bb.802:                              ;   in Loop: Header=BB243_431 Depth=1
	s_or_b64 exec, exec, s[22:23]
	s_and_b64 s[6:7], s[6:7], exec
	s_or_saveexec_b64 s[8:9], s[8:9]
	v_mov_b32_e32 v28, s30
	s_xor_b64 exec, exec, s[8:9]
	s_cbranch_execz .LBB243_608
.LBB243_803:                            ;   in Loop: Header=BB243_431 Depth=1
	v_cmp_ne_u16_e64 s[0:1], 0, v4
	s_andn2_b64 s[6:7], s[6:7], exec
	s_and_b64 s[0:1], s[0:1], exec
	v_mov_b32_e32 v28, 0
	s_or_b64 s[6:7], s[6:7], s[0:1]
	s_or_b64 exec, exec, s[8:9]
	s_and_saveexec_b64 s[8:9], s[6:7]
	s_cbranch_execnz .LBB243_609
	s_branch .LBB243_610
.LBB243_804:                            ;   in Loop: Header=BB243_431 Depth=1
	v_cmp_eq_u16_sdwa s[30:31], v4, s24 src0_sel:BYTE_0 src1_sel:DWORD
	s_mov_b64 s[0:1], -1
                                        ; implicit-def: $sgpr22
	s_and_saveexec_b64 s[8:9], s[30:31]
; %bb.805:                              ;   in Loop: Header=BB243_431 Depth=1
	s_mov_b32 s22, 0x7fc02000
	s_xor_b64 s[0:1], exec, -1
; %bb.806:                              ;   in Loop: Header=BB243_431 Depth=1
	s_or_b64 exec, exec, s[8:9]
	s_and_b64 s[0:1], s[0:1], exec
	s_or_saveexec_b64 s[6:7], s[6:7]
	v_mov_b32_e32 v27, s22
	s_xor_b64 exec, exec, s[6:7]
	s_cbranch_execz .LBB243_612
.LBB243_807:                            ;   in Loop: Header=BB243_431 Depth=1
	v_cmp_ne_u16_sdwa s[8:9], v4, v5 src0_sel:BYTE_0 src1_sel:DWORD
	s_andn2_b64 s[0:1], s[0:1], exec
	s_and_b64 s[8:9], s[8:9], exec
	v_mov_b32_e32 v27, 0
	s_or_b64 s[0:1], s[0:1], s[8:9]
	s_or_b64 exec, exec, s[6:7]
	s_and_saveexec_b64 s[6:7], s[0:1]
	s_cbranch_execnz .LBB243_613
	s_branch .LBB243_614
.LBB243_808:                            ;   in Loop: Header=BB243_431 Depth=1
	v_cmp_eq_u16_e64 s[0:1], s24, v4
	s_mov_b64 s[6:7], -1
                                        ; implicit-def: $sgpr30
	s_and_saveexec_b64 s[22:23], s[0:1]
; %bb.809:                              ;   in Loop: Header=BB243_431 Depth=1
	s_mov_b32 s30, 0x7fc02000
	s_xor_b64 s[6:7], exec, -1
; %bb.810:                              ;   in Loop: Header=BB243_431 Depth=1
	s_or_b64 exec, exec, s[22:23]
	s_and_b64 s[6:7], s[6:7], exec
	s_or_saveexec_b64 s[8:9], s[8:9]
	v_mov_b32_e32 v29, s30
	s_xor_b64 exec, exec, s[8:9]
	s_cbranch_execz .LBB243_616
.LBB243_811:                            ;   in Loop: Header=BB243_431 Depth=1
	v_cmp_ne_u16_e64 s[0:1], 0, v4
	s_andn2_b64 s[6:7], s[6:7], exec
	s_and_b64 s[0:1], s[0:1], exec
	v_mov_b32_e32 v29, 0
	s_or_b64 s[6:7], s[6:7], s[0:1]
	s_or_b64 exec, exec, s[8:9]
	s_and_saveexec_b64 s[8:9], s[6:7]
	s_cbranch_execnz .LBB243_617
	s_branch .LBB243_618
.LBB243_812:                            ;   in Loop: Header=BB243_431 Depth=1
	v_cmp_eq_u16_sdwa s[30:31], v25, s24 src0_sel:BYTE_0 src1_sel:DWORD
	s_mov_b64 s[0:1], -1
                                        ; implicit-def: $sgpr22
	s_and_saveexec_b64 s[8:9], s[30:31]
; %bb.813:                              ;   in Loop: Header=BB243_431 Depth=1
	s_mov_b32 s22, 0x7fc02000
	s_xor_b64 s[0:1], exec, -1
; %bb.814:                              ;   in Loop: Header=BB243_431 Depth=1
	s_or_b64 exec, exec, s[8:9]
	s_and_b64 s[0:1], s[0:1], exec
	s_or_saveexec_b64 s[6:7], s[6:7]
	v_mov_b32_e32 v21, s22
	s_xor_b64 exec, exec, s[6:7]
	s_cbranch_execz .LBB243_620
.LBB243_815:                            ;   in Loop: Header=BB243_431 Depth=1
	v_cmp_ne_u16_sdwa s[8:9], v25, v5 src0_sel:BYTE_0 src1_sel:DWORD
	s_andn2_b64 s[0:1], s[0:1], exec
	s_and_b64 s[8:9], s[8:9], exec
	v_mov_b32_e32 v21, 0
	s_or_b64 s[0:1], s[0:1], s[8:9]
	s_or_b64 exec, exec, s[6:7]
	v_mov_b32_e32 v4, v25
	s_and_saveexec_b64 s[6:7], s[0:1]
	s_cbranch_execnz .LBB243_621
	s_branch .LBB243_622
.LBB243_816:                            ;   in Loop: Header=BB243_431 Depth=1
	v_cmp_eq_u16_e64 s[0:1], s24, v4
	s_mov_b64 s[6:7], -1
                                        ; implicit-def: $sgpr30
	s_and_saveexec_b64 s[22:23], s[0:1]
; %bb.817:                              ;   in Loop: Header=BB243_431 Depth=1
	s_mov_b32 s30, 0x7fc02000
	s_xor_b64 s[6:7], exec, -1
; %bb.818:                              ;   in Loop: Header=BB243_431 Depth=1
	s_or_b64 exec, exec, s[22:23]
	s_and_b64 s[6:7], s[6:7], exec
	s_or_saveexec_b64 s[8:9], s[8:9]
	v_mov_b32_e32 v22, s30
	s_xor_b64 exec, exec, s[8:9]
	s_cbranch_execz .LBB243_624
.LBB243_819:                            ;   in Loop: Header=BB243_431 Depth=1
	v_cmp_ne_u16_e64 s[0:1], 0, v4
	s_andn2_b64 s[6:7], s[6:7], exec
	s_and_b64 s[0:1], s[0:1], exec
	v_mov_b32_e32 v22, 0
	s_or_b64 s[6:7], s[6:7], s[0:1]
	s_or_b64 exec, exec, s[8:9]
	s_and_saveexec_b64 s[8:9], s[6:7]
	s_cbranch_execnz .LBB243_625
	s_branch .LBB243_626
.LBB243_820:                            ;   in Loop: Header=BB243_431 Depth=1
	v_cmp_eq_u16_sdwa s[30:31], v4, s24 src0_sel:BYTE_0 src1_sel:DWORD
	s_mov_b64 s[0:1], -1
                                        ; implicit-def: $sgpr22
	s_and_saveexec_b64 s[8:9], s[30:31]
; %bb.821:                              ;   in Loop: Header=BB243_431 Depth=1
	s_mov_b32 s22, 0x7fc02000
	s_xor_b64 s[0:1], exec, -1
; %bb.822:                              ;   in Loop: Header=BB243_431 Depth=1
	s_or_b64 exec, exec, s[8:9]
	s_and_b64 s[0:1], s[0:1], exec
	s_or_saveexec_b64 s[6:7], s[6:7]
	v_mov_b32_e32 v23, s22
	s_xor_b64 exec, exec, s[6:7]
	s_cbranch_execz .LBB243_628
.LBB243_823:                            ;   in Loop: Header=BB243_431 Depth=1
	v_cmp_ne_u16_sdwa s[8:9], v4, v5 src0_sel:BYTE_0 src1_sel:DWORD
	s_andn2_b64 s[0:1], s[0:1], exec
	s_and_b64 s[8:9], s[8:9], exec
	v_mov_b32_e32 v23, 0
	s_or_b64 s[0:1], s[0:1], s[8:9]
	s_or_b64 exec, exec, s[6:7]
	s_and_saveexec_b64 s[6:7], s[0:1]
	s_cbranch_execnz .LBB243_629
	s_branch .LBB243_630
.LBB243_824:                            ;   in Loop: Header=BB243_431 Depth=1
	v_cmp_eq_u16_e64 s[0:1], s24, v4
	s_mov_b64 s[6:7], -1
                                        ; implicit-def: $sgpr30
	s_and_saveexec_b64 s[22:23], s[0:1]
; %bb.825:                              ;   in Loop: Header=BB243_431 Depth=1
	s_mov_b32 s30, 0x7fc02000
	s_xor_b64 s[6:7], exec, -1
; %bb.826:                              ;   in Loop: Header=BB243_431 Depth=1
	s_or_b64 exec, exec, s[22:23]
	s_and_b64 s[6:7], s[6:7], exec
	s_or_saveexec_b64 s[8:9], s[8:9]
	v_mov_b32_e32 v31, s30
	s_xor_b64 exec, exec, s[8:9]
	s_cbranch_execz .LBB243_632
.LBB243_827:                            ;   in Loop: Header=BB243_431 Depth=1
	v_cmp_ne_u16_e64 s[0:1], 0, v4
	s_andn2_b64 s[6:7], s[6:7], exec
	s_and_b64 s[0:1], s[0:1], exec
	v_mov_b32_e32 v31, 0
	s_or_b64 s[6:7], s[6:7], s[0:1]
	s_or_b64 exec, exec, s[8:9]
	s_and_saveexec_b64 s[8:9], s[6:7]
	s_cbranch_execnz .LBB243_633
	s_branch .LBB243_634
.LBB243_828:
	s_or_b64 exec, exec, s[20:21]
	v_mov_b32_e32 v18, v38
.LBB243_829:
	s_or_b64 exec, exec, s[2:3]
	ds_bpermute_b32 v0, v49, v12
	ds_bpermute_b32 v1, v49, v13
	;; [unrolled: 1-line block ×6, first 2 shown]
	s_waitcnt lgkmcnt(4)
	v_pk_add_f32 v[6:7], v[12:13], v[0:1]
	v_and_b32_e32 v0, 0x3c1, v18
	s_waitcnt lgkmcnt(2)
	v_pk_add_f32 v[4:5], v[14:15], v[2:3]
	v_cmp_eq_u32_e32 vcc, 64, v0
	s_waitcnt lgkmcnt(0)
	v_pk_add_f32 v[2:3], v[16:17], v[8:9]
	s_barrier
	s_and_saveexec_b64 s[0:1], vcc
	s_cbranch_execz .LBB243_831
; %bb.830:
	s_ashr_i32 s17, s16, 31
	s_lshl_b64 s[2:3], s[16:17], 2
	s_getpc_b64 s[4:5]
	s_add_u32 s4, s4, llvm.amdgcn.dynlds.offset.table@rel32@lo+4
	s_addc_u32 s5, s5, llvm.amdgcn.dynlds.offset.table@rel32@hi+12
	s_add_u32 s2, s2, s4
	s_addc_u32 s3, s3, s5
	s_load_dword s2, s[2:3], 0x0
	s_waitcnt lgkmcnt(0)
	v_lshl_add_u32 v1, v48, 1, s2
	ds_write2_b32 v1, v6, v7 offset1:32
	ds_write2_b32 v1, v4, v5 offset0:64 offset1:96
	ds_write2_b32 v1, v2, v3 offset0:128 offset1:160
.LBB243_831:
	s_or_b64 exec, exec, s[0:1]
	v_cmp_gt_u32_e32 vcc, 64, v18
	s_waitcnt lgkmcnt(0)
	s_barrier
	s_and_saveexec_b64 s[0:1], vcc
	s_cbranch_execz .LBB243_840
; %bb.832:
	v_cmp_eq_u32_e32 vcc, 0, v50
	v_lshrrev_b32_e32 v1, 1, v18
	s_and_saveexec_b64 s[2:3], vcc
	s_cbranch_execnz .LBB243_843
; %bb.833:
	s_or_b64 exec, exec, s[2:3]
	s_and_saveexec_b64 s[2:3], vcc
	s_cbranch_execnz .LBB243_844
.LBB243_834:
	s_or_b64 exec, exec, s[2:3]
	s_and_saveexec_b64 s[2:3], vcc
	s_cbranch_execnz .LBB243_845
.LBB243_835:
	s_or_b64 exec, exec, s[2:3]
	s_and_saveexec_b64 s[2:3], vcc
	s_cbranch_execnz .LBB243_846
.LBB243_836:
	s_or_b64 exec, exec, s[2:3]
	s_and_saveexec_b64 s[2:3], vcc
	s_cbranch_execnz .LBB243_847
.LBB243_837:
	s_or_b64 exec, exec, s[2:3]
	s_and_saveexec_b64 s[2:3], vcc
	s_cbranch_execz .LBB243_839
.LBB243_838:
	s_ashr_i32 s17, s16, 31
	s_lshl_b64 s[4:5], s[16:17], 2
	s_getpc_b64 s[6:7]
	s_add_u32 s6, s6, llvm.amdgcn.dynlds.offset.table@rel32@lo+4
	s_addc_u32 s7, s7, llvm.amdgcn.dynlds.offset.table@rel32@hi+12
	s_add_u32 s4, s4, s6
	s_addc_u32 s5, s5, s7
	s_load_dword s4, s[4:5], 0x0
	s_waitcnt lgkmcnt(0)
	v_lshl_add_u32 v1, v1, 2, s4
	ds_read_b32 v1, v1 offset:640
	s_waitcnt lgkmcnt(0)
	v_add_f32_e32 v3, v3, v1
.LBB243_839:
	s_or_b64 exec, exec, s[2:3]
.LBB243_840:
	s_or_b64 exec, exec, s[0:1]
	v_cmp_eq_u32_e32 vcc, 0, v0
	s_barrier
	s_and_saveexec_b64 s[0:1], vcc
	s_cbranch_execz .LBB243_842
; %bb.841:
	v_cmp_ne_u16_e64 s[2:3], s19, 0
	s_cmp_lg_u64 s[2:3], 0
	s_addc_u32 s4, s15, 0
	s_mul_i32 s2, s4, s10
	s_mul_i32 s2, s2, s11
	s_mulk_i32 s2, 0xc0
	s_mul_i32 s4, s18, s4
	s_mul_i32 s6, s14, 0xc0
	s_ashr_i32 s3, s2, 31
	s_ashr_i32 s5, s4, 31
	;; [unrolled: 1-line block ×3, first 2 shown]
	s_lshl_b64 s[2:3], s[2:3], 1
	s_lshl_b64 s[4:5], s[4:5], 1
	;; [unrolled: 1-line block ×3, first 2 shown]
	s_add_u32 s4, s6, s4
	s_addc_u32 s5, s7, s5
	s_add_u32 s2, s4, s2
	v_accvgpr_read_b32 v0, a0
	s_addc_u32 s3, s5, s3
	v_accvgpr_read_b32 v1, a1
	v_lshl_add_u64 v[0:1], s[2:3], 0, v[0:1]
	v_mov_b32_e32 v19, 0
	v_lshl_add_u64 v[0:1], v[0:1], 0, v[18:19]
	;;#ASMSTART
	v_cvt_f16_f32 v6, v6;

	;;#ASMEND
	flat_store_short v[0:1], v6
	;;#ASMSTART
	v_cvt_f16_f32 v6, v7;

	;;#ASMEND
	flat_store_short v[0:1], v6 offset:64
	;;#ASMSTART
	v_cvt_f16_f32 v4, v4;

	;;#ASMEND
	flat_store_short v[0:1], v4 offset:128
	;; [unrolled: 5-line block ×5, first 2 shown]
.LBB243_842:
	s_or_b64 exec, exec, s[0:1]
	scratch_load_dword a52, off, s32        ; 4-byte Folded Reload
	scratch_load_dword a51, off, s32 offset:4 ; 4-byte Folded Reload
	scratch_load_dword a50, off, s32 offset:8 ; 4-byte Folded Reload
	;; [unrolled: 1-line block ×35, first 2 shown]
	v_readlane_b32 s30, v63, 0
	v_readlane_b32 s31, v63, 1
	s_or_saveexec_b64 s[0:1], -1
	scratch_load_dword v63, off, s32 offset:152 ; 4-byte Folded Reload
	s_mov_b64 exec, s[0:1]
	s_waitcnt vmcnt(0) lgkmcnt(0)
	s_setpc_b64 s[30:31]
.LBB243_843:
	s_ashr_i32 s17, s16, 31
	s_lshl_b64 s[4:5], s[16:17], 2
	s_getpc_b64 s[6:7]
	s_add_u32 s6, s6, llvm.amdgcn.dynlds.offset.table@rel32@lo+4
	s_addc_u32 s7, s7, llvm.amdgcn.dynlds.offset.table@rel32@hi+12
	s_add_u32 s4, s4, s6
	s_addc_u32 s5, s5, s7
	s_load_dword s4, s[4:5], 0x0
	s_waitcnt lgkmcnt(0)
	v_lshl_add_u32 v8, v1, 2, s4
	ds_read_b32 v8, v8
	s_waitcnt lgkmcnt(0)
	v_add_f32_e32 v6, v6, v8
	s_or_b64 exec, exec, s[2:3]
	s_and_saveexec_b64 s[2:3], vcc
	s_cbranch_execz .LBB243_834
.LBB243_844:
	s_ashr_i32 s17, s16, 31
	s_lshl_b64 s[4:5], s[16:17], 2
	s_getpc_b64 s[6:7]
	s_add_u32 s6, s6, llvm.amdgcn.dynlds.offset.table@rel32@lo+4
	s_addc_u32 s7, s7, llvm.amdgcn.dynlds.offset.table@rel32@hi+12
	s_add_u32 s4, s4, s6
	s_addc_u32 s5, s5, s7
	s_load_dword s4, s[4:5], 0x0
	s_waitcnt lgkmcnt(0)
	v_lshl_add_u32 v8, v1, 2, s4
	ds_read_b32 v8, v8 offset:128
	s_waitcnt lgkmcnt(0)
	v_add_f32_e32 v7, v7, v8
	s_or_b64 exec, exec, s[2:3]
	s_and_saveexec_b64 s[2:3], vcc
	s_cbranch_execz .LBB243_835
.LBB243_845:
	s_ashr_i32 s17, s16, 31
	s_lshl_b64 s[4:5], s[16:17], 2
	s_getpc_b64 s[6:7]
	s_add_u32 s6, s6, llvm.amdgcn.dynlds.offset.table@rel32@lo+4
	s_addc_u32 s7, s7, llvm.amdgcn.dynlds.offset.table@rel32@hi+12
	s_add_u32 s4, s4, s6
	s_addc_u32 s5, s5, s7
	s_load_dword s4, s[4:5], 0x0
	s_waitcnt lgkmcnt(0)
	v_lshl_add_u32 v8, v1, 2, s4
	ds_read_b32 v8, v8 offset:256
	s_waitcnt lgkmcnt(0)
	v_add_f32_e32 v4, v4, v8
	s_or_b64 exec, exec, s[2:3]
	s_and_saveexec_b64 s[2:3], vcc
	s_cbranch_execz .LBB243_836
.LBB243_846:
	s_ashr_i32 s17, s16, 31
	s_lshl_b64 s[4:5], s[16:17], 2
	s_getpc_b64 s[6:7]
	s_add_u32 s6, s6, llvm.amdgcn.dynlds.offset.table@rel32@lo+4
	s_addc_u32 s7, s7, llvm.amdgcn.dynlds.offset.table@rel32@hi+12
	s_add_u32 s4, s4, s6
	s_addc_u32 s5, s5, s7
	s_load_dword s4, s[4:5], 0x0
	s_waitcnt lgkmcnt(0)
	v_lshl_add_u32 v8, v1, 2, s4
	ds_read_b32 v8, v8 offset:384
	s_waitcnt lgkmcnt(0)
	v_add_f32_e32 v5, v5, v8
	s_or_b64 exec, exec, s[2:3]
	s_and_saveexec_b64 s[2:3], vcc
	s_cbranch_execz .LBB243_837
.LBB243_847:
	s_ashr_i32 s17, s16, 31
	s_lshl_b64 s[4:5], s[16:17], 2
	s_getpc_b64 s[6:7]
	s_add_u32 s6, s6, llvm.amdgcn.dynlds.offset.table@rel32@lo+4
	s_addc_u32 s7, s7, llvm.amdgcn.dynlds.offset.table@rel32@hi+12
	s_add_u32 s4, s4, s6
	s_addc_u32 s5, s5, s7
	s_load_dword s4, s[4:5], 0x0
	s_waitcnt lgkmcnt(0)
	v_lshl_add_u32 v8, v1, 2, s4
	ds_read_b32 v8, v8 offset:512
	s_waitcnt lgkmcnt(0)
	v_add_f32_e32 v2, v2, v8
	s_or_b64 exec, exec, s[2:3]
	s_and_saveexec_b64 s[2:3], vcc
	s_cbranch_execnz .LBB243_838
	s_branch .LBB243_839
.Lfunc_end243:
	.size	_ZN4vllm22paged_attention_kernelIthLi192ELi16ELi128ELNS_18Fp8KVCacheDataTypeE1ELb1ELi0EEEvPfS2_PT_PKS3_PKT0_S9_ifPKiSB_iPKfiiiSD_SD_iiiii, .Lfunc_end243-_ZN4vllm22paged_attention_kernelIthLi192ELi16ELi128ELNS_18Fp8KVCacheDataTypeE1ELb1ELi0EEEvPfS2_PT_PKS3_PKT0_S9_ifPKiSB_iPKfiiiSD_SD_iiiii
                                        ; -- End function
	.section	.AMDGPU.csdata,"",@progbits
; Function info:
; codeLenInByte = 36672
; NumSgprs: 39
; NumVgprs: 64
; NumAgprs: 53
; TotalNumVgprs: 117
; ScratchSize: 160
; MemoryBound: 0
	.section	.text._ZN4vllm25paged_attention_v1_kernelIthLi192ELi16ELi128ELNS_18Fp8KVCacheDataTypeE1ELb1EEEvPT_PKS2_PKT0_S8_ifPKiSA_iPKfiiiSC_SC_iiiii,"axG",@progbits,_ZN4vllm25paged_attention_v1_kernelIthLi192ELi16ELi128ELNS_18Fp8KVCacheDataTypeE1ELb1EEEvPT_PKS2_PKT0_S8_ifPKiSA_iPKfiiiSC_SC_iiiii,comdat
	.protected	_ZN4vllm25paged_attention_v1_kernelIthLi192ELi16ELi128ELNS_18Fp8KVCacheDataTypeE1ELb1EEEvPT_PKS2_PKT0_S8_ifPKiSA_iPKfiiiSC_SC_iiiii ; -- Begin function _ZN4vllm25paged_attention_v1_kernelIthLi192ELi16ELi128ELNS_18Fp8KVCacheDataTypeE1ELb1EEEvPT_PKS2_PKT0_S8_ifPKiSA_iPKfiiiSC_SC_iiiii
	.globl	_ZN4vllm25paged_attention_v1_kernelIthLi192ELi16ELi128ELNS_18Fp8KVCacheDataTypeE1ELb1EEEvPT_PKS2_PKT0_S8_ifPKiSA_iPKfiiiSC_SC_iiiii
	.p2align	8
	.type	_ZN4vllm25paged_attention_v1_kernelIthLi192ELi16ELi128ELNS_18Fp8KVCacheDataTypeE1ELb1EEEvPT_PKS2_PKT0_S8_ifPKiSA_iPKfiiiSC_SC_iiiii,@function
_ZN4vllm25paged_attention_v1_kernelIthLi192ELi16ELi128ELNS_18Fp8KVCacheDataTypeE1ELb1EEEvPT_PKS2_PKT0_S8_ifPKiSA_iPKfiiiSC_SC_iiiii: ; @_ZN4vllm25paged_attention_v1_kernelIthLi192ELi16ELi128ELNS_18Fp8KVCacheDataTypeE1ELb1EEEvPT_PKS2_PKT0_S8_ifPKiSA_iPKfiiiSC_SC_iiiii
; %bb.0:
	s_load_dwordx8 s[16:23], s[0:1], 0x0
	s_load_dwordx4 s[36:39], s[0:1], 0x20
	s_load_dwordx2 s[6:7], s[0:1], 0x30
	s_load_dword s5, s[0:1], 0x38
	s_load_dwordx2 s[10:11], s[0:1], 0x40
	s_load_dwordx8 s[24:31], s[0:1], 0x48
	s_waitcnt lgkmcnt(0)
	s_load_dword s27, s[0:1], 0x78
	s_load_dwordx4 s[40:43], s[0:1], 0x68
	s_add_u32 s8, s0, 0x80
	s_addc_u32 s9, s1, 0
	s_mov_b32 s12, s2
	s_mov_b32 s13, s3
	;; [unrolled: 1-line block ×4, first 2 shown]
	v_mov_b32_e32 v31, v0
	v_mov_b32_e32 v0, s16
	;; [unrolled: 1-line block ×25, first 2 shown]
	s_waitcnt lgkmcnt(0)
	v_mov_b32_e32 v24, s40
	v_mov_b32_e32 v25, s41
	;; [unrolled: 1-line block ×5, first 2 shown]
	s_mov_b32 s32, 0
	s_getpc_b64 s[0:1]
	s_add_u32 s0, s0, _ZN4vllm22paged_attention_kernelIthLi192ELi16ELi128ELNS_18Fp8KVCacheDataTypeE1ELb1ELi0EEEvPfS2_PT_PKS3_PKT0_S9_ifPKiSB_iPKfiiiSD_SD_iiiii@rel32@lo+4
	s_addc_u32 s1, s1, _ZN4vllm22paged_attention_kernelIthLi192ELi16ELi128ELNS_18Fp8KVCacheDataTypeE1ELb1ELi0EEEvPfS2_PT_PKS3_PKT0_S9_ifPKiSB_iPKfiiiSD_SD_iiiii@rel32@hi+12
	s_swappc_b64 s[30:31], s[0:1]
	s_endpgm
	.section	.rodata,"a",@progbits
	.p2align	6, 0x0
	.amdhsa_kernel _ZN4vllm25paged_attention_v1_kernelIthLi192ELi16ELi128ELNS_18Fp8KVCacheDataTypeE1ELb1EEEvPT_PKS2_PKT0_S8_ifPKiSA_iPKfiiiSC_SC_iiiii
		.amdhsa_group_segment_fixed_size 400
		.amdhsa_private_segment_fixed_size 160
		.amdhsa_kernarg_size 384
		.amdhsa_user_sgpr_count 2
		.amdhsa_user_sgpr_dispatch_ptr 0
		.amdhsa_user_sgpr_queue_ptr 0
		.amdhsa_user_sgpr_kernarg_segment_ptr 1
		.amdhsa_user_sgpr_dispatch_id 0
		.amdhsa_user_sgpr_kernarg_preload_length 0
		.amdhsa_user_sgpr_kernarg_preload_offset 0
		.amdhsa_user_sgpr_private_segment_size 0
		.amdhsa_uses_dynamic_stack 0
		.amdhsa_enable_private_segment 1
		.amdhsa_system_sgpr_workgroup_id_x 1
		.amdhsa_system_sgpr_workgroup_id_y 1
		.amdhsa_system_sgpr_workgroup_id_z 1
		.amdhsa_system_sgpr_workgroup_info 0
		.amdhsa_system_vgpr_workitem_id 0
		.amdhsa_next_free_vgpr 117
		.amdhsa_next_free_sgpr 44
		.amdhsa_accum_offset 64
		.amdhsa_reserve_vcc 1
		.amdhsa_float_round_mode_32 0
		.amdhsa_float_round_mode_16_64 0
		.amdhsa_float_denorm_mode_32 3
		.amdhsa_float_denorm_mode_16_64 3
		.amdhsa_dx10_clamp 1
		.amdhsa_ieee_mode 1
		.amdhsa_fp16_overflow 0
		.amdhsa_tg_split 0
		.amdhsa_exception_fp_ieee_invalid_op 0
		.amdhsa_exception_fp_denorm_src 0
		.amdhsa_exception_fp_ieee_div_zero 0
		.amdhsa_exception_fp_ieee_overflow 0
		.amdhsa_exception_fp_ieee_underflow 0
		.amdhsa_exception_fp_ieee_inexact 0
		.amdhsa_exception_int_div_zero 0
	.end_amdhsa_kernel
	.section	.text._ZN4vllm25paged_attention_v1_kernelIthLi192ELi16ELi128ELNS_18Fp8KVCacheDataTypeE1ELb1EEEvPT_PKS2_PKT0_S8_ifPKiSA_iPKfiiiSC_SC_iiiii,"axG",@progbits,_ZN4vllm25paged_attention_v1_kernelIthLi192ELi16ELi128ELNS_18Fp8KVCacheDataTypeE1ELb1EEEvPT_PKS2_PKT0_S8_ifPKiSA_iPKfiiiSC_SC_iiiii,comdat
.Lfunc_end244:
	.size	_ZN4vllm25paged_attention_v1_kernelIthLi192ELi16ELi128ELNS_18Fp8KVCacheDataTypeE1ELb1EEEvPT_PKS2_PKT0_S8_ifPKiSA_iPKfiiiSC_SC_iiiii, .Lfunc_end244-_ZN4vllm25paged_attention_v1_kernelIthLi192ELi16ELi128ELNS_18Fp8KVCacheDataTypeE1ELb1EEEvPT_PKS2_PKT0_S8_ifPKiSA_iPKfiiiSC_SC_iiiii
                                        ; -- End function
	.section	.AMDGPU.csdata,"",@progbits
; Kernel info:
; codeLenInByte = 252
; NumSgprs: 50
; NumVgprs: 64
; NumAgprs: 53
; TotalNumVgprs: 117
; ScratchSize: 160
; MemoryBound: 0
; FloatMode: 240
; IeeeMode: 1
; LDSByteSize: 400 bytes/workgroup (compile time only)
; SGPRBlocks: 6
; VGPRBlocks: 14
; NumSGPRsForWavesPerEU: 50
; NumVGPRsForWavesPerEU: 117
; AccumOffset: 64
; Occupancy: 4
; WaveLimiterHint : 1
; COMPUTE_PGM_RSRC2:SCRATCH_EN: 1
; COMPUTE_PGM_RSRC2:USER_SGPR: 2
; COMPUTE_PGM_RSRC2:TRAP_HANDLER: 0
; COMPUTE_PGM_RSRC2:TGID_X_EN: 1
; COMPUTE_PGM_RSRC2:TGID_Y_EN: 1
; COMPUTE_PGM_RSRC2:TGID_Z_EN: 1
; COMPUTE_PGM_RSRC2:TIDIG_COMP_CNT: 0
; COMPUTE_PGM_RSRC3_GFX90A:ACCUM_OFFSET: 15
; COMPUTE_PGM_RSRC3_GFX90A:TG_SPLIT: 0
	.text
	.p2align	2                               ; -- Begin function _ZN4vllm22paged_attention_kernelIthLi256ELi16ELi128ELNS_18Fp8KVCacheDataTypeE1ELb1ELi0EEEvPfS2_PT_PKS3_PKT0_S9_ifPKiSB_iPKfiiiSD_SD_iiiii
	.type	_ZN4vllm22paged_attention_kernelIthLi256ELi16ELi128ELNS_18Fp8KVCacheDataTypeE1ELb1ELi0EEEvPfS2_PT_PKS3_PKT0_S9_ifPKiSB_iPKfiiiSD_SD_iiiii,@function
_ZN4vllm22paged_attention_kernelIthLi256ELi16ELi128ELNS_18Fp8KVCacheDataTypeE1ELb1ELi0EEEvPfS2_PT_PKS3_PKT0_S9_ifPKiSB_iPKfiiiSD_SD_iiiii: ; @_ZN4vllm22paged_attention_kernelIthLi256ELi16ELi128ELNS_18Fp8KVCacheDataTypeE1ELb1ELi0EEEvPfS2_PT_PKS3_PKT0_S9_ifPKiSB_iPKfiiiSD_SD_iiiii
; %bb.0:
	s_waitcnt vmcnt(0) expcnt(0) lgkmcnt(0)
	s_or_saveexec_b64 s[0:1], -1
	scratch_store_dword off, v63, s32 offset:176 ; 4-byte Folded Spill
	s_mov_b64 exec, s[0:1]
	scratch_store_dword off, v40, s32 offset:164 ; 4-byte Folded Spill
	scratch_store_dword off, v41, s32 offset:160 ; 4-byte Folded Spill
	;; [unrolled: 1-line block ×41, first 2 shown]
	scratch_store_dword off, a58, s32       ; 4-byte Folded Spill
	v_writelane_b32 v63, s30, 0
	s_nop 1
	v_writelane_b32 v63, s31, 1
	s_mov_b32 s16, s13
	v_accvgpr_write_b32 a0, v0
	s_ashr_i32 s17, s13, 31
	v_accvgpr_write_b32 a1, v1
	v_lshl_add_u64 v[0:1], s[16:17], 2, v[12:13]
	flat_load_dword a8, v[0:1]
	v_sub_u32_e32 v0, 0, v8
	v_max_i32_e32 v0, v8, v0
	v_cvt_f32_u32_e32 v1, v0
	s_load_dword s0, s[8:9], 0x10
	s_load_dword s2, s[8:9], 0x0
	v_accvgpr_write_b32 a4, v22
	v_accvgpr_write_b32 a5, v23
	v_rcp_iflag_f32_e32 v1, v1
	s_waitcnt lgkmcnt(0)
	s_lshr_b32 s0, s0, 16
	s_cmp_lg_u32 s0, 0
	v_mov_b32_e32 v23, v7
	v_mul_f32_e32 v1, 0x4f7ffffe, v1
	v_cvt_u32_f32_e32 v1, v1
	s_cselect_b64 s[0:1], -1, 0
	v_sub_u32_e32 v7, 0, v0
	s_cmp_lg_u64 s[0:1], 0
	v_mul_lo_u32 v7, v7, v1
	s_mov_b32 s18, s15
	s_addc_u32 s15, s2, 0
	v_mul_hi_u32 v7, v1, v7
	s_abs_i32 s0, s15
	v_add_u32_e32 v1, v1, v7
	v_mul_hi_u32 v1, s0, v1
	v_mul_lo_u32 v7, v1, v0
	v_sub_u32_e32 v7, s0, v7
	v_accvgpr_write_b32 a28, v9
	v_add_u32_e32 v9, 1, v1
	v_cmp_ge_u32_e32 vcc, v7, v0
	v_mov_b32_e32 v22, v6
	v_xor_b32_e32 v6, s15, v8
	v_cndmask_b32_e32 v1, v1, v9, vcc
	v_sub_u32_e32 v9, v7, v0
	v_cndmask_b32_e32 v7, v7, v9, vcc
	v_add_u32_e32 v9, 1, v1
	v_cmp_ge_u32_e32 vcc, v7, v0
	v_ashrrev_i32_e32 v6, 31, v6
	v_mov_b32_e32 v33, v16
	v_cndmask_b32_e32 v0, v1, v9, vcc
	v_xor_b32_e32 v0, v0, v6
	v_sub_u32_e32 v0, v0, v6
	v_sub_u32_e32 v1, 0, v0
	v_max_i32_e32 v1, v0, v1
	v_cvt_f32_u32_e32 v6, v1
	v_sub_u32_e32 v7, 0, v1
	v_mov_b32_e32 v32, v15
	v_accvgpr_write_b32 a27, v21
	v_rcp_iflag_f32_e32 v6, v6
	s_abs_i32 s2, s12
	v_accvgpr_write_b32 a26, v20
	v_accvgpr_write_b32 a6, v18
	v_mul_f32_e32 v6, 0x4f7ffffe, v6
	v_cvt_u32_f32_e32 v6, v6
	v_cmp_ne_u64_e32 vcc, 0, v[32:33]
	v_mul_lo_u32 v7, v7, v6
	v_mul_hi_u32 v7, v6, v7
	v_add_u32_e32 v6, v6, v7
	v_mad_u64_u32 v[12:13], s[0:1], s2, v6, 0
	v_mov_b32_e32 v6, 0
	scratch_store_dword off, v6, s32 offset:172 ; 4-byte Folded Spill
	s_and_saveexec_b64 s[0:1], vcc
	s_cbranch_execz .LBB245_2
; %bb.1:
	s_ashr_i32 s13, s12, 31
	v_lshl_add_u64 v[6:7], s[12:13], 2, v[32:33]
	flat_load_dword v6, v[6:7]
	s_waitcnt vmcnt(0) lgkmcnt(0)
	scratch_store_dword off, v6, s32 offset:172 ; 4-byte Folded Spill
.LBB245_2:
	s_or_b64 exec, exec, s[0:1]
	v_and_b32_e32 v16, 0x3ff, v31
	s_movk_i32 s0, 0x80
	s_ashr_i32 s3, s12, 31
	v_ashrrev_i32_e32 v6, 31, v0
	v_and_b32_e32 v0, 3, v16
	s_lshl_b32 s20, s12, 8
	v_cmp_gt_u32_e32 vcc, s0, v16
	s_and_saveexec_b64 s[0:1], vcc
	s_cbranch_execz .LBB245_4
; %bb.3:
	v_mul_lo_u32 v20, s16, v17
	v_ashrrev_i32_e32 v21, 31, v20
	v_lshl_add_u64 v[2:3], v[20:21], 1, v[2:3]
	s_ashr_i32 s21, s20, 31
	v_lshl_add_u64 v[2:3], s[20:21], 1, v[2:3]
	v_lshlrev_b32_e32 v20, 2, v16
	v_mov_b32_e32 v21, 0
	v_lshl_add_u64 v[2:3], v[2:3], 0, v[20:21]
	flat_load_dword v2, v[2:3]
	v_and_b32_e32 v3, 0x3fc, v16
	v_lshl_add_u32 v3, v0, 7, v3
	s_waitcnt vmcnt(0) lgkmcnt(0)
	ds_write_b32 v3, v2
.LBB245_4:
	s_or_b64 exec, exec, s[0:1]
	v_mul_lo_u32 v3, v13, v1
	v_sub_u32_e32 v3, s2, v3
	v_xor_b32_e32 v2, s3, v6
	v_add_u32_e32 v6, 1, v13
	v_cmp_ge_u32_e32 vcc, v3, v1
	v_sub_u32_e32 v7, v3, v1
	s_waitcnt lgkmcnt(0)
	v_cndmask_b32_e32 v6, v13, v6, vcc
	v_cndmask_b32_e32 v3, v3, v7, vcc
	v_add_u32_e32 v7, 1, v6
	v_cmp_ge_u32_e32 vcc, v3, v1
	v_sub_u32_e32 v3, 0, v27
	s_barrier
	v_cndmask_b32_e32 v1, v6, v7, vcc
	v_max_i32_e32 v6, v27, v3
	v_cvt_f32_u32_e32 v3, v6
	v_xor_b32_e32 v1, v1, v2
	v_sub_u32_e32 v30, v1, v2
	s_waitcnt vmcnt(0)
	v_accvgpr_read_b32 v2, a8
	v_rcp_iflag_f32_e32 v1, v3
	v_accvgpr_write_b32 a3, v6
	v_sub_u32_e32 v6, 0, v6
	v_add_u32_e32 v2, -1, v2
	v_mul_f32_e32 v1, 0x4f7ffffe, v1
	v_cvt_u32_f32_e32 v3, v1
	v_sub_u32_e32 v1, 0, v2
	v_max_i32_e32 v1, v2, v1
	v_cmp_gt_i32_e32 vcc, 0, v28
	v_mul_lo_u32 v6, v6, v3
	v_mul_hi_u32 v6, v3, v6
	v_add_u32_e32 v3, v3, v6
	v_accvgpr_write_b32 a7, v3
	v_mad_u64_u32 v[32:33], s[0:1], v1, v3, 0
	s_waitcnt lgkmcnt(0)
                                        ; implicit-def: $agpr10
	s_and_saveexec_b64 s[0:1], vcc
	s_xor_b64 s[0:1], exec, s[0:1]
; %bb.5:
	v_mad_u64_u32 v[6:7], s[2:3], v24, v8, v[30:31]
	v_mul_lo_u32 v3, v6, v28
	v_sub_u32_e32 v6, 1, v3
	v_accvgpr_write_b32 a10, v6
                                        ; implicit-def: $vgpr24
                                        ; implicit-def: $vgpr28
; %bb.6:
	s_or_saveexec_b64 s[0:1], s[0:1]
	v_ashrrev_i32_e32 v3, 31, v27
	v_ashrrev_i32_e32 v2, 31, v2
	v_accvgpr_write_b32 a9, v3
	s_xor_b64 exec, exec, s[0:1]
; %bb.7:
	v_mul_lo_u32 v3, s15, v24
	v_add_u32_e32 v3, s12, v3
	v_mad_u64_u32 v[6:7], s[2:3], v3, v28, 1
	v_accvgpr_write_b32 a10, v6
; %bb.8:
	s_or_b64 exec, exec, s[0:1]
	v_accvgpr_read_b32 v3, a9
	v_accvgpr_read_b32 v7, a3
	v_xor_b32_e32 v2, v2, v3
	v_mul_lo_u32 v3, v33, v7
	v_sub_u32_e32 v1, v1, v3
	v_add_u32_e32 v3, 1, v33
	v_cmp_ge_u32_e32 vcc, v1, v7
	v_sub_u32_e32 v6, v1, v7
	s_load_dword s21, s[8:9], 0x14
	s_load_dword s17, s[8:9], 0x8
	v_cndmask_b32_e32 v3, v33, v3, vcc
	v_cndmask_b32_e32 v1, v1, v6, vcc
	v_add_u32_e32 v6, 1, v3
	v_cmp_ge_u32_e32 vcc, v1, v7
	v_mul_lo_u32 v36, s16, v14
	v_mul_lo_u32 v24, v30, v19
	v_cndmask_b32_e32 v1, v3, v6, vcc
	v_xor_b32_e32 v1, v1, v2
	v_sub_u32_e32 v1, v1, v2
	v_accvgpr_read_b32 v2, a8
	v_add_u32_e32 v2, 15, v2
	v_ashrrev_i32_e32 v3, 31, v2
	v_lshrrev_b32_e32 v3, 28, v3
	v_add_u32_e32 v2, v2, v3
	v_ashrrev_i32_e32 v2, 4, v2
	v_lshrrev_b32_e32 v3, 6, v16
	v_sub_u32_e32 v1, v1, v25
	v_ashrrev_i32_e32 v37, 31, v36
	v_accvgpr_write_b32 a11, v2
	v_cmp_lt_i32_e64 s[0:1], v3, v2
	v_mov_b32_e32 v6, 0xff7fffff
	v_accvgpr_write_b32 a13, v1
	v_ashrrev_i32_e32 v25, 31, v24
	v_sub_u32_e32 v27, 0, v26
	v_accvgpr_write_b32 a12, v3
	v_lshrrev_b32_e32 v21, 4, v16
	v_mbcnt_lo_u32_b32 v2, -1, 0
	v_lshlrev_b32_e32 v1, 4, v3
	s_mov_b64 s[8:9], exec
	s_and_b64 s[2:3], s[8:9], s[0:1]
	v_accvgpr_write_b32 a14, v1
	s_mov_b64 exec, s[2:3]
	s_cbranch_execz .LBB245_530
; %bb.9:
	v_max_i32_e32 v8, v26, v27
	v_cvt_f32_u32_e32 v1, v8
	v_bfe_u32 v7, v16, 2, 4
	v_mov_b32_e32 v6, v2
	v_lshl_add_u64 v[2:3], v[4:5], 0, v[24:25]
	v_lshlrev_b32_e32 v4, 4, v7
	v_mov_b32_e32 v5, 0
	v_rcp_iflag_f32_e32 v1, v1
	v_lshl_add_u64 v[2:3], v[2:3], 0, v[4:5]
	v_accvgpr_write_b32 a33, v3
	v_cmp_eq_u32_e32 vcc, 0, v0
	v_accvgpr_write_b32 a32, v2
	v_lshlrev_b32_e32 v2, 1, v0
	v_lshlrev_b32_e32 v0, 7, v0
	v_accvgpr_write_b32 a36, v0
	v_mul_f32_e32 v0, 0x4f7ffffe, v1
	scratch_load_dword v1, off, s32 offset:172 ; 4-byte Folded Reload
	v_cvt_u32_f32_e32 v0, v0
	v_mov_b32_e32 v3, v5
	v_accvgpr_write_b32 a35, v3
	v_accvgpr_write_b32 a34, v2
	v_accvgpr_read_b32 v2, a12
	v_and_b32_e32 v4, 60, v21
	s_ashr_i32 s19, s18, 31
	s_lshl_b64 s[4:5], s[18:19], 2
	s_getpc_b64 s[6:7]
	s_add_u32 s6, s6, llvm.amdgcn.dynlds.offset.table@rel32@lo+4
	s_addc_u32 s7, s7, llvm.amdgcn.dynlds.offset.table@rel32@hi+12
	v_accvgpr_write_b32 a18, v22
	v_accvgpr_write_b32 a24, v24
	s_add_u32 s10, s4, s6
	v_accvgpr_write_b32 a20, v36
	v_accvgpr_write_b32 a17, v11
	;; [unrolled: 1-line block ×8, first 2 shown]
	s_addc_u32 s11, s5, s7
	v_lshlrev_b32_e32 v54, 4, v2
	v_accvgpr_write_b32 a30, v7
	v_accvgpr_write_b32 a22, v21
	;; [unrolled: 1-line block ×4, first 2 shown]
	s_mov_b64 s[12:13], 0
	s_movk_i32 s19, 0x7f
	s_movk_i32 s28, 0x80
	s_mov_b32 s29, 0x8000
	v_accvgpr_write_b32 a29, v6
	s_waitcnt vmcnt(0)
	v_cmp_neq_f32_e64 s[2:3], 0, v1
	v_sub_u32_e32 v1, 0, v8
	v_mul_lo_u32 v1, v1, v0
	v_mul_hi_u32 v1, v0, v1
	v_add_u32_e32 v0, v0, v1
	v_accvgpr_write_b32 a38, v0
	v_accvgpr_read_b32 v0, a8
	v_sub_u32_e32 v0, v7, v0
	v_add_u32_e32 v0, 1, v0
	v_accvgpr_write_b32 a37, v0
	v_lshlrev_b32_e32 v0, 2, v7
	v_lshl_or_b32 v0, v2, 6, v0
	v_accvgpr_write_b32 a39, v0
	v_lshl_add_u64 v[0:1], v[36:37], 2, v[4:5]
	v_lshl_add_u64 v[0:1], v[10:11], 0, v[0:1]
	v_accvgpr_write_b32 a41, v1
	v_accvgpr_write_b32 a40, v0
	v_mbcnt_hi_u32_b32 v0, -1, v6
	v_accvgpr_write_b32 a42, v0
	v_mov_b32_e32 v0, 0xff7fffff
	scratch_store_dword off, v0, s32 offset:168 ; 4-byte Folded Spill
	s_branch .LBB245_12
.LBB245_10:                             ;   in Loop: Header=BB245_12 Depth=1
	s_or_b64 exec, exec, s[22:23]
.LBB245_11:                             ;   in Loop: Header=BB245_12 Depth=1
	s_or_b64 exec, exec, s[6:7]
	v_accvgpr_read_b32 v0, a39
	v_accvgpr_read_b32 v2, a43
	v_add_u32_e32 v0, 0x80, v0
	v_add_u32_e32 v2, 2, v2
	v_accvgpr_write_b32 a39, v0
	v_accvgpr_read_b32 v0, a11
	v_cmp_ge_i32_e64 s[4:5], v2, v0
	s_waitcnt lgkmcnt(0)
	v_accvgpr_read_b32 v0, a40
	v_accvgpr_read_b32 v1, a41
	v_lshl_add_u64 v[0:1], v[0:1], 0, 8
	v_accvgpr_write_b32 a41, v1
	v_add_u32_e32 v54, 32, v54
	s_or_b64 s[12:13], s[4:5], s[12:13]
	v_accvgpr_write_b32 a40, v0
	s_andn2_b64 exec, exec, s[12:13]
	s_cbranch_execz .LBB245_529
.LBB245_12:                             ; =>This Inner Loop Header: Depth=1
	v_accvgpr_read_b32 v0, a7
	v_mul_hi_u32 v0, v54, v0
	v_accvgpr_read_b32 v3, a3
	v_mul_lo_u32 v1, v0, v3
	v_sub_u32_e32 v1, v54, v1
	v_accvgpr_write_b32 a43, v2
	v_add_u32_e32 v2, 1, v0
	v_cmp_ge_u32_e64 s[4:5], v1, v3
	v_accvgpr_read_b32 v4, a38
	s_nop 0
	v_cndmask_b32_e64 v0, v0, v2, s[4:5]
	v_sub_u32_e32 v2, v1, v3
	v_cndmask_b32_e64 v1, v1, v2, s[4:5]
	v_add_u32_e32 v2, 1, v0
	v_cmp_ge_u32_e64 s[4:5], v1, v3
	v_accvgpr_read_b32 v1, a9
	s_nop 0
	v_cndmask_b32_e64 v0, v0, v2, s[4:5]
	v_xor_b32_e32 v0, v0, v1
	v_sub_u32_e32 v0, v0, v1
	v_accvgpr_read_b32 v2, a10
	v_add_u32_e32 v1, v0, v2
	v_sub_u32_e32 v3, 0, v1
	v_ashrrev_i32_e32 v2, 31, v1
	v_max_i32_e32 v1, v1, v3
	v_mul_hi_u32 v3, v1, v4
	v_accvgpr_read_b32 v4, a31
	v_mul_lo_u32 v3, v3, v4
	v_sub_u32_e32 v1, v1, v3
	v_sub_u32_e32 v3, v1, v4
	v_cmp_ge_u32_e64 s[4:5], v1, v4
	s_nop 1
	v_cndmask_b32_e64 v1, v1, v3, s[4:5]
	v_sub_u32_e32 v3, v1, v4
	v_cmp_ge_u32_e64 s[4:5], v1, v4
	s_nop 1
	v_cndmask_b32_e64 v1, v1, v3, s[4:5]
	v_xor_b32_e32 v1, v1, v2
	v_sub_u32_e32 v1, v1, v2
	v_cmp_ne_u32_e64 s[4:5], 0, v1
	v_accvgpr_read_b32 v1, a13
	v_cmp_le_i32_e64 s[6:7], v0, v1
	s_and_b64 s[4:5], s[4:5], s[6:7]
	s_and_b64 s[22:23], vcc, s[4:5]
	s_and_saveexec_b64 s[6:7], s[22:23]
	s_cbranch_execz .LBB245_14
; %bb.13:                               ;   in Loop: Header=BB245_12 Depth=1
	s_load_dword s22, s[10:11], 0x0
	v_accvgpr_read_b32 v0, a39
	v_mov_b32_e32 v1, 0xff7fffff
	s_waitcnt lgkmcnt(0)
	v_add_u32_e32 v0, s22, v0
	ds_write_b32 v0, v1
.LBB245_14:                             ;   in Loop: Header=BB245_12 Depth=1
	s_or_b64 exec, exec, s[6:7]
	s_xor_b64 s[4:5], s[4:5], -1
	s_and_saveexec_b64 s[6:7], s[4:5]
	s_cbranch_execz .LBB245_11
; %bb.15:                               ;   in Loop: Header=BB245_12 Depth=1
	v_accvgpr_read_b32 v0, a40
	v_accvgpr_read_b32 v1, a41
	flat_load_dword v0, v[0:1]
	v_accvgpr_read_b32 v6, a32
	v_accvgpr_read_b32 v2, a6
	;; [unrolled: 1-line block ×3, first 2 shown]
                                        ; implicit-def: $sgpr26
	s_waitcnt vmcnt(0) lgkmcnt(0)
	v_mad_i64_i32 v[0:1], s[4:5], v0, v2, v[6:7]
	v_accvgpr_read_b32 v2, a34
	v_accvgpr_read_b32 v3, a35
	v_lshl_add_u64 v[34:35], v[0:1], 0, v[2:3]
	v_accvgpr_read_b32 v2, a26
	flat_load_ushort v0, v[34:35]
	v_accvgpr_read_b32 v3, a27
	flat_load_dword v45, v[2:3]
	s_mov_b64 s[4:5], 0
	s_waitcnt vmcnt(0) lgkmcnt(0)
	v_cmp_gt_i16_sdwa s[22:23], v0, s19 src0_sel:BYTE_0 src1_sel:DWORD
	s_and_saveexec_b64 s[24:25], s[22:23]
	s_xor_b64 s[22:23], exec, s[24:25]
	s_cbranch_execnz .LBB245_277
; %bb.16:                               ;   in Loop: Header=BB245_12 Depth=1
	s_or_saveexec_b64 s[22:23], s[22:23]
	v_mov_b32_e32 v10, s26
	s_xor_b64 exec, exec, s[22:23]
	s_cbranch_execnz .LBB245_280
.LBB245_17:                             ;   in Loop: Header=BB245_12 Depth=1
	s_or_b64 exec, exec, s[22:23]
	v_and_b32_e32 v4, 0xffff, v0
	s_and_saveexec_b64 s[22:23], s[4:5]
	s_cbranch_execz .LBB245_19
.LBB245_18:                             ;   in Loop: Header=BB245_12 Depth=1
	v_and_b32_e32 v2, 7, v4
	v_ffbh_u32_e32 v0, v2
	v_min_u32_e32 v6, 32, v0
	v_subrev_u32_e32 v0, 28, v6
	v_bfe_u32 v3, v4, 3, 4
	v_lshlrev_b64 v[0:1], v0, v[4:5]
	v_sub_u32_e32 v1, 29, v6
	v_cmp_eq_u32_e64 s[4:5], 0, v3
	v_and_b32_e32 v0, 7, v0
	s_nop 0
	v_cndmask_b32_e64 v1, v3, v1, s[4:5]
	v_mov_b32_e32 v3, 0x1c00
	v_cndmask_b32_e64 v0, v2, v0, s[4:5]
	v_lshlrev_b32_e32 v2, 8, v4
	v_lshl_add_u32 v1, v1, 10, v3
	v_and_or_b32 v1, v2, s29, v1
	v_lshl_or_b32 v0, v0, 7, v1
	v_cvt_f32_f16_e32 v10, v0
.LBB245_19:                             ;   in Loop: Header=BB245_12 Depth=1
	s_or_b64 exec, exec, s[22:23]
	v_lshrrev_b16_e32 v4, 8, v4
	v_cmp_lt_i16_e64 s[4:5], s19, v4
	s_mov_b64 s[22:23], 0
                                        ; implicit-def: $sgpr30
	s_and_saveexec_b64 s[24:25], s[4:5]
	s_xor_b64 s[24:25], exec, s[24:25]
	s_cbranch_execnz .LBB245_281
; %bb.20:                               ;   in Loop: Header=BB245_12 Depth=1
	s_or_saveexec_b64 s[24:25], s[24:25]
	v_mov_b32_e32 v0, s30
	s_xor_b64 exec, exec, s[24:25]
	s_cbranch_execnz .LBB245_284
.LBB245_21:                             ;   in Loop: Header=BB245_12 Depth=1
	s_or_b64 exec, exec, s[24:25]
	s_and_saveexec_b64 s[24:25], s[22:23]
	s_cbranch_execz .LBB245_23
.LBB245_22:                             ;   in Loop: Header=BB245_12 Depth=1
	v_and_b32_e32 v2, 7, v4
	v_ffbh_u32_e32 v0, v2
	v_min_u32_e32 v6, 32, v0
	v_subrev_u32_e32 v0, 28, v6
	v_bfe_u32 v3, v4, 3, 4
	v_lshlrev_b64 v[0:1], v0, v[4:5]
	v_sub_u32_e32 v1, 29, v6
	v_cmp_eq_u32_e64 s[4:5], 0, v3
	v_and_b32_e32 v0, 7, v0
	s_nop 0
	v_cndmask_b32_e64 v1, v3, v1, s[4:5]
	v_mov_b32_e32 v3, 0x1c00
	v_cndmask_b32_e64 v0, v2, v0, s[4:5]
	v_lshlrev_b32_e32 v2, 8, v4
	v_lshl_add_u32 v1, v1, 10, v3
	v_and_or_b32 v1, v2, s29, v1
	v_lshl_or_b32 v0, v0, 7, v1
	v_cvt_f32_f16_e32 v0, v0
.LBB245_23:                             ;   in Loop: Header=BB245_12 Depth=1
	s_or_b64 exec, exec, s[24:25]
	v_accvgpr_write_b32 a55, v0
	flat_load_ushort v0, v[34:35] offset:8
	s_mov_b64 s[4:5], 0
                                        ; implicit-def: $sgpr26
	s_waitcnt vmcnt(0) lgkmcnt(0)
	v_cmp_gt_i16_sdwa s[22:23], v0, s19 src0_sel:BYTE_0 src1_sel:DWORD
	s_and_saveexec_b64 s[24:25], s[22:23]
	s_xor_b64 s[22:23], exec, s[24:25]
	s_cbranch_execnz .LBB245_285
; %bb.24:                               ;   in Loop: Header=BB245_12 Depth=1
	s_or_saveexec_b64 s[22:23], s[22:23]
	v_mov_b32_e32 v55, s26
	s_xor_b64 exec, exec, s[22:23]
	s_cbranch_execnz .LBB245_288
.LBB245_25:                             ;   in Loop: Header=BB245_12 Depth=1
	s_or_b64 exec, exec, s[22:23]
	v_and_b32_e32 v4, 0xffff, v0
	s_and_saveexec_b64 s[22:23], s[4:5]
	s_cbranch_execz .LBB245_27
.LBB245_26:                             ;   in Loop: Header=BB245_12 Depth=1
	v_and_b32_e32 v2, 7, v4
	v_ffbh_u32_e32 v0, v2
	v_min_u32_e32 v6, 32, v0
	v_subrev_u32_e32 v0, 28, v6
	v_bfe_u32 v3, v4, 3, 4
	v_lshlrev_b64 v[0:1], v0, v[4:5]
	v_sub_u32_e32 v1, 29, v6
	v_cmp_eq_u32_e64 s[4:5], 0, v3
	v_and_b32_e32 v0, 7, v0
	s_nop 0
	v_cndmask_b32_e64 v1, v3, v1, s[4:5]
	v_mov_b32_e32 v3, 0x1c00
	v_cndmask_b32_e64 v0, v2, v0, s[4:5]
	v_lshlrev_b32_e32 v2, 8, v4
	v_lshl_add_u32 v1, v1, 10, v3
	v_and_or_b32 v1, v2, s29, v1
	v_lshl_or_b32 v0, v0, 7, v1
	v_cvt_f32_f16_e32 v55, v0
.LBB245_27:                             ;   in Loop: Header=BB245_12 Depth=1
	s_or_b64 exec, exec, s[22:23]
	v_lshrrev_b16_e32 v4, 8, v4
	v_cmp_lt_i16_e64 s[4:5], s19, v4
	s_mov_b64 s[22:23], 0
                                        ; implicit-def: $sgpr30
	s_and_saveexec_b64 s[24:25], s[4:5]
	s_xor_b64 s[24:25], exec, s[24:25]
	s_cbranch_execnz .LBB245_289
; %bb.28:                               ;   in Loop: Header=BB245_12 Depth=1
	s_or_saveexec_b64 s[24:25], s[24:25]
	v_mov_b32_e32 v17, s30
	s_xor_b64 exec, exec, s[24:25]
	s_cbranch_execnz .LBB245_292
.LBB245_29:                             ;   in Loop: Header=BB245_12 Depth=1
	s_or_b64 exec, exec, s[24:25]
	s_and_saveexec_b64 s[24:25], s[22:23]
	s_cbranch_execz .LBB245_31
.LBB245_30:                             ;   in Loop: Header=BB245_12 Depth=1
	v_and_b32_e32 v2, 7, v4
	v_ffbh_u32_e32 v0, v2
	v_min_u32_e32 v6, 32, v0
	v_subrev_u32_e32 v0, 28, v6
	v_bfe_u32 v3, v4, 3, 4
	v_lshlrev_b64 v[0:1], v0, v[4:5]
	v_sub_u32_e32 v1, 29, v6
	v_cmp_eq_u32_e64 s[4:5], 0, v3
	v_and_b32_e32 v0, 7, v0
	s_nop 0
	v_cndmask_b32_e64 v1, v3, v1, s[4:5]
	v_mov_b32_e32 v3, 0x1c00
	v_cndmask_b32_e64 v0, v2, v0, s[4:5]
	v_lshlrev_b32_e32 v2, 8, v4
	v_lshl_add_u32 v1, v1, 10, v3
	v_and_or_b32 v1, v2, s29, v1
	v_lshl_or_b32 v0, v0, 7, v1
	v_cvt_f32_f16_e32 v17, v0
.LBB245_31:                             ;   in Loop: Header=BB245_12 Depth=1
	s_or_b64 exec, exec, s[24:25]
	flat_load_ushort v0, v[34:35] offset:256
	s_mov_b64 s[4:5], 0
                                        ; implicit-def: $sgpr26
	s_waitcnt vmcnt(0) lgkmcnt(0)
	v_cmp_gt_i16_sdwa s[22:23], v0, s19 src0_sel:BYTE_0 src1_sel:DWORD
	s_and_saveexec_b64 s[24:25], s[22:23]
	s_xor_b64 s[22:23], exec, s[24:25]
	s_cbranch_execnz .LBB245_293
; %bb.32:                               ;   in Loop: Header=BB245_12 Depth=1
	s_or_saveexec_b64 s[22:23], s[22:23]
	v_mov_b32_e32 v19, s26
	s_xor_b64 exec, exec, s[22:23]
	s_cbranch_execnz .LBB245_296
.LBB245_33:                             ;   in Loop: Header=BB245_12 Depth=1
	s_or_b64 exec, exec, s[22:23]
	v_and_b32_e32 v4, 0xffff, v0
	s_and_saveexec_b64 s[22:23], s[4:5]
	s_cbranch_execz .LBB245_35
.LBB245_34:                             ;   in Loop: Header=BB245_12 Depth=1
	v_and_b32_e32 v2, 7, v4
	v_ffbh_u32_e32 v0, v2
	v_min_u32_e32 v6, 32, v0
	v_subrev_u32_e32 v0, 28, v6
	v_bfe_u32 v3, v4, 3, 4
	v_lshlrev_b64 v[0:1], v0, v[4:5]
	v_sub_u32_e32 v1, 29, v6
	v_cmp_eq_u32_e64 s[4:5], 0, v3
	v_and_b32_e32 v0, 7, v0
	s_nop 0
	v_cndmask_b32_e64 v1, v3, v1, s[4:5]
	v_mov_b32_e32 v3, 0x1c00
	v_cndmask_b32_e64 v0, v2, v0, s[4:5]
	v_lshlrev_b32_e32 v2, 8, v4
	v_lshl_add_u32 v1, v1, 10, v3
	v_and_or_b32 v1, v2, s29, v1
	v_lshl_or_b32 v0, v0, 7, v1
	v_cvt_f32_f16_e32 v19, v0
.LBB245_35:                             ;   in Loop: Header=BB245_12 Depth=1
	s_or_b64 exec, exec, s[22:23]
	v_lshrrev_b16_e32 v4, 8, v4
	v_cmp_lt_i16_e64 s[4:5], s19, v4
	s_mov_b64 s[22:23], 0
                                        ; implicit-def: $sgpr30
	s_and_saveexec_b64 s[24:25], s[4:5]
	s_xor_b64 s[24:25], exec, s[24:25]
	s_cbranch_execnz .LBB245_297
; %bb.36:                               ;   in Loop: Header=BB245_12 Depth=1
	s_or_saveexec_b64 s[24:25], s[24:25]
	v_mov_b32_e32 v20, s30
	s_xor_b64 exec, exec, s[24:25]
	s_cbranch_execnz .LBB245_300
.LBB245_37:                             ;   in Loop: Header=BB245_12 Depth=1
	s_or_b64 exec, exec, s[24:25]
	s_and_saveexec_b64 s[24:25], s[22:23]
	s_cbranch_execz .LBB245_39
.LBB245_38:                             ;   in Loop: Header=BB245_12 Depth=1
	v_and_b32_e32 v2, 7, v4
	v_ffbh_u32_e32 v0, v2
	v_min_u32_e32 v6, 32, v0
	v_subrev_u32_e32 v0, 28, v6
	v_bfe_u32 v3, v4, 3, 4
	v_lshlrev_b64 v[0:1], v0, v[4:5]
	v_sub_u32_e32 v1, 29, v6
	v_cmp_eq_u32_e64 s[4:5], 0, v3
	v_and_b32_e32 v0, 7, v0
	s_nop 0
	v_cndmask_b32_e64 v1, v3, v1, s[4:5]
	v_mov_b32_e32 v3, 0x1c00
	v_cndmask_b32_e64 v0, v2, v0, s[4:5]
	v_lshlrev_b32_e32 v2, 8, v4
	v_lshl_add_u32 v1, v1, 10, v3
	v_and_or_b32 v1, v2, s29, v1
	v_lshl_or_b32 v0, v0, 7, v1
	v_cvt_f32_f16_e32 v20, v0
.LBB245_39:                             ;   in Loop: Header=BB245_12 Depth=1
	s_or_b64 exec, exec, s[24:25]
	flat_load_ushort v0, v[34:35] offset:264
	s_mov_b64 s[4:5], 0
                                        ; implicit-def: $sgpr26
	s_waitcnt vmcnt(0) lgkmcnt(0)
	v_cmp_gt_i16_sdwa s[22:23], v0, s19 src0_sel:BYTE_0 src1_sel:DWORD
	s_and_saveexec_b64 s[24:25], s[22:23]
	s_xor_b64 s[22:23], exec, s[24:25]
	s_cbranch_execnz .LBB245_301
; %bb.40:                               ;   in Loop: Header=BB245_12 Depth=1
	s_or_saveexec_b64 s[22:23], s[22:23]
	v_mov_b32_e32 v21, s26
	s_xor_b64 exec, exec, s[22:23]
	s_cbranch_execnz .LBB245_304
.LBB245_41:                             ;   in Loop: Header=BB245_12 Depth=1
	s_or_b64 exec, exec, s[22:23]
	v_and_b32_e32 v4, 0xffff, v0
	s_and_saveexec_b64 s[22:23], s[4:5]
	s_cbranch_execz .LBB245_43
.LBB245_42:                             ;   in Loop: Header=BB245_12 Depth=1
	v_and_b32_e32 v2, 7, v4
	v_ffbh_u32_e32 v0, v2
	v_min_u32_e32 v6, 32, v0
	v_subrev_u32_e32 v0, 28, v6
	v_bfe_u32 v3, v4, 3, 4
	v_lshlrev_b64 v[0:1], v0, v[4:5]
	v_sub_u32_e32 v1, 29, v6
	v_cmp_eq_u32_e64 s[4:5], 0, v3
	v_and_b32_e32 v0, 7, v0
	s_nop 0
	v_cndmask_b32_e64 v1, v3, v1, s[4:5]
	v_mov_b32_e32 v3, 0x1c00
	v_cndmask_b32_e64 v0, v2, v0, s[4:5]
	v_lshlrev_b32_e32 v2, 8, v4
	v_lshl_add_u32 v1, v1, 10, v3
	v_and_or_b32 v1, v2, s29, v1
	v_lshl_or_b32 v0, v0, 7, v1
	v_cvt_f32_f16_e32 v21, v0
.LBB245_43:                             ;   in Loop: Header=BB245_12 Depth=1
	s_or_b64 exec, exec, s[22:23]
	v_lshrrev_b16_e32 v4, 8, v4
	v_cmp_lt_i16_e64 s[4:5], s19, v4
	s_mov_b64 s[22:23], 0
                                        ; implicit-def: $sgpr30
	s_and_saveexec_b64 s[24:25], s[4:5]
	s_xor_b64 s[24:25], exec, s[24:25]
	s_cbranch_execnz .LBB245_305
; %bb.44:                               ;   in Loop: Header=BB245_12 Depth=1
	s_or_saveexec_b64 s[24:25], s[24:25]
	v_mov_b32_e32 v24, s30
	s_xor_b64 exec, exec, s[24:25]
	s_cbranch_execnz .LBB245_308
.LBB245_45:                             ;   in Loop: Header=BB245_12 Depth=1
	s_or_b64 exec, exec, s[24:25]
	s_and_saveexec_b64 s[24:25], s[22:23]
	s_cbranch_execz .LBB245_47
.LBB245_46:                             ;   in Loop: Header=BB245_12 Depth=1
	v_and_b32_e32 v2, 7, v4
	v_ffbh_u32_e32 v0, v2
	v_min_u32_e32 v6, 32, v0
	v_subrev_u32_e32 v0, 28, v6
	v_bfe_u32 v3, v4, 3, 4
	v_lshlrev_b64 v[0:1], v0, v[4:5]
	v_sub_u32_e32 v1, 29, v6
	v_cmp_eq_u32_e64 s[4:5], 0, v3
	v_and_b32_e32 v0, 7, v0
	s_nop 0
	v_cndmask_b32_e64 v1, v3, v1, s[4:5]
	v_mov_b32_e32 v3, 0x1c00
	v_cndmask_b32_e64 v0, v2, v0, s[4:5]
	v_lshlrev_b32_e32 v2, 8, v4
	v_lshl_add_u32 v1, v1, 10, v3
	v_and_or_b32 v1, v2, s29, v1
	v_lshl_or_b32 v0, v0, 7, v1
	v_cvt_f32_f16_e32 v24, v0
.LBB245_47:                             ;   in Loop: Header=BB245_12 Depth=1
	s_or_b64 exec, exec, s[24:25]
	flat_load_ushort v0, v[34:35] offset:512
	s_mov_b64 s[4:5], 0
                                        ; implicit-def: $sgpr26
	s_waitcnt vmcnt(0) lgkmcnt(0)
	v_cmp_gt_i16_sdwa s[22:23], v0, s19 src0_sel:BYTE_0 src1_sel:DWORD
	s_and_saveexec_b64 s[24:25], s[22:23]
	s_xor_b64 s[22:23], exec, s[24:25]
	s_cbranch_execnz .LBB245_309
; %bb.48:                               ;   in Loop: Header=BB245_12 Depth=1
	s_or_saveexec_b64 s[22:23], s[22:23]
	v_mov_b32_e32 v25, s26
	s_xor_b64 exec, exec, s[22:23]
	s_cbranch_execnz .LBB245_312
.LBB245_49:                             ;   in Loop: Header=BB245_12 Depth=1
	s_or_b64 exec, exec, s[22:23]
	v_and_b32_e32 v4, 0xffff, v0
	s_and_saveexec_b64 s[22:23], s[4:5]
	s_cbranch_execz .LBB245_51
.LBB245_50:                             ;   in Loop: Header=BB245_12 Depth=1
	v_and_b32_e32 v2, 7, v4
	v_ffbh_u32_e32 v0, v2
	v_min_u32_e32 v6, 32, v0
	v_subrev_u32_e32 v0, 28, v6
	v_bfe_u32 v3, v4, 3, 4
	v_lshlrev_b64 v[0:1], v0, v[4:5]
	v_sub_u32_e32 v1, 29, v6
	v_cmp_eq_u32_e64 s[4:5], 0, v3
	v_and_b32_e32 v0, 7, v0
	s_nop 0
	v_cndmask_b32_e64 v1, v3, v1, s[4:5]
	v_mov_b32_e32 v3, 0x1c00
	v_cndmask_b32_e64 v0, v2, v0, s[4:5]
	v_lshlrev_b32_e32 v2, 8, v4
	v_lshl_add_u32 v1, v1, 10, v3
	v_and_or_b32 v1, v2, s29, v1
	v_lshl_or_b32 v0, v0, 7, v1
	v_cvt_f32_f16_e32 v25, v0
.LBB245_51:                             ;   in Loop: Header=BB245_12 Depth=1
	s_or_b64 exec, exec, s[22:23]
	v_lshrrev_b16_e32 v4, 8, v4
	v_cmp_lt_i16_e64 s[4:5], s19, v4
	s_mov_b64 s[22:23], 0
                                        ; implicit-def: $sgpr30
	s_and_saveexec_b64 s[24:25], s[4:5]
	s_xor_b64 s[24:25], exec, s[24:25]
	s_cbranch_execnz .LBB245_313
; %bb.52:                               ;   in Loop: Header=BB245_12 Depth=1
	s_or_saveexec_b64 s[24:25], s[24:25]
	v_mov_b32_e32 v28, s30
	s_xor_b64 exec, exec, s[24:25]
	s_cbranch_execnz .LBB245_316
.LBB245_53:                             ;   in Loop: Header=BB245_12 Depth=1
	s_or_b64 exec, exec, s[24:25]
	s_and_saveexec_b64 s[24:25], s[22:23]
	s_cbranch_execz .LBB245_55
.LBB245_54:                             ;   in Loop: Header=BB245_12 Depth=1
	v_and_b32_e32 v2, 7, v4
	v_ffbh_u32_e32 v0, v2
	v_min_u32_e32 v6, 32, v0
	v_subrev_u32_e32 v0, 28, v6
	v_bfe_u32 v3, v4, 3, 4
	v_lshlrev_b64 v[0:1], v0, v[4:5]
	v_sub_u32_e32 v1, 29, v6
	v_cmp_eq_u32_e64 s[4:5], 0, v3
	v_and_b32_e32 v0, 7, v0
	s_nop 0
	v_cndmask_b32_e64 v1, v3, v1, s[4:5]
	v_mov_b32_e32 v3, 0x1c00
	v_cndmask_b32_e64 v0, v2, v0, s[4:5]
	v_lshlrev_b32_e32 v2, 8, v4
	v_lshl_add_u32 v1, v1, 10, v3
	v_and_or_b32 v1, v2, s29, v1
	v_lshl_or_b32 v0, v0, 7, v1
	v_cvt_f32_f16_e32 v28, v0
.LBB245_55:                             ;   in Loop: Header=BB245_12 Depth=1
	s_or_b64 exec, exec, s[24:25]
	flat_load_ushort v0, v[34:35] offset:520
	s_mov_b64 s[4:5], 0
                                        ; implicit-def: $sgpr26
	s_waitcnt vmcnt(0) lgkmcnt(0)
	v_cmp_gt_i16_sdwa s[22:23], v0, s19 src0_sel:BYTE_0 src1_sel:DWORD
	s_and_saveexec_b64 s[24:25], s[22:23]
	s_xor_b64 s[22:23], exec, s[24:25]
	s_cbranch_execnz .LBB245_317
; %bb.56:                               ;   in Loop: Header=BB245_12 Depth=1
	s_or_saveexec_b64 s[22:23], s[22:23]
	v_mov_b32_e32 v29, s26
	s_xor_b64 exec, exec, s[22:23]
	s_cbranch_execnz .LBB245_320
.LBB245_57:                             ;   in Loop: Header=BB245_12 Depth=1
	s_or_b64 exec, exec, s[22:23]
	v_and_b32_e32 v4, 0xffff, v0
	s_and_saveexec_b64 s[22:23], s[4:5]
	s_cbranch_execz .LBB245_59
.LBB245_58:                             ;   in Loop: Header=BB245_12 Depth=1
	v_and_b32_e32 v2, 7, v4
	v_ffbh_u32_e32 v0, v2
	v_min_u32_e32 v6, 32, v0
	v_subrev_u32_e32 v0, 28, v6
	v_bfe_u32 v3, v4, 3, 4
	v_lshlrev_b64 v[0:1], v0, v[4:5]
	v_sub_u32_e32 v1, 29, v6
	v_cmp_eq_u32_e64 s[4:5], 0, v3
	v_and_b32_e32 v0, 7, v0
	s_nop 0
	v_cndmask_b32_e64 v1, v3, v1, s[4:5]
	v_mov_b32_e32 v3, 0x1c00
	v_cndmask_b32_e64 v0, v2, v0, s[4:5]
	v_lshlrev_b32_e32 v2, 8, v4
	v_lshl_add_u32 v1, v1, 10, v3
	v_and_or_b32 v1, v2, s29, v1
	v_lshl_or_b32 v0, v0, 7, v1
	v_cvt_f32_f16_e32 v29, v0
.LBB245_59:                             ;   in Loop: Header=BB245_12 Depth=1
	s_or_b64 exec, exec, s[22:23]
	v_lshrrev_b16_e32 v4, 8, v4
	v_cmp_lt_i16_e64 s[4:5], s19, v4
	s_mov_b64 s[22:23], 0
                                        ; implicit-def: $sgpr30
	s_and_saveexec_b64 s[24:25], s[4:5]
	s_xor_b64 s[24:25], exec, s[24:25]
	s_cbranch_execnz .LBB245_321
; %bb.60:                               ;   in Loop: Header=BB245_12 Depth=1
	s_or_saveexec_b64 s[24:25], s[24:25]
	v_mov_b32_e32 v31, s30
	s_xor_b64 exec, exec, s[24:25]
	s_cbranch_execnz .LBB245_324
.LBB245_61:                             ;   in Loop: Header=BB245_12 Depth=1
	s_or_b64 exec, exec, s[24:25]
	s_and_saveexec_b64 s[24:25], s[22:23]
	s_cbranch_execz .LBB245_63
.LBB245_62:                             ;   in Loop: Header=BB245_12 Depth=1
	v_and_b32_e32 v2, 7, v4
	v_ffbh_u32_e32 v0, v2
	v_min_u32_e32 v6, 32, v0
	v_subrev_u32_e32 v0, 28, v6
	v_bfe_u32 v3, v4, 3, 4
	v_lshlrev_b64 v[0:1], v0, v[4:5]
	v_sub_u32_e32 v1, 29, v6
	v_cmp_eq_u32_e64 s[4:5], 0, v3
	v_and_b32_e32 v0, 7, v0
	s_nop 0
	v_cndmask_b32_e64 v1, v3, v1, s[4:5]
	v_mov_b32_e32 v3, 0x1c00
	v_cndmask_b32_e64 v0, v2, v0, s[4:5]
	v_lshlrev_b32_e32 v2, 8, v4
	v_lshl_add_u32 v1, v1, 10, v3
	v_and_or_b32 v1, v2, s29, v1
	v_lshl_or_b32 v0, v0, 7, v1
	v_cvt_f32_f16_e32 v31, v0
.LBB245_63:                             ;   in Loop: Header=BB245_12 Depth=1
	s_or_b64 exec, exec, s[24:25]
	flat_load_ushort v0, v[34:35] offset:768
	s_mov_b64 s[4:5], 0
                                        ; implicit-def: $sgpr26
	s_waitcnt vmcnt(0) lgkmcnt(0)
	v_cmp_gt_i16_sdwa s[22:23], v0, s19 src0_sel:BYTE_0 src1_sel:DWORD
	s_and_saveexec_b64 s[24:25], s[22:23]
	s_xor_b64 s[22:23], exec, s[24:25]
	s_cbranch_execnz .LBB245_325
; %bb.64:                               ;   in Loop: Header=BB245_12 Depth=1
	s_or_saveexec_b64 s[22:23], s[22:23]
	v_mov_b32_e32 v32, s26
	s_xor_b64 exec, exec, s[22:23]
	s_cbranch_execnz .LBB245_328
.LBB245_65:                             ;   in Loop: Header=BB245_12 Depth=1
	s_or_b64 exec, exec, s[22:23]
	v_and_b32_e32 v4, 0xffff, v0
	s_and_saveexec_b64 s[22:23], s[4:5]
	s_cbranch_execz .LBB245_67
.LBB245_66:                             ;   in Loop: Header=BB245_12 Depth=1
	v_and_b32_e32 v2, 7, v4
	v_ffbh_u32_e32 v0, v2
	v_min_u32_e32 v6, 32, v0
	v_subrev_u32_e32 v0, 28, v6
	v_bfe_u32 v3, v4, 3, 4
	v_lshlrev_b64 v[0:1], v0, v[4:5]
	v_sub_u32_e32 v1, 29, v6
	v_cmp_eq_u32_e64 s[4:5], 0, v3
	v_and_b32_e32 v0, 7, v0
	s_nop 0
	v_cndmask_b32_e64 v1, v3, v1, s[4:5]
	v_mov_b32_e32 v3, 0x1c00
	v_cndmask_b32_e64 v0, v2, v0, s[4:5]
	v_lshlrev_b32_e32 v2, 8, v4
	v_lshl_add_u32 v1, v1, 10, v3
	v_and_or_b32 v1, v2, s29, v1
	v_lshl_or_b32 v0, v0, 7, v1
	v_cvt_f32_f16_e32 v32, v0
.LBB245_67:                             ;   in Loop: Header=BB245_12 Depth=1
	s_or_b64 exec, exec, s[22:23]
	v_lshrrev_b16_e32 v4, 8, v4
	v_cmp_lt_i16_e64 s[4:5], s19, v4
	s_mov_b64 s[22:23], 0
                                        ; implicit-def: $sgpr30
	s_and_saveexec_b64 s[24:25], s[4:5]
	s_xor_b64 s[24:25], exec, s[24:25]
	s_cbranch_execnz .LBB245_329
; %bb.68:                               ;   in Loop: Header=BB245_12 Depth=1
	s_or_saveexec_b64 s[24:25], s[24:25]
	v_mov_b32_e32 v0, s30
	s_xor_b64 exec, exec, s[24:25]
	s_cbranch_execnz .LBB245_332
.LBB245_69:                             ;   in Loop: Header=BB245_12 Depth=1
	s_or_b64 exec, exec, s[24:25]
	s_and_saveexec_b64 s[24:25], s[22:23]
	s_cbranch_execz .LBB245_71
.LBB245_70:                             ;   in Loop: Header=BB245_12 Depth=1
	v_and_b32_e32 v2, 7, v4
	v_ffbh_u32_e32 v0, v2
	v_min_u32_e32 v6, 32, v0
	v_subrev_u32_e32 v0, 28, v6
	v_bfe_u32 v3, v4, 3, 4
	v_lshlrev_b64 v[0:1], v0, v[4:5]
	v_sub_u32_e32 v1, 29, v6
	v_cmp_eq_u32_e64 s[4:5], 0, v3
	v_and_b32_e32 v0, 7, v0
	s_nop 0
	v_cndmask_b32_e64 v1, v3, v1, s[4:5]
	v_mov_b32_e32 v3, 0x1c00
	v_cndmask_b32_e64 v0, v2, v0, s[4:5]
	v_lshlrev_b32_e32 v2, 8, v4
	v_lshl_add_u32 v1, v1, 10, v3
	v_and_or_b32 v1, v2, s29, v1
	v_lshl_or_b32 v0, v0, 7, v1
	v_cvt_f32_f16_e32 v0, v0
.LBB245_71:                             ;   in Loop: Header=BB245_12 Depth=1
	s_or_b64 exec, exec, s[24:25]
	v_accvgpr_write_b32 a53, v0
	flat_load_ushort v0, v[34:35] offset:776
	s_mov_b64 s[4:5], 0
                                        ; implicit-def: $sgpr26
	s_waitcnt vmcnt(0) lgkmcnt(0)
	v_cmp_gt_i16_sdwa s[22:23], v0, s19 src0_sel:BYTE_0 src1_sel:DWORD
	s_and_saveexec_b64 s[24:25], s[22:23]
	s_xor_b64 s[22:23], exec, s[24:25]
	s_cbranch_execnz .LBB245_333
; %bb.72:                               ;   in Loop: Header=BB245_12 Depth=1
	s_or_saveexec_b64 s[22:23], s[22:23]
	v_mov_b32_e32 v36, s26
	s_xor_b64 exec, exec, s[22:23]
	s_cbranch_execnz .LBB245_336
.LBB245_73:                             ;   in Loop: Header=BB245_12 Depth=1
	s_or_b64 exec, exec, s[22:23]
	v_and_b32_e32 v4, 0xffff, v0
	s_and_saveexec_b64 s[22:23], s[4:5]
	s_cbranch_execz .LBB245_75
.LBB245_74:                             ;   in Loop: Header=BB245_12 Depth=1
	v_and_b32_e32 v2, 7, v4
	v_ffbh_u32_e32 v0, v2
	v_min_u32_e32 v6, 32, v0
	v_subrev_u32_e32 v0, 28, v6
	v_bfe_u32 v3, v4, 3, 4
	v_lshlrev_b64 v[0:1], v0, v[4:5]
	v_sub_u32_e32 v1, 29, v6
	v_cmp_eq_u32_e64 s[4:5], 0, v3
	v_and_b32_e32 v0, 7, v0
	s_nop 0
	v_cndmask_b32_e64 v1, v3, v1, s[4:5]
	v_mov_b32_e32 v3, 0x1c00
	v_cndmask_b32_e64 v0, v2, v0, s[4:5]
	v_lshlrev_b32_e32 v2, 8, v4
	v_lshl_add_u32 v1, v1, 10, v3
	v_and_or_b32 v1, v2, s29, v1
	v_lshl_or_b32 v0, v0, 7, v1
	v_cvt_f32_f16_e32 v36, v0
.LBB245_75:                             ;   in Loop: Header=BB245_12 Depth=1
	s_or_b64 exec, exec, s[22:23]
	v_lshrrev_b16_e32 v4, 8, v4
	v_cmp_lt_i16_e64 s[4:5], s19, v4
	s_mov_b64 s[22:23], 0
                                        ; implicit-def: $sgpr30
	s_and_saveexec_b64 s[24:25], s[4:5]
	s_xor_b64 s[24:25], exec, s[24:25]
	s_cbranch_execnz .LBB245_337
; %bb.76:                               ;   in Loop: Header=BB245_12 Depth=1
	s_or_saveexec_b64 s[24:25], s[24:25]
	v_mov_b32_e32 v38, s30
	s_xor_b64 exec, exec, s[24:25]
	s_cbranch_execnz .LBB245_340
.LBB245_77:                             ;   in Loop: Header=BB245_12 Depth=1
	s_or_b64 exec, exec, s[24:25]
	s_and_saveexec_b64 s[24:25], s[22:23]
	s_cbranch_execz .LBB245_79
.LBB245_78:                             ;   in Loop: Header=BB245_12 Depth=1
	v_and_b32_e32 v2, 7, v4
	v_ffbh_u32_e32 v0, v2
	v_min_u32_e32 v6, 32, v0
	v_subrev_u32_e32 v0, 28, v6
	v_bfe_u32 v3, v4, 3, 4
	v_lshlrev_b64 v[0:1], v0, v[4:5]
	v_sub_u32_e32 v1, 29, v6
	v_cmp_eq_u32_e64 s[4:5], 0, v3
	v_and_b32_e32 v0, 7, v0
	s_nop 0
	v_cndmask_b32_e64 v1, v3, v1, s[4:5]
	v_mov_b32_e32 v3, 0x1c00
	v_cndmask_b32_e64 v0, v2, v0, s[4:5]
	v_lshlrev_b32_e32 v2, 8, v4
	v_lshl_add_u32 v1, v1, 10, v3
	v_and_or_b32 v1, v2, s29, v1
	v_lshl_or_b32 v0, v0, 7, v1
	v_cvt_f32_f16_e32 v38, v0
.LBB245_79:                             ;   in Loop: Header=BB245_12 Depth=1
	s_or_b64 exec, exec, s[24:25]
	flat_load_ushort v0, v[34:35] offset:1024
	s_mov_b64 s[4:5], 0
                                        ; implicit-def: $sgpr26
	s_waitcnt vmcnt(0) lgkmcnt(0)
	v_cmp_gt_i16_sdwa s[22:23], v0, s19 src0_sel:BYTE_0 src1_sel:DWORD
	s_and_saveexec_b64 s[24:25], s[22:23]
	s_xor_b64 s[22:23], exec, s[24:25]
	s_cbranch_execnz .LBB245_341
; %bb.80:                               ;   in Loop: Header=BB245_12 Depth=1
	s_or_saveexec_b64 s[22:23], s[22:23]
	v_mov_b32_e32 v48, s26
	s_xor_b64 exec, exec, s[22:23]
	s_cbranch_execnz .LBB245_344
.LBB245_81:                             ;   in Loop: Header=BB245_12 Depth=1
	s_or_b64 exec, exec, s[22:23]
	v_and_b32_e32 v4, 0xffff, v0
	s_and_saveexec_b64 s[22:23], s[4:5]
	s_cbranch_execz .LBB245_83
.LBB245_82:                             ;   in Loop: Header=BB245_12 Depth=1
	v_and_b32_e32 v2, 7, v4
	v_ffbh_u32_e32 v0, v2
	v_min_u32_e32 v6, 32, v0
	v_subrev_u32_e32 v0, 28, v6
	v_bfe_u32 v3, v4, 3, 4
	v_lshlrev_b64 v[0:1], v0, v[4:5]
	v_sub_u32_e32 v1, 29, v6
	v_cmp_eq_u32_e64 s[4:5], 0, v3
	v_and_b32_e32 v0, 7, v0
	s_nop 0
	v_cndmask_b32_e64 v1, v3, v1, s[4:5]
	v_mov_b32_e32 v3, 0x1c00
	v_cndmask_b32_e64 v0, v2, v0, s[4:5]
	v_lshlrev_b32_e32 v2, 8, v4
	v_lshl_add_u32 v1, v1, 10, v3
	v_and_or_b32 v1, v2, s29, v1
	v_lshl_or_b32 v0, v0, 7, v1
	v_cvt_f32_f16_e32 v48, v0
.LBB245_83:                             ;   in Loop: Header=BB245_12 Depth=1
	s_or_b64 exec, exec, s[22:23]
	v_lshrrev_b16_e32 v4, 8, v4
	v_cmp_lt_i16_e64 s[4:5], s19, v4
	s_mov_b64 s[22:23], 0
                                        ; implicit-def: $sgpr30
	s_and_saveexec_b64 s[24:25], s[4:5]
	s_xor_b64 s[24:25], exec, s[24:25]
	s_cbranch_execnz .LBB245_345
; %bb.84:                               ;   in Loop: Header=BB245_12 Depth=1
	s_or_saveexec_b64 s[24:25], s[24:25]
	v_mov_b32_e32 v49, s30
	s_xor_b64 exec, exec, s[24:25]
	s_cbranch_execnz .LBB245_348
.LBB245_85:                             ;   in Loop: Header=BB245_12 Depth=1
	s_or_b64 exec, exec, s[24:25]
	s_and_saveexec_b64 s[24:25], s[22:23]
	s_cbranch_execz .LBB245_87
.LBB245_86:                             ;   in Loop: Header=BB245_12 Depth=1
	v_and_b32_e32 v2, 7, v4
	v_ffbh_u32_e32 v0, v2
	v_min_u32_e32 v6, 32, v0
	v_subrev_u32_e32 v0, 28, v6
	v_bfe_u32 v3, v4, 3, 4
	v_lshlrev_b64 v[0:1], v0, v[4:5]
	v_sub_u32_e32 v1, 29, v6
	v_cmp_eq_u32_e64 s[4:5], 0, v3
	v_and_b32_e32 v0, 7, v0
	s_nop 0
	v_cndmask_b32_e64 v1, v3, v1, s[4:5]
	v_mov_b32_e32 v3, 0x1c00
	v_cndmask_b32_e64 v0, v2, v0, s[4:5]
	v_lshlrev_b32_e32 v2, 8, v4
	v_lshl_add_u32 v1, v1, 10, v3
	v_and_or_b32 v1, v2, s29, v1
	v_lshl_or_b32 v0, v0, 7, v1
	v_cvt_f32_f16_e32 v49, v0
.LBB245_87:                             ;   in Loop: Header=BB245_12 Depth=1
	s_or_b64 exec, exec, s[24:25]
	flat_load_ushort v0, v[34:35] offset:1032
	s_mov_b64 s[4:5], 0
                                        ; implicit-def: $sgpr26
	s_waitcnt vmcnt(0) lgkmcnt(0)
	v_cmp_gt_i16_sdwa s[22:23], v0, s19 src0_sel:BYTE_0 src1_sel:DWORD
	s_and_saveexec_b64 s[24:25], s[22:23]
	s_xor_b64 s[22:23], exec, s[24:25]
	s_cbranch_execnz .LBB245_349
; %bb.88:                               ;   in Loop: Header=BB245_12 Depth=1
	s_or_saveexec_b64 s[22:23], s[22:23]
	v_mov_b32_e32 v11, s26
	s_xor_b64 exec, exec, s[22:23]
	s_cbranch_execnz .LBB245_352
.LBB245_89:                             ;   in Loop: Header=BB245_12 Depth=1
	s_or_b64 exec, exec, s[22:23]
	v_and_b32_e32 v4, 0xffff, v0
	s_and_saveexec_b64 s[22:23], s[4:5]
	s_cbranch_execz .LBB245_91
.LBB245_90:                             ;   in Loop: Header=BB245_12 Depth=1
	v_and_b32_e32 v2, 7, v4
	v_ffbh_u32_e32 v0, v2
	v_min_u32_e32 v6, 32, v0
	v_subrev_u32_e32 v0, 28, v6
	v_bfe_u32 v3, v4, 3, 4
	v_lshlrev_b64 v[0:1], v0, v[4:5]
	v_sub_u32_e32 v1, 29, v6
	v_cmp_eq_u32_e64 s[4:5], 0, v3
	v_and_b32_e32 v0, 7, v0
	s_nop 0
	v_cndmask_b32_e64 v1, v3, v1, s[4:5]
	v_mov_b32_e32 v3, 0x1c00
	v_cndmask_b32_e64 v0, v2, v0, s[4:5]
	v_lshlrev_b32_e32 v2, 8, v4
	v_lshl_add_u32 v1, v1, 10, v3
	v_and_or_b32 v1, v2, s29, v1
	v_lshl_or_b32 v0, v0, 7, v1
	v_cvt_f32_f16_e32 v11, v0
.LBB245_91:                             ;   in Loop: Header=BB245_12 Depth=1
	s_or_b64 exec, exec, s[22:23]
	v_lshrrev_b16_e32 v4, 8, v4
	v_cmp_lt_i16_e64 s[4:5], s19, v4
	s_mov_b64 s[22:23], 0
                                        ; implicit-def: $sgpr30
	s_and_saveexec_b64 s[24:25], s[4:5]
	s_xor_b64 s[24:25], exec, s[24:25]
	s_cbranch_execnz .LBB245_353
; %bb.92:                               ;   in Loop: Header=BB245_12 Depth=1
	s_or_saveexec_b64 s[24:25], s[24:25]
	v_mov_b32_e32 v53, s30
	s_xor_b64 exec, exec, s[24:25]
	s_cbranch_execnz .LBB245_356
.LBB245_93:                             ;   in Loop: Header=BB245_12 Depth=1
	s_or_b64 exec, exec, s[24:25]
	s_and_saveexec_b64 s[24:25], s[22:23]
	s_cbranch_execz .LBB245_95
.LBB245_94:                             ;   in Loop: Header=BB245_12 Depth=1
	v_and_b32_e32 v2, 7, v4
	v_ffbh_u32_e32 v0, v2
	v_min_u32_e32 v6, 32, v0
	v_subrev_u32_e32 v0, 28, v6
	v_bfe_u32 v3, v4, 3, 4
	v_lshlrev_b64 v[0:1], v0, v[4:5]
	v_sub_u32_e32 v1, 29, v6
	v_cmp_eq_u32_e64 s[4:5], 0, v3
	v_and_b32_e32 v0, 7, v0
	s_nop 0
	v_cndmask_b32_e64 v1, v3, v1, s[4:5]
	v_mov_b32_e32 v3, 0x1c00
	v_cndmask_b32_e64 v0, v2, v0, s[4:5]
	v_lshlrev_b32_e32 v2, 8, v4
	v_lshl_add_u32 v1, v1, 10, v3
	v_and_or_b32 v1, v2, s29, v1
	v_lshl_or_b32 v0, v0, 7, v1
	v_cvt_f32_f16_e32 v53, v0
.LBB245_95:                             ;   in Loop: Header=BB245_12 Depth=1
	s_or_b64 exec, exec, s[24:25]
	flat_load_ushort v0, v[34:35] offset:1280
	s_mov_b64 s[4:5], 0
                                        ; implicit-def: $sgpr26
	s_waitcnt vmcnt(0) lgkmcnt(0)
	v_cmp_gt_i16_sdwa s[22:23], v0, s19 src0_sel:BYTE_0 src1_sel:DWORD
	s_and_saveexec_b64 s[24:25], s[22:23]
	s_xor_b64 s[22:23], exec, s[24:25]
	s_cbranch_execnz .LBB245_357
; %bb.96:                               ;   in Loop: Header=BB245_12 Depth=1
	s_or_saveexec_b64 s[22:23], s[22:23]
	v_mov_b32_e32 v16, s26
	s_xor_b64 exec, exec, s[22:23]
	s_cbranch_execnz .LBB245_360
.LBB245_97:                             ;   in Loop: Header=BB245_12 Depth=1
	s_or_b64 exec, exec, s[22:23]
	v_and_b32_e32 v4, 0xffff, v0
	s_and_saveexec_b64 s[22:23], s[4:5]
	s_cbranch_execz .LBB245_99
.LBB245_98:                             ;   in Loop: Header=BB245_12 Depth=1
	v_and_b32_e32 v2, 7, v4
	v_ffbh_u32_e32 v0, v2
	v_min_u32_e32 v6, 32, v0
	v_subrev_u32_e32 v0, 28, v6
	v_bfe_u32 v3, v4, 3, 4
	v_lshlrev_b64 v[0:1], v0, v[4:5]
	v_sub_u32_e32 v1, 29, v6
	v_cmp_eq_u32_e64 s[4:5], 0, v3
	v_and_b32_e32 v0, 7, v0
	s_nop 0
	v_cndmask_b32_e64 v1, v3, v1, s[4:5]
	v_mov_b32_e32 v3, 0x1c00
	v_cndmask_b32_e64 v0, v2, v0, s[4:5]
	v_lshlrev_b32_e32 v2, 8, v4
	v_lshl_add_u32 v1, v1, 10, v3
	v_and_or_b32 v1, v2, s29, v1
	v_lshl_or_b32 v0, v0, 7, v1
	v_cvt_f32_f16_e32 v16, v0
.LBB245_99:                             ;   in Loop: Header=BB245_12 Depth=1
	s_or_b64 exec, exec, s[22:23]
	v_lshrrev_b16_e32 v4, 8, v4
	v_cmp_lt_i16_e64 s[4:5], s19, v4
	s_mov_b64 s[22:23], 0
                                        ; implicit-def: $sgpr30
	s_and_saveexec_b64 s[24:25], s[4:5]
	s_xor_b64 s[24:25], exec, s[24:25]
	s_cbranch_execnz .LBB245_361
; %bb.100:                              ;   in Loop: Header=BB245_12 Depth=1
	s_or_saveexec_b64 s[24:25], s[24:25]
	v_mov_b32_e32 v41, s30
	s_xor_b64 exec, exec, s[24:25]
	s_cbranch_execnz .LBB245_364
.LBB245_101:                            ;   in Loop: Header=BB245_12 Depth=1
	s_or_b64 exec, exec, s[24:25]
	s_and_saveexec_b64 s[24:25], s[22:23]
	s_cbranch_execz .LBB245_103
.LBB245_102:                            ;   in Loop: Header=BB245_12 Depth=1
	v_and_b32_e32 v2, 7, v4
	v_ffbh_u32_e32 v0, v2
	v_min_u32_e32 v6, 32, v0
	v_subrev_u32_e32 v0, 28, v6
	v_bfe_u32 v3, v4, 3, 4
	v_lshlrev_b64 v[0:1], v0, v[4:5]
	v_sub_u32_e32 v1, 29, v6
	v_cmp_eq_u32_e64 s[4:5], 0, v3
	v_and_b32_e32 v0, 7, v0
	s_nop 0
	v_cndmask_b32_e64 v1, v3, v1, s[4:5]
	v_mov_b32_e32 v3, 0x1c00
	v_cndmask_b32_e64 v0, v2, v0, s[4:5]
	v_lshlrev_b32_e32 v2, 8, v4
	v_lshl_add_u32 v1, v1, 10, v3
	v_and_or_b32 v1, v2, s29, v1
	v_lshl_or_b32 v0, v0, 7, v1
	v_cvt_f32_f16_e32 v41, v0
.LBB245_103:                            ;   in Loop: Header=BB245_12 Depth=1
	s_or_b64 exec, exec, s[24:25]
	flat_load_ushort v0, v[34:35] offset:1288
	s_mov_b64 s[4:5], 0
                                        ; implicit-def: $sgpr26
	s_waitcnt vmcnt(0) lgkmcnt(0)
	v_cmp_gt_i16_sdwa s[22:23], v0, s19 src0_sel:BYTE_0 src1_sel:DWORD
	s_and_saveexec_b64 s[24:25], s[22:23]
	s_xor_b64 s[22:23], exec, s[24:25]
	s_cbranch_execnz .LBB245_365
; %bb.104:                              ;   in Loop: Header=BB245_12 Depth=1
	s_or_saveexec_b64 s[22:23], s[22:23]
	v_mov_b32_e32 v43, s26
	s_xor_b64 exec, exec, s[22:23]
	s_cbranch_execnz .LBB245_368
.LBB245_105:                            ;   in Loop: Header=BB245_12 Depth=1
	s_or_b64 exec, exec, s[22:23]
	v_and_b32_e32 v4, 0xffff, v0
	s_and_saveexec_b64 s[22:23], s[4:5]
	s_cbranch_execz .LBB245_107
.LBB245_106:                            ;   in Loop: Header=BB245_12 Depth=1
	v_and_b32_e32 v2, 7, v4
	v_ffbh_u32_e32 v0, v2
	v_min_u32_e32 v7, 32, v0
	v_subrev_u32_e32 v0, 28, v7
	v_bfe_u32 v3, v4, 3, 4
	v_lshlrev_b64 v[0:1], v0, v[4:5]
	v_sub_u32_e32 v1, 29, v7
	v_cmp_eq_u32_e64 s[4:5], 0, v3
	v_and_b32_e32 v0, 7, v0
	s_nop 0
	v_cndmask_b32_e64 v1, v3, v1, s[4:5]
	v_mov_b32_e32 v3, 0x1c00
	v_cndmask_b32_e64 v0, v2, v0, s[4:5]
	v_lshlrev_b32_e32 v2, 8, v4
	v_lshl_add_u32 v1, v1, 10, v3
	v_and_or_b32 v1, v2, s29, v1
	v_lshl_or_b32 v0, v0, 7, v1
	v_cvt_f32_f16_e32 v43, v0
.LBB245_107:                            ;   in Loop: Header=BB245_12 Depth=1
	s_or_b64 exec, exec, s[22:23]
	v_lshrrev_b16_e32 v4, 8, v4
	v_cmp_lt_i16_e64 s[4:5], s19, v4
	s_mov_b64 s[22:23], 0
                                        ; implicit-def: $sgpr30
	s_and_saveexec_b64 s[24:25], s[4:5]
	s_xor_b64 s[24:25], exec, s[24:25]
	s_cbranch_execnz .LBB245_369
; %bb.108:                              ;   in Loop: Header=BB245_12 Depth=1
	s_or_saveexec_b64 s[24:25], s[24:25]
	v_mov_b32_e32 v44, s30
	s_xor_b64 exec, exec, s[24:25]
	s_cbranch_execnz .LBB245_372
.LBB245_109:                            ;   in Loop: Header=BB245_12 Depth=1
	s_or_b64 exec, exec, s[24:25]
	s_and_saveexec_b64 s[24:25], s[22:23]
	s_cbranch_execz .LBB245_111
.LBB245_110:                            ;   in Loop: Header=BB245_12 Depth=1
	v_and_b32_e32 v2, 7, v4
	v_ffbh_u32_e32 v0, v2
	v_min_u32_e32 v8, 32, v0
	v_subrev_u32_e32 v0, 28, v8
	v_bfe_u32 v3, v4, 3, 4
	v_lshlrev_b64 v[0:1], v0, v[4:5]
	v_sub_u32_e32 v1, 29, v8
	v_cmp_eq_u32_e64 s[4:5], 0, v3
	v_and_b32_e32 v0, 7, v0
	s_nop 0
	v_cndmask_b32_e64 v1, v3, v1, s[4:5]
	v_mov_b32_e32 v3, 0x1c00
	v_cndmask_b32_e64 v0, v2, v0, s[4:5]
	v_lshlrev_b32_e32 v2, 8, v4
	v_lshl_add_u32 v1, v1, 10, v3
	v_and_or_b32 v1, v2, s29, v1
	v_lshl_or_b32 v0, v0, 7, v1
	v_cvt_f32_f16_e32 v44, v0
.LBB245_111:                            ;   in Loop: Header=BB245_12 Depth=1
	s_or_b64 exec, exec, s[24:25]
	flat_load_ushort v0, v[34:35] offset:1536
	s_mov_b64 s[4:5], 0
                                        ; implicit-def: $sgpr26
	s_waitcnt vmcnt(0) lgkmcnt(0)
	v_cmp_gt_i16_sdwa s[22:23], v0, s19 src0_sel:BYTE_0 src1_sel:DWORD
	s_and_saveexec_b64 s[24:25], s[22:23]
	s_xor_b64 s[22:23], exec, s[24:25]
	s_cbranch_execnz .LBB245_373
; %bb.112:                              ;   in Loop: Header=BB245_12 Depth=1
	s_or_saveexec_b64 s[22:23], s[22:23]
	v_mov_b32_e32 v46, s26
	s_xor_b64 exec, exec, s[22:23]
	s_cbranch_execnz .LBB245_376
.LBB245_113:                            ;   in Loop: Header=BB245_12 Depth=1
	s_or_b64 exec, exec, s[22:23]
	v_and_b32_e32 v4, 0xffff, v0
	s_and_saveexec_b64 s[22:23], s[4:5]
	s_cbranch_execz .LBB245_115
.LBB245_114:                            ;   in Loop: Header=BB245_12 Depth=1
	v_and_b32_e32 v2, 7, v4
	v_ffbh_u32_e32 v0, v2
	v_min_u32_e32 v8, 32, v0
	v_subrev_u32_e32 v0, 28, v8
	v_bfe_u32 v3, v4, 3, 4
	v_lshlrev_b64 v[0:1], v0, v[4:5]
	v_sub_u32_e32 v1, 29, v8
	v_cmp_eq_u32_e64 s[4:5], 0, v3
	v_and_b32_e32 v0, 7, v0
	s_nop 0
	v_cndmask_b32_e64 v1, v3, v1, s[4:5]
	v_mov_b32_e32 v3, 0x1c00
	v_cndmask_b32_e64 v0, v2, v0, s[4:5]
	v_lshlrev_b32_e32 v2, 8, v4
	v_lshl_add_u32 v1, v1, 10, v3
	v_and_or_b32 v1, v2, s29, v1
	v_lshl_or_b32 v0, v0, 7, v1
	v_cvt_f32_f16_e32 v46, v0
.LBB245_115:                            ;   in Loop: Header=BB245_12 Depth=1
	s_or_b64 exec, exec, s[22:23]
	v_lshrrev_b16_e32 v4, 8, v4
	v_cmp_lt_i16_e64 s[4:5], s19, v4
	s_mov_b64 s[22:23], 0
                                        ; implicit-def: $sgpr30
	s_and_saveexec_b64 s[24:25], s[4:5]
	s_xor_b64 s[24:25], exec, s[24:25]
	s_cbranch_execnz .LBB245_377
; %bb.116:                              ;   in Loop: Header=BB245_12 Depth=1
	s_or_saveexec_b64 s[24:25], s[24:25]
	v_mov_b32_e32 v47, s30
	s_xor_b64 exec, exec, s[24:25]
	s_cbranch_execnz .LBB245_380
.LBB245_117:                            ;   in Loop: Header=BB245_12 Depth=1
	s_or_b64 exec, exec, s[24:25]
	s_and_saveexec_b64 s[24:25], s[22:23]
	s_cbranch_execz .LBB245_119
.LBB245_118:                            ;   in Loop: Header=BB245_12 Depth=1
	v_and_b32_e32 v2, 7, v4
	v_ffbh_u32_e32 v0, v2
	v_min_u32_e32 v8, 32, v0
	v_subrev_u32_e32 v0, 28, v8
	v_bfe_u32 v3, v4, 3, 4
	v_lshlrev_b64 v[0:1], v0, v[4:5]
	v_sub_u32_e32 v1, 29, v8
	v_cmp_eq_u32_e64 s[4:5], 0, v3
	v_and_b32_e32 v0, 7, v0
	s_nop 0
	v_cndmask_b32_e64 v1, v3, v1, s[4:5]
	v_mov_b32_e32 v3, 0x1c00
	v_cndmask_b32_e64 v0, v2, v0, s[4:5]
	v_lshlrev_b32_e32 v2, 8, v4
	v_lshl_add_u32 v1, v1, 10, v3
	v_and_or_b32 v1, v2, s29, v1
	v_lshl_or_b32 v0, v0, 7, v1
	v_cvt_f32_f16_e32 v47, v0
.LBB245_119:                            ;   in Loop: Header=BB245_12 Depth=1
	s_or_b64 exec, exec, s[24:25]
	flat_load_ushort v0, v[34:35] offset:1544
	s_mov_b64 s[4:5], 0
                                        ; implicit-def: $sgpr26
	s_waitcnt vmcnt(0) lgkmcnt(0)
	v_cmp_gt_i16_sdwa s[22:23], v0, s19 src0_sel:BYTE_0 src1_sel:DWORD
	s_and_saveexec_b64 s[24:25], s[22:23]
	s_xor_b64 s[22:23], exec, s[24:25]
	s_cbranch_execnz .LBB245_381
; %bb.120:                              ;   in Loop: Header=BB245_12 Depth=1
	s_or_saveexec_b64 s[22:23], s[22:23]
	v_mov_b32_e32 v57, s26
	s_xor_b64 exec, exec, s[22:23]
	s_cbranch_execnz .LBB245_384
.LBB245_121:                            ;   in Loop: Header=BB245_12 Depth=1
	s_or_b64 exec, exec, s[22:23]
	v_and_b32_e32 v4, 0xffff, v0
	s_and_saveexec_b64 s[22:23], s[4:5]
	s_cbranch_execz .LBB245_123
.LBB245_122:                            ;   in Loop: Header=BB245_12 Depth=1
	v_and_b32_e32 v2, 7, v4
	v_ffbh_u32_e32 v0, v2
	v_min_u32_e32 v8, 32, v0
	v_subrev_u32_e32 v0, 28, v8
	v_bfe_u32 v3, v4, 3, 4
	v_lshlrev_b64 v[0:1], v0, v[4:5]
	v_sub_u32_e32 v1, 29, v8
	v_cmp_eq_u32_e64 s[4:5], 0, v3
	v_and_b32_e32 v0, 7, v0
	s_nop 0
	v_cndmask_b32_e64 v1, v3, v1, s[4:5]
	v_mov_b32_e32 v3, 0x1c00
	v_cndmask_b32_e64 v0, v2, v0, s[4:5]
	v_lshlrev_b32_e32 v2, 8, v4
	v_lshl_add_u32 v1, v1, 10, v3
	v_and_or_b32 v1, v2, s29, v1
	v_lshl_or_b32 v0, v0, 7, v1
	v_cvt_f32_f16_e32 v57, v0
.LBB245_123:                            ;   in Loop: Header=BB245_12 Depth=1
	s_or_b64 exec, exec, s[22:23]
	v_lshrrev_b16_e32 v4, 8, v4
	v_cmp_lt_i16_e64 s[4:5], s19, v4
	s_mov_b64 s[22:23], 0
                                        ; implicit-def: $sgpr30
	s_and_saveexec_b64 s[24:25], s[4:5]
	s_xor_b64 s[24:25], exec, s[24:25]
	s_cbranch_execnz .LBB245_385
; %bb.124:                              ;   in Loop: Header=BB245_12 Depth=1
	s_or_saveexec_b64 s[24:25], s[24:25]
	v_mov_b32_e32 v12, s30
	s_xor_b64 exec, exec, s[24:25]
	s_cbranch_execnz .LBB245_388
.LBB245_125:                            ;   in Loop: Header=BB245_12 Depth=1
	s_or_b64 exec, exec, s[24:25]
	s_and_saveexec_b64 s[24:25], s[22:23]
	s_cbranch_execz .LBB245_127
.LBB245_126:                            ;   in Loop: Header=BB245_12 Depth=1
	v_and_b32_e32 v2, 7, v4
	v_ffbh_u32_e32 v0, v2
	v_min_u32_e32 v8, 32, v0
	v_subrev_u32_e32 v0, 28, v8
	v_bfe_u32 v3, v4, 3, 4
	v_lshlrev_b64 v[0:1], v0, v[4:5]
	v_sub_u32_e32 v1, 29, v8
	v_cmp_eq_u32_e64 s[4:5], 0, v3
	v_and_b32_e32 v0, 7, v0
	s_nop 0
	v_cndmask_b32_e64 v1, v3, v1, s[4:5]
	v_mov_b32_e32 v3, 0x1c00
	v_cndmask_b32_e64 v0, v2, v0, s[4:5]
	v_lshlrev_b32_e32 v2, 8, v4
	v_lshl_add_u32 v1, v1, 10, v3
	v_and_or_b32 v1, v2, s29, v1
	v_lshl_or_b32 v0, v0, 7, v1
	v_cvt_f32_f16_e32 v12, v0
.LBB245_127:                            ;   in Loop: Header=BB245_12 Depth=1
	s_or_b64 exec, exec, s[24:25]
	flat_load_ushort v0, v[34:35] offset:1792
	s_mov_b64 s[4:5], 0
                                        ; implicit-def: $sgpr26
	s_waitcnt vmcnt(0) lgkmcnt(0)
	v_cmp_gt_i16_sdwa s[22:23], v0, s19 src0_sel:BYTE_0 src1_sel:DWORD
	s_and_saveexec_b64 s[24:25], s[22:23]
	s_xor_b64 s[22:23], exec, s[24:25]
	s_cbranch_execnz .LBB245_389
; %bb.128:                              ;   in Loop: Header=BB245_12 Depth=1
	s_or_saveexec_b64 s[22:23], s[22:23]
	v_mov_b32_e32 v6, s26
	s_xor_b64 exec, exec, s[22:23]
	s_cbranch_execnz .LBB245_392
.LBB245_129:                            ;   in Loop: Header=BB245_12 Depth=1
	s_or_b64 exec, exec, s[22:23]
	v_and_b32_e32 v4, 0xffff, v0
	s_and_saveexec_b64 s[22:23], s[4:5]
	s_cbranch_execz .LBB245_131
.LBB245_130:                            ;   in Loop: Header=BB245_12 Depth=1
	v_and_b32_e32 v2, 7, v4
	v_ffbh_u32_e32 v0, v2
	v_min_u32_e32 v8, 32, v0
	v_subrev_u32_e32 v0, 28, v8
	v_bfe_u32 v3, v4, 3, 4
	v_lshlrev_b64 v[0:1], v0, v[4:5]
	v_sub_u32_e32 v1, 29, v8
	v_cmp_eq_u32_e64 s[4:5], 0, v3
	v_and_b32_e32 v0, 7, v0
	s_nop 0
	v_cndmask_b32_e64 v1, v3, v1, s[4:5]
	v_mov_b32_e32 v3, 0x1c00
	v_cndmask_b32_e64 v0, v2, v0, s[4:5]
	v_lshlrev_b32_e32 v2, 8, v4
	v_lshl_add_u32 v1, v1, 10, v3
	v_and_or_b32 v1, v2, s29, v1
	v_lshl_or_b32 v0, v0, 7, v1
	v_cvt_f32_f16_e32 v6, v0
.LBB245_131:                            ;   in Loop: Header=BB245_12 Depth=1
	s_or_b64 exec, exec, s[22:23]
	v_lshrrev_b16_e32 v4, 8, v4
	v_cmp_lt_i16_e64 s[4:5], s19, v4
	s_mov_b64 s[22:23], 0
                                        ; implicit-def: $sgpr30
	s_and_saveexec_b64 s[24:25], s[4:5]
	s_xor_b64 s[24:25], exec, s[24:25]
	s_cbranch_execnz .LBB245_393
; %bb.132:                              ;   in Loop: Header=BB245_12 Depth=1
	s_or_saveexec_b64 s[24:25], s[24:25]
	v_mov_b32_e32 v9, s30
	s_xor_b64 exec, exec, s[24:25]
	s_cbranch_execnz .LBB245_396
.LBB245_133:                            ;   in Loop: Header=BB245_12 Depth=1
	s_or_b64 exec, exec, s[24:25]
	s_and_saveexec_b64 s[24:25], s[22:23]
	s_cbranch_execz .LBB245_135
.LBB245_134:                            ;   in Loop: Header=BB245_12 Depth=1
	v_and_b32_e32 v2, 7, v4
	v_ffbh_u32_e32 v0, v2
	v_min_u32_e32 v8, 32, v0
	v_subrev_u32_e32 v0, 28, v8
	v_bfe_u32 v3, v4, 3, 4
	v_lshlrev_b64 v[0:1], v0, v[4:5]
	v_sub_u32_e32 v1, 29, v8
	v_cmp_eq_u32_e64 s[4:5], 0, v3
	v_and_b32_e32 v0, 7, v0
	s_nop 0
	v_cndmask_b32_e64 v1, v3, v1, s[4:5]
	v_mov_b32_e32 v3, 0x1c00
	v_cndmask_b32_e64 v0, v2, v0, s[4:5]
	v_lshlrev_b32_e32 v2, 8, v4
	v_lshl_add_u32 v1, v1, 10, v3
	v_and_or_b32 v1, v2, s29, v1
	v_lshl_or_b32 v0, v0, 7, v1
	v_cvt_f32_f16_e32 v9, v0
.LBB245_135:                            ;   in Loop: Header=BB245_12 Depth=1
	s_or_b64 exec, exec, s[24:25]
	flat_load_ushort v0, v[34:35] offset:1800
	s_mov_b64 s[4:5], 0
                                        ; implicit-def: $sgpr26
	s_waitcnt vmcnt(0) lgkmcnt(0)
	v_cmp_gt_i16_sdwa s[22:23], v0, s19 src0_sel:BYTE_0 src1_sel:DWORD
	s_and_saveexec_b64 s[24:25], s[22:23]
	s_xor_b64 s[22:23], exec, s[24:25]
	s_cbranch_execnz .LBB245_397
; %bb.136:                              ;   in Loop: Header=BB245_12 Depth=1
	s_or_saveexec_b64 s[22:23], s[22:23]
	v_mov_b32_e32 v7, s26
	s_xor_b64 exec, exec, s[22:23]
	s_cbranch_execnz .LBB245_400
.LBB245_137:                            ;   in Loop: Header=BB245_12 Depth=1
	s_or_b64 exec, exec, s[22:23]
	v_and_b32_e32 v4, 0xffff, v0
	s_and_saveexec_b64 s[22:23], s[4:5]
	s_cbranch_execz .LBB245_139
.LBB245_138:                            ;   in Loop: Header=BB245_12 Depth=1
	v_and_b32_e32 v2, 7, v4
	v_ffbh_u32_e32 v0, v2
	v_min_u32_e32 v8, 32, v0
	v_subrev_u32_e32 v0, 28, v8
	v_bfe_u32 v3, v4, 3, 4
	v_lshlrev_b64 v[0:1], v0, v[4:5]
	v_sub_u32_e32 v1, 29, v8
	v_cmp_eq_u32_e64 s[4:5], 0, v3
	v_and_b32_e32 v0, 7, v0
	s_nop 0
	v_cndmask_b32_e64 v1, v3, v1, s[4:5]
	v_mov_b32_e32 v3, 0x1c00
	v_cndmask_b32_e64 v0, v2, v0, s[4:5]
	v_lshlrev_b32_e32 v2, 8, v4
	v_lshl_add_u32 v1, v1, 10, v3
	v_and_or_b32 v1, v2, s29, v1
	v_lshl_or_b32 v0, v0, 7, v1
	v_cvt_f32_f16_e32 v7, v0
.LBB245_139:                            ;   in Loop: Header=BB245_12 Depth=1
	s_or_b64 exec, exec, s[22:23]
	v_lshrrev_b16_e32 v4, 8, v4
	v_cmp_lt_i16_e64 s[4:5], s19, v4
	s_mov_b64 s[22:23], 0
                                        ; implicit-def: $sgpr30
	s_and_saveexec_b64 s[24:25], s[4:5]
	s_xor_b64 s[24:25], exec, s[24:25]
	s_cbranch_execnz .LBB245_401
; %bb.140:                              ;   in Loop: Header=BB245_12 Depth=1
	s_or_saveexec_b64 s[24:25], s[24:25]
	v_mov_b32_e32 v18, s30
	s_xor_b64 exec, exec, s[24:25]
	s_cbranch_execnz .LBB245_404
.LBB245_141:                            ;   in Loop: Header=BB245_12 Depth=1
	s_or_b64 exec, exec, s[24:25]
	s_and_saveexec_b64 s[24:25], s[22:23]
	s_cbranch_execz .LBB245_143
.LBB245_142:                            ;   in Loop: Header=BB245_12 Depth=1
	v_and_b32_e32 v2, 7, v4
	v_ffbh_u32_e32 v0, v2
	v_min_u32_e32 v8, 32, v0
	v_subrev_u32_e32 v0, 28, v8
	v_bfe_u32 v3, v4, 3, 4
	v_lshlrev_b64 v[0:1], v0, v[4:5]
	v_sub_u32_e32 v1, 29, v8
	v_cmp_eq_u32_e64 s[4:5], 0, v3
	v_and_b32_e32 v0, 7, v0
	s_nop 0
	v_cndmask_b32_e64 v1, v3, v1, s[4:5]
	v_mov_b32_e32 v3, 0x1c00
	v_cndmask_b32_e64 v0, v2, v0, s[4:5]
	v_lshlrev_b32_e32 v2, 8, v4
	v_lshl_add_u32 v1, v1, 10, v3
	v_and_or_b32 v1, v2, s29, v1
	v_lshl_or_b32 v0, v0, 7, v1
	v_cvt_f32_f16_e32 v18, v0
.LBB245_143:                            ;   in Loop: Header=BB245_12 Depth=1
	s_or_b64 exec, exec, s[24:25]
	flat_load_ushort v0, v[34:35] offset:2048
	s_mov_b64 s[4:5], 0
                                        ; implicit-def: $sgpr26
	s_waitcnt vmcnt(0) lgkmcnt(0)
	v_cmp_gt_i16_sdwa s[22:23], v0, s19 src0_sel:BYTE_0 src1_sel:DWORD
	s_and_saveexec_b64 s[24:25], s[22:23]
	s_xor_b64 s[22:23], exec, s[24:25]
	s_cbranch_execnz .LBB245_405
; %bb.144:                              ;   in Loop: Header=BB245_12 Depth=1
	s_or_saveexec_b64 s[22:23], s[22:23]
	v_mov_b32_e32 v8, s26
	s_xor_b64 exec, exec, s[22:23]
	s_cbranch_execnz .LBB245_408
.LBB245_145:                            ;   in Loop: Header=BB245_12 Depth=1
	s_or_b64 exec, exec, s[22:23]
	v_and_b32_e32 v4, 0xffff, v0
	s_and_saveexec_b64 s[22:23], s[4:5]
	s_cbranch_execz .LBB245_147
.LBB245_146:                            ;   in Loop: Header=BB245_12 Depth=1
	v_and_b32_e32 v2, 7, v4
	v_ffbh_u32_e32 v0, v2
	v_min_u32_e32 v8, 32, v0
	v_subrev_u32_e32 v0, 28, v8
	v_bfe_u32 v3, v4, 3, 4
	v_lshlrev_b64 v[0:1], v0, v[4:5]
	v_sub_u32_e32 v1, 29, v8
	v_cmp_eq_u32_e64 s[4:5], 0, v3
	v_and_b32_e32 v0, 7, v0
	s_nop 0
	v_cndmask_b32_e64 v1, v3, v1, s[4:5]
	v_mov_b32_e32 v3, 0x1c00
	v_cndmask_b32_e64 v0, v2, v0, s[4:5]
	v_lshlrev_b32_e32 v2, 8, v4
	v_lshl_add_u32 v1, v1, 10, v3
	v_and_or_b32 v1, v2, s29, v1
	v_lshl_or_b32 v0, v0, 7, v1
	v_cvt_f32_f16_e32 v8, v0
.LBB245_147:                            ;   in Loop: Header=BB245_12 Depth=1
	s_or_b64 exec, exec, s[22:23]
	v_lshrrev_b16_e32 v4, 8, v4
	v_cmp_lt_i16_e64 s[4:5], s19, v4
	s_mov_b64 s[22:23], 0
                                        ; implicit-def: $sgpr30
	s_and_saveexec_b64 s[24:25], s[4:5]
	s_xor_b64 s[24:25], exec, s[24:25]
	s_cbranch_execnz .LBB245_409
; %bb.148:                              ;   in Loop: Header=BB245_12 Depth=1
	s_or_saveexec_b64 s[24:25], s[24:25]
	v_mov_b32_e32 v39, s30
	s_xor_b64 exec, exec, s[24:25]
	s_cbranch_execnz .LBB245_412
.LBB245_149:                            ;   in Loop: Header=BB245_12 Depth=1
	s_or_b64 exec, exec, s[24:25]
	s_and_saveexec_b64 s[24:25], s[22:23]
	s_cbranch_execz .LBB245_151
.LBB245_150:                            ;   in Loop: Header=BB245_12 Depth=1
	v_and_b32_e32 v2, 7, v4
	v_ffbh_u32_e32 v0, v2
	v_min_u32_e32 v13, 32, v0
	v_subrev_u32_e32 v0, 28, v13
	v_bfe_u32 v3, v4, 3, 4
	v_lshlrev_b64 v[0:1], v0, v[4:5]
	v_sub_u32_e32 v1, 29, v13
	v_cmp_eq_u32_e64 s[4:5], 0, v3
	v_and_b32_e32 v0, 7, v0
	s_nop 0
	v_cndmask_b32_e64 v1, v3, v1, s[4:5]
	v_mov_b32_e32 v3, 0x1c00
	v_cndmask_b32_e64 v0, v2, v0, s[4:5]
	v_lshlrev_b32_e32 v2, 8, v4
	v_lshl_add_u32 v1, v1, 10, v3
	v_and_or_b32 v1, v2, s29, v1
	v_lshl_or_b32 v0, v0, 7, v1
	v_cvt_f32_f16_e32 v39, v0
.LBB245_151:                            ;   in Loop: Header=BB245_12 Depth=1
	s_or_b64 exec, exec, s[24:25]
	flat_load_ushort v0, v[34:35] offset:2056
	s_mov_b64 s[4:5], 0
                                        ; implicit-def: $sgpr26
	s_waitcnt vmcnt(0) lgkmcnt(0)
	v_cmp_gt_i16_sdwa s[22:23], v0, s19 src0_sel:BYTE_0 src1_sel:DWORD
	s_and_saveexec_b64 s[24:25], s[22:23]
	s_xor_b64 s[22:23], exec, s[24:25]
	s_cbranch_execnz .LBB245_413
; %bb.152:                              ;   in Loop: Header=BB245_12 Depth=1
	s_or_saveexec_b64 s[22:23], s[22:23]
	v_mov_b32_e32 v26, s26
	s_xor_b64 exec, exec, s[22:23]
	s_cbranch_execnz .LBB245_416
.LBB245_153:                            ;   in Loop: Header=BB245_12 Depth=1
	s_or_b64 exec, exec, s[22:23]
	v_and_b32_e32 v4, 0xffff, v0
	s_and_saveexec_b64 s[22:23], s[4:5]
	s_cbranch_execz .LBB245_155
.LBB245_154:                            ;   in Loop: Header=BB245_12 Depth=1
	v_and_b32_e32 v2, 7, v4
	v_ffbh_u32_e32 v0, v2
	v_min_u32_e32 v13, 32, v0
	v_subrev_u32_e32 v0, 28, v13
	v_bfe_u32 v3, v4, 3, 4
	v_lshlrev_b64 v[0:1], v0, v[4:5]
	v_sub_u32_e32 v1, 29, v13
	v_cmp_eq_u32_e64 s[4:5], 0, v3
	v_and_b32_e32 v0, 7, v0
	s_nop 0
	v_cndmask_b32_e64 v1, v3, v1, s[4:5]
	v_mov_b32_e32 v3, 0x1c00
	v_cndmask_b32_e64 v0, v2, v0, s[4:5]
	v_lshlrev_b32_e32 v2, 8, v4
	v_lshl_add_u32 v1, v1, 10, v3
	v_and_or_b32 v1, v2, s29, v1
	v_lshl_or_b32 v0, v0, 7, v1
	v_cvt_f32_f16_e32 v26, v0
.LBB245_155:                            ;   in Loop: Header=BB245_12 Depth=1
	s_or_b64 exec, exec, s[22:23]
	v_lshrrev_b16_e32 v4, 8, v4
	v_cmp_lt_i16_e64 s[4:5], s19, v4
	s_mov_b64 s[22:23], 0
                                        ; implicit-def: $sgpr30
	s_and_saveexec_b64 s[24:25], s[4:5]
	s_xor_b64 s[24:25], exec, s[24:25]
	s_cbranch_execnz .LBB245_417
; %bb.156:                              ;   in Loop: Header=BB245_12 Depth=1
	s_or_saveexec_b64 s[24:25], s[24:25]
	v_mov_b32_e32 v0, s30
	s_xor_b64 exec, exec, s[24:25]
	s_cbranch_execnz .LBB245_420
.LBB245_157:                            ;   in Loop: Header=BB245_12 Depth=1
	s_or_b64 exec, exec, s[24:25]
	s_and_saveexec_b64 s[24:25], s[22:23]
	s_cbranch_execz .LBB245_159
.LBB245_158:                            ;   in Loop: Header=BB245_12 Depth=1
	v_and_b32_e32 v2, 7, v4
	v_ffbh_u32_e32 v0, v2
	v_min_u32_e32 v13, 32, v0
	v_subrev_u32_e32 v0, 28, v13
	v_bfe_u32 v3, v4, 3, 4
	v_lshlrev_b64 v[0:1], v0, v[4:5]
	v_sub_u32_e32 v1, 29, v13
	v_cmp_eq_u32_e64 s[4:5], 0, v3
	v_and_b32_e32 v0, 7, v0
	s_nop 0
	v_cndmask_b32_e64 v1, v3, v1, s[4:5]
	v_mov_b32_e32 v3, 0x1c00
	v_cndmask_b32_e64 v0, v2, v0, s[4:5]
	v_lshlrev_b32_e32 v2, 8, v4
	v_lshl_add_u32 v1, v1, 10, v3
	v_and_or_b32 v1, v2, s29, v1
	v_lshl_or_b32 v0, v0, 7, v1
	v_cvt_f32_f16_e32 v0, v0
.LBB245_159:                            ;   in Loop: Header=BB245_12 Depth=1
	s_or_b64 exec, exec, s[24:25]
	v_accvgpr_write_b32 a48, v0
	flat_load_ushort v0, v[34:35] offset:2304
	s_mov_b64 s[4:5], 0
                                        ; implicit-def: $sgpr26
	s_waitcnt vmcnt(0) lgkmcnt(0)
	v_cmp_gt_i16_sdwa s[22:23], v0, s19 src0_sel:BYTE_0 src1_sel:DWORD
	s_and_saveexec_b64 s[24:25], s[22:23]
	s_xor_b64 s[22:23], exec, s[24:25]
	s_cbranch_execnz .LBB245_421
; %bb.160:                              ;   in Loop: Header=BB245_12 Depth=1
	s_or_saveexec_b64 s[22:23], s[22:23]
	v_mov_b32_e32 v30, s26
	s_xor_b64 exec, exec, s[22:23]
	s_cbranch_execnz .LBB245_424
.LBB245_161:                            ;   in Loop: Header=BB245_12 Depth=1
	s_or_b64 exec, exec, s[22:23]
	v_and_b32_e32 v4, 0xffff, v0
	s_and_saveexec_b64 s[22:23], s[4:5]
	s_cbranch_execz .LBB245_163
.LBB245_162:                            ;   in Loop: Header=BB245_12 Depth=1
	v_and_b32_e32 v2, 7, v4
	v_ffbh_u32_e32 v0, v2
	v_min_u32_e32 v13, 32, v0
	v_subrev_u32_e32 v0, 28, v13
	v_bfe_u32 v3, v4, 3, 4
	v_lshlrev_b64 v[0:1], v0, v[4:5]
	v_sub_u32_e32 v1, 29, v13
	v_cmp_eq_u32_e64 s[4:5], 0, v3
	v_and_b32_e32 v0, 7, v0
	s_nop 0
	v_cndmask_b32_e64 v1, v3, v1, s[4:5]
	v_mov_b32_e32 v3, 0x1c00
	v_cndmask_b32_e64 v0, v2, v0, s[4:5]
	v_lshlrev_b32_e32 v2, 8, v4
	v_lshl_add_u32 v1, v1, 10, v3
	v_and_or_b32 v1, v2, s29, v1
	v_lshl_or_b32 v0, v0, 7, v1
	v_cvt_f32_f16_e32 v30, v0
.LBB245_163:                            ;   in Loop: Header=BB245_12 Depth=1
	s_or_b64 exec, exec, s[22:23]
	v_lshrrev_b16_e32 v4, 8, v4
	v_cmp_lt_i16_e64 s[4:5], s19, v4
	s_mov_b64 s[22:23], 0
                                        ; implicit-def: $sgpr30
	s_and_saveexec_b64 s[24:25], s[4:5]
	s_xor_b64 s[24:25], exec, s[24:25]
	s_cbranch_execnz .LBB245_425
; %bb.164:                              ;   in Loop: Header=BB245_12 Depth=1
	s_or_saveexec_b64 s[24:25], s[24:25]
	v_mov_b32_e32 v0, s30
	s_xor_b64 exec, exec, s[24:25]
	s_cbranch_execnz .LBB245_428
.LBB245_165:                            ;   in Loop: Header=BB245_12 Depth=1
	s_or_b64 exec, exec, s[24:25]
	s_and_saveexec_b64 s[24:25], s[22:23]
	s_cbranch_execz .LBB245_167
.LBB245_166:                            ;   in Loop: Header=BB245_12 Depth=1
	v_and_b32_e32 v2, 7, v4
	v_ffbh_u32_e32 v0, v2
	v_min_u32_e32 v13, 32, v0
	v_subrev_u32_e32 v0, 28, v13
	v_bfe_u32 v3, v4, 3, 4
	v_lshlrev_b64 v[0:1], v0, v[4:5]
	v_sub_u32_e32 v1, 29, v13
	v_cmp_eq_u32_e64 s[4:5], 0, v3
	v_and_b32_e32 v0, 7, v0
	s_nop 0
	v_cndmask_b32_e64 v1, v3, v1, s[4:5]
	v_mov_b32_e32 v3, 0x1c00
	v_cndmask_b32_e64 v0, v2, v0, s[4:5]
	v_lshlrev_b32_e32 v2, 8, v4
	v_lshl_add_u32 v1, v1, 10, v3
	v_and_or_b32 v1, v2, s29, v1
	v_lshl_or_b32 v0, v0, 7, v1
	v_cvt_f32_f16_e32 v0, v0
.LBB245_167:                            ;   in Loop: Header=BB245_12 Depth=1
	s_or_b64 exec, exec, s[24:25]
	v_accvgpr_write_b32 a50, v0
	flat_load_ushort v0, v[34:35] offset:2312
	s_mov_b64 s[4:5], 0
                                        ; implicit-def: $sgpr26
	s_waitcnt vmcnt(0) lgkmcnt(0)
	v_cmp_gt_i16_sdwa s[22:23], v0, s19 src0_sel:BYTE_0 src1_sel:DWORD
	s_and_saveexec_b64 s[24:25], s[22:23]
	s_xor_b64 s[22:23], exec, s[24:25]
	s_cbranch_execnz .LBB245_429
; %bb.168:                              ;   in Loop: Header=BB245_12 Depth=1
	s_or_saveexec_b64 s[22:23], s[22:23]
	v_mov_b32_e32 v42, s26
	s_xor_b64 exec, exec, s[22:23]
	s_cbranch_execnz .LBB245_432
.LBB245_169:                            ;   in Loop: Header=BB245_12 Depth=1
	s_or_b64 exec, exec, s[22:23]
	v_and_b32_e32 v4, 0xffff, v0
	s_and_saveexec_b64 s[22:23], s[4:5]
	s_cbranch_execz .LBB245_171
.LBB245_170:                            ;   in Loop: Header=BB245_12 Depth=1
	v_and_b32_e32 v2, 7, v4
	v_ffbh_u32_e32 v0, v2
	v_min_u32_e32 v13, 32, v0
	v_subrev_u32_e32 v0, 28, v13
	v_bfe_u32 v3, v4, 3, 4
	v_lshlrev_b64 v[0:1], v0, v[4:5]
	v_sub_u32_e32 v1, 29, v13
	v_cmp_eq_u32_e64 s[4:5], 0, v3
	v_and_b32_e32 v0, 7, v0
	s_nop 0
	v_cndmask_b32_e64 v1, v3, v1, s[4:5]
	v_mov_b32_e32 v3, 0x1c00
	v_cndmask_b32_e64 v0, v2, v0, s[4:5]
	v_lshlrev_b32_e32 v2, 8, v4
	v_lshl_add_u32 v1, v1, 10, v3
	v_and_or_b32 v1, v2, s29, v1
	v_lshl_or_b32 v0, v0, 7, v1
	v_cvt_f32_f16_e32 v42, v0
.LBB245_171:                            ;   in Loop: Header=BB245_12 Depth=1
	s_or_b64 exec, exec, s[22:23]
	v_lshrrev_b16_e32 v4, 8, v4
	v_cmp_lt_i16_e64 s[4:5], s19, v4
	s_mov_b64 s[22:23], 0
                                        ; implicit-def: $sgpr30
	s_and_saveexec_b64 s[24:25], s[4:5]
	s_xor_b64 s[24:25], exec, s[24:25]
	s_cbranch_execnz .LBB245_433
; %bb.172:                              ;   in Loop: Header=BB245_12 Depth=1
	s_or_saveexec_b64 s[24:25], s[24:25]
	v_mov_b32_e32 v0, s30
	s_xor_b64 exec, exec, s[24:25]
	s_cbranch_execnz .LBB245_436
.LBB245_173:                            ;   in Loop: Header=BB245_12 Depth=1
	s_or_b64 exec, exec, s[24:25]
	s_and_saveexec_b64 s[24:25], s[22:23]
	s_cbranch_execz .LBB245_175
.LBB245_174:                            ;   in Loop: Header=BB245_12 Depth=1
	v_and_b32_e32 v2, 7, v4
	v_ffbh_u32_e32 v0, v2
	v_min_u32_e32 v13, 32, v0
	v_subrev_u32_e32 v0, 28, v13
	v_bfe_u32 v3, v4, 3, 4
	v_lshlrev_b64 v[0:1], v0, v[4:5]
	v_sub_u32_e32 v1, 29, v13
	v_cmp_eq_u32_e64 s[4:5], 0, v3
	v_and_b32_e32 v0, 7, v0
	s_nop 0
	v_cndmask_b32_e64 v1, v3, v1, s[4:5]
	v_mov_b32_e32 v3, 0x1c00
	v_cndmask_b32_e64 v0, v2, v0, s[4:5]
	v_lshlrev_b32_e32 v2, 8, v4
	v_lshl_add_u32 v1, v1, 10, v3
	v_and_or_b32 v1, v2, s29, v1
	v_lshl_or_b32 v0, v0, 7, v1
	v_cvt_f32_f16_e32 v0, v0
.LBB245_175:                            ;   in Loop: Header=BB245_12 Depth=1
	s_or_b64 exec, exec, s[24:25]
	v_accvgpr_write_b32 a52, v0
	flat_load_ushort v0, v[34:35] offset:2560
	s_mov_b64 s[4:5], 0
                                        ; implicit-def: $sgpr26
	s_waitcnt vmcnt(0) lgkmcnt(0)
	v_cmp_gt_i16_sdwa s[22:23], v0, s19 src0_sel:BYTE_0 src1_sel:DWORD
	s_and_saveexec_b64 s[24:25], s[22:23]
	s_xor_b64 s[22:23], exec, s[24:25]
	s_cbranch_execnz .LBB245_437
; %bb.176:                              ;   in Loop: Header=BB245_12 Depth=1
	s_or_saveexec_b64 s[22:23], s[22:23]
	v_mov_b32_e32 v33, s26
	s_xor_b64 exec, exec, s[22:23]
	s_cbranch_execnz .LBB245_440
.LBB245_177:                            ;   in Loop: Header=BB245_12 Depth=1
	s_or_b64 exec, exec, s[22:23]
	v_and_b32_e32 v4, 0xffff, v0
	s_and_saveexec_b64 s[22:23], s[4:5]
	s_cbranch_execz .LBB245_179
.LBB245_178:                            ;   in Loop: Header=BB245_12 Depth=1
	v_and_b32_e32 v2, 7, v4
	v_ffbh_u32_e32 v0, v2
	v_min_u32_e32 v13, 32, v0
	v_subrev_u32_e32 v0, 28, v13
	v_bfe_u32 v3, v4, 3, 4
	v_lshlrev_b64 v[0:1], v0, v[4:5]
	v_sub_u32_e32 v1, 29, v13
	v_cmp_eq_u32_e64 s[4:5], 0, v3
	v_and_b32_e32 v0, 7, v0
	s_nop 0
	v_cndmask_b32_e64 v1, v3, v1, s[4:5]
	v_mov_b32_e32 v3, 0x1c00
	v_cndmask_b32_e64 v0, v2, v0, s[4:5]
	v_lshlrev_b32_e32 v2, 8, v4
	v_lshl_add_u32 v1, v1, 10, v3
	v_and_or_b32 v1, v2, s29, v1
	v_lshl_or_b32 v0, v0, 7, v1
	v_cvt_f32_f16_e32 v33, v0
.LBB245_179:                            ;   in Loop: Header=BB245_12 Depth=1
	s_or_b64 exec, exec, s[22:23]
	v_lshrrev_b16_e32 v4, 8, v4
	v_cmp_lt_i16_e64 s[4:5], s19, v4
	s_mov_b64 s[22:23], 0
                                        ; implicit-def: $sgpr30
	s_and_saveexec_b64 s[24:25], s[4:5]
	s_xor_b64 s[24:25], exec, s[24:25]
	s_cbranch_execnz .LBB245_441
; %bb.180:                              ;   in Loop: Header=BB245_12 Depth=1
	s_or_saveexec_b64 s[24:25], s[24:25]
	v_mov_b32_e32 v0, s30
	s_xor_b64 exec, exec, s[24:25]
	s_cbranch_execnz .LBB245_444
.LBB245_181:                            ;   in Loop: Header=BB245_12 Depth=1
	s_or_b64 exec, exec, s[24:25]
	s_and_saveexec_b64 s[24:25], s[22:23]
	s_cbranch_execz .LBB245_183
.LBB245_182:                            ;   in Loop: Header=BB245_12 Depth=1
	v_and_b32_e32 v2, 7, v4
	v_ffbh_u32_e32 v0, v2
	v_min_u32_e32 v13, 32, v0
	v_subrev_u32_e32 v0, 28, v13
	v_bfe_u32 v3, v4, 3, 4
	v_lshlrev_b64 v[0:1], v0, v[4:5]
	v_sub_u32_e32 v1, 29, v13
	v_cmp_eq_u32_e64 s[4:5], 0, v3
	v_and_b32_e32 v0, 7, v0
	s_nop 0
	v_cndmask_b32_e64 v1, v3, v1, s[4:5]
	v_mov_b32_e32 v3, 0x1c00
	v_cndmask_b32_e64 v0, v2, v0, s[4:5]
	v_lshlrev_b32_e32 v2, 8, v4
	v_lshl_add_u32 v1, v1, 10, v3
	v_and_or_b32 v1, v2, s29, v1
	v_lshl_or_b32 v0, v0, 7, v1
	v_cvt_f32_f16_e32 v0, v0
.LBB245_183:                            ;   in Loop: Header=BB245_12 Depth=1
	s_or_b64 exec, exec, s[24:25]
	v_accvgpr_write_b32 a54, v0
	flat_load_ushort v0, v[34:35] offset:2568
	s_mov_b64 s[4:5], 0
                                        ; implicit-def: $sgpr26
	s_waitcnt vmcnt(0) lgkmcnt(0)
	v_cmp_gt_i16_sdwa s[22:23], v0, s19 src0_sel:BYTE_0 src1_sel:DWORD
	s_and_saveexec_b64 s[24:25], s[22:23]
	s_xor_b64 s[22:23], exec, s[24:25]
	s_cbranch_execnz .LBB245_445
; %bb.184:                              ;   in Loop: Header=BB245_12 Depth=1
	s_or_saveexec_b64 s[22:23], s[22:23]
	v_mov_b32_e32 v52, s26
	s_xor_b64 exec, exec, s[22:23]
	s_cbranch_execnz .LBB245_448
.LBB245_185:                            ;   in Loop: Header=BB245_12 Depth=1
	s_or_b64 exec, exec, s[22:23]
	v_and_b32_e32 v4, 0xffff, v0
	s_and_saveexec_b64 s[22:23], s[4:5]
	s_cbranch_execz .LBB245_187
.LBB245_186:                            ;   in Loop: Header=BB245_12 Depth=1
	v_and_b32_e32 v3, 7, v4
	v_ffbh_u32_e32 v0, v3
	v_min_u32_e32 v14, 32, v0
	v_subrev_u32_e32 v0, 28, v14
	v_bfe_u32 v13, v4, 3, 4
	v_lshlrev_b64 v[0:1], v0, v[4:5]
	v_sub_u32_e32 v1, 29, v14
	v_cmp_eq_u32_e64 s[4:5], 0, v13
	v_and_b32_e32 v0, 7, v0
	v_mov_b32_e32 v2, 0x1c00
	v_cndmask_b32_e64 v1, v13, v1, s[4:5]
	v_cndmask_b32_e64 v0, v3, v0, s[4:5]
	v_lshlrev_b32_e32 v3, 8, v4
	v_lshl_add_u32 v1, v1, 10, v2
	v_and_or_b32 v1, v3, s29, v1
	v_lshl_or_b32 v0, v0, 7, v1
	v_cvt_f32_f16_e32 v52, v0
.LBB245_187:                            ;   in Loop: Header=BB245_12 Depth=1
	s_or_b64 exec, exec, s[22:23]
	v_lshrrev_b16_e32 v4, 8, v4
	v_cmp_lt_i16_e64 s[4:5], s19, v4
	s_mov_b64 s[22:23], 0
                                        ; implicit-def: $sgpr30
	s_and_saveexec_b64 s[24:25], s[4:5]
	s_xor_b64 s[24:25], exec, s[24:25]
	s_cbranch_execnz .LBB245_449
; %bb.188:                              ;   in Loop: Header=BB245_12 Depth=1
	s_or_saveexec_b64 s[24:25], s[24:25]
	v_mov_b32_e32 v0, s30
	s_xor_b64 exec, exec, s[24:25]
	s_cbranch_execnz .LBB245_452
.LBB245_189:                            ;   in Loop: Header=BB245_12 Depth=1
	s_or_b64 exec, exec, s[24:25]
	s_and_saveexec_b64 s[24:25], s[22:23]
	s_cbranch_execz .LBB245_191
.LBB245_190:                            ;   in Loop: Header=BB245_12 Depth=1
	v_and_b32_e32 v3, 7, v4
	v_ffbh_u32_e32 v0, v3
	v_min_u32_e32 v14, 32, v0
	v_subrev_u32_e32 v0, 28, v14
	v_bfe_u32 v13, v4, 3, 4
	v_lshlrev_b64 v[0:1], v0, v[4:5]
	v_sub_u32_e32 v1, 29, v14
	v_cmp_eq_u32_e64 s[4:5], 0, v13
	v_and_b32_e32 v0, 7, v0
	v_mov_b32_e32 v2, 0x1c00
	v_cndmask_b32_e64 v1, v13, v1, s[4:5]
	v_cndmask_b32_e64 v0, v3, v0, s[4:5]
	v_lshlrev_b32_e32 v3, 8, v4
	v_lshl_add_u32 v1, v1, 10, v2
	v_and_or_b32 v1, v3, s29, v1
	v_lshl_or_b32 v0, v0, 7, v1
	v_cvt_f32_f16_e32 v0, v0
.LBB245_191:                            ;   in Loop: Header=BB245_12 Depth=1
	s_or_b64 exec, exec, s[24:25]
	v_accvgpr_write_b32 a56, v0
	flat_load_ushort v0, v[34:35] offset:2816
	s_mov_b64 s[4:5], 0
                                        ; implicit-def: $sgpr26
	s_waitcnt vmcnt(0) lgkmcnt(0)
	v_cmp_gt_i16_sdwa s[22:23], v0, s19 src0_sel:BYTE_0 src1_sel:DWORD
	s_and_saveexec_b64 s[24:25], s[22:23]
	s_xor_b64 s[22:23], exec, s[24:25]
	s_cbranch_execnz .LBB245_453
; %bb.192:                              ;   in Loop: Header=BB245_12 Depth=1
	s_or_saveexec_b64 s[22:23], s[22:23]
	v_mov_b32_e32 v40, s26
	s_xor_b64 exec, exec, s[22:23]
	s_cbranch_execnz .LBB245_456
.LBB245_193:                            ;   in Loop: Header=BB245_12 Depth=1
	s_or_b64 exec, exec, s[22:23]
	v_and_b32_e32 v4, 0xffff, v0
	s_and_saveexec_b64 s[22:23], s[4:5]
	s_cbranch_execz .LBB245_195
.LBB245_194:                            ;   in Loop: Header=BB245_12 Depth=1
	v_and_b32_e32 v3, 7, v4
	v_ffbh_u32_e32 v0, v3
	v_min_u32_e32 v14, 32, v0
	v_subrev_u32_e32 v0, 28, v14
	v_bfe_u32 v13, v4, 3, 4
	v_lshlrev_b64 v[0:1], v0, v[4:5]
	v_sub_u32_e32 v1, 29, v14
	v_cmp_eq_u32_e64 s[4:5], 0, v13
	v_and_b32_e32 v0, 7, v0
	v_mov_b32_e32 v2, 0x1c00
	v_cndmask_b32_e64 v1, v13, v1, s[4:5]
	v_cndmask_b32_e64 v0, v3, v0, s[4:5]
	v_lshlrev_b32_e32 v3, 8, v4
	v_lshl_add_u32 v1, v1, 10, v2
	v_and_or_b32 v1, v3, s29, v1
	v_lshl_or_b32 v0, v0, 7, v1
	v_cvt_f32_f16_e32 v40, v0
.LBB245_195:                            ;   in Loop: Header=BB245_12 Depth=1
	s_or_b64 exec, exec, s[22:23]
	v_lshrrev_b16_e32 v4, 8, v4
	v_cmp_lt_i16_e64 s[4:5], s19, v4
	s_mov_b64 s[22:23], 0
                                        ; implicit-def: $sgpr30
	s_and_saveexec_b64 s[24:25], s[4:5]
	s_xor_b64 s[24:25], exec, s[24:25]
	s_cbranch_execnz .LBB245_457
; %bb.196:                              ;   in Loop: Header=BB245_12 Depth=1
	s_or_saveexec_b64 s[24:25], s[24:25]
	v_mov_b32_e32 v0, s30
	s_xor_b64 exec, exec, s[24:25]
	s_cbranch_execnz .LBB245_460
.LBB245_197:                            ;   in Loop: Header=BB245_12 Depth=1
	s_or_b64 exec, exec, s[24:25]
	s_and_saveexec_b64 s[24:25], s[22:23]
	s_cbranch_execz .LBB245_199
.LBB245_198:                            ;   in Loop: Header=BB245_12 Depth=1
	v_and_b32_e32 v3, 7, v4
	v_ffbh_u32_e32 v0, v3
	v_min_u32_e32 v14, 32, v0
	v_subrev_u32_e32 v0, 28, v14
	v_bfe_u32 v13, v4, 3, 4
	v_lshlrev_b64 v[0:1], v0, v[4:5]
	v_sub_u32_e32 v1, 29, v14
	v_cmp_eq_u32_e64 s[4:5], 0, v13
	v_and_b32_e32 v0, 7, v0
	v_mov_b32_e32 v2, 0x1c00
	v_cndmask_b32_e64 v1, v13, v1, s[4:5]
	v_cndmask_b32_e64 v0, v3, v0, s[4:5]
	v_lshlrev_b32_e32 v3, 8, v4
	v_lshl_add_u32 v1, v1, 10, v2
	v_and_or_b32 v1, v3, s29, v1
	v_lshl_or_b32 v0, v0, 7, v1
	v_cvt_f32_f16_e32 v0, v0
.LBB245_199:                            ;   in Loop: Header=BB245_12 Depth=1
	s_or_b64 exec, exec, s[24:25]
	v_accvgpr_write_b32 a57, v0
	flat_load_ushort v0, v[34:35] offset:2824
	s_mov_b64 s[4:5], 0
                                        ; implicit-def: $sgpr26
	s_waitcnt vmcnt(0) lgkmcnt(0)
	v_cmp_gt_i16_sdwa s[22:23], v0, s19 src0_sel:BYTE_0 src1_sel:DWORD
	s_and_saveexec_b64 s[24:25], s[22:23]
	s_xor_b64 s[22:23], exec, s[24:25]
	s_cbranch_execnz .LBB245_461
; %bb.200:                              ;   in Loop: Header=BB245_12 Depth=1
	s_or_saveexec_b64 s[22:23], s[22:23]
	v_mov_b32_e32 v56, s26
	s_xor_b64 exec, exec, s[22:23]
	s_cbranch_execnz .LBB245_464
.LBB245_201:                            ;   in Loop: Header=BB245_12 Depth=1
	s_or_b64 exec, exec, s[22:23]
	v_and_b32_e32 v4, 0xffff, v0
	s_and_saveexec_b64 s[22:23], s[4:5]
	s_cbranch_execz .LBB245_203
.LBB245_202:                            ;   in Loop: Header=BB245_12 Depth=1
	v_and_b32_e32 v3, 7, v4
	v_ffbh_u32_e32 v0, v3
	v_min_u32_e32 v14, 32, v0
	v_subrev_u32_e32 v0, 28, v14
	v_bfe_u32 v13, v4, 3, 4
	v_lshlrev_b64 v[0:1], v0, v[4:5]
	v_sub_u32_e32 v1, 29, v14
	v_cmp_eq_u32_e64 s[4:5], 0, v13
	v_and_b32_e32 v0, 7, v0
	v_mov_b32_e32 v2, 0x1c00
	v_cndmask_b32_e64 v1, v13, v1, s[4:5]
	v_cndmask_b32_e64 v0, v3, v0, s[4:5]
	v_lshlrev_b32_e32 v3, 8, v4
	v_lshl_add_u32 v1, v1, 10, v2
	v_and_or_b32 v1, v3, s29, v1
	v_lshl_or_b32 v0, v0, 7, v1
	v_cvt_f32_f16_e32 v56, v0
.LBB245_203:                            ;   in Loop: Header=BB245_12 Depth=1
	s_or_b64 exec, exec, s[22:23]
	v_lshrrev_b16_e32 v4, 8, v4
	v_cmp_lt_i16_e64 s[4:5], s19, v4
	s_mov_b64 s[22:23], 0
                                        ; implicit-def: $sgpr30
	s_and_saveexec_b64 s[24:25], s[4:5]
	s_xor_b64 s[24:25], exec, s[24:25]
	s_cbranch_execnz .LBB245_465
; %bb.204:                              ;   in Loop: Header=BB245_12 Depth=1
	s_or_saveexec_b64 s[24:25], s[24:25]
	v_mov_b32_e32 v0, s30
	s_xor_b64 exec, exec, s[24:25]
	s_cbranch_execnz .LBB245_468
.LBB245_205:                            ;   in Loop: Header=BB245_12 Depth=1
	s_or_b64 exec, exec, s[24:25]
	s_and_saveexec_b64 s[24:25], s[22:23]
	s_cbranch_execz .LBB245_207
.LBB245_206:                            ;   in Loop: Header=BB245_12 Depth=1
	v_and_b32_e32 v3, 7, v4
	v_ffbh_u32_e32 v0, v3
	v_min_u32_e32 v14, 32, v0
	v_subrev_u32_e32 v0, 28, v14
	v_bfe_u32 v13, v4, 3, 4
	v_lshlrev_b64 v[0:1], v0, v[4:5]
	v_sub_u32_e32 v1, 29, v14
	v_cmp_eq_u32_e64 s[4:5], 0, v13
	v_and_b32_e32 v0, 7, v0
	v_mov_b32_e32 v2, 0x1c00
	v_cndmask_b32_e64 v1, v13, v1, s[4:5]
	v_cndmask_b32_e64 v0, v3, v0, s[4:5]
	v_lshlrev_b32_e32 v3, 8, v4
	v_lshl_add_u32 v1, v1, 10, v2
	v_and_or_b32 v1, v3, s29, v1
	v_lshl_or_b32 v0, v0, 7, v1
	v_cvt_f32_f16_e32 v0, v0
.LBB245_207:                            ;   in Loop: Header=BB245_12 Depth=1
	s_or_b64 exec, exec, s[24:25]
	v_accvgpr_write_b32 a58, v0
	flat_load_ushort v0, v[34:35] offset:3072
	s_mov_b64 s[4:5], 0
                                        ; implicit-def: $sgpr26
	s_waitcnt vmcnt(0) lgkmcnt(0)
	v_cmp_gt_i16_sdwa s[22:23], v0, s19 src0_sel:BYTE_0 src1_sel:DWORD
	s_and_saveexec_b64 s[24:25], s[22:23]
	s_xor_b64 s[22:23], exec, s[24:25]
	s_cbranch_execnz .LBB245_469
; %bb.208:                              ;   in Loop: Header=BB245_12 Depth=1
	s_or_saveexec_b64 s[22:23], s[22:23]
	v_mov_b32_e32 v58, s26
	s_xor_b64 exec, exec, s[22:23]
	s_cbranch_execnz .LBB245_472
.LBB245_209:                            ;   in Loop: Header=BB245_12 Depth=1
	s_or_b64 exec, exec, s[22:23]
	v_and_b32_e32 v4, 0xffff, v0
	s_and_saveexec_b64 s[22:23], s[4:5]
	s_cbranch_execz .LBB245_211
.LBB245_210:                            ;   in Loop: Header=BB245_12 Depth=1
	v_and_b32_e32 v3, 7, v4
	v_ffbh_u32_e32 v0, v3
	v_min_u32_e32 v14, 32, v0
	v_subrev_u32_e32 v0, 28, v14
	v_bfe_u32 v13, v4, 3, 4
	v_lshlrev_b64 v[0:1], v0, v[4:5]
	v_sub_u32_e32 v1, 29, v14
	v_cmp_eq_u32_e64 s[4:5], 0, v13
	v_and_b32_e32 v0, 7, v0
	v_mov_b32_e32 v2, 0x1c00
	v_cndmask_b32_e64 v1, v13, v1, s[4:5]
	v_cndmask_b32_e64 v0, v3, v0, s[4:5]
	v_lshlrev_b32_e32 v3, 8, v4
	v_lshl_add_u32 v1, v1, 10, v2
	v_and_or_b32 v1, v3, s29, v1
	v_lshl_or_b32 v0, v0, 7, v1
	v_cvt_f32_f16_e32 v58, v0
.LBB245_211:                            ;   in Loop: Header=BB245_12 Depth=1
	s_or_b64 exec, exec, s[22:23]
	v_lshrrev_b16_e32 v4, 8, v4
	v_cmp_lt_i16_e64 s[4:5], s19, v4
	s_mov_b64 s[22:23], 0
                                        ; implicit-def: $sgpr30
	s_and_saveexec_b64 s[24:25], s[4:5]
	s_xor_b64 s[24:25], exec, s[24:25]
	s_cbranch_execnz .LBB245_473
; %bb.212:                              ;   in Loop: Header=BB245_12 Depth=1
	s_or_saveexec_b64 s[24:25], s[24:25]
	v_mov_b32_e32 v59, s30
	s_xor_b64 exec, exec, s[24:25]
	s_cbranch_execnz .LBB245_476
.LBB245_213:                            ;   in Loop: Header=BB245_12 Depth=1
	s_or_b64 exec, exec, s[24:25]
	s_and_saveexec_b64 s[24:25], s[22:23]
	s_cbranch_execz .LBB245_215
.LBB245_214:                            ;   in Loop: Header=BB245_12 Depth=1
	v_and_b32_e32 v3, 7, v4
	v_ffbh_u32_e32 v0, v3
	v_min_u32_e32 v14, 32, v0
	v_subrev_u32_e32 v0, 28, v14
	v_bfe_u32 v13, v4, 3, 4
	v_lshlrev_b64 v[0:1], v0, v[4:5]
	v_sub_u32_e32 v1, 29, v14
	v_cmp_eq_u32_e64 s[4:5], 0, v13
	v_and_b32_e32 v0, 7, v0
	v_mov_b32_e32 v2, 0x1c00
	v_cndmask_b32_e64 v1, v13, v1, s[4:5]
	v_cndmask_b32_e64 v0, v3, v0, s[4:5]
	v_lshlrev_b32_e32 v3, 8, v4
	v_lshl_add_u32 v1, v1, 10, v2
	v_and_or_b32 v1, v3, s29, v1
	v_lshl_or_b32 v0, v0, 7, v1
	v_cvt_f32_f16_e32 v59, v0
.LBB245_215:                            ;   in Loop: Header=BB245_12 Depth=1
	s_or_b64 exec, exec, s[24:25]
	flat_load_ushort v0, v[34:35] offset:3080
	s_mov_b64 s[4:5], 0
                                        ; implicit-def: $sgpr26
	s_waitcnt vmcnt(0) lgkmcnt(0)
	v_cmp_gt_i16_sdwa s[22:23], v0, s19 src0_sel:BYTE_0 src1_sel:DWORD
	s_and_saveexec_b64 s[24:25], s[22:23]
	s_xor_b64 s[22:23], exec, s[24:25]
	s_cbranch_execnz .LBB245_477
; %bb.216:                              ;   in Loop: Header=BB245_12 Depth=1
	s_or_saveexec_b64 s[22:23], s[22:23]
	v_mov_b32_e32 v60, s26
	s_xor_b64 exec, exec, s[22:23]
	s_cbranch_execnz .LBB245_480
.LBB245_217:                            ;   in Loop: Header=BB245_12 Depth=1
	s_or_b64 exec, exec, s[22:23]
	v_and_b32_e32 v4, 0xffff, v0
	s_and_saveexec_b64 s[22:23], s[4:5]
	s_cbranch_execz .LBB245_219
.LBB245_218:                            ;   in Loop: Header=BB245_12 Depth=1
	v_and_b32_e32 v3, 7, v4
	v_ffbh_u32_e32 v0, v3
	v_min_u32_e32 v14, 32, v0
	v_subrev_u32_e32 v0, 28, v14
	v_bfe_u32 v13, v4, 3, 4
	v_lshlrev_b64 v[0:1], v0, v[4:5]
	v_sub_u32_e32 v1, 29, v14
	v_cmp_eq_u32_e64 s[4:5], 0, v13
	v_and_b32_e32 v0, 7, v0
	v_mov_b32_e32 v2, 0x1c00
	v_cndmask_b32_e64 v1, v13, v1, s[4:5]
	v_cndmask_b32_e64 v0, v3, v0, s[4:5]
	v_lshlrev_b32_e32 v3, 8, v4
	v_lshl_add_u32 v1, v1, 10, v2
	v_and_or_b32 v1, v3, s29, v1
	v_lshl_or_b32 v0, v0, 7, v1
	v_cvt_f32_f16_e32 v60, v0
.LBB245_219:                            ;   in Loop: Header=BB245_12 Depth=1
	s_or_b64 exec, exec, s[22:23]
	v_lshrrev_b16_e32 v4, 8, v4
	v_cmp_lt_i16_e64 s[4:5], s19, v4
	s_mov_b64 s[22:23], 0
                                        ; implicit-def: $sgpr30
	s_and_saveexec_b64 s[24:25], s[4:5]
	s_xor_b64 s[24:25], exec, s[24:25]
	s_cbranch_execnz .LBB245_481
; %bb.220:                              ;   in Loop: Header=BB245_12 Depth=1
	s_or_saveexec_b64 s[24:25], s[24:25]
	v_mov_b32_e32 v61, s30
	s_xor_b64 exec, exec, s[24:25]
	s_cbranch_execnz .LBB245_484
.LBB245_221:                            ;   in Loop: Header=BB245_12 Depth=1
	s_or_b64 exec, exec, s[24:25]
	s_and_saveexec_b64 s[24:25], s[22:23]
	s_cbranch_execz .LBB245_223
.LBB245_222:                            ;   in Loop: Header=BB245_12 Depth=1
	v_and_b32_e32 v3, 7, v4
	v_ffbh_u32_e32 v0, v3
	v_min_u32_e32 v14, 32, v0
	v_subrev_u32_e32 v0, 28, v14
	v_bfe_u32 v13, v4, 3, 4
	v_lshlrev_b64 v[0:1], v0, v[4:5]
	v_sub_u32_e32 v1, 29, v14
	v_cmp_eq_u32_e64 s[4:5], 0, v13
	v_and_b32_e32 v0, 7, v0
	v_mov_b32_e32 v2, 0x1c00
	v_cndmask_b32_e64 v1, v13, v1, s[4:5]
	v_cndmask_b32_e64 v0, v3, v0, s[4:5]
	v_lshlrev_b32_e32 v3, 8, v4
	v_lshl_add_u32 v1, v1, 10, v2
	v_and_or_b32 v1, v3, s29, v1
	v_lshl_or_b32 v0, v0, 7, v1
	v_cvt_f32_f16_e32 v61, v0
.LBB245_223:                            ;   in Loop: Header=BB245_12 Depth=1
	s_or_b64 exec, exec, s[24:25]
	flat_load_ushort v0, v[34:35] offset:3328
	s_mov_b64 s[4:5], 0
                                        ; implicit-def: $sgpr26
	s_waitcnt vmcnt(0) lgkmcnt(0)
	v_cmp_gt_i16_sdwa s[22:23], v0, s19 src0_sel:BYTE_0 src1_sel:DWORD
	s_and_saveexec_b64 s[24:25], s[22:23]
	s_xor_b64 s[22:23], exec, s[24:25]
	s_cbranch_execnz .LBB245_485
; %bb.224:                              ;   in Loop: Header=BB245_12 Depth=1
	s_or_saveexec_b64 s[22:23], s[22:23]
	v_mov_b32_e32 v62, s26
	s_xor_b64 exec, exec, s[22:23]
	s_cbranch_execnz .LBB245_488
.LBB245_225:                            ;   in Loop: Header=BB245_12 Depth=1
	s_or_b64 exec, exec, s[22:23]
	v_and_b32_e32 v4, 0xffff, v0
	s_and_saveexec_b64 s[22:23], s[4:5]
	s_cbranch_execz .LBB245_227
.LBB245_226:                            ;   in Loop: Header=BB245_12 Depth=1
	v_and_b32_e32 v3, 7, v4
	v_ffbh_u32_e32 v0, v3
	v_min_u32_e32 v14, 32, v0
	v_subrev_u32_e32 v0, 28, v14
	v_bfe_u32 v13, v4, 3, 4
	v_lshlrev_b64 v[0:1], v0, v[4:5]
	v_sub_u32_e32 v1, 29, v14
	v_cmp_eq_u32_e64 s[4:5], 0, v13
	v_and_b32_e32 v0, 7, v0
	v_mov_b32_e32 v2, 0x1c00
	v_cndmask_b32_e64 v1, v13, v1, s[4:5]
	v_cndmask_b32_e64 v0, v3, v0, s[4:5]
	v_lshlrev_b32_e32 v3, 8, v4
	v_lshl_add_u32 v1, v1, 10, v2
	v_and_or_b32 v1, v3, s29, v1
	v_lshl_or_b32 v0, v0, 7, v1
	v_cvt_f32_f16_e32 v62, v0
.LBB245_227:                            ;   in Loop: Header=BB245_12 Depth=1
	s_or_b64 exec, exec, s[22:23]
	v_lshrrev_b16_e32 v4, 8, v4
	v_cmp_lt_i16_e64 s[4:5], s19, v4
	s_mov_b64 s[22:23], 0
                                        ; implicit-def: $sgpr30
	s_and_saveexec_b64 s[24:25], s[4:5]
	s_xor_b64 s[24:25], exec, s[24:25]
	s_cbranch_execnz .LBB245_489
; %bb.228:                              ;   in Loop: Header=BB245_12 Depth=1
	s_or_saveexec_b64 s[24:25], s[24:25]
	v_mov_b32_e32 v27, s30
	s_xor_b64 exec, exec, s[24:25]
	s_cbranch_execnz .LBB245_492
.LBB245_229:                            ;   in Loop: Header=BB245_12 Depth=1
	s_or_b64 exec, exec, s[24:25]
	s_and_saveexec_b64 s[24:25], s[22:23]
	s_cbranch_execz .LBB245_231
.LBB245_230:                            ;   in Loop: Header=BB245_12 Depth=1
	v_and_b32_e32 v3, 7, v4
	v_ffbh_u32_e32 v0, v3
	v_min_u32_e32 v14, 32, v0
	v_subrev_u32_e32 v0, 28, v14
	v_bfe_u32 v13, v4, 3, 4
	v_lshlrev_b64 v[0:1], v0, v[4:5]
	v_sub_u32_e32 v1, 29, v14
	v_cmp_eq_u32_e64 s[4:5], 0, v13
	v_and_b32_e32 v0, 7, v0
	v_mov_b32_e32 v2, 0x1c00
	v_cndmask_b32_e64 v1, v13, v1, s[4:5]
	v_cndmask_b32_e64 v0, v3, v0, s[4:5]
	v_lshlrev_b32_e32 v3, 8, v4
	v_lshl_add_u32 v1, v1, 10, v2
	v_and_or_b32 v1, v3, s29, v1
	v_lshl_or_b32 v0, v0, 7, v1
	v_cvt_f32_f16_e32 v27, v0
.LBB245_231:                            ;   in Loop: Header=BB245_12 Depth=1
	s_or_b64 exec, exec, s[24:25]
	flat_load_ushort v0, v[34:35] offset:3336
	s_mov_b64 s[4:5], 0
                                        ; implicit-def: $sgpr26
	s_waitcnt vmcnt(0) lgkmcnt(0)
	v_cmp_gt_i16_sdwa s[22:23], v0, s19 src0_sel:BYTE_0 src1_sel:DWORD
	s_and_saveexec_b64 s[24:25], s[22:23]
	s_xor_b64 s[22:23], exec, s[24:25]
	s_cbranch_execnz .LBB245_493
; %bb.232:                              ;   in Loop: Header=BB245_12 Depth=1
	s_or_saveexec_b64 s[22:23], s[22:23]
	v_mov_b32_e32 v3, s26
	s_xor_b64 exec, exec, s[22:23]
	s_cbranch_execnz .LBB245_496
.LBB245_233:                            ;   in Loop: Header=BB245_12 Depth=1
	s_or_b64 exec, exec, s[22:23]
	v_and_b32_e32 v4, 0xffff, v0
	s_and_saveexec_b64 s[22:23], s[4:5]
	s_cbranch_execz .LBB245_235
.LBB245_234:                            ;   in Loop: Header=BB245_12 Depth=1
	v_and_b32_e32 v3, 7, v4
	v_ffbh_u32_e32 v0, v3
	v_min_u32_e32 v14, 32, v0
	v_subrev_u32_e32 v0, 28, v14
	v_bfe_u32 v13, v4, 3, 4
	v_lshlrev_b64 v[0:1], v0, v[4:5]
	v_sub_u32_e32 v1, 29, v14
	v_cmp_eq_u32_e64 s[4:5], 0, v13
	v_and_b32_e32 v0, 7, v0
	v_mov_b32_e32 v2, 0x1c00
	v_cndmask_b32_e64 v1, v13, v1, s[4:5]
	v_cndmask_b32_e64 v0, v3, v0, s[4:5]
	v_lshlrev_b32_e32 v3, 8, v4
	v_lshl_add_u32 v1, v1, 10, v2
	v_and_or_b32 v1, v3, s29, v1
	v_lshl_or_b32 v0, v0, 7, v1
	v_cvt_f32_f16_e32 v3, v0
.LBB245_235:                            ;   in Loop: Header=BB245_12 Depth=1
	s_or_b64 exec, exec, s[22:23]
	v_lshrrev_b16_e32 v4, 8, v4
	v_cmp_lt_i16_e64 s[4:5], s19, v4
	s_mov_b64 s[22:23], 0
                                        ; implicit-def: $sgpr30
	s_and_saveexec_b64 s[24:25], s[4:5]
	s_xor_b64 s[24:25], exec, s[24:25]
	s_cbranch_execnz .LBB245_497
; %bb.236:                              ;   in Loop: Header=BB245_12 Depth=1
	s_or_saveexec_b64 s[24:25], s[24:25]
	v_mov_b32_e32 v23, s30
	s_xor_b64 exec, exec, s[24:25]
	s_cbranch_execnz .LBB245_500
.LBB245_237:                            ;   in Loop: Header=BB245_12 Depth=1
	s_or_b64 exec, exec, s[24:25]
	s_and_saveexec_b64 s[24:25], s[22:23]
	s_cbranch_execz .LBB245_239
.LBB245_238:                            ;   in Loop: Header=BB245_12 Depth=1
	v_and_b32_e32 v13, 7, v4
	v_ffbh_u32_e32 v0, v13
	v_min_u32_e32 v15, 32, v0
	v_subrev_u32_e32 v0, 28, v15
	v_bfe_u32 v14, v4, 3, 4
	v_lshlrev_b64 v[0:1], v0, v[4:5]
	v_sub_u32_e32 v1, 29, v15
	v_cmp_eq_u32_e64 s[4:5], 0, v14
	v_mov_b32_e32 v2, 0x1c00
	v_and_b32_e32 v0, 7, v0
	v_cndmask_b32_e64 v1, v14, v1, s[4:5]
	v_lshlrev_b32_e32 v4, 8, v4
	v_lshl_add_u32 v1, v1, 10, v2
	v_cndmask_b32_e64 v0, v13, v0, s[4:5]
	v_and_or_b32 v1, v4, s29, v1
	v_lshl_or_b32 v0, v0, 7, v1
	v_cvt_f32_f16_e32 v23, v0
.LBB245_239:                            ;   in Loop: Header=BB245_12 Depth=1
	s_or_b64 exec, exec, s[24:25]
	flat_load_ushort v0, v[34:35] offset:3584
	s_mov_b64 s[4:5], 0
                                        ; implicit-def: $sgpr26
	s_waitcnt vmcnt(0) lgkmcnt(0)
	v_cmp_gt_i16_sdwa s[22:23], v0, s19 src0_sel:BYTE_0 src1_sel:DWORD
	s_and_saveexec_b64 s[24:25], s[22:23]
	s_xor_b64 s[22:23], exec, s[24:25]
	s_cbranch_execnz .LBB245_501
; %bb.240:                              ;   in Loop: Header=BB245_12 Depth=1
	s_or_saveexec_b64 s[22:23], s[22:23]
	v_mov_b32_e32 v22, s26
	s_xor_b64 exec, exec, s[22:23]
	s_cbranch_execnz .LBB245_504
.LBB245_241:                            ;   in Loop: Header=BB245_12 Depth=1
	s_or_b64 exec, exec, s[22:23]
	v_and_b32_e32 v4, 0xffff, v0
	s_and_saveexec_b64 s[22:23], s[4:5]
	s_cbranch_execz .LBB245_243
.LBB245_242:                            ;   in Loop: Header=BB245_12 Depth=1
	v_and_b32_e32 v13, 7, v4
	v_ffbh_u32_e32 v0, v13
	v_min_u32_e32 v15, 32, v0
	v_subrev_u32_e32 v0, 28, v15
	v_bfe_u32 v14, v4, 3, 4
	v_lshlrev_b64 v[0:1], v0, v[4:5]
	v_sub_u32_e32 v1, 29, v15
	v_cmp_eq_u32_e64 s[4:5], 0, v14
	v_and_b32_e32 v0, 7, v0
	v_mov_b32_e32 v2, 0x1c00
	v_cndmask_b32_e64 v1, v14, v1, s[4:5]
	v_cndmask_b32_e64 v0, v13, v0, s[4:5]
	v_lshlrev_b32_e32 v13, 8, v4
	v_lshl_add_u32 v1, v1, 10, v2
	v_and_or_b32 v1, v13, s29, v1
	v_lshl_or_b32 v0, v0, 7, v1
	v_cvt_f32_f16_e32 v22, v0
.LBB245_243:                            ;   in Loop: Header=BB245_12 Depth=1
	s_or_b64 exec, exec, s[22:23]
	v_lshrrev_b16_e32 v4, 8, v4
	v_cmp_lt_i16_e64 s[4:5], s19, v4
	s_mov_b64 s[22:23], 0
                                        ; implicit-def: $sgpr30
	s_and_saveexec_b64 s[24:25], s[4:5]
	s_xor_b64 s[24:25], exec, s[24:25]
	s_cbranch_execnz .LBB245_505
; %bb.244:                              ;   in Loop: Header=BB245_12 Depth=1
	s_or_saveexec_b64 s[24:25], s[24:25]
	v_mov_b32_e32 v13, s30
	s_xor_b64 exec, exec, s[24:25]
	s_cbranch_execnz .LBB245_508
.LBB245_245:                            ;   in Loop: Header=BB245_12 Depth=1
	s_or_b64 exec, exec, s[24:25]
	s_and_saveexec_b64 s[24:25], s[22:23]
	s_cbranch_execz .LBB245_247
.LBB245_246:                            ;   in Loop: Header=BB245_12 Depth=1
	v_and_b32_e32 v13, 7, v4
	v_ffbh_u32_e32 v0, v13
	v_min_u32_e32 v15, 32, v0
	v_subrev_u32_e32 v0, 28, v15
	v_bfe_u32 v14, v4, 3, 4
	v_lshlrev_b64 v[0:1], v0, v[4:5]
	v_sub_u32_e32 v1, 29, v15
	v_cmp_eq_u32_e64 s[4:5], 0, v14
	v_mov_b32_e32 v2, 0x1c00
	v_and_b32_e32 v0, 7, v0
	v_cndmask_b32_e64 v1, v14, v1, s[4:5]
	v_lshlrev_b32_e32 v4, 8, v4
	v_lshl_add_u32 v1, v1, 10, v2
	v_cndmask_b32_e64 v0, v13, v0, s[4:5]
	v_and_or_b32 v1, v4, s29, v1
	v_lshl_or_b32 v0, v0, 7, v1
	v_cvt_f32_f16_e32 v13, v0
.LBB245_247:                            ;   in Loop: Header=BB245_12 Depth=1
	s_or_b64 exec, exec, s[24:25]
	flat_load_ushort v1, v[34:35] offset:3592
	s_mov_b64 s[4:5], 0
                                        ; implicit-def: $sgpr26
	s_waitcnt vmcnt(0) lgkmcnt(0)
	v_cmp_gt_i16_sdwa s[22:23], v1, s19 src0_sel:BYTE_0 src1_sel:DWORD
	s_and_saveexec_b64 s[24:25], s[22:23]
	s_xor_b64 s[22:23], exec, s[24:25]
	s_cbranch_execnz .LBB245_509
; %bb.248:                              ;   in Loop: Header=BB245_12 Depth=1
	s_or_saveexec_b64 s[22:23], s[22:23]
	v_mov_b32_e32 v0, s26
	s_xor_b64 exec, exec, s[22:23]
	s_cbranch_execnz .LBB245_512
.LBB245_249:                            ;   in Loop: Header=BB245_12 Depth=1
	s_or_b64 exec, exec, s[22:23]
	v_and_b32_e32 v4, 0xffff, v1
	s_and_saveexec_b64 s[22:23], s[4:5]
	s_cbranch_execz .LBB245_251
.LBB245_250:                            ;   in Loop: Header=BB245_12 Depth=1
	v_and_b32_e32 v14, 7, v4
	v_ffbh_u32_e32 v0, v14
	v_min_u32_e32 v37, 32, v0
	v_subrev_u32_e32 v0, 28, v37
	v_bfe_u32 v15, v4, 3, 4
	v_lshlrev_b64 v[0:1], v0, v[4:5]
	v_sub_u32_e32 v1, 29, v37
	v_cmp_eq_u32_e64 s[4:5], 0, v15
	v_and_b32_e32 v0, 7, v0
	v_mov_b32_e32 v2, 0x1c00
	v_cndmask_b32_e64 v1, v15, v1, s[4:5]
	v_cndmask_b32_e64 v0, v14, v0, s[4:5]
	v_lshlrev_b32_e32 v14, 8, v4
	v_lshl_add_u32 v1, v1, 10, v2
	v_and_or_b32 v1, v14, s29, v1
	v_lshl_or_b32 v0, v0, 7, v1
	v_cvt_f32_f16_e32 v0, v0
.LBB245_251:                            ;   in Loop: Header=BB245_12 Depth=1
	s_or_b64 exec, exec, s[22:23]
	v_lshrrev_b16_e32 v4, 8, v4
	v_cmp_lt_i16_e64 s[4:5], s19, v4
	s_mov_b64 s[22:23], 0
                                        ; implicit-def: $sgpr30
	s_and_saveexec_b64 s[24:25], s[4:5]
	s_xor_b64 s[24:25], exec, s[24:25]
	s_cbranch_execnz .LBB245_513
; %bb.252:                              ;   in Loop: Header=BB245_12 Depth=1
	s_or_saveexec_b64 s[24:25], s[24:25]
	v_mov_b32_e32 v1, s30
	s_xor_b64 exec, exec, s[24:25]
	s_cbranch_execnz .LBB245_516
.LBB245_253:                            ;   in Loop: Header=BB245_12 Depth=1
	s_or_b64 exec, exec, s[24:25]
	s_and_saveexec_b64 s[24:25], s[22:23]
	s_cbranch_execz .LBB245_255
.LBB245_254:                            ;   in Loop: Header=BB245_12 Depth=1
	v_and_b32_e32 v1, 7, v4
	v_ffbh_u32_e32 v14, v1
	v_min_u32_e32 v50, 32, v14
	v_subrev_u32_e32 v14, 28, v50
	v_bfe_u32 v37, v4, 3, 4
	v_lshlrev_b64 v[14:15], v14, v[4:5]
	v_sub_u32_e32 v15, 29, v50
	v_cmp_eq_u32_e64 s[4:5], 0, v37
	v_and_b32_e32 v14, 7, v14
	v_mov_b32_e32 v2, 0x1c00
	v_cndmask_b32_e64 v15, v37, v15, s[4:5]
	v_cndmask_b32_e64 v1, v1, v14, s[4:5]
	v_lshlrev_b32_e32 v4, 8, v4
	v_lshl_add_u32 v14, v15, 10, v2
	v_and_or_b32 v4, v4, s29, v14
	v_lshl_or_b32 v1, v1, 7, v4
	v_cvt_f32_f16_e32 v1, v1
.LBB245_255:                            ;   in Loop: Header=BB245_12 Depth=1
	s_or_b64 exec, exec, s[24:25]
	flat_load_ushort v4, v[34:35] offset:3840
	s_mov_b64 s[4:5], 0
                                        ; implicit-def: $sgpr26
	s_waitcnt vmcnt(0) lgkmcnt(0)
	v_cmp_gt_i16_sdwa s[22:23], v4, s19 src0_sel:BYTE_0 src1_sel:DWORD
	s_and_saveexec_b64 s[24:25], s[22:23]
	s_xor_b64 s[22:23], exec, s[24:25]
	s_cbranch_execnz .LBB245_517
; %bb.256:                              ;   in Loop: Header=BB245_12 Depth=1
	s_or_saveexec_b64 s[22:23], s[22:23]
	v_mov_b32_e32 v37, s26
	s_xor_b64 exec, exec, s[22:23]
	s_cbranch_execnz .LBB245_520
.LBB245_257:                            ;   in Loop: Header=BB245_12 Depth=1
	s_or_b64 exec, exec, s[22:23]
	v_and_b32_e32 v4, 0xffff, v4
	s_and_saveexec_b64 s[22:23], s[4:5]
	s_cbranch_execz .LBB245_259
.LBB245_258:                            ;   in Loop: Header=BB245_12 Depth=1
	v_and_b32_e32 v37, 7, v4
	v_ffbh_u32_e32 v14, v37
	v_min_u32_e32 v51, 32, v14
	v_subrev_u32_e32 v14, 28, v51
	v_bfe_u32 v50, v4, 3, 4
	v_lshlrev_b64 v[14:15], v14, v[4:5]
	v_sub_u32_e32 v15, 29, v51
	v_cmp_eq_u32_e64 s[4:5], 0, v50
	v_and_b32_e32 v14, 7, v14
	v_mov_b32_e32 v2, 0x1c00
	v_cndmask_b32_e64 v15, v50, v15, s[4:5]
	v_cndmask_b32_e64 v14, v37, v14, s[4:5]
	v_lshlrev_b32_e32 v37, 8, v4
	v_lshl_add_u32 v15, v15, 10, v2
	v_and_or_b32 v15, v37, s29, v15
	v_lshl_or_b32 v14, v14, 7, v15
	v_cvt_f32_f16_e32 v37, v14
.LBB245_259:                            ;   in Loop: Header=BB245_12 Depth=1
	s_or_b64 exec, exec, s[22:23]
	v_lshrrev_b16_e32 v4, 8, v4
	v_cmp_lt_i16_e64 s[4:5], s19, v4
	s_mov_b64 s[22:23], 0
                                        ; implicit-def: $sgpr30
	s_and_saveexec_b64 s[24:25], s[4:5]
	s_xor_b64 s[24:25], exec, s[24:25]
	s_cbranch_execnz .LBB245_521
; %bb.260:                              ;   in Loop: Header=BB245_12 Depth=1
	s_or_saveexec_b64 s[24:25], s[24:25]
	v_mov_b32_e32 v15, s30
	s_xor_b64 exec, exec, s[24:25]
	s_cbranch_execnz .LBB245_524
.LBB245_261:                            ;   in Loop: Header=BB245_12 Depth=1
	s_or_b64 exec, exec, s[24:25]
	s_and_saveexec_b64 s[24:25], s[22:23]
	s_cbranch_execz .LBB245_263
.LBB245_262:                            ;   in Loop: Header=BB245_12 Depth=1
	v_and_b32_e32 v50, 7, v4
	v_ffbh_u32_e32 v14, v50
	v_mov_b32_e32 v2, v55
	v_min_u32_e32 v55, 32, v14
	v_subrev_u32_e32 v14, 28, v55
	v_bfe_u32 v51, v4, 3, 4
	v_lshlrev_b64 v[14:15], v14, v[4:5]
	v_sub_u32_e32 v15, 29, v55
	v_cmp_eq_u32_e64 s[4:5], 0, v51
	v_mov_b32_e32 v55, v2
	v_mov_b32_e32 v2, 0x1c00
	v_cndmask_b32_e64 v15, v51, v15, s[4:5]
	v_and_b32_e32 v14, 7, v14
	v_lshlrev_b32_e32 v4, 8, v4
	v_lshl_add_u32 v15, v15, 10, v2
	v_cndmask_b32_e64 v14, v50, v14, s[4:5]
	v_and_or_b32 v4, v4, s29, v15
	v_lshl_or_b32 v4, v14, 7, v4
	v_cvt_f32_f16_e32 v15, v4
.LBB245_263:                            ;   in Loop: Header=BB245_12 Depth=1
	s_or_b64 exec, exec, s[24:25]
	flat_load_ushort v4, v[34:35] offset:3848
	s_mov_b64 s[4:5], 0
                                        ; implicit-def: $sgpr26
	s_waitcnt vmcnt(0) lgkmcnt(0)
	v_cmp_gt_i16_sdwa s[22:23], v4, s19 src0_sel:BYTE_0 src1_sel:DWORD
	s_and_saveexec_b64 s[24:25], s[22:23]
	s_xor_b64 s[22:23], exec, s[24:25]
	s_cbranch_execnz .LBB245_525
; %bb.264:                              ;   in Loop: Header=BB245_12 Depth=1
	s_or_saveexec_b64 s[22:23], s[22:23]
	v_mov_b32_e32 v34, s26
	s_xor_b64 exec, exec, s[22:23]
	s_cbranch_execnz .LBB245_528
.LBB245_265:                            ;   in Loop: Header=BB245_12 Depth=1
	s_or_b64 exec, exec, s[22:23]
	v_and_b32_e32 v4, 0xffff, v4
	s_and_saveexec_b64 s[22:23], s[4:5]
	s_cbranch_execz .LBB245_267
.LBB245_266:                            ;   in Loop: Header=BB245_12 Depth=1
	v_and_b32_e32 v14, 7, v4
	v_ffbh_u32_e32 v34, v14
	v_min_u32_e32 v51, 32, v34
	v_subrev_u32_e32 v34, 28, v51
	v_bfe_u32 v50, v4, 3, 4
	v_lshlrev_b64 v[34:35], v34, v[4:5]
	v_sub_u32_e32 v35, 29, v51
	v_cmp_eq_u32_e64 s[4:5], 0, v50
	v_and_b32_e32 v34, 7, v34
	v_mov_b32_e32 v2, 0x1c00
	v_cndmask_b32_e64 v35, v50, v35, s[4:5]
	v_cndmask_b32_e64 v14, v14, v34, s[4:5]
	v_lshlrev_b32_e32 v34, 8, v4
	v_lshl_add_u32 v35, v35, 10, v2
	v_and_or_b32 v34, v34, s29, v35
	v_lshl_or_b32 v14, v14, 7, v34
	v_cvt_f32_f16_e32 v34, v14
.LBB245_267:                            ;   in Loop: Header=BB245_12 Depth=1
	s_or_b64 exec, exec, s[22:23]
	v_lshrrev_b16_e32 v4, 8, v4
	v_cmp_lt_i16_e64 s[4:5], s19, v4
	s_mov_b64 s[22:23], 0
                                        ; implicit-def: $sgpr30
	s_and_saveexec_b64 s[24:25], s[4:5]
	s_xor_b64 s[24:25], exec, s[24:25]
	s_cbranch_execz .LBB245_271
; %bb.268:                              ;   in Loop: Header=BB245_12 Depth=1
	v_cmp_eq_u16_e64 s[4:5], s28, v4
	s_mov_b64 s[22:23], -1
                                        ; implicit-def: $sgpr30
	s_and_saveexec_b64 s[26:27], s[4:5]
; %bb.269:                              ;   in Loop: Header=BB245_12 Depth=1
	s_mov_b32 s30, 0x7fc02000
	s_xor_b64 s[22:23], exec, -1
; %bb.270:                              ;   in Loop: Header=BB245_12 Depth=1
	s_or_b64 exec, exec, s[26:27]
	s_and_b64 s[22:23], s[22:23], exec
.LBB245_271:                            ;   in Loop: Header=BB245_12 Depth=1
	s_or_saveexec_b64 s[24:25], s[24:25]
	v_mov_b32_e32 v14, s30
	s_xor_b64 exec, exec, s[24:25]
; %bb.272:                              ;   in Loop: Header=BB245_12 Depth=1
	v_cmp_ne_u16_e64 s[4:5], 0, v4
	s_andn2_b64 s[22:23], s[22:23], exec
	s_and_b64 s[4:5], s[4:5], exec
	v_mov_b32_e32 v14, 0
	s_or_b64 s[22:23], s[22:23], s[4:5]
; %bb.273:                              ;   in Loop: Header=BB245_12 Depth=1
	s_or_b64 exec, exec, s[24:25]
	v_accvgpr_write_b32 a51, v42
	v_accvgpr_write_b32 a49, v30
	;; [unrolled: 1-line block ×6, first 2 shown]
	s_and_saveexec_b64 s[24:25], s[22:23]
	s_cbranch_execz .LBB245_275
; %bb.274:                              ;   in Loop: Header=BB245_12 Depth=1
	v_and_b32_e32 v14, 7, v4
	v_ffbh_u32_e32 v50, v14
	v_mov_b32_e32 v2, v55
	v_min_u32_e32 v55, 32, v50
	v_subrev_u32_e32 v50, 28, v55
	v_bfe_u32 v35, v4, 3, 4
	v_lshlrev_b64 v[50:51], v50, v[4:5]
	v_sub_u32_e32 v51, 29, v55
	v_cmp_eq_u32_e64 s[4:5], 0, v35
	v_mov_b32_e32 v55, v2
	v_mov_b32_e32 v2, 0x1c00
	v_cndmask_b32_e64 v35, v35, v51, s[4:5]
	v_and_b32_e32 v50, 7, v50
	v_lshlrev_b32_e32 v4, 8, v4
	v_lshl_add_u32 v35, v35, 10, v2
	v_cndmask_b32_e64 v14, v14, v50, s[4:5]
	v_and_or_b32 v4, v4, s29, v35
	v_lshl_or_b32 v4, v14, 7, v4
	v_cvt_f32_f16_e32 v14, v4
.LBB245_275:                            ;   in Loop: Header=BB245_12 Depth=1
	s_or_b64 exec, exec, s[24:25]
	v_accvgpr_read_b32 v42, a36
	ds_read_b32 v51, v42
	v_accvgpr_read_b32 v2, a55
	v_fma_mixlo_f16 v35, v45, v10, 0
	v_fma_mixlo_f16 v50, v45, v2, 0
	;; [unrolled: 1-line block ×3, first 2 shown]
	s_waitcnt lgkmcnt(0)
	v_lshrrev_b32_e32 v55, 16, v51
	v_and_b32_e32 v51, 0xffff, v51
	v_and_b32_e32 v35, 0xffff, v35
	;; [unrolled: 1-line block ×3, first 2 shown]
	;;#ASMSTART
	v_cvt_f32_f16 v51, v51;
	;;#ASMEND
	;;#ASMSTART
	v_cvt_f32_f16 v55, v55;
	;;#ASMEND
	;; [unrolled: 3-line block ×4, first 2 shown]
	ds_read_b32 v30, v42 offset:4
	v_and_b32_e32 v4, 0xffff, v4
	v_accvgpr_read_b32 v2, a53
	v_fma_mixlo_f16 v6, v45, v48, 0
	v_fma_mixlo_f16 v7, v45, v49, 0
	s_waitcnt lgkmcnt(0)
	v_lshrrev_b32_e32 v26, 16, v30
	v_and_b32_e32 v30, 0xffff, v30
	;;#ASMSTART
	v_cvt_f32_f16 v30, v30;
	;;#ASMEND
	;;#ASMSTART
	v_cvt_f32_f16 v26, v26;
	;;#ASMEND
	;; [unrolled: 3-line block ×3, first 2 shown]
	v_and_b32_e32 v6, 0xffff, v6
	v_mul_f32_e32 v4, v30, v4
	v_fma_mixlo_f16 v30, v45, v17, 0
	v_and_b32_e32 v30, 0xffff, v30
	;;#ASMSTART
	v_cvt_f32_f16 v30, v30;
	;;#ASMEND
	v_fmac_f32_e32 v4, v51, v35
	v_mul_f32_e32 v35, v26, v30
	ds_read_b32 v30, v42 offset:8
	v_fma_mixlo_f16 v26, v45, v19, 0
	v_fmac_f32_e32 v35, v55, v50
	v_and_b32_e32 v26, 0xffff, v26
	v_fma_mixlo_f16 v51, v45, v32, 0
	s_waitcnt lgkmcnt(0)
	v_lshrrev_b32_e32 v50, 16, v30
	v_and_b32_e32 v30, 0xffff, v30
	;;#ASMSTART
	v_cvt_f32_f16 v30, v30;
	;;#ASMEND
	;;#ASMSTART
	v_cvt_f32_f16 v50, v50;
	;;#ASMEND
	;; [unrolled: 3-line block ×3, first 2 shown]
	v_fma_mixlo_f16 v55, v45, v2, 0
	v_fmac_f32_e32 v4, v30, v26
	v_fma_mixlo_f16 v26, v45, v20, 0
	v_and_b32_e32 v26, 0xffff, v26
	;;#ASMSTART
	v_cvt_f32_f16 v26, v26;
	;;#ASMEND
	ds_read_b32 v30, v42 offset:12
	v_fmac_f32_e32 v35, v50, v26
	v_fma_mixlo_f16 v26, v45, v21, 0
	v_and_b32_e32 v26, 0xffff, v26
	v_fma_mixlo_f16 v41, v45, v41, 0
	s_waitcnt lgkmcnt(0)
	v_lshrrev_b32_e32 v50, 16, v30
	v_and_b32_e32 v30, 0xffff, v30
	;;#ASMSTART
	v_cvt_f32_f16 v30, v30;
	;;#ASMEND
	;;#ASMSTART
	v_cvt_f32_f16 v50, v50;
	;;#ASMEND
	;; [unrolled: 3-line block ×3, first 2 shown]
	v_accvgpr_read_b32 v2, a44
	v_fmac_f32_e32 v4, v30, v26
	v_fma_mixlo_f16 v26, v45, v24, 0
	v_and_b32_e32 v26, 0xffff, v26
	;;#ASMSTART
	v_cvt_f32_f16 v26, v26;
	;;#ASMEND
	ds_read_b32 v30, v42 offset:16
	v_fmac_f32_e32 v35, v50, v26
	v_fma_mixlo_f16 v26, v45, v25, 0
	v_and_b32_e32 v26, 0xffff, v26
	v_fma_mixlo_f16 v24, v45, v36, 0
	s_waitcnt lgkmcnt(0)
	v_lshrrev_b32_e32 v50, 16, v30
	v_and_b32_e32 v30, 0xffff, v30
	;;#ASMSTART
	v_cvt_f32_f16 v30, v30;
	;;#ASMEND
	;;#ASMSTART
	v_cvt_f32_f16 v50, v50;
	;;#ASMEND
	;;#ASMSTART
	v_cvt_f32_f16 v26, v26;
	;;#ASMEND
	v_fma_mixlo_f16 v25, v45, v38, 0
	v_fmac_f32_e32 v4, v30, v26
	v_fma_mixlo_f16 v26, v45, v28, 0
	v_and_b32_e32 v26, 0xffff, v26
	;;#ASMSTART
	v_cvt_f32_f16 v26, v26;
	;;#ASMEND
	v_fma_mixlo_f16 v30, v45, v29, 0
	v_fmac_f32_e32 v35, v50, v26
	ds_read_b32 v26, v42 offset:20
	v_and_b32_e32 v30, 0xffff, v30
	v_and_b32_e32 v24, 0xffff, v24
	;; [unrolled: 1-line block ×3, first 2 shown]
	v_fma_mixlo_f16 v9, v45, v9, 0
	s_waitcnt lgkmcnt(0)
	v_lshrrev_b32_e32 v50, 16, v26
	v_and_b32_e32 v26, 0xffff, v26
	;;#ASMSTART
	v_cvt_f32_f16 v26, v26;
	;;#ASMEND
	;;#ASMSTART
	v_cvt_f32_f16 v50, v50;
	;;#ASMEND
	;; [unrolled: 3-line block ×3, first 2 shown]
	v_and_b32_e32 v9, 0xffff, v9
	v_fmac_f32_e32 v4, v26, v30
	v_fma_mixlo_f16 v26, v45, v31, 0
	v_and_b32_e32 v26, 0xffff, v26
	;;#ASMSTART
	v_cvt_f32_f16 v26, v26;
	;;#ASMEND
	ds_read_b32 v30, v42 offset:24
	v_fmac_f32_e32 v35, v50, v26
	v_and_b32_e32 v50, 0xffff, v51
	v_and_b32_e32 v51, 0xffff, v55
	v_fma_mixlo_f16 v20, v45, v39, 0
	s_waitcnt lgkmcnt(0)
	v_lshrrev_b32_e32 v26, 16, v30
	v_and_b32_e32 v30, 0xffff, v30
	;;#ASMSTART
	v_cvt_f32_f16 v30, v30;
	;;#ASMEND
	;;#ASMSTART
	v_cvt_f32_f16 v26, v26;
	;;#ASMEND
	;; [unrolled: 3-line block ×4, first 2 shown]
	ds_read_b32 v55, v42 offset:28
	v_fmac_f32_e32 v4, v30, v50
	v_fmac_f32_e32 v35, v26, v51
	v_accvgpr_read_b32 v19, a51
	v_fma_mixlo_f16 v19, v45, v19, 0
	s_waitcnt lgkmcnt(0)
	v_lshrrev_b32_e32 v30, 16, v55
	v_and_b32_e32 v50, 0xffff, v55
	;;#ASMSTART
	v_cvt_f32_f16 v50, v50;
	;;#ASMEND
	;;#ASMSTART
	v_cvt_f32_f16 v30, v30;
	;;#ASMEND
	;; [unrolled: 3-line block ×4, first 2 shown]
	ds_read_b32 v55, v42 offset:32
	v_fmac_f32_e32 v4, v50, v24
	v_fmac_f32_e32 v35, v30, v25
	v_accvgpr_read_b32 v32, a52
	v_fma_mixlo_f16 v38, v45, v32, 0
	s_waitcnt lgkmcnt(0)
	v_lshrrev_b32_e32 v26, 16, v55
	v_and_b32_e32 v51, 0xffff, v55
	;;#ASMSTART
	v_cvt_f32_f16 v51, v51;
	;;#ASMEND
	;;#ASMSTART
	v_cvt_f32_f16 v26, v26;
	;;#ASMEND
	;; [unrolled: 3-line block ×3, first 2 shown]
	v_and_b32_e32 v6, 0xffff, v7
	;;#ASMSTART
	v_cvt_f32_f16 v10, v6;
	;;#ASMEND
	ds_read_b32 v6, v42 offset:36
	v_fma_mixlo_f16 v7, v45, v11, 0
	v_fma_mixlo_f16 v11, v45, v53, 0
	v_fmac_f32_e32 v4, v51, v55
	v_fmac_f32_e32 v35, v26, v10
	s_waitcnt lgkmcnt(0)
	v_lshrrev_b32_e32 v24, 16, v6
	v_and_b32_e32 v6, 0xffff, v6
	;;#ASMSTART
	v_cvt_f32_f16 v50, v6;
	;;#ASMEND
	v_and_b32_e32 v6, 0xffff, v7
	;;#ASMSTART
	v_cvt_f32_f16 v36, v24;
	;;#ASMEND
	;;#ASMSTART
	v_cvt_f32_f16 v24, v6;
	;;#ASMEND
	v_and_b32_e32 v6, 0xffff, v11
	;;#ASMSTART
	v_cvt_f32_f16 v11, v6;
	;;#ASMEND
	ds_read_b32 v6, v42 offset:40
	v_fma_mixlo_f16 v7, v45, v16, 0
	v_fmac_f32_e32 v4, v50, v24
	v_fmac_f32_e32 v35, v36, v11
	v_fma_mixlo_f16 v36, v45, v18, 0
	s_waitcnt lgkmcnt(0)
	v_lshrrev_b32_e32 v25, 16, v6
	v_and_b32_e32 v6, 0xffff, v6
	;;#ASMSTART
	v_cvt_f32_f16 v30, v6;
	;;#ASMEND
	v_and_b32_e32 v6, 0xffff, v7
	;;#ASMSTART
	v_cvt_f32_f16 v49, v25;
	;;#ASMEND
	;;#ASMSTART
	v_cvt_f32_f16 v17, v6;
	;;#ASMEND
	v_and_b32_e32 v6, 0xffff, v41
	;;#ASMSTART
	v_cvt_f32_f16 v8, v6;
	;;#ASMEND
	ds_read_b32 v7, v42 offset:44
	v_fma_mixlo_f16 v6, v45, v22, 0
	v_fma_mixlo_f16 v22, v45, v43, 0
	;; [unrolled: 1-line block ×3, first 2 shown]
	v_fmac_f32_e32 v4, v30, v17
	s_waitcnt lgkmcnt(0)
	v_lshrrev_b32_e32 v51, 16, v7
	v_and_b32_e32 v7, 0xffff, v7
	;;#ASMSTART
	v_cvt_f32_f16 v28, v7;
	;;#ASMEND
	v_and_b32_e32 v7, 0xffff, v22
	;;#ASMSTART
	v_cvt_f32_f16 v31, v51;
	;;#ASMEND
	;;#ASMSTART
	v_cvt_f32_f16 v29, v7;
	;;#ASMEND
	v_and_b32_e32 v7, 0xffff, v25
	;;#ASMSTART
	v_cvt_f32_f16 v53, v7;
	;;#ASMEND
	ds_read_b32 v22, v42 offset:48
	v_fma_mixlo_f16 v7, v45, v13, 0
	v_fma_mixlo_f16 v13, v45, v46, 0
	;; [unrolled: 1-line block ×3, first 2 shown]
	v_fmac_f32_e32 v35, v49, v8
	s_waitcnt lgkmcnt(0)
	v_lshrrev_b32_e32 v10, 16, v22
	v_and_b32_e32 v22, 0xffff, v22
	;;#ASMSTART
	v_cvt_f32_f16 v48, v22;
	;;#ASMEND
	;;#ASMSTART
	v_cvt_f32_f16 v55, v10;
	;;#ASMEND
	v_and_b32_e32 v10, 0xffff, v13
	;;#ASMSTART
	v_cvt_f32_f16 v21, v10;
	;;#ASMEND
	v_and_b32_e32 v10, 0xffff, v25
	;;#ASMSTART
	v_cvt_f32_f16 v51, v10;
	;;#ASMEND
	ds_read_b32 v10, v42 offset:52
	v_fma_mixlo_f16 v13, v45, v57, 0
	v_fma_mixlo_f16 v22, v45, v12, 0
	v_fmac_f32_e32 v4, v28, v29
	v_fmac_f32_e32 v35, v31, v53
	s_waitcnt lgkmcnt(0)
	v_lshrrev_b32_e32 v12, 16, v10
	v_and_b32_e32 v10, 0xffff, v10
	;;#ASMSTART
	v_cvt_f32_f16 v50, v10;
	;;#ASMEND
	v_and_b32_e32 v10, 0xffff, v13
	;;#ASMSTART
	v_cvt_f32_f16 v12, v12;
	;;#ASMEND
	;;#ASMSTART
	v_cvt_f32_f16 v41, v10;
	;;#ASMEND
	v_and_b32_e32 v10, 0xffff, v22
	;;#ASMSTART
	v_cvt_f32_f16 v24, v10;
	;;#ASMEND
	ds_read_b32 v13, v42 offset:56
	v_fma_mixlo_f16 v10, v45, v23, 0
	v_fma_mixlo_f16 v23, v45, v2, 0
	v_accvgpr_read_b32 v2, a45
	v_fma_mixlo_f16 v26, v45, v2, 0
	s_waitcnt lgkmcnt(0)
	v_lshrrev_b32_e32 v11, 16, v13
	v_and_b32_e32 v13, 0xffff, v13
	;;#ASMSTART
	v_cvt_f32_f16 v13, v13;
	;;#ASMEND
	;;#ASMSTART
	v_cvt_f32_f16 v22, v11;
	;;#ASMEND
	v_and_b32_e32 v11, 0xffff, v23
	;;#ASMSTART
	v_cvt_f32_f16 v23, v11;
	;;#ASMEND
	;;#ASMSTART
	v_cvt_f32_f16 v25, v9;
	;;#ASMEND
	ds_read_b32 v11, v42 offset:60
	v_accvgpr_read_b32 v2, a46
	v_fma_mixlo_f16 v9, v45, v62, 0
	v_fma_mixlo_f16 v62, v45, v2, 0
	v_accvgpr_read_b32 v2, a47
	s_waitcnt lgkmcnt(0)
	v_lshrrev_b32_e32 v18, 16, v11
	v_and_b32_e32 v11, 0xffff, v11
	;;#ASMSTART
	v_cvt_f32_f16 v17, v11;
	;;#ASMEND
	v_and_b32_e32 v11, 0xffff, v26
	;;#ASMSTART
	v_cvt_f32_f16 v18, v18;
	;;#ASMEND
	;;#ASMSTART
	v_cvt_f32_f16 v26, v11;
	;;#ASMEND
	v_and_b32_e32 v11, 0xffff, v36
	;;#ASMSTART
	v_cvt_f32_f16 v36, v11;
	;;#ASMEND
	ds_read_b32 v30, v42 offset:64
	v_fma_mixlo_f16 v11, v45, v27, 0
	v_fmac_f32_e32 v4, v48, v21
	v_fma_mixlo_f16 v43, v45, v33, 0
	v_accvgpr_read_b32 v32, a54
	s_waitcnt lgkmcnt(0)
	v_lshrrev_b32_e32 v8, 16, v30
	v_and_b32_e32 v27, 0xffff, v30
	;;#ASMSTART
	v_cvt_f32_f16 v27, v27;
	;;#ASMEND
	;;#ASMSTART
	v_cvt_f32_f16 v39, v8;
	;;#ASMEND
	v_and_b32_e32 v8, 0xffff, v62
	;;#ASMSTART
	v_cvt_f32_f16 v49, v8;
	;;#ASMEND
	v_and_b32_e32 v8, 0xffff, v20
	;;#ASMSTART
	v_cvt_f32_f16 v62, v8;
	;;#ASMEND
	ds_read_b32 v20, v42 offset:68
	v_fma_mixlo_f16 v30, v45, v2, 0
	v_accvgpr_read_b32 v2, a48
	v_fma_mixlo_f16 v8, v45, v60, 0
	v_fma_mixlo_f16 v60, v45, v2, 0
	s_waitcnt lgkmcnt(0)
	v_lshrrev_b32_e32 v29, 16, v20
	v_and_b32_e32 v20, 0xffff, v20
	;;#ASMSTART
	v_cvt_f32_f16 v28, v20;
	;;#ASMEND
	v_and_b32_e32 v20, 0xffff, v30
	;;#ASMSTART
	v_cvt_f32_f16 v29, v29;
	;;#ASMEND
	;;#ASMSTART
	v_cvt_f32_f16 v30, v20;
	;;#ASMEND
	v_and_b32_e32 v20, 0xffff, v60
	;;#ASMSTART
	v_cvt_f32_f16 v20, v20;
	;;#ASMEND
	ds_read_b32 v16, v42 offset:72
	v_accvgpr_read_b32 v2, a49
	v_fma_mixlo_f16 v60, v45, v61, 0
	v_fma_mixlo_f16 v61, v45, v2, 0
	v_accvgpr_read_b32 v2, a50
	v_fma_mixlo_f16 v2, v45, v2, 0
	s_waitcnt lgkmcnt(0)
	v_lshrrev_b32_e32 v31, 16, v16
	v_and_b32_e32 v16, 0xffff, v16
	v_and_b32_e32 v53, 0xffff, v61
	;; [unrolled: 1-line block ×3, first 2 shown]
	;;#ASMSTART
	v_cvt_f32_f16 v16, v16;
	;;#ASMEND
	;;#ASMSTART
	v_cvt_f32_f16 v31, v31;
	;;#ASMEND
	;; [unrolled: 3-line block ×4, first 2 shown]
	ds_read_b32 v2, v42 offset:76
	v_fmac_f32_e32 v35, v55, v51
	v_fma_mixlo_f16 v46, v45, v32, 0
	v_fma_mixlo_f16 v47, v45, v52, 0
	v_accvgpr_read_b32 v32, a56
	s_waitcnt lgkmcnt(0)
	v_lshrrev_b32_e32 v21, 16, v2
	v_and_b32_e32 v2, 0xffff, v2
	;;#ASMSTART
	v_cvt_f32_f16 v48, v2;
	;;#ASMEND
	v_and_b32_e32 v2, 0xffff, v19
	;;#ASMSTART
	v_cvt_f32_f16 v21, v21;
	;;#ASMEND
	;;#ASMSTART
	v_cvt_f32_f16 v19, v2;
	;;#ASMEND
	v_and_b32_e32 v2, 0xffff, v38
	;;#ASMSTART
	v_cvt_f32_f16 v38, v2;
	;;#ASMEND
	ds_read_b32 v2, v42 offset:80
	v_fmac_f32_e32 v4, v50, v41
	v_fma_mixlo_f16 v57, v45, v32, 0
	v_fma_mixlo_f16 v33, v45, v40, 0
	v_accvgpr_read_b32 v52, a57
	s_waitcnt lgkmcnt(0)
	v_lshrrev_b32_e32 v51, 16, v2
	v_and_b32_e32 v2, 0xffff, v2
	;;#ASMSTART
	v_cvt_f32_f16 v55, v2;
	;;#ASMEND
	v_and_b32_e32 v2, 0xffff, v43
	;;#ASMSTART
	v_cvt_f32_f16 v51, v51;
	;;#ASMEND
	;;#ASMSTART
	v_cvt_f32_f16 v43, v2;
	;;#ASMEND
	v_and_b32_e32 v2, 0xffff, v46
	;;#ASMSTART
	v_cvt_f32_f16 v46, v2;
	;;#ASMEND
	ds_read_b32 v2, v42 offset:84
	v_fmac_f32_e32 v35, v12, v24
	v_fma_mixlo_f16 v40, v45, v52, 0
	v_accvgpr_read_b32 v32, a58
	v_fma_mixlo_f16 v56, v45, v56, 0
	s_waitcnt lgkmcnt(0)
	v_lshrrev_b32_e32 v50, 16, v2
	v_and_b32_e32 v2, 0xffff, v2
	;;#ASMSTART
	v_cvt_f32_f16 v41, v2;
	;;#ASMEND
	v_and_b32_e32 v2, 0xffff, v47
	;;#ASMSTART
	v_cvt_f32_f16 v50, v50;
	;;#ASMEND
	;;#ASMSTART
	v_cvt_f32_f16 v47, v2;
	;;#ASMEND
	v_and_b32_e32 v2, 0xffff, v57
	;;#ASMSTART
	v_cvt_f32_f16 v57, v2;
	;;#ASMEND
	ds_read_b32 v2, v42 offset:88
	v_fma_mixlo_f16 v32, v45, v32, 0
	v_fmac_f32_e32 v4, v13, v23
	v_fmac_f32_e32 v35, v22, v25
	v_and_b32_e32 v22, 0xffff, v56
	s_waitcnt lgkmcnt(0)
	v_lshrrev_b32_e32 v12, 16, v2
	v_and_b32_e32 v2, 0xffff, v2
	;;#ASMSTART
	v_cvt_f32_f16 v24, v2;
	;;#ASMEND
	v_and_b32_e32 v2, 0xffff, v33
	;;#ASMSTART
	v_cvt_f32_f16 v44, v12;
	;;#ASMEND
	;;#ASMSTART
	v_cvt_f32_f16 v33, v2;
	;;#ASMEND
	v_and_b32_e32 v2, 0xffff, v40
	;;#ASMSTART
	v_cvt_f32_f16 v40, v2;
	;;#ASMEND
	ds_read_b32 v52, v42 offset:92
	v_fma_mixlo_f16 v2, v45, v14, 0
	v_and_b32_e32 v23, 0xffff, v32
	v_fma_mixlo_f16 v58, v45, v58, 0
	v_fma_mixlo_f16 v59, v45, v59, 0
	s_waitcnt lgkmcnt(0)
	v_lshrrev_b32_e32 v13, 16, v52
	v_and_b32_e32 v14, 0xffff, v52
	;;#ASMSTART
	v_cvt_f32_f16 v14, v14;
	;;#ASMEND
	;;#ASMSTART
	v_cvt_f32_f16 v13, v13;
	;;#ASMEND
	;; [unrolled: 3-line block ×4, first 2 shown]
	ds_read_b32 v25, v42 offset:96
	v_fmac_f32_e32 v4, v17, v26
	v_fmac_f32_e32 v35, v18, v36
	v_and_b32_e32 v26, 0xffff, v59
	v_fmac_f32_e32 v4, v27, v49
	s_waitcnt lgkmcnt(0)
	v_lshrrev_b32_e32 v17, 16, v25
	v_and_b32_e32 v18, 0xffff, v25
	v_and_b32_e32 v25, 0xffff, v58
	;;#ASMSTART
	v_cvt_f32_f16 v18, v18;
	;;#ASMEND
	;;#ASMSTART
	v_cvt_f32_f16 v17, v17;
	;;#ASMEND
	;;#ASMSTART
	v_cvt_f32_f16 v25, v25;
	;;#ASMEND
	;;#ASMSTART
	v_cvt_f32_f16 v26, v26;
	;;#ASMEND
	ds_read_b32 v27, v42 offset:100
	v_fmac_f32_e32 v35, v39, v62
	v_fmac_f32_e32 v4, v28, v30
	;; [unrolled: 1-line block ×4, first 2 shown]
	s_waitcnt lgkmcnt(0)
	v_lshrrev_b32_e32 v16, 16, v27
	v_and_b32_e32 v20, 0xffff, v27
	v_and_b32_e32 v8, 0xffff, v8
	;; [unrolled: 1-line block ×3, first 2 shown]
	;;#ASMSTART
	v_cvt_f32_f16 v20, v20;
	;;#ASMEND
	;;#ASMSTART
	v_cvt_f32_f16 v16, v16;
	;;#ASMEND
	;; [unrolled: 3-line block ×4, first 2 shown]
	ds_read_b32 v28, v42 offset:104
	v_fmac_f32_e32 v35, v31, v61
	v_fmac_f32_e32 v4, v48, v19
	v_fmac_f32_e32 v35, v21, v38
	v_and_b32_e32 v9, 0xffff, v9
	s_waitcnt lgkmcnt(0)
	v_lshrrev_b32_e32 v19, 16, v28
	v_and_b32_e32 v21, 0xffff, v28
	v_and_b32_e32 v11, 0xffff, v11
	;;#ASMSTART
	v_cvt_f32_f16 v21, v21;
	;;#ASMEND
	;;#ASMSTART
	v_cvt_f32_f16 v19, v19;
	;;#ASMEND
	;; [unrolled: 3-line block ×4, first 2 shown]
	ds_read_b32 v28, v42 offset:108
	v_fmac_f32_e32 v4, v55, v43
	v_fma_mixlo_f16 v3, v45, v3, 0
	v_fmac_f32_e32 v4, v41, v47
	v_fmac_f32_e32 v4, v24, v33
	s_waitcnt lgkmcnt(0)
	v_lshrrev_b32_e32 v24, 16, v28
	v_and_b32_e32 v28, 0xffff, v28
	v_and_b32_e32 v3, 0xffff, v3
	;; [unrolled: 1-line block ×3, first 2 shown]
	;;#ASMSTART
	v_cvt_f32_f16 v28, v28;
	;;#ASMEND
	;;#ASMSTART
	v_cvt_f32_f16 v24, v24;
	;;#ASMEND
	;;#ASMSTART
	v_cvt_f32_f16 v3, v3;
	;;#ASMEND
	;;#ASMSTART
	v_cvt_f32_f16 v10, v10;
	;;#ASMEND
	ds_read_b32 v29, v42 offset:112
	v_fmac_f32_e32 v35, v51, v46
	v_fmac_f32_e32 v35, v50, v57
	;; [unrolled: 1-line block ×5, first 2 shown]
	s_waitcnt lgkmcnt(0)
	v_lshrrev_b32_e32 v13, 16, v29
	v_and_b32_e32 v14, 0xffff, v29
	v_and_b32_e32 v6, 0xffff, v6
	;; [unrolled: 1-line block ×3, first 2 shown]
	v_fmac_f32_e32 v35, v17, v26
	;;#ASMSTART
	v_cvt_f32_f16 v14, v14;
	;;#ASMEND
	;;#ASMSTART
	v_cvt_f32_f16 v13, v13;
	;;#ASMEND
	;; [unrolled: 3-line block ×4, first 2 shown]
	ds_read_b32 v17, v42 offset:116
	v_fmac_f32_e32 v4, v18, v25
	v_fma_mixlo_f16 v0, v45, v0, 0
	v_fma_mixlo_f16 v1, v45, v1, 0
	v_fmac_f32_e32 v4, v20, v8
	v_fmac_f32_e32 v35, v16, v27
	;; [unrolled: 1-line block ×3, first 2 shown]
	s_waitcnt lgkmcnt(0)
	v_lshrrev_b32_e32 v8, 16, v17
	v_and_b32_e32 v9, 0xffff, v17
	v_and_b32_e32 v0, 0xffff, v0
	;; [unrolled: 1-line block ×3, first 2 shown]
	v_fmac_f32_e32 v35, v19, v11
	;;#ASMSTART
	v_cvt_f32_f16 v9, v9;
	;;#ASMEND
	;;#ASMSTART
	v_cvt_f32_f16 v8, v8;
	;;#ASMEND
	;; [unrolled: 3-line block ×4, first 2 shown]
	ds_read_b32 v11, v42 offset:120
	v_fma_mixlo_f16 v37, v45, v37, 0
	v_fma_mixlo_f16 v15, v45, v15, 0
	v_fmac_f32_e32 v4, v28, v3
	v_fmac_f32_e32 v35, v24, v10
	;; [unrolled: 1-line block ×4, first 2 shown]
	s_waitcnt lgkmcnt(0)
	v_lshrrev_b32_e32 v3, 16, v11
	v_and_b32_e32 v6, 0xffff, v11
	v_and_b32_e32 v7, 0xffff, v37
	;; [unrolled: 1-line block ×3, first 2 shown]
	;;#ASMSTART
	v_cvt_f32_f16 v6, v6;
	;;#ASMEND
	;;#ASMSTART
	v_cvt_f32_f16 v3, v3;
	;;#ASMEND
	;; [unrolled: 3-line block ×4, first 2 shown]
	ds_read_b32 v11, v42 offset:124
	v_fma_mixlo_f16 v12, v45, v34, 0
	v_fmac_f32_e32 v35, v8, v1
	v_fmac_f32_e32 v4, v9, v0
	v_fmac_f32_e32 v35, v3, v10
	s_waitcnt lgkmcnt(0)
	v_lshrrev_b32_e32 v0, 16, v11
	v_and_b32_e32 v1, 0xffff, v11
	v_and_b32_e32 v3, 0xffff, v12
	v_fmac_f32_e32 v4, v6, v7
	;;#ASMSTART
	v_cvt_f32_f16 v1, v1;
	;;#ASMEND
	;;#ASMSTART
	v_cvt_f32_f16 v0, v0;
	;;#ASMEND
	;; [unrolled: 3-line block ×3, first 2 shown]
	v_and_b32_e32 v2, 0xffff, v2
	v_fmac_f32_e32 v4, v1, v3
	v_accvgpr_read_b32 v3, a42
	;;#ASMSTART
	v_cvt_f32_f16 v2, v2;
	;;#ASMEND
	v_and_b32_e32 v1, 64, v3
	v_fmac_f32_e32 v35, v0, v2
	v_add_u32_e32 v1, 64, v1
	v_xor_b32_e32 v2, 2, v3
	v_cmp_lt_i32_e64 s[4:5], v2, v1
	v_add_f32_e32 v0, v4, v35
	s_nop 0
	v_cndmask_b32_e64 v2, v3, v2, s[4:5]
	v_lshlrev_b32_e32 v2, 2, v2
	ds_bpermute_b32 v2, v2, v0
	s_waitcnt lgkmcnt(0)
	v_add_f32_e32 v0, v0, v2
	v_xor_b32_e32 v2, 1, v3
	v_cmp_lt_i32_e64 s[4:5], v2, v1
	s_nop 1
	v_cndmask_b32_e64 v1, v3, v2, s[4:5]
	v_lshlrev_b32_e32 v1, 2, v1
	ds_bpermute_b32 v1, v1, v0
	s_and_saveexec_b64 s[22:23], vcc
	s_cbranch_execz .LBB245_10
; %bb.276:                              ;   in Loop: Header=BB245_12 Depth=1
	scratch_load_dword v4, off, s32 offset:172 ; 4-byte Folded Reload
	v_accvgpr_read_b32 v2, a37
	v_add_u32_e32 v2, v2, v54
	v_cvt_f32_i32_e32 v2, v2
	s_waitcnt lgkmcnt(0)
	v_add_f32_e32 v0, v0, v1
	v_accvgpr_read_b32 v1, a28
	s_load_dword s4, s[10:11], 0x0
	v_accvgpr_read_b32 v3, a30
	v_add_u32_e32 v3, v3, v54
	s_waitcnt vmcnt(0)
	v_mul_f32_e32 v2, v4, v2
	v_cndmask_b32_e64 v2, 0, v2, s[2:3]
	v_fmac_f32_e32 v2, v0, v1
	scratch_load_dword v1, off, s32 offset:168 ; 4-byte Folded Reload
	v_accvgpr_read_b32 v4, a39
	v_accvgpr_read_b32 v0, a8
	s_waitcnt lgkmcnt(0)
	v_add_u32_e32 v4, s4, v4
	v_cmp_lt_i32_e64 s[4:5], v3, v0
	s_nop 1
	v_cndmask_b32_e64 v0, 0, v2, s[4:5]
	ds_write_b32 v4, v0
	s_waitcnt vmcnt(0)
	v_max_f32_e32 v0, v1, v1
	v_max_f32_e32 v0, v0, v2
	v_cndmask_b32_e64 v1, v1, v0, s[4:5]
	scratch_store_dword off, v1, s32 offset:168 ; 4-byte Folded Spill
	s_branch .LBB245_10
.LBB245_277:                            ;   in Loop: Header=BB245_12 Depth=1
	v_cmp_eq_u16_sdwa s[30:31], v0, s28 src0_sel:BYTE_0 src1_sel:DWORD
	s_mov_b64 s[4:5], -1
                                        ; implicit-def: $sgpr26
	s_and_saveexec_b64 s[24:25], s[30:31]
; %bb.278:                              ;   in Loop: Header=BB245_12 Depth=1
	s_mov_b32 s26, 0x7fc02000
	s_xor_b64 s[4:5], exec, -1
; %bb.279:                              ;   in Loop: Header=BB245_12 Depth=1
	s_or_b64 exec, exec, s[24:25]
	s_and_b64 s[4:5], s[4:5], exec
	s_or_saveexec_b64 s[22:23], s[22:23]
	v_mov_b32_e32 v10, s26
	s_xor_b64 exec, exec, s[22:23]
	s_cbranch_execz .LBB245_17
.LBB245_280:                            ;   in Loop: Header=BB245_12 Depth=1
	v_cmp_ne_u16_sdwa s[24:25], v0, v5 src0_sel:BYTE_0 src1_sel:DWORD
	s_andn2_b64 s[4:5], s[4:5], exec
	s_and_b64 s[24:25], s[24:25], exec
	v_mov_b32_e32 v10, 0
	s_or_b64 s[4:5], s[4:5], s[24:25]
	s_or_b64 exec, exec, s[22:23]
	v_and_b32_e32 v4, 0xffff, v0
	s_and_saveexec_b64 s[22:23], s[4:5]
	s_cbranch_execnz .LBB245_18
	s_branch .LBB245_19
.LBB245_281:                            ;   in Loop: Header=BB245_12 Depth=1
	v_cmp_eq_u16_e64 s[4:5], s28, v4
	s_mov_b64 s[22:23], -1
                                        ; implicit-def: $sgpr30
	s_and_saveexec_b64 s[26:27], s[4:5]
; %bb.282:                              ;   in Loop: Header=BB245_12 Depth=1
	s_mov_b32 s30, 0x7fc02000
	s_xor_b64 s[22:23], exec, -1
; %bb.283:                              ;   in Loop: Header=BB245_12 Depth=1
	s_or_b64 exec, exec, s[26:27]
	s_and_b64 s[22:23], s[22:23], exec
	s_or_saveexec_b64 s[24:25], s[24:25]
	v_mov_b32_e32 v0, s30
	s_xor_b64 exec, exec, s[24:25]
	s_cbranch_execz .LBB245_21
.LBB245_284:                            ;   in Loop: Header=BB245_12 Depth=1
	v_cmp_ne_u16_e64 s[4:5], 0, v4
	s_andn2_b64 s[22:23], s[22:23], exec
	s_and_b64 s[4:5], s[4:5], exec
	v_mov_b32_e32 v0, 0
	s_or_b64 s[22:23], s[22:23], s[4:5]
	s_or_b64 exec, exec, s[24:25]
	s_and_saveexec_b64 s[24:25], s[22:23]
	s_cbranch_execnz .LBB245_22
	s_branch .LBB245_23
.LBB245_285:                            ;   in Loop: Header=BB245_12 Depth=1
	v_cmp_eq_u16_sdwa s[30:31], v0, s28 src0_sel:BYTE_0 src1_sel:DWORD
	s_mov_b64 s[4:5], -1
                                        ; implicit-def: $sgpr26
	s_and_saveexec_b64 s[24:25], s[30:31]
; %bb.286:                              ;   in Loop: Header=BB245_12 Depth=1
	s_mov_b32 s26, 0x7fc02000
	s_xor_b64 s[4:5], exec, -1
; %bb.287:                              ;   in Loop: Header=BB245_12 Depth=1
	s_or_b64 exec, exec, s[24:25]
	s_and_b64 s[4:5], s[4:5], exec
	s_or_saveexec_b64 s[22:23], s[22:23]
	v_mov_b32_e32 v55, s26
	s_xor_b64 exec, exec, s[22:23]
	s_cbranch_execz .LBB245_25
.LBB245_288:                            ;   in Loop: Header=BB245_12 Depth=1
	v_cmp_ne_u16_sdwa s[24:25], v0, v5 src0_sel:BYTE_0 src1_sel:DWORD
	s_andn2_b64 s[4:5], s[4:5], exec
	s_and_b64 s[24:25], s[24:25], exec
	v_mov_b32_e32 v55, 0
	s_or_b64 s[4:5], s[4:5], s[24:25]
	s_or_b64 exec, exec, s[22:23]
	v_and_b32_e32 v4, 0xffff, v0
	s_and_saveexec_b64 s[22:23], s[4:5]
	s_cbranch_execnz .LBB245_26
	s_branch .LBB245_27
.LBB245_289:                            ;   in Loop: Header=BB245_12 Depth=1
	v_cmp_eq_u16_e64 s[4:5], s28, v4
	s_mov_b64 s[22:23], -1
                                        ; implicit-def: $sgpr30
	s_and_saveexec_b64 s[26:27], s[4:5]
; %bb.290:                              ;   in Loop: Header=BB245_12 Depth=1
	s_mov_b32 s30, 0x7fc02000
	s_xor_b64 s[22:23], exec, -1
; %bb.291:                              ;   in Loop: Header=BB245_12 Depth=1
	s_or_b64 exec, exec, s[26:27]
	s_and_b64 s[22:23], s[22:23], exec
	s_or_saveexec_b64 s[24:25], s[24:25]
	v_mov_b32_e32 v17, s30
	s_xor_b64 exec, exec, s[24:25]
	s_cbranch_execz .LBB245_29
.LBB245_292:                            ;   in Loop: Header=BB245_12 Depth=1
	v_cmp_ne_u16_e64 s[4:5], 0, v4
	s_andn2_b64 s[22:23], s[22:23], exec
	s_and_b64 s[4:5], s[4:5], exec
	v_mov_b32_e32 v17, 0
	s_or_b64 s[22:23], s[22:23], s[4:5]
	s_or_b64 exec, exec, s[24:25]
	s_and_saveexec_b64 s[24:25], s[22:23]
	s_cbranch_execnz .LBB245_30
	s_branch .LBB245_31
.LBB245_293:                            ;   in Loop: Header=BB245_12 Depth=1
	v_cmp_eq_u16_sdwa s[30:31], v0, s28 src0_sel:BYTE_0 src1_sel:DWORD
	s_mov_b64 s[4:5], -1
                                        ; implicit-def: $sgpr26
	s_and_saveexec_b64 s[24:25], s[30:31]
; %bb.294:                              ;   in Loop: Header=BB245_12 Depth=1
	s_mov_b32 s26, 0x7fc02000
	s_xor_b64 s[4:5], exec, -1
; %bb.295:                              ;   in Loop: Header=BB245_12 Depth=1
	s_or_b64 exec, exec, s[24:25]
	s_and_b64 s[4:5], s[4:5], exec
	s_or_saveexec_b64 s[22:23], s[22:23]
	v_mov_b32_e32 v19, s26
	s_xor_b64 exec, exec, s[22:23]
	s_cbranch_execz .LBB245_33
.LBB245_296:                            ;   in Loop: Header=BB245_12 Depth=1
	v_cmp_ne_u16_sdwa s[24:25], v0, v5 src0_sel:BYTE_0 src1_sel:DWORD
	s_andn2_b64 s[4:5], s[4:5], exec
	s_and_b64 s[24:25], s[24:25], exec
	v_mov_b32_e32 v19, 0
	s_or_b64 s[4:5], s[4:5], s[24:25]
	s_or_b64 exec, exec, s[22:23]
	v_and_b32_e32 v4, 0xffff, v0
	s_and_saveexec_b64 s[22:23], s[4:5]
	s_cbranch_execnz .LBB245_34
	s_branch .LBB245_35
.LBB245_297:                            ;   in Loop: Header=BB245_12 Depth=1
	v_cmp_eq_u16_e64 s[4:5], s28, v4
	s_mov_b64 s[22:23], -1
                                        ; implicit-def: $sgpr30
	s_and_saveexec_b64 s[26:27], s[4:5]
; %bb.298:                              ;   in Loop: Header=BB245_12 Depth=1
	s_mov_b32 s30, 0x7fc02000
	s_xor_b64 s[22:23], exec, -1
; %bb.299:                              ;   in Loop: Header=BB245_12 Depth=1
	s_or_b64 exec, exec, s[26:27]
	s_and_b64 s[22:23], s[22:23], exec
	s_or_saveexec_b64 s[24:25], s[24:25]
	v_mov_b32_e32 v20, s30
	s_xor_b64 exec, exec, s[24:25]
	s_cbranch_execz .LBB245_37
.LBB245_300:                            ;   in Loop: Header=BB245_12 Depth=1
	v_cmp_ne_u16_e64 s[4:5], 0, v4
	s_andn2_b64 s[22:23], s[22:23], exec
	s_and_b64 s[4:5], s[4:5], exec
	v_mov_b32_e32 v20, 0
	s_or_b64 s[22:23], s[22:23], s[4:5]
	s_or_b64 exec, exec, s[24:25]
	s_and_saveexec_b64 s[24:25], s[22:23]
	s_cbranch_execnz .LBB245_38
	s_branch .LBB245_39
.LBB245_301:                            ;   in Loop: Header=BB245_12 Depth=1
	v_cmp_eq_u16_sdwa s[30:31], v0, s28 src0_sel:BYTE_0 src1_sel:DWORD
	s_mov_b64 s[4:5], -1
                                        ; implicit-def: $sgpr26
	s_and_saveexec_b64 s[24:25], s[30:31]
; %bb.302:                              ;   in Loop: Header=BB245_12 Depth=1
	s_mov_b32 s26, 0x7fc02000
	s_xor_b64 s[4:5], exec, -1
; %bb.303:                              ;   in Loop: Header=BB245_12 Depth=1
	s_or_b64 exec, exec, s[24:25]
	s_and_b64 s[4:5], s[4:5], exec
	s_or_saveexec_b64 s[22:23], s[22:23]
	v_mov_b32_e32 v21, s26
	s_xor_b64 exec, exec, s[22:23]
	s_cbranch_execz .LBB245_41
.LBB245_304:                            ;   in Loop: Header=BB245_12 Depth=1
	v_cmp_ne_u16_sdwa s[24:25], v0, v5 src0_sel:BYTE_0 src1_sel:DWORD
	s_andn2_b64 s[4:5], s[4:5], exec
	s_and_b64 s[24:25], s[24:25], exec
	v_mov_b32_e32 v21, 0
	s_or_b64 s[4:5], s[4:5], s[24:25]
	s_or_b64 exec, exec, s[22:23]
	v_and_b32_e32 v4, 0xffff, v0
	s_and_saveexec_b64 s[22:23], s[4:5]
	s_cbranch_execnz .LBB245_42
	s_branch .LBB245_43
.LBB245_305:                            ;   in Loop: Header=BB245_12 Depth=1
	v_cmp_eq_u16_e64 s[4:5], s28, v4
	s_mov_b64 s[22:23], -1
                                        ; implicit-def: $sgpr30
	s_and_saveexec_b64 s[26:27], s[4:5]
; %bb.306:                              ;   in Loop: Header=BB245_12 Depth=1
	s_mov_b32 s30, 0x7fc02000
	s_xor_b64 s[22:23], exec, -1
; %bb.307:                              ;   in Loop: Header=BB245_12 Depth=1
	s_or_b64 exec, exec, s[26:27]
	s_and_b64 s[22:23], s[22:23], exec
	s_or_saveexec_b64 s[24:25], s[24:25]
	v_mov_b32_e32 v24, s30
	s_xor_b64 exec, exec, s[24:25]
	s_cbranch_execz .LBB245_45
.LBB245_308:                            ;   in Loop: Header=BB245_12 Depth=1
	v_cmp_ne_u16_e64 s[4:5], 0, v4
	s_andn2_b64 s[22:23], s[22:23], exec
	s_and_b64 s[4:5], s[4:5], exec
	v_mov_b32_e32 v24, 0
	s_or_b64 s[22:23], s[22:23], s[4:5]
	s_or_b64 exec, exec, s[24:25]
	s_and_saveexec_b64 s[24:25], s[22:23]
	s_cbranch_execnz .LBB245_46
	s_branch .LBB245_47
.LBB245_309:                            ;   in Loop: Header=BB245_12 Depth=1
	v_cmp_eq_u16_sdwa s[30:31], v0, s28 src0_sel:BYTE_0 src1_sel:DWORD
	s_mov_b64 s[4:5], -1
                                        ; implicit-def: $sgpr26
	s_and_saveexec_b64 s[24:25], s[30:31]
; %bb.310:                              ;   in Loop: Header=BB245_12 Depth=1
	s_mov_b32 s26, 0x7fc02000
	s_xor_b64 s[4:5], exec, -1
; %bb.311:                              ;   in Loop: Header=BB245_12 Depth=1
	s_or_b64 exec, exec, s[24:25]
	s_and_b64 s[4:5], s[4:5], exec
	s_or_saveexec_b64 s[22:23], s[22:23]
	v_mov_b32_e32 v25, s26
	s_xor_b64 exec, exec, s[22:23]
	s_cbranch_execz .LBB245_49
.LBB245_312:                            ;   in Loop: Header=BB245_12 Depth=1
	v_cmp_ne_u16_sdwa s[24:25], v0, v5 src0_sel:BYTE_0 src1_sel:DWORD
	s_andn2_b64 s[4:5], s[4:5], exec
	s_and_b64 s[24:25], s[24:25], exec
	v_mov_b32_e32 v25, 0
	s_or_b64 s[4:5], s[4:5], s[24:25]
	s_or_b64 exec, exec, s[22:23]
	v_and_b32_e32 v4, 0xffff, v0
	s_and_saveexec_b64 s[22:23], s[4:5]
	s_cbranch_execnz .LBB245_50
	s_branch .LBB245_51
.LBB245_313:                            ;   in Loop: Header=BB245_12 Depth=1
	v_cmp_eq_u16_e64 s[4:5], s28, v4
	s_mov_b64 s[22:23], -1
                                        ; implicit-def: $sgpr30
	s_and_saveexec_b64 s[26:27], s[4:5]
; %bb.314:                              ;   in Loop: Header=BB245_12 Depth=1
	s_mov_b32 s30, 0x7fc02000
	s_xor_b64 s[22:23], exec, -1
; %bb.315:                              ;   in Loop: Header=BB245_12 Depth=1
	s_or_b64 exec, exec, s[26:27]
	s_and_b64 s[22:23], s[22:23], exec
	s_or_saveexec_b64 s[24:25], s[24:25]
	v_mov_b32_e32 v28, s30
	s_xor_b64 exec, exec, s[24:25]
	s_cbranch_execz .LBB245_53
.LBB245_316:                            ;   in Loop: Header=BB245_12 Depth=1
	v_cmp_ne_u16_e64 s[4:5], 0, v4
	s_andn2_b64 s[22:23], s[22:23], exec
	s_and_b64 s[4:5], s[4:5], exec
	v_mov_b32_e32 v28, 0
	s_or_b64 s[22:23], s[22:23], s[4:5]
	s_or_b64 exec, exec, s[24:25]
	s_and_saveexec_b64 s[24:25], s[22:23]
	s_cbranch_execnz .LBB245_54
	s_branch .LBB245_55
.LBB245_317:                            ;   in Loop: Header=BB245_12 Depth=1
	v_cmp_eq_u16_sdwa s[30:31], v0, s28 src0_sel:BYTE_0 src1_sel:DWORD
	s_mov_b64 s[4:5], -1
                                        ; implicit-def: $sgpr26
	s_and_saveexec_b64 s[24:25], s[30:31]
; %bb.318:                              ;   in Loop: Header=BB245_12 Depth=1
	s_mov_b32 s26, 0x7fc02000
	s_xor_b64 s[4:5], exec, -1
; %bb.319:                              ;   in Loop: Header=BB245_12 Depth=1
	s_or_b64 exec, exec, s[24:25]
	s_and_b64 s[4:5], s[4:5], exec
	s_or_saveexec_b64 s[22:23], s[22:23]
	v_mov_b32_e32 v29, s26
	s_xor_b64 exec, exec, s[22:23]
	s_cbranch_execz .LBB245_57
.LBB245_320:                            ;   in Loop: Header=BB245_12 Depth=1
	v_cmp_ne_u16_sdwa s[24:25], v0, v5 src0_sel:BYTE_0 src1_sel:DWORD
	s_andn2_b64 s[4:5], s[4:5], exec
	s_and_b64 s[24:25], s[24:25], exec
	v_mov_b32_e32 v29, 0
	s_or_b64 s[4:5], s[4:5], s[24:25]
	s_or_b64 exec, exec, s[22:23]
	v_and_b32_e32 v4, 0xffff, v0
	s_and_saveexec_b64 s[22:23], s[4:5]
	s_cbranch_execnz .LBB245_58
	s_branch .LBB245_59
.LBB245_321:                            ;   in Loop: Header=BB245_12 Depth=1
	v_cmp_eq_u16_e64 s[4:5], s28, v4
	s_mov_b64 s[22:23], -1
                                        ; implicit-def: $sgpr30
	s_and_saveexec_b64 s[26:27], s[4:5]
; %bb.322:                              ;   in Loop: Header=BB245_12 Depth=1
	s_mov_b32 s30, 0x7fc02000
	s_xor_b64 s[22:23], exec, -1
; %bb.323:                              ;   in Loop: Header=BB245_12 Depth=1
	s_or_b64 exec, exec, s[26:27]
	s_and_b64 s[22:23], s[22:23], exec
	s_or_saveexec_b64 s[24:25], s[24:25]
	v_mov_b32_e32 v31, s30
	s_xor_b64 exec, exec, s[24:25]
	s_cbranch_execz .LBB245_61
.LBB245_324:                            ;   in Loop: Header=BB245_12 Depth=1
	v_cmp_ne_u16_e64 s[4:5], 0, v4
	s_andn2_b64 s[22:23], s[22:23], exec
	s_and_b64 s[4:5], s[4:5], exec
	v_mov_b32_e32 v31, 0
	s_or_b64 s[22:23], s[22:23], s[4:5]
	s_or_b64 exec, exec, s[24:25]
	s_and_saveexec_b64 s[24:25], s[22:23]
	s_cbranch_execnz .LBB245_62
	s_branch .LBB245_63
.LBB245_325:                            ;   in Loop: Header=BB245_12 Depth=1
	v_cmp_eq_u16_sdwa s[30:31], v0, s28 src0_sel:BYTE_0 src1_sel:DWORD
	s_mov_b64 s[4:5], -1
                                        ; implicit-def: $sgpr26
	s_and_saveexec_b64 s[24:25], s[30:31]
; %bb.326:                              ;   in Loop: Header=BB245_12 Depth=1
	s_mov_b32 s26, 0x7fc02000
	s_xor_b64 s[4:5], exec, -1
; %bb.327:                              ;   in Loop: Header=BB245_12 Depth=1
	s_or_b64 exec, exec, s[24:25]
	s_and_b64 s[4:5], s[4:5], exec
	s_or_saveexec_b64 s[22:23], s[22:23]
	v_mov_b32_e32 v32, s26
	s_xor_b64 exec, exec, s[22:23]
	s_cbranch_execz .LBB245_65
.LBB245_328:                            ;   in Loop: Header=BB245_12 Depth=1
	v_cmp_ne_u16_sdwa s[24:25], v0, v5 src0_sel:BYTE_0 src1_sel:DWORD
	s_andn2_b64 s[4:5], s[4:5], exec
	s_and_b64 s[24:25], s[24:25], exec
	v_mov_b32_e32 v32, 0
	s_or_b64 s[4:5], s[4:5], s[24:25]
	s_or_b64 exec, exec, s[22:23]
	v_and_b32_e32 v4, 0xffff, v0
	s_and_saveexec_b64 s[22:23], s[4:5]
	s_cbranch_execnz .LBB245_66
	s_branch .LBB245_67
.LBB245_329:                            ;   in Loop: Header=BB245_12 Depth=1
	v_cmp_eq_u16_e64 s[4:5], s28, v4
	s_mov_b64 s[22:23], -1
                                        ; implicit-def: $sgpr30
	s_and_saveexec_b64 s[26:27], s[4:5]
; %bb.330:                              ;   in Loop: Header=BB245_12 Depth=1
	s_mov_b32 s30, 0x7fc02000
	s_xor_b64 s[22:23], exec, -1
; %bb.331:                              ;   in Loop: Header=BB245_12 Depth=1
	s_or_b64 exec, exec, s[26:27]
	s_and_b64 s[22:23], s[22:23], exec
	s_or_saveexec_b64 s[24:25], s[24:25]
	v_mov_b32_e32 v0, s30
	s_xor_b64 exec, exec, s[24:25]
	s_cbranch_execz .LBB245_69
.LBB245_332:                            ;   in Loop: Header=BB245_12 Depth=1
	v_cmp_ne_u16_e64 s[4:5], 0, v4
	s_andn2_b64 s[22:23], s[22:23], exec
	s_and_b64 s[4:5], s[4:5], exec
	v_mov_b32_e32 v0, 0
	s_or_b64 s[22:23], s[22:23], s[4:5]
	s_or_b64 exec, exec, s[24:25]
	s_and_saveexec_b64 s[24:25], s[22:23]
	s_cbranch_execnz .LBB245_70
	s_branch .LBB245_71
.LBB245_333:                            ;   in Loop: Header=BB245_12 Depth=1
	v_cmp_eq_u16_sdwa s[30:31], v0, s28 src0_sel:BYTE_0 src1_sel:DWORD
	s_mov_b64 s[4:5], -1
                                        ; implicit-def: $sgpr26
	s_and_saveexec_b64 s[24:25], s[30:31]
; %bb.334:                              ;   in Loop: Header=BB245_12 Depth=1
	s_mov_b32 s26, 0x7fc02000
	s_xor_b64 s[4:5], exec, -1
; %bb.335:                              ;   in Loop: Header=BB245_12 Depth=1
	s_or_b64 exec, exec, s[24:25]
	s_and_b64 s[4:5], s[4:5], exec
	s_or_saveexec_b64 s[22:23], s[22:23]
	v_mov_b32_e32 v36, s26
	s_xor_b64 exec, exec, s[22:23]
	s_cbranch_execz .LBB245_73
.LBB245_336:                            ;   in Loop: Header=BB245_12 Depth=1
	v_cmp_ne_u16_sdwa s[24:25], v0, v5 src0_sel:BYTE_0 src1_sel:DWORD
	s_andn2_b64 s[4:5], s[4:5], exec
	s_and_b64 s[24:25], s[24:25], exec
	v_mov_b32_e32 v36, 0
	s_or_b64 s[4:5], s[4:5], s[24:25]
	s_or_b64 exec, exec, s[22:23]
	v_and_b32_e32 v4, 0xffff, v0
	s_and_saveexec_b64 s[22:23], s[4:5]
	s_cbranch_execnz .LBB245_74
	s_branch .LBB245_75
.LBB245_337:                            ;   in Loop: Header=BB245_12 Depth=1
	v_cmp_eq_u16_e64 s[4:5], s28, v4
	s_mov_b64 s[22:23], -1
                                        ; implicit-def: $sgpr30
	s_and_saveexec_b64 s[26:27], s[4:5]
; %bb.338:                              ;   in Loop: Header=BB245_12 Depth=1
	s_mov_b32 s30, 0x7fc02000
	s_xor_b64 s[22:23], exec, -1
; %bb.339:                              ;   in Loop: Header=BB245_12 Depth=1
	s_or_b64 exec, exec, s[26:27]
	s_and_b64 s[22:23], s[22:23], exec
	s_or_saveexec_b64 s[24:25], s[24:25]
	v_mov_b32_e32 v38, s30
	s_xor_b64 exec, exec, s[24:25]
	s_cbranch_execz .LBB245_77
.LBB245_340:                            ;   in Loop: Header=BB245_12 Depth=1
	v_cmp_ne_u16_e64 s[4:5], 0, v4
	s_andn2_b64 s[22:23], s[22:23], exec
	s_and_b64 s[4:5], s[4:5], exec
	v_mov_b32_e32 v38, 0
	s_or_b64 s[22:23], s[22:23], s[4:5]
	s_or_b64 exec, exec, s[24:25]
	s_and_saveexec_b64 s[24:25], s[22:23]
	s_cbranch_execnz .LBB245_78
	s_branch .LBB245_79
.LBB245_341:                            ;   in Loop: Header=BB245_12 Depth=1
	v_cmp_eq_u16_sdwa s[30:31], v0, s28 src0_sel:BYTE_0 src1_sel:DWORD
	s_mov_b64 s[4:5], -1
                                        ; implicit-def: $sgpr26
	s_and_saveexec_b64 s[24:25], s[30:31]
; %bb.342:                              ;   in Loop: Header=BB245_12 Depth=1
	s_mov_b32 s26, 0x7fc02000
	s_xor_b64 s[4:5], exec, -1
; %bb.343:                              ;   in Loop: Header=BB245_12 Depth=1
	s_or_b64 exec, exec, s[24:25]
	s_and_b64 s[4:5], s[4:5], exec
	s_or_saveexec_b64 s[22:23], s[22:23]
	v_mov_b32_e32 v48, s26
	s_xor_b64 exec, exec, s[22:23]
	s_cbranch_execz .LBB245_81
.LBB245_344:                            ;   in Loop: Header=BB245_12 Depth=1
	v_cmp_ne_u16_sdwa s[24:25], v0, v5 src0_sel:BYTE_0 src1_sel:DWORD
	s_andn2_b64 s[4:5], s[4:5], exec
	s_and_b64 s[24:25], s[24:25], exec
	v_mov_b32_e32 v48, 0
	s_or_b64 s[4:5], s[4:5], s[24:25]
	s_or_b64 exec, exec, s[22:23]
	v_and_b32_e32 v4, 0xffff, v0
	s_and_saveexec_b64 s[22:23], s[4:5]
	s_cbranch_execnz .LBB245_82
	s_branch .LBB245_83
.LBB245_345:                            ;   in Loop: Header=BB245_12 Depth=1
	v_cmp_eq_u16_e64 s[4:5], s28, v4
	s_mov_b64 s[22:23], -1
                                        ; implicit-def: $sgpr30
	s_and_saveexec_b64 s[26:27], s[4:5]
; %bb.346:                              ;   in Loop: Header=BB245_12 Depth=1
	s_mov_b32 s30, 0x7fc02000
	s_xor_b64 s[22:23], exec, -1
; %bb.347:                              ;   in Loop: Header=BB245_12 Depth=1
	s_or_b64 exec, exec, s[26:27]
	s_and_b64 s[22:23], s[22:23], exec
	s_or_saveexec_b64 s[24:25], s[24:25]
	v_mov_b32_e32 v49, s30
	s_xor_b64 exec, exec, s[24:25]
	s_cbranch_execz .LBB245_85
.LBB245_348:                            ;   in Loop: Header=BB245_12 Depth=1
	v_cmp_ne_u16_e64 s[4:5], 0, v4
	s_andn2_b64 s[22:23], s[22:23], exec
	s_and_b64 s[4:5], s[4:5], exec
	v_mov_b32_e32 v49, 0
	s_or_b64 s[22:23], s[22:23], s[4:5]
	s_or_b64 exec, exec, s[24:25]
	s_and_saveexec_b64 s[24:25], s[22:23]
	s_cbranch_execnz .LBB245_86
	s_branch .LBB245_87
.LBB245_349:                            ;   in Loop: Header=BB245_12 Depth=1
	v_cmp_eq_u16_sdwa s[30:31], v0, s28 src0_sel:BYTE_0 src1_sel:DWORD
	s_mov_b64 s[4:5], -1
                                        ; implicit-def: $sgpr26
	s_and_saveexec_b64 s[24:25], s[30:31]
; %bb.350:                              ;   in Loop: Header=BB245_12 Depth=1
	s_mov_b32 s26, 0x7fc02000
	s_xor_b64 s[4:5], exec, -1
; %bb.351:                              ;   in Loop: Header=BB245_12 Depth=1
	s_or_b64 exec, exec, s[24:25]
	s_and_b64 s[4:5], s[4:5], exec
	s_or_saveexec_b64 s[22:23], s[22:23]
	v_mov_b32_e32 v11, s26
	s_xor_b64 exec, exec, s[22:23]
	s_cbranch_execz .LBB245_89
.LBB245_352:                            ;   in Loop: Header=BB245_12 Depth=1
	v_cmp_ne_u16_sdwa s[24:25], v0, v5 src0_sel:BYTE_0 src1_sel:DWORD
	s_andn2_b64 s[4:5], s[4:5], exec
	s_and_b64 s[24:25], s[24:25], exec
	v_mov_b32_e32 v11, 0
	s_or_b64 s[4:5], s[4:5], s[24:25]
	s_or_b64 exec, exec, s[22:23]
	v_and_b32_e32 v4, 0xffff, v0
	s_and_saveexec_b64 s[22:23], s[4:5]
	s_cbranch_execnz .LBB245_90
	s_branch .LBB245_91
.LBB245_353:                            ;   in Loop: Header=BB245_12 Depth=1
	v_cmp_eq_u16_e64 s[4:5], s28, v4
	s_mov_b64 s[22:23], -1
                                        ; implicit-def: $sgpr30
	s_and_saveexec_b64 s[26:27], s[4:5]
; %bb.354:                              ;   in Loop: Header=BB245_12 Depth=1
	s_mov_b32 s30, 0x7fc02000
	s_xor_b64 s[22:23], exec, -1
; %bb.355:                              ;   in Loop: Header=BB245_12 Depth=1
	s_or_b64 exec, exec, s[26:27]
	s_and_b64 s[22:23], s[22:23], exec
	s_or_saveexec_b64 s[24:25], s[24:25]
	v_mov_b32_e32 v53, s30
	s_xor_b64 exec, exec, s[24:25]
	s_cbranch_execz .LBB245_93
.LBB245_356:                            ;   in Loop: Header=BB245_12 Depth=1
	v_cmp_ne_u16_e64 s[4:5], 0, v4
	s_andn2_b64 s[22:23], s[22:23], exec
	s_and_b64 s[4:5], s[4:5], exec
	v_mov_b32_e32 v53, 0
	s_or_b64 s[22:23], s[22:23], s[4:5]
	s_or_b64 exec, exec, s[24:25]
	s_and_saveexec_b64 s[24:25], s[22:23]
	s_cbranch_execnz .LBB245_94
	s_branch .LBB245_95
.LBB245_357:                            ;   in Loop: Header=BB245_12 Depth=1
	v_cmp_eq_u16_sdwa s[30:31], v0, s28 src0_sel:BYTE_0 src1_sel:DWORD
	s_mov_b64 s[4:5], -1
                                        ; implicit-def: $sgpr26
	s_and_saveexec_b64 s[24:25], s[30:31]
; %bb.358:                              ;   in Loop: Header=BB245_12 Depth=1
	s_mov_b32 s26, 0x7fc02000
	s_xor_b64 s[4:5], exec, -1
; %bb.359:                              ;   in Loop: Header=BB245_12 Depth=1
	s_or_b64 exec, exec, s[24:25]
	s_and_b64 s[4:5], s[4:5], exec
	s_or_saveexec_b64 s[22:23], s[22:23]
	v_mov_b32_e32 v16, s26
	s_xor_b64 exec, exec, s[22:23]
	s_cbranch_execz .LBB245_97
.LBB245_360:                            ;   in Loop: Header=BB245_12 Depth=1
	v_cmp_ne_u16_sdwa s[24:25], v0, v5 src0_sel:BYTE_0 src1_sel:DWORD
	s_andn2_b64 s[4:5], s[4:5], exec
	s_and_b64 s[24:25], s[24:25], exec
	v_mov_b32_e32 v16, 0
	s_or_b64 s[4:5], s[4:5], s[24:25]
	s_or_b64 exec, exec, s[22:23]
	v_and_b32_e32 v4, 0xffff, v0
	s_and_saveexec_b64 s[22:23], s[4:5]
	s_cbranch_execnz .LBB245_98
	s_branch .LBB245_99
.LBB245_361:                            ;   in Loop: Header=BB245_12 Depth=1
	v_cmp_eq_u16_e64 s[4:5], s28, v4
	s_mov_b64 s[22:23], -1
                                        ; implicit-def: $sgpr30
	s_and_saveexec_b64 s[26:27], s[4:5]
; %bb.362:                              ;   in Loop: Header=BB245_12 Depth=1
	s_mov_b32 s30, 0x7fc02000
	s_xor_b64 s[22:23], exec, -1
; %bb.363:                              ;   in Loop: Header=BB245_12 Depth=1
	s_or_b64 exec, exec, s[26:27]
	s_and_b64 s[22:23], s[22:23], exec
	s_or_saveexec_b64 s[24:25], s[24:25]
	v_mov_b32_e32 v41, s30
	s_xor_b64 exec, exec, s[24:25]
	s_cbranch_execz .LBB245_101
.LBB245_364:                            ;   in Loop: Header=BB245_12 Depth=1
	v_cmp_ne_u16_e64 s[4:5], 0, v4
	s_andn2_b64 s[22:23], s[22:23], exec
	s_and_b64 s[4:5], s[4:5], exec
	v_mov_b32_e32 v41, 0
	s_or_b64 s[22:23], s[22:23], s[4:5]
	s_or_b64 exec, exec, s[24:25]
	s_and_saveexec_b64 s[24:25], s[22:23]
	s_cbranch_execnz .LBB245_102
	s_branch .LBB245_103
.LBB245_365:                            ;   in Loop: Header=BB245_12 Depth=1
	v_cmp_eq_u16_sdwa s[30:31], v0, s28 src0_sel:BYTE_0 src1_sel:DWORD
	s_mov_b64 s[4:5], -1
                                        ; implicit-def: $sgpr26
	s_and_saveexec_b64 s[24:25], s[30:31]
; %bb.366:                              ;   in Loop: Header=BB245_12 Depth=1
	s_mov_b32 s26, 0x7fc02000
	s_xor_b64 s[4:5], exec, -1
; %bb.367:                              ;   in Loop: Header=BB245_12 Depth=1
	s_or_b64 exec, exec, s[24:25]
	s_and_b64 s[4:5], s[4:5], exec
	s_or_saveexec_b64 s[22:23], s[22:23]
	v_mov_b32_e32 v43, s26
	s_xor_b64 exec, exec, s[22:23]
	s_cbranch_execz .LBB245_105
.LBB245_368:                            ;   in Loop: Header=BB245_12 Depth=1
	v_cmp_ne_u16_sdwa s[24:25], v0, v5 src0_sel:BYTE_0 src1_sel:DWORD
	s_andn2_b64 s[4:5], s[4:5], exec
	s_and_b64 s[24:25], s[24:25], exec
	v_mov_b32_e32 v43, 0
	s_or_b64 s[4:5], s[4:5], s[24:25]
	s_or_b64 exec, exec, s[22:23]
	v_and_b32_e32 v4, 0xffff, v0
	s_and_saveexec_b64 s[22:23], s[4:5]
	s_cbranch_execnz .LBB245_106
	s_branch .LBB245_107
.LBB245_369:                            ;   in Loop: Header=BB245_12 Depth=1
	v_cmp_eq_u16_e64 s[4:5], s28, v4
	s_mov_b64 s[22:23], -1
                                        ; implicit-def: $sgpr30
	s_and_saveexec_b64 s[26:27], s[4:5]
; %bb.370:                              ;   in Loop: Header=BB245_12 Depth=1
	s_mov_b32 s30, 0x7fc02000
	s_xor_b64 s[22:23], exec, -1
; %bb.371:                              ;   in Loop: Header=BB245_12 Depth=1
	s_or_b64 exec, exec, s[26:27]
	s_and_b64 s[22:23], s[22:23], exec
	s_or_saveexec_b64 s[24:25], s[24:25]
	v_mov_b32_e32 v44, s30
	s_xor_b64 exec, exec, s[24:25]
	s_cbranch_execz .LBB245_109
.LBB245_372:                            ;   in Loop: Header=BB245_12 Depth=1
	v_cmp_ne_u16_e64 s[4:5], 0, v4
	s_andn2_b64 s[22:23], s[22:23], exec
	s_and_b64 s[4:5], s[4:5], exec
	v_mov_b32_e32 v44, 0
	s_or_b64 s[22:23], s[22:23], s[4:5]
	s_or_b64 exec, exec, s[24:25]
	s_and_saveexec_b64 s[24:25], s[22:23]
	s_cbranch_execnz .LBB245_110
	s_branch .LBB245_111
.LBB245_373:                            ;   in Loop: Header=BB245_12 Depth=1
	v_cmp_eq_u16_sdwa s[30:31], v0, s28 src0_sel:BYTE_0 src1_sel:DWORD
	s_mov_b64 s[4:5], -1
                                        ; implicit-def: $sgpr26
	s_and_saveexec_b64 s[24:25], s[30:31]
; %bb.374:                              ;   in Loop: Header=BB245_12 Depth=1
	s_mov_b32 s26, 0x7fc02000
	s_xor_b64 s[4:5], exec, -1
; %bb.375:                              ;   in Loop: Header=BB245_12 Depth=1
	s_or_b64 exec, exec, s[24:25]
	s_and_b64 s[4:5], s[4:5], exec
	s_or_saveexec_b64 s[22:23], s[22:23]
	v_mov_b32_e32 v46, s26
	s_xor_b64 exec, exec, s[22:23]
	s_cbranch_execz .LBB245_113
.LBB245_376:                            ;   in Loop: Header=BB245_12 Depth=1
	v_cmp_ne_u16_sdwa s[24:25], v0, v5 src0_sel:BYTE_0 src1_sel:DWORD
	s_andn2_b64 s[4:5], s[4:5], exec
	s_and_b64 s[24:25], s[24:25], exec
	v_mov_b32_e32 v46, 0
	s_or_b64 s[4:5], s[4:5], s[24:25]
	s_or_b64 exec, exec, s[22:23]
	v_and_b32_e32 v4, 0xffff, v0
	s_and_saveexec_b64 s[22:23], s[4:5]
	s_cbranch_execnz .LBB245_114
	s_branch .LBB245_115
.LBB245_377:                            ;   in Loop: Header=BB245_12 Depth=1
	v_cmp_eq_u16_e64 s[4:5], s28, v4
	s_mov_b64 s[22:23], -1
                                        ; implicit-def: $sgpr30
	s_and_saveexec_b64 s[26:27], s[4:5]
; %bb.378:                              ;   in Loop: Header=BB245_12 Depth=1
	s_mov_b32 s30, 0x7fc02000
	s_xor_b64 s[22:23], exec, -1
; %bb.379:                              ;   in Loop: Header=BB245_12 Depth=1
	s_or_b64 exec, exec, s[26:27]
	s_and_b64 s[22:23], s[22:23], exec
	s_or_saveexec_b64 s[24:25], s[24:25]
	v_mov_b32_e32 v47, s30
	s_xor_b64 exec, exec, s[24:25]
	s_cbranch_execz .LBB245_117
.LBB245_380:                            ;   in Loop: Header=BB245_12 Depth=1
	v_cmp_ne_u16_e64 s[4:5], 0, v4
	s_andn2_b64 s[22:23], s[22:23], exec
	s_and_b64 s[4:5], s[4:5], exec
	v_mov_b32_e32 v47, 0
	s_or_b64 s[22:23], s[22:23], s[4:5]
	s_or_b64 exec, exec, s[24:25]
	s_and_saveexec_b64 s[24:25], s[22:23]
	s_cbranch_execnz .LBB245_118
	s_branch .LBB245_119
.LBB245_381:                            ;   in Loop: Header=BB245_12 Depth=1
	v_cmp_eq_u16_sdwa s[30:31], v0, s28 src0_sel:BYTE_0 src1_sel:DWORD
	s_mov_b64 s[4:5], -1
                                        ; implicit-def: $sgpr26
	s_and_saveexec_b64 s[24:25], s[30:31]
; %bb.382:                              ;   in Loop: Header=BB245_12 Depth=1
	s_mov_b32 s26, 0x7fc02000
	s_xor_b64 s[4:5], exec, -1
; %bb.383:                              ;   in Loop: Header=BB245_12 Depth=1
	s_or_b64 exec, exec, s[24:25]
	s_and_b64 s[4:5], s[4:5], exec
	s_or_saveexec_b64 s[22:23], s[22:23]
	v_mov_b32_e32 v57, s26
	s_xor_b64 exec, exec, s[22:23]
	s_cbranch_execz .LBB245_121
.LBB245_384:                            ;   in Loop: Header=BB245_12 Depth=1
	v_cmp_ne_u16_sdwa s[24:25], v0, v5 src0_sel:BYTE_0 src1_sel:DWORD
	s_andn2_b64 s[4:5], s[4:5], exec
	s_and_b64 s[24:25], s[24:25], exec
	v_mov_b32_e32 v57, 0
	s_or_b64 s[4:5], s[4:5], s[24:25]
	s_or_b64 exec, exec, s[22:23]
	v_and_b32_e32 v4, 0xffff, v0
	s_and_saveexec_b64 s[22:23], s[4:5]
	s_cbranch_execnz .LBB245_122
	s_branch .LBB245_123
.LBB245_385:                            ;   in Loop: Header=BB245_12 Depth=1
	v_cmp_eq_u16_e64 s[4:5], s28, v4
	s_mov_b64 s[22:23], -1
                                        ; implicit-def: $sgpr30
	s_and_saveexec_b64 s[26:27], s[4:5]
; %bb.386:                              ;   in Loop: Header=BB245_12 Depth=1
	s_mov_b32 s30, 0x7fc02000
	s_xor_b64 s[22:23], exec, -1
; %bb.387:                              ;   in Loop: Header=BB245_12 Depth=1
	s_or_b64 exec, exec, s[26:27]
	s_and_b64 s[22:23], s[22:23], exec
	s_or_saveexec_b64 s[24:25], s[24:25]
	v_mov_b32_e32 v12, s30
	s_xor_b64 exec, exec, s[24:25]
	s_cbranch_execz .LBB245_125
.LBB245_388:                            ;   in Loop: Header=BB245_12 Depth=1
	v_cmp_ne_u16_e64 s[4:5], 0, v4
	s_andn2_b64 s[22:23], s[22:23], exec
	s_and_b64 s[4:5], s[4:5], exec
	v_mov_b32_e32 v12, 0
	s_or_b64 s[22:23], s[22:23], s[4:5]
	s_or_b64 exec, exec, s[24:25]
	s_and_saveexec_b64 s[24:25], s[22:23]
	s_cbranch_execnz .LBB245_126
	s_branch .LBB245_127
.LBB245_389:                            ;   in Loop: Header=BB245_12 Depth=1
	v_cmp_eq_u16_sdwa s[30:31], v0, s28 src0_sel:BYTE_0 src1_sel:DWORD
	s_mov_b64 s[4:5], -1
                                        ; implicit-def: $sgpr26
	s_and_saveexec_b64 s[24:25], s[30:31]
; %bb.390:                              ;   in Loop: Header=BB245_12 Depth=1
	s_mov_b32 s26, 0x7fc02000
	s_xor_b64 s[4:5], exec, -1
; %bb.391:                              ;   in Loop: Header=BB245_12 Depth=1
	s_or_b64 exec, exec, s[24:25]
	s_and_b64 s[4:5], s[4:5], exec
	s_or_saveexec_b64 s[22:23], s[22:23]
	v_mov_b32_e32 v6, s26
	s_xor_b64 exec, exec, s[22:23]
	s_cbranch_execz .LBB245_129
.LBB245_392:                            ;   in Loop: Header=BB245_12 Depth=1
	v_cmp_ne_u16_sdwa s[24:25], v0, v5 src0_sel:BYTE_0 src1_sel:DWORD
	s_andn2_b64 s[4:5], s[4:5], exec
	s_and_b64 s[24:25], s[24:25], exec
	v_mov_b32_e32 v6, 0
	s_or_b64 s[4:5], s[4:5], s[24:25]
	s_or_b64 exec, exec, s[22:23]
	v_and_b32_e32 v4, 0xffff, v0
	s_and_saveexec_b64 s[22:23], s[4:5]
	s_cbranch_execnz .LBB245_130
	s_branch .LBB245_131
.LBB245_393:                            ;   in Loop: Header=BB245_12 Depth=1
	v_cmp_eq_u16_e64 s[4:5], s28, v4
	s_mov_b64 s[22:23], -1
                                        ; implicit-def: $sgpr30
	s_and_saveexec_b64 s[26:27], s[4:5]
; %bb.394:                              ;   in Loop: Header=BB245_12 Depth=1
	s_mov_b32 s30, 0x7fc02000
	s_xor_b64 s[22:23], exec, -1
; %bb.395:                              ;   in Loop: Header=BB245_12 Depth=1
	s_or_b64 exec, exec, s[26:27]
	s_and_b64 s[22:23], s[22:23], exec
	s_or_saveexec_b64 s[24:25], s[24:25]
	v_mov_b32_e32 v9, s30
	s_xor_b64 exec, exec, s[24:25]
	s_cbranch_execz .LBB245_133
.LBB245_396:                            ;   in Loop: Header=BB245_12 Depth=1
	v_cmp_ne_u16_e64 s[4:5], 0, v4
	s_andn2_b64 s[22:23], s[22:23], exec
	s_and_b64 s[4:5], s[4:5], exec
	v_mov_b32_e32 v9, 0
	s_or_b64 s[22:23], s[22:23], s[4:5]
	s_or_b64 exec, exec, s[24:25]
	s_and_saveexec_b64 s[24:25], s[22:23]
	s_cbranch_execnz .LBB245_134
	s_branch .LBB245_135
.LBB245_397:                            ;   in Loop: Header=BB245_12 Depth=1
	v_cmp_eq_u16_sdwa s[30:31], v0, s28 src0_sel:BYTE_0 src1_sel:DWORD
	s_mov_b64 s[4:5], -1
                                        ; implicit-def: $sgpr26
	s_and_saveexec_b64 s[24:25], s[30:31]
; %bb.398:                              ;   in Loop: Header=BB245_12 Depth=1
	s_mov_b32 s26, 0x7fc02000
	s_xor_b64 s[4:5], exec, -1
; %bb.399:                              ;   in Loop: Header=BB245_12 Depth=1
	s_or_b64 exec, exec, s[24:25]
	s_and_b64 s[4:5], s[4:5], exec
	s_or_saveexec_b64 s[22:23], s[22:23]
	v_mov_b32_e32 v7, s26
	s_xor_b64 exec, exec, s[22:23]
	s_cbranch_execz .LBB245_137
.LBB245_400:                            ;   in Loop: Header=BB245_12 Depth=1
	v_cmp_ne_u16_sdwa s[24:25], v0, v5 src0_sel:BYTE_0 src1_sel:DWORD
	s_andn2_b64 s[4:5], s[4:5], exec
	s_and_b64 s[24:25], s[24:25], exec
	v_mov_b32_e32 v7, 0
	s_or_b64 s[4:5], s[4:5], s[24:25]
	s_or_b64 exec, exec, s[22:23]
	v_and_b32_e32 v4, 0xffff, v0
	s_and_saveexec_b64 s[22:23], s[4:5]
	s_cbranch_execnz .LBB245_138
	s_branch .LBB245_139
.LBB245_401:                            ;   in Loop: Header=BB245_12 Depth=1
	v_cmp_eq_u16_e64 s[4:5], s28, v4
	s_mov_b64 s[22:23], -1
                                        ; implicit-def: $sgpr30
	s_and_saveexec_b64 s[26:27], s[4:5]
; %bb.402:                              ;   in Loop: Header=BB245_12 Depth=1
	s_mov_b32 s30, 0x7fc02000
	s_xor_b64 s[22:23], exec, -1
; %bb.403:                              ;   in Loop: Header=BB245_12 Depth=1
	s_or_b64 exec, exec, s[26:27]
	s_and_b64 s[22:23], s[22:23], exec
	s_or_saveexec_b64 s[24:25], s[24:25]
	v_mov_b32_e32 v18, s30
	s_xor_b64 exec, exec, s[24:25]
	s_cbranch_execz .LBB245_141
.LBB245_404:                            ;   in Loop: Header=BB245_12 Depth=1
	v_cmp_ne_u16_e64 s[4:5], 0, v4
	s_andn2_b64 s[22:23], s[22:23], exec
	s_and_b64 s[4:5], s[4:5], exec
	v_mov_b32_e32 v18, 0
	s_or_b64 s[22:23], s[22:23], s[4:5]
	s_or_b64 exec, exec, s[24:25]
	s_and_saveexec_b64 s[24:25], s[22:23]
	s_cbranch_execnz .LBB245_142
	s_branch .LBB245_143
.LBB245_405:                            ;   in Loop: Header=BB245_12 Depth=1
	v_cmp_eq_u16_sdwa s[30:31], v0, s28 src0_sel:BYTE_0 src1_sel:DWORD
	s_mov_b64 s[4:5], -1
                                        ; implicit-def: $sgpr26
	s_and_saveexec_b64 s[24:25], s[30:31]
; %bb.406:                              ;   in Loop: Header=BB245_12 Depth=1
	s_mov_b32 s26, 0x7fc02000
	s_xor_b64 s[4:5], exec, -1
; %bb.407:                              ;   in Loop: Header=BB245_12 Depth=1
	s_or_b64 exec, exec, s[24:25]
	s_and_b64 s[4:5], s[4:5], exec
	s_or_saveexec_b64 s[22:23], s[22:23]
	v_mov_b32_e32 v8, s26
	s_xor_b64 exec, exec, s[22:23]
	s_cbranch_execz .LBB245_145
.LBB245_408:                            ;   in Loop: Header=BB245_12 Depth=1
	v_cmp_ne_u16_sdwa s[24:25], v0, v5 src0_sel:BYTE_0 src1_sel:DWORD
	s_andn2_b64 s[4:5], s[4:5], exec
	s_and_b64 s[24:25], s[24:25], exec
	v_mov_b32_e32 v8, 0
	s_or_b64 s[4:5], s[4:5], s[24:25]
	s_or_b64 exec, exec, s[22:23]
	v_and_b32_e32 v4, 0xffff, v0
	s_and_saveexec_b64 s[22:23], s[4:5]
	s_cbranch_execnz .LBB245_146
	s_branch .LBB245_147
.LBB245_409:                            ;   in Loop: Header=BB245_12 Depth=1
	v_cmp_eq_u16_e64 s[4:5], s28, v4
	s_mov_b64 s[22:23], -1
                                        ; implicit-def: $sgpr30
	s_and_saveexec_b64 s[26:27], s[4:5]
; %bb.410:                              ;   in Loop: Header=BB245_12 Depth=1
	s_mov_b32 s30, 0x7fc02000
	s_xor_b64 s[22:23], exec, -1
; %bb.411:                              ;   in Loop: Header=BB245_12 Depth=1
	s_or_b64 exec, exec, s[26:27]
	s_and_b64 s[22:23], s[22:23], exec
	s_or_saveexec_b64 s[24:25], s[24:25]
	v_mov_b32_e32 v39, s30
	s_xor_b64 exec, exec, s[24:25]
	s_cbranch_execz .LBB245_149
.LBB245_412:                            ;   in Loop: Header=BB245_12 Depth=1
	v_cmp_ne_u16_e64 s[4:5], 0, v4
	s_andn2_b64 s[22:23], s[22:23], exec
	s_and_b64 s[4:5], s[4:5], exec
	v_mov_b32_e32 v39, 0
	s_or_b64 s[22:23], s[22:23], s[4:5]
	s_or_b64 exec, exec, s[24:25]
	s_and_saveexec_b64 s[24:25], s[22:23]
	s_cbranch_execnz .LBB245_150
	s_branch .LBB245_151
.LBB245_413:                            ;   in Loop: Header=BB245_12 Depth=1
	v_cmp_eq_u16_sdwa s[30:31], v0, s28 src0_sel:BYTE_0 src1_sel:DWORD
	s_mov_b64 s[4:5], -1
                                        ; implicit-def: $sgpr26
	s_and_saveexec_b64 s[24:25], s[30:31]
; %bb.414:                              ;   in Loop: Header=BB245_12 Depth=1
	s_mov_b32 s26, 0x7fc02000
	s_xor_b64 s[4:5], exec, -1
; %bb.415:                              ;   in Loop: Header=BB245_12 Depth=1
	s_or_b64 exec, exec, s[24:25]
	s_and_b64 s[4:5], s[4:5], exec
	s_or_saveexec_b64 s[22:23], s[22:23]
	v_mov_b32_e32 v26, s26
	s_xor_b64 exec, exec, s[22:23]
	s_cbranch_execz .LBB245_153
.LBB245_416:                            ;   in Loop: Header=BB245_12 Depth=1
	v_cmp_ne_u16_sdwa s[24:25], v0, v5 src0_sel:BYTE_0 src1_sel:DWORD
	s_andn2_b64 s[4:5], s[4:5], exec
	s_and_b64 s[24:25], s[24:25], exec
	v_mov_b32_e32 v26, 0
	s_or_b64 s[4:5], s[4:5], s[24:25]
	s_or_b64 exec, exec, s[22:23]
	v_and_b32_e32 v4, 0xffff, v0
	s_and_saveexec_b64 s[22:23], s[4:5]
	s_cbranch_execnz .LBB245_154
	s_branch .LBB245_155
.LBB245_417:                            ;   in Loop: Header=BB245_12 Depth=1
	v_cmp_eq_u16_e64 s[4:5], s28, v4
	s_mov_b64 s[22:23], -1
                                        ; implicit-def: $sgpr30
	s_and_saveexec_b64 s[26:27], s[4:5]
; %bb.418:                              ;   in Loop: Header=BB245_12 Depth=1
	s_mov_b32 s30, 0x7fc02000
	s_xor_b64 s[22:23], exec, -1
; %bb.419:                              ;   in Loop: Header=BB245_12 Depth=1
	s_or_b64 exec, exec, s[26:27]
	s_and_b64 s[22:23], s[22:23], exec
	s_or_saveexec_b64 s[24:25], s[24:25]
	v_mov_b32_e32 v0, s30
	s_xor_b64 exec, exec, s[24:25]
	s_cbranch_execz .LBB245_157
.LBB245_420:                            ;   in Loop: Header=BB245_12 Depth=1
	v_cmp_ne_u16_e64 s[4:5], 0, v4
	s_andn2_b64 s[22:23], s[22:23], exec
	s_and_b64 s[4:5], s[4:5], exec
	v_mov_b32_e32 v0, 0
	s_or_b64 s[22:23], s[22:23], s[4:5]
	s_or_b64 exec, exec, s[24:25]
	s_and_saveexec_b64 s[24:25], s[22:23]
	s_cbranch_execnz .LBB245_158
	s_branch .LBB245_159
.LBB245_421:                            ;   in Loop: Header=BB245_12 Depth=1
	v_cmp_eq_u16_sdwa s[30:31], v0, s28 src0_sel:BYTE_0 src1_sel:DWORD
	s_mov_b64 s[4:5], -1
                                        ; implicit-def: $sgpr26
	s_and_saveexec_b64 s[24:25], s[30:31]
; %bb.422:                              ;   in Loop: Header=BB245_12 Depth=1
	s_mov_b32 s26, 0x7fc02000
	s_xor_b64 s[4:5], exec, -1
; %bb.423:                              ;   in Loop: Header=BB245_12 Depth=1
	s_or_b64 exec, exec, s[24:25]
	s_and_b64 s[4:5], s[4:5], exec
	s_or_saveexec_b64 s[22:23], s[22:23]
	v_mov_b32_e32 v30, s26
	s_xor_b64 exec, exec, s[22:23]
	s_cbranch_execz .LBB245_161
.LBB245_424:                            ;   in Loop: Header=BB245_12 Depth=1
	v_cmp_ne_u16_sdwa s[24:25], v0, v5 src0_sel:BYTE_0 src1_sel:DWORD
	s_andn2_b64 s[4:5], s[4:5], exec
	s_and_b64 s[24:25], s[24:25], exec
	v_mov_b32_e32 v30, 0
	s_or_b64 s[4:5], s[4:5], s[24:25]
	s_or_b64 exec, exec, s[22:23]
	v_and_b32_e32 v4, 0xffff, v0
	s_and_saveexec_b64 s[22:23], s[4:5]
	s_cbranch_execnz .LBB245_162
	s_branch .LBB245_163
.LBB245_425:                            ;   in Loop: Header=BB245_12 Depth=1
	v_cmp_eq_u16_e64 s[4:5], s28, v4
	s_mov_b64 s[22:23], -1
                                        ; implicit-def: $sgpr30
	s_and_saveexec_b64 s[26:27], s[4:5]
; %bb.426:                              ;   in Loop: Header=BB245_12 Depth=1
	s_mov_b32 s30, 0x7fc02000
	s_xor_b64 s[22:23], exec, -1
; %bb.427:                              ;   in Loop: Header=BB245_12 Depth=1
	s_or_b64 exec, exec, s[26:27]
	s_and_b64 s[22:23], s[22:23], exec
	s_or_saveexec_b64 s[24:25], s[24:25]
	v_mov_b32_e32 v0, s30
	s_xor_b64 exec, exec, s[24:25]
	s_cbranch_execz .LBB245_165
.LBB245_428:                            ;   in Loop: Header=BB245_12 Depth=1
	v_cmp_ne_u16_e64 s[4:5], 0, v4
	s_andn2_b64 s[22:23], s[22:23], exec
	s_and_b64 s[4:5], s[4:5], exec
	v_mov_b32_e32 v0, 0
	s_or_b64 s[22:23], s[22:23], s[4:5]
	s_or_b64 exec, exec, s[24:25]
	s_and_saveexec_b64 s[24:25], s[22:23]
	s_cbranch_execnz .LBB245_166
	s_branch .LBB245_167
.LBB245_429:                            ;   in Loop: Header=BB245_12 Depth=1
	v_cmp_eq_u16_sdwa s[30:31], v0, s28 src0_sel:BYTE_0 src1_sel:DWORD
	s_mov_b64 s[4:5], -1
                                        ; implicit-def: $sgpr26
	s_and_saveexec_b64 s[24:25], s[30:31]
; %bb.430:                              ;   in Loop: Header=BB245_12 Depth=1
	s_mov_b32 s26, 0x7fc02000
	s_xor_b64 s[4:5], exec, -1
; %bb.431:                              ;   in Loop: Header=BB245_12 Depth=1
	s_or_b64 exec, exec, s[24:25]
	s_and_b64 s[4:5], s[4:5], exec
	s_or_saveexec_b64 s[22:23], s[22:23]
	v_mov_b32_e32 v42, s26
	s_xor_b64 exec, exec, s[22:23]
	s_cbranch_execz .LBB245_169
.LBB245_432:                            ;   in Loop: Header=BB245_12 Depth=1
	v_cmp_ne_u16_sdwa s[24:25], v0, v5 src0_sel:BYTE_0 src1_sel:DWORD
	s_andn2_b64 s[4:5], s[4:5], exec
	s_and_b64 s[24:25], s[24:25], exec
	v_mov_b32_e32 v42, 0
	s_or_b64 s[4:5], s[4:5], s[24:25]
	s_or_b64 exec, exec, s[22:23]
	v_and_b32_e32 v4, 0xffff, v0
	s_and_saveexec_b64 s[22:23], s[4:5]
	s_cbranch_execnz .LBB245_170
	s_branch .LBB245_171
.LBB245_433:                            ;   in Loop: Header=BB245_12 Depth=1
	v_cmp_eq_u16_e64 s[4:5], s28, v4
	s_mov_b64 s[22:23], -1
                                        ; implicit-def: $sgpr30
	s_and_saveexec_b64 s[26:27], s[4:5]
; %bb.434:                              ;   in Loop: Header=BB245_12 Depth=1
	s_mov_b32 s30, 0x7fc02000
	s_xor_b64 s[22:23], exec, -1
; %bb.435:                              ;   in Loop: Header=BB245_12 Depth=1
	s_or_b64 exec, exec, s[26:27]
	s_and_b64 s[22:23], s[22:23], exec
	s_or_saveexec_b64 s[24:25], s[24:25]
	v_mov_b32_e32 v0, s30
	s_xor_b64 exec, exec, s[24:25]
	s_cbranch_execz .LBB245_173
.LBB245_436:                            ;   in Loop: Header=BB245_12 Depth=1
	v_cmp_ne_u16_e64 s[4:5], 0, v4
	s_andn2_b64 s[22:23], s[22:23], exec
	s_and_b64 s[4:5], s[4:5], exec
	v_mov_b32_e32 v0, 0
	s_or_b64 s[22:23], s[22:23], s[4:5]
	s_or_b64 exec, exec, s[24:25]
	s_and_saveexec_b64 s[24:25], s[22:23]
	s_cbranch_execnz .LBB245_174
	s_branch .LBB245_175
.LBB245_437:                            ;   in Loop: Header=BB245_12 Depth=1
	v_cmp_eq_u16_sdwa s[30:31], v0, s28 src0_sel:BYTE_0 src1_sel:DWORD
	s_mov_b64 s[4:5], -1
                                        ; implicit-def: $sgpr26
	s_and_saveexec_b64 s[24:25], s[30:31]
; %bb.438:                              ;   in Loop: Header=BB245_12 Depth=1
	s_mov_b32 s26, 0x7fc02000
	s_xor_b64 s[4:5], exec, -1
; %bb.439:                              ;   in Loop: Header=BB245_12 Depth=1
	s_or_b64 exec, exec, s[24:25]
	s_and_b64 s[4:5], s[4:5], exec
	s_or_saveexec_b64 s[22:23], s[22:23]
	v_mov_b32_e32 v33, s26
	s_xor_b64 exec, exec, s[22:23]
	s_cbranch_execz .LBB245_177
.LBB245_440:                            ;   in Loop: Header=BB245_12 Depth=1
	v_cmp_ne_u16_sdwa s[24:25], v0, v5 src0_sel:BYTE_0 src1_sel:DWORD
	s_andn2_b64 s[4:5], s[4:5], exec
	s_and_b64 s[24:25], s[24:25], exec
	v_mov_b32_e32 v33, 0
	s_or_b64 s[4:5], s[4:5], s[24:25]
	s_or_b64 exec, exec, s[22:23]
	v_and_b32_e32 v4, 0xffff, v0
	s_and_saveexec_b64 s[22:23], s[4:5]
	s_cbranch_execnz .LBB245_178
	s_branch .LBB245_179
.LBB245_441:                            ;   in Loop: Header=BB245_12 Depth=1
	v_cmp_eq_u16_e64 s[4:5], s28, v4
	s_mov_b64 s[22:23], -1
                                        ; implicit-def: $sgpr30
	s_and_saveexec_b64 s[26:27], s[4:5]
; %bb.442:                              ;   in Loop: Header=BB245_12 Depth=1
	s_mov_b32 s30, 0x7fc02000
	s_xor_b64 s[22:23], exec, -1
; %bb.443:                              ;   in Loop: Header=BB245_12 Depth=1
	s_or_b64 exec, exec, s[26:27]
	s_and_b64 s[22:23], s[22:23], exec
	s_or_saveexec_b64 s[24:25], s[24:25]
	v_mov_b32_e32 v0, s30
	s_xor_b64 exec, exec, s[24:25]
	s_cbranch_execz .LBB245_181
.LBB245_444:                            ;   in Loop: Header=BB245_12 Depth=1
	v_cmp_ne_u16_e64 s[4:5], 0, v4
	s_andn2_b64 s[22:23], s[22:23], exec
	s_and_b64 s[4:5], s[4:5], exec
	v_mov_b32_e32 v0, 0
	s_or_b64 s[22:23], s[22:23], s[4:5]
	s_or_b64 exec, exec, s[24:25]
	s_and_saveexec_b64 s[24:25], s[22:23]
	s_cbranch_execnz .LBB245_182
	s_branch .LBB245_183
.LBB245_445:                            ;   in Loop: Header=BB245_12 Depth=1
	v_cmp_eq_u16_sdwa s[30:31], v0, s28 src0_sel:BYTE_0 src1_sel:DWORD
	s_mov_b64 s[4:5], -1
                                        ; implicit-def: $sgpr26
	s_and_saveexec_b64 s[24:25], s[30:31]
; %bb.446:                              ;   in Loop: Header=BB245_12 Depth=1
	s_mov_b32 s26, 0x7fc02000
	s_xor_b64 s[4:5], exec, -1
; %bb.447:                              ;   in Loop: Header=BB245_12 Depth=1
	s_or_b64 exec, exec, s[24:25]
	s_and_b64 s[4:5], s[4:5], exec
	s_or_saveexec_b64 s[22:23], s[22:23]
	v_mov_b32_e32 v52, s26
	s_xor_b64 exec, exec, s[22:23]
	s_cbranch_execz .LBB245_185
.LBB245_448:                            ;   in Loop: Header=BB245_12 Depth=1
	v_cmp_ne_u16_sdwa s[24:25], v0, v5 src0_sel:BYTE_0 src1_sel:DWORD
	s_andn2_b64 s[4:5], s[4:5], exec
	s_and_b64 s[24:25], s[24:25], exec
	v_mov_b32_e32 v52, 0
	s_or_b64 s[4:5], s[4:5], s[24:25]
	s_or_b64 exec, exec, s[22:23]
	v_and_b32_e32 v4, 0xffff, v0
	s_and_saveexec_b64 s[22:23], s[4:5]
	s_cbranch_execnz .LBB245_186
	s_branch .LBB245_187
.LBB245_449:                            ;   in Loop: Header=BB245_12 Depth=1
	v_cmp_eq_u16_e64 s[4:5], s28, v4
	s_mov_b64 s[22:23], -1
                                        ; implicit-def: $sgpr30
	s_and_saveexec_b64 s[26:27], s[4:5]
; %bb.450:                              ;   in Loop: Header=BB245_12 Depth=1
	s_mov_b32 s30, 0x7fc02000
	s_xor_b64 s[22:23], exec, -1
; %bb.451:                              ;   in Loop: Header=BB245_12 Depth=1
	s_or_b64 exec, exec, s[26:27]
	s_and_b64 s[22:23], s[22:23], exec
	s_or_saveexec_b64 s[24:25], s[24:25]
	v_mov_b32_e32 v0, s30
	s_xor_b64 exec, exec, s[24:25]
	s_cbranch_execz .LBB245_189
.LBB245_452:                            ;   in Loop: Header=BB245_12 Depth=1
	v_cmp_ne_u16_e64 s[4:5], 0, v4
	s_andn2_b64 s[22:23], s[22:23], exec
	s_and_b64 s[4:5], s[4:5], exec
	v_mov_b32_e32 v0, 0
	s_or_b64 s[22:23], s[22:23], s[4:5]
	s_or_b64 exec, exec, s[24:25]
	s_and_saveexec_b64 s[24:25], s[22:23]
	s_cbranch_execnz .LBB245_190
	s_branch .LBB245_191
.LBB245_453:                            ;   in Loop: Header=BB245_12 Depth=1
	v_cmp_eq_u16_sdwa s[30:31], v0, s28 src0_sel:BYTE_0 src1_sel:DWORD
	s_mov_b64 s[4:5], -1
                                        ; implicit-def: $sgpr26
	s_and_saveexec_b64 s[24:25], s[30:31]
; %bb.454:                              ;   in Loop: Header=BB245_12 Depth=1
	s_mov_b32 s26, 0x7fc02000
	s_xor_b64 s[4:5], exec, -1
; %bb.455:                              ;   in Loop: Header=BB245_12 Depth=1
	s_or_b64 exec, exec, s[24:25]
	s_and_b64 s[4:5], s[4:5], exec
	s_or_saveexec_b64 s[22:23], s[22:23]
	v_mov_b32_e32 v40, s26
	s_xor_b64 exec, exec, s[22:23]
	s_cbranch_execz .LBB245_193
.LBB245_456:                            ;   in Loop: Header=BB245_12 Depth=1
	v_cmp_ne_u16_sdwa s[24:25], v0, v5 src0_sel:BYTE_0 src1_sel:DWORD
	s_andn2_b64 s[4:5], s[4:5], exec
	s_and_b64 s[24:25], s[24:25], exec
	v_mov_b32_e32 v40, 0
	s_or_b64 s[4:5], s[4:5], s[24:25]
	s_or_b64 exec, exec, s[22:23]
	v_and_b32_e32 v4, 0xffff, v0
	s_and_saveexec_b64 s[22:23], s[4:5]
	s_cbranch_execnz .LBB245_194
	s_branch .LBB245_195
.LBB245_457:                            ;   in Loop: Header=BB245_12 Depth=1
	v_cmp_eq_u16_e64 s[4:5], s28, v4
	s_mov_b64 s[22:23], -1
                                        ; implicit-def: $sgpr30
	s_and_saveexec_b64 s[26:27], s[4:5]
; %bb.458:                              ;   in Loop: Header=BB245_12 Depth=1
	s_mov_b32 s30, 0x7fc02000
	s_xor_b64 s[22:23], exec, -1
; %bb.459:                              ;   in Loop: Header=BB245_12 Depth=1
	s_or_b64 exec, exec, s[26:27]
	s_and_b64 s[22:23], s[22:23], exec
	s_or_saveexec_b64 s[24:25], s[24:25]
	v_mov_b32_e32 v0, s30
	s_xor_b64 exec, exec, s[24:25]
	s_cbranch_execz .LBB245_197
.LBB245_460:                            ;   in Loop: Header=BB245_12 Depth=1
	v_cmp_ne_u16_e64 s[4:5], 0, v4
	s_andn2_b64 s[22:23], s[22:23], exec
	s_and_b64 s[4:5], s[4:5], exec
	v_mov_b32_e32 v0, 0
	s_or_b64 s[22:23], s[22:23], s[4:5]
	s_or_b64 exec, exec, s[24:25]
	s_and_saveexec_b64 s[24:25], s[22:23]
	s_cbranch_execnz .LBB245_198
	s_branch .LBB245_199
.LBB245_461:                            ;   in Loop: Header=BB245_12 Depth=1
	v_cmp_eq_u16_sdwa s[30:31], v0, s28 src0_sel:BYTE_0 src1_sel:DWORD
	s_mov_b64 s[4:5], -1
                                        ; implicit-def: $sgpr26
	s_and_saveexec_b64 s[24:25], s[30:31]
; %bb.462:                              ;   in Loop: Header=BB245_12 Depth=1
	s_mov_b32 s26, 0x7fc02000
	s_xor_b64 s[4:5], exec, -1
; %bb.463:                              ;   in Loop: Header=BB245_12 Depth=1
	s_or_b64 exec, exec, s[24:25]
	s_and_b64 s[4:5], s[4:5], exec
	s_or_saveexec_b64 s[22:23], s[22:23]
	v_mov_b32_e32 v56, s26
	s_xor_b64 exec, exec, s[22:23]
	s_cbranch_execz .LBB245_201
.LBB245_464:                            ;   in Loop: Header=BB245_12 Depth=1
	v_cmp_ne_u16_sdwa s[24:25], v0, v5 src0_sel:BYTE_0 src1_sel:DWORD
	s_andn2_b64 s[4:5], s[4:5], exec
	s_and_b64 s[24:25], s[24:25], exec
	v_mov_b32_e32 v56, 0
	s_or_b64 s[4:5], s[4:5], s[24:25]
	s_or_b64 exec, exec, s[22:23]
	v_and_b32_e32 v4, 0xffff, v0
	s_and_saveexec_b64 s[22:23], s[4:5]
	s_cbranch_execnz .LBB245_202
	s_branch .LBB245_203
.LBB245_465:                            ;   in Loop: Header=BB245_12 Depth=1
	v_cmp_eq_u16_e64 s[4:5], s28, v4
	s_mov_b64 s[22:23], -1
                                        ; implicit-def: $sgpr30
	s_and_saveexec_b64 s[26:27], s[4:5]
; %bb.466:                              ;   in Loop: Header=BB245_12 Depth=1
	s_mov_b32 s30, 0x7fc02000
	s_xor_b64 s[22:23], exec, -1
; %bb.467:                              ;   in Loop: Header=BB245_12 Depth=1
	s_or_b64 exec, exec, s[26:27]
	s_and_b64 s[22:23], s[22:23], exec
	s_or_saveexec_b64 s[24:25], s[24:25]
	v_mov_b32_e32 v0, s30
	s_xor_b64 exec, exec, s[24:25]
	s_cbranch_execz .LBB245_205
.LBB245_468:                            ;   in Loop: Header=BB245_12 Depth=1
	v_cmp_ne_u16_e64 s[4:5], 0, v4
	s_andn2_b64 s[22:23], s[22:23], exec
	s_and_b64 s[4:5], s[4:5], exec
	v_mov_b32_e32 v0, 0
	s_or_b64 s[22:23], s[22:23], s[4:5]
	s_or_b64 exec, exec, s[24:25]
	s_and_saveexec_b64 s[24:25], s[22:23]
	s_cbranch_execnz .LBB245_206
	s_branch .LBB245_207
.LBB245_469:                            ;   in Loop: Header=BB245_12 Depth=1
	v_cmp_eq_u16_sdwa s[30:31], v0, s28 src0_sel:BYTE_0 src1_sel:DWORD
	s_mov_b64 s[4:5], -1
                                        ; implicit-def: $sgpr26
	s_and_saveexec_b64 s[24:25], s[30:31]
; %bb.470:                              ;   in Loop: Header=BB245_12 Depth=1
	s_mov_b32 s26, 0x7fc02000
	s_xor_b64 s[4:5], exec, -1
; %bb.471:                              ;   in Loop: Header=BB245_12 Depth=1
	s_or_b64 exec, exec, s[24:25]
	s_and_b64 s[4:5], s[4:5], exec
	s_or_saveexec_b64 s[22:23], s[22:23]
	v_mov_b32_e32 v58, s26
	s_xor_b64 exec, exec, s[22:23]
	s_cbranch_execz .LBB245_209
.LBB245_472:                            ;   in Loop: Header=BB245_12 Depth=1
	v_cmp_ne_u16_sdwa s[24:25], v0, v5 src0_sel:BYTE_0 src1_sel:DWORD
	s_andn2_b64 s[4:5], s[4:5], exec
	s_and_b64 s[24:25], s[24:25], exec
	v_mov_b32_e32 v58, 0
	s_or_b64 s[4:5], s[4:5], s[24:25]
	s_or_b64 exec, exec, s[22:23]
	v_and_b32_e32 v4, 0xffff, v0
	s_and_saveexec_b64 s[22:23], s[4:5]
	s_cbranch_execnz .LBB245_210
	s_branch .LBB245_211
.LBB245_473:                            ;   in Loop: Header=BB245_12 Depth=1
	v_cmp_eq_u16_e64 s[4:5], s28, v4
	s_mov_b64 s[22:23], -1
                                        ; implicit-def: $sgpr30
	s_and_saveexec_b64 s[26:27], s[4:5]
; %bb.474:                              ;   in Loop: Header=BB245_12 Depth=1
	s_mov_b32 s30, 0x7fc02000
	s_xor_b64 s[22:23], exec, -1
; %bb.475:                              ;   in Loop: Header=BB245_12 Depth=1
	s_or_b64 exec, exec, s[26:27]
	s_and_b64 s[22:23], s[22:23], exec
	s_or_saveexec_b64 s[24:25], s[24:25]
	v_mov_b32_e32 v59, s30
	s_xor_b64 exec, exec, s[24:25]
	s_cbranch_execz .LBB245_213
.LBB245_476:                            ;   in Loop: Header=BB245_12 Depth=1
	v_cmp_ne_u16_e64 s[4:5], 0, v4
	s_andn2_b64 s[22:23], s[22:23], exec
	s_and_b64 s[4:5], s[4:5], exec
	v_mov_b32_e32 v59, 0
	s_or_b64 s[22:23], s[22:23], s[4:5]
	s_or_b64 exec, exec, s[24:25]
	s_and_saveexec_b64 s[24:25], s[22:23]
	s_cbranch_execnz .LBB245_214
	s_branch .LBB245_215
.LBB245_477:                            ;   in Loop: Header=BB245_12 Depth=1
	v_cmp_eq_u16_sdwa s[30:31], v0, s28 src0_sel:BYTE_0 src1_sel:DWORD
	s_mov_b64 s[4:5], -1
                                        ; implicit-def: $sgpr26
	s_and_saveexec_b64 s[24:25], s[30:31]
; %bb.478:                              ;   in Loop: Header=BB245_12 Depth=1
	s_mov_b32 s26, 0x7fc02000
	s_xor_b64 s[4:5], exec, -1
; %bb.479:                              ;   in Loop: Header=BB245_12 Depth=1
	s_or_b64 exec, exec, s[24:25]
	s_and_b64 s[4:5], s[4:5], exec
	s_or_saveexec_b64 s[22:23], s[22:23]
	v_mov_b32_e32 v60, s26
	s_xor_b64 exec, exec, s[22:23]
	s_cbranch_execz .LBB245_217
.LBB245_480:                            ;   in Loop: Header=BB245_12 Depth=1
	v_cmp_ne_u16_sdwa s[24:25], v0, v5 src0_sel:BYTE_0 src1_sel:DWORD
	s_andn2_b64 s[4:5], s[4:5], exec
	s_and_b64 s[24:25], s[24:25], exec
	v_mov_b32_e32 v60, 0
	s_or_b64 s[4:5], s[4:5], s[24:25]
	s_or_b64 exec, exec, s[22:23]
	v_and_b32_e32 v4, 0xffff, v0
	s_and_saveexec_b64 s[22:23], s[4:5]
	s_cbranch_execnz .LBB245_218
	s_branch .LBB245_219
.LBB245_481:                            ;   in Loop: Header=BB245_12 Depth=1
	v_cmp_eq_u16_e64 s[4:5], s28, v4
	s_mov_b64 s[22:23], -1
                                        ; implicit-def: $sgpr30
	s_and_saveexec_b64 s[26:27], s[4:5]
; %bb.482:                              ;   in Loop: Header=BB245_12 Depth=1
	s_mov_b32 s30, 0x7fc02000
	s_xor_b64 s[22:23], exec, -1
; %bb.483:                              ;   in Loop: Header=BB245_12 Depth=1
	s_or_b64 exec, exec, s[26:27]
	s_and_b64 s[22:23], s[22:23], exec
	s_or_saveexec_b64 s[24:25], s[24:25]
	v_mov_b32_e32 v61, s30
	s_xor_b64 exec, exec, s[24:25]
	s_cbranch_execz .LBB245_221
.LBB245_484:                            ;   in Loop: Header=BB245_12 Depth=1
	v_cmp_ne_u16_e64 s[4:5], 0, v4
	s_andn2_b64 s[22:23], s[22:23], exec
	s_and_b64 s[4:5], s[4:5], exec
	v_mov_b32_e32 v61, 0
	s_or_b64 s[22:23], s[22:23], s[4:5]
	s_or_b64 exec, exec, s[24:25]
	s_and_saveexec_b64 s[24:25], s[22:23]
	s_cbranch_execnz .LBB245_222
	s_branch .LBB245_223
.LBB245_485:                            ;   in Loop: Header=BB245_12 Depth=1
	v_cmp_eq_u16_sdwa s[30:31], v0, s28 src0_sel:BYTE_0 src1_sel:DWORD
	s_mov_b64 s[4:5], -1
                                        ; implicit-def: $sgpr26
	s_and_saveexec_b64 s[24:25], s[30:31]
; %bb.486:                              ;   in Loop: Header=BB245_12 Depth=1
	s_mov_b32 s26, 0x7fc02000
	s_xor_b64 s[4:5], exec, -1
; %bb.487:                              ;   in Loop: Header=BB245_12 Depth=1
	s_or_b64 exec, exec, s[24:25]
	s_and_b64 s[4:5], s[4:5], exec
	s_or_saveexec_b64 s[22:23], s[22:23]
	v_mov_b32_e32 v62, s26
	s_xor_b64 exec, exec, s[22:23]
	s_cbranch_execz .LBB245_225
.LBB245_488:                            ;   in Loop: Header=BB245_12 Depth=1
	v_cmp_ne_u16_sdwa s[24:25], v0, v5 src0_sel:BYTE_0 src1_sel:DWORD
	s_andn2_b64 s[4:5], s[4:5], exec
	s_and_b64 s[24:25], s[24:25], exec
	v_mov_b32_e32 v62, 0
	s_or_b64 s[4:5], s[4:5], s[24:25]
	s_or_b64 exec, exec, s[22:23]
	v_and_b32_e32 v4, 0xffff, v0
	s_and_saveexec_b64 s[22:23], s[4:5]
	s_cbranch_execnz .LBB245_226
	s_branch .LBB245_227
.LBB245_489:                            ;   in Loop: Header=BB245_12 Depth=1
	v_cmp_eq_u16_e64 s[4:5], s28, v4
	s_mov_b64 s[22:23], -1
                                        ; implicit-def: $sgpr30
	s_and_saveexec_b64 s[26:27], s[4:5]
; %bb.490:                              ;   in Loop: Header=BB245_12 Depth=1
	s_mov_b32 s30, 0x7fc02000
	s_xor_b64 s[22:23], exec, -1
; %bb.491:                              ;   in Loop: Header=BB245_12 Depth=1
	s_or_b64 exec, exec, s[26:27]
	s_and_b64 s[22:23], s[22:23], exec
	s_or_saveexec_b64 s[24:25], s[24:25]
	v_mov_b32_e32 v27, s30
	s_xor_b64 exec, exec, s[24:25]
	s_cbranch_execz .LBB245_229
.LBB245_492:                            ;   in Loop: Header=BB245_12 Depth=1
	v_cmp_ne_u16_e64 s[4:5], 0, v4
	s_andn2_b64 s[22:23], s[22:23], exec
	s_and_b64 s[4:5], s[4:5], exec
	v_mov_b32_e32 v27, 0
	s_or_b64 s[22:23], s[22:23], s[4:5]
	s_or_b64 exec, exec, s[24:25]
	s_and_saveexec_b64 s[24:25], s[22:23]
	s_cbranch_execnz .LBB245_230
	s_branch .LBB245_231
.LBB245_493:                            ;   in Loop: Header=BB245_12 Depth=1
	v_cmp_eq_u16_sdwa s[30:31], v0, s28 src0_sel:BYTE_0 src1_sel:DWORD
	s_mov_b64 s[4:5], -1
                                        ; implicit-def: $sgpr26
	s_and_saveexec_b64 s[24:25], s[30:31]
; %bb.494:                              ;   in Loop: Header=BB245_12 Depth=1
	s_mov_b32 s26, 0x7fc02000
	s_xor_b64 s[4:5], exec, -1
; %bb.495:                              ;   in Loop: Header=BB245_12 Depth=1
	s_or_b64 exec, exec, s[24:25]
	s_and_b64 s[4:5], s[4:5], exec
	s_or_saveexec_b64 s[22:23], s[22:23]
	v_mov_b32_e32 v3, s26
	s_xor_b64 exec, exec, s[22:23]
	s_cbranch_execz .LBB245_233
.LBB245_496:                            ;   in Loop: Header=BB245_12 Depth=1
	v_cmp_ne_u16_sdwa s[24:25], v0, v5 src0_sel:BYTE_0 src1_sel:DWORD
	s_andn2_b64 s[4:5], s[4:5], exec
	s_and_b64 s[24:25], s[24:25], exec
	v_mov_b32_e32 v3, 0
	s_or_b64 s[4:5], s[4:5], s[24:25]
	s_or_b64 exec, exec, s[22:23]
	v_and_b32_e32 v4, 0xffff, v0
	s_and_saveexec_b64 s[22:23], s[4:5]
	s_cbranch_execnz .LBB245_234
	s_branch .LBB245_235
.LBB245_497:                            ;   in Loop: Header=BB245_12 Depth=1
	v_cmp_eq_u16_e64 s[4:5], s28, v4
	s_mov_b64 s[22:23], -1
                                        ; implicit-def: $sgpr30
	s_and_saveexec_b64 s[26:27], s[4:5]
; %bb.498:                              ;   in Loop: Header=BB245_12 Depth=1
	s_mov_b32 s30, 0x7fc02000
	s_xor_b64 s[22:23], exec, -1
; %bb.499:                              ;   in Loop: Header=BB245_12 Depth=1
	s_or_b64 exec, exec, s[26:27]
	s_and_b64 s[22:23], s[22:23], exec
	s_or_saveexec_b64 s[24:25], s[24:25]
	v_mov_b32_e32 v23, s30
	s_xor_b64 exec, exec, s[24:25]
	s_cbranch_execz .LBB245_237
.LBB245_500:                            ;   in Loop: Header=BB245_12 Depth=1
	v_cmp_ne_u16_e64 s[4:5], 0, v4
	s_andn2_b64 s[22:23], s[22:23], exec
	s_and_b64 s[4:5], s[4:5], exec
	v_mov_b32_e32 v23, 0
	s_or_b64 s[22:23], s[22:23], s[4:5]
	s_or_b64 exec, exec, s[24:25]
	s_and_saveexec_b64 s[24:25], s[22:23]
	s_cbranch_execnz .LBB245_238
	s_branch .LBB245_239
.LBB245_501:                            ;   in Loop: Header=BB245_12 Depth=1
	v_cmp_eq_u16_sdwa s[30:31], v0, s28 src0_sel:BYTE_0 src1_sel:DWORD
	s_mov_b64 s[4:5], -1
                                        ; implicit-def: $sgpr26
	s_and_saveexec_b64 s[24:25], s[30:31]
; %bb.502:                              ;   in Loop: Header=BB245_12 Depth=1
	s_mov_b32 s26, 0x7fc02000
	s_xor_b64 s[4:5], exec, -1
; %bb.503:                              ;   in Loop: Header=BB245_12 Depth=1
	s_or_b64 exec, exec, s[24:25]
	s_and_b64 s[4:5], s[4:5], exec
	s_or_saveexec_b64 s[22:23], s[22:23]
	v_mov_b32_e32 v22, s26
	s_xor_b64 exec, exec, s[22:23]
	s_cbranch_execz .LBB245_241
.LBB245_504:                            ;   in Loop: Header=BB245_12 Depth=1
	v_cmp_ne_u16_sdwa s[24:25], v0, v5 src0_sel:BYTE_0 src1_sel:DWORD
	s_andn2_b64 s[4:5], s[4:5], exec
	s_and_b64 s[24:25], s[24:25], exec
	v_mov_b32_e32 v22, 0
	s_or_b64 s[4:5], s[4:5], s[24:25]
	s_or_b64 exec, exec, s[22:23]
	v_and_b32_e32 v4, 0xffff, v0
	s_and_saveexec_b64 s[22:23], s[4:5]
	s_cbranch_execnz .LBB245_242
	s_branch .LBB245_243
.LBB245_505:                            ;   in Loop: Header=BB245_12 Depth=1
	v_cmp_eq_u16_e64 s[4:5], s28, v4
	s_mov_b64 s[22:23], -1
                                        ; implicit-def: $sgpr30
	s_and_saveexec_b64 s[26:27], s[4:5]
; %bb.506:                              ;   in Loop: Header=BB245_12 Depth=1
	s_mov_b32 s30, 0x7fc02000
	s_xor_b64 s[22:23], exec, -1
; %bb.507:                              ;   in Loop: Header=BB245_12 Depth=1
	s_or_b64 exec, exec, s[26:27]
	s_and_b64 s[22:23], s[22:23], exec
	s_or_saveexec_b64 s[24:25], s[24:25]
	v_mov_b32_e32 v13, s30
	s_xor_b64 exec, exec, s[24:25]
	s_cbranch_execz .LBB245_245
.LBB245_508:                            ;   in Loop: Header=BB245_12 Depth=1
	v_cmp_ne_u16_e64 s[4:5], 0, v4
	s_andn2_b64 s[22:23], s[22:23], exec
	s_and_b64 s[4:5], s[4:5], exec
	v_mov_b32_e32 v13, 0
	s_or_b64 s[22:23], s[22:23], s[4:5]
	s_or_b64 exec, exec, s[24:25]
	s_and_saveexec_b64 s[24:25], s[22:23]
	s_cbranch_execnz .LBB245_246
	s_branch .LBB245_247
.LBB245_509:                            ;   in Loop: Header=BB245_12 Depth=1
	v_cmp_eq_u16_sdwa s[30:31], v1, s28 src0_sel:BYTE_0 src1_sel:DWORD
	s_mov_b64 s[4:5], -1
                                        ; implicit-def: $sgpr26
	s_and_saveexec_b64 s[24:25], s[30:31]
; %bb.510:                              ;   in Loop: Header=BB245_12 Depth=1
	s_mov_b32 s26, 0x7fc02000
	s_xor_b64 s[4:5], exec, -1
; %bb.511:                              ;   in Loop: Header=BB245_12 Depth=1
	s_or_b64 exec, exec, s[24:25]
	s_and_b64 s[4:5], s[4:5], exec
	s_or_saveexec_b64 s[22:23], s[22:23]
	v_mov_b32_e32 v0, s26
	s_xor_b64 exec, exec, s[22:23]
	s_cbranch_execz .LBB245_249
.LBB245_512:                            ;   in Loop: Header=BB245_12 Depth=1
	v_cmp_ne_u16_sdwa s[24:25], v1, v5 src0_sel:BYTE_0 src1_sel:DWORD
	s_andn2_b64 s[4:5], s[4:5], exec
	s_and_b64 s[24:25], s[24:25], exec
	v_mov_b32_e32 v0, 0
	s_or_b64 s[4:5], s[4:5], s[24:25]
	s_or_b64 exec, exec, s[22:23]
	v_and_b32_e32 v4, 0xffff, v1
	s_and_saveexec_b64 s[22:23], s[4:5]
	s_cbranch_execnz .LBB245_250
	s_branch .LBB245_251
.LBB245_513:                            ;   in Loop: Header=BB245_12 Depth=1
	v_cmp_eq_u16_e64 s[4:5], s28, v4
	s_mov_b64 s[22:23], -1
                                        ; implicit-def: $sgpr30
	s_and_saveexec_b64 s[26:27], s[4:5]
; %bb.514:                              ;   in Loop: Header=BB245_12 Depth=1
	s_mov_b32 s30, 0x7fc02000
	s_xor_b64 s[22:23], exec, -1
; %bb.515:                              ;   in Loop: Header=BB245_12 Depth=1
	s_or_b64 exec, exec, s[26:27]
	s_and_b64 s[22:23], s[22:23], exec
	s_or_saveexec_b64 s[24:25], s[24:25]
	v_mov_b32_e32 v1, s30
	s_xor_b64 exec, exec, s[24:25]
	s_cbranch_execz .LBB245_253
.LBB245_516:                            ;   in Loop: Header=BB245_12 Depth=1
	v_cmp_ne_u16_e64 s[4:5], 0, v4
	s_andn2_b64 s[22:23], s[22:23], exec
	s_and_b64 s[4:5], s[4:5], exec
	v_mov_b32_e32 v1, 0
	s_or_b64 s[22:23], s[22:23], s[4:5]
	s_or_b64 exec, exec, s[24:25]
	s_and_saveexec_b64 s[24:25], s[22:23]
	s_cbranch_execnz .LBB245_254
	s_branch .LBB245_255
.LBB245_517:                            ;   in Loop: Header=BB245_12 Depth=1
	v_cmp_eq_u16_sdwa s[30:31], v4, s28 src0_sel:BYTE_0 src1_sel:DWORD
	s_mov_b64 s[4:5], -1
                                        ; implicit-def: $sgpr26
	s_and_saveexec_b64 s[24:25], s[30:31]
; %bb.518:                              ;   in Loop: Header=BB245_12 Depth=1
	s_mov_b32 s26, 0x7fc02000
	s_xor_b64 s[4:5], exec, -1
; %bb.519:                              ;   in Loop: Header=BB245_12 Depth=1
	s_or_b64 exec, exec, s[24:25]
	s_and_b64 s[4:5], s[4:5], exec
	s_or_saveexec_b64 s[22:23], s[22:23]
	v_mov_b32_e32 v37, s26
	s_xor_b64 exec, exec, s[22:23]
	s_cbranch_execz .LBB245_257
.LBB245_520:                            ;   in Loop: Header=BB245_12 Depth=1
	v_cmp_ne_u16_sdwa s[24:25], v4, v5 src0_sel:BYTE_0 src1_sel:DWORD
	s_andn2_b64 s[4:5], s[4:5], exec
	s_and_b64 s[24:25], s[24:25], exec
	v_mov_b32_e32 v37, 0
	s_or_b64 s[4:5], s[4:5], s[24:25]
	s_or_b64 exec, exec, s[22:23]
	v_and_b32_e32 v4, 0xffff, v4
	s_and_saveexec_b64 s[22:23], s[4:5]
	s_cbranch_execnz .LBB245_258
	s_branch .LBB245_259
.LBB245_521:                            ;   in Loop: Header=BB245_12 Depth=1
	v_cmp_eq_u16_e64 s[4:5], s28, v4
	s_mov_b64 s[22:23], -1
                                        ; implicit-def: $sgpr30
	s_and_saveexec_b64 s[26:27], s[4:5]
; %bb.522:                              ;   in Loop: Header=BB245_12 Depth=1
	s_mov_b32 s30, 0x7fc02000
	s_xor_b64 s[22:23], exec, -1
; %bb.523:                              ;   in Loop: Header=BB245_12 Depth=1
	s_or_b64 exec, exec, s[26:27]
	s_and_b64 s[22:23], s[22:23], exec
	s_or_saveexec_b64 s[24:25], s[24:25]
	v_mov_b32_e32 v15, s30
	s_xor_b64 exec, exec, s[24:25]
	s_cbranch_execz .LBB245_261
.LBB245_524:                            ;   in Loop: Header=BB245_12 Depth=1
	v_cmp_ne_u16_e64 s[4:5], 0, v4
	s_andn2_b64 s[22:23], s[22:23], exec
	s_and_b64 s[4:5], s[4:5], exec
	v_mov_b32_e32 v15, 0
	s_or_b64 s[22:23], s[22:23], s[4:5]
	s_or_b64 exec, exec, s[24:25]
	s_and_saveexec_b64 s[24:25], s[22:23]
	s_cbranch_execnz .LBB245_262
	s_branch .LBB245_263
.LBB245_525:                            ;   in Loop: Header=BB245_12 Depth=1
	v_cmp_eq_u16_sdwa s[30:31], v4, s28 src0_sel:BYTE_0 src1_sel:DWORD
	s_mov_b64 s[4:5], -1
                                        ; implicit-def: $sgpr26
	s_and_saveexec_b64 s[24:25], s[30:31]
; %bb.526:                              ;   in Loop: Header=BB245_12 Depth=1
	s_mov_b32 s26, 0x7fc02000
	s_xor_b64 s[4:5], exec, -1
; %bb.527:                              ;   in Loop: Header=BB245_12 Depth=1
	s_or_b64 exec, exec, s[24:25]
	s_and_b64 s[4:5], s[4:5], exec
	s_or_saveexec_b64 s[22:23], s[22:23]
	v_mov_b32_e32 v34, s26
	s_xor_b64 exec, exec, s[22:23]
	s_cbranch_execz .LBB245_265
.LBB245_528:                            ;   in Loop: Header=BB245_12 Depth=1
	v_cmp_ne_u16_sdwa s[24:25], v4, v5 src0_sel:BYTE_0 src1_sel:DWORD
	s_andn2_b64 s[4:5], s[4:5], exec
	s_and_b64 s[24:25], s[24:25], exec
	v_mov_b32_e32 v34, 0
	s_or_b64 s[4:5], s[4:5], s[24:25]
	s_or_b64 exec, exec, s[22:23]
	v_and_b32_e32 v4, 0xffff, v4
	s_and_saveexec_b64 s[22:23], s[4:5]
	s_cbranch_execnz .LBB245_266
	s_branch .LBB245_267
.LBB245_529:
	s_or_b64 exec, exec, s[12:13]
	scratch_load_dword v6, off, s32 offset:168 ; 4-byte Folded Reload
	v_accvgpr_read_b32 v10, a16
	v_accvgpr_read_b32 v23, a19
	;; [unrolled: 1-line block ×13, first 2 shown]
.LBB245_530:
	s_or_b64 exec, exec, s[8:9]
	v_mbcnt_hi_u32_b32 v1, -1, v2
	v_and_b32_e32 v0, 64, v1
	v_add_u32_e32 v2, 64, v0
	v_xor_b32_e32 v0, 32, v1
	v_cmp_lt_i32_e32 vcc, v0, v2
	v_xor_b32_e32 v5, 16, v1
	s_waitcnt vmcnt(0)
	v_max_f32_e32 v4, v6, v6
	v_cndmask_b32_e32 v0, v1, v0, vcc
	v_lshlrev_b32_e32 v3, 2, v0
	ds_bpermute_b32 v0, v3, v6
	v_cmp_lt_i32_e32 vcc, v5, v2
	v_xor_b32_e32 v6, 8, v1
	v_and_b32_e32 v20, 63, v16
	s_waitcnt lgkmcnt(0)
	s_lshr_b32 s21, s21, 16
	v_max_f32_e32 v0, v0, v0
	v_max_f32_e32 v0, v4, v0
	v_cndmask_b32_e32 v4, v1, v5, vcc
	v_lshlrev_b32_e32 v4, 2, v4
	ds_bpermute_b32 v5, v4, v0
	v_cmp_lt_i32_e32 vcc, v6, v2
	s_waitcnt lgkmcnt(0)
	v_max_f32_e32 v5, v5, v5
	v_max_f32_e32 v0, v0, v5
	v_cndmask_b32_e32 v5, v1, v6, vcc
	v_lshlrev_b32_e32 v7, 2, v5
	ds_bpermute_b32 v5, v7, v0
	v_xor_b32_e32 v6, 4, v1
	v_cmp_lt_i32_e32 vcc, v6, v2
	s_waitcnt lgkmcnt(0)
	v_max_f32_e32 v5, v5, v5
	v_max_f32_e32 v0, v0, v5
	v_cndmask_b32_e32 v5, v1, v6, vcc
	v_lshlrev_b32_e32 v8, 2, v5
	ds_bpermute_b32 v6, v8, v0
	v_accvgpr_read_b32 v5, a12
	v_cmp_eq_u32_e32 vcc, 0, v20
	v_lshlrev_b32_e32 v5, 2, v5
	s_and_saveexec_b64 s[2:3], vcc
	s_cbranch_execz .LBB245_532
; %bb.531:
	s_waitcnt lgkmcnt(0)
	v_max_f32_e32 v6, v6, v6
	v_max_f32_e32 v0, v0, v0
	;; [unrolled: 1-line block ×3, first 2 shown]
	ds_write_b32 v5, v0 offset:512
.LBB245_532:
	s_or_b64 exec, exec, s[2:3]
	v_cmp_gt_u32_e64 s[2:3], 2, v20
	v_mov_b32_e32 v0, 0xff7fffff
	s_waitcnt lgkmcnt(0)
	v_lshlrev_b32_e32 v6, 2, v20
	s_barrier
	s_and_saveexec_b64 s[4:5], s[2:3]
	s_cbranch_execz .LBB245_534
; %bb.533:
	ds_read_b32 v0, v6 offset:512
.LBB245_534:
	s_or_b64 exec, exec, s[4:5]
	v_xor_b32_e32 v9, 1, v1
	v_cmp_lt_i32_e64 s[4:5], v9, v2
	v_lshlrev_b32_e32 v12, 2, v1
	v_mov_b32_e32 v17, 0
	v_cndmask_b32_e64 v9, v1, v9, s[4:5]
	v_lshlrev_b32_e32 v51, 2, v9
	s_waitcnt lgkmcnt(0)
	ds_bpermute_b32 v9, v51, v0
	v_max_f32_e32 v0, v0, v0
	s_waitcnt lgkmcnt(0)
	v_max_f32_e32 v9, v9, v9
	v_max_f32_e32 v0, v0, v9
	v_and_b32_e32 v9, 0x100, v12
	ds_bpermute_b32 v15, v9, v0
	v_accvgpr_read_b32 v0, a11
	v_lshlrev_b32_e32 v0, 4, v0
	v_accvgpr_read_b32 v12, a8
	v_min_i32_e32 v0, v0, v12
	v_cmp_lt_i32_e64 s[4:5], v16, v0
	s_and_saveexec_b64 s[8:9], s[4:5]
	s_cbranch_execz .LBB245_538
; %bb.535:
	s_ashr_i32 s19, s18, 31
	s_lshl_b64 s[6:7], s[18:19], 2
	s_getpc_b64 s[10:11]
	s_add_u32 s10, s10, llvm.amdgcn.dynlds.offset.table@rel32@lo+4
	s_addc_u32 s11, s11, llvm.amdgcn.dynlds.offset.table@rel32@hi+12
	s_add_u32 s6, s6, s10
	s_addc_u32 s7, s7, s11
	s_load_dword s6, s[6:7], 0x0
	s_mov_b64 s[10:11], 0
	v_mov_b32_e32 v17, 0
	v_mov_b32_e32 v13, v16
	s_waitcnt lgkmcnt(0)
	v_lshl_add_u32 v12, v16, 2, s6
.LBB245_536:                            ; =>This Inner Loop Header: Depth=1
	ds_read_b32 v14, v12
	v_add_u32_e32 v13, 0x80, v13
	v_cmp_ge_i32_e64 s[6:7], v13, v0
	s_or_b64 s[10:11], s[6:7], s[10:11]
	s_waitcnt lgkmcnt(0)
	v_sub_f32_e32 v14, v14, v15
	v_mul_f32_e32 v14, 0x3fb8aa3b, v14
	v_exp_f32_e32 v14, v14
	ds_write_b32 v12, v14
	v_add_f32_e32 v17, v17, v14
	v_add_u32_e32 v12, 0x200, v12
	s_andn2_b64 exec, exec, s[10:11]
	s_cbranch_execnz .LBB245_536
; %bb.537:
	s_or_b64 exec, exec, s[10:11]
.LBB245_538:
	s_or_b64 exec, exec, s[8:9]
	ds_bpermute_b32 v3, v3, v17
	s_waitcnt lgkmcnt(0)
	v_add_f32_e32 v3, v17, v3
	ds_bpermute_b32 v4, v4, v3
	s_waitcnt lgkmcnt(0)
	v_add_f32_e32 v3, v3, v4
	ds_bpermute_b32 v4, v7, v3
	v_xor_b32_e32 v7, 2, v1
	v_cmp_lt_i32_e64 s[6:7], v7, v2
	s_waitcnt lgkmcnt(0)
	v_add_f32_e32 v3, v3, v4
	ds_bpermute_b32 v4, v8, v3
	v_cndmask_b32_e64 v1, v1, v7, s[6:7]
	v_lshlrev_b32_e32 v1, 2, v1
	s_waitcnt lgkmcnt(0)
	v_add_f32_e32 v2, v3, v4
	ds_bpermute_b32 v1, v1, v2
	s_waitcnt lgkmcnt(0)
	v_add_f32_e32 v1, v2, v1
	ds_bpermute_b32 v2, v51, v1
	s_waitcnt lgkmcnt(0)
	v_add_f32_e32 v1, v1, v2
	s_and_saveexec_b64 s[6:7], vcc
	s_cbranch_execz .LBB245_540
; %bb.539:
	ds_write_b32 v5, v1 offset:520
.LBB245_540:
	s_or_b64 exec, exec, s[6:7]
	s_waitcnt lgkmcnt(0)
	s_barrier
	s_and_saveexec_b64 s[6:7], s[2:3]
	s_cbranch_execz .LBB245_542
; %bb.541:
	ds_read_b32 v1, v6 offset:520
.LBB245_542:
	s_or_b64 exec, exec, s[6:7]
	s_waitcnt lgkmcnt(0)
	ds_bpermute_b32 v2, v51, v1
	s_waitcnt lgkmcnt(0)
	v_add_f32_e32 v1, v1, v2
	ds_bpermute_b32 v1, v9, v1
	s_and_saveexec_b64 s[2:3], s[4:5]
	s_cbranch_execz .LBB245_555
; %bb.543:
	s_waitcnt lgkmcnt(0)
	v_add_f32_e32 v1, 0x358637bd, v1
	v_div_scale_f32 v2, s[4:5], v1, v1, 1.0
	v_rcp_f32_e32 v3, v2
	v_div_scale_f32 v4, vcc, 1.0, v1, 1.0
	s_movk_i32 s4, 0x7f
	v_fma_f32 v5, -v2, v3, 1.0
	v_fmac_f32_e32 v3, v5, v3
	v_mul_f32_e32 v5, v4, v3
	v_fma_f32 v6, -v2, v5, v4
	v_fmac_f32_e32 v5, v6, v3
	v_fma_f32 v2, -v2, v5, v4
	v_div_fmas_f32 v2, v2, v3, v5
	v_div_fixup_f32 v4, v2, v1, 1.0
	v_xad_u32 v2, v16, -1, v0
	v_cmp_lt_u32_e32 vcc, s4, v2
	s_mov_b64 s[6:7], -1
	v_mov_b32_e32 v1, v16
	s_and_saveexec_b64 s[4:5], vcc
	s_cbranch_execz .LBB245_552
; %bb.544:
	v_lshrrev_b32_e32 v1, 7, v2
	v_add_u32_e32 v3, -1, v1
	v_lshrrev_b32_e32 v2, 1, v3
	v_mov_b32_e32 v5, v4
	v_add_u32_e32 v2, 1, v2
	v_cmp_lt_u32_e32 vcc, 13, v3
	v_mov_b32_e32 v7, 0
	s_and_saveexec_b64 s[6:7], vcc
	s_cbranch_execz .LBB245_548
; %bb.545:
	s_ashr_i32 s19, s18, 31
	s_lshl_b64 s[8:9], s[18:19], 2
	s_getpc_b64 s[10:11]
	s_add_u32 s10, s10, llvm.amdgcn.dynlds.offset.table@rel32@lo+4
	s_addc_u32 s11, s11, llvm.amdgcn.dynlds.offset.table@rel32@hi+12
	s_add_u32 s8, s8, s10
	s_addc_u32 s9, s9, s11
	s_load_dword s8, s[8:9], 0x0
	v_and_b32_e32 v3, -8, v2
	s_mov_b32 s10, 0
	s_waitcnt lgkmcnt(0)
	v_lshl_add_u32 v6, v16, 2, s8
	s_mov_b64 s[8:9], 0
.LBB245_546:                            ; =>This Inner Loop Header: Depth=1
	ds_read2st64_b32 v[8:9], v6 offset1:2
	ds_read2st64_b32 v[18:19], v6 offset0:4 offset1:6
	ds_read2st64_b32 v[12:13], v6 offset0:8 offset1:10
	;; [unrolled: 1-line block ×3, first 2 shown]
	v_add_u32_e32 v3, -8, v3
	s_waitcnt lgkmcnt(3)
	v_pk_mul_f32 v[8:9], v[4:5], v[8:9]
	s_waitcnt lgkmcnt(2)
	v_pk_mul_f32 v[18:19], v[4:5], v[18:19]
	ds_write2st64_b32 v6, v8, v9 offset1:2
	ds_write2st64_b32 v6, v18, v19 offset0:4 offset1:6
	s_waitcnt lgkmcnt(3)
	v_pk_mul_f32 v[8:9], v[4:5], v[12:13]
	ds_read2st64_b32 v[12:13], v6 offset0:16 offset1:18
	ds_write2st64_b32 v6, v8, v9 offset0:8 offset1:10
	s_waitcnt lgkmcnt(4)
	v_pk_mul_f32 v[8:9], v[4:5], v[14:15]
	ds_write2st64_b32 v6, v8, v9 offset0:12 offset1:14
	ds_read2st64_b32 v[8:9], v6 offset0:20 offset1:22
	s_waitcnt lgkmcnt(3)
	v_pk_mul_f32 v[14:15], v[4:5], v[12:13]
	ds_read2st64_b32 v[12:13], v6 offset0:24 offset1:26
	ds_write2st64_b32 v6, v14, v15 offset0:16 offset1:18
	ds_read2st64_b32 v[14:15], v6 offset0:28 offset1:30
	s_waitcnt lgkmcnt(3)
	v_pk_mul_f32 v[8:9], v[4:5], v[8:9]
	ds_write2st64_b32 v6, v8, v9 offset0:20 offset1:22
	s_waitcnt lgkmcnt(3)
	v_pk_mul_f32 v[8:9], v[4:5], v[12:13]
	ds_write2st64_b32 v6, v8, v9 offset0:24 offset1:26
	s_waitcnt lgkmcnt(2)
	v_pk_mul_f32 v[8:9], v[4:5], v[14:15]
	s_add_i32 s10, s10, 16
	v_cmp_eq_u32_e32 vcc, 0, v3
	ds_write2st64_b32 v6, v8, v9 offset0:28 offset1:30
	v_add_u32_e32 v6, 0x2000, v6
	s_or_b64 s[8:9], vcc, s[8:9]
	v_mov_b32_e32 v7, s10
	s_andn2_b64 exec, exec, s[8:9]
	s_cbranch_execnz .LBB245_546
; %bb.547:
	s_or_b64 exec, exec, s[8:9]
.LBB245_548:
	s_or_b64 exec, exec, s[6:7]
	v_and_b32_e32 v2, 7, v2
	v_cmp_ne_u32_e32 vcc, 0, v2
	s_and_saveexec_b64 s[6:7], vcc
	s_cbranch_execz .LBB245_551
; %bb.549:
	s_ashr_i32 s19, s18, 31
	s_lshl_b64 s[8:9], s[18:19], 2
	s_getpc_b64 s[10:11]
	s_add_u32 s10, s10, llvm.amdgcn.dynlds.offset.table@rel32@lo+4
	s_addc_u32 s11, s11, llvm.amdgcn.dynlds.offset.table@rel32@hi+12
	s_add_u32 s8, s8, s10
	s_addc_u32 s9, s9, s11
	s_load_dword s8, s[8:9], 0x0
	v_lshlrev_b32_e32 v3, 9, v7
	v_lshlrev_b32_e32 v6, 2, v16
	s_waitcnt lgkmcnt(0)
	v_add3_u32 v3, v3, v6, s8
	s_mov_b64 s[8:9], 0
.LBB245_550:                            ; =>This Inner Loop Header: Depth=1
	ds_read2st64_b32 v[6:7], v3 offset1:2
	v_add_u32_e32 v2, -1, v2
	v_cmp_eq_u32_e32 vcc, 0, v2
	s_or_b64 s[8:9], vcc, s[8:9]
	s_waitcnt lgkmcnt(0)
	v_pk_mul_f32 v[6:7], v[4:5], v[6:7]
	ds_write2st64_b32 v3, v6, v7 offset1:2
	v_add_u32_e32 v3, 0x400, v3
	s_andn2_b64 exec, exec, s[8:9]
	s_cbranch_execnz .LBB245_550
.LBB245_551:
	s_or_b64 exec, exec, s[6:7]
	v_add_u32_e32 v2, 1, v1
	v_and_b32_e32 v3, 0x3fffffe, v2
	v_cmp_ne_u32_e32 vcc, v2, v3
	v_lshl_add_u32 v1, v3, 7, v16
	s_orn2_b64 s[6:7], vcc, exec
.LBB245_552:
	s_or_b64 exec, exec, s[4:5]
	s_and_b64 exec, exec, s[6:7]
	s_cbranch_execz .LBB245_555
; %bb.553:
	s_ashr_i32 s19, s18, 31
	s_lshl_b64 s[4:5], s[18:19], 2
	s_getpc_b64 s[6:7]
	s_add_u32 s6, s6, llvm.amdgcn.dynlds.offset.table@rel32@lo+4
	s_addc_u32 s7, s7, llvm.amdgcn.dynlds.offset.table@rel32@hi+12
	s_add_u32 s4, s4, s6
	s_addc_u32 s5, s5, s7
	s_load_dword s4, s[4:5], 0x0
	s_waitcnt lgkmcnt(0)
	v_lshl_add_u32 v2, v1, 2, s4
	s_mov_b64 s[4:5], 0
.LBB245_554:                            ; =>This Inner Loop Header: Depth=1
	ds_read_b32 v3, v2
	v_add_u32_e32 v1, 0x80, v1
	v_cmp_ge_i32_e32 vcc, v1, v0
	s_or_b64 s[4:5], vcc, s[4:5]
	s_waitcnt lgkmcnt(0)
	v_mul_f32_e32 v3, v4, v3
	ds_write_b32 v2, v3
	v_add_u32_e32 v2, 0x200, v2
	s_andn2_b64 exec, exec, s[4:5]
	s_cbranch_execnz .LBB245_554
.LBB245_555:
	s_or_b64 exec, exec, s[2:3]
	s_mov_b32 s4, 0
	v_mov_b32_e32 v35, 0
	v_and_b32_e32 v12, 1, v16
	v_mov_b32_e32 v34, 0
	v_mov_b32_e32 v33, 0
	;; [unrolled: 1-line block ×7, first 2 shown]
	s_waitcnt lgkmcnt(0)
	s_barrier
	s_and_saveexec_b64 s[2:3], s[0:1]
	s_cbranch_execz .LBB245_1089
; %bb.556:
	v_max_i32_e32 v53, v26, v27
	v_cvt_f32_u32_e32 v2, v53
	s_ashr_i32 s19, s18, 31
	v_lshlrev_b32_e32 v4, 3, v16
	s_lshl_b64 s[0:1], s[18:19], 2
	v_rcp_iflag_f32_e32 v2, v2
	v_lshl_add_u64 v[0:1], v[22:23], 0, v[24:25]
	v_mov_b32_e32 v5, 0
	v_and_b32_e32 v54, 8, v4
	v_mul_f32_e32 v2, 0x4f7ffffe, v2
	v_cvt_u32_f32_e32 v2, v2
	v_and_b32_e32 v4, 0x1f8, v4
	v_sub_u32_e32 v6, 0, v53
	s_getpc_b64 s[6:7]
	s_add_u32 s6, s6, llvm.amdgcn.dynlds.offset.table@rel32@lo+4
	s_addc_u32 s7, s7, llvm.amdgcn.dynlds.offset.table@rel32@hi+12
	v_mul_lo_u32 v6, v6, v2
	s_add_u32 s12, s0, s6
	v_lshl_add_u64 v[8:9], v[0:1], 0, v[4:5]
	v_lshlrev_b32_e32 v0, 5, v12
	v_accvgpr_read_b32 v1, a12
	v_and_b32_e32 v4, 60, v21
	s_mov_b32 s10, s4
	s_mov_b32 s11, s4
	v_accvgpr_read_b32 v3, a11
	v_mul_hi_u32 v6, v2, v6
	s_addc_u32 s13, s1, s7
	v_lshl_or_b32 v55, v1, 6, v0
	v_lshl_add_u64 v[0:1], v[36:37], 2, v[4:5]
	s_mov_b32 s5, s4
	s_mov_b32 s6, s4
	;; [unrolled: 1-line block ×5, first 2 shown]
	v_mov_b64_e32 v[34:35], s[10:11]
	v_accvgpr_write_b32 a2, v20
	v_mov_b32_e32 v48, v16
	v_add_u32_e32 v7, -1, v3
	v_accvgpr_read_b32 v3, a8
	v_add_u32_e32 v6, v2, v6
	v_accvgpr_write_b32 a15, v12
	v_lshl_add_u64 v[10:11], v[10:11], 0, v[0:1]
	s_mov_b64 s[22:23], 0
	v_mov_b64_e32 v[32:33], s[8:9]
	v_mov_b64_e32 v[30:31], s[6:7]
	;; [unrolled: 1-line block ×3, first 2 shown]
	s_movk_i32 s19, 0x7f
	s_movk_i32 s24, 0x80
	s_mov_b32 s25, 0x8000
	s_movk_i32 s26, 0x380
	s_mov_b32 s27, 0x3020706
	s_mov_b32 s28, 0x1000504
	;; [unrolled: 1-line block ×3, first 2 shown]
	v_mov_b32_e32 v40, 0x1c00
	v_accvgpr_read_b32 v2, a14
	s_branch .LBB245_559
.LBB245_557:                            ;   in Loop: Header=BB245_559 Depth=1
	s_or_b64 exec, exec, s[0:1]
	v_add_f32_e32 v0, v1, v0
	v_add_f32_e32 v30, v30, v0
	;; [unrolled: 1-line block ×10, first 2 shown]
	;;#ASMSTART
	v_pk_mul_f16 v0, v60, v21;

	;;#ASMEND
	;;#ASMSTART
	v_pk_mul_f16 v1, v59, v4;

	;;#ASMEND
	;; [unrolled: 4-line block ×4, first 2 shown]
	v_add_f32_e32 v16, v61, v62
	;;#ASMSTART
	v_pk_add_f16 v0, v0, v1;

	;;#ASMEND
	v_add_f32_e32 v28, v28, v16
	;;#ASMSTART
	v_pk_add_f16 v0, v0, v2;

	;;#ASMEND
	;; [unrolled: 5-line block ×3, first 2 shown]
	v_add_f32_e32 v29, v29, v16
	v_lshrrev_b32_e32 v1, 16, v0
	v_and_b32_e32 v0, 0xffff, v0
	;;#ASMSTART
	v_cvt_f32_f16 v0, v0;
	;;#ASMEND
	;;#ASMSTART
	v_cvt_f32_f16 v1, v1;
	;;#ASMEND
	s_nop 0
	v_add_f32_e32 v0, v0, v1
	v_add_f32_e32 v35, v35, v0
.LBB245_558:                            ;   in Loop: Header=BB245_559 Depth=1
	s_or_b64 exec, exec, s[4:5]
	v_accvgpr_read_b32 v1, a12
	v_add_u32_e32 v1, 2, v1
	v_accvgpr_read_b32 v0, a11
	v_mov_b32_e32 v2, v49
	v_cmp_ge_i32_e32 vcc, v1, v0
	v_add_u32_e32 v2, 32, v2
	v_add_u32_e32 v55, 0x80, v55
	v_accvgpr_write_b32 a12, v1
	s_or_b64 s[22:23], vcc, s[22:23]
	v_lshl_add_u64 v[10:11], v[10:11], 0, 8
	s_andn2_b64 exec, exec, s[22:23]
	s_cbranch_execz .LBB245_1088
.LBB245_559:                            ; =>This Inner Loop Header: Depth=1
	v_accvgpr_read_b32 v0, a7
	v_mul_hi_u32 v0, v2, v0
	v_accvgpr_read_b32 v4, a3
	v_mul_lo_u32 v1, v0, v4
	v_sub_u32_e32 v1, v2, v1
	v_mov_b32_e32 v49, v2
	v_add_u32_e32 v2, 1, v0
	v_cmp_ge_u32_e32 vcc, v1, v4
	s_nop 1
	v_cndmask_b32_e32 v0, v0, v2, vcc
	v_sub_u32_e32 v2, v1, v4
	v_cndmask_b32_e32 v1, v1, v2, vcc
	v_add_u32_e32 v2, 1, v0
	v_cmp_ge_u32_e32 vcc, v1, v4
	v_accvgpr_read_b32 v1, a9
	s_nop 0
	v_cndmask_b32_e32 v0, v0, v2, vcc
	v_xor_b32_e32 v0, v0, v1
	v_sub_u32_e32 v0, v0, v1
	v_accvgpr_read_b32 v2, a10
	v_add_u32_e32 v1, v0, v2
	v_sub_u32_e32 v4, 0, v1
	v_ashrrev_i32_e32 v2, 31, v1
	v_max_i32_e32 v1, v1, v4
	v_mul_hi_u32 v4, v1, v6
	v_mul_lo_u32 v4, v4, v53
	v_sub_u32_e32 v1, v1, v4
	v_sub_u32_e32 v4, v1, v53
	v_cmp_ge_u32_e32 vcc, v1, v53
	s_nop 1
	v_cndmask_b32_e32 v1, v1, v4, vcc
	v_sub_u32_e32 v4, v1, v53
	v_cmp_ge_u32_e32 vcc, v1, v53
	s_nop 1
	v_cndmask_b32_e32 v1, v1, v4, vcc
	v_xor_b32_e32 v1, v1, v2
	v_sub_u32_e32 v1, v1, v2
	v_cmp_eq_u32_e32 vcc, 0, v1
	v_accvgpr_read_b32 v1, a13
	v_cmp_gt_i32_e64 s[0:1], v0, v1
	s_or_b64 s[0:1], vcc, s[0:1]
	s_and_saveexec_b64 s[4:5], s[0:1]
	s_cbranch_execz .LBB245_558
; %bb.560:                              ;   in Loop: Header=BB245_559 Depth=1
	s_load_dword s0, s[12:13], 0x0
                                        ; implicit-def: $sgpr10
	s_waitcnt lgkmcnt(0)
	v_add_u32_e32 v0, s0, v55
	ds_read2_b64 v[12:15], v0 offset1:1
	ds_read2_b64 v[20:23], v0 offset0:2 offset1:3
	s_waitcnt lgkmcnt(1)
	;;#ASMSTART
	v_cvt_f16_f32 v0, v12;

	;;#ASMEND
	;;#ASMSTART
	v_cvt_f16_f32 v1, v13;

	;;#ASMEND
	;; [unrolled: 4-line block ×4, first 2 shown]
	s_waitcnt lgkmcnt(0)
	;;#ASMSTART
	v_cvt_f16_f32 v13, v20;

	;;#ASMEND
	;;#ASMSTART
	v_cvt_f16_f32 v17, v21;

	;;#ASMEND
	;; [unrolled: 4-line block ×4, first 2 shown]
	flat_load_dword v4, v[10:11]
	v_accvgpr_read_b32 v14, a6
	v_accvgpr_read_b32 v23, a5
	;; [unrolled: 1-line block ×3, first 2 shown]
	flat_load_dword v20, v[22:23]
	s_waitcnt vmcnt(0) lgkmcnt(0)
	v_mad_i64_i32 v[14:15], s[0:1], v4, v14, v[8:9]
	flat_load_dwordx2 v[24:25], v[14:15]
	s_mov_b64 s[0:1], 0
	s_waitcnt vmcnt(0) lgkmcnt(0)
	v_cmp_gt_i16_sdwa s[6:7], v24, s19 src0_sel:BYTE_0 src1_sel:DWORD
	s_and_saveexec_b64 s[8:9], s[6:7]
	s_xor_b64 s[6:7], exec, s[8:9]
	s_cbranch_execnz .LBB245_832
; %bb.561:                              ;   in Loop: Header=BB245_559 Depth=1
	s_or_saveexec_b64 s[6:7], s[6:7]
	v_mov_b32_e32 v26, s10
	s_xor_b64 exec, exec, s[6:7]
	s_cbranch_execnz .LBB245_835
.LBB245_562:                            ;   in Loop: Header=BB245_559 Depth=1
	s_or_b64 exec, exec, s[6:7]
	s_and_saveexec_b64 s[6:7], s[0:1]
	s_cbranch_execz .LBB245_564
.LBB245_563:                            ;   in Loop: Header=BB245_559 Depth=1
	v_and_b32_e32 v4, 7, v24
	v_ffbh_u32_e32 v4, v4
	v_bfe_u32 v16, v24, 3, 4
	v_min_u32_e32 v4, 32, v4
	v_subrev_u32_e32 v19, 28, v4
	v_sub_u32_e32 v4, 29, v4
	v_cmp_eq_u32_e32 vcc, 0, v16
	s_nop 1
	v_cndmask_b32_e32 v4, v16, v4, vcc
	v_cndmask_b32_e32 v16, 0, v19, vcc
	v_lshlrev_b64 v[22:23], v16, v[24:25]
	v_lshlrev_b32_e32 v19, 8, v24
	v_lshl_add_u32 v4, v4, 10, v40
	v_lshlrev_b32_e32 v16, 7, v22
	v_and_or_b32 v4, v19, s25, v4
	v_and_or_b32 v4, v16, s26, v4
	v_cvt_f32_f16_e32 v26, v4
.LBB245_564:                            ;   in Loop: Header=BB245_559 Depth=1
	s_or_b64 exec, exec, s[6:7]
	v_lshrrev_b16_e32 v4, 8, v24
	v_cmp_lt_i16_e32 vcc, s19, v4
	s_mov_b64 s[0:1], 0
                                        ; implicit-def: $sgpr10
	s_and_saveexec_b64 s[6:7], vcc
	s_xor_b64 s[6:7], exec, s[6:7]
	s_cbranch_execnz .LBB245_836
; %bb.565:                              ;   in Loop: Header=BB245_559 Depth=1
	s_or_saveexec_b64 s[6:7], s[6:7]
	v_mov_b32_e32 v36, s10
	s_xor_b64 exec, exec, s[6:7]
	s_cbranch_execnz .LBB245_839
.LBB245_566:                            ;   in Loop: Header=BB245_559 Depth=1
	s_or_b64 exec, exec, s[6:7]
	s_and_saveexec_b64 s[6:7], s[0:1]
	s_cbranch_execz .LBB245_568
.LBB245_567:                            ;   in Loop: Header=BB245_559 Depth=1
	v_and_b32_e32 v16, 7, v4
	v_ffbh_u32_e32 v22, v16
	v_min_u32_e32 v27, 32, v22
	v_subrev_u32_e32 v22, 28, v27
	v_bfe_u32 v19, v4, 3, 4
	v_lshlrev_b64 v[22:23], v22, v[4:5]
	v_sub_u32_e32 v23, 29, v27
	v_cmp_eq_u32_e32 vcc, 0, v19
	v_and_b32_e32 v22, 7, v22
	v_lshlrev_b32_e32 v4, 8, v4
	v_cndmask_b32_e32 v19, v19, v23, vcc
	v_lshl_add_u32 v19, v19, 10, v40
	v_cndmask_b32_e32 v16, v16, v22, vcc
	v_and_or_b32 v4, v4, s25, v19
	v_lshl_or_b32 v4, v16, 7, v4
	v_cvt_f32_f16_e32 v36, v4
.LBB245_568:                            ;   in Loop: Header=BB245_559 Depth=1
	s_or_b64 exec, exec, s[6:7]
	v_lshrrev_b32_e32 v4, 16, v24
	v_cmp_gt_i16_sdwa s[6:7], v4, s19 src0_sel:BYTE_0 src1_sel:DWORD
	s_mov_b64 s[0:1], 0
                                        ; implicit-def: $sgpr10
	s_and_saveexec_b64 s[8:9], s[6:7]
	s_xor_b64 s[6:7], exec, s[8:9]
	s_cbranch_execnz .LBB245_840
; %bb.569:                              ;   in Loop: Header=BB245_559 Depth=1
	s_or_saveexec_b64 s[6:7], s[6:7]
	v_mov_b32_e32 v27, s10
	s_xor_b64 exec, exec, s[6:7]
	s_cbranch_execnz .LBB245_843
.LBB245_570:                            ;   in Loop: Header=BB245_559 Depth=1
	s_or_b64 exec, exec, s[6:7]
	s_and_saveexec_b64 s[6:7], s[0:1]
	s_cbranch_execz .LBB245_572
.LBB245_571:                            ;   in Loop: Header=BB245_559 Depth=1
	v_bfe_u32 v16, v24, 16, 3
	v_ffbh_u32_e32 v22, v16
	v_min_u32_e32 v27, 32, v22
	v_subrev_u32_e32 v22, 28, v27
	v_bfe_u32 v19, v24, 19, 4
	v_lshlrev_b64 v[22:23], v22, v[4:5]
	v_sub_u32_e32 v23, 29, v27
	v_cmp_eq_u32_e32 vcc, 0, v19
	v_and_b32_e32 v22, 7, v22
	v_lshlrev_b32_e32 v4, 8, v4
	v_cndmask_b32_e32 v19, v19, v23, vcc
	v_lshl_add_u32 v19, v19, 10, v40
	v_cndmask_b32_e32 v16, v16, v22, vcc
	v_and_or_b32 v4, v4, s25, v19
	v_lshl_or_b32 v4, v16, 7, v4
	v_cvt_f32_f16_e32 v27, v4
.LBB245_572:                            ;   in Loop: Header=BB245_559 Depth=1
	s_or_b64 exec, exec, s[6:7]
	v_lshrrev_b32_e32 v4, 24, v24
	v_cmp_lt_i16_e32 vcc, s19, v4
	s_mov_b64 s[0:1], 0
                                        ; implicit-def: $sgpr10
	s_and_saveexec_b64 s[6:7], vcc
	s_xor_b64 s[6:7], exec, s[6:7]
	s_cbranch_execnz .LBB245_844
; %bb.573:                              ;   in Loop: Header=BB245_559 Depth=1
	s_or_saveexec_b64 s[6:7], s[6:7]
	v_mov_b32_e32 v37, s10
	s_xor_b64 exec, exec, s[6:7]
	s_cbranch_execnz .LBB245_847
.LBB245_574:                            ;   in Loop: Header=BB245_559 Depth=1
	s_or_b64 exec, exec, s[6:7]
	s_and_saveexec_b64 s[6:7], s[0:1]
	s_cbranch_execz .LBB245_576
.LBB245_575:                            ;   in Loop: Header=BB245_559 Depth=1
	v_bfe_u32 v16, v24, 24, 3
	v_ffbh_u32_e32 v22, v16
	v_bfe_u32 v19, v24, 27, 4
	v_min_u32_e32 v24, 32, v22
	v_subrev_u32_e32 v22, 28, v24
	v_lshlrev_b64 v[22:23], v22, v[4:5]
	v_sub_u32_e32 v23, 29, v24
	v_cmp_eq_u32_e32 vcc, 0, v19
	v_and_b32_e32 v22, 7, v22
	v_lshlrev_b32_e32 v4, 8, v4
	v_cndmask_b32_e32 v19, v19, v23, vcc
	v_lshl_add_u32 v19, v19, 10, v40
	v_cndmask_b32_e32 v16, v16, v22, vcc
	v_and_or_b32 v4, v4, s25, v19
	v_lshl_or_b32 v4, v16, 7, v4
	v_cvt_f32_f16_e32 v37, v4
.LBB245_576:                            ;   in Loop: Header=BB245_559 Depth=1
	s_or_b64 exec, exec, s[6:7]
	v_cmp_gt_i16_sdwa s[6:7], v25, s19 src0_sel:BYTE_0 src1_sel:DWORD
	s_mov_b64 s[0:1], 0
                                        ; implicit-def: $sgpr10
	s_and_saveexec_b64 s[8:9], s[6:7]
	s_xor_b64 s[6:7], exec, s[8:9]
	s_cbranch_execnz .LBB245_848
; %bb.577:                              ;   in Loop: Header=BB245_559 Depth=1
	s_or_saveexec_b64 s[6:7], s[6:7]
	v_mov_b32_e32 v22, s10
	s_xor_b64 exec, exec, s[6:7]
	s_cbranch_execnz .LBB245_851
.LBB245_578:                            ;   in Loop: Header=BB245_559 Depth=1
	s_or_b64 exec, exec, s[6:7]
	v_mov_b32_e32 v4, v25
	s_and_saveexec_b64 s[6:7], s[0:1]
	s_cbranch_execz .LBB245_580
.LBB245_579:                            ;   in Loop: Header=BB245_559 Depth=1
	v_and_b32_e32 v16, 7, v25
	v_ffbh_u32_e32 v16, v16
	v_bfe_u32 v19, v25, 3, 4
	v_min_u32_e32 v16, 32, v16
	v_subrev_u32_e32 v22, 28, v16
	v_sub_u32_e32 v16, 29, v16
	v_cmp_eq_u32_e32 vcc, 0, v19
	s_nop 1
	v_cndmask_b32_e32 v16, v19, v16, vcc
	v_cndmask_b32_e32 v19, 0, v22, vcc
	v_lshlrev_b64 v[22:23], v19, v[4:5]
	v_lshlrev_b32_e32 v19, 7, v22
	v_lshlrev_b32_e32 v22, 8, v25
	v_lshl_add_u32 v16, v16, 10, v40
	v_and_or_b32 v16, v22, s25, v16
	v_and_or_b32 v16, v19, s26, v16
	v_cvt_f32_f16_e32 v22, v16
.LBB245_580:                            ;   in Loop: Header=BB245_559 Depth=1
	s_or_b64 exec, exec, s[6:7]
	v_lshrrev_b16_e32 v4, 8, v4
	v_cmp_lt_i16_e32 vcc, s19, v4
	s_mov_b64 s[0:1], 0
                                        ; implicit-def: $sgpr10
	s_and_saveexec_b64 s[6:7], vcc
	s_xor_b64 s[6:7], exec, s[6:7]
	s_cbranch_execnz .LBB245_852
; %bb.581:                              ;   in Loop: Header=BB245_559 Depth=1
	s_or_saveexec_b64 s[6:7], s[6:7]
	v_mov_b32_e32 v23, s10
	s_xor_b64 exec, exec, s[6:7]
	s_cbranch_execnz .LBB245_855
.LBB245_582:                            ;   in Loop: Header=BB245_559 Depth=1
	s_or_b64 exec, exec, s[6:7]
	s_and_saveexec_b64 s[6:7], s[0:1]
	s_cbranch_execz .LBB245_584
.LBB245_583:                            ;   in Loop: Header=BB245_559 Depth=1
	v_and_b32_e32 v16, 7, v4
	v_ffbh_u32_e32 v23, v16
	v_bfe_u32 v19, v4, 3, 4
	v_min_u32_e32 v23, 32, v23
	v_subrev_u32_e32 v24, 28, v23
	v_sub_u32_e32 v23, 29, v23
	v_cmp_eq_u32_e32 vcc, 0, v19
	v_lshlrev_b64 v[38:39], v24, v[4:5]
	v_and_b32_e32 v24, 7, v38
	v_cndmask_b32_e32 v19, v19, v23, vcc
	v_lshlrev_b32_e32 v4, 8, v4
	v_lshl_add_u32 v19, v19, 10, v40
	v_cndmask_b32_e32 v16, v16, v24, vcc
	v_and_or_b32 v4, v4, s25, v19
	v_lshl_or_b32 v4, v16, 7, v4
	v_cvt_f32_f16_e32 v23, v4
.LBB245_584:                            ;   in Loop: Header=BB245_559 Depth=1
	s_or_b64 exec, exec, s[6:7]
	v_lshrrev_b32_e32 v4, 16, v25
	v_cmp_gt_i16_sdwa s[6:7], v4, s19 src0_sel:BYTE_0 src1_sel:DWORD
	s_mov_b64 s[0:1], 0
                                        ; implicit-def: $sgpr10
	s_and_saveexec_b64 s[8:9], s[6:7]
	s_xor_b64 s[6:7], exec, s[8:9]
	s_cbranch_execnz .LBB245_856
; %bb.585:                              ;   in Loop: Header=BB245_559 Depth=1
	s_or_saveexec_b64 s[6:7], s[6:7]
	v_mov_b32_e32 v24, s10
	s_xor_b64 exec, exec, s[6:7]
	s_cbranch_execnz .LBB245_859
.LBB245_586:                            ;   in Loop: Header=BB245_559 Depth=1
	s_or_b64 exec, exec, s[6:7]
	s_and_saveexec_b64 s[6:7], s[0:1]
	s_cbranch_execz .LBB245_588
.LBB245_587:                            ;   in Loop: Header=BB245_559 Depth=1
	v_bfe_u32 v16, v25, 16, 3
	v_ffbh_u32_e32 v24, v16
	v_bfe_u32 v19, v25, 19, 4
	v_min_u32_e32 v24, 32, v24
	v_subrev_u32_e32 v38, 28, v24
	v_sub_u32_e32 v24, 29, v24
	v_cmp_eq_u32_e32 vcc, 0, v19
	v_lshlrev_b64 v[38:39], v38, v[4:5]
	v_and_b32_e32 v38, 7, v38
	v_cndmask_b32_e32 v19, v19, v24, vcc
	v_lshlrev_b32_e32 v4, 8, v4
	v_lshl_add_u32 v19, v19, 10, v40
	v_cndmask_b32_e32 v16, v16, v38, vcc
	v_and_or_b32 v4, v4, s25, v19
	v_lshl_or_b32 v4, v16, 7, v4
	v_cvt_f32_f16_e32 v24, v4
.LBB245_588:                            ;   in Loop: Header=BB245_559 Depth=1
	s_or_b64 exec, exec, s[6:7]
	v_lshrrev_b32_e32 v4, 24, v25
	v_cmp_lt_i16_e32 vcc, s19, v4
	s_mov_b64 s[0:1], 0
                                        ; implicit-def: $sgpr10
	s_and_saveexec_b64 s[6:7], vcc
	s_xor_b64 s[6:7], exec, s[6:7]
	s_cbranch_execnz .LBB245_860
; %bb.589:                              ;   in Loop: Header=BB245_559 Depth=1
	s_or_saveexec_b64 s[6:7], s[6:7]
	v_mov_b32_e32 v38, s10
	s_xor_b64 exec, exec, s[6:7]
	s_cbranch_execnz .LBB245_863
.LBB245_590:                            ;   in Loop: Header=BB245_559 Depth=1
	s_or_b64 exec, exec, s[6:7]
	s_and_saveexec_b64 s[6:7], s[0:1]
	s_cbranch_execz .LBB245_592
.LBB245_591:                            ;   in Loop: Header=BB245_559 Depth=1
	v_bfe_u32 v16, v25, 24, 3
	v_bfe_u32 v19, v25, 27, 4
	v_ffbh_u32_e32 v25, v16
	v_min_u32_e32 v25, 32, v25
	v_subrev_u32_e32 v38, 28, v25
	v_sub_u32_e32 v25, 29, v25
	v_cmp_eq_u32_e32 vcc, 0, v19
	v_lshlrev_b64 v[38:39], v38, v[4:5]
	v_and_b32_e32 v38, 7, v38
	v_cndmask_b32_e32 v19, v19, v25, vcc
	v_lshlrev_b32_e32 v4, 8, v4
	v_lshl_add_u32 v19, v19, 10, v40
	v_cndmask_b32_e32 v16, v16, v38, vcc
	v_and_or_b32 v4, v4, s25, v19
	v_lshl_or_b32 v4, v16, 7, v4
	v_cvt_f32_f16_e32 v38, v4
.LBB245_592:                            ;   in Loop: Header=BB245_559 Depth=1
	s_or_b64 exec, exec, s[6:7]
	v_pk_mul_f32 v[36:37], v[20:21], v[36:37] op_sel_hi:[0,1]
	v_pk_mul_f32 v[26:27], v[20:21], v[26:27] op_sel_hi:[0,1]
	v_cvt_f16_f32_e32 v4, v37
	v_cvt_f16_f32_e32 v16, v36
	;; [unrolled: 1-line block ×4, first 2 shown]
	v_mov_b32_e32 v26, v49
	v_pack_b32_f16 v16, v16, v4
	v_add_u32_e32 v43, v54, v26
	v_pack_b32_f16 v19, v25, v19
	v_perm_b32 v4, v19, v16, s27
	v_perm_b32 v25, v19, v16, s28
	v_fma_mixlo_f16 v16, v20, v23, 0
	v_lshlrev_b32_e32 v16, 16, v16
	v_fma_mixlo_f16 v19, v20, v22, 0
	v_or_b32_sdwa v22, v16, v19 dst_sel:DWORD dst_unused:UNUSED_PAD src0_sel:DWORD src1_sel:WORD_0
	v_fma_mixlo_f16 v16, v20, v38, 0
	v_accvgpr_read_b32 v26, a12
	v_fma_mixlo_f16 v23, v20, v24, 0
	v_lshlrev_b32_e32 v16, 16, v16
	v_cmp_eq_u32_e32 vcc, v7, v26
	v_or_b32_sdwa v20, v16, v23 dst_sel:DWORD dst_unused:UNUSED_PAD src0_sel:DWORD src1_sel:WORD_0
	v_add_u32_e32 v56, 1, v43
	v_or_b32_e32 v47, 3, v43
	v_or_b32_e32 v46, 2, v43
	;; [unrolled: 1-line block ×6, first 2 shown]
	s_and_saveexec_b64 s[6:7], vcc
	s_cbranch_execz .LBB245_594
; %bb.593:                              ;   in Loop: Header=BB245_559 Depth=1
	v_lshrrev_b32_e32 v16, 16, v25
	v_cmp_lt_i32_e64 s[0:1], v56, v3
	v_accvgpr_read_b32 v24, a8
	s_nop 0
	v_cndmask_b32_e64 v16, 0, v16, s[0:1]
	v_cmp_lt_i32_e64 s[0:1], v43, v24
	s_nop 1
	v_cndmask_b32_e64 v19, 0, v25, s[0:1]
	v_perm_b32 v25, v16, v19, s29
	v_lshrrev_b32_e32 v16, 16, v4
	v_cmp_lt_i32_e64 s[0:1], v47, v3
	s_nop 1
	v_cndmask_b32_e64 v16, 0, v16, s[0:1]
	v_cmp_lt_i32_e64 s[0:1], v46, v24
	s_nop 1
	v_cndmask_b32_e64 v4, 0, v4, s[0:1]
	v_perm_b32 v4, v16, v4, s29
	v_lshrrev_b32_e32 v16, 16, v22
	v_cmp_lt_i32_e64 s[0:1], v45, v3
	;; [unrolled: 8-line block ×3, first 2 shown]
	s_nop 1
	v_cndmask_b32_e64 v16, 0, v16, s[0:1]
	v_cmp_lt_i32_e64 s[0:1], v41, v24
	s_nop 1
	v_cndmask_b32_e64 v19, 0, v23, s[0:1]
	v_perm_b32 v20, v16, v19, s29
.LBB245_594:                            ;   in Loop: Header=BB245_559 Depth=1
	s_or_b64 exec, exec, s[6:7]
	v_and_b32_e32 v0, 0xffff, v0
	v_lshl_or_b32 v60, v1, 16, v0
	v_and_b32_e32 v0, 0xffff, v2
	v_lshl_or_b32 v59, v12, 16, v0
	;; [unrolled: 2-line block ×4, first 2 shown]
	;;#ASMSTART
	v_pk_mul_f16 v0, v60, v25;

	;;#ASMEND
	;;#ASMSTART
	v_pk_mul_f16 v1, v59, v4;

	;;#ASMEND
	;; [unrolled: 4-line block ×4, first 2 shown]
	s_mov_b64 s[0:1], 0
	;;#ASMSTART
	v_pk_add_f16 v0, v0, v1;

	;;#ASMEND
                                        ; implicit-def: $sgpr10
	s_nop 0
	;;#ASMSTART
	v_pk_add_f16 v0, v0, v2;

	;;#ASMEND
	s_nop 0
	;;#ASMSTART
	v_pk_add_f16 v0, v0, v4;

	;;#ASMEND
	s_nop 0
	v_lshrrev_b32_e32 v1, 16, v0
	v_and_b32_e32 v0, 0xffff, v0
	;;#ASMSTART
	v_cvt_f32_f16 v61, v0;
	;;#ASMEND
	;;#ASMSTART
	v_cvt_f32_f16 v62, v1;
	;;#ASMEND
	v_accvgpr_read_b32 v0, a4
	flat_load_dwordx2 v[24:25], v[14:15] offset:512
	v_accvgpr_read_b32 v1, a5
	flat_load_dword v20, v[0:1]
	s_waitcnt vmcnt(0) lgkmcnt(0)
	v_cmp_gt_i16_sdwa s[6:7], v24, s19 src0_sel:BYTE_0 src1_sel:DWORD
	s_and_saveexec_b64 s[8:9], s[6:7]
	s_xor_b64 s[6:7], exec, s[8:9]
	s_cbranch_execnz .LBB245_864
; %bb.595:                              ;   in Loop: Header=BB245_559 Depth=1
	s_or_saveexec_b64 s[6:7], s[6:7]
	v_mov_b32_e32 v26, s10
	s_xor_b64 exec, exec, s[6:7]
	s_cbranch_execnz .LBB245_867
.LBB245_596:                            ;   in Loop: Header=BB245_559 Depth=1
	s_or_b64 exec, exec, s[6:7]
	s_and_saveexec_b64 s[6:7], s[0:1]
	s_cbranch_execz .LBB245_598
.LBB245_597:                            ;   in Loop: Header=BB245_559 Depth=1
	v_and_b32_e32 v0, 7, v24
	v_ffbh_u32_e32 v0, v0
	v_bfe_u32 v1, v24, 3, 4
	v_min_u32_e32 v0, 32, v0
	v_subrev_u32_e32 v2, 28, v0
	v_sub_u32_e32 v0, 29, v0
	v_cmp_eq_u32_e64 s[0:1], 0, v1
	s_nop 1
	v_cndmask_b32_e64 v4, v1, v0, s[0:1]
	v_cndmask_b32_e64 v0, 0, v2, s[0:1]
	v_lshlrev_b64 v[0:1], v0, v[24:25]
	v_lshlrev_b32_e32 v1, 8, v24
	v_lshl_add_u32 v2, v4, 10, v40
	v_lshlrev_b32_e32 v0, 7, v0
	v_and_or_b32 v1, v1, s25, v2
	v_and_or_b32 v0, v0, s26, v1
	v_cvt_f32_f16_e32 v26, v0
.LBB245_598:                            ;   in Loop: Header=BB245_559 Depth=1
	s_or_b64 exec, exec, s[6:7]
	v_lshrrev_b16_e32 v4, 8, v24
	v_cmp_lt_i16_e64 s[0:1], s19, v4
	s_mov_b64 s[6:7], 0
                                        ; implicit-def: $sgpr30
	s_and_saveexec_b64 s[8:9], s[0:1]
	s_xor_b64 s[8:9], exec, s[8:9]
	s_cbranch_execnz .LBB245_868
; %bb.599:                              ;   in Loop: Header=BB245_559 Depth=1
	s_or_saveexec_b64 s[8:9], s[8:9]
	v_mov_b32_e32 v36, s30
	s_xor_b64 exec, exec, s[8:9]
	s_cbranch_execnz .LBB245_871
.LBB245_600:                            ;   in Loop: Header=BB245_559 Depth=1
	s_or_b64 exec, exec, s[8:9]
	s_and_saveexec_b64 s[8:9], s[6:7]
	s_cbranch_execz .LBB245_602
.LBB245_601:                            ;   in Loop: Header=BB245_559 Depth=1
	v_and_b32_e32 v2, 7, v4
	v_ffbh_u32_e32 v0, v2
	v_min_u32_e32 v13, 32, v0
	v_subrev_u32_e32 v0, 28, v13
	v_bfe_u32 v12, v4, 3, 4
	v_lshlrev_b64 v[0:1], v0, v[4:5]
	v_sub_u32_e32 v1, 29, v13
	v_cmp_eq_u32_e64 s[0:1], 0, v12
	v_and_b32_e32 v0, 7, v0
	s_nop 0
	v_cndmask_b32_e64 v1, v12, v1, s[0:1]
	v_cndmask_b32_e64 v0, v2, v0, s[0:1]
	v_lshlrev_b32_e32 v2, 8, v4
	v_lshl_add_u32 v1, v1, 10, v40
	v_and_or_b32 v1, v2, s25, v1
	v_lshl_or_b32 v0, v0, 7, v1
	v_cvt_f32_f16_e32 v36, v0
.LBB245_602:                            ;   in Loop: Header=BB245_559 Depth=1
	s_or_b64 exec, exec, s[8:9]
	v_lshrrev_b32_e32 v4, 16, v24
	v_cmp_gt_i16_sdwa s[6:7], v4, s19 src0_sel:BYTE_0 src1_sel:DWORD
	s_mov_b64 s[0:1], 0
                                        ; implicit-def: $sgpr10
	s_and_saveexec_b64 s[8:9], s[6:7]
	s_xor_b64 s[6:7], exec, s[8:9]
	s_cbranch_execnz .LBB245_872
; %bb.603:                              ;   in Loop: Header=BB245_559 Depth=1
	s_or_saveexec_b64 s[6:7], s[6:7]
	v_mov_b32_e32 v27, s10
	s_xor_b64 exec, exec, s[6:7]
	s_cbranch_execnz .LBB245_875
.LBB245_604:                            ;   in Loop: Header=BB245_559 Depth=1
	s_or_b64 exec, exec, s[6:7]
	s_and_saveexec_b64 s[6:7], s[0:1]
	s_cbranch_execz .LBB245_606
.LBB245_605:                            ;   in Loop: Header=BB245_559 Depth=1
	v_bfe_u32 v2, v24, 16, 3
	v_ffbh_u32_e32 v0, v2
	v_min_u32_e32 v13, 32, v0
	v_subrev_u32_e32 v0, 28, v13
	v_bfe_u32 v12, v24, 19, 4
	v_lshlrev_b64 v[0:1], v0, v[4:5]
	v_sub_u32_e32 v1, 29, v13
	v_cmp_eq_u32_e64 s[0:1], 0, v12
	v_and_b32_e32 v0, 7, v0
	s_nop 0
	v_cndmask_b32_e64 v1, v12, v1, s[0:1]
	v_cndmask_b32_e64 v0, v2, v0, s[0:1]
	v_lshlrev_b32_e32 v2, 8, v4
	v_lshl_add_u32 v1, v1, 10, v40
	v_and_or_b32 v1, v2, s25, v1
	v_lshl_or_b32 v0, v0, 7, v1
	v_cvt_f32_f16_e32 v27, v0
.LBB245_606:                            ;   in Loop: Header=BB245_559 Depth=1
	s_or_b64 exec, exec, s[6:7]
	v_lshrrev_b32_e32 v4, 24, v24
	v_cmp_lt_i16_e64 s[0:1], s19, v4
	s_mov_b64 s[6:7], 0
                                        ; implicit-def: $sgpr30
	s_and_saveexec_b64 s[8:9], s[0:1]
	s_xor_b64 s[8:9], exec, s[8:9]
	s_cbranch_execnz .LBB245_876
; %bb.607:                              ;   in Loop: Header=BB245_559 Depth=1
	s_or_saveexec_b64 s[8:9], s[8:9]
	v_mov_b32_e32 v37, s30
	s_xor_b64 exec, exec, s[8:9]
	s_cbranch_execnz .LBB245_879
.LBB245_608:                            ;   in Loop: Header=BB245_559 Depth=1
	s_or_b64 exec, exec, s[8:9]
	s_and_saveexec_b64 s[8:9], s[6:7]
	s_cbranch_execz .LBB245_610
.LBB245_609:                            ;   in Loop: Header=BB245_559 Depth=1
	v_bfe_u32 v2, v24, 24, 3
	v_ffbh_u32_e32 v0, v2
	v_min_u32_e32 v13, 32, v0
	v_subrev_u32_e32 v0, 28, v13
	v_bfe_u32 v12, v24, 27, 4
	v_lshlrev_b64 v[0:1], v0, v[4:5]
	v_sub_u32_e32 v1, 29, v13
	v_cmp_eq_u32_e64 s[0:1], 0, v12
	v_and_b32_e32 v0, 7, v0
	s_nop 0
	v_cndmask_b32_e64 v1, v12, v1, s[0:1]
	v_cndmask_b32_e64 v0, v2, v0, s[0:1]
	v_lshlrev_b32_e32 v2, 8, v4
	v_lshl_add_u32 v1, v1, 10, v40
	v_and_or_b32 v1, v2, s25, v1
	v_lshl_or_b32 v0, v0, 7, v1
	v_cvt_f32_f16_e32 v37, v0
.LBB245_610:                            ;   in Loop: Header=BB245_559 Depth=1
	s_or_b64 exec, exec, s[8:9]
	v_cmp_gt_i16_sdwa s[6:7], v25, s19 src0_sel:BYTE_0 src1_sel:DWORD
	s_mov_b64 s[0:1], 0
                                        ; implicit-def: $sgpr10
	s_and_saveexec_b64 s[8:9], s[6:7]
	s_xor_b64 s[6:7], exec, s[8:9]
	s_cbranch_execnz .LBB245_880
; %bb.611:                              ;   in Loop: Header=BB245_559 Depth=1
	s_or_saveexec_b64 s[6:7], s[6:7]
	v_mov_b32_e32 v0, s10
	s_xor_b64 exec, exec, s[6:7]
	s_cbranch_execnz .LBB245_883
.LBB245_612:                            ;   in Loop: Header=BB245_559 Depth=1
	s_or_b64 exec, exec, s[6:7]
	v_mov_b32_e32 v4, v25
	s_and_saveexec_b64 s[6:7], s[0:1]
	s_cbranch_execz .LBB245_614
.LBB245_613:                            ;   in Loop: Header=BB245_559 Depth=1
	v_and_b32_e32 v0, 7, v25
	v_ffbh_u32_e32 v0, v0
	v_bfe_u32 v1, v25, 3, 4
	v_min_u32_e32 v0, 32, v0
	v_subrev_u32_e32 v2, 28, v0
	v_sub_u32_e32 v0, 29, v0
	v_cmp_eq_u32_e64 s[0:1], 0, v1
	s_nop 1
	v_cndmask_b32_e64 v12, v1, v0, s[0:1]
	v_cndmask_b32_e64 v0, 0, v2, s[0:1]
	v_lshlrev_b64 v[0:1], v0, v[4:5]
	v_lshlrev_b32_e32 v1, 8, v25
	v_lshl_add_u32 v2, v12, 10, v40
	v_lshlrev_b32_e32 v0, 7, v0
	v_and_or_b32 v1, v1, s25, v2
	v_and_or_b32 v0, v0, s26, v1
	v_cvt_f32_f16_e32 v0, v0
.LBB245_614:                            ;   in Loop: Header=BB245_559 Depth=1
	s_or_b64 exec, exec, s[6:7]
	v_lshrrev_b16_e32 v4, 8, v4
	v_cmp_lt_i16_e64 s[0:1], s19, v4
	s_mov_b64 s[6:7], 0
                                        ; implicit-def: $sgpr30
	s_and_saveexec_b64 s[8:9], s[0:1]
	s_xor_b64 s[8:9], exec, s[8:9]
	s_cbranch_execnz .LBB245_884
; %bb.615:                              ;   in Loop: Header=BB245_559 Depth=1
	s_or_saveexec_b64 s[8:9], s[8:9]
	v_mov_b32_e32 v1, s30
	s_xor_b64 exec, exec, s[8:9]
	s_cbranch_execnz .LBB245_887
.LBB245_616:                            ;   in Loop: Header=BB245_559 Depth=1
	s_or_b64 exec, exec, s[8:9]
	s_and_saveexec_b64 s[8:9], s[6:7]
	s_cbranch_execz .LBB245_618
.LBB245_617:                            ;   in Loop: Header=BB245_559 Depth=1
	v_and_b32_e32 v1, 7, v4
	v_ffbh_u32_e32 v12, v1
	v_min_u32_e32 v16, 32, v12
	v_subrev_u32_e32 v12, 28, v16
	v_bfe_u32 v2, v4, 3, 4
	v_lshlrev_b64 v[12:13], v12, v[4:5]
	v_sub_u32_e32 v13, 29, v16
	v_cmp_eq_u32_e64 s[0:1], 0, v2
	v_and_b32_e32 v12, 7, v12
	v_lshlrev_b32_e32 v4, 8, v4
	v_cndmask_b32_e64 v2, v2, v13, s[0:1]
	v_lshl_add_u32 v2, v2, 10, v40
	v_cndmask_b32_e64 v1, v1, v12, s[0:1]
	v_and_or_b32 v2, v4, s25, v2
	v_lshl_or_b32 v1, v1, 7, v2
	v_cvt_f32_f16_e32 v1, v1
.LBB245_618:                            ;   in Loop: Header=BB245_559 Depth=1
	s_or_b64 exec, exec, s[8:9]
	v_lshrrev_b32_e32 v4, 16, v25
	v_cmp_gt_i16_sdwa s[6:7], v4, s19 src0_sel:BYTE_0 src1_sel:DWORD
	s_mov_b64 s[0:1], 0
                                        ; implicit-def: $sgpr10
	s_and_saveexec_b64 s[8:9], s[6:7]
	s_xor_b64 s[6:7], exec, s[8:9]
	s_cbranch_execnz .LBB245_888
; %bb.619:                              ;   in Loop: Header=BB245_559 Depth=1
	s_or_saveexec_b64 s[6:7], s[6:7]
	v_mov_b32_e32 v2, s10
	s_xor_b64 exec, exec, s[6:7]
	s_cbranch_execnz .LBB245_891
.LBB245_620:                            ;   in Loop: Header=BB245_559 Depth=1
	s_or_b64 exec, exec, s[6:7]
	s_and_saveexec_b64 s[6:7], s[0:1]
	s_cbranch_execz .LBB245_622
.LBB245_621:                            ;   in Loop: Header=BB245_559 Depth=1
	v_bfe_u32 v2, v25, 16, 3
	v_ffbh_u32_e32 v12, v2
	v_min_u32_e32 v17, 32, v12
	v_subrev_u32_e32 v12, 28, v17
	v_bfe_u32 v16, v25, 19, 4
	v_lshlrev_b64 v[12:13], v12, v[4:5]
	v_sub_u32_e32 v13, 29, v17
	v_cmp_eq_u32_e64 s[0:1], 0, v16
	v_and_b32_e32 v12, 7, v12
	v_lshlrev_b32_e32 v4, 8, v4
	v_cndmask_b32_e64 v13, v16, v13, s[0:1]
	v_cndmask_b32_e64 v2, v2, v12, s[0:1]
	v_lshl_add_u32 v12, v13, 10, v40
	v_and_or_b32 v4, v4, s25, v12
	v_lshl_or_b32 v2, v2, 7, v4
	v_cvt_f32_f16_e32 v2, v2
.LBB245_622:                            ;   in Loop: Header=BB245_559 Depth=1
	s_or_b64 exec, exec, s[6:7]
	v_lshrrev_b32_e32 v4, 24, v25
	v_cmp_lt_i16_e64 s[0:1], s19, v4
	s_mov_b64 s[6:7], 0
                                        ; implicit-def: $sgpr30
	s_and_saveexec_b64 s[8:9], s[0:1]
	s_xor_b64 s[8:9], exec, s[8:9]
	s_cbranch_execnz .LBB245_892
; %bb.623:                              ;   in Loop: Header=BB245_559 Depth=1
	s_or_saveexec_b64 s[8:9], s[8:9]
	v_mov_b32_e32 v13, s30
	s_xor_b64 exec, exec, s[8:9]
	s_cbranch_execnz .LBB245_895
.LBB245_624:                            ;   in Loop: Header=BB245_559 Depth=1
	s_or_b64 exec, exec, s[8:9]
	s_and_saveexec_b64 s[8:9], s[6:7]
	s_cbranch_execz .LBB245_626
.LBB245_625:                            ;   in Loop: Header=BB245_559 Depth=1
	v_bfe_u32 v16, v25, 24, 3
	v_ffbh_u32_e32 v12, v16
	v_min_u32_e32 v18, 32, v12
	v_subrev_u32_e32 v12, 28, v18
	v_bfe_u32 v17, v25, 27, 4
	v_lshlrev_b64 v[12:13], v12, v[4:5]
	v_sub_u32_e32 v13, 29, v18
	v_cmp_eq_u32_e64 s[0:1], 0, v17
	v_and_b32_e32 v12, 7, v12
	v_lshlrev_b32_e32 v4, 8, v4
	v_cndmask_b32_e64 v13, v17, v13, s[0:1]
	v_lshl_add_u32 v13, v13, 10, v40
	v_cndmask_b32_e64 v12, v16, v12, s[0:1]
	v_and_or_b32 v4, v4, s25, v13
	v_lshl_or_b32 v4, v12, 7, v4
	v_cvt_f32_f16_e32 v13, v4
.LBB245_626:                            ;   in Loop: Header=BB245_559 Depth=1
	s_or_b64 exec, exec, s[8:9]
	v_pk_mul_f32 v[22:23], v[20:21], v[36:37] op_sel_hi:[0,1]
	v_pk_mul_f32 v[24:25], v[20:21], v[26:27] op_sel_hi:[0,1]
	v_cvt_f16_f32_e32 v4, v23
	v_cvt_f16_f32_e32 v12, v22
	;; [unrolled: 1-line block ×4, first 2 shown]
	v_fma_mixlo_f16 v1, v20, v1, 0
	v_lshlrev_b32_e32 v1, 16, v1
	v_fma_mixlo_f16 v0, v20, v0, 0
	v_or_b32_sdwa v0, v1, v0 dst_sel:DWORD dst_unused:UNUSED_PAD src0_sel:DWORD src1_sel:WORD_0
	v_fma_mixlo_f16 v1, v20, v13, 0
	v_pack_b32_f16 v12, v12, v4
	v_pack_b32_f16 v16, v17, v16
	v_fma_mixlo_f16 v2, v20, v2, 0
	v_lshlrev_b32_e32 v1, 16, v1
	v_perm_b32 v4, v16, v12, s27
	v_perm_b32 v12, v16, v12, s28
	v_or_b32_sdwa v1, v1, v2 dst_sel:DWORD dst_unused:UNUSED_PAD src0_sel:DWORD src1_sel:WORD_0
	s_and_saveexec_b64 s[6:7], vcc
	s_cbranch_execz .LBB245_628
; %bb.627:                              ;   in Loop: Header=BB245_559 Depth=1
	v_lshrrev_b32_e32 v13, 16, v12
	v_cmp_lt_i32_e64 s[0:1], v56, v3
	v_accvgpr_read_b32 v16, a8
	v_lshrrev_b32_e32 v1, 16, v1
	v_cndmask_b32_e64 v13, 0, v13, s[0:1]
	v_cmp_lt_i32_e64 s[0:1], v43, v16
	s_nop 1
	v_cndmask_b32_e64 v12, 0, v12, s[0:1]
	v_perm_b32 v12, v13, v12, s29
	v_lshrrev_b32_e32 v13, 16, v4
	v_cmp_lt_i32_e64 s[0:1], v47, v3
	s_nop 1
	v_cndmask_b32_e64 v13, 0, v13, s[0:1]
	v_cmp_lt_i32_e64 s[0:1], v46, v16
	s_nop 1
	v_cndmask_b32_e64 v4, 0, v4, s[0:1]
	v_perm_b32 v4, v13, v4, s29
	v_lshrrev_b32_e32 v13, 16, v0
	v_cmp_lt_i32_e64 s[0:1], v45, v3
	s_nop 1
	v_cndmask_b32_e64 v13, 0, v13, s[0:1]
	v_cmp_lt_i32_e64 s[0:1], v44, v16
	s_nop 1
	v_cndmask_b32_e64 v0, 0, v0, s[0:1]
	v_cmp_lt_i32_e64 s[0:1], v42, v3
	v_perm_b32 v0, v13, v0, s29
	s_nop 0
	v_cndmask_b32_e64 v1, 0, v1, s[0:1]
	v_cmp_lt_i32_e64 s[0:1], v41, v16
	s_nop 1
	v_cndmask_b32_e64 v2, 0, v2, s[0:1]
	v_perm_b32 v1, v1, v2, s29
.LBB245_628:                            ;   in Loop: Header=BB245_559 Depth=1
	s_or_b64 exec, exec, s[6:7]
	;;#ASMSTART
	v_pk_mul_f16 v2, v60, v12;

	;;#ASMEND
	;;#ASMSTART
	v_pk_mul_f16 v4, v59, v4;

	;;#ASMEND
	;; [unrolled: 4-line block ×4, first 2 shown]
	s_mov_b64 s[0:1], 0
	;;#ASMSTART
	v_pk_add_f16 v2, v2, v4;

	;;#ASMEND
                                        ; implicit-def: $sgpr10
	s_nop 0
	;;#ASMSTART
	v_pk_add_f16 v0, v2, v0;

	;;#ASMEND
	s_nop 0
	;;#ASMSTART
	v_pk_add_f16 v0, v0, v1;

	;;#ASMEND
	s_nop 0
	v_lshrrev_b32_e32 v1, 16, v0
	v_and_b32_e32 v0, 0xffff, v0
	;;#ASMSTART
	v_cvt_f32_f16 v52, v0;
	;;#ASMEND
	;;#ASMSTART
	v_cvt_f32_f16 v50, v1;
	;;#ASMEND
	v_accvgpr_read_b32 v0, a4
	flat_load_dwordx2 v[24:25], v[14:15] offset:1024
	v_accvgpr_read_b32 v1, a5
	flat_load_dword v20, v[0:1]
	s_waitcnt vmcnt(0) lgkmcnt(0)
	v_cmp_gt_i16_sdwa s[6:7], v24, s19 src0_sel:BYTE_0 src1_sel:DWORD
	s_and_saveexec_b64 s[8:9], s[6:7]
	s_xor_b64 s[6:7], exec, s[8:9]
	s_cbranch_execnz .LBB245_896
; %bb.629:                              ;   in Loop: Header=BB245_559 Depth=1
	s_or_saveexec_b64 s[6:7], s[6:7]
	v_mov_b32_e32 v26, s10
	s_xor_b64 exec, exec, s[6:7]
	s_cbranch_execnz .LBB245_899
.LBB245_630:                            ;   in Loop: Header=BB245_559 Depth=1
	s_or_b64 exec, exec, s[6:7]
	s_and_saveexec_b64 s[6:7], s[0:1]
	s_cbranch_execz .LBB245_632
.LBB245_631:                            ;   in Loop: Header=BB245_559 Depth=1
	v_and_b32_e32 v0, 7, v24
	v_ffbh_u32_e32 v0, v0
	v_bfe_u32 v1, v24, 3, 4
	v_min_u32_e32 v0, 32, v0
	v_subrev_u32_e32 v2, 28, v0
	v_sub_u32_e32 v0, 29, v0
	v_cmp_eq_u32_e64 s[0:1], 0, v1
	s_nop 1
	v_cndmask_b32_e64 v4, v1, v0, s[0:1]
	v_cndmask_b32_e64 v0, 0, v2, s[0:1]
	v_lshlrev_b64 v[0:1], v0, v[24:25]
	v_lshlrev_b32_e32 v1, 8, v24
	v_lshl_add_u32 v2, v4, 10, v40
	v_lshlrev_b32_e32 v0, 7, v0
	v_and_or_b32 v1, v1, s25, v2
	v_and_or_b32 v0, v0, s26, v1
	v_cvt_f32_f16_e32 v26, v0
.LBB245_632:                            ;   in Loop: Header=BB245_559 Depth=1
	s_or_b64 exec, exec, s[6:7]
	v_lshrrev_b16_e32 v4, 8, v24
	v_cmp_lt_i16_e64 s[0:1], s19, v4
	s_mov_b64 s[6:7], 0
                                        ; implicit-def: $sgpr30
	s_and_saveexec_b64 s[8:9], s[0:1]
	s_xor_b64 s[8:9], exec, s[8:9]
	s_cbranch_execnz .LBB245_900
; %bb.633:                              ;   in Loop: Header=BB245_559 Depth=1
	s_or_saveexec_b64 s[8:9], s[8:9]
	v_mov_b32_e32 v36, s30
	s_xor_b64 exec, exec, s[8:9]
	s_cbranch_execnz .LBB245_903
.LBB245_634:                            ;   in Loop: Header=BB245_559 Depth=1
	s_or_b64 exec, exec, s[8:9]
	s_and_saveexec_b64 s[8:9], s[6:7]
	s_cbranch_execz .LBB245_636
.LBB245_635:                            ;   in Loop: Header=BB245_559 Depth=1
	v_and_b32_e32 v2, 7, v4
	v_ffbh_u32_e32 v0, v2
	v_min_u32_e32 v13, 32, v0
	v_subrev_u32_e32 v0, 28, v13
	v_bfe_u32 v12, v4, 3, 4
	v_lshlrev_b64 v[0:1], v0, v[4:5]
	v_sub_u32_e32 v1, 29, v13
	v_cmp_eq_u32_e64 s[0:1], 0, v12
	v_and_b32_e32 v0, 7, v0
	s_nop 0
	v_cndmask_b32_e64 v1, v12, v1, s[0:1]
	v_cndmask_b32_e64 v0, v2, v0, s[0:1]
	v_lshlrev_b32_e32 v2, 8, v4
	v_lshl_add_u32 v1, v1, 10, v40
	v_and_or_b32 v1, v2, s25, v1
	v_lshl_or_b32 v0, v0, 7, v1
	v_cvt_f32_f16_e32 v36, v0
.LBB245_636:                            ;   in Loop: Header=BB245_559 Depth=1
	s_or_b64 exec, exec, s[8:9]
	v_lshrrev_b32_e32 v4, 16, v24
	v_cmp_gt_i16_sdwa s[6:7], v4, s19 src0_sel:BYTE_0 src1_sel:DWORD
	s_mov_b64 s[0:1], 0
                                        ; implicit-def: $sgpr10
	s_and_saveexec_b64 s[8:9], s[6:7]
	s_xor_b64 s[6:7], exec, s[8:9]
	s_cbranch_execnz .LBB245_904
; %bb.637:                              ;   in Loop: Header=BB245_559 Depth=1
	s_or_saveexec_b64 s[6:7], s[6:7]
	v_mov_b32_e32 v27, s10
	s_xor_b64 exec, exec, s[6:7]
	s_cbranch_execnz .LBB245_907
.LBB245_638:                            ;   in Loop: Header=BB245_559 Depth=1
	s_or_b64 exec, exec, s[6:7]
	s_and_saveexec_b64 s[6:7], s[0:1]
	s_cbranch_execz .LBB245_640
.LBB245_639:                            ;   in Loop: Header=BB245_559 Depth=1
	v_bfe_u32 v2, v24, 16, 3
	v_ffbh_u32_e32 v0, v2
	v_min_u32_e32 v13, 32, v0
	v_subrev_u32_e32 v0, 28, v13
	v_bfe_u32 v12, v24, 19, 4
	v_lshlrev_b64 v[0:1], v0, v[4:5]
	v_sub_u32_e32 v1, 29, v13
	v_cmp_eq_u32_e64 s[0:1], 0, v12
	v_and_b32_e32 v0, 7, v0
	s_nop 0
	v_cndmask_b32_e64 v1, v12, v1, s[0:1]
	v_cndmask_b32_e64 v0, v2, v0, s[0:1]
	v_lshlrev_b32_e32 v2, 8, v4
	v_lshl_add_u32 v1, v1, 10, v40
	v_and_or_b32 v1, v2, s25, v1
	v_lshl_or_b32 v0, v0, 7, v1
	v_cvt_f32_f16_e32 v27, v0
.LBB245_640:                            ;   in Loop: Header=BB245_559 Depth=1
	s_or_b64 exec, exec, s[6:7]
	v_lshrrev_b32_e32 v4, 24, v24
	v_cmp_lt_i16_e64 s[0:1], s19, v4
	s_mov_b64 s[6:7], 0
                                        ; implicit-def: $sgpr30
	s_and_saveexec_b64 s[8:9], s[0:1]
	s_xor_b64 s[8:9], exec, s[8:9]
	s_cbranch_execnz .LBB245_908
; %bb.641:                              ;   in Loop: Header=BB245_559 Depth=1
	s_or_saveexec_b64 s[8:9], s[8:9]
	v_mov_b32_e32 v37, s30
	s_xor_b64 exec, exec, s[8:9]
	s_cbranch_execnz .LBB245_911
.LBB245_642:                            ;   in Loop: Header=BB245_559 Depth=1
	s_or_b64 exec, exec, s[8:9]
	s_and_saveexec_b64 s[8:9], s[6:7]
	s_cbranch_execz .LBB245_644
.LBB245_643:                            ;   in Loop: Header=BB245_559 Depth=1
	v_bfe_u32 v2, v24, 24, 3
	v_ffbh_u32_e32 v0, v2
	v_min_u32_e32 v13, 32, v0
	v_subrev_u32_e32 v0, 28, v13
	v_bfe_u32 v12, v24, 27, 4
	v_lshlrev_b64 v[0:1], v0, v[4:5]
	v_sub_u32_e32 v1, 29, v13
	v_cmp_eq_u32_e64 s[0:1], 0, v12
	v_and_b32_e32 v0, 7, v0
	s_nop 0
	v_cndmask_b32_e64 v1, v12, v1, s[0:1]
	v_cndmask_b32_e64 v0, v2, v0, s[0:1]
	v_lshlrev_b32_e32 v2, 8, v4
	v_lshl_add_u32 v1, v1, 10, v40
	v_and_or_b32 v1, v2, s25, v1
	v_lshl_or_b32 v0, v0, 7, v1
	v_cvt_f32_f16_e32 v37, v0
.LBB245_644:                            ;   in Loop: Header=BB245_559 Depth=1
	s_or_b64 exec, exec, s[8:9]
	v_cmp_gt_i16_sdwa s[6:7], v25, s19 src0_sel:BYTE_0 src1_sel:DWORD
	s_mov_b64 s[0:1], 0
                                        ; implicit-def: $sgpr10
	s_and_saveexec_b64 s[8:9], s[6:7]
	s_xor_b64 s[6:7], exec, s[8:9]
	s_cbranch_execnz .LBB245_912
; %bb.645:                              ;   in Loop: Header=BB245_559 Depth=1
	s_or_saveexec_b64 s[6:7], s[6:7]
	v_mov_b32_e32 v0, s10
	s_xor_b64 exec, exec, s[6:7]
	s_cbranch_execnz .LBB245_915
.LBB245_646:                            ;   in Loop: Header=BB245_559 Depth=1
	s_or_b64 exec, exec, s[6:7]
	v_mov_b32_e32 v4, v25
	s_and_saveexec_b64 s[6:7], s[0:1]
	s_cbranch_execz .LBB245_648
.LBB245_647:                            ;   in Loop: Header=BB245_559 Depth=1
	v_and_b32_e32 v0, 7, v25
	v_ffbh_u32_e32 v0, v0
	v_bfe_u32 v1, v25, 3, 4
	v_min_u32_e32 v0, 32, v0
	v_subrev_u32_e32 v2, 28, v0
	v_sub_u32_e32 v0, 29, v0
	v_cmp_eq_u32_e64 s[0:1], 0, v1
	s_nop 1
	v_cndmask_b32_e64 v12, v1, v0, s[0:1]
	v_cndmask_b32_e64 v0, 0, v2, s[0:1]
	v_lshlrev_b64 v[0:1], v0, v[4:5]
	v_lshlrev_b32_e32 v1, 8, v25
	v_lshl_add_u32 v2, v12, 10, v40
	v_lshlrev_b32_e32 v0, 7, v0
	v_and_or_b32 v1, v1, s25, v2
	v_and_or_b32 v0, v0, s26, v1
	v_cvt_f32_f16_e32 v0, v0
.LBB245_648:                            ;   in Loop: Header=BB245_559 Depth=1
	s_or_b64 exec, exec, s[6:7]
	v_lshrrev_b16_e32 v4, 8, v4
	v_cmp_lt_i16_e64 s[0:1], s19, v4
	s_mov_b64 s[6:7], 0
                                        ; implicit-def: $sgpr30
	s_and_saveexec_b64 s[8:9], s[0:1]
	s_xor_b64 s[8:9], exec, s[8:9]
	s_cbranch_execnz .LBB245_916
; %bb.649:                              ;   in Loop: Header=BB245_559 Depth=1
	s_or_saveexec_b64 s[8:9], s[8:9]
	v_mov_b32_e32 v1, s30
	s_xor_b64 exec, exec, s[8:9]
	s_cbranch_execnz .LBB245_919
.LBB245_650:                            ;   in Loop: Header=BB245_559 Depth=1
	s_or_b64 exec, exec, s[8:9]
	s_and_saveexec_b64 s[8:9], s[6:7]
	s_cbranch_execz .LBB245_652
.LBB245_651:                            ;   in Loop: Header=BB245_559 Depth=1
	v_and_b32_e32 v1, 7, v4
	v_ffbh_u32_e32 v12, v1
	v_min_u32_e32 v16, 32, v12
	v_subrev_u32_e32 v12, 28, v16
	v_bfe_u32 v2, v4, 3, 4
	v_lshlrev_b64 v[12:13], v12, v[4:5]
	v_sub_u32_e32 v13, 29, v16
	v_cmp_eq_u32_e64 s[0:1], 0, v2
	v_and_b32_e32 v12, 7, v12
	v_lshlrev_b32_e32 v4, 8, v4
	v_cndmask_b32_e64 v2, v2, v13, s[0:1]
	v_lshl_add_u32 v2, v2, 10, v40
	v_cndmask_b32_e64 v1, v1, v12, s[0:1]
	v_and_or_b32 v2, v4, s25, v2
	v_lshl_or_b32 v1, v1, 7, v2
	v_cvt_f32_f16_e32 v1, v1
.LBB245_652:                            ;   in Loop: Header=BB245_559 Depth=1
	s_or_b64 exec, exec, s[8:9]
	v_lshrrev_b32_e32 v4, 16, v25
	v_cmp_gt_i16_sdwa s[6:7], v4, s19 src0_sel:BYTE_0 src1_sel:DWORD
	s_mov_b64 s[0:1], 0
                                        ; implicit-def: $sgpr10
	s_and_saveexec_b64 s[8:9], s[6:7]
	s_xor_b64 s[6:7], exec, s[8:9]
	s_cbranch_execnz .LBB245_920
; %bb.653:                              ;   in Loop: Header=BB245_559 Depth=1
	s_or_saveexec_b64 s[6:7], s[6:7]
	v_mov_b32_e32 v2, s10
	s_xor_b64 exec, exec, s[6:7]
	s_cbranch_execnz .LBB245_923
.LBB245_654:                            ;   in Loop: Header=BB245_559 Depth=1
	s_or_b64 exec, exec, s[6:7]
	s_and_saveexec_b64 s[6:7], s[0:1]
	s_cbranch_execz .LBB245_656
.LBB245_655:                            ;   in Loop: Header=BB245_559 Depth=1
	v_bfe_u32 v2, v25, 16, 3
	v_ffbh_u32_e32 v12, v2
	v_min_u32_e32 v17, 32, v12
	v_subrev_u32_e32 v12, 28, v17
	v_bfe_u32 v16, v25, 19, 4
	v_lshlrev_b64 v[12:13], v12, v[4:5]
	v_sub_u32_e32 v13, 29, v17
	v_cmp_eq_u32_e64 s[0:1], 0, v16
	v_and_b32_e32 v12, 7, v12
	v_lshlrev_b32_e32 v4, 8, v4
	v_cndmask_b32_e64 v13, v16, v13, s[0:1]
	v_cndmask_b32_e64 v2, v2, v12, s[0:1]
	v_lshl_add_u32 v12, v13, 10, v40
	v_and_or_b32 v4, v4, s25, v12
	v_lshl_or_b32 v2, v2, 7, v4
	v_cvt_f32_f16_e32 v2, v2
.LBB245_656:                            ;   in Loop: Header=BB245_559 Depth=1
	s_or_b64 exec, exec, s[6:7]
	v_lshrrev_b32_e32 v4, 24, v25
	v_cmp_lt_i16_e64 s[0:1], s19, v4
	s_mov_b64 s[6:7], 0
                                        ; implicit-def: $sgpr30
	s_and_saveexec_b64 s[8:9], s[0:1]
	s_xor_b64 s[8:9], exec, s[8:9]
	s_cbranch_execnz .LBB245_924
; %bb.657:                              ;   in Loop: Header=BB245_559 Depth=1
	s_or_saveexec_b64 s[8:9], s[8:9]
	v_mov_b32_e32 v13, s30
	s_xor_b64 exec, exec, s[8:9]
	s_cbranch_execnz .LBB245_927
.LBB245_658:                            ;   in Loop: Header=BB245_559 Depth=1
	s_or_b64 exec, exec, s[8:9]
	s_and_saveexec_b64 s[8:9], s[6:7]
	s_cbranch_execz .LBB245_660
.LBB245_659:                            ;   in Loop: Header=BB245_559 Depth=1
	v_bfe_u32 v16, v25, 24, 3
	v_ffbh_u32_e32 v12, v16
	v_min_u32_e32 v18, 32, v12
	v_subrev_u32_e32 v12, 28, v18
	v_bfe_u32 v17, v25, 27, 4
	v_lshlrev_b64 v[12:13], v12, v[4:5]
	v_sub_u32_e32 v13, 29, v18
	v_cmp_eq_u32_e64 s[0:1], 0, v17
	v_and_b32_e32 v12, 7, v12
	v_lshlrev_b32_e32 v4, 8, v4
	v_cndmask_b32_e64 v13, v17, v13, s[0:1]
	v_lshl_add_u32 v13, v13, 10, v40
	v_cndmask_b32_e64 v12, v16, v12, s[0:1]
	v_and_or_b32 v4, v4, s25, v13
	v_lshl_or_b32 v4, v12, 7, v4
	v_cvt_f32_f16_e32 v13, v4
.LBB245_660:                            ;   in Loop: Header=BB245_559 Depth=1
	s_or_b64 exec, exec, s[8:9]
	v_pk_mul_f32 v[22:23], v[20:21], v[36:37] op_sel_hi:[0,1]
	v_pk_mul_f32 v[24:25], v[20:21], v[26:27] op_sel_hi:[0,1]
	v_cvt_f16_f32_e32 v4, v23
	v_cvt_f16_f32_e32 v12, v22
	v_cvt_f16_f32_e32 v16, v25
	v_cvt_f16_f32_e32 v17, v24
	v_fma_mixlo_f16 v1, v20, v1, 0
	v_lshlrev_b32_e32 v1, 16, v1
	v_fma_mixlo_f16 v0, v20, v0, 0
	v_or_b32_sdwa v0, v1, v0 dst_sel:DWORD dst_unused:UNUSED_PAD src0_sel:DWORD src1_sel:WORD_0
	v_fma_mixlo_f16 v1, v20, v13, 0
	v_pack_b32_f16 v12, v12, v4
	v_pack_b32_f16 v16, v17, v16
	v_fma_mixlo_f16 v2, v20, v2, 0
	v_lshlrev_b32_e32 v1, 16, v1
	v_perm_b32 v4, v16, v12, s27
	v_perm_b32 v12, v16, v12, s28
	v_or_b32_sdwa v1, v1, v2 dst_sel:DWORD dst_unused:UNUSED_PAD src0_sel:DWORD src1_sel:WORD_0
	s_and_saveexec_b64 s[6:7], vcc
	s_cbranch_execz .LBB245_662
; %bb.661:                              ;   in Loop: Header=BB245_559 Depth=1
	v_lshrrev_b32_e32 v13, 16, v12
	v_cmp_lt_i32_e64 s[0:1], v56, v3
	v_accvgpr_read_b32 v16, a8
	v_lshrrev_b32_e32 v1, 16, v1
	v_cndmask_b32_e64 v13, 0, v13, s[0:1]
	v_cmp_lt_i32_e64 s[0:1], v43, v16
	s_nop 1
	v_cndmask_b32_e64 v12, 0, v12, s[0:1]
	v_perm_b32 v12, v13, v12, s29
	v_lshrrev_b32_e32 v13, 16, v4
	v_cmp_lt_i32_e64 s[0:1], v47, v3
	s_nop 1
	v_cndmask_b32_e64 v13, 0, v13, s[0:1]
	v_cmp_lt_i32_e64 s[0:1], v46, v16
	s_nop 1
	v_cndmask_b32_e64 v4, 0, v4, s[0:1]
	v_perm_b32 v4, v13, v4, s29
	v_lshrrev_b32_e32 v13, 16, v0
	v_cmp_lt_i32_e64 s[0:1], v45, v3
	s_nop 1
	v_cndmask_b32_e64 v13, 0, v13, s[0:1]
	v_cmp_lt_i32_e64 s[0:1], v44, v16
	s_nop 1
	v_cndmask_b32_e64 v0, 0, v0, s[0:1]
	v_cmp_lt_i32_e64 s[0:1], v42, v3
	v_perm_b32 v0, v13, v0, s29
	s_nop 0
	v_cndmask_b32_e64 v1, 0, v1, s[0:1]
	v_cmp_lt_i32_e64 s[0:1], v41, v16
	s_nop 1
	v_cndmask_b32_e64 v2, 0, v2, s[0:1]
	v_perm_b32 v1, v1, v2, s29
.LBB245_662:                            ;   in Loop: Header=BB245_559 Depth=1
	s_or_b64 exec, exec, s[6:7]
	;;#ASMSTART
	v_pk_mul_f16 v2, v60, v12;

	;;#ASMEND
	;;#ASMSTART
	v_pk_mul_f16 v4, v59, v4;

	;;#ASMEND
	;; [unrolled: 4-line block ×4, first 2 shown]
	v_accvgpr_read_b32 v13, a5
	;;#ASMSTART
	v_pk_add_f16 v2, v2, v4;

	;;#ASMEND
	v_accvgpr_read_b32 v12, a4
	;;#ASMSTART
	v_pk_add_f16 v0, v2, v0;

	;;#ASMEND
	s_mov_b64 s[0:1], 0
	;;#ASMSTART
	v_pk_add_f16 v0, v0, v1;

	;;#ASMEND
                                        ; implicit-def: $sgpr10
	s_nop 0
	v_lshrrev_b32_e32 v2, 16, v0
	v_and_b32_e32 v0, 0xffff, v0
	;;#ASMSTART
	v_cvt_f32_f16 v1, v0;
	;;#ASMEND
	;;#ASMSTART
	v_cvt_f32_f16 v0, v2;
	;;#ASMEND
	flat_load_dwordx2 v[24:25], v[14:15] offset:1536
	flat_load_dword v20, v[12:13]
	s_waitcnt vmcnt(0) lgkmcnt(0)
	v_cmp_gt_i16_sdwa s[6:7], v24, s19 src0_sel:BYTE_0 src1_sel:DWORD
	s_and_saveexec_b64 s[8:9], s[6:7]
	s_xor_b64 s[6:7], exec, s[8:9]
	s_cbranch_execnz .LBB245_928
; %bb.663:                              ;   in Loop: Header=BB245_559 Depth=1
	s_or_saveexec_b64 s[6:7], s[6:7]
	v_mov_b32_e32 v26, s10
	s_xor_b64 exec, exec, s[6:7]
	s_cbranch_execnz .LBB245_931
.LBB245_664:                            ;   in Loop: Header=BB245_559 Depth=1
	s_or_b64 exec, exec, s[6:7]
	s_and_saveexec_b64 s[6:7], s[0:1]
	s_cbranch_execz .LBB245_666
.LBB245_665:                            ;   in Loop: Header=BB245_559 Depth=1
	v_and_b32_e32 v2, 7, v24
	v_ffbh_u32_e32 v2, v2
	v_bfe_u32 v4, v24, 3, 4
	v_min_u32_e32 v2, 32, v2
	v_subrev_u32_e32 v12, 28, v2
	v_sub_u32_e32 v2, 29, v2
	v_cmp_eq_u32_e64 s[0:1], 0, v4
	s_nop 1
	v_cndmask_b32_e64 v2, v4, v2, s[0:1]
	v_cndmask_b32_e64 v4, 0, v12, s[0:1]
	v_lshlrev_b64 v[12:13], v4, v[24:25]
	v_lshlrev_b32_e32 v4, 7, v12
	v_lshlrev_b32_e32 v12, 8, v24
	v_lshl_add_u32 v2, v2, 10, v40
	v_and_or_b32 v2, v12, s25, v2
	v_and_or_b32 v2, v4, s26, v2
	v_cvt_f32_f16_e32 v26, v2
.LBB245_666:                            ;   in Loop: Header=BB245_559 Depth=1
	s_or_b64 exec, exec, s[6:7]
	v_lshrrev_b16_e32 v4, 8, v24
	v_cmp_lt_i16_e64 s[0:1], s19, v4
	s_mov_b64 s[6:7], 0
                                        ; implicit-def: $sgpr30
	s_and_saveexec_b64 s[8:9], s[0:1]
	s_xor_b64 s[8:9], exec, s[8:9]
	s_cbranch_execnz .LBB245_932
; %bb.667:                              ;   in Loop: Header=BB245_559 Depth=1
	s_or_saveexec_b64 s[8:9], s[8:9]
	v_mov_b32_e32 v36, s30
	s_xor_b64 exec, exec, s[8:9]
	s_cbranch_execnz .LBB245_935
.LBB245_668:                            ;   in Loop: Header=BB245_559 Depth=1
	s_or_b64 exec, exec, s[8:9]
	s_and_saveexec_b64 s[8:9], s[6:7]
	s_cbranch_execz .LBB245_670
.LBB245_669:                            ;   in Loop: Header=BB245_559 Depth=1
	v_and_b32_e32 v2, 7, v4
	v_ffbh_u32_e32 v12, v2
	v_min_u32_e32 v17, 32, v12
	v_subrev_u32_e32 v12, 28, v17
	v_bfe_u32 v16, v4, 3, 4
	v_lshlrev_b64 v[12:13], v12, v[4:5]
	v_sub_u32_e32 v13, 29, v17
	v_cmp_eq_u32_e64 s[0:1], 0, v16
	v_and_b32_e32 v12, 7, v12
	v_lshlrev_b32_e32 v4, 8, v4
	v_cndmask_b32_e64 v13, v16, v13, s[0:1]
	v_cndmask_b32_e64 v2, v2, v12, s[0:1]
	v_lshl_add_u32 v12, v13, 10, v40
	v_and_or_b32 v4, v4, s25, v12
	v_lshl_or_b32 v2, v2, 7, v4
	v_cvt_f32_f16_e32 v36, v2
.LBB245_670:                            ;   in Loop: Header=BB245_559 Depth=1
	s_or_b64 exec, exec, s[8:9]
	v_lshrrev_b32_e32 v4, 16, v24
	v_cmp_gt_i16_sdwa s[6:7], v4, s19 src0_sel:BYTE_0 src1_sel:DWORD
	s_mov_b64 s[0:1], 0
                                        ; implicit-def: $sgpr10
	s_and_saveexec_b64 s[8:9], s[6:7]
	s_xor_b64 s[6:7], exec, s[8:9]
	s_cbranch_execnz .LBB245_936
; %bb.671:                              ;   in Loop: Header=BB245_559 Depth=1
	s_or_saveexec_b64 s[6:7], s[6:7]
	v_mov_b32_e32 v27, s10
	s_xor_b64 exec, exec, s[6:7]
	s_cbranch_execnz .LBB245_939
.LBB245_672:                            ;   in Loop: Header=BB245_559 Depth=1
	s_or_b64 exec, exec, s[6:7]
	s_and_saveexec_b64 s[6:7], s[0:1]
	s_cbranch_execz .LBB245_674
.LBB245_673:                            ;   in Loop: Header=BB245_559 Depth=1
	v_bfe_u32 v2, v24, 16, 3
	v_ffbh_u32_e32 v12, v2
	v_min_u32_e32 v17, 32, v12
	v_subrev_u32_e32 v12, 28, v17
	v_bfe_u32 v16, v24, 19, 4
	v_lshlrev_b64 v[12:13], v12, v[4:5]
	v_sub_u32_e32 v13, 29, v17
	v_cmp_eq_u32_e64 s[0:1], 0, v16
	v_and_b32_e32 v12, 7, v12
	v_lshlrev_b32_e32 v4, 8, v4
	v_cndmask_b32_e64 v13, v16, v13, s[0:1]
	v_cndmask_b32_e64 v2, v2, v12, s[0:1]
	v_lshl_add_u32 v12, v13, 10, v40
	v_and_or_b32 v4, v4, s25, v12
	v_lshl_or_b32 v2, v2, 7, v4
	v_cvt_f32_f16_e32 v27, v2
.LBB245_674:                            ;   in Loop: Header=BB245_559 Depth=1
	s_or_b64 exec, exec, s[6:7]
	v_lshrrev_b32_e32 v4, 24, v24
	v_cmp_lt_i16_e64 s[0:1], s19, v4
	s_mov_b64 s[6:7], 0
                                        ; implicit-def: $sgpr30
	s_and_saveexec_b64 s[8:9], s[0:1]
	s_xor_b64 s[8:9], exec, s[8:9]
	s_cbranch_execnz .LBB245_940
; %bb.675:                              ;   in Loop: Header=BB245_559 Depth=1
	s_or_saveexec_b64 s[8:9], s[8:9]
	v_mov_b32_e32 v37, s30
	s_xor_b64 exec, exec, s[8:9]
	s_cbranch_execnz .LBB245_943
.LBB245_676:                            ;   in Loop: Header=BB245_559 Depth=1
	s_or_b64 exec, exec, s[8:9]
	s_and_saveexec_b64 s[8:9], s[6:7]
	s_cbranch_execz .LBB245_678
.LBB245_677:                            ;   in Loop: Header=BB245_559 Depth=1
	v_bfe_u32 v2, v24, 24, 3
	v_ffbh_u32_e32 v12, v2
	v_min_u32_e32 v17, 32, v12
	v_subrev_u32_e32 v12, 28, v17
	v_bfe_u32 v16, v24, 27, 4
	v_lshlrev_b64 v[12:13], v12, v[4:5]
	v_sub_u32_e32 v13, 29, v17
	v_cmp_eq_u32_e64 s[0:1], 0, v16
	v_and_b32_e32 v12, 7, v12
	v_lshlrev_b32_e32 v4, 8, v4
	v_cndmask_b32_e64 v13, v16, v13, s[0:1]
	v_cndmask_b32_e64 v2, v2, v12, s[0:1]
	v_lshl_add_u32 v12, v13, 10, v40
	v_and_or_b32 v4, v4, s25, v12
	v_lshl_or_b32 v2, v2, 7, v4
	v_cvt_f32_f16_e32 v37, v2
.LBB245_678:                            ;   in Loop: Header=BB245_559 Depth=1
	s_or_b64 exec, exec, s[8:9]
	v_cmp_gt_i16_sdwa s[6:7], v25, s19 src0_sel:BYTE_0 src1_sel:DWORD
	s_mov_b64 s[0:1], 0
                                        ; implicit-def: $sgpr10
	s_and_saveexec_b64 s[8:9], s[6:7]
	s_xor_b64 s[6:7], exec, s[8:9]
	s_cbranch_execnz .LBB245_944
; %bb.679:                              ;   in Loop: Header=BB245_559 Depth=1
	s_or_saveexec_b64 s[6:7], s[6:7]
	v_mov_b32_e32 v2, s10
	s_xor_b64 exec, exec, s[6:7]
	s_cbranch_execnz .LBB245_947
.LBB245_680:                            ;   in Loop: Header=BB245_559 Depth=1
	s_or_b64 exec, exec, s[6:7]
	v_mov_b32_e32 v4, v25
	s_and_saveexec_b64 s[6:7], s[0:1]
	s_cbranch_execz .LBB245_682
.LBB245_681:                            ;   in Loop: Header=BB245_559 Depth=1
	v_and_b32_e32 v2, 7, v25
	v_ffbh_u32_e32 v2, v2
	v_bfe_u32 v12, v25, 3, 4
	v_min_u32_e32 v2, 32, v2
	v_subrev_u32_e32 v13, 28, v2
	v_sub_u32_e32 v2, 29, v2
	v_cmp_eq_u32_e64 s[0:1], 0, v12
	s_nop 1
	v_cndmask_b32_e64 v2, v12, v2, s[0:1]
	v_cndmask_b32_e64 v12, 0, v13, s[0:1]
	v_lshlrev_b64 v[12:13], v12, v[4:5]
	v_lshlrev_b32_e32 v13, 8, v25
	v_lshl_add_u32 v2, v2, 10, v40
	v_lshlrev_b32_e32 v12, 7, v12
	v_and_or_b32 v2, v13, s25, v2
	v_and_or_b32 v2, v12, s26, v2
	v_cvt_f32_f16_e32 v2, v2
.LBB245_682:                            ;   in Loop: Header=BB245_559 Depth=1
	s_or_b64 exec, exec, s[6:7]
	v_lshrrev_b16_e32 v4, 8, v4
	v_cmp_lt_i16_e64 s[0:1], s19, v4
	s_mov_b64 s[6:7], 0
                                        ; implicit-def: $sgpr30
	s_and_saveexec_b64 s[8:9], s[0:1]
	s_xor_b64 s[8:9], exec, s[8:9]
	s_cbranch_execnz .LBB245_948
; %bb.683:                              ;   in Loop: Header=BB245_559 Depth=1
	s_or_saveexec_b64 s[8:9], s[8:9]
	v_mov_b32_e32 v12, s30
	s_xor_b64 exec, exec, s[8:9]
	s_cbranch_execnz .LBB245_951
.LBB245_684:                            ;   in Loop: Header=BB245_559 Depth=1
	s_or_b64 exec, exec, s[8:9]
	s_and_saveexec_b64 s[8:9], s[6:7]
	s_cbranch_execz .LBB245_686
.LBB245_685:                            ;   in Loop: Header=BB245_559 Depth=1
	v_and_b32_e32 v16, 7, v4
	v_ffbh_u32_e32 v12, v16
	v_min_u32_e32 v18, 32, v12
	v_subrev_u32_e32 v12, 28, v18
	v_bfe_u32 v17, v4, 3, 4
	v_lshlrev_b64 v[12:13], v12, v[4:5]
	v_sub_u32_e32 v13, 29, v18
	v_cmp_eq_u32_e64 s[0:1], 0, v17
	v_and_b32_e32 v12, 7, v12
	v_lshlrev_b32_e32 v4, 8, v4
	v_cndmask_b32_e64 v13, v17, v13, s[0:1]
	v_lshl_add_u32 v13, v13, 10, v40
	v_cndmask_b32_e64 v12, v16, v12, s[0:1]
	v_and_or_b32 v4, v4, s25, v13
	v_lshl_or_b32 v4, v12, 7, v4
	v_cvt_f32_f16_e32 v12, v4
.LBB245_686:                            ;   in Loop: Header=BB245_559 Depth=1
	s_or_b64 exec, exec, s[8:9]
	v_lshrrev_b32_e32 v4, 16, v25
	v_cmp_gt_i16_sdwa s[6:7], v4, s19 src0_sel:BYTE_0 src1_sel:DWORD
	s_mov_b64 s[0:1], 0
                                        ; implicit-def: $sgpr10
	s_and_saveexec_b64 s[8:9], s[6:7]
	s_xor_b64 s[6:7], exec, s[8:9]
	s_cbranch_execnz .LBB245_952
; %bb.687:                              ;   in Loop: Header=BB245_559 Depth=1
	s_or_saveexec_b64 s[6:7], s[6:7]
	v_mov_b32_e32 v13, s10
	s_xor_b64 exec, exec, s[6:7]
	s_cbranch_execnz .LBB245_955
.LBB245_688:                            ;   in Loop: Header=BB245_559 Depth=1
	s_or_b64 exec, exec, s[6:7]
	s_and_saveexec_b64 s[6:7], s[0:1]
	s_cbranch_execz .LBB245_690
.LBB245_689:                            ;   in Loop: Header=BB245_559 Depth=1
	v_bfe_u32 v13, v25, 16, 3
	v_ffbh_u32_e32 v17, v13
	v_bfe_u32 v16, v25, 19, 4
	v_min_u32_e32 v17, 32, v17
	v_subrev_u32_e32 v18, 28, v17
	v_sub_u32_e32 v17, 29, v17
	v_cmp_eq_u32_e64 s[0:1], 0, v16
	v_lshlrev_b64 v[22:23], v18, v[4:5]
	v_and_b32_e32 v18, 7, v22
	v_cndmask_b32_e64 v16, v16, v17, s[0:1]
	v_lshlrev_b32_e32 v4, 8, v4
	v_lshl_add_u32 v16, v16, 10, v40
	v_cndmask_b32_e64 v13, v13, v18, s[0:1]
	v_and_or_b32 v4, v4, s25, v16
	v_lshl_or_b32 v4, v13, 7, v4
	v_cvt_f32_f16_e32 v13, v4
.LBB245_690:                            ;   in Loop: Header=BB245_559 Depth=1
	s_or_b64 exec, exec, s[6:7]
	v_lshrrev_b32_e32 v4, 24, v25
	v_cmp_lt_i16_e64 s[0:1], s19, v4
	s_mov_b64 s[6:7], 0
                                        ; implicit-def: $sgpr30
	s_and_saveexec_b64 s[8:9], s[0:1]
	s_xor_b64 s[8:9], exec, s[8:9]
	s_cbranch_execnz .LBB245_956
; %bb.691:                              ;   in Loop: Header=BB245_559 Depth=1
	s_or_saveexec_b64 s[8:9], s[8:9]
	v_mov_b32_e32 v18, s30
	s_xor_b64 exec, exec, s[8:9]
	s_cbranch_execnz .LBB245_959
.LBB245_692:                            ;   in Loop: Header=BB245_559 Depth=1
	s_or_b64 exec, exec, s[8:9]
	s_and_saveexec_b64 s[8:9], s[6:7]
	s_cbranch_execz .LBB245_694
.LBB245_693:                            ;   in Loop: Header=BB245_559 Depth=1
	v_bfe_u32 v16, v25, 24, 3
	v_ffbh_u32_e32 v18, v16
	v_bfe_u32 v17, v25, 27, 4
	v_min_u32_e32 v18, 32, v18
	v_subrev_u32_e32 v19, 28, v18
	v_sub_u32_e32 v18, 29, v18
	v_cmp_eq_u32_e64 s[0:1], 0, v17
	v_lshlrev_b64 v[22:23], v19, v[4:5]
	v_and_b32_e32 v19, 7, v22
	v_cndmask_b32_e64 v17, v17, v18, s[0:1]
	v_lshlrev_b32_e32 v4, 8, v4
	v_lshl_add_u32 v17, v17, 10, v40
	v_cndmask_b32_e64 v16, v16, v19, s[0:1]
	v_and_or_b32 v4, v4, s25, v17
	v_lshl_or_b32 v4, v16, 7, v4
	v_cvt_f32_f16_e32 v18, v4
.LBB245_694:                            ;   in Loop: Header=BB245_559 Depth=1
	s_or_b64 exec, exec, s[8:9]
	v_pk_mul_f32 v[22:23], v[20:21], v[36:37] op_sel_hi:[0,1]
	v_pk_mul_f32 v[24:25], v[20:21], v[26:27] op_sel_hi:[0,1]
	v_cvt_f16_f32_e32 v4, v23
	v_cvt_f16_f32_e32 v16, v22
	;; [unrolled: 1-line block ×4, first 2 shown]
	v_fma_mixlo_f16 v12, v20, v12, 0
	v_lshlrev_b32_e32 v12, 16, v12
	v_fma_mixlo_f16 v2, v20, v2, 0
	v_or_b32_sdwa v2, v12, v2 dst_sel:DWORD dst_unused:UNUSED_PAD src0_sel:DWORD src1_sel:WORD_0
	v_fma_mixlo_f16 v12, v20, v18, 0
	v_pack_b32_f16 v16, v16, v4
	v_pack_b32_f16 v17, v19, v17
	v_fma_mixlo_f16 v13, v20, v13, 0
	v_lshlrev_b32_e32 v12, 16, v12
	v_perm_b32 v4, v17, v16, s27
	v_perm_b32 v17, v17, v16, s28
	v_or_b32_sdwa v12, v12, v13 dst_sel:DWORD dst_unused:UNUSED_PAD src0_sel:DWORD src1_sel:WORD_0
	s_and_saveexec_b64 s[6:7], vcc
	s_cbranch_execz .LBB245_696
; %bb.695:                              ;   in Loop: Header=BB245_559 Depth=1
	v_lshrrev_b32_e32 v16, 16, v17
	v_cmp_lt_i32_e64 s[0:1], v56, v3
	v_accvgpr_read_b32 v18, a8
	v_lshrrev_b32_e32 v12, 16, v12
	v_cndmask_b32_e64 v16, 0, v16, s[0:1]
	v_cmp_lt_i32_e64 s[0:1], v43, v18
	s_nop 1
	v_cndmask_b32_e64 v17, 0, v17, s[0:1]
	v_perm_b32 v17, v16, v17, s29
	v_lshrrev_b32_e32 v16, 16, v4
	v_cmp_lt_i32_e64 s[0:1], v47, v3
	s_nop 1
	v_cndmask_b32_e64 v16, 0, v16, s[0:1]
	v_cmp_lt_i32_e64 s[0:1], v46, v18
	s_nop 1
	v_cndmask_b32_e64 v4, 0, v4, s[0:1]
	v_perm_b32 v4, v16, v4, s29
	v_lshrrev_b32_e32 v16, 16, v2
	v_cmp_lt_i32_e64 s[0:1], v45, v3
	s_nop 1
	v_cndmask_b32_e64 v16, 0, v16, s[0:1]
	v_cmp_lt_i32_e64 s[0:1], v44, v18
	s_nop 1
	v_cndmask_b32_e64 v2, 0, v2, s[0:1]
	v_cmp_lt_i32_e64 s[0:1], v42, v3
	v_perm_b32 v2, v16, v2, s29
	s_nop 0
	v_cndmask_b32_e64 v12, 0, v12, s[0:1]
	v_cmp_lt_i32_e64 s[0:1], v41, v18
	s_nop 1
	v_cndmask_b32_e64 v13, 0, v13, s[0:1]
	v_perm_b32 v12, v12, v13, s29
.LBB245_696:                            ;   in Loop: Header=BB245_559 Depth=1
	s_or_b64 exec, exec, s[6:7]
	;;#ASMSTART
	v_pk_mul_f16 v13, v60, v17;

	;;#ASMEND
	;;#ASMSTART
	v_pk_mul_f16 v4, v59, v4;

	;;#ASMEND
	;; [unrolled: 4-line block ×4, first 2 shown]
	v_accvgpr_read_b32 v19, a5
	;;#ASMSTART
	v_pk_add_f16 v4, v13, v4;

	;;#ASMEND
	v_accvgpr_read_b32 v18, a4
	;;#ASMSTART
	v_pk_add_f16 v2, v4, v2;

	;;#ASMEND
	s_mov_b64 s[0:1], 0
	;;#ASMSTART
	v_pk_add_f16 v2, v2, v12;

	;;#ASMEND
                                        ; implicit-def: $sgpr10
	s_nop 0
	v_lshrrev_b32_e32 v4, 16, v2
	v_and_b32_e32 v2, 0xffff, v2
	;;#ASMSTART
	v_cvt_f32_f16 v12, v2;
	;;#ASMEND
	;;#ASMSTART
	v_cvt_f32_f16 v17, v4;
	;;#ASMEND
	flat_load_dwordx2 v[24:25], v[14:15] offset:2048
	flat_load_dword v20, v[18:19]
	s_waitcnt vmcnt(0) lgkmcnt(0)
	v_cmp_gt_i16_sdwa s[6:7], v24, s19 src0_sel:BYTE_0 src1_sel:DWORD
	s_and_saveexec_b64 s[8:9], s[6:7]
	s_xor_b64 s[6:7], exec, s[8:9]
	s_cbranch_execnz .LBB245_960
; %bb.697:                              ;   in Loop: Header=BB245_559 Depth=1
	s_or_saveexec_b64 s[6:7], s[6:7]
	v_mov_b32_e32 v26, s10
	s_xor_b64 exec, exec, s[6:7]
	s_cbranch_execnz .LBB245_963
.LBB245_698:                            ;   in Loop: Header=BB245_559 Depth=1
	s_or_b64 exec, exec, s[6:7]
	s_and_saveexec_b64 s[6:7], s[0:1]
	s_cbranch_execz .LBB245_700
.LBB245_699:                            ;   in Loop: Header=BB245_559 Depth=1
	v_and_b32_e32 v2, 7, v24
	v_ffbh_u32_e32 v2, v2
	v_bfe_u32 v4, v24, 3, 4
	v_min_u32_e32 v2, 32, v2
	v_subrev_u32_e32 v13, 28, v2
	v_sub_u32_e32 v2, 29, v2
	v_cmp_eq_u32_e64 s[0:1], 0, v4
	s_nop 1
	v_cndmask_b32_e64 v2, v4, v2, s[0:1]
	v_cndmask_b32_e64 v4, 0, v13, s[0:1]
	v_lshlrev_b64 v[22:23], v4, v[24:25]
	v_lshlrev_b32_e32 v13, 8, v24
	v_lshl_add_u32 v2, v2, 10, v40
	v_lshlrev_b32_e32 v4, 7, v22
	v_and_or_b32 v2, v13, s25, v2
	v_and_or_b32 v2, v4, s26, v2
	v_cvt_f32_f16_e32 v26, v2
.LBB245_700:                            ;   in Loop: Header=BB245_559 Depth=1
	s_or_b64 exec, exec, s[6:7]
	v_lshrrev_b16_e32 v4, 8, v24
	v_cmp_lt_i16_e64 s[0:1], s19, v4
	s_mov_b64 s[6:7], 0
                                        ; implicit-def: $sgpr30
	s_and_saveexec_b64 s[8:9], s[0:1]
	s_xor_b64 s[8:9], exec, s[8:9]
	s_cbranch_execnz .LBB245_964
; %bb.701:                              ;   in Loop: Header=BB245_559 Depth=1
	s_or_saveexec_b64 s[8:9], s[8:9]
	v_mov_b32_e32 v36, s30
	s_xor_b64 exec, exec, s[8:9]
	s_cbranch_execnz .LBB245_967
.LBB245_702:                            ;   in Loop: Header=BB245_559 Depth=1
	s_or_b64 exec, exec, s[8:9]
	s_and_saveexec_b64 s[8:9], s[6:7]
	s_cbranch_execz .LBB245_704
.LBB245_703:                            ;   in Loop: Header=BB245_559 Depth=1
	v_and_b32_e32 v2, 7, v4
	v_ffbh_u32_e32 v16, v2
	v_bfe_u32 v13, v4, 3, 4
	v_min_u32_e32 v16, 32, v16
	v_subrev_u32_e32 v18, 28, v16
	v_sub_u32_e32 v16, 29, v16
	v_cmp_eq_u32_e64 s[0:1], 0, v13
	v_lshlrev_b64 v[22:23], v18, v[4:5]
	v_and_b32_e32 v18, 7, v22
	v_cndmask_b32_e64 v13, v13, v16, s[0:1]
	v_lshlrev_b32_e32 v4, 8, v4
	v_lshl_add_u32 v13, v13, 10, v40
	v_cndmask_b32_e64 v2, v2, v18, s[0:1]
	v_and_or_b32 v4, v4, s25, v13
	v_lshl_or_b32 v2, v2, 7, v4
	v_cvt_f32_f16_e32 v36, v2
.LBB245_704:                            ;   in Loop: Header=BB245_559 Depth=1
	s_or_b64 exec, exec, s[8:9]
	v_lshrrev_b32_e32 v4, 16, v24
	v_cmp_gt_i16_sdwa s[6:7], v4, s19 src0_sel:BYTE_0 src1_sel:DWORD
	s_mov_b64 s[0:1], 0
                                        ; implicit-def: $sgpr10
	s_and_saveexec_b64 s[8:9], s[6:7]
	s_xor_b64 s[6:7], exec, s[8:9]
	s_cbranch_execnz .LBB245_968
; %bb.705:                              ;   in Loop: Header=BB245_559 Depth=1
	s_or_saveexec_b64 s[6:7], s[6:7]
	v_mov_b32_e32 v27, s10
	s_xor_b64 exec, exec, s[6:7]
	s_cbranch_execnz .LBB245_971
.LBB245_706:                            ;   in Loop: Header=BB245_559 Depth=1
	s_or_b64 exec, exec, s[6:7]
	s_and_saveexec_b64 s[6:7], s[0:1]
	s_cbranch_execz .LBB245_708
.LBB245_707:                            ;   in Loop: Header=BB245_559 Depth=1
	v_bfe_u32 v2, v24, 16, 3
	v_ffbh_u32_e32 v16, v2
	v_bfe_u32 v13, v24, 19, 4
	v_min_u32_e32 v16, 32, v16
	v_subrev_u32_e32 v18, 28, v16
	v_sub_u32_e32 v16, 29, v16
	v_cmp_eq_u32_e64 s[0:1], 0, v13
	v_lshlrev_b64 v[22:23], v18, v[4:5]
	v_and_b32_e32 v18, 7, v22
	v_cndmask_b32_e64 v13, v13, v16, s[0:1]
	v_lshlrev_b32_e32 v4, 8, v4
	v_lshl_add_u32 v13, v13, 10, v40
	v_cndmask_b32_e64 v2, v2, v18, s[0:1]
	v_and_or_b32 v4, v4, s25, v13
	v_lshl_or_b32 v2, v2, 7, v4
	v_cvt_f32_f16_e32 v27, v2
.LBB245_708:                            ;   in Loop: Header=BB245_559 Depth=1
	s_or_b64 exec, exec, s[6:7]
	v_lshrrev_b32_e32 v4, 24, v24
	v_cmp_lt_i16_e64 s[0:1], s19, v4
	s_mov_b64 s[6:7], 0
                                        ; implicit-def: $sgpr30
	s_and_saveexec_b64 s[8:9], s[0:1]
	s_xor_b64 s[8:9], exec, s[8:9]
	s_cbranch_execnz .LBB245_972
; %bb.709:                              ;   in Loop: Header=BB245_559 Depth=1
	s_or_saveexec_b64 s[8:9], s[8:9]
	v_mov_b32_e32 v37, s30
	s_xor_b64 exec, exec, s[8:9]
	s_cbranch_execnz .LBB245_975
.LBB245_710:                            ;   in Loop: Header=BB245_559 Depth=1
	s_or_b64 exec, exec, s[8:9]
	s_and_saveexec_b64 s[8:9], s[6:7]
	s_cbranch_execz .LBB245_712
.LBB245_711:                            ;   in Loop: Header=BB245_559 Depth=1
	v_bfe_u32 v2, v24, 24, 3
	v_ffbh_u32_e32 v16, v2
	v_bfe_u32 v13, v24, 27, 4
	v_min_u32_e32 v16, 32, v16
	v_subrev_u32_e32 v18, 28, v16
	v_sub_u32_e32 v16, 29, v16
	v_cmp_eq_u32_e64 s[0:1], 0, v13
	v_lshlrev_b64 v[22:23], v18, v[4:5]
	v_and_b32_e32 v18, 7, v22
	v_cndmask_b32_e64 v13, v13, v16, s[0:1]
	v_lshlrev_b32_e32 v4, 8, v4
	v_lshl_add_u32 v13, v13, 10, v40
	v_cndmask_b32_e64 v2, v2, v18, s[0:1]
	v_and_or_b32 v4, v4, s25, v13
	v_lshl_or_b32 v2, v2, 7, v4
	v_cvt_f32_f16_e32 v37, v2
.LBB245_712:                            ;   in Loop: Header=BB245_559 Depth=1
	s_or_b64 exec, exec, s[8:9]
	v_cmp_gt_i16_sdwa s[6:7], v25, s19 src0_sel:BYTE_0 src1_sel:DWORD
	s_mov_b64 s[0:1], 0
                                        ; implicit-def: $sgpr10
	s_and_saveexec_b64 s[8:9], s[6:7]
	s_xor_b64 s[6:7], exec, s[8:9]
	s_cbranch_execnz .LBB245_976
; %bb.713:                              ;   in Loop: Header=BB245_559 Depth=1
	s_or_saveexec_b64 s[6:7], s[6:7]
	v_mov_b32_e32 v2, s10
	s_xor_b64 exec, exec, s[6:7]
	s_cbranch_execnz .LBB245_979
.LBB245_714:                            ;   in Loop: Header=BB245_559 Depth=1
	s_or_b64 exec, exec, s[6:7]
	v_mov_b32_e32 v4, v25
	s_and_saveexec_b64 s[6:7], s[0:1]
	s_cbranch_execz .LBB245_716
.LBB245_715:                            ;   in Loop: Header=BB245_559 Depth=1
	v_and_b32_e32 v2, 7, v25
	v_ffbh_u32_e32 v2, v2
	v_bfe_u32 v13, v25, 3, 4
	v_min_u32_e32 v2, 32, v2
	v_subrev_u32_e32 v16, 28, v2
	v_sub_u32_e32 v2, 29, v2
	v_cmp_eq_u32_e64 s[0:1], 0, v13
	s_nop 1
	v_cndmask_b32_e64 v2, v13, v2, s[0:1]
	v_cndmask_b32_e64 v13, 0, v16, s[0:1]
	v_lshlrev_b64 v[22:23], v13, v[4:5]
	v_lshlrev_b32_e32 v16, 8, v25
	v_lshl_add_u32 v2, v2, 10, v40
	v_lshlrev_b32_e32 v13, 7, v22
	v_and_or_b32 v2, v16, s25, v2
	v_and_or_b32 v2, v13, s26, v2
	v_cvt_f32_f16_e32 v2, v2
.LBB245_716:                            ;   in Loop: Header=BB245_559 Depth=1
	s_or_b64 exec, exec, s[6:7]
	v_lshrrev_b16_e32 v4, 8, v4
	v_cmp_lt_i16_e64 s[0:1], s19, v4
	s_mov_b64 s[6:7], 0
                                        ; implicit-def: $sgpr30
	s_and_saveexec_b64 s[8:9], s[0:1]
	s_xor_b64 s[8:9], exec, s[8:9]
	s_cbranch_execnz .LBB245_980
; %bb.717:                              ;   in Loop: Header=BB245_559 Depth=1
	s_or_saveexec_b64 s[8:9], s[8:9]
	v_mov_b32_e32 v13, s30
	s_xor_b64 exec, exec, s[8:9]
	s_cbranch_execnz .LBB245_983
.LBB245_718:                            ;   in Loop: Header=BB245_559 Depth=1
	s_or_b64 exec, exec, s[8:9]
	s_and_saveexec_b64 s[8:9], s[6:7]
	s_cbranch_execz .LBB245_720
.LBB245_719:                            ;   in Loop: Header=BB245_559 Depth=1
	v_and_b32_e32 v13, 7, v4
	v_ffbh_u32_e32 v18, v13
	v_bfe_u32 v16, v4, 3, 4
	v_min_u32_e32 v18, 32, v18
	v_subrev_u32_e32 v19, 28, v18
	v_sub_u32_e32 v18, 29, v18
	v_cmp_eq_u32_e64 s[0:1], 0, v16
	v_lshlrev_b64 v[22:23], v19, v[4:5]
	v_and_b32_e32 v19, 7, v22
	v_cndmask_b32_e64 v16, v16, v18, s[0:1]
	v_lshlrev_b32_e32 v4, 8, v4
	v_lshl_add_u32 v16, v16, 10, v40
	v_cndmask_b32_e64 v13, v13, v19, s[0:1]
	v_and_or_b32 v4, v4, s25, v16
	v_lshl_or_b32 v4, v13, 7, v4
	v_cvt_f32_f16_e32 v13, v4
.LBB245_720:                            ;   in Loop: Header=BB245_559 Depth=1
	s_or_b64 exec, exec, s[8:9]
	v_lshrrev_b32_e32 v4, 16, v25
	v_cmp_gt_i16_sdwa s[6:7], v4, s19 src0_sel:BYTE_0 src1_sel:DWORD
	s_mov_b64 s[0:1], 0
                                        ; implicit-def: $sgpr10
	s_and_saveexec_b64 s[8:9], s[6:7]
	s_xor_b64 s[6:7], exec, s[8:9]
	s_cbranch_execnz .LBB245_984
; %bb.721:                              ;   in Loop: Header=BB245_559 Depth=1
	s_or_saveexec_b64 s[6:7], s[6:7]
	v_mov_b32_e32 v18, s10
	s_xor_b64 exec, exec, s[6:7]
	s_cbranch_execnz .LBB245_987
.LBB245_722:                            ;   in Loop: Header=BB245_559 Depth=1
	s_or_b64 exec, exec, s[6:7]
	s_and_saveexec_b64 s[6:7], s[0:1]
	s_cbranch_execz .LBB245_724
.LBB245_723:                            ;   in Loop: Header=BB245_559 Depth=1
	v_bfe_u32 v16, v25, 16, 3
	v_ffbh_u32_e32 v19, v16
	v_bfe_u32 v18, v25, 19, 4
	v_min_u32_e32 v19, 32, v19
	v_subrev_u32_e32 v21, 28, v19
	v_sub_u32_e32 v19, 29, v19
	v_cmp_eq_u32_e64 s[0:1], 0, v18
	v_lshlrev_b64 v[22:23], v21, v[4:5]
	v_and_b32_e32 v21, 7, v22
	v_cndmask_b32_e64 v18, v18, v19, s[0:1]
	v_lshlrev_b32_e32 v4, 8, v4
	v_lshl_add_u32 v18, v18, 10, v40
	v_cndmask_b32_e64 v16, v16, v21, s[0:1]
	v_and_or_b32 v4, v4, s25, v18
	v_lshl_or_b32 v4, v16, 7, v4
	v_cvt_f32_f16_e32 v18, v4
.LBB245_724:                            ;   in Loop: Header=BB245_559 Depth=1
	s_or_b64 exec, exec, s[6:7]
	v_lshrrev_b32_e32 v4, 24, v25
	v_cmp_lt_i16_e64 s[0:1], s19, v4
	s_mov_b64 s[6:7], 0
                                        ; implicit-def: $sgpr30
	s_and_saveexec_b64 s[8:9], s[0:1]
	s_xor_b64 s[8:9], exec, s[8:9]
	s_cbranch_execnz .LBB245_988
; %bb.725:                              ;   in Loop: Header=BB245_559 Depth=1
	s_or_saveexec_b64 s[8:9], s[8:9]
	v_mov_b32_e32 v22, s30
	s_xor_b64 exec, exec, s[8:9]
	s_cbranch_execnz .LBB245_991
.LBB245_726:                            ;   in Loop: Header=BB245_559 Depth=1
	s_or_b64 exec, exec, s[8:9]
	s_and_saveexec_b64 s[8:9], s[6:7]
	s_cbranch_execz .LBB245_728
.LBB245_727:                            ;   in Loop: Header=BB245_559 Depth=1
	v_bfe_u32 v16, v25, 24, 3
	v_ffbh_u32_e32 v21, v16
	v_bfe_u32 v19, v25, 27, 4
	v_min_u32_e32 v21, 32, v21
	v_subrev_u32_e32 v22, 28, v21
	v_sub_u32_e32 v21, 29, v21
	v_cmp_eq_u32_e64 s[0:1], 0, v19
	v_lshlrev_b64 v[22:23], v22, v[4:5]
	v_and_b32_e32 v22, 7, v22
	v_cndmask_b32_e64 v19, v19, v21, s[0:1]
	v_lshlrev_b32_e32 v4, 8, v4
	v_lshl_add_u32 v19, v19, 10, v40
	v_cndmask_b32_e64 v16, v16, v22, s[0:1]
	v_and_or_b32 v4, v4, s25, v19
	v_lshl_or_b32 v4, v16, 7, v4
	v_cvt_f32_f16_e32 v22, v4
.LBB245_728:                            ;   in Loop: Header=BB245_559 Depth=1
	s_or_b64 exec, exec, s[8:9]
	v_pk_mul_f32 v[24:25], v[20:21], v[36:37] op_sel_hi:[0,1]
	v_pk_mul_f32 v[26:27], v[20:21], v[26:27] op_sel_hi:[0,1]
	v_cvt_f16_f32_e32 v4, v25
	v_cvt_f16_f32_e32 v16, v24
	;; [unrolled: 1-line block ×4, first 2 shown]
	v_fma_mixlo_f16 v13, v20, v13, 0
	v_lshlrev_b32_e32 v13, 16, v13
	v_fma_mixlo_f16 v2, v20, v2, 0
	v_or_b32_sdwa v2, v13, v2 dst_sel:DWORD dst_unused:UNUSED_PAD src0_sel:DWORD src1_sel:WORD_0
	v_fma_mixlo_f16 v13, v20, v22, 0
	v_pack_b32_f16 v16, v16, v4
	v_pack_b32_f16 v19, v21, v19
	v_fma_mixlo_f16 v18, v20, v18, 0
	v_lshlrev_b32_e32 v13, 16, v13
	v_perm_b32 v4, v19, v16, s27
	v_perm_b32 v21, v19, v16, s28
	v_or_b32_sdwa v13, v13, v18 dst_sel:DWORD dst_unused:UNUSED_PAD src0_sel:DWORD src1_sel:WORD_0
	s_and_saveexec_b64 s[6:7], vcc
	s_cbranch_execz .LBB245_730
; %bb.729:                              ;   in Loop: Header=BB245_559 Depth=1
	v_lshrrev_b32_e32 v16, 16, v21
	v_cmp_lt_i32_e64 s[0:1], v56, v3
	v_accvgpr_read_b32 v20, a8
	v_lshrrev_b32_e32 v13, 16, v13
	v_cndmask_b32_e64 v16, 0, v16, s[0:1]
	v_cmp_lt_i32_e64 s[0:1], v43, v20
	s_nop 1
	v_cndmask_b32_e64 v19, 0, v21, s[0:1]
	v_perm_b32 v21, v16, v19, s29
	v_lshrrev_b32_e32 v16, 16, v4
	v_cmp_lt_i32_e64 s[0:1], v47, v3
	s_nop 1
	v_cndmask_b32_e64 v16, 0, v16, s[0:1]
	v_cmp_lt_i32_e64 s[0:1], v46, v20
	s_nop 1
	v_cndmask_b32_e64 v4, 0, v4, s[0:1]
	v_perm_b32 v4, v16, v4, s29
	v_lshrrev_b32_e32 v16, 16, v2
	v_cmp_lt_i32_e64 s[0:1], v45, v3
	s_nop 1
	v_cndmask_b32_e64 v16, 0, v16, s[0:1]
	v_cmp_lt_i32_e64 s[0:1], v44, v20
	s_nop 1
	v_cndmask_b32_e64 v2, 0, v2, s[0:1]
	v_cmp_lt_i32_e64 s[0:1], v42, v3
	v_perm_b32 v2, v16, v2, s29
	s_nop 0
	v_cndmask_b32_e64 v13, 0, v13, s[0:1]
	v_cmp_lt_i32_e64 s[0:1], v41, v20
	s_nop 1
	v_cndmask_b32_e64 v16, 0, v18, s[0:1]
	v_perm_b32 v13, v13, v16, s29
.LBB245_730:                            ;   in Loop: Header=BB245_559 Depth=1
	s_or_b64 exec, exec, s[6:7]
	;;#ASMSTART
	v_pk_mul_f16 v16, v60, v21;

	;;#ASMEND
	;;#ASMSTART
	v_pk_mul_f16 v4, v59, v4;

	;;#ASMEND
	;; [unrolled: 4-line block ×4, first 2 shown]
	v_accvgpr_read_b32 v21, a5
	;;#ASMSTART
	v_pk_add_f16 v4, v16, v4;

	;;#ASMEND
	v_accvgpr_read_b32 v20, a4
	;;#ASMSTART
	v_pk_add_f16 v2, v4, v2;

	;;#ASMEND
	s_mov_b64 s[0:1], 0
	;;#ASMSTART
	v_pk_add_f16 v2, v2, v13;

	;;#ASMEND
                                        ; implicit-def: $sgpr10
	s_nop 0
	v_lshrrev_b32_e32 v4, 16, v2
	v_and_b32_e32 v2, 0xffff, v2
	;;#ASMSTART
	v_cvt_f32_f16 v18, v2;
	;;#ASMEND
	;;#ASMSTART
	v_cvt_f32_f16 v39, v4;
	;;#ASMEND
	flat_load_dwordx2 v[24:25], v[14:15] offset:2560
	s_waitcnt vmcnt(0) lgkmcnt(0)
	v_cmp_gt_i16_sdwa s[6:7], v24, s19 src0_sel:BYTE_0 src1_sel:DWORD
	flat_load_dword v20, v[20:21]
	s_and_saveexec_b64 s[8:9], s[6:7]
	s_xor_b64 s[6:7], exec, s[8:9]
	s_cbranch_execnz .LBB245_992
; %bb.731:                              ;   in Loop: Header=BB245_559 Depth=1
	s_or_saveexec_b64 s[6:7], s[6:7]
	v_mov_b32_e32 v26, s10
	s_xor_b64 exec, exec, s[6:7]
	s_cbranch_execnz .LBB245_995
.LBB245_732:                            ;   in Loop: Header=BB245_559 Depth=1
	s_or_b64 exec, exec, s[6:7]
	s_and_saveexec_b64 s[6:7], s[0:1]
	s_cbranch_execz .LBB245_734
.LBB245_733:                            ;   in Loop: Header=BB245_559 Depth=1
	v_and_b32_e32 v2, 7, v24
	v_ffbh_u32_e32 v2, v2
	v_bfe_u32 v4, v24, 3, 4
	v_min_u32_e32 v2, 32, v2
	v_subrev_u32_e32 v13, 28, v2
	v_sub_u32_e32 v2, 29, v2
	v_cmp_eq_u32_e64 s[0:1], 0, v4
	s_nop 1
	v_cndmask_b32_e64 v2, v4, v2, s[0:1]
	v_cndmask_b32_e64 v4, 0, v13, s[0:1]
	v_lshlrev_b64 v[22:23], v4, v[24:25]
	v_lshlrev_b32_e32 v13, 8, v24
	v_lshl_add_u32 v2, v2, 10, v40
	v_lshlrev_b32_e32 v4, 7, v22
	v_and_or_b32 v2, v13, s25, v2
	v_and_or_b32 v2, v4, s26, v2
	v_cvt_f32_f16_e32 v26, v2
.LBB245_734:                            ;   in Loop: Header=BB245_559 Depth=1
	s_or_b64 exec, exec, s[6:7]
	v_lshrrev_b16_e32 v4, 8, v24
	v_cmp_lt_i16_e64 s[0:1], s19, v4
	s_mov_b64 s[6:7], 0
                                        ; implicit-def: $sgpr30
	s_and_saveexec_b64 s[8:9], s[0:1]
	s_xor_b64 s[8:9], exec, s[8:9]
	s_cbranch_execnz .LBB245_996
; %bb.735:                              ;   in Loop: Header=BB245_559 Depth=1
	s_or_saveexec_b64 s[8:9], s[8:9]
	v_mov_b32_e32 v36, s30
	s_xor_b64 exec, exec, s[8:9]
	s_cbranch_execnz .LBB245_999
.LBB245_736:                            ;   in Loop: Header=BB245_559 Depth=1
	s_or_b64 exec, exec, s[8:9]
	s_and_saveexec_b64 s[8:9], s[6:7]
	s_cbranch_execz .LBB245_738
.LBB245_737:                            ;   in Loop: Header=BB245_559 Depth=1
	v_and_b32_e32 v2, 7, v4
	v_ffbh_u32_e32 v16, v2
	v_bfe_u32 v13, v4, 3, 4
	v_min_u32_e32 v16, 32, v16
	v_subrev_u32_e32 v19, 28, v16
	v_sub_u32_e32 v16, 29, v16
	v_cmp_eq_u32_e64 s[0:1], 0, v13
	v_lshlrev_b64 v[22:23], v19, v[4:5]
	v_and_b32_e32 v19, 7, v22
	v_cndmask_b32_e64 v13, v13, v16, s[0:1]
	v_lshlrev_b32_e32 v4, 8, v4
	v_lshl_add_u32 v13, v13, 10, v40
	v_cndmask_b32_e64 v2, v2, v19, s[0:1]
	v_and_or_b32 v4, v4, s25, v13
	v_lshl_or_b32 v2, v2, 7, v4
	v_cvt_f32_f16_e32 v36, v2
.LBB245_738:                            ;   in Loop: Header=BB245_559 Depth=1
	s_or_b64 exec, exec, s[8:9]
	v_lshrrev_b32_e32 v4, 16, v24
	v_cmp_gt_i16_sdwa s[6:7], v4, s19 src0_sel:BYTE_0 src1_sel:DWORD
	s_mov_b64 s[0:1], 0
                                        ; implicit-def: $sgpr10
	s_and_saveexec_b64 s[8:9], s[6:7]
	s_xor_b64 s[6:7], exec, s[8:9]
	s_cbranch_execnz .LBB245_1000
; %bb.739:                              ;   in Loop: Header=BB245_559 Depth=1
	s_or_saveexec_b64 s[6:7], s[6:7]
	v_mov_b32_e32 v27, s10
	s_xor_b64 exec, exec, s[6:7]
	s_cbranch_execnz .LBB245_1003
.LBB245_740:                            ;   in Loop: Header=BB245_559 Depth=1
	s_or_b64 exec, exec, s[6:7]
	s_and_saveexec_b64 s[6:7], s[0:1]
	s_cbranch_execz .LBB245_742
.LBB245_741:                            ;   in Loop: Header=BB245_559 Depth=1
	v_bfe_u32 v2, v24, 16, 3
	v_ffbh_u32_e32 v16, v2
	v_bfe_u32 v13, v24, 19, 4
	v_min_u32_e32 v16, 32, v16
	v_subrev_u32_e32 v19, 28, v16
	v_sub_u32_e32 v16, 29, v16
	v_cmp_eq_u32_e64 s[0:1], 0, v13
	v_lshlrev_b64 v[22:23], v19, v[4:5]
	v_and_b32_e32 v19, 7, v22
	v_cndmask_b32_e64 v13, v13, v16, s[0:1]
	v_lshlrev_b32_e32 v4, 8, v4
	v_lshl_add_u32 v13, v13, 10, v40
	v_cndmask_b32_e64 v2, v2, v19, s[0:1]
	v_and_or_b32 v4, v4, s25, v13
	v_lshl_or_b32 v2, v2, 7, v4
	v_cvt_f32_f16_e32 v27, v2
.LBB245_742:                            ;   in Loop: Header=BB245_559 Depth=1
	s_or_b64 exec, exec, s[6:7]
	v_lshrrev_b32_e32 v4, 24, v24
	v_cmp_lt_i16_e64 s[0:1], s19, v4
	s_mov_b64 s[6:7], 0
                                        ; implicit-def: $sgpr30
	s_and_saveexec_b64 s[8:9], s[0:1]
	s_xor_b64 s[8:9], exec, s[8:9]
	s_cbranch_execnz .LBB245_1004
; %bb.743:                              ;   in Loop: Header=BB245_559 Depth=1
	s_or_saveexec_b64 s[8:9], s[8:9]
	v_mov_b32_e32 v37, s30
	s_xor_b64 exec, exec, s[8:9]
	s_cbranch_execnz .LBB245_1007
.LBB245_744:                            ;   in Loop: Header=BB245_559 Depth=1
	s_or_b64 exec, exec, s[8:9]
	s_and_saveexec_b64 s[8:9], s[6:7]
	s_cbranch_execz .LBB245_746
.LBB245_745:                            ;   in Loop: Header=BB245_559 Depth=1
	v_bfe_u32 v2, v24, 24, 3
	v_ffbh_u32_e32 v16, v2
	v_bfe_u32 v13, v24, 27, 4
	v_min_u32_e32 v16, 32, v16
	v_subrev_u32_e32 v19, 28, v16
	v_sub_u32_e32 v16, 29, v16
	v_cmp_eq_u32_e64 s[0:1], 0, v13
	v_lshlrev_b64 v[22:23], v19, v[4:5]
	v_and_b32_e32 v19, 7, v22
	v_cndmask_b32_e64 v13, v13, v16, s[0:1]
	v_lshlrev_b32_e32 v4, 8, v4
	v_lshl_add_u32 v13, v13, 10, v40
	v_cndmask_b32_e64 v2, v2, v19, s[0:1]
	v_and_or_b32 v4, v4, s25, v13
	v_lshl_or_b32 v2, v2, 7, v4
	v_cvt_f32_f16_e32 v37, v2
.LBB245_746:                            ;   in Loop: Header=BB245_559 Depth=1
	s_or_b64 exec, exec, s[8:9]
	v_cmp_gt_i16_sdwa s[6:7], v25, s19 src0_sel:BYTE_0 src1_sel:DWORD
	s_mov_b64 s[0:1], 0
                                        ; implicit-def: $sgpr10
	s_and_saveexec_b64 s[8:9], s[6:7]
	s_xor_b64 s[6:7], exec, s[8:9]
	s_cbranch_execnz .LBB245_1008
; %bb.747:                              ;   in Loop: Header=BB245_559 Depth=1
	s_or_saveexec_b64 s[6:7], s[6:7]
	v_mov_b32_e32 v2, s10
	s_xor_b64 exec, exec, s[6:7]
	s_cbranch_execnz .LBB245_1011
.LBB245_748:                            ;   in Loop: Header=BB245_559 Depth=1
	s_or_b64 exec, exec, s[6:7]
	v_mov_b32_e32 v4, v25
	s_and_saveexec_b64 s[6:7], s[0:1]
	s_cbranch_execz .LBB245_750
.LBB245_749:                            ;   in Loop: Header=BB245_559 Depth=1
	v_and_b32_e32 v2, 7, v25
	v_ffbh_u32_e32 v2, v2
	v_bfe_u32 v13, v25, 3, 4
	v_min_u32_e32 v2, 32, v2
	v_subrev_u32_e32 v16, 28, v2
	v_sub_u32_e32 v2, 29, v2
	v_cmp_eq_u32_e64 s[0:1], 0, v13
	s_nop 1
	v_cndmask_b32_e64 v2, v13, v2, s[0:1]
	v_cndmask_b32_e64 v13, 0, v16, s[0:1]
	v_lshlrev_b64 v[22:23], v13, v[4:5]
	v_lshlrev_b32_e32 v16, 8, v25
	v_lshl_add_u32 v2, v2, 10, v40
	v_lshlrev_b32_e32 v13, 7, v22
	v_and_or_b32 v2, v16, s25, v2
	v_and_or_b32 v2, v13, s26, v2
	v_cvt_f32_f16_e32 v2, v2
.LBB245_750:                            ;   in Loop: Header=BB245_559 Depth=1
	s_or_b64 exec, exec, s[6:7]
	v_lshrrev_b16_e32 v4, 8, v4
	v_cmp_lt_i16_e64 s[0:1], s19, v4
	s_mov_b64 s[6:7], 0
                                        ; implicit-def: $sgpr30
	s_and_saveexec_b64 s[8:9], s[0:1]
	s_xor_b64 s[8:9], exec, s[8:9]
	s_cbranch_execnz .LBB245_1012
; %bb.751:                              ;   in Loop: Header=BB245_559 Depth=1
	s_or_saveexec_b64 s[8:9], s[8:9]
	v_mov_b32_e32 v13, s30
	s_xor_b64 exec, exec, s[8:9]
	s_cbranch_execnz .LBB245_1015
.LBB245_752:                            ;   in Loop: Header=BB245_559 Depth=1
	s_or_b64 exec, exec, s[8:9]
	s_and_saveexec_b64 s[8:9], s[6:7]
	s_cbranch_execz .LBB245_754
.LBB245_753:                            ;   in Loop: Header=BB245_559 Depth=1
	v_and_b32_e32 v13, 7, v4
	v_ffbh_u32_e32 v19, v13
	v_bfe_u32 v16, v4, 3, 4
	v_min_u32_e32 v19, 32, v19
	v_subrev_u32_e32 v21, 28, v19
	v_sub_u32_e32 v19, 29, v19
	v_cmp_eq_u32_e64 s[0:1], 0, v16
	v_lshlrev_b64 v[22:23], v21, v[4:5]
	v_and_b32_e32 v21, 7, v22
	v_cndmask_b32_e64 v16, v16, v19, s[0:1]
	v_lshlrev_b32_e32 v4, 8, v4
	v_lshl_add_u32 v16, v16, 10, v40
	v_cndmask_b32_e64 v13, v13, v21, s[0:1]
	v_and_or_b32 v4, v4, s25, v16
	v_lshl_or_b32 v4, v13, 7, v4
	v_cvt_f32_f16_e32 v13, v4
.LBB245_754:                            ;   in Loop: Header=BB245_559 Depth=1
	s_or_b64 exec, exec, s[8:9]
	v_lshrrev_b32_e32 v4, 16, v25
	v_cmp_gt_i16_sdwa s[6:7], v4, s19 src0_sel:BYTE_0 src1_sel:DWORD
	s_mov_b64 s[0:1], 0
                                        ; implicit-def: $sgpr10
	s_and_saveexec_b64 s[8:9], s[6:7]
	s_xor_b64 s[6:7], exec, s[8:9]
	s_cbranch_execnz .LBB245_1016
; %bb.755:                              ;   in Loop: Header=BB245_559 Depth=1
	s_or_saveexec_b64 s[6:7], s[6:7]
	v_mov_b32_e32 v21, s10
	s_xor_b64 exec, exec, s[6:7]
	s_cbranch_execnz .LBB245_1019
.LBB245_756:                            ;   in Loop: Header=BB245_559 Depth=1
	s_or_b64 exec, exec, s[6:7]
	s_and_saveexec_b64 s[6:7], s[0:1]
	s_cbranch_execz .LBB245_758
.LBB245_757:                            ;   in Loop: Header=BB245_559 Depth=1
	v_bfe_u32 v16, v25, 16, 3
	v_ffbh_u32_e32 v21, v16
	v_bfe_u32 v19, v25, 19, 4
	v_min_u32_e32 v21, 32, v21
	v_subrev_u32_e32 v22, 28, v21
	v_sub_u32_e32 v21, 29, v21
	v_cmp_eq_u32_e64 s[0:1], 0, v19
	v_lshlrev_b64 v[22:23], v22, v[4:5]
	v_and_b32_e32 v22, 7, v22
	v_cndmask_b32_e64 v19, v19, v21, s[0:1]
	v_lshlrev_b32_e32 v4, 8, v4
	v_lshl_add_u32 v19, v19, 10, v40
	v_cndmask_b32_e64 v16, v16, v22, s[0:1]
	v_and_or_b32 v4, v4, s25, v19
	v_lshl_or_b32 v4, v16, 7, v4
	v_cvt_f32_f16_e32 v21, v4
.LBB245_758:                            ;   in Loop: Header=BB245_559 Depth=1
	s_or_b64 exec, exec, s[6:7]
	v_lshrrev_b32_e32 v4, 24, v25
	v_cmp_lt_i16_e64 s[0:1], s19, v4
	s_mov_b64 s[6:7], 0
                                        ; implicit-def: $sgpr30
	s_and_saveexec_b64 s[8:9], s[0:1]
	s_xor_b64 s[8:9], exec, s[8:9]
	s_cbranch_execnz .LBB245_1020
; %bb.759:                              ;   in Loop: Header=BB245_559 Depth=1
	s_or_saveexec_b64 s[8:9], s[8:9]
	v_mov_b32_e32 v23, s30
	s_xor_b64 exec, exec, s[8:9]
	s_cbranch_execnz .LBB245_1023
.LBB245_760:                            ;   in Loop: Header=BB245_559 Depth=1
	s_or_b64 exec, exec, s[8:9]
	s_and_saveexec_b64 s[8:9], s[6:7]
	s_cbranch_execz .LBB245_762
.LBB245_761:                            ;   in Loop: Header=BB245_559 Depth=1
	v_bfe_u32 v16, v25, 24, 3
	v_ffbh_u32_e32 v22, v16
	v_min_u32_e32 v24, 32, v22
	v_subrev_u32_e32 v22, 28, v24
	v_bfe_u32 v19, v25, 27, 4
	v_lshlrev_b64 v[22:23], v22, v[4:5]
	v_sub_u32_e32 v23, 29, v24
	v_cmp_eq_u32_e64 s[0:1], 0, v19
	v_and_b32_e32 v22, 7, v22
	v_lshlrev_b32_e32 v4, 8, v4
	v_cndmask_b32_e64 v19, v19, v23, s[0:1]
	v_lshl_add_u32 v19, v19, 10, v40
	v_cndmask_b32_e64 v16, v16, v22, s[0:1]
	v_and_or_b32 v4, v4, s25, v19
	v_lshl_or_b32 v4, v16, 7, v4
	v_cvt_f32_f16_e32 v23, v4
.LBB245_762:                            ;   in Loop: Header=BB245_559 Depth=1
	s_or_b64 exec, exec, s[8:9]
	s_waitcnt vmcnt(0) lgkmcnt(0)
	v_pk_mul_f32 v[24:25], v[20:21], v[36:37] op_sel_hi:[0,1]
	v_pk_mul_f32 v[26:27], v[20:21], v[26:27] op_sel_hi:[0,1]
	v_cvt_f16_f32_e32 v4, v25
	v_cvt_f16_f32_e32 v16, v24
	;; [unrolled: 1-line block ×4, first 2 shown]
	v_fma_mixlo_f16 v13, v20, v13, 0
	v_lshlrev_b32_e32 v13, 16, v13
	v_fma_mixlo_f16 v2, v20, v2, 0
	v_or_b32_sdwa v2, v13, v2 dst_sel:DWORD dst_unused:UNUSED_PAD src0_sel:DWORD src1_sel:WORD_0
	v_fma_mixlo_f16 v13, v20, v23, 0
	v_pack_b32_f16 v16, v16, v4
	v_pack_b32_f16 v19, v22, v19
	v_fma_mixlo_f16 v21, v20, v21, 0
	v_lshlrev_b32_e32 v13, 16, v13
	v_perm_b32 v4, v19, v16, s27
	v_perm_b32 v22, v19, v16, s28
	v_or_b32_sdwa v13, v13, v21 dst_sel:DWORD dst_unused:UNUSED_PAD src0_sel:DWORD src1_sel:WORD_0
	s_and_saveexec_b64 s[6:7], vcc
	s_cbranch_execz .LBB245_764
; %bb.763:                              ;   in Loop: Header=BB245_559 Depth=1
	v_lshrrev_b32_e32 v16, 16, v22
	v_cmp_lt_i32_e64 s[0:1], v56, v3
	v_accvgpr_read_b32 v20, a8
	v_lshrrev_b32_e32 v13, 16, v13
	v_cndmask_b32_e64 v16, 0, v16, s[0:1]
	v_cmp_lt_i32_e64 s[0:1], v43, v20
	s_nop 1
	v_cndmask_b32_e64 v19, 0, v22, s[0:1]
	v_perm_b32 v22, v16, v19, s29
	v_lshrrev_b32_e32 v16, 16, v4
	v_cmp_lt_i32_e64 s[0:1], v47, v3
	s_nop 1
	v_cndmask_b32_e64 v16, 0, v16, s[0:1]
	v_cmp_lt_i32_e64 s[0:1], v46, v20
	s_nop 1
	v_cndmask_b32_e64 v4, 0, v4, s[0:1]
	v_perm_b32 v4, v16, v4, s29
	v_lshrrev_b32_e32 v16, 16, v2
	v_cmp_lt_i32_e64 s[0:1], v45, v3
	s_nop 1
	v_cndmask_b32_e64 v16, 0, v16, s[0:1]
	v_cmp_lt_i32_e64 s[0:1], v44, v20
	s_nop 1
	v_cndmask_b32_e64 v2, 0, v2, s[0:1]
	v_cmp_lt_i32_e64 s[0:1], v42, v3
	v_perm_b32 v2, v16, v2, s29
	s_nop 0
	v_cndmask_b32_e64 v13, 0, v13, s[0:1]
	v_cmp_lt_i32_e64 s[0:1], v41, v20
	s_nop 1
	v_cndmask_b32_e64 v16, 0, v21, s[0:1]
	v_perm_b32 v13, v13, v16, s29
.LBB245_764:                            ;   in Loop: Header=BB245_559 Depth=1
	s_or_b64 exec, exec, s[6:7]
	;;#ASMSTART
	v_pk_mul_f16 v16, v60, v22;

	;;#ASMEND
	;;#ASMSTART
	v_pk_mul_f16 v4, v59, v4;

	;;#ASMEND
	;; [unrolled: 4-line block ×4, first 2 shown]
	v_accvgpr_read_b32 v21, a5
	;;#ASMSTART
	v_pk_add_f16 v4, v16, v4;

	;;#ASMEND
	v_accvgpr_read_b32 v20, a4
	;;#ASMSTART
	v_pk_add_f16 v2, v4, v2;

	;;#ASMEND
	s_mov_b64 s[0:1], 0
	;;#ASMSTART
	v_pk_add_f16 v2, v2, v13;

	;;#ASMEND
                                        ; implicit-def: $sgpr10
	s_nop 0
	v_lshrrev_b32_e32 v4, 16, v2
	v_and_b32_e32 v2, 0xffff, v2
	;;#ASMSTART
	v_cvt_f32_f16 v2, v2;
	;;#ASMEND
	;;#ASMSTART
	v_cvt_f32_f16 v38, v4;
	;;#ASMEND
	flat_load_dwordx2 v[24:25], v[14:15] offset:3072
	s_waitcnt vmcnt(0) lgkmcnt(0)
	v_cmp_gt_i16_sdwa s[6:7], v24, s19 src0_sel:BYTE_0 src1_sel:DWORD
	flat_load_dword v20, v[20:21]
	s_and_saveexec_b64 s[8:9], s[6:7]
	s_xor_b64 s[6:7], exec, s[8:9]
	s_cbranch_execnz .LBB245_1024
; %bb.765:                              ;   in Loop: Header=BB245_559 Depth=1
	s_or_saveexec_b64 s[6:7], s[6:7]
	v_mov_b32_e32 v26, s10
	s_xor_b64 exec, exec, s[6:7]
	s_cbranch_execnz .LBB245_1027
.LBB245_766:                            ;   in Loop: Header=BB245_559 Depth=1
	s_or_b64 exec, exec, s[6:7]
	s_and_saveexec_b64 s[6:7], s[0:1]
	s_cbranch_execz .LBB245_768
.LBB245_767:                            ;   in Loop: Header=BB245_559 Depth=1
	v_and_b32_e32 v4, 7, v24
	v_ffbh_u32_e32 v4, v4
	v_bfe_u32 v13, v24, 3, 4
	v_min_u32_e32 v4, 32, v4
	v_subrev_u32_e32 v16, 28, v4
	v_sub_u32_e32 v4, 29, v4
	v_cmp_eq_u32_e64 s[0:1], 0, v13
	s_nop 1
	v_cndmask_b32_e64 v4, v13, v4, s[0:1]
	v_cndmask_b32_e64 v13, 0, v16, s[0:1]
	v_lshlrev_b64 v[22:23], v13, v[24:25]
	v_lshlrev_b32_e32 v16, 8, v24
	v_lshl_add_u32 v4, v4, 10, v40
	v_lshlrev_b32_e32 v13, 7, v22
	v_and_or_b32 v4, v16, s25, v4
	v_and_or_b32 v4, v13, s26, v4
	v_cvt_f32_f16_e32 v26, v4
.LBB245_768:                            ;   in Loop: Header=BB245_559 Depth=1
	s_or_b64 exec, exec, s[6:7]
	v_lshrrev_b16_e32 v4, 8, v24
	v_cmp_lt_i16_e64 s[0:1], s19, v4
	s_mov_b64 s[6:7], 0
                                        ; implicit-def: $sgpr30
	s_and_saveexec_b64 s[8:9], s[0:1]
	s_xor_b64 s[8:9], exec, s[8:9]
	s_cbranch_execnz .LBB245_1028
; %bb.769:                              ;   in Loop: Header=BB245_559 Depth=1
	s_or_saveexec_b64 s[8:9], s[8:9]
	v_mov_b32_e32 v36, s30
	s_xor_b64 exec, exec, s[8:9]
	s_cbranch_execnz .LBB245_1031
.LBB245_770:                            ;   in Loop: Header=BB245_559 Depth=1
	s_or_b64 exec, exec, s[8:9]
	s_and_saveexec_b64 s[8:9], s[6:7]
	s_cbranch_execz .LBB245_772
.LBB245_771:                            ;   in Loop: Header=BB245_559 Depth=1
	v_and_b32_e32 v13, 7, v4
	v_ffbh_u32_e32 v19, v13
	v_bfe_u32 v16, v4, 3, 4
	v_min_u32_e32 v19, 32, v19
	v_subrev_u32_e32 v21, 28, v19
	v_sub_u32_e32 v19, 29, v19
	v_cmp_eq_u32_e64 s[0:1], 0, v16
	v_lshlrev_b64 v[22:23], v21, v[4:5]
	v_and_b32_e32 v21, 7, v22
	v_cndmask_b32_e64 v16, v16, v19, s[0:1]
	v_lshlrev_b32_e32 v4, 8, v4
	v_lshl_add_u32 v16, v16, 10, v40
	v_cndmask_b32_e64 v13, v13, v21, s[0:1]
	v_and_or_b32 v4, v4, s25, v16
	v_lshl_or_b32 v4, v13, 7, v4
	v_cvt_f32_f16_e32 v36, v4
.LBB245_772:                            ;   in Loop: Header=BB245_559 Depth=1
	s_or_b64 exec, exec, s[8:9]
	v_lshrrev_b32_e32 v4, 16, v24
	v_cmp_gt_i16_sdwa s[6:7], v4, s19 src0_sel:BYTE_0 src1_sel:DWORD
	s_mov_b64 s[0:1], 0
                                        ; implicit-def: $sgpr10
	s_and_saveexec_b64 s[8:9], s[6:7]
	s_xor_b64 s[6:7], exec, s[8:9]
	s_cbranch_execnz .LBB245_1032
; %bb.773:                              ;   in Loop: Header=BB245_559 Depth=1
	s_or_saveexec_b64 s[6:7], s[6:7]
	v_mov_b32_e32 v27, s10
	s_xor_b64 exec, exec, s[6:7]
	s_cbranch_execnz .LBB245_1035
.LBB245_774:                            ;   in Loop: Header=BB245_559 Depth=1
	s_or_b64 exec, exec, s[6:7]
	s_and_saveexec_b64 s[6:7], s[0:1]
	s_cbranch_execz .LBB245_776
.LBB245_775:                            ;   in Loop: Header=BB245_559 Depth=1
	v_bfe_u32 v13, v24, 16, 3
	v_ffbh_u32_e32 v19, v13
	v_bfe_u32 v16, v24, 19, 4
	v_min_u32_e32 v19, 32, v19
	v_subrev_u32_e32 v21, 28, v19
	v_sub_u32_e32 v19, 29, v19
	v_cmp_eq_u32_e64 s[0:1], 0, v16
	v_lshlrev_b64 v[22:23], v21, v[4:5]
	v_and_b32_e32 v21, 7, v22
	v_cndmask_b32_e64 v16, v16, v19, s[0:1]
	v_lshlrev_b32_e32 v4, 8, v4
	v_lshl_add_u32 v16, v16, 10, v40
	v_cndmask_b32_e64 v13, v13, v21, s[0:1]
	v_and_or_b32 v4, v4, s25, v16
	v_lshl_or_b32 v4, v13, 7, v4
	v_cvt_f32_f16_e32 v27, v4
.LBB245_776:                            ;   in Loop: Header=BB245_559 Depth=1
	s_or_b64 exec, exec, s[6:7]
	v_lshrrev_b32_e32 v4, 24, v24
	v_cmp_lt_i16_e64 s[0:1], s19, v4
	s_mov_b64 s[6:7], 0
                                        ; implicit-def: $sgpr30
	s_and_saveexec_b64 s[8:9], s[0:1]
	s_xor_b64 s[8:9], exec, s[8:9]
	s_cbranch_execnz .LBB245_1036
; %bb.777:                              ;   in Loop: Header=BB245_559 Depth=1
	s_or_saveexec_b64 s[8:9], s[8:9]
	v_mov_b32_e32 v37, s30
	s_xor_b64 exec, exec, s[8:9]
	s_cbranch_execnz .LBB245_1039
.LBB245_778:                            ;   in Loop: Header=BB245_559 Depth=1
	s_or_b64 exec, exec, s[8:9]
	s_and_saveexec_b64 s[8:9], s[6:7]
	s_cbranch_execz .LBB245_780
.LBB245_779:                            ;   in Loop: Header=BB245_559 Depth=1
	v_bfe_u32 v13, v24, 24, 3
	v_ffbh_u32_e32 v19, v13
	v_bfe_u32 v16, v24, 27, 4
	v_min_u32_e32 v19, 32, v19
	v_subrev_u32_e32 v21, 28, v19
	v_sub_u32_e32 v19, 29, v19
	v_cmp_eq_u32_e64 s[0:1], 0, v16
	v_lshlrev_b64 v[22:23], v21, v[4:5]
	v_and_b32_e32 v21, 7, v22
	v_cndmask_b32_e64 v16, v16, v19, s[0:1]
	v_lshlrev_b32_e32 v4, 8, v4
	v_lshl_add_u32 v16, v16, 10, v40
	v_cndmask_b32_e64 v13, v13, v21, s[0:1]
	v_and_or_b32 v4, v4, s25, v16
	v_lshl_or_b32 v4, v13, 7, v4
	v_cvt_f32_f16_e32 v37, v4
.LBB245_780:                            ;   in Loop: Header=BB245_559 Depth=1
	s_or_b64 exec, exec, s[8:9]
	v_cmp_gt_i16_sdwa s[6:7], v25, s19 src0_sel:BYTE_0 src1_sel:DWORD
	s_mov_b64 s[0:1], 0
                                        ; implicit-def: $sgpr10
	s_and_saveexec_b64 s[8:9], s[6:7]
	s_xor_b64 s[6:7], exec, s[8:9]
	s_cbranch_execnz .LBB245_1040
; %bb.781:                              ;   in Loop: Header=BB245_559 Depth=1
	s_or_saveexec_b64 s[6:7], s[6:7]
	v_mov_b32_e32 v13, s10
	s_xor_b64 exec, exec, s[6:7]
	s_cbranch_execnz .LBB245_1043
.LBB245_782:                            ;   in Loop: Header=BB245_559 Depth=1
	s_or_b64 exec, exec, s[6:7]
	v_mov_b32_e32 v4, v25
	s_and_saveexec_b64 s[6:7], s[0:1]
	s_cbranch_execz .LBB245_784
.LBB245_783:                            ;   in Loop: Header=BB245_559 Depth=1
	v_and_b32_e32 v13, 7, v25
	v_ffbh_u32_e32 v13, v13
	v_bfe_u32 v16, v25, 3, 4
	v_min_u32_e32 v13, 32, v13
	v_subrev_u32_e32 v19, 28, v13
	v_sub_u32_e32 v13, 29, v13
	v_cmp_eq_u32_e64 s[0:1], 0, v16
	s_nop 1
	v_cndmask_b32_e64 v13, v16, v13, s[0:1]
	v_cndmask_b32_e64 v16, 0, v19, s[0:1]
	v_lshlrev_b64 v[22:23], v16, v[4:5]
	v_lshlrev_b32_e32 v19, 8, v25
	v_lshl_add_u32 v13, v13, 10, v40
	v_lshlrev_b32_e32 v16, 7, v22
	v_and_or_b32 v13, v19, s25, v13
	v_and_or_b32 v13, v16, s26, v13
	v_cvt_f32_f16_e32 v13, v13
.LBB245_784:                            ;   in Loop: Header=BB245_559 Depth=1
	s_or_b64 exec, exec, s[6:7]
	v_lshrrev_b16_e32 v4, 8, v4
	v_cmp_lt_i16_e64 s[0:1], s19, v4
	s_mov_b64 s[6:7], 0
                                        ; implicit-def: $sgpr30
	s_and_saveexec_b64 s[8:9], s[0:1]
	s_xor_b64 s[8:9], exec, s[8:9]
	s_cbranch_execnz .LBB245_1044
; %bb.785:                              ;   in Loop: Header=BB245_559 Depth=1
	s_or_saveexec_b64 s[8:9], s[8:9]
	v_mov_b32_e32 v21, s30
	s_xor_b64 exec, exec, s[8:9]
	s_cbranch_execnz .LBB245_1047
.LBB245_786:                            ;   in Loop: Header=BB245_559 Depth=1
	s_or_b64 exec, exec, s[8:9]
	s_and_saveexec_b64 s[8:9], s[6:7]
	s_cbranch_execz .LBB245_788
.LBB245_787:                            ;   in Loop: Header=BB245_559 Depth=1
	v_and_b32_e32 v16, 7, v4
	v_ffbh_u32_e32 v21, v16
	v_bfe_u32 v19, v4, 3, 4
	v_min_u32_e32 v21, 32, v21
	v_subrev_u32_e32 v22, 28, v21
	v_sub_u32_e32 v21, 29, v21
	v_cmp_eq_u32_e64 s[0:1], 0, v19
	v_lshlrev_b64 v[22:23], v22, v[4:5]
	v_and_b32_e32 v22, 7, v22
	v_cndmask_b32_e64 v19, v19, v21, s[0:1]
	v_lshlrev_b32_e32 v4, 8, v4
	v_lshl_add_u32 v19, v19, 10, v40
	v_cndmask_b32_e64 v16, v16, v22, s[0:1]
	v_and_or_b32 v4, v4, s25, v19
	v_lshl_or_b32 v4, v16, 7, v4
	v_cvt_f32_f16_e32 v21, v4
.LBB245_788:                            ;   in Loop: Header=BB245_559 Depth=1
	s_or_b64 exec, exec, s[8:9]
	v_lshrrev_b32_e32 v4, 16, v25
	v_cmp_gt_i16_sdwa s[6:7], v4, s19 src0_sel:BYTE_0 src1_sel:DWORD
	s_mov_b64 s[0:1], 0
                                        ; implicit-def: $sgpr10
	s_and_saveexec_b64 s[8:9], s[6:7]
	s_xor_b64 s[6:7], exec, s[8:9]
	s_cbranch_execnz .LBB245_1048
; %bb.789:                              ;   in Loop: Header=BB245_559 Depth=1
	s_or_saveexec_b64 s[6:7], s[6:7]
	v_mov_b32_e32 v22, s10
	s_xor_b64 exec, exec, s[6:7]
	s_cbranch_execnz .LBB245_1051
.LBB245_790:                            ;   in Loop: Header=BB245_559 Depth=1
	s_or_b64 exec, exec, s[6:7]
	s_and_saveexec_b64 s[6:7], s[0:1]
	s_cbranch_execz .LBB245_792
.LBB245_791:                            ;   in Loop: Header=BB245_559 Depth=1
	v_bfe_u32 v16, v25, 16, 3
	v_ffbh_u32_e32 v22, v16
	v_min_u32_e32 v24, 32, v22
	v_subrev_u32_e32 v22, 28, v24
	v_bfe_u32 v19, v25, 19, 4
	v_lshlrev_b64 v[22:23], v22, v[4:5]
	v_sub_u32_e32 v23, 29, v24
	v_cmp_eq_u32_e64 s[0:1], 0, v19
	v_and_b32_e32 v22, 7, v22
	v_lshlrev_b32_e32 v4, 8, v4
	v_cndmask_b32_e64 v19, v19, v23, s[0:1]
	v_lshl_add_u32 v19, v19, 10, v40
	v_cndmask_b32_e64 v16, v16, v22, s[0:1]
	v_and_or_b32 v4, v4, s25, v19
	v_lshl_or_b32 v4, v16, 7, v4
	v_cvt_f32_f16_e32 v22, v4
.LBB245_792:                            ;   in Loop: Header=BB245_559 Depth=1
	s_or_b64 exec, exec, s[6:7]
	v_lshrrev_b32_e32 v4, 24, v25
	v_cmp_lt_i16_e64 s[0:1], s19, v4
	s_mov_b64 s[6:7], 0
                                        ; implicit-def: $sgpr30
	s_and_saveexec_b64 s[8:9], s[0:1]
	s_xor_b64 s[8:9], exec, s[8:9]
	s_cbranch_execnz .LBB245_1052
; %bb.793:                              ;   in Loop: Header=BB245_559 Depth=1
	s_or_saveexec_b64 s[8:9], s[8:9]
	v_mov_b32_e32 v24, s30
	s_xor_b64 exec, exec, s[8:9]
	s_cbranch_execnz .LBB245_1055
.LBB245_794:                            ;   in Loop: Header=BB245_559 Depth=1
	s_or_b64 exec, exec, s[8:9]
	s_and_saveexec_b64 s[8:9], s[6:7]
	s_cbranch_execz .LBB245_796
.LBB245_795:                            ;   in Loop: Header=BB245_559 Depth=1
	v_bfe_u32 v16, v25, 24, 3
	v_ffbh_u32_e32 v23, v16
	v_bfe_u32 v19, v25, 27, 4
	v_min_u32_e32 v23, 32, v23
	v_subrev_u32_e32 v24, 28, v23
	v_sub_u32_e32 v23, 29, v23
	v_cmp_eq_u32_e64 s[0:1], 0, v19
	v_lshlrev_b64 v[24:25], v24, v[4:5]
	v_and_b32_e32 v24, 7, v24
	v_cndmask_b32_e64 v19, v19, v23, s[0:1]
	v_lshlrev_b32_e32 v4, 8, v4
	v_lshl_add_u32 v19, v19, 10, v40
	v_cndmask_b32_e64 v16, v16, v24, s[0:1]
	v_and_or_b32 v4, v4, s25, v19
	v_lshl_or_b32 v4, v16, 7, v4
	v_cvt_f32_f16_e32 v24, v4
.LBB245_796:                            ;   in Loop: Header=BB245_559 Depth=1
	s_or_b64 exec, exec, s[8:9]
	s_waitcnt vmcnt(0) lgkmcnt(0)
	v_pk_mul_f32 v[36:37], v[20:21], v[36:37] op_sel_hi:[0,1]
	v_pk_mul_f32 v[26:27], v[20:21], v[26:27] op_sel_hi:[0,1]
	v_cvt_f16_f32_e32 v4, v37
	v_cvt_f16_f32_e32 v16, v36
	;; [unrolled: 1-line block ×4, first 2 shown]
	v_fma_mixlo_f16 v13, v20, v13, 0
	v_pack_b32_f16 v16, v16, v4
	v_pack_b32_f16 v19, v23, v19
	v_perm_b32 v4, v19, v16, s27
	v_perm_b32 v23, v19, v16, s28
	v_fma_mixlo_f16 v16, v20, v21, 0
	v_lshlrev_b32_e32 v16, 16, v16
	v_or_b32_sdwa v13, v16, v13 dst_sel:DWORD dst_unused:UNUSED_PAD src0_sel:DWORD src1_sel:WORD_0
	v_fma_mixlo_f16 v16, v20, v24, 0
	v_fma_mixlo_f16 v21, v20, v22, 0
	v_lshlrev_b32_e32 v16, 16, v16
	v_or_b32_sdwa v20, v16, v21 dst_sel:DWORD dst_unused:UNUSED_PAD src0_sel:DWORD src1_sel:WORD_0
	s_and_saveexec_b64 s[6:7], vcc
	s_cbranch_execz .LBB245_798
; %bb.797:                              ;   in Loop: Header=BB245_559 Depth=1
	v_lshrrev_b32_e32 v16, 16, v23
	v_cmp_lt_i32_e64 s[0:1], v56, v3
	v_accvgpr_read_b32 v22, a8
	s_nop 0
	v_cndmask_b32_e64 v16, 0, v16, s[0:1]
	v_cmp_lt_i32_e64 s[0:1], v43, v22
	s_nop 1
	v_cndmask_b32_e64 v19, 0, v23, s[0:1]
	v_perm_b32 v23, v16, v19, s29
	v_lshrrev_b32_e32 v16, 16, v4
	v_cmp_lt_i32_e64 s[0:1], v47, v3
	s_nop 1
	v_cndmask_b32_e64 v16, 0, v16, s[0:1]
	v_cmp_lt_i32_e64 s[0:1], v46, v22
	s_nop 1
	v_cndmask_b32_e64 v4, 0, v4, s[0:1]
	v_perm_b32 v4, v16, v4, s29
	v_lshrrev_b32_e32 v16, 16, v13
	v_cmp_lt_i32_e64 s[0:1], v45, v3
	;; [unrolled: 8-line block ×3, first 2 shown]
	s_nop 1
	v_cndmask_b32_e64 v16, 0, v16, s[0:1]
	v_cmp_lt_i32_e64 s[0:1], v41, v22
	s_nop 1
	v_cndmask_b32_e64 v19, 0, v21, s[0:1]
	v_perm_b32 v20, v16, v19, s29
.LBB245_798:                            ;   in Loop: Header=BB245_559 Depth=1
	s_or_b64 exec, exec, s[6:7]
	;;#ASMSTART
	v_pk_mul_f16 v16, v60, v23;

	;;#ASMEND
	;;#ASMSTART
	v_pk_mul_f16 v4, v59, v4;

	;;#ASMEND
	;; [unrolled: 4-line block ×4, first 2 shown]
	s_mov_b64 s[0:1], 0
	;;#ASMSTART
	v_pk_add_f16 v4, v16, v4;

	;;#ASMEND
                                        ; implicit-def: $sgpr10
	s_nop 0
	;;#ASMSTART
	v_pk_add_f16 v4, v4, v13;

	;;#ASMEND
	s_nop 0
	;;#ASMSTART
	v_pk_add_f16 v4, v4, v19;

	;;#ASMEND
	s_nop 0
	v_lshrrev_b32_e32 v16, 16, v4
	v_and_b32_e32 v4, 0xffff, v4
	;;#ASMSTART
	v_cvt_f32_f16 v13, v4;
	;;#ASMEND
	;;#ASMSTART
	v_cvt_f32_f16 v22, v16;
	;;#ASMEND
	flat_load_dwordx2 v[20:21], v[14:15] offset:3584
	v_accvgpr_read_b32 v15, a5
	v_accvgpr_read_b32 v14, a4
	flat_load_dword v14, v[14:15]
	s_waitcnt vmcnt(0) lgkmcnt(0)
	v_cmp_gt_i16_sdwa s[6:7], v20, s19 src0_sel:BYTE_0 src1_sel:DWORD
	s_and_saveexec_b64 s[8:9], s[6:7]
	s_xor_b64 s[6:7], exec, s[8:9]
	s_cbranch_execnz .LBB245_1056
; %bb.799:                              ;   in Loop: Header=BB245_559 Depth=1
	s_or_saveexec_b64 s[6:7], s[6:7]
	v_mov_b32_e32 v24, s10
	s_xor_b64 exec, exec, s[6:7]
	s_cbranch_execnz .LBB245_1059
.LBB245_800:                            ;   in Loop: Header=BB245_559 Depth=1
	s_or_b64 exec, exec, s[6:7]
	s_and_saveexec_b64 s[6:7], s[0:1]
	s_cbranch_execz .LBB245_802
.LBB245_801:                            ;   in Loop: Header=BB245_559 Depth=1
	v_and_b32_e32 v4, 7, v20
	v_ffbh_u32_e32 v4, v4
	v_bfe_u32 v15, v20, 3, 4
	v_min_u32_e32 v4, 32, v4
	v_subrev_u32_e32 v16, 28, v4
	v_sub_u32_e32 v4, 29, v4
	v_cmp_eq_u32_e64 s[0:1], 0, v15
	s_nop 1
	v_cndmask_b32_e64 v4, v15, v4, s[0:1]
	v_cndmask_b32_e64 v15, 0, v16, s[0:1]
	v_lshlrev_b64 v[24:25], v15, v[20:21]
	v_lshlrev_b32_e32 v16, 8, v20
	v_lshl_add_u32 v4, v4, 10, v40
	v_lshlrev_b32_e32 v15, 7, v24
	v_and_or_b32 v4, v16, s25, v4
	v_and_or_b32 v4, v15, s26, v4
	v_cvt_f32_f16_e32 v24, v4
.LBB245_802:                            ;   in Loop: Header=BB245_559 Depth=1
	s_or_b64 exec, exec, s[6:7]
	v_lshrrev_b16_e32 v4, 8, v20
	v_cmp_lt_i16_e64 s[0:1], s19, v4
	s_mov_b64 s[6:7], 0
                                        ; implicit-def: $sgpr30
	s_and_saveexec_b64 s[8:9], s[0:1]
	s_xor_b64 s[8:9], exec, s[8:9]
	s_cbranch_execnz .LBB245_1060
; %bb.803:                              ;   in Loop: Header=BB245_559 Depth=1
	s_or_saveexec_b64 s[8:9], s[8:9]
	v_mov_b32_e32 v26, s30
	s_xor_b64 exec, exec, s[8:9]
	s_cbranch_execnz .LBB245_1063
.LBB245_804:                            ;   in Loop: Header=BB245_559 Depth=1
	s_or_b64 exec, exec, s[8:9]
	s_and_saveexec_b64 s[8:9], s[6:7]
	s_cbranch_execz .LBB245_806
.LBB245_805:                            ;   in Loop: Header=BB245_559 Depth=1
	v_and_b32_e32 v15, 7, v4
	v_ffbh_u32_e32 v19, v15
	v_bfe_u32 v16, v4, 3, 4
	v_min_u32_e32 v19, 32, v19
	v_subrev_u32_e32 v23, 28, v19
	v_sub_u32_e32 v19, 29, v19
	v_cmp_eq_u32_e64 s[0:1], 0, v16
	v_lshlrev_b64 v[26:27], v23, v[4:5]
	v_and_b32_e32 v23, 7, v26
	v_cndmask_b32_e64 v16, v16, v19, s[0:1]
	v_lshlrev_b32_e32 v4, 8, v4
	v_lshl_add_u32 v16, v16, 10, v40
	v_cndmask_b32_e64 v15, v15, v23, s[0:1]
	v_and_or_b32 v4, v4, s25, v16
	v_lshl_or_b32 v4, v15, 7, v4
	v_cvt_f32_f16_e32 v26, v4
.LBB245_806:                            ;   in Loop: Header=BB245_559 Depth=1
	s_or_b64 exec, exec, s[8:9]
	v_lshrrev_b32_e32 v4, 16, v20
	v_cmp_gt_i16_sdwa s[6:7], v4, s19 src0_sel:BYTE_0 src1_sel:DWORD
	s_mov_b64 s[0:1], 0
                                        ; implicit-def: $sgpr10
	s_and_saveexec_b64 s[8:9], s[6:7]
	s_xor_b64 s[6:7], exec, s[8:9]
	s_cbranch_execnz .LBB245_1064
; %bb.807:                              ;   in Loop: Header=BB245_559 Depth=1
	s_or_saveexec_b64 s[6:7], s[6:7]
	v_mov_b32_e32 v25, s10
	s_xor_b64 exec, exec, s[6:7]
	s_cbranch_execnz .LBB245_1067
.LBB245_808:                            ;   in Loop: Header=BB245_559 Depth=1
	s_or_b64 exec, exec, s[6:7]
	s_and_saveexec_b64 s[6:7], s[0:1]
	s_cbranch_execz .LBB245_810
.LBB245_809:                            ;   in Loop: Header=BB245_559 Depth=1
	v_bfe_u32 v15, v20, 16, 3
	v_ffbh_u32_e32 v19, v15
	v_bfe_u32 v16, v20, 19, 4
	v_min_u32_e32 v19, 32, v19
	v_subrev_u32_e32 v23, 28, v19
	v_sub_u32_e32 v19, 29, v19
	v_cmp_eq_u32_e64 s[0:1], 0, v16
	v_lshlrev_b64 v[36:37], v23, v[4:5]
	v_and_b32_e32 v23, 7, v36
	v_cndmask_b32_e64 v16, v16, v19, s[0:1]
	v_lshlrev_b32_e32 v4, 8, v4
	v_lshl_add_u32 v16, v16, 10, v40
	v_cndmask_b32_e64 v15, v15, v23, s[0:1]
	v_and_or_b32 v4, v4, s25, v16
	v_lshl_or_b32 v4, v15, 7, v4
	v_cvt_f32_f16_e32 v25, v4
.LBB245_810:                            ;   in Loop: Header=BB245_559 Depth=1
	s_or_b64 exec, exec, s[6:7]
	v_lshrrev_b32_e32 v4, 24, v20
	v_cmp_lt_i16_e64 s[0:1], s19, v4
	s_mov_b64 s[6:7], 0
                                        ; implicit-def: $sgpr30
	s_and_saveexec_b64 s[8:9], s[0:1]
	s_xor_b64 s[8:9], exec, s[8:9]
	s_cbranch_execnz .LBB245_1068
; %bb.811:                              ;   in Loop: Header=BB245_559 Depth=1
	s_or_saveexec_b64 s[8:9], s[8:9]
	v_mov_b32_e32 v27, s30
	s_xor_b64 exec, exec, s[8:9]
	s_cbranch_execnz .LBB245_1071
.LBB245_812:                            ;   in Loop: Header=BB245_559 Depth=1
	s_or_b64 exec, exec, s[8:9]
	s_and_saveexec_b64 s[8:9], s[6:7]
	s_cbranch_execz .LBB245_814
.LBB245_813:                            ;   in Loop: Header=BB245_559 Depth=1
	v_bfe_u32 v15, v20, 24, 3
	v_ffbh_u32_e32 v19, v15
	v_bfe_u32 v16, v20, 27, 4
	v_min_u32_e32 v19, 32, v19
	v_subrev_u32_e32 v20, 28, v19
	v_sub_u32_e32 v19, 29, v19
	v_cmp_eq_u32_e64 s[0:1], 0, v16
	v_lshlrev_b64 v[36:37], v20, v[4:5]
	v_and_b32_e32 v20, 7, v36
	v_cndmask_b32_e64 v16, v16, v19, s[0:1]
	v_lshlrev_b32_e32 v4, 8, v4
	v_lshl_add_u32 v16, v16, 10, v40
	v_cndmask_b32_e64 v15, v15, v20, s[0:1]
	v_and_or_b32 v4, v4, s25, v16
	v_lshl_or_b32 v4, v15, 7, v4
	v_cvt_f32_f16_e32 v27, v4
.LBB245_814:                            ;   in Loop: Header=BB245_559 Depth=1
	s_or_b64 exec, exec, s[8:9]
	v_cmp_gt_i16_sdwa s[6:7], v21, s19 src0_sel:BYTE_0 src1_sel:DWORD
	s_mov_b64 s[0:1], 0
                                        ; implicit-def: $sgpr10
	s_and_saveexec_b64 s[8:9], s[6:7]
	s_xor_b64 s[6:7], exec, s[8:9]
	s_cbranch_execnz .LBB245_1072
; %bb.815:                              ;   in Loop: Header=BB245_559 Depth=1
	s_or_saveexec_b64 s[6:7], s[6:7]
	v_mov_b32_e32 v15, s10
	s_xor_b64 exec, exec, s[6:7]
	s_cbranch_execnz .LBB245_1075
.LBB245_816:                            ;   in Loop: Header=BB245_559 Depth=1
	s_or_b64 exec, exec, s[6:7]
	v_mov_b32_e32 v4, v21
	s_and_saveexec_b64 s[6:7], s[0:1]
	s_cbranch_execz .LBB245_818
.LBB245_817:                            ;   in Loop: Header=BB245_559 Depth=1
	v_and_b32_e32 v15, 7, v21
	v_ffbh_u32_e32 v15, v15
	v_bfe_u32 v16, v21, 3, 4
	v_min_u32_e32 v15, 32, v15
	v_subrev_u32_e32 v19, 28, v15
	v_sub_u32_e32 v15, 29, v15
	v_cmp_eq_u32_e64 s[0:1], 0, v16
	s_nop 1
	v_cndmask_b32_e64 v15, v16, v15, s[0:1]
	v_cndmask_b32_e64 v16, 0, v19, s[0:1]
	v_lshlrev_b64 v[36:37], v16, v[4:5]
	v_lshlrev_b32_e32 v19, 8, v21
	v_lshl_add_u32 v15, v15, 10, v40
	v_lshlrev_b32_e32 v16, 7, v36
	v_and_or_b32 v15, v19, s25, v15
	v_and_or_b32 v15, v16, s26, v15
	v_cvt_f32_f16_e32 v15, v15
.LBB245_818:                            ;   in Loop: Header=BB245_559 Depth=1
	s_or_b64 exec, exec, s[6:7]
	v_lshrrev_b16_e32 v4, 8, v4
	v_cmp_lt_i16_e64 s[0:1], s19, v4
	s_mov_b64 s[6:7], 0
                                        ; implicit-def: $sgpr30
	s_and_saveexec_b64 s[8:9], s[0:1]
	s_xor_b64 s[8:9], exec, s[8:9]
	s_cbranch_execnz .LBB245_1076
; %bb.819:                              ;   in Loop: Header=BB245_559 Depth=1
	s_or_saveexec_b64 s[8:9], s[8:9]
	v_mov_b32_e32 v20, s30
	s_xor_b64 exec, exec, s[8:9]
	s_cbranch_execnz .LBB245_1079
.LBB245_820:                            ;   in Loop: Header=BB245_559 Depth=1
	s_or_b64 exec, exec, s[8:9]
	s_and_saveexec_b64 s[8:9], s[6:7]
	s_cbranch_execz .LBB245_822
.LBB245_821:                            ;   in Loop: Header=BB245_559 Depth=1
	v_and_b32_e32 v16, 7, v4
	v_ffbh_u32_e32 v20, v16
	v_bfe_u32 v19, v4, 3, 4
	v_min_u32_e32 v20, 32, v20
	v_subrev_u32_e32 v23, 28, v20
	v_sub_u32_e32 v20, 29, v20
	v_cmp_eq_u32_e64 s[0:1], 0, v19
	v_lshlrev_b64 v[36:37], v23, v[4:5]
	v_and_b32_e32 v23, 7, v36
	v_cndmask_b32_e64 v19, v19, v20, s[0:1]
	v_lshlrev_b32_e32 v4, 8, v4
	v_lshl_add_u32 v19, v19, 10, v40
	v_cndmask_b32_e64 v16, v16, v23, s[0:1]
	v_and_or_b32 v4, v4, s25, v19
	v_lshl_or_b32 v4, v16, 7, v4
	v_cvt_f32_f16_e32 v20, v4
.LBB245_822:                            ;   in Loop: Header=BB245_559 Depth=1
	s_or_b64 exec, exec, s[8:9]
	v_lshrrev_b32_e32 v4, 16, v21
	v_cmp_gt_i16_sdwa s[6:7], v4, s19 src0_sel:BYTE_0 src1_sel:DWORD
	s_mov_b64 s[0:1], 0
                                        ; implicit-def: $sgpr10
	s_and_saveexec_b64 s[8:9], s[6:7]
	s_xor_b64 s[6:7], exec, s[8:9]
	s_cbranch_execnz .LBB245_1080
; %bb.823:                              ;   in Loop: Header=BB245_559 Depth=1
	s_or_saveexec_b64 s[6:7], s[6:7]
	v_mov_b32_e32 v23, s10
	s_xor_b64 exec, exec, s[6:7]
	s_cbranch_execnz .LBB245_1083
.LBB245_824:                            ;   in Loop: Header=BB245_559 Depth=1
	s_or_b64 exec, exec, s[6:7]
	s_and_saveexec_b64 s[6:7], s[0:1]
	s_cbranch_execz .LBB245_826
.LBB245_825:                            ;   in Loop: Header=BB245_559 Depth=1
	v_bfe_u32 v16, v21, 16, 3
	v_ffbh_u32_e32 v23, v16
	v_bfe_u32 v19, v21, 19, 4
	v_min_u32_e32 v23, 32, v23
	v_subrev_u32_e32 v36, 28, v23
	v_sub_u32_e32 v23, 29, v23
	v_cmp_eq_u32_e64 s[0:1], 0, v19
	v_lshlrev_b64 v[36:37], v36, v[4:5]
	v_and_b32_e32 v36, 7, v36
	v_cndmask_b32_e64 v19, v19, v23, s[0:1]
	v_lshlrev_b32_e32 v4, 8, v4
	v_lshl_add_u32 v19, v19, 10, v40
	v_cndmask_b32_e64 v16, v16, v36, s[0:1]
	v_and_or_b32 v4, v4, s25, v19
	v_lshl_or_b32 v4, v16, 7, v4
	v_cvt_f32_f16_e32 v23, v4
.LBB245_826:                            ;   in Loop: Header=BB245_559 Depth=1
	s_or_b64 exec, exec, s[6:7]
	v_lshrrev_b32_e32 v4, 24, v21
	v_cmp_lt_i16_e64 s[0:1], s19, v4
	s_mov_b64 s[6:7], 0
                                        ; implicit-def: $sgpr30
	s_and_saveexec_b64 s[8:9], s[0:1]
	s_xor_b64 s[8:9], exec, s[8:9]
	s_cbranch_execnz .LBB245_1084
; %bb.827:                              ;   in Loop: Header=BB245_559 Depth=1
	s_or_saveexec_b64 s[8:9], s[8:9]
	v_mov_b32_e32 v36, s30
	s_xor_b64 exec, exec, s[8:9]
	s_cbranch_execnz .LBB245_1087
.LBB245_828:                            ;   in Loop: Header=BB245_559 Depth=1
	s_or_b64 exec, exec, s[8:9]
	s_and_saveexec_b64 s[8:9], s[6:7]
	s_cbranch_execz .LBB245_830
.LBB245_829:                            ;   in Loop: Header=BB245_559 Depth=1
	v_bfe_u32 v16, v21, 24, 3
	v_bfe_u32 v19, v21, 27, 4
	v_ffbh_u32_e32 v21, v16
	v_min_u32_e32 v21, 32, v21
	v_subrev_u32_e32 v36, 28, v21
	v_sub_u32_e32 v21, 29, v21
	v_cmp_eq_u32_e64 s[0:1], 0, v19
	v_lshlrev_b64 v[36:37], v36, v[4:5]
	v_and_b32_e32 v36, 7, v36
	v_cndmask_b32_e64 v19, v19, v21, s[0:1]
	v_lshlrev_b32_e32 v4, 8, v4
	v_lshl_add_u32 v19, v19, 10, v40
	v_cndmask_b32_e64 v16, v16, v36, s[0:1]
	v_and_or_b32 v4, v4, s25, v19
	v_lshl_or_b32 v4, v16, 7, v4
	v_cvt_f32_f16_e32 v36, v4
.LBB245_830:                            ;   in Loop: Header=BB245_559 Depth=1
	s_or_b64 exec, exec, s[8:9]
	v_pk_mul_f32 v[26:27], v[14:15], v[26:27] op_sel_hi:[0,1]
	v_pk_mul_f32 v[24:25], v[14:15], v[24:25] op_sel_hi:[0,1]
	v_cvt_f16_f32_e32 v4, v27
	v_cvt_f16_f32_e32 v16, v26
	;; [unrolled: 1-line block ×4, first 2 shown]
	v_fma_mixlo_f16 v15, v14, v15, 0
	v_pack_b32_f16 v16, v16, v4
	v_pack_b32_f16 v19, v21, v19
	v_perm_b32 v4, v19, v16, s27
	v_perm_b32 v21, v19, v16, s28
	v_fma_mixlo_f16 v16, v14, v20, 0
	v_fma_mixlo_f16 v20, v14, v23, 0
	;; [unrolled: 1-line block ×3, first 2 shown]
	v_lshlrev_b32_e32 v16, 16, v16
	v_lshlrev_b32_e32 v14, 16, v14
	v_or_b32_sdwa v15, v16, v15 dst_sel:DWORD dst_unused:UNUSED_PAD src0_sel:DWORD src1_sel:WORD_0
	v_or_b32_sdwa v14, v14, v20 dst_sel:DWORD dst_unused:UNUSED_PAD src0_sel:DWORD src1_sel:WORD_0
	s_and_saveexec_b64 s[0:1], vcc
	s_cbranch_execz .LBB245_557
; %bb.831:                              ;   in Loop: Header=BB245_559 Depth=1
	v_lshrrev_b32_e32 v16, 16, v21
	v_cmp_lt_i32_e32 vcc, v56, v3
	v_accvgpr_read_b32 v24, a8
	v_lshrrev_b32_e32 v14, 16, v14
	v_cndmask_b32_e32 v16, 0, v16, vcc
	v_cmp_lt_i32_e32 vcc, v43, v24
	s_nop 1
	v_cndmask_b32_e32 v19, 0, v21, vcc
	v_perm_b32 v21, v16, v19, s29
	v_lshrrev_b32_e32 v16, 16, v4
	v_cmp_lt_i32_e32 vcc, v47, v3
	s_nop 1
	v_cndmask_b32_e32 v16, 0, v16, vcc
	v_cmp_lt_i32_e32 vcc, v46, v24
	s_nop 1
	v_cndmask_b32_e32 v4, 0, v4, vcc
	v_perm_b32 v4, v16, v4, s29
	v_lshrrev_b32_e32 v16, 16, v15
	v_cmp_lt_i32_e32 vcc, v45, v3
	s_nop 1
	v_cndmask_b32_e32 v16, 0, v16, vcc
	v_cmp_lt_i32_e32 vcc, v44, v24
	s_nop 1
	v_cndmask_b32_e32 v15, 0, v15, vcc
	v_cmp_lt_i32_e32 vcc, v42, v3
	v_perm_b32 v15, v16, v15, s29
	s_nop 0
	v_cndmask_b32_e32 v14, 0, v14, vcc
	v_cmp_lt_i32_e32 vcc, v41, v24
	s_nop 1
	v_cndmask_b32_e32 v16, 0, v20, vcc
	v_perm_b32 v14, v14, v16, s29
	s_branch .LBB245_557
.LBB245_832:                            ;   in Loop: Header=BB245_559 Depth=1
	v_cmp_eq_u16_sdwa vcc, v24, s24 src0_sel:BYTE_0 src1_sel:DWORD
	s_mov_b64 s[0:1], -1
                                        ; implicit-def: $sgpr10
	s_and_saveexec_b64 s[8:9], vcc
; %bb.833:                              ;   in Loop: Header=BB245_559 Depth=1
	s_mov_b32 s10, 0x7fc02000
	s_xor_b64 s[0:1], exec, -1
; %bb.834:                              ;   in Loop: Header=BB245_559 Depth=1
	s_or_b64 exec, exec, s[8:9]
	s_and_b64 s[0:1], s[0:1], exec
	s_or_saveexec_b64 s[6:7], s[6:7]
	v_mov_b32_e32 v26, s10
	s_xor_b64 exec, exec, s[6:7]
	s_cbranch_execz .LBB245_562
.LBB245_835:                            ;   in Loop: Header=BB245_559 Depth=1
	v_cmp_ne_u16_sdwa s[8:9], v24, v5 src0_sel:BYTE_0 src1_sel:DWORD
	s_andn2_b64 s[0:1], s[0:1], exec
	s_and_b64 s[8:9], s[8:9], exec
	v_mov_b32_e32 v26, 0
	s_or_b64 s[0:1], s[0:1], s[8:9]
	s_or_b64 exec, exec, s[6:7]
	s_and_saveexec_b64 s[6:7], s[0:1]
	s_cbranch_execnz .LBB245_563
	s_branch .LBB245_564
.LBB245_836:                            ;   in Loop: Header=BB245_559 Depth=1
	v_cmp_eq_u16_e32 vcc, s24, v4
	s_mov_b64 s[0:1], -1
                                        ; implicit-def: $sgpr10
	s_and_saveexec_b64 s[8:9], vcc
; %bb.837:                              ;   in Loop: Header=BB245_559 Depth=1
	s_mov_b32 s10, 0x7fc02000
	s_xor_b64 s[0:1], exec, -1
; %bb.838:                              ;   in Loop: Header=BB245_559 Depth=1
	s_or_b64 exec, exec, s[8:9]
	s_and_b64 s[0:1], s[0:1], exec
	s_or_saveexec_b64 s[6:7], s[6:7]
	v_mov_b32_e32 v36, s10
	s_xor_b64 exec, exec, s[6:7]
	s_cbranch_execz .LBB245_566
.LBB245_839:                            ;   in Loop: Header=BB245_559 Depth=1
	v_cmp_ne_u16_e32 vcc, 0, v4
	s_andn2_b64 s[0:1], s[0:1], exec
	s_and_b64 s[8:9], vcc, exec
	v_mov_b32_e32 v36, 0
	s_or_b64 s[0:1], s[0:1], s[8:9]
	s_or_b64 exec, exec, s[6:7]
	s_and_saveexec_b64 s[6:7], s[0:1]
	s_cbranch_execnz .LBB245_567
	s_branch .LBB245_568
.LBB245_840:                            ;   in Loop: Header=BB245_559 Depth=1
	v_cmp_eq_u16_sdwa vcc, v4, s24 src0_sel:BYTE_0 src1_sel:DWORD
	s_mov_b64 s[0:1], -1
                                        ; implicit-def: $sgpr10
	s_and_saveexec_b64 s[8:9], vcc
; %bb.841:                              ;   in Loop: Header=BB245_559 Depth=1
	s_mov_b32 s10, 0x7fc02000
	s_xor_b64 s[0:1], exec, -1
; %bb.842:                              ;   in Loop: Header=BB245_559 Depth=1
	s_or_b64 exec, exec, s[8:9]
	s_and_b64 s[0:1], s[0:1], exec
	s_or_saveexec_b64 s[6:7], s[6:7]
	v_mov_b32_e32 v27, s10
	s_xor_b64 exec, exec, s[6:7]
	s_cbranch_execz .LBB245_570
.LBB245_843:                            ;   in Loop: Header=BB245_559 Depth=1
	v_cmp_ne_u16_sdwa s[8:9], v4, v5 src0_sel:BYTE_0 src1_sel:DWORD
	s_andn2_b64 s[0:1], s[0:1], exec
	s_and_b64 s[8:9], s[8:9], exec
	v_mov_b32_e32 v27, 0
	s_or_b64 s[0:1], s[0:1], s[8:9]
	s_or_b64 exec, exec, s[6:7]
	s_and_saveexec_b64 s[6:7], s[0:1]
	s_cbranch_execnz .LBB245_571
	s_branch .LBB245_572
.LBB245_844:                            ;   in Loop: Header=BB245_559 Depth=1
	v_cmp_eq_u16_e32 vcc, s24, v4
	s_mov_b64 s[0:1], -1
                                        ; implicit-def: $sgpr10
	s_and_saveexec_b64 s[8:9], vcc
; %bb.845:                              ;   in Loop: Header=BB245_559 Depth=1
	s_mov_b32 s10, 0x7fc02000
	s_xor_b64 s[0:1], exec, -1
; %bb.846:                              ;   in Loop: Header=BB245_559 Depth=1
	s_or_b64 exec, exec, s[8:9]
	s_and_b64 s[0:1], s[0:1], exec
	s_or_saveexec_b64 s[6:7], s[6:7]
	v_mov_b32_e32 v37, s10
	s_xor_b64 exec, exec, s[6:7]
	s_cbranch_execz .LBB245_574
.LBB245_847:                            ;   in Loop: Header=BB245_559 Depth=1
	v_cmp_ne_u16_e32 vcc, 0, v4
	s_andn2_b64 s[0:1], s[0:1], exec
	s_and_b64 s[8:9], vcc, exec
	v_mov_b32_e32 v37, 0
	s_or_b64 s[0:1], s[0:1], s[8:9]
	s_or_b64 exec, exec, s[6:7]
	s_and_saveexec_b64 s[6:7], s[0:1]
	s_cbranch_execnz .LBB245_575
	s_branch .LBB245_576
.LBB245_848:                            ;   in Loop: Header=BB245_559 Depth=1
	v_cmp_eq_u16_sdwa vcc, v25, s24 src0_sel:BYTE_0 src1_sel:DWORD
	s_mov_b64 s[0:1], -1
                                        ; implicit-def: $sgpr10
	s_and_saveexec_b64 s[8:9], vcc
; %bb.849:                              ;   in Loop: Header=BB245_559 Depth=1
	s_mov_b32 s10, 0x7fc02000
	s_xor_b64 s[0:1], exec, -1
; %bb.850:                              ;   in Loop: Header=BB245_559 Depth=1
	s_or_b64 exec, exec, s[8:9]
	s_and_b64 s[0:1], s[0:1], exec
	s_or_saveexec_b64 s[6:7], s[6:7]
	v_mov_b32_e32 v22, s10
	s_xor_b64 exec, exec, s[6:7]
	s_cbranch_execz .LBB245_578
.LBB245_851:                            ;   in Loop: Header=BB245_559 Depth=1
	v_cmp_ne_u16_sdwa s[8:9], v25, v5 src0_sel:BYTE_0 src1_sel:DWORD
	s_andn2_b64 s[0:1], s[0:1], exec
	s_and_b64 s[8:9], s[8:9], exec
	v_mov_b32_e32 v22, 0
	s_or_b64 s[0:1], s[0:1], s[8:9]
	s_or_b64 exec, exec, s[6:7]
	v_mov_b32_e32 v4, v25
	s_and_saveexec_b64 s[6:7], s[0:1]
	s_cbranch_execnz .LBB245_579
	s_branch .LBB245_580
.LBB245_852:                            ;   in Loop: Header=BB245_559 Depth=1
	v_cmp_eq_u16_e32 vcc, s24, v4
	s_mov_b64 s[0:1], -1
                                        ; implicit-def: $sgpr10
	s_and_saveexec_b64 s[8:9], vcc
; %bb.853:                              ;   in Loop: Header=BB245_559 Depth=1
	s_mov_b32 s10, 0x7fc02000
	s_xor_b64 s[0:1], exec, -1
; %bb.854:                              ;   in Loop: Header=BB245_559 Depth=1
	s_or_b64 exec, exec, s[8:9]
	s_and_b64 s[0:1], s[0:1], exec
	s_or_saveexec_b64 s[6:7], s[6:7]
	v_mov_b32_e32 v23, s10
	s_xor_b64 exec, exec, s[6:7]
	s_cbranch_execz .LBB245_582
.LBB245_855:                            ;   in Loop: Header=BB245_559 Depth=1
	v_cmp_ne_u16_e32 vcc, 0, v4
	s_andn2_b64 s[0:1], s[0:1], exec
	s_and_b64 s[8:9], vcc, exec
	v_mov_b32_e32 v23, 0
	s_or_b64 s[0:1], s[0:1], s[8:9]
	s_or_b64 exec, exec, s[6:7]
	s_and_saveexec_b64 s[6:7], s[0:1]
	s_cbranch_execnz .LBB245_583
	s_branch .LBB245_584
.LBB245_856:                            ;   in Loop: Header=BB245_559 Depth=1
	v_cmp_eq_u16_sdwa vcc, v4, s24 src0_sel:BYTE_0 src1_sel:DWORD
	s_mov_b64 s[0:1], -1
                                        ; implicit-def: $sgpr10
	s_and_saveexec_b64 s[8:9], vcc
; %bb.857:                              ;   in Loop: Header=BB245_559 Depth=1
	s_mov_b32 s10, 0x7fc02000
	s_xor_b64 s[0:1], exec, -1
; %bb.858:                              ;   in Loop: Header=BB245_559 Depth=1
	s_or_b64 exec, exec, s[8:9]
	s_and_b64 s[0:1], s[0:1], exec
	s_or_saveexec_b64 s[6:7], s[6:7]
	v_mov_b32_e32 v24, s10
	s_xor_b64 exec, exec, s[6:7]
	s_cbranch_execz .LBB245_586
.LBB245_859:                            ;   in Loop: Header=BB245_559 Depth=1
	v_cmp_ne_u16_sdwa s[8:9], v4, v5 src0_sel:BYTE_0 src1_sel:DWORD
	s_andn2_b64 s[0:1], s[0:1], exec
	s_and_b64 s[8:9], s[8:9], exec
	v_mov_b32_e32 v24, 0
	s_or_b64 s[0:1], s[0:1], s[8:9]
	s_or_b64 exec, exec, s[6:7]
	s_and_saveexec_b64 s[6:7], s[0:1]
	s_cbranch_execnz .LBB245_587
	s_branch .LBB245_588
.LBB245_860:                            ;   in Loop: Header=BB245_559 Depth=1
	v_cmp_eq_u16_e32 vcc, s24, v4
	s_mov_b64 s[0:1], -1
                                        ; implicit-def: $sgpr10
	s_and_saveexec_b64 s[8:9], vcc
; %bb.861:                              ;   in Loop: Header=BB245_559 Depth=1
	s_mov_b32 s10, 0x7fc02000
	s_xor_b64 s[0:1], exec, -1
; %bb.862:                              ;   in Loop: Header=BB245_559 Depth=1
	s_or_b64 exec, exec, s[8:9]
	s_and_b64 s[0:1], s[0:1], exec
	s_or_saveexec_b64 s[6:7], s[6:7]
	v_mov_b32_e32 v38, s10
	s_xor_b64 exec, exec, s[6:7]
	s_cbranch_execz .LBB245_590
.LBB245_863:                            ;   in Loop: Header=BB245_559 Depth=1
	v_cmp_ne_u16_e32 vcc, 0, v4
	s_andn2_b64 s[0:1], s[0:1], exec
	s_and_b64 s[8:9], vcc, exec
	v_mov_b32_e32 v38, 0
	s_or_b64 s[0:1], s[0:1], s[8:9]
	s_or_b64 exec, exec, s[6:7]
	s_and_saveexec_b64 s[6:7], s[0:1]
	s_cbranch_execnz .LBB245_591
	s_branch .LBB245_592
.LBB245_864:                            ;   in Loop: Header=BB245_559 Depth=1
	v_cmp_eq_u16_sdwa s[30:31], v24, s24 src0_sel:BYTE_0 src1_sel:DWORD
	s_mov_b64 s[0:1], -1
                                        ; implicit-def: $sgpr10
	s_and_saveexec_b64 s[8:9], s[30:31]
; %bb.865:                              ;   in Loop: Header=BB245_559 Depth=1
	s_mov_b32 s10, 0x7fc02000
	s_xor_b64 s[0:1], exec, -1
; %bb.866:                              ;   in Loop: Header=BB245_559 Depth=1
	s_or_b64 exec, exec, s[8:9]
	s_and_b64 s[0:1], s[0:1], exec
	s_or_saveexec_b64 s[6:7], s[6:7]
	v_mov_b32_e32 v26, s10
	s_xor_b64 exec, exec, s[6:7]
	s_cbranch_execz .LBB245_596
.LBB245_867:                            ;   in Loop: Header=BB245_559 Depth=1
	v_cmp_ne_u16_sdwa s[8:9], v24, v5 src0_sel:BYTE_0 src1_sel:DWORD
	s_andn2_b64 s[0:1], s[0:1], exec
	s_and_b64 s[8:9], s[8:9], exec
	v_mov_b32_e32 v26, 0
	s_or_b64 s[0:1], s[0:1], s[8:9]
	s_or_b64 exec, exec, s[6:7]
	s_and_saveexec_b64 s[6:7], s[0:1]
	s_cbranch_execnz .LBB245_597
	s_branch .LBB245_598
.LBB245_868:                            ;   in Loop: Header=BB245_559 Depth=1
	v_cmp_eq_u16_e64 s[0:1], s24, v4
	s_mov_b64 s[6:7], -1
                                        ; implicit-def: $sgpr30
	s_and_saveexec_b64 s[10:11], s[0:1]
; %bb.869:                              ;   in Loop: Header=BB245_559 Depth=1
	s_mov_b32 s30, 0x7fc02000
	s_xor_b64 s[6:7], exec, -1
; %bb.870:                              ;   in Loop: Header=BB245_559 Depth=1
	s_or_b64 exec, exec, s[10:11]
	s_and_b64 s[6:7], s[6:7], exec
	s_or_saveexec_b64 s[8:9], s[8:9]
	v_mov_b32_e32 v36, s30
	s_xor_b64 exec, exec, s[8:9]
	s_cbranch_execz .LBB245_600
.LBB245_871:                            ;   in Loop: Header=BB245_559 Depth=1
	v_cmp_ne_u16_e64 s[0:1], 0, v4
	s_andn2_b64 s[6:7], s[6:7], exec
	s_and_b64 s[0:1], s[0:1], exec
	v_mov_b32_e32 v36, 0
	s_or_b64 s[6:7], s[6:7], s[0:1]
	s_or_b64 exec, exec, s[8:9]
	s_and_saveexec_b64 s[8:9], s[6:7]
	s_cbranch_execnz .LBB245_601
	s_branch .LBB245_602
.LBB245_872:                            ;   in Loop: Header=BB245_559 Depth=1
	v_cmp_eq_u16_sdwa s[30:31], v4, s24 src0_sel:BYTE_0 src1_sel:DWORD
	s_mov_b64 s[0:1], -1
                                        ; implicit-def: $sgpr10
	s_and_saveexec_b64 s[8:9], s[30:31]
; %bb.873:                              ;   in Loop: Header=BB245_559 Depth=1
	s_mov_b32 s10, 0x7fc02000
	s_xor_b64 s[0:1], exec, -1
; %bb.874:                              ;   in Loop: Header=BB245_559 Depth=1
	s_or_b64 exec, exec, s[8:9]
	s_and_b64 s[0:1], s[0:1], exec
	s_or_saveexec_b64 s[6:7], s[6:7]
	v_mov_b32_e32 v27, s10
	s_xor_b64 exec, exec, s[6:7]
	s_cbranch_execz .LBB245_604
.LBB245_875:                            ;   in Loop: Header=BB245_559 Depth=1
	v_cmp_ne_u16_sdwa s[8:9], v4, v5 src0_sel:BYTE_0 src1_sel:DWORD
	s_andn2_b64 s[0:1], s[0:1], exec
	s_and_b64 s[8:9], s[8:9], exec
	v_mov_b32_e32 v27, 0
	s_or_b64 s[0:1], s[0:1], s[8:9]
	s_or_b64 exec, exec, s[6:7]
	s_and_saveexec_b64 s[6:7], s[0:1]
	s_cbranch_execnz .LBB245_605
	s_branch .LBB245_606
.LBB245_876:                            ;   in Loop: Header=BB245_559 Depth=1
	v_cmp_eq_u16_e64 s[0:1], s24, v4
	s_mov_b64 s[6:7], -1
                                        ; implicit-def: $sgpr30
	s_and_saveexec_b64 s[10:11], s[0:1]
; %bb.877:                              ;   in Loop: Header=BB245_559 Depth=1
	s_mov_b32 s30, 0x7fc02000
	s_xor_b64 s[6:7], exec, -1
; %bb.878:                              ;   in Loop: Header=BB245_559 Depth=1
	s_or_b64 exec, exec, s[10:11]
	s_and_b64 s[6:7], s[6:7], exec
	s_or_saveexec_b64 s[8:9], s[8:9]
	v_mov_b32_e32 v37, s30
	s_xor_b64 exec, exec, s[8:9]
	s_cbranch_execz .LBB245_608
.LBB245_879:                            ;   in Loop: Header=BB245_559 Depth=1
	v_cmp_ne_u16_e64 s[0:1], 0, v4
	s_andn2_b64 s[6:7], s[6:7], exec
	s_and_b64 s[0:1], s[0:1], exec
	v_mov_b32_e32 v37, 0
	s_or_b64 s[6:7], s[6:7], s[0:1]
	s_or_b64 exec, exec, s[8:9]
	s_and_saveexec_b64 s[8:9], s[6:7]
	s_cbranch_execnz .LBB245_609
	s_branch .LBB245_610
.LBB245_880:                            ;   in Loop: Header=BB245_559 Depth=1
	v_cmp_eq_u16_sdwa s[30:31], v25, s24 src0_sel:BYTE_0 src1_sel:DWORD
	s_mov_b64 s[0:1], -1
                                        ; implicit-def: $sgpr10
	s_and_saveexec_b64 s[8:9], s[30:31]
; %bb.881:                              ;   in Loop: Header=BB245_559 Depth=1
	s_mov_b32 s10, 0x7fc02000
	s_xor_b64 s[0:1], exec, -1
; %bb.882:                              ;   in Loop: Header=BB245_559 Depth=1
	s_or_b64 exec, exec, s[8:9]
	s_and_b64 s[0:1], s[0:1], exec
	s_or_saveexec_b64 s[6:7], s[6:7]
	v_mov_b32_e32 v0, s10
	s_xor_b64 exec, exec, s[6:7]
	s_cbranch_execz .LBB245_612
.LBB245_883:                            ;   in Loop: Header=BB245_559 Depth=1
	v_cmp_ne_u16_sdwa s[8:9], v25, v5 src0_sel:BYTE_0 src1_sel:DWORD
	s_andn2_b64 s[0:1], s[0:1], exec
	s_and_b64 s[8:9], s[8:9], exec
	v_mov_b32_e32 v0, 0
	s_or_b64 s[0:1], s[0:1], s[8:9]
	s_or_b64 exec, exec, s[6:7]
	v_mov_b32_e32 v4, v25
	s_and_saveexec_b64 s[6:7], s[0:1]
	s_cbranch_execnz .LBB245_613
	s_branch .LBB245_614
.LBB245_884:                            ;   in Loop: Header=BB245_559 Depth=1
	v_cmp_eq_u16_e64 s[0:1], s24, v4
	s_mov_b64 s[6:7], -1
                                        ; implicit-def: $sgpr30
	s_and_saveexec_b64 s[10:11], s[0:1]
; %bb.885:                              ;   in Loop: Header=BB245_559 Depth=1
	s_mov_b32 s30, 0x7fc02000
	s_xor_b64 s[6:7], exec, -1
; %bb.886:                              ;   in Loop: Header=BB245_559 Depth=1
	s_or_b64 exec, exec, s[10:11]
	s_and_b64 s[6:7], s[6:7], exec
	s_or_saveexec_b64 s[8:9], s[8:9]
	v_mov_b32_e32 v1, s30
	s_xor_b64 exec, exec, s[8:9]
	s_cbranch_execz .LBB245_616
.LBB245_887:                            ;   in Loop: Header=BB245_559 Depth=1
	v_cmp_ne_u16_e64 s[0:1], 0, v4
	s_andn2_b64 s[6:7], s[6:7], exec
	s_and_b64 s[0:1], s[0:1], exec
	v_mov_b32_e32 v1, 0
	s_or_b64 s[6:7], s[6:7], s[0:1]
	s_or_b64 exec, exec, s[8:9]
	s_and_saveexec_b64 s[8:9], s[6:7]
	s_cbranch_execnz .LBB245_617
	s_branch .LBB245_618
.LBB245_888:                            ;   in Loop: Header=BB245_559 Depth=1
	v_cmp_eq_u16_sdwa s[30:31], v4, s24 src0_sel:BYTE_0 src1_sel:DWORD
	s_mov_b64 s[0:1], -1
                                        ; implicit-def: $sgpr10
	s_and_saveexec_b64 s[8:9], s[30:31]
; %bb.889:                              ;   in Loop: Header=BB245_559 Depth=1
	s_mov_b32 s10, 0x7fc02000
	s_xor_b64 s[0:1], exec, -1
; %bb.890:                              ;   in Loop: Header=BB245_559 Depth=1
	s_or_b64 exec, exec, s[8:9]
	s_and_b64 s[0:1], s[0:1], exec
	s_or_saveexec_b64 s[6:7], s[6:7]
	v_mov_b32_e32 v2, s10
	s_xor_b64 exec, exec, s[6:7]
	s_cbranch_execz .LBB245_620
.LBB245_891:                            ;   in Loop: Header=BB245_559 Depth=1
	v_cmp_ne_u16_sdwa s[8:9], v4, v5 src0_sel:BYTE_0 src1_sel:DWORD
	s_andn2_b64 s[0:1], s[0:1], exec
	s_and_b64 s[8:9], s[8:9], exec
	v_mov_b32_e32 v2, 0
	s_or_b64 s[0:1], s[0:1], s[8:9]
	s_or_b64 exec, exec, s[6:7]
	s_and_saveexec_b64 s[6:7], s[0:1]
	s_cbranch_execnz .LBB245_621
	s_branch .LBB245_622
.LBB245_892:                            ;   in Loop: Header=BB245_559 Depth=1
	v_cmp_eq_u16_e64 s[0:1], s24, v4
	s_mov_b64 s[6:7], -1
                                        ; implicit-def: $sgpr30
	s_and_saveexec_b64 s[10:11], s[0:1]
; %bb.893:                              ;   in Loop: Header=BB245_559 Depth=1
	s_mov_b32 s30, 0x7fc02000
	s_xor_b64 s[6:7], exec, -1
; %bb.894:                              ;   in Loop: Header=BB245_559 Depth=1
	s_or_b64 exec, exec, s[10:11]
	s_and_b64 s[6:7], s[6:7], exec
	s_or_saveexec_b64 s[8:9], s[8:9]
	v_mov_b32_e32 v13, s30
	s_xor_b64 exec, exec, s[8:9]
	s_cbranch_execz .LBB245_624
.LBB245_895:                            ;   in Loop: Header=BB245_559 Depth=1
	v_cmp_ne_u16_e64 s[0:1], 0, v4
	s_andn2_b64 s[6:7], s[6:7], exec
	s_and_b64 s[0:1], s[0:1], exec
	v_mov_b32_e32 v13, 0
	s_or_b64 s[6:7], s[6:7], s[0:1]
	s_or_b64 exec, exec, s[8:9]
	s_and_saveexec_b64 s[8:9], s[6:7]
	s_cbranch_execnz .LBB245_625
	s_branch .LBB245_626
.LBB245_896:                            ;   in Loop: Header=BB245_559 Depth=1
	v_cmp_eq_u16_sdwa s[30:31], v24, s24 src0_sel:BYTE_0 src1_sel:DWORD
	s_mov_b64 s[0:1], -1
                                        ; implicit-def: $sgpr10
	s_and_saveexec_b64 s[8:9], s[30:31]
; %bb.897:                              ;   in Loop: Header=BB245_559 Depth=1
	s_mov_b32 s10, 0x7fc02000
	s_xor_b64 s[0:1], exec, -1
; %bb.898:                              ;   in Loop: Header=BB245_559 Depth=1
	s_or_b64 exec, exec, s[8:9]
	s_and_b64 s[0:1], s[0:1], exec
	s_or_saveexec_b64 s[6:7], s[6:7]
	v_mov_b32_e32 v26, s10
	s_xor_b64 exec, exec, s[6:7]
	s_cbranch_execz .LBB245_630
.LBB245_899:                            ;   in Loop: Header=BB245_559 Depth=1
	v_cmp_ne_u16_sdwa s[8:9], v24, v5 src0_sel:BYTE_0 src1_sel:DWORD
	s_andn2_b64 s[0:1], s[0:1], exec
	s_and_b64 s[8:9], s[8:9], exec
	v_mov_b32_e32 v26, 0
	s_or_b64 s[0:1], s[0:1], s[8:9]
	s_or_b64 exec, exec, s[6:7]
	s_and_saveexec_b64 s[6:7], s[0:1]
	s_cbranch_execnz .LBB245_631
	s_branch .LBB245_632
.LBB245_900:                            ;   in Loop: Header=BB245_559 Depth=1
	v_cmp_eq_u16_e64 s[0:1], s24, v4
	s_mov_b64 s[6:7], -1
                                        ; implicit-def: $sgpr30
	s_and_saveexec_b64 s[10:11], s[0:1]
; %bb.901:                              ;   in Loop: Header=BB245_559 Depth=1
	s_mov_b32 s30, 0x7fc02000
	s_xor_b64 s[6:7], exec, -1
; %bb.902:                              ;   in Loop: Header=BB245_559 Depth=1
	s_or_b64 exec, exec, s[10:11]
	s_and_b64 s[6:7], s[6:7], exec
	s_or_saveexec_b64 s[8:9], s[8:9]
	v_mov_b32_e32 v36, s30
	s_xor_b64 exec, exec, s[8:9]
	s_cbranch_execz .LBB245_634
.LBB245_903:                            ;   in Loop: Header=BB245_559 Depth=1
	v_cmp_ne_u16_e64 s[0:1], 0, v4
	s_andn2_b64 s[6:7], s[6:7], exec
	s_and_b64 s[0:1], s[0:1], exec
	v_mov_b32_e32 v36, 0
	s_or_b64 s[6:7], s[6:7], s[0:1]
	s_or_b64 exec, exec, s[8:9]
	s_and_saveexec_b64 s[8:9], s[6:7]
	s_cbranch_execnz .LBB245_635
	s_branch .LBB245_636
.LBB245_904:                            ;   in Loop: Header=BB245_559 Depth=1
	v_cmp_eq_u16_sdwa s[30:31], v4, s24 src0_sel:BYTE_0 src1_sel:DWORD
	s_mov_b64 s[0:1], -1
                                        ; implicit-def: $sgpr10
	s_and_saveexec_b64 s[8:9], s[30:31]
; %bb.905:                              ;   in Loop: Header=BB245_559 Depth=1
	s_mov_b32 s10, 0x7fc02000
	s_xor_b64 s[0:1], exec, -1
; %bb.906:                              ;   in Loop: Header=BB245_559 Depth=1
	s_or_b64 exec, exec, s[8:9]
	s_and_b64 s[0:1], s[0:1], exec
	s_or_saveexec_b64 s[6:7], s[6:7]
	v_mov_b32_e32 v27, s10
	s_xor_b64 exec, exec, s[6:7]
	s_cbranch_execz .LBB245_638
.LBB245_907:                            ;   in Loop: Header=BB245_559 Depth=1
	v_cmp_ne_u16_sdwa s[8:9], v4, v5 src0_sel:BYTE_0 src1_sel:DWORD
	s_andn2_b64 s[0:1], s[0:1], exec
	s_and_b64 s[8:9], s[8:9], exec
	v_mov_b32_e32 v27, 0
	s_or_b64 s[0:1], s[0:1], s[8:9]
	s_or_b64 exec, exec, s[6:7]
	s_and_saveexec_b64 s[6:7], s[0:1]
	s_cbranch_execnz .LBB245_639
	s_branch .LBB245_640
.LBB245_908:                            ;   in Loop: Header=BB245_559 Depth=1
	v_cmp_eq_u16_e64 s[0:1], s24, v4
	s_mov_b64 s[6:7], -1
                                        ; implicit-def: $sgpr30
	s_and_saveexec_b64 s[10:11], s[0:1]
; %bb.909:                              ;   in Loop: Header=BB245_559 Depth=1
	s_mov_b32 s30, 0x7fc02000
	s_xor_b64 s[6:7], exec, -1
; %bb.910:                              ;   in Loop: Header=BB245_559 Depth=1
	s_or_b64 exec, exec, s[10:11]
	s_and_b64 s[6:7], s[6:7], exec
	s_or_saveexec_b64 s[8:9], s[8:9]
	v_mov_b32_e32 v37, s30
	s_xor_b64 exec, exec, s[8:9]
	s_cbranch_execz .LBB245_642
.LBB245_911:                            ;   in Loop: Header=BB245_559 Depth=1
	v_cmp_ne_u16_e64 s[0:1], 0, v4
	s_andn2_b64 s[6:7], s[6:7], exec
	s_and_b64 s[0:1], s[0:1], exec
	v_mov_b32_e32 v37, 0
	s_or_b64 s[6:7], s[6:7], s[0:1]
	s_or_b64 exec, exec, s[8:9]
	s_and_saveexec_b64 s[8:9], s[6:7]
	s_cbranch_execnz .LBB245_643
	s_branch .LBB245_644
.LBB245_912:                            ;   in Loop: Header=BB245_559 Depth=1
	v_cmp_eq_u16_sdwa s[30:31], v25, s24 src0_sel:BYTE_0 src1_sel:DWORD
	s_mov_b64 s[0:1], -1
                                        ; implicit-def: $sgpr10
	s_and_saveexec_b64 s[8:9], s[30:31]
; %bb.913:                              ;   in Loop: Header=BB245_559 Depth=1
	s_mov_b32 s10, 0x7fc02000
	s_xor_b64 s[0:1], exec, -1
; %bb.914:                              ;   in Loop: Header=BB245_559 Depth=1
	s_or_b64 exec, exec, s[8:9]
	s_and_b64 s[0:1], s[0:1], exec
	s_or_saveexec_b64 s[6:7], s[6:7]
	v_mov_b32_e32 v0, s10
	s_xor_b64 exec, exec, s[6:7]
	s_cbranch_execz .LBB245_646
.LBB245_915:                            ;   in Loop: Header=BB245_559 Depth=1
	v_cmp_ne_u16_sdwa s[8:9], v25, v5 src0_sel:BYTE_0 src1_sel:DWORD
	s_andn2_b64 s[0:1], s[0:1], exec
	s_and_b64 s[8:9], s[8:9], exec
	v_mov_b32_e32 v0, 0
	s_or_b64 s[0:1], s[0:1], s[8:9]
	s_or_b64 exec, exec, s[6:7]
	v_mov_b32_e32 v4, v25
	s_and_saveexec_b64 s[6:7], s[0:1]
	s_cbranch_execnz .LBB245_647
	s_branch .LBB245_648
.LBB245_916:                            ;   in Loop: Header=BB245_559 Depth=1
	v_cmp_eq_u16_e64 s[0:1], s24, v4
	s_mov_b64 s[6:7], -1
                                        ; implicit-def: $sgpr30
	s_and_saveexec_b64 s[10:11], s[0:1]
; %bb.917:                              ;   in Loop: Header=BB245_559 Depth=1
	s_mov_b32 s30, 0x7fc02000
	s_xor_b64 s[6:7], exec, -1
; %bb.918:                              ;   in Loop: Header=BB245_559 Depth=1
	s_or_b64 exec, exec, s[10:11]
	s_and_b64 s[6:7], s[6:7], exec
	s_or_saveexec_b64 s[8:9], s[8:9]
	v_mov_b32_e32 v1, s30
	s_xor_b64 exec, exec, s[8:9]
	s_cbranch_execz .LBB245_650
.LBB245_919:                            ;   in Loop: Header=BB245_559 Depth=1
	v_cmp_ne_u16_e64 s[0:1], 0, v4
	s_andn2_b64 s[6:7], s[6:7], exec
	s_and_b64 s[0:1], s[0:1], exec
	v_mov_b32_e32 v1, 0
	s_or_b64 s[6:7], s[6:7], s[0:1]
	s_or_b64 exec, exec, s[8:9]
	s_and_saveexec_b64 s[8:9], s[6:7]
	s_cbranch_execnz .LBB245_651
	s_branch .LBB245_652
.LBB245_920:                            ;   in Loop: Header=BB245_559 Depth=1
	v_cmp_eq_u16_sdwa s[30:31], v4, s24 src0_sel:BYTE_0 src1_sel:DWORD
	s_mov_b64 s[0:1], -1
                                        ; implicit-def: $sgpr10
	s_and_saveexec_b64 s[8:9], s[30:31]
; %bb.921:                              ;   in Loop: Header=BB245_559 Depth=1
	s_mov_b32 s10, 0x7fc02000
	s_xor_b64 s[0:1], exec, -1
; %bb.922:                              ;   in Loop: Header=BB245_559 Depth=1
	s_or_b64 exec, exec, s[8:9]
	s_and_b64 s[0:1], s[0:1], exec
	s_or_saveexec_b64 s[6:7], s[6:7]
	v_mov_b32_e32 v2, s10
	s_xor_b64 exec, exec, s[6:7]
	s_cbranch_execz .LBB245_654
.LBB245_923:                            ;   in Loop: Header=BB245_559 Depth=1
	v_cmp_ne_u16_sdwa s[8:9], v4, v5 src0_sel:BYTE_0 src1_sel:DWORD
	s_andn2_b64 s[0:1], s[0:1], exec
	s_and_b64 s[8:9], s[8:9], exec
	v_mov_b32_e32 v2, 0
	s_or_b64 s[0:1], s[0:1], s[8:9]
	s_or_b64 exec, exec, s[6:7]
	s_and_saveexec_b64 s[6:7], s[0:1]
	s_cbranch_execnz .LBB245_655
	s_branch .LBB245_656
.LBB245_924:                            ;   in Loop: Header=BB245_559 Depth=1
	v_cmp_eq_u16_e64 s[0:1], s24, v4
	s_mov_b64 s[6:7], -1
                                        ; implicit-def: $sgpr30
	s_and_saveexec_b64 s[10:11], s[0:1]
; %bb.925:                              ;   in Loop: Header=BB245_559 Depth=1
	s_mov_b32 s30, 0x7fc02000
	s_xor_b64 s[6:7], exec, -1
; %bb.926:                              ;   in Loop: Header=BB245_559 Depth=1
	s_or_b64 exec, exec, s[10:11]
	s_and_b64 s[6:7], s[6:7], exec
	s_or_saveexec_b64 s[8:9], s[8:9]
	v_mov_b32_e32 v13, s30
	s_xor_b64 exec, exec, s[8:9]
	s_cbranch_execz .LBB245_658
.LBB245_927:                            ;   in Loop: Header=BB245_559 Depth=1
	v_cmp_ne_u16_e64 s[0:1], 0, v4
	s_andn2_b64 s[6:7], s[6:7], exec
	s_and_b64 s[0:1], s[0:1], exec
	v_mov_b32_e32 v13, 0
	s_or_b64 s[6:7], s[6:7], s[0:1]
	s_or_b64 exec, exec, s[8:9]
	s_and_saveexec_b64 s[8:9], s[6:7]
	s_cbranch_execnz .LBB245_659
	s_branch .LBB245_660
.LBB245_928:                            ;   in Loop: Header=BB245_559 Depth=1
	v_cmp_eq_u16_sdwa s[30:31], v24, s24 src0_sel:BYTE_0 src1_sel:DWORD
	s_mov_b64 s[0:1], -1
                                        ; implicit-def: $sgpr10
	s_and_saveexec_b64 s[8:9], s[30:31]
; %bb.929:                              ;   in Loop: Header=BB245_559 Depth=1
	s_mov_b32 s10, 0x7fc02000
	s_xor_b64 s[0:1], exec, -1
; %bb.930:                              ;   in Loop: Header=BB245_559 Depth=1
	s_or_b64 exec, exec, s[8:9]
	s_and_b64 s[0:1], s[0:1], exec
	s_or_saveexec_b64 s[6:7], s[6:7]
	v_mov_b32_e32 v26, s10
	s_xor_b64 exec, exec, s[6:7]
	s_cbranch_execz .LBB245_664
.LBB245_931:                            ;   in Loop: Header=BB245_559 Depth=1
	v_cmp_ne_u16_sdwa s[8:9], v24, v5 src0_sel:BYTE_0 src1_sel:DWORD
	s_andn2_b64 s[0:1], s[0:1], exec
	s_and_b64 s[8:9], s[8:9], exec
	v_mov_b32_e32 v26, 0
	s_or_b64 s[0:1], s[0:1], s[8:9]
	s_or_b64 exec, exec, s[6:7]
	s_and_saveexec_b64 s[6:7], s[0:1]
	s_cbranch_execnz .LBB245_665
	s_branch .LBB245_666
.LBB245_932:                            ;   in Loop: Header=BB245_559 Depth=1
	v_cmp_eq_u16_e64 s[0:1], s24, v4
	s_mov_b64 s[6:7], -1
                                        ; implicit-def: $sgpr30
	s_and_saveexec_b64 s[10:11], s[0:1]
; %bb.933:                              ;   in Loop: Header=BB245_559 Depth=1
	s_mov_b32 s30, 0x7fc02000
	s_xor_b64 s[6:7], exec, -1
; %bb.934:                              ;   in Loop: Header=BB245_559 Depth=1
	s_or_b64 exec, exec, s[10:11]
	s_and_b64 s[6:7], s[6:7], exec
	s_or_saveexec_b64 s[8:9], s[8:9]
	v_mov_b32_e32 v36, s30
	s_xor_b64 exec, exec, s[8:9]
	s_cbranch_execz .LBB245_668
.LBB245_935:                            ;   in Loop: Header=BB245_559 Depth=1
	v_cmp_ne_u16_e64 s[0:1], 0, v4
	s_andn2_b64 s[6:7], s[6:7], exec
	s_and_b64 s[0:1], s[0:1], exec
	v_mov_b32_e32 v36, 0
	s_or_b64 s[6:7], s[6:7], s[0:1]
	s_or_b64 exec, exec, s[8:9]
	s_and_saveexec_b64 s[8:9], s[6:7]
	s_cbranch_execnz .LBB245_669
	s_branch .LBB245_670
.LBB245_936:                            ;   in Loop: Header=BB245_559 Depth=1
	v_cmp_eq_u16_sdwa s[30:31], v4, s24 src0_sel:BYTE_0 src1_sel:DWORD
	s_mov_b64 s[0:1], -1
                                        ; implicit-def: $sgpr10
	s_and_saveexec_b64 s[8:9], s[30:31]
; %bb.937:                              ;   in Loop: Header=BB245_559 Depth=1
	s_mov_b32 s10, 0x7fc02000
	s_xor_b64 s[0:1], exec, -1
; %bb.938:                              ;   in Loop: Header=BB245_559 Depth=1
	s_or_b64 exec, exec, s[8:9]
	s_and_b64 s[0:1], s[0:1], exec
	s_or_saveexec_b64 s[6:7], s[6:7]
	v_mov_b32_e32 v27, s10
	s_xor_b64 exec, exec, s[6:7]
	s_cbranch_execz .LBB245_672
.LBB245_939:                            ;   in Loop: Header=BB245_559 Depth=1
	v_cmp_ne_u16_sdwa s[8:9], v4, v5 src0_sel:BYTE_0 src1_sel:DWORD
	s_andn2_b64 s[0:1], s[0:1], exec
	s_and_b64 s[8:9], s[8:9], exec
	v_mov_b32_e32 v27, 0
	s_or_b64 s[0:1], s[0:1], s[8:9]
	s_or_b64 exec, exec, s[6:7]
	s_and_saveexec_b64 s[6:7], s[0:1]
	s_cbranch_execnz .LBB245_673
	s_branch .LBB245_674
.LBB245_940:                            ;   in Loop: Header=BB245_559 Depth=1
	v_cmp_eq_u16_e64 s[0:1], s24, v4
	s_mov_b64 s[6:7], -1
                                        ; implicit-def: $sgpr30
	s_and_saveexec_b64 s[10:11], s[0:1]
; %bb.941:                              ;   in Loop: Header=BB245_559 Depth=1
	s_mov_b32 s30, 0x7fc02000
	s_xor_b64 s[6:7], exec, -1
; %bb.942:                              ;   in Loop: Header=BB245_559 Depth=1
	s_or_b64 exec, exec, s[10:11]
	s_and_b64 s[6:7], s[6:7], exec
	s_or_saveexec_b64 s[8:9], s[8:9]
	v_mov_b32_e32 v37, s30
	s_xor_b64 exec, exec, s[8:9]
	s_cbranch_execz .LBB245_676
.LBB245_943:                            ;   in Loop: Header=BB245_559 Depth=1
	v_cmp_ne_u16_e64 s[0:1], 0, v4
	s_andn2_b64 s[6:7], s[6:7], exec
	s_and_b64 s[0:1], s[0:1], exec
	v_mov_b32_e32 v37, 0
	s_or_b64 s[6:7], s[6:7], s[0:1]
	s_or_b64 exec, exec, s[8:9]
	s_and_saveexec_b64 s[8:9], s[6:7]
	s_cbranch_execnz .LBB245_677
	s_branch .LBB245_678
.LBB245_944:                            ;   in Loop: Header=BB245_559 Depth=1
	v_cmp_eq_u16_sdwa s[30:31], v25, s24 src0_sel:BYTE_0 src1_sel:DWORD
	s_mov_b64 s[0:1], -1
                                        ; implicit-def: $sgpr10
	s_and_saveexec_b64 s[8:9], s[30:31]
; %bb.945:                              ;   in Loop: Header=BB245_559 Depth=1
	s_mov_b32 s10, 0x7fc02000
	s_xor_b64 s[0:1], exec, -1
; %bb.946:                              ;   in Loop: Header=BB245_559 Depth=1
	s_or_b64 exec, exec, s[8:9]
	s_and_b64 s[0:1], s[0:1], exec
	s_or_saveexec_b64 s[6:7], s[6:7]
	v_mov_b32_e32 v2, s10
	s_xor_b64 exec, exec, s[6:7]
	s_cbranch_execz .LBB245_680
.LBB245_947:                            ;   in Loop: Header=BB245_559 Depth=1
	v_cmp_ne_u16_sdwa s[8:9], v25, v5 src0_sel:BYTE_0 src1_sel:DWORD
	s_andn2_b64 s[0:1], s[0:1], exec
	s_and_b64 s[8:9], s[8:9], exec
	v_mov_b32_e32 v2, 0
	s_or_b64 s[0:1], s[0:1], s[8:9]
	s_or_b64 exec, exec, s[6:7]
	v_mov_b32_e32 v4, v25
	s_and_saveexec_b64 s[6:7], s[0:1]
	s_cbranch_execnz .LBB245_681
	s_branch .LBB245_682
.LBB245_948:                            ;   in Loop: Header=BB245_559 Depth=1
	v_cmp_eq_u16_e64 s[0:1], s24, v4
	s_mov_b64 s[6:7], -1
                                        ; implicit-def: $sgpr30
	s_and_saveexec_b64 s[10:11], s[0:1]
; %bb.949:                              ;   in Loop: Header=BB245_559 Depth=1
	s_mov_b32 s30, 0x7fc02000
	s_xor_b64 s[6:7], exec, -1
; %bb.950:                              ;   in Loop: Header=BB245_559 Depth=1
	s_or_b64 exec, exec, s[10:11]
	s_and_b64 s[6:7], s[6:7], exec
	s_or_saveexec_b64 s[8:9], s[8:9]
	v_mov_b32_e32 v12, s30
	s_xor_b64 exec, exec, s[8:9]
	s_cbranch_execz .LBB245_684
.LBB245_951:                            ;   in Loop: Header=BB245_559 Depth=1
	v_cmp_ne_u16_e64 s[0:1], 0, v4
	s_andn2_b64 s[6:7], s[6:7], exec
	s_and_b64 s[0:1], s[0:1], exec
	v_mov_b32_e32 v12, 0
	s_or_b64 s[6:7], s[6:7], s[0:1]
	s_or_b64 exec, exec, s[8:9]
	s_and_saveexec_b64 s[8:9], s[6:7]
	s_cbranch_execnz .LBB245_685
	s_branch .LBB245_686
.LBB245_952:                            ;   in Loop: Header=BB245_559 Depth=1
	v_cmp_eq_u16_sdwa s[30:31], v4, s24 src0_sel:BYTE_0 src1_sel:DWORD
	s_mov_b64 s[0:1], -1
                                        ; implicit-def: $sgpr10
	s_and_saveexec_b64 s[8:9], s[30:31]
; %bb.953:                              ;   in Loop: Header=BB245_559 Depth=1
	s_mov_b32 s10, 0x7fc02000
	s_xor_b64 s[0:1], exec, -1
; %bb.954:                              ;   in Loop: Header=BB245_559 Depth=1
	s_or_b64 exec, exec, s[8:9]
	s_and_b64 s[0:1], s[0:1], exec
	s_or_saveexec_b64 s[6:7], s[6:7]
	v_mov_b32_e32 v13, s10
	s_xor_b64 exec, exec, s[6:7]
	s_cbranch_execz .LBB245_688
.LBB245_955:                            ;   in Loop: Header=BB245_559 Depth=1
	v_cmp_ne_u16_sdwa s[8:9], v4, v5 src0_sel:BYTE_0 src1_sel:DWORD
	s_andn2_b64 s[0:1], s[0:1], exec
	s_and_b64 s[8:9], s[8:9], exec
	v_mov_b32_e32 v13, 0
	s_or_b64 s[0:1], s[0:1], s[8:9]
	s_or_b64 exec, exec, s[6:7]
	s_and_saveexec_b64 s[6:7], s[0:1]
	s_cbranch_execnz .LBB245_689
	s_branch .LBB245_690
.LBB245_956:                            ;   in Loop: Header=BB245_559 Depth=1
	v_cmp_eq_u16_e64 s[0:1], s24, v4
	s_mov_b64 s[6:7], -1
                                        ; implicit-def: $sgpr30
	s_and_saveexec_b64 s[10:11], s[0:1]
; %bb.957:                              ;   in Loop: Header=BB245_559 Depth=1
	s_mov_b32 s30, 0x7fc02000
	s_xor_b64 s[6:7], exec, -1
; %bb.958:                              ;   in Loop: Header=BB245_559 Depth=1
	s_or_b64 exec, exec, s[10:11]
	s_and_b64 s[6:7], s[6:7], exec
	s_or_saveexec_b64 s[8:9], s[8:9]
	v_mov_b32_e32 v18, s30
	s_xor_b64 exec, exec, s[8:9]
	s_cbranch_execz .LBB245_692
.LBB245_959:                            ;   in Loop: Header=BB245_559 Depth=1
	v_cmp_ne_u16_e64 s[0:1], 0, v4
	s_andn2_b64 s[6:7], s[6:7], exec
	s_and_b64 s[0:1], s[0:1], exec
	v_mov_b32_e32 v18, 0
	s_or_b64 s[6:7], s[6:7], s[0:1]
	s_or_b64 exec, exec, s[8:9]
	s_and_saveexec_b64 s[8:9], s[6:7]
	s_cbranch_execnz .LBB245_693
	s_branch .LBB245_694
.LBB245_960:                            ;   in Loop: Header=BB245_559 Depth=1
	v_cmp_eq_u16_sdwa s[30:31], v24, s24 src0_sel:BYTE_0 src1_sel:DWORD
	s_mov_b64 s[0:1], -1
                                        ; implicit-def: $sgpr10
	s_and_saveexec_b64 s[8:9], s[30:31]
; %bb.961:                              ;   in Loop: Header=BB245_559 Depth=1
	s_mov_b32 s10, 0x7fc02000
	s_xor_b64 s[0:1], exec, -1
; %bb.962:                              ;   in Loop: Header=BB245_559 Depth=1
	s_or_b64 exec, exec, s[8:9]
	s_and_b64 s[0:1], s[0:1], exec
	s_or_saveexec_b64 s[6:7], s[6:7]
	v_mov_b32_e32 v26, s10
	s_xor_b64 exec, exec, s[6:7]
	s_cbranch_execz .LBB245_698
.LBB245_963:                            ;   in Loop: Header=BB245_559 Depth=1
	v_cmp_ne_u16_sdwa s[8:9], v24, v5 src0_sel:BYTE_0 src1_sel:DWORD
	s_andn2_b64 s[0:1], s[0:1], exec
	s_and_b64 s[8:9], s[8:9], exec
	v_mov_b32_e32 v26, 0
	s_or_b64 s[0:1], s[0:1], s[8:9]
	s_or_b64 exec, exec, s[6:7]
	s_and_saveexec_b64 s[6:7], s[0:1]
	s_cbranch_execnz .LBB245_699
	s_branch .LBB245_700
.LBB245_964:                            ;   in Loop: Header=BB245_559 Depth=1
	v_cmp_eq_u16_e64 s[0:1], s24, v4
	s_mov_b64 s[6:7], -1
                                        ; implicit-def: $sgpr30
	s_and_saveexec_b64 s[10:11], s[0:1]
; %bb.965:                              ;   in Loop: Header=BB245_559 Depth=1
	s_mov_b32 s30, 0x7fc02000
	s_xor_b64 s[6:7], exec, -1
; %bb.966:                              ;   in Loop: Header=BB245_559 Depth=1
	s_or_b64 exec, exec, s[10:11]
	s_and_b64 s[6:7], s[6:7], exec
	s_or_saveexec_b64 s[8:9], s[8:9]
	v_mov_b32_e32 v36, s30
	s_xor_b64 exec, exec, s[8:9]
	s_cbranch_execz .LBB245_702
.LBB245_967:                            ;   in Loop: Header=BB245_559 Depth=1
	v_cmp_ne_u16_e64 s[0:1], 0, v4
	s_andn2_b64 s[6:7], s[6:7], exec
	s_and_b64 s[0:1], s[0:1], exec
	v_mov_b32_e32 v36, 0
	s_or_b64 s[6:7], s[6:7], s[0:1]
	s_or_b64 exec, exec, s[8:9]
	s_and_saveexec_b64 s[8:9], s[6:7]
	s_cbranch_execnz .LBB245_703
	s_branch .LBB245_704
.LBB245_968:                            ;   in Loop: Header=BB245_559 Depth=1
	v_cmp_eq_u16_sdwa s[30:31], v4, s24 src0_sel:BYTE_0 src1_sel:DWORD
	s_mov_b64 s[0:1], -1
                                        ; implicit-def: $sgpr10
	s_and_saveexec_b64 s[8:9], s[30:31]
; %bb.969:                              ;   in Loop: Header=BB245_559 Depth=1
	s_mov_b32 s10, 0x7fc02000
	s_xor_b64 s[0:1], exec, -1
; %bb.970:                              ;   in Loop: Header=BB245_559 Depth=1
	s_or_b64 exec, exec, s[8:9]
	s_and_b64 s[0:1], s[0:1], exec
	s_or_saveexec_b64 s[6:7], s[6:7]
	v_mov_b32_e32 v27, s10
	s_xor_b64 exec, exec, s[6:7]
	s_cbranch_execz .LBB245_706
.LBB245_971:                            ;   in Loop: Header=BB245_559 Depth=1
	v_cmp_ne_u16_sdwa s[8:9], v4, v5 src0_sel:BYTE_0 src1_sel:DWORD
	s_andn2_b64 s[0:1], s[0:1], exec
	s_and_b64 s[8:9], s[8:9], exec
	v_mov_b32_e32 v27, 0
	s_or_b64 s[0:1], s[0:1], s[8:9]
	s_or_b64 exec, exec, s[6:7]
	s_and_saveexec_b64 s[6:7], s[0:1]
	s_cbranch_execnz .LBB245_707
	s_branch .LBB245_708
.LBB245_972:                            ;   in Loop: Header=BB245_559 Depth=1
	v_cmp_eq_u16_e64 s[0:1], s24, v4
	s_mov_b64 s[6:7], -1
                                        ; implicit-def: $sgpr30
	s_and_saveexec_b64 s[10:11], s[0:1]
; %bb.973:                              ;   in Loop: Header=BB245_559 Depth=1
	s_mov_b32 s30, 0x7fc02000
	s_xor_b64 s[6:7], exec, -1
; %bb.974:                              ;   in Loop: Header=BB245_559 Depth=1
	s_or_b64 exec, exec, s[10:11]
	s_and_b64 s[6:7], s[6:7], exec
	s_or_saveexec_b64 s[8:9], s[8:9]
	v_mov_b32_e32 v37, s30
	s_xor_b64 exec, exec, s[8:9]
	s_cbranch_execz .LBB245_710
.LBB245_975:                            ;   in Loop: Header=BB245_559 Depth=1
	v_cmp_ne_u16_e64 s[0:1], 0, v4
	s_andn2_b64 s[6:7], s[6:7], exec
	s_and_b64 s[0:1], s[0:1], exec
	v_mov_b32_e32 v37, 0
	s_or_b64 s[6:7], s[6:7], s[0:1]
	s_or_b64 exec, exec, s[8:9]
	s_and_saveexec_b64 s[8:9], s[6:7]
	s_cbranch_execnz .LBB245_711
	s_branch .LBB245_712
.LBB245_976:                            ;   in Loop: Header=BB245_559 Depth=1
	v_cmp_eq_u16_sdwa s[30:31], v25, s24 src0_sel:BYTE_0 src1_sel:DWORD
	s_mov_b64 s[0:1], -1
                                        ; implicit-def: $sgpr10
	s_and_saveexec_b64 s[8:9], s[30:31]
; %bb.977:                              ;   in Loop: Header=BB245_559 Depth=1
	s_mov_b32 s10, 0x7fc02000
	s_xor_b64 s[0:1], exec, -1
; %bb.978:                              ;   in Loop: Header=BB245_559 Depth=1
	s_or_b64 exec, exec, s[8:9]
	s_and_b64 s[0:1], s[0:1], exec
	s_or_saveexec_b64 s[6:7], s[6:7]
	v_mov_b32_e32 v2, s10
	s_xor_b64 exec, exec, s[6:7]
	s_cbranch_execz .LBB245_714
.LBB245_979:                            ;   in Loop: Header=BB245_559 Depth=1
	v_cmp_ne_u16_sdwa s[8:9], v25, v5 src0_sel:BYTE_0 src1_sel:DWORD
	s_andn2_b64 s[0:1], s[0:1], exec
	s_and_b64 s[8:9], s[8:9], exec
	v_mov_b32_e32 v2, 0
	s_or_b64 s[0:1], s[0:1], s[8:9]
	s_or_b64 exec, exec, s[6:7]
	v_mov_b32_e32 v4, v25
	s_and_saveexec_b64 s[6:7], s[0:1]
	s_cbranch_execnz .LBB245_715
	s_branch .LBB245_716
.LBB245_980:                            ;   in Loop: Header=BB245_559 Depth=1
	v_cmp_eq_u16_e64 s[0:1], s24, v4
	s_mov_b64 s[6:7], -1
                                        ; implicit-def: $sgpr30
	s_and_saveexec_b64 s[10:11], s[0:1]
; %bb.981:                              ;   in Loop: Header=BB245_559 Depth=1
	s_mov_b32 s30, 0x7fc02000
	s_xor_b64 s[6:7], exec, -1
; %bb.982:                              ;   in Loop: Header=BB245_559 Depth=1
	s_or_b64 exec, exec, s[10:11]
	s_and_b64 s[6:7], s[6:7], exec
	s_or_saveexec_b64 s[8:9], s[8:9]
	v_mov_b32_e32 v13, s30
	s_xor_b64 exec, exec, s[8:9]
	s_cbranch_execz .LBB245_718
.LBB245_983:                            ;   in Loop: Header=BB245_559 Depth=1
	v_cmp_ne_u16_e64 s[0:1], 0, v4
	s_andn2_b64 s[6:7], s[6:7], exec
	s_and_b64 s[0:1], s[0:1], exec
	v_mov_b32_e32 v13, 0
	s_or_b64 s[6:7], s[6:7], s[0:1]
	s_or_b64 exec, exec, s[8:9]
	s_and_saveexec_b64 s[8:9], s[6:7]
	s_cbranch_execnz .LBB245_719
	s_branch .LBB245_720
.LBB245_984:                            ;   in Loop: Header=BB245_559 Depth=1
	v_cmp_eq_u16_sdwa s[30:31], v4, s24 src0_sel:BYTE_0 src1_sel:DWORD
	s_mov_b64 s[0:1], -1
                                        ; implicit-def: $sgpr10
	s_and_saveexec_b64 s[8:9], s[30:31]
; %bb.985:                              ;   in Loop: Header=BB245_559 Depth=1
	s_mov_b32 s10, 0x7fc02000
	s_xor_b64 s[0:1], exec, -1
; %bb.986:                              ;   in Loop: Header=BB245_559 Depth=1
	s_or_b64 exec, exec, s[8:9]
	s_and_b64 s[0:1], s[0:1], exec
	s_or_saveexec_b64 s[6:7], s[6:7]
	v_mov_b32_e32 v18, s10
	s_xor_b64 exec, exec, s[6:7]
	s_cbranch_execz .LBB245_722
.LBB245_987:                            ;   in Loop: Header=BB245_559 Depth=1
	v_cmp_ne_u16_sdwa s[8:9], v4, v5 src0_sel:BYTE_0 src1_sel:DWORD
	s_andn2_b64 s[0:1], s[0:1], exec
	s_and_b64 s[8:9], s[8:9], exec
	v_mov_b32_e32 v18, 0
	s_or_b64 s[0:1], s[0:1], s[8:9]
	s_or_b64 exec, exec, s[6:7]
	s_and_saveexec_b64 s[6:7], s[0:1]
	s_cbranch_execnz .LBB245_723
	s_branch .LBB245_724
.LBB245_988:                            ;   in Loop: Header=BB245_559 Depth=1
	v_cmp_eq_u16_e64 s[0:1], s24, v4
	s_mov_b64 s[6:7], -1
                                        ; implicit-def: $sgpr30
	s_and_saveexec_b64 s[10:11], s[0:1]
; %bb.989:                              ;   in Loop: Header=BB245_559 Depth=1
	s_mov_b32 s30, 0x7fc02000
	s_xor_b64 s[6:7], exec, -1
; %bb.990:                              ;   in Loop: Header=BB245_559 Depth=1
	s_or_b64 exec, exec, s[10:11]
	s_and_b64 s[6:7], s[6:7], exec
	s_or_saveexec_b64 s[8:9], s[8:9]
	v_mov_b32_e32 v22, s30
	s_xor_b64 exec, exec, s[8:9]
	s_cbranch_execz .LBB245_726
.LBB245_991:                            ;   in Loop: Header=BB245_559 Depth=1
	v_cmp_ne_u16_e64 s[0:1], 0, v4
	s_andn2_b64 s[6:7], s[6:7], exec
	s_and_b64 s[0:1], s[0:1], exec
	v_mov_b32_e32 v22, 0
	s_or_b64 s[6:7], s[6:7], s[0:1]
	s_or_b64 exec, exec, s[8:9]
	s_and_saveexec_b64 s[8:9], s[6:7]
	s_cbranch_execnz .LBB245_727
	s_branch .LBB245_728
.LBB245_992:                            ;   in Loop: Header=BB245_559 Depth=1
	v_cmp_eq_u16_sdwa s[30:31], v24, s24 src0_sel:BYTE_0 src1_sel:DWORD
	s_mov_b64 s[0:1], -1
                                        ; implicit-def: $sgpr10
	s_and_saveexec_b64 s[8:9], s[30:31]
; %bb.993:                              ;   in Loop: Header=BB245_559 Depth=1
	s_mov_b32 s10, 0x7fc02000
	s_xor_b64 s[0:1], exec, -1
; %bb.994:                              ;   in Loop: Header=BB245_559 Depth=1
	s_or_b64 exec, exec, s[8:9]
	s_and_b64 s[0:1], s[0:1], exec
	s_or_saveexec_b64 s[6:7], s[6:7]
	v_mov_b32_e32 v26, s10
	s_xor_b64 exec, exec, s[6:7]
	s_cbranch_execz .LBB245_732
.LBB245_995:                            ;   in Loop: Header=BB245_559 Depth=1
	v_cmp_ne_u16_sdwa s[8:9], v24, v5 src0_sel:BYTE_0 src1_sel:DWORD
	s_andn2_b64 s[0:1], s[0:1], exec
	s_and_b64 s[8:9], s[8:9], exec
	v_mov_b32_e32 v26, 0
	s_or_b64 s[0:1], s[0:1], s[8:9]
	s_or_b64 exec, exec, s[6:7]
	s_and_saveexec_b64 s[6:7], s[0:1]
	s_cbranch_execnz .LBB245_733
	s_branch .LBB245_734
.LBB245_996:                            ;   in Loop: Header=BB245_559 Depth=1
	v_cmp_eq_u16_e64 s[0:1], s24, v4
	s_mov_b64 s[6:7], -1
                                        ; implicit-def: $sgpr30
	s_and_saveexec_b64 s[10:11], s[0:1]
; %bb.997:                              ;   in Loop: Header=BB245_559 Depth=1
	s_mov_b32 s30, 0x7fc02000
	s_xor_b64 s[6:7], exec, -1
; %bb.998:                              ;   in Loop: Header=BB245_559 Depth=1
	s_or_b64 exec, exec, s[10:11]
	s_and_b64 s[6:7], s[6:7], exec
	s_or_saveexec_b64 s[8:9], s[8:9]
	v_mov_b32_e32 v36, s30
	s_xor_b64 exec, exec, s[8:9]
	s_cbranch_execz .LBB245_736
.LBB245_999:                            ;   in Loop: Header=BB245_559 Depth=1
	v_cmp_ne_u16_e64 s[0:1], 0, v4
	s_andn2_b64 s[6:7], s[6:7], exec
	s_and_b64 s[0:1], s[0:1], exec
	v_mov_b32_e32 v36, 0
	s_or_b64 s[6:7], s[6:7], s[0:1]
	s_or_b64 exec, exec, s[8:9]
	s_and_saveexec_b64 s[8:9], s[6:7]
	s_cbranch_execnz .LBB245_737
	s_branch .LBB245_738
.LBB245_1000:                           ;   in Loop: Header=BB245_559 Depth=1
	v_cmp_eq_u16_sdwa s[30:31], v4, s24 src0_sel:BYTE_0 src1_sel:DWORD
	s_mov_b64 s[0:1], -1
                                        ; implicit-def: $sgpr10
	s_and_saveexec_b64 s[8:9], s[30:31]
; %bb.1001:                             ;   in Loop: Header=BB245_559 Depth=1
	s_mov_b32 s10, 0x7fc02000
	s_xor_b64 s[0:1], exec, -1
; %bb.1002:                             ;   in Loop: Header=BB245_559 Depth=1
	s_or_b64 exec, exec, s[8:9]
	s_and_b64 s[0:1], s[0:1], exec
	s_or_saveexec_b64 s[6:7], s[6:7]
	v_mov_b32_e32 v27, s10
	s_xor_b64 exec, exec, s[6:7]
	s_cbranch_execz .LBB245_740
.LBB245_1003:                           ;   in Loop: Header=BB245_559 Depth=1
	v_cmp_ne_u16_sdwa s[8:9], v4, v5 src0_sel:BYTE_0 src1_sel:DWORD
	s_andn2_b64 s[0:1], s[0:1], exec
	s_and_b64 s[8:9], s[8:9], exec
	v_mov_b32_e32 v27, 0
	s_or_b64 s[0:1], s[0:1], s[8:9]
	s_or_b64 exec, exec, s[6:7]
	s_and_saveexec_b64 s[6:7], s[0:1]
	s_cbranch_execnz .LBB245_741
	s_branch .LBB245_742
.LBB245_1004:                           ;   in Loop: Header=BB245_559 Depth=1
	v_cmp_eq_u16_e64 s[0:1], s24, v4
	s_mov_b64 s[6:7], -1
                                        ; implicit-def: $sgpr30
	s_and_saveexec_b64 s[10:11], s[0:1]
; %bb.1005:                             ;   in Loop: Header=BB245_559 Depth=1
	s_mov_b32 s30, 0x7fc02000
	s_xor_b64 s[6:7], exec, -1
; %bb.1006:                             ;   in Loop: Header=BB245_559 Depth=1
	s_or_b64 exec, exec, s[10:11]
	s_and_b64 s[6:7], s[6:7], exec
	s_or_saveexec_b64 s[8:9], s[8:9]
	v_mov_b32_e32 v37, s30
	s_xor_b64 exec, exec, s[8:9]
	s_cbranch_execz .LBB245_744
.LBB245_1007:                           ;   in Loop: Header=BB245_559 Depth=1
	v_cmp_ne_u16_e64 s[0:1], 0, v4
	s_andn2_b64 s[6:7], s[6:7], exec
	s_and_b64 s[0:1], s[0:1], exec
	v_mov_b32_e32 v37, 0
	s_or_b64 s[6:7], s[6:7], s[0:1]
	s_or_b64 exec, exec, s[8:9]
	s_and_saveexec_b64 s[8:9], s[6:7]
	s_cbranch_execnz .LBB245_745
	s_branch .LBB245_746
.LBB245_1008:                           ;   in Loop: Header=BB245_559 Depth=1
	v_cmp_eq_u16_sdwa s[30:31], v25, s24 src0_sel:BYTE_0 src1_sel:DWORD
	s_mov_b64 s[0:1], -1
                                        ; implicit-def: $sgpr10
	s_and_saveexec_b64 s[8:9], s[30:31]
; %bb.1009:                             ;   in Loop: Header=BB245_559 Depth=1
	s_mov_b32 s10, 0x7fc02000
	s_xor_b64 s[0:1], exec, -1
; %bb.1010:                             ;   in Loop: Header=BB245_559 Depth=1
	s_or_b64 exec, exec, s[8:9]
	s_and_b64 s[0:1], s[0:1], exec
	s_or_saveexec_b64 s[6:7], s[6:7]
	v_mov_b32_e32 v2, s10
	s_xor_b64 exec, exec, s[6:7]
	s_cbranch_execz .LBB245_748
.LBB245_1011:                           ;   in Loop: Header=BB245_559 Depth=1
	v_cmp_ne_u16_sdwa s[8:9], v25, v5 src0_sel:BYTE_0 src1_sel:DWORD
	s_andn2_b64 s[0:1], s[0:1], exec
	s_and_b64 s[8:9], s[8:9], exec
	v_mov_b32_e32 v2, 0
	s_or_b64 s[0:1], s[0:1], s[8:9]
	s_or_b64 exec, exec, s[6:7]
	v_mov_b32_e32 v4, v25
	s_and_saveexec_b64 s[6:7], s[0:1]
	s_cbranch_execnz .LBB245_749
	s_branch .LBB245_750
.LBB245_1012:                           ;   in Loop: Header=BB245_559 Depth=1
	v_cmp_eq_u16_e64 s[0:1], s24, v4
	s_mov_b64 s[6:7], -1
                                        ; implicit-def: $sgpr30
	s_and_saveexec_b64 s[10:11], s[0:1]
; %bb.1013:                             ;   in Loop: Header=BB245_559 Depth=1
	s_mov_b32 s30, 0x7fc02000
	s_xor_b64 s[6:7], exec, -1
; %bb.1014:                             ;   in Loop: Header=BB245_559 Depth=1
	s_or_b64 exec, exec, s[10:11]
	s_and_b64 s[6:7], s[6:7], exec
	s_or_saveexec_b64 s[8:9], s[8:9]
	v_mov_b32_e32 v13, s30
	s_xor_b64 exec, exec, s[8:9]
	s_cbranch_execz .LBB245_752
.LBB245_1015:                           ;   in Loop: Header=BB245_559 Depth=1
	v_cmp_ne_u16_e64 s[0:1], 0, v4
	s_andn2_b64 s[6:7], s[6:7], exec
	s_and_b64 s[0:1], s[0:1], exec
	v_mov_b32_e32 v13, 0
	s_or_b64 s[6:7], s[6:7], s[0:1]
	s_or_b64 exec, exec, s[8:9]
	s_and_saveexec_b64 s[8:9], s[6:7]
	s_cbranch_execnz .LBB245_753
	s_branch .LBB245_754
.LBB245_1016:                           ;   in Loop: Header=BB245_559 Depth=1
	v_cmp_eq_u16_sdwa s[30:31], v4, s24 src0_sel:BYTE_0 src1_sel:DWORD
	s_mov_b64 s[0:1], -1
                                        ; implicit-def: $sgpr10
	s_and_saveexec_b64 s[8:9], s[30:31]
; %bb.1017:                             ;   in Loop: Header=BB245_559 Depth=1
	s_mov_b32 s10, 0x7fc02000
	s_xor_b64 s[0:1], exec, -1
; %bb.1018:                             ;   in Loop: Header=BB245_559 Depth=1
	s_or_b64 exec, exec, s[8:9]
	s_and_b64 s[0:1], s[0:1], exec
	s_or_saveexec_b64 s[6:7], s[6:7]
	v_mov_b32_e32 v21, s10
	s_xor_b64 exec, exec, s[6:7]
	s_cbranch_execz .LBB245_756
.LBB245_1019:                           ;   in Loop: Header=BB245_559 Depth=1
	v_cmp_ne_u16_sdwa s[8:9], v4, v5 src0_sel:BYTE_0 src1_sel:DWORD
	s_andn2_b64 s[0:1], s[0:1], exec
	s_and_b64 s[8:9], s[8:9], exec
	v_mov_b32_e32 v21, 0
	s_or_b64 s[0:1], s[0:1], s[8:9]
	s_or_b64 exec, exec, s[6:7]
	s_and_saveexec_b64 s[6:7], s[0:1]
	s_cbranch_execnz .LBB245_757
	s_branch .LBB245_758
.LBB245_1020:                           ;   in Loop: Header=BB245_559 Depth=1
	v_cmp_eq_u16_e64 s[0:1], s24, v4
	s_mov_b64 s[6:7], -1
                                        ; implicit-def: $sgpr30
	s_and_saveexec_b64 s[10:11], s[0:1]
; %bb.1021:                             ;   in Loop: Header=BB245_559 Depth=1
	s_mov_b32 s30, 0x7fc02000
	s_xor_b64 s[6:7], exec, -1
; %bb.1022:                             ;   in Loop: Header=BB245_559 Depth=1
	s_or_b64 exec, exec, s[10:11]
	s_and_b64 s[6:7], s[6:7], exec
	s_or_saveexec_b64 s[8:9], s[8:9]
	v_mov_b32_e32 v23, s30
	s_xor_b64 exec, exec, s[8:9]
	s_cbranch_execz .LBB245_760
.LBB245_1023:                           ;   in Loop: Header=BB245_559 Depth=1
	v_cmp_ne_u16_e64 s[0:1], 0, v4
	s_andn2_b64 s[6:7], s[6:7], exec
	s_and_b64 s[0:1], s[0:1], exec
	v_mov_b32_e32 v23, 0
	s_or_b64 s[6:7], s[6:7], s[0:1]
	s_or_b64 exec, exec, s[8:9]
	s_and_saveexec_b64 s[8:9], s[6:7]
	s_cbranch_execnz .LBB245_761
	s_branch .LBB245_762
.LBB245_1024:                           ;   in Loop: Header=BB245_559 Depth=1
	v_cmp_eq_u16_sdwa s[30:31], v24, s24 src0_sel:BYTE_0 src1_sel:DWORD
	s_mov_b64 s[0:1], -1
                                        ; implicit-def: $sgpr10
	s_and_saveexec_b64 s[8:9], s[30:31]
; %bb.1025:                             ;   in Loop: Header=BB245_559 Depth=1
	s_mov_b32 s10, 0x7fc02000
	s_xor_b64 s[0:1], exec, -1
; %bb.1026:                             ;   in Loop: Header=BB245_559 Depth=1
	s_or_b64 exec, exec, s[8:9]
	s_and_b64 s[0:1], s[0:1], exec
	s_or_saveexec_b64 s[6:7], s[6:7]
	v_mov_b32_e32 v26, s10
	s_xor_b64 exec, exec, s[6:7]
	s_cbranch_execz .LBB245_766
.LBB245_1027:                           ;   in Loop: Header=BB245_559 Depth=1
	v_cmp_ne_u16_sdwa s[8:9], v24, v5 src0_sel:BYTE_0 src1_sel:DWORD
	s_andn2_b64 s[0:1], s[0:1], exec
	s_and_b64 s[8:9], s[8:9], exec
	v_mov_b32_e32 v26, 0
	s_or_b64 s[0:1], s[0:1], s[8:9]
	s_or_b64 exec, exec, s[6:7]
	s_and_saveexec_b64 s[6:7], s[0:1]
	s_cbranch_execnz .LBB245_767
	s_branch .LBB245_768
.LBB245_1028:                           ;   in Loop: Header=BB245_559 Depth=1
	v_cmp_eq_u16_e64 s[0:1], s24, v4
	s_mov_b64 s[6:7], -1
                                        ; implicit-def: $sgpr30
	s_and_saveexec_b64 s[10:11], s[0:1]
; %bb.1029:                             ;   in Loop: Header=BB245_559 Depth=1
	s_mov_b32 s30, 0x7fc02000
	s_xor_b64 s[6:7], exec, -1
; %bb.1030:                             ;   in Loop: Header=BB245_559 Depth=1
	s_or_b64 exec, exec, s[10:11]
	s_and_b64 s[6:7], s[6:7], exec
	s_or_saveexec_b64 s[8:9], s[8:9]
	v_mov_b32_e32 v36, s30
	s_xor_b64 exec, exec, s[8:9]
	s_cbranch_execz .LBB245_770
.LBB245_1031:                           ;   in Loop: Header=BB245_559 Depth=1
	v_cmp_ne_u16_e64 s[0:1], 0, v4
	s_andn2_b64 s[6:7], s[6:7], exec
	s_and_b64 s[0:1], s[0:1], exec
	v_mov_b32_e32 v36, 0
	s_or_b64 s[6:7], s[6:7], s[0:1]
	s_or_b64 exec, exec, s[8:9]
	s_and_saveexec_b64 s[8:9], s[6:7]
	s_cbranch_execnz .LBB245_771
	s_branch .LBB245_772
.LBB245_1032:                           ;   in Loop: Header=BB245_559 Depth=1
	v_cmp_eq_u16_sdwa s[30:31], v4, s24 src0_sel:BYTE_0 src1_sel:DWORD
	s_mov_b64 s[0:1], -1
                                        ; implicit-def: $sgpr10
	s_and_saveexec_b64 s[8:9], s[30:31]
; %bb.1033:                             ;   in Loop: Header=BB245_559 Depth=1
	s_mov_b32 s10, 0x7fc02000
	s_xor_b64 s[0:1], exec, -1
; %bb.1034:                             ;   in Loop: Header=BB245_559 Depth=1
	s_or_b64 exec, exec, s[8:9]
	s_and_b64 s[0:1], s[0:1], exec
	s_or_saveexec_b64 s[6:7], s[6:7]
	v_mov_b32_e32 v27, s10
	s_xor_b64 exec, exec, s[6:7]
	s_cbranch_execz .LBB245_774
.LBB245_1035:                           ;   in Loop: Header=BB245_559 Depth=1
	v_cmp_ne_u16_sdwa s[8:9], v4, v5 src0_sel:BYTE_0 src1_sel:DWORD
	s_andn2_b64 s[0:1], s[0:1], exec
	s_and_b64 s[8:9], s[8:9], exec
	v_mov_b32_e32 v27, 0
	s_or_b64 s[0:1], s[0:1], s[8:9]
	s_or_b64 exec, exec, s[6:7]
	s_and_saveexec_b64 s[6:7], s[0:1]
	s_cbranch_execnz .LBB245_775
	s_branch .LBB245_776
.LBB245_1036:                           ;   in Loop: Header=BB245_559 Depth=1
	v_cmp_eq_u16_e64 s[0:1], s24, v4
	s_mov_b64 s[6:7], -1
                                        ; implicit-def: $sgpr30
	s_and_saveexec_b64 s[10:11], s[0:1]
; %bb.1037:                             ;   in Loop: Header=BB245_559 Depth=1
	s_mov_b32 s30, 0x7fc02000
	s_xor_b64 s[6:7], exec, -1
; %bb.1038:                             ;   in Loop: Header=BB245_559 Depth=1
	s_or_b64 exec, exec, s[10:11]
	s_and_b64 s[6:7], s[6:7], exec
	s_or_saveexec_b64 s[8:9], s[8:9]
	v_mov_b32_e32 v37, s30
	s_xor_b64 exec, exec, s[8:9]
	s_cbranch_execz .LBB245_778
.LBB245_1039:                           ;   in Loop: Header=BB245_559 Depth=1
	v_cmp_ne_u16_e64 s[0:1], 0, v4
	s_andn2_b64 s[6:7], s[6:7], exec
	s_and_b64 s[0:1], s[0:1], exec
	v_mov_b32_e32 v37, 0
	s_or_b64 s[6:7], s[6:7], s[0:1]
	s_or_b64 exec, exec, s[8:9]
	s_and_saveexec_b64 s[8:9], s[6:7]
	s_cbranch_execnz .LBB245_779
	s_branch .LBB245_780
.LBB245_1040:                           ;   in Loop: Header=BB245_559 Depth=1
	v_cmp_eq_u16_sdwa s[30:31], v25, s24 src0_sel:BYTE_0 src1_sel:DWORD
	s_mov_b64 s[0:1], -1
                                        ; implicit-def: $sgpr10
	s_and_saveexec_b64 s[8:9], s[30:31]
; %bb.1041:                             ;   in Loop: Header=BB245_559 Depth=1
	s_mov_b32 s10, 0x7fc02000
	s_xor_b64 s[0:1], exec, -1
; %bb.1042:                             ;   in Loop: Header=BB245_559 Depth=1
	s_or_b64 exec, exec, s[8:9]
	s_and_b64 s[0:1], s[0:1], exec
	s_or_saveexec_b64 s[6:7], s[6:7]
	v_mov_b32_e32 v13, s10
	s_xor_b64 exec, exec, s[6:7]
	s_cbranch_execz .LBB245_782
.LBB245_1043:                           ;   in Loop: Header=BB245_559 Depth=1
	v_cmp_ne_u16_sdwa s[8:9], v25, v5 src0_sel:BYTE_0 src1_sel:DWORD
	s_andn2_b64 s[0:1], s[0:1], exec
	s_and_b64 s[8:9], s[8:9], exec
	v_mov_b32_e32 v13, 0
	s_or_b64 s[0:1], s[0:1], s[8:9]
	s_or_b64 exec, exec, s[6:7]
	v_mov_b32_e32 v4, v25
	s_and_saveexec_b64 s[6:7], s[0:1]
	s_cbranch_execnz .LBB245_783
	s_branch .LBB245_784
.LBB245_1044:                           ;   in Loop: Header=BB245_559 Depth=1
	v_cmp_eq_u16_e64 s[0:1], s24, v4
	s_mov_b64 s[6:7], -1
                                        ; implicit-def: $sgpr30
	s_and_saveexec_b64 s[10:11], s[0:1]
; %bb.1045:                             ;   in Loop: Header=BB245_559 Depth=1
	s_mov_b32 s30, 0x7fc02000
	s_xor_b64 s[6:7], exec, -1
; %bb.1046:                             ;   in Loop: Header=BB245_559 Depth=1
	s_or_b64 exec, exec, s[10:11]
	s_and_b64 s[6:7], s[6:7], exec
	s_or_saveexec_b64 s[8:9], s[8:9]
	v_mov_b32_e32 v21, s30
	s_xor_b64 exec, exec, s[8:9]
	s_cbranch_execz .LBB245_786
.LBB245_1047:                           ;   in Loop: Header=BB245_559 Depth=1
	v_cmp_ne_u16_e64 s[0:1], 0, v4
	s_andn2_b64 s[6:7], s[6:7], exec
	s_and_b64 s[0:1], s[0:1], exec
	v_mov_b32_e32 v21, 0
	s_or_b64 s[6:7], s[6:7], s[0:1]
	s_or_b64 exec, exec, s[8:9]
	s_and_saveexec_b64 s[8:9], s[6:7]
	s_cbranch_execnz .LBB245_787
	s_branch .LBB245_788
.LBB245_1048:                           ;   in Loop: Header=BB245_559 Depth=1
	v_cmp_eq_u16_sdwa s[30:31], v4, s24 src0_sel:BYTE_0 src1_sel:DWORD
	s_mov_b64 s[0:1], -1
                                        ; implicit-def: $sgpr10
	s_and_saveexec_b64 s[8:9], s[30:31]
; %bb.1049:                             ;   in Loop: Header=BB245_559 Depth=1
	s_mov_b32 s10, 0x7fc02000
	s_xor_b64 s[0:1], exec, -1
; %bb.1050:                             ;   in Loop: Header=BB245_559 Depth=1
	s_or_b64 exec, exec, s[8:9]
	s_and_b64 s[0:1], s[0:1], exec
	s_or_saveexec_b64 s[6:7], s[6:7]
	v_mov_b32_e32 v22, s10
	s_xor_b64 exec, exec, s[6:7]
	s_cbranch_execz .LBB245_790
.LBB245_1051:                           ;   in Loop: Header=BB245_559 Depth=1
	v_cmp_ne_u16_sdwa s[8:9], v4, v5 src0_sel:BYTE_0 src1_sel:DWORD
	s_andn2_b64 s[0:1], s[0:1], exec
	s_and_b64 s[8:9], s[8:9], exec
	v_mov_b32_e32 v22, 0
	s_or_b64 s[0:1], s[0:1], s[8:9]
	s_or_b64 exec, exec, s[6:7]
	s_and_saveexec_b64 s[6:7], s[0:1]
	s_cbranch_execnz .LBB245_791
	s_branch .LBB245_792
.LBB245_1052:                           ;   in Loop: Header=BB245_559 Depth=1
	v_cmp_eq_u16_e64 s[0:1], s24, v4
	s_mov_b64 s[6:7], -1
                                        ; implicit-def: $sgpr30
	s_and_saveexec_b64 s[10:11], s[0:1]
; %bb.1053:                             ;   in Loop: Header=BB245_559 Depth=1
	s_mov_b32 s30, 0x7fc02000
	s_xor_b64 s[6:7], exec, -1
; %bb.1054:                             ;   in Loop: Header=BB245_559 Depth=1
	s_or_b64 exec, exec, s[10:11]
	s_and_b64 s[6:7], s[6:7], exec
	s_or_saveexec_b64 s[8:9], s[8:9]
	v_mov_b32_e32 v24, s30
	s_xor_b64 exec, exec, s[8:9]
	s_cbranch_execz .LBB245_794
.LBB245_1055:                           ;   in Loop: Header=BB245_559 Depth=1
	v_cmp_ne_u16_e64 s[0:1], 0, v4
	s_andn2_b64 s[6:7], s[6:7], exec
	s_and_b64 s[0:1], s[0:1], exec
	v_mov_b32_e32 v24, 0
	s_or_b64 s[6:7], s[6:7], s[0:1]
	s_or_b64 exec, exec, s[8:9]
	s_and_saveexec_b64 s[8:9], s[6:7]
	s_cbranch_execnz .LBB245_795
	s_branch .LBB245_796
.LBB245_1056:                           ;   in Loop: Header=BB245_559 Depth=1
	v_cmp_eq_u16_sdwa s[30:31], v20, s24 src0_sel:BYTE_0 src1_sel:DWORD
	s_mov_b64 s[0:1], -1
                                        ; implicit-def: $sgpr10
	s_and_saveexec_b64 s[8:9], s[30:31]
; %bb.1057:                             ;   in Loop: Header=BB245_559 Depth=1
	s_mov_b32 s10, 0x7fc02000
	s_xor_b64 s[0:1], exec, -1
; %bb.1058:                             ;   in Loop: Header=BB245_559 Depth=1
	s_or_b64 exec, exec, s[8:9]
	s_and_b64 s[0:1], s[0:1], exec
	s_or_saveexec_b64 s[6:7], s[6:7]
	v_mov_b32_e32 v24, s10
	s_xor_b64 exec, exec, s[6:7]
	s_cbranch_execz .LBB245_800
.LBB245_1059:                           ;   in Loop: Header=BB245_559 Depth=1
	v_cmp_ne_u16_sdwa s[8:9], v20, v5 src0_sel:BYTE_0 src1_sel:DWORD
	s_andn2_b64 s[0:1], s[0:1], exec
	s_and_b64 s[8:9], s[8:9], exec
	v_mov_b32_e32 v24, 0
	s_or_b64 s[0:1], s[0:1], s[8:9]
	s_or_b64 exec, exec, s[6:7]
	s_and_saveexec_b64 s[6:7], s[0:1]
	s_cbranch_execnz .LBB245_801
	s_branch .LBB245_802
.LBB245_1060:                           ;   in Loop: Header=BB245_559 Depth=1
	v_cmp_eq_u16_e64 s[0:1], s24, v4
	s_mov_b64 s[6:7], -1
                                        ; implicit-def: $sgpr30
	s_and_saveexec_b64 s[10:11], s[0:1]
; %bb.1061:                             ;   in Loop: Header=BB245_559 Depth=1
	s_mov_b32 s30, 0x7fc02000
	s_xor_b64 s[6:7], exec, -1
; %bb.1062:                             ;   in Loop: Header=BB245_559 Depth=1
	s_or_b64 exec, exec, s[10:11]
	s_and_b64 s[6:7], s[6:7], exec
	s_or_saveexec_b64 s[8:9], s[8:9]
	v_mov_b32_e32 v26, s30
	s_xor_b64 exec, exec, s[8:9]
	s_cbranch_execz .LBB245_804
.LBB245_1063:                           ;   in Loop: Header=BB245_559 Depth=1
	v_cmp_ne_u16_e64 s[0:1], 0, v4
	s_andn2_b64 s[6:7], s[6:7], exec
	s_and_b64 s[0:1], s[0:1], exec
	v_mov_b32_e32 v26, 0
	s_or_b64 s[6:7], s[6:7], s[0:1]
	s_or_b64 exec, exec, s[8:9]
	s_and_saveexec_b64 s[8:9], s[6:7]
	s_cbranch_execnz .LBB245_805
	s_branch .LBB245_806
.LBB245_1064:                           ;   in Loop: Header=BB245_559 Depth=1
	v_cmp_eq_u16_sdwa s[30:31], v4, s24 src0_sel:BYTE_0 src1_sel:DWORD
	s_mov_b64 s[0:1], -1
                                        ; implicit-def: $sgpr10
	s_and_saveexec_b64 s[8:9], s[30:31]
; %bb.1065:                             ;   in Loop: Header=BB245_559 Depth=1
	s_mov_b32 s10, 0x7fc02000
	s_xor_b64 s[0:1], exec, -1
; %bb.1066:                             ;   in Loop: Header=BB245_559 Depth=1
	s_or_b64 exec, exec, s[8:9]
	s_and_b64 s[0:1], s[0:1], exec
	s_or_saveexec_b64 s[6:7], s[6:7]
	v_mov_b32_e32 v25, s10
	s_xor_b64 exec, exec, s[6:7]
	s_cbranch_execz .LBB245_808
.LBB245_1067:                           ;   in Loop: Header=BB245_559 Depth=1
	v_cmp_ne_u16_sdwa s[8:9], v4, v5 src0_sel:BYTE_0 src1_sel:DWORD
	s_andn2_b64 s[0:1], s[0:1], exec
	s_and_b64 s[8:9], s[8:9], exec
	v_mov_b32_e32 v25, 0
	s_or_b64 s[0:1], s[0:1], s[8:9]
	s_or_b64 exec, exec, s[6:7]
	s_and_saveexec_b64 s[6:7], s[0:1]
	s_cbranch_execnz .LBB245_809
	s_branch .LBB245_810
.LBB245_1068:                           ;   in Loop: Header=BB245_559 Depth=1
	v_cmp_eq_u16_e64 s[0:1], s24, v4
	s_mov_b64 s[6:7], -1
                                        ; implicit-def: $sgpr30
	s_and_saveexec_b64 s[10:11], s[0:1]
; %bb.1069:                             ;   in Loop: Header=BB245_559 Depth=1
	s_mov_b32 s30, 0x7fc02000
	s_xor_b64 s[6:7], exec, -1
; %bb.1070:                             ;   in Loop: Header=BB245_559 Depth=1
	s_or_b64 exec, exec, s[10:11]
	s_and_b64 s[6:7], s[6:7], exec
	s_or_saveexec_b64 s[8:9], s[8:9]
	v_mov_b32_e32 v27, s30
	s_xor_b64 exec, exec, s[8:9]
	s_cbranch_execz .LBB245_812
.LBB245_1071:                           ;   in Loop: Header=BB245_559 Depth=1
	v_cmp_ne_u16_e64 s[0:1], 0, v4
	s_andn2_b64 s[6:7], s[6:7], exec
	s_and_b64 s[0:1], s[0:1], exec
	v_mov_b32_e32 v27, 0
	s_or_b64 s[6:7], s[6:7], s[0:1]
	s_or_b64 exec, exec, s[8:9]
	s_and_saveexec_b64 s[8:9], s[6:7]
	s_cbranch_execnz .LBB245_813
	s_branch .LBB245_814
.LBB245_1072:                           ;   in Loop: Header=BB245_559 Depth=1
	v_cmp_eq_u16_sdwa s[30:31], v21, s24 src0_sel:BYTE_0 src1_sel:DWORD
	s_mov_b64 s[0:1], -1
                                        ; implicit-def: $sgpr10
	s_and_saveexec_b64 s[8:9], s[30:31]
; %bb.1073:                             ;   in Loop: Header=BB245_559 Depth=1
	s_mov_b32 s10, 0x7fc02000
	s_xor_b64 s[0:1], exec, -1
; %bb.1074:                             ;   in Loop: Header=BB245_559 Depth=1
	s_or_b64 exec, exec, s[8:9]
	s_and_b64 s[0:1], s[0:1], exec
	s_or_saveexec_b64 s[6:7], s[6:7]
	v_mov_b32_e32 v15, s10
	s_xor_b64 exec, exec, s[6:7]
	s_cbranch_execz .LBB245_816
.LBB245_1075:                           ;   in Loop: Header=BB245_559 Depth=1
	v_cmp_ne_u16_sdwa s[8:9], v21, v5 src0_sel:BYTE_0 src1_sel:DWORD
	s_andn2_b64 s[0:1], s[0:1], exec
	s_and_b64 s[8:9], s[8:9], exec
	v_mov_b32_e32 v15, 0
	s_or_b64 s[0:1], s[0:1], s[8:9]
	s_or_b64 exec, exec, s[6:7]
	v_mov_b32_e32 v4, v21
	s_and_saveexec_b64 s[6:7], s[0:1]
	s_cbranch_execnz .LBB245_817
	s_branch .LBB245_818
.LBB245_1076:                           ;   in Loop: Header=BB245_559 Depth=1
	v_cmp_eq_u16_e64 s[0:1], s24, v4
	s_mov_b64 s[6:7], -1
                                        ; implicit-def: $sgpr30
	s_and_saveexec_b64 s[10:11], s[0:1]
; %bb.1077:                             ;   in Loop: Header=BB245_559 Depth=1
	s_mov_b32 s30, 0x7fc02000
	s_xor_b64 s[6:7], exec, -1
; %bb.1078:                             ;   in Loop: Header=BB245_559 Depth=1
	s_or_b64 exec, exec, s[10:11]
	s_and_b64 s[6:7], s[6:7], exec
	s_or_saveexec_b64 s[8:9], s[8:9]
	v_mov_b32_e32 v20, s30
	s_xor_b64 exec, exec, s[8:9]
	s_cbranch_execz .LBB245_820
.LBB245_1079:                           ;   in Loop: Header=BB245_559 Depth=1
	v_cmp_ne_u16_e64 s[0:1], 0, v4
	s_andn2_b64 s[6:7], s[6:7], exec
	s_and_b64 s[0:1], s[0:1], exec
	v_mov_b32_e32 v20, 0
	s_or_b64 s[6:7], s[6:7], s[0:1]
	s_or_b64 exec, exec, s[8:9]
	s_and_saveexec_b64 s[8:9], s[6:7]
	s_cbranch_execnz .LBB245_821
	s_branch .LBB245_822
.LBB245_1080:                           ;   in Loop: Header=BB245_559 Depth=1
	v_cmp_eq_u16_sdwa s[30:31], v4, s24 src0_sel:BYTE_0 src1_sel:DWORD
	s_mov_b64 s[0:1], -1
                                        ; implicit-def: $sgpr10
	s_and_saveexec_b64 s[8:9], s[30:31]
; %bb.1081:                             ;   in Loop: Header=BB245_559 Depth=1
	s_mov_b32 s10, 0x7fc02000
	s_xor_b64 s[0:1], exec, -1
; %bb.1082:                             ;   in Loop: Header=BB245_559 Depth=1
	s_or_b64 exec, exec, s[8:9]
	s_and_b64 s[0:1], s[0:1], exec
	s_or_saveexec_b64 s[6:7], s[6:7]
	v_mov_b32_e32 v23, s10
	s_xor_b64 exec, exec, s[6:7]
	s_cbranch_execz .LBB245_824
.LBB245_1083:                           ;   in Loop: Header=BB245_559 Depth=1
	v_cmp_ne_u16_sdwa s[8:9], v4, v5 src0_sel:BYTE_0 src1_sel:DWORD
	s_andn2_b64 s[0:1], s[0:1], exec
	s_and_b64 s[8:9], s[8:9], exec
	v_mov_b32_e32 v23, 0
	s_or_b64 s[0:1], s[0:1], s[8:9]
	s_or_b64 exec, exec, s[6:7]
	s_and_saveexec_b64 s[6:7], s[0:1]
	s_cbranch_execnz .LBB245_825
	s_branch .LBB245_826
.LBB245_1084:                           ;   in Loop: Header=BB245_559 Depth=1
	v_cmp_eq_u16_e64 s[0:1], s24, v4
	s_mov_b64 s[6:7], -1
                                        ; implicit-def: $sgpr30
	s_and_saveexec_b64 s[10:11], s[0:1]
; %bb.1085:                             ;   in Loop: Header=BB245_559 Depth=1
	s_mov_b32 s30, 0x7fc02000
	s_xor_b64 s[6:7], exec, -1
; %bb.1086:                             ;   in Loop: Header=BB245_559 Depth=1
	s_or_b64 exec, exec, s[10:11]
	s_and_b64 s[6:7], s[6:7], exec
	s_or_saveexec_b64 s[8:9], s[8:9]
	v_mov_b32_e32 v36, s30
	s_xor_b64 exec, exec, s[8:9]
	s_cbranch_execz .LBB245_828
.LBB245_1087:                           ;   in Loop: Header=BB245_559 Depth=1
	v_cmp_ne_u16_e64 s[0:1], 0, v4
	s_andn2_b64 s[6:7], s[6:7], exec
	s_and_b64 s[0:1], s[0:1], exec
	v_mov_b32_e32 v36, 0
	s_or_b64 s[6:7], s[6:7], s[0:1]
	s_or_b64 exec, exec, s[8:9]
	s_and_saveexec_b64 s[8:9], s[6:7]
	s_cbranch_execnz .LBB245_829
	s_branch .LBB245_830
.LBB245_1088:
	s_or_b64 exec, exec, s[22:23]
	v_mov_b32_e32 v16, v48
	v_accvgpr_read_b32 v20, a2
	v_accvgpr_read_b32 v12, a15
.LBB245_1089:
	s_or_b64 exec, exec, s[2:3]
	ds_bpermute_b32 v0, v51, v28
	ds_bpermute_b32 v1, v51, v29
	;; [unrolled: 1-line block ×8, first 2 shown]
	s_waitcnt lgkmcnt(6)
	v_pk_add_f32 v[8:9], v[28:29], v[0:1]
	v_and_b32_e32 v0, 0x3c1, v16
	s_waitcnt lgkmcnt(4)
	v_pk_add_f32 v[6:7], v[30:31], v[2:3]
	s_waitcnt lgkmcnt(2)
	v_pk_add_f32 v[4:5], v[32:33], v[4:5]
	;; [unrolled: 2-line block ×3, first 2 shown]
	v_cmp_eq_u32_e32 vcc, 64, v0
	s_barrier
	s_and_saveexec_b64 s[0:1], vcc
	s_cbranch_execz .LBB245_1091
; %bb.1090:
	s_ashr_i32 s19, s18, 31
	s_lshl_b64 s[2:3], s[18:19], 2
	s_getpc_b64 s[4:5]
	s_add_u32 s4, s4, llvm.amdgcn.dynlds.offset.table@rel32@lo+4
	s_addc_u32 s5, s5, llvm.amdgcn.dynlds.offset.table@rel32@hi+12
	s_add_u32 s2, s2, s4
	s_addc_u32 s3, s3, s5
	s_load_dword s2, s[2:3], 0x0
	s_waitcnt lgkmcnt(0)
	v_lshl_add_u32 v1, v20, 1, s2
	ds_write2_b32 v1, v8, v9 offset1:32
	ds_write2_b32 v1, v6, v7 offset0:64 offset1:96
	ds_write2_b32 v1, v4, v5 offset0:128 offset1:160
	;; [unrolled: 1-line block ×3, first 2 shown]
.LBB245_1091:
	s_or_b64 exec, exec, s[0:1]
	v_cmp_gt_u32_e32 vcc, 64, v16
	s_waitcnt lgkmcnt(0)
	s_barrier
	s_and_saveexec_b64 s[0:1], vcc
	s_cbranch_execz .LBB245_1102
; %bb.1092:
	v_cmp_eq_u32_e32 vcc, 0, v12
	v_lshrrev_b32_e32 v1, 1, v16
	s_and_saveexec_b64 s[2:3], vcc
	s_cbranch_execnz .LBB245_1105
; %bb.1093:
	s_or_b64 exec, exec, s[2:3]
	s_and_saveexec_b64 s[2:3], vcc
	s_cbranch_execnz .LBB245_1106
.LBB245_1094:
	s_or_b64 exec, exec, s[2:3]
	s_and_saveexec_b64 s[2:3], vcc
	s_cbranch_execnz .LBB245_1107
.LBB245_1095:
	s_or_b64 exec, exec, s[2:3]
	s_and_saveexec_b64 s[2:3], vcc
	s_cbranch_execnz .LBB245_1108
.LBB245_1096:
	s_or_b64 exec, exec, s[2:3]
	s_and_saveexec_b64 s[2:3], vcc
	s_cbranch_execnz .LBB245_1109
.LBB245_1097:
	s_or_b64 exec, exec, s[2:3]
	s_and_saveexec_b64 s[2:3], vcc
	s_cbranch_execnz .LBB245_1110
.LBB245_1098:
	s_or_b64 exec, exec, s[2:3]
	s_and_saveexec_b64 s[2:3], vcc
	s_cbranch_execnz .LBB245_1111
.LBB245_1099:
	s_or_b64 exec, exec, s[2:3]
	s_and_saveexec_b64 s[2:3], vcc
	s_cbranch_execz .LBB245_1101
.LBB245_1100:
	s_ashr_i32 s19, s18, 31
	s_lshl_b64 s[4:5], s[18:19], 2
	s_getpc_b64 s[6:7]
	s_add_u32 s6, s6, llvm.amdgcn.dynlds.offset.table@rel32@lo+4
	s_addc_u32 s7, s7, llvm.amdgcn.dynlds.offset.table@rel32@hi+12
	s_add_u32 s4, s4, s6
	s_addc_u32 s5, s5, s7
	s_load_dword s4, s[4:5], 0x0
	s_waitcnt lgkmcnt(0)
	v_lshl_add_u32 v1, v1, 2, s4
	ds_read_b32 v1, v1 offset:896
	s_waitcnt lgkmcnt(0)
	v_add_f32_e32 v3, v3, v1
.LBB245_1101:
	s_or_b64 exec, exec, s[2:3]
.LBB245_1102:
	s_or_b64 exec, exec, s[0:1]
	v_cmp_eq_u32_e32 vcc, 0, v0
	s_barrier
	s_and_saveexec_b64 s[0:1], vcc
	s_cbranch_execz .LBB245_1104
; %bb.1103:
	v_cmp_ne_u16_e64 s[2:3], s21, 0
	s_cmp_lg_u64 s[2:3], 0
	s_addc_u32 s4, s17, 0
	s_mul_i32 s2, s16, s4
	s_mul_i32 s2, s2, s15
	s_lshl_b32 s2, s2, 8
	s_mul_i32 s4, s20, s4
	s_lshl_b32 s6, s14, 8
	s_ashr_i32 s3, s2, 31
	s_ashr_i32 s5, s4, 31
	;; [unrolled: 1-line block ×3, first 2 shown]
	s_lshl_b64 s[2:3], s[2:3], 1
	s_lshl_b64 s[4:5], s[4:5], 1
	;; [unrolled: 1-line block ×3, first 2 shown]
	s_add_u32 s4, s6, s4
	s_addc_u32 s5, s7, s5
	s_add_u32 s2, s4, s2
	v_accvgpr_read_b32 v0, a0
	s_addc_u32 s3, s5, s3
	v_accvgpr_read_b32 v1, a1
	v_lshl_add_u64 v[0:1], s[2:3], 0, v[0:1]
	v_mov_b32_e32 v17, 0
	v_lshl_add_u64 v[0:1], v[0:1], 0, v[16:17]
	;;#ASMSTART
	v_cvt_f16_f32 v8, v8;

	;;#ASMEND
	flat_store_short v[0:1], v8
	;;#ASMSTART
	v_cvt_f16_f32 v8, v9;

	;;#ASMEND
	flat_store_short v[0:1], v8 offset:64
	;;#ASMSTART
	v_cvt_f16_f32 v6, v6;

	;;#ASMEND
	flat_store_short v[0:1], v6 offset:128
	;; [unrolled: 5-line block ×7, first 2 shown]
.LBB245_1104:
	s_or_b64 exec, exec, s[0:1]
	scratch_load_dword a58, off, s32        ; 4-byte Folded Reload
	scratch_load_dword a57, off, s32 offset:4 ; 4-byte Folded Reload
	scratch_load_dword a56, off, s32 offset:8 ; 4-byte Folded Reload
	scratch_load_dword a55, off, s32 offset:12 ; 4-byte Folded Reload
	scratch_load_dword a54, off, s32 offset:16 ; 4-byte Folded Reload
	scratch_load_dword a53, off, s32 offset:20 ; 4-byte Folded Reload
	scratch_load_dword a52, off, s32 offset:24 ; 4-byte Folded Reload
	scratch_load_dword a51, off, s32 offset:28 ; 4-byte Folded Reload
	scratch_load_dword a50, off, s32 offset:32 ; 4-byte Folded Reload
	scratch_load_dword a49, off, s32 offset:36 ; 4-byte Folded Reload
	scratch_load_dword a48, off, s32 offset:40 ; 4-byte Folded Reload
	scratch_load_dword a47, off, s32 offset:44 ; 4-byte Folded Reload
	scratch_load_dword a46, off, s32 offset:48 ; 4-byte Folded Reload
	scratch_load_dword a45, off, s32 offset:52 ; 4-byte Folded Reload
	scratch_load_dword a44, off, s32 offset:56 ; 4-byte Folded Reload
	scratch_load_dword a43, off, s32 offset:60 ; 4-byte Folded Reload
	scratch_load_dword a42, off, s32 offset:64 ; 4-byte Folded Reload
	scratch_load_dword a41, off, s32 offset:68 ; 4-byte Folded Reload
	scratch_load_dword a40, off, s32 offset:72 ; 4-byte Folded Reload
	scratch_load_dword a39, off, s32 offset:76 ; 4-byte Folded Reload
	scratch_load_dword a38, off, s32 offset:80 ; 4-byte Folded Reload
	scratch_load_dword a37, off, s32 offset:84 ; 4-byte Folded Reload
	scratch_load_dword a36, off, s32 offset:88 ; 4-byte Folded Reload
	scratch_load_dword a35, off, s32 offset:92 ; 4-byte Folded Reload
	scratch_load_dword a34, off, s32 offset:96 ; 4-byte Folded Reload
	scratch_load_dword a33, off, s32 offset:100 ; 4-byte Folded Reload
	scratch_load_dword a32, off, s32 offset:104 ; 4-byte Folded Reload
	scratch_load_dword v62, off, s32 offset:108 ; 4-byte Folded Reload
	scratch_load_dword v61, off, s32 offset:112 ; 4-byte Folded Reload
	scratch_load_dword v60, off, s32 offset:116 ; 4-byte Folded Reload
	scratch_load_dword v59, off, s32 offset:120 ; 4-byte Folded Reload
	scratch_load_dword v58, off, s32 offset:124 ; 4-byte Folded Reload
	scratch_load_dword v57, off, s32 offset:128 ; 4-byte Folded Reload
	scratch_load_dword v56, off, s32 offset:132 ; 4-byte Folded Reload
	scratch_load_dword v47, off, s32 offset:136 ; 4-byte Folded Reload
	scratch_load_dword v46, off, s32 offset:140 ; 4-byte Folded Reload
	scratch_load_dword v45, off, s32 offset:144 ; 4-byte Folded Reload
	scratch_load_dword v44, off, s32 offset:148 ; 4-byte Folded Reload
	scratch_load_dword v43, off, s32 offset:152 ; 4-byte Folded Reload
	scratch_load_dword v42, off, s32 offset:156 ; 4-byte Folded Reload
	scratch_load_dword v41, off, s32 offset:160 ; 4-byte Folded Reload
	scratch_load_dword v40, off, s32 offset:164 ; 4-byte Folded Reload
	v_readlane_b32 s30, v63, 0
	v_readlane_b32 s31, v63, 1
	s_or_saveexec_b64 s[0:1], -1
	scratch_load_dword v63, off, s32 offset:176 ; 4-byte Folded Reload
	s_mov_b64 exec, s[0:1]
	s_waitcnt vmcnt(0) lgkmcnt(0)
	s_setpc_b64 s[30:31]
.LBB245_1105:
	s_ashr_i32 s19, s18, 31
	s_lshl_b64 s[4:5], s[18:19], 2
	s_getpc_b64 s[6:7]
	s_add_u32 s6, s6, llvm.amdgcn.dynlds.offset.table@rel32@lo+4
	s_addc_u32 s7, s7, llvm.amdgcn.dynlds.offset.table@rel32@hi+12
	s_add_u32 s4, s4, s6
	s_addc_u32 s5, s5, s7
	s_load_dword s4, s[4:5], 0x0
	s_waitcnt lgkmcnt(0)
	v_lshl_add_u32 v10, v1, 2, s4
	ds_read_b32 v10, v10
	s_waitcnt lgkmcnt(0)
	v_add_f32_e32 v8, v8, v10
	s_or_b64 exec, exec, s[2:3]
	s_and_saveexec_b64 s[2:3], vcc
	s_cbranch_execz .LBB245_1094
.LBB245_1106:
	s_ashr_i32 s19, s18, 31
	s_lshl_b64 s[4:5], s[18:19], 2
	s_getpc_b64 s[6:7]
	s_add_u32 s6, s6, llvm.amdgcn.dynlds.offset.table@rel32@lo+4
	s_addc_u32 s7, s7, llvm.amdgcn.dynlds.offset.table@rel32@hi+12
	s_add_u32 s4, s4, s6
	s_addc_u32 s5, s5, s7
	s_load_dword s4, s[4:5], 0x0
	s_waitcnt lgkmcnt(0)
	v_lshl_add_u32 v10, v1, 2, s4
	ds_read_b32 v10, v10 offset:128
	s_waitcnt lgkmcnt(0)
	v_add_f32_e32 v9, v9, v10
	s_or_b64 exec, exec, s[2:3]
	s_and_saveexec_b64 s[2:3], vcc
	s_cbranch_execz .LBB245_1095
.LBB245_1107:
	s_ashr_i32 s19, s18, 31
	s_lshl_b64 s[4:5], s[18:19], 2
	s_getpc_b64 s[6:7]
	s_add_u32 s6, s6, llvm.amdgcn.dynlds.offset.table@rel32@lo+4
	s_addc_u32 s7, s7, llvm.amdgcn.dynlds.offset.table@rel32@hi+12
	s_add_u32 s4, s4, s6
	s_addc_u32 s5, s5, s7
	s_load_dword s4, s[4:5], 0x0
	s_waitcnt lgkmcnt(0)
	v_lshl_add_u32 v10, v1, 2, s4
	ds_read_b32 v10, v10 offset:256
	s_waitcnt lgkmcnt(0)
	v_add_f32_e32 v6, v6, v10
	s_or_b64 exec, exec, s[2:3]
	s_and_saveexec_b64 s[2:3], vcc
	s_cbranch_execz .LBB245_1096
.LBB245_1108:
	s_ashr_i32 s19, s18, 31
	s_lshl_b64 s[4:5], s[18:19], 2
	s_getpc_b64 s[6:7]
	s_add_u32 s6, s6, llvm.amdgcn.dynlds.offset.table@rel32@lo+4
	s_addc_u32 s7, s7, llvm.amdgcn.dynlds.offset.table@rel32@hi+12
	s_add_u32 s4, s4, s6
	s_addc_u32 s5, s5, s7
	s_load_dword s4, s[4:5], 0x0
	s_waitcnt lgkmcnt(0)
	v_lshl_add_u32 v10, v1, 2, s4
	ds_read_b32 v10, v10 offset:384
	s_waitcnt lgkmcnt(0)
	v_add_f32_e32 v7, v7, v10
	s_or_b64 exec, exec, s[2:3]
	s_and_saveexec_b64 s[2:3], vcc
	s_cbranch_execz .LBB245_1097
.LBB245_1109:
	s_ashr_i32 s19, s18, 31
	s_lshl_b64 s[4:5], s[18:19], 2
	s_getpc_b64 s[6:7]
	s_add_u32 s6, s6, llvm.amdgcn.dynlds.offset.table@rel32@lo+4
	s_addc_u32 s7, s7, llvm.amdgcn.dynlds.offset.table@rel32@hi+12
	s_add_u32 s4, s4, s6
	s_addc_u32 s5, s5, s7
	s_load_dword s4, s[4:5], 0x0
	s_waitcnt lgkmcnt(0)
	v_lshl_add_u32 v10, v1, 2, s4
	ds_read_b32 v10, v10 offset:512
	s_waitcnt lgkmcnt(0)
	v_add_f32_e32 v4, v4, v10
	s_or_b64 exec, exec, s[2:3]
	s_and_saveexec_b64 s[2:3], vcc
	s_cbranch_execz .LBB245_1098
.LBB245_1110:
	s_ashr_i32 s19, s18, 31
	s_lshl_b64 s[4:5], s[18:19], 2
	s_getpc_b64 s[6:7]
	s_add_u32 s6, s6, llvm.amdgcn.dynlds.offset.table@rel32@lo+4
	s_addc_u32 s7, s7, llvm.amdgcn.dynlds.offset.table@rel32@hi+12
	s_add_u32 s4, s4, s6
	s_addc_u32 s5, s5, s7
	s_load_dword s4, s[4:5], 0x0
	s_waitcnt lgkmcnt(0)
	v_lshl_add_u32 v10, v1, 2, s4
	ds_read_b32 v10, v10 offset:640
	s_waitcnt lgkmcnt(0)
	v_add_f32_e32 v5, v5, v10
	s_or_b64 exec, exec, s[2:3]
	s_and_saveexec_b64 s[2:3], vcc
	s_cbranch_execz .LBB245_1099
.LBB245_1111:
	s_ashr_i32 s19, s18, 31
	s_lshl_b64 s[4:5], s[18:19], 2
	s_getpc_b64 s[6:7]
	s_add_u32 s6, s6, llvm.amdgcn.dynlds.offset.table@rel32@lo+4
	s_addc_u32 s7, s7, llvm.amdgcn.dynlds.offset.table@rel32@hi+12
	s_add_u32 s4, s4, s6
	s_addc_u32 s5, s5, s7
	s_load_dword s4, s[4:5], 0x0
	s_waitcnt lgkmcnt(0)
	v_lshl_add_u32 v10, v1, 2, s4
	ds_read_b32 v10, v10 offset:768
	s_waitcnt lgkmcnt(0)
	v_add_f32_e32 v2, v2, v10
	s_or_b64 exec, exec, s[2:3]
	s_and_saveexec_b64 s[2:3], vcc
	s_cbranch_execnz .LBB245_1100
	s_branch .LBB245_1101
.Lfunc_end245:
	.size	_ZN4vllm22paged_attention_kernelIthLi256ELi16ELi128ELNS_18Fp8KVCacheDataTypeE1ELb1ELi0EEEvPfS2_PT_PKS3_PKT0_S9_ifPKiSB_iPKfiiiSD_SD_iiiii, .Lfunc_end245-_ZN4vllm22paged_attention_kernelIthLi256ELi16ELi128ELNS_18Fp8KVCacheDataTypeE1ELb1ELi0EEEvPfS2_PT_PKS3_PKT0_S9_ifPKiSB_iPKfiiiSD_SD_iiiii
                                        ; -- End function
	.section	.AMDGPU.csdata,"",@progbits
; Function info:
; codeLenInByte = 47288
; NumSgprs: 39
; NumVgprs: 64
; NumAgprs: 59
; TotalNumVgprs: 123
; ScratchSize: 184
; MemoryBound: 0
	.section	.text._ZN4vllm25paged_attention_v1_kernelIthLi256ELi16ELi128ELNS_18Fp8KVCacheDataTypeE1ELb1EEEvPT_PKS2_PKT0_S8_ifPKiSA_iPKfiiiSC_SC_iiiii,"axG",@progbits,_ZN4vllm25paged_attention_v1_kernelIthLi256ELi16ELi128ELNS_18Fp8KVCacheDataTypeE1ELb1EEEvPT_PKS2_PKT0_S8_ifPKiSA_iPKfiiiSC_SC_iiiii,comdat
	.protected	_ZN4vllm25paged_attention_v1_kernelIthLi256ELi16ELi128ELNS_18Fp8KVCacheDataTypeE1ELb1EEEvPT_PKS2_PKT0_S8_ifPKiSA_iPKfiiiSC_SC_iiiii ; -- Begin function _ZN4vllm25paged_attention_v1_kernelIthLi256ELi16ELi128ELNS_18Fp8KVCacheDataTypeE1ELb1EEEvPT_PKS2_PKT0_S8_ifPKiSA_iPKfiiiSC_SC_iiiii
	.globl	_ZN4vllm25paged_attention_v1_kernelIthLi256ELi16ELi128ELNS_18Fp8KVCacheDataTypeE1ELb1EEEvPT_PKS2_PKT0_S8_ifPKiSA_iPKfiiiSC_SC_iiiii
	.p2align	8
	.type	_ZN4vllm25paged_attention_v1_kernelIthLi256ELi16ELi128ELNS_18Fp8KVCacheDataTypeE1ELb1EEEvPT_PKS2_PKT0_S8_ifPKiSA_iPKfiiiSC_SC_iiiii,@function
_ZN4vllm25paged_attention_v1_kernelIthLi256ELi16ELi128ELNS_18Fp8KVCacheDataTypeE1ELb1EEEvPT_PKS2_PKT0_S8_ifPKiSA_iPKfiiiSC_SC_iiiii: ; @_ZN4vllm25paged_attention_v1_kernelIthLi256ELi16ELi128ELNS_18Fp8KVCacheDataTypeE1ELb1EEEvPT_PKS2_PKT0_S8_ifPKiSA_iPKfiiiSC_SC_iiiii
; %bb.0:
	s_load_dwordx8 s[16:23], s[0:1], 0x0
	s_load_dwordx4 s[36:39], s[0:1], 0x20
	s_load_dwordx2 s[6:7], s[0:1], 0x30
	s_load_dword s5, s[0:1], 0x38
	s_load_dwordx2 s[10:11], s[0:1], 0x40
	s_load_dwordx8 s[24:31], s[0:1], 0x48
	s_waitcnt lgkmcnt(0)
	s_load_dword s27, s[0:1], 0x78
	s_load_dwordx4 s[40:43], s[0:1], 0x68
	s_add_u32 s8, s0, 0x80
	s_addc_u32 s9, s1, 0
	s_mov_b32 s12, s2
	s_mov_b32 s13, s3
	;; [unrolled: 1-line block ×4, first 2 shown]
	v_mov_b32_e32 v31, v0
	v_mov_b32_e32 v0, s16
	;; [unrolled: 1-line block ×25, first 2 shown]
	s_waitcnt lgkmcnt(0)
	v_mov_b32_e32 v24, s40
	v_mov_b32_e32 v25, s41
	;; [unrolled: 1-line block ×5, first 2 shown]
	s_mov_b32 s32, 0
	s_getpc_b64 s[0:1]
	s_add_u32 s0, s0, _ZN4vllm22paged_attention_kernelIthLi256ELi16ELi128ELNS_18Fp8KVCacheDataTypeE1ELb1ELi0EEEvPfS2_PT_PKS3_PKT0_S9_ifPKiSB_iPKfiiiSD_SD_iiiii@rel32@lo+4
	s_addc_u32 s1, s1, _ZN4vllm22paged_attention_kernelIthLi256ELi16ELi128ELNS_18Fp8KVCacheDataTypeE1ELb1ELi0EEEvPfS2_PT_PKS3_PKT0_S9_ifPKiSB_iPKfiiiSD_SD_iiiii@rel32@hi+12
	s_swappc_b64 s[30:31], s[0:1]
	s_endpgm
	.section	.rodata,"a",@progbits
	.p2align	6, 0x0
	.amdhsa_kernel _ZN4vllm25paged_attention_v1_kernelIthLi256ELi16ELi128ELNS_18Fp8KVCacheDataTypeE1ELb1EEEvPT_PKS2_PKT0_S8_ifPKiSA_iPKfiiiSC_SC_iiiii
		.amdhsa_group_segment_fixed_size 528
		.amdhsa_private_segment_fixed_size 184
		.amdhsa_kernarg_size 384
		.amdhsa_user_sgpr_count 2
		.amdhsa_user_sgpr_dispatch_ptr 0
		.amdhsa_user_sgpr_queue_ptr 0
		.amdhsa_user_sgpr_kernarg_segment_ptr 1
		.amdhsa_user_sgpr_dispatch_id 0
		.amdhsa_user_sgpr_kernarg_preload_length 0
		.amdhsa_user_sgpr_kernarg_preload_offset 0
		.amdhsa_user_sgpr_private_segment_size 0
		.amdhsa_uses_dynamic_stack 0
		.amdhsa_enable_private_segment 1
		.amdhsa_system_sgpr_workgroup_id_x 1
		.amdhsa_system_sgpr_workgroup_id_y 1
		.amdhsa_system_sgpr_workgroup_id_z 1
		.amdhsa_system_sgpr_workgroup_info 0
		.amdhsa_system_vgpr_workitem_id 0
		.amdhsa_next_free_vgpr 123
		.amdhsa_next_free_sgpr 44
		.amdhsa_accum_offset 64
		.amdhsa_reserve_vcc 1
		.amdhsa_float_round_mode_32 0
		.amdhsa_float_round_mode_16_64 0
		.amdhsa_float_denorm_mode_32 3
		.amdhsa_float_denorm_mode_16_64 3
		.amdhsa_dx10_clamp 1
		.amdhsa_ieee_mode 1
		.amdhsa_fp16_overflow 0
		.amdhsa_tg_split 0
		.amdhsa_exception_fp_ieee_invalid_op 0
		.amdhsa_exception_fp_denorm_src 0
		.amdhsa_exception_fp_ieee_div_zero 0
		.amdhsa_exception_fp_ieee_overflow 0
		.amdhsa_exception_fp_ieee_underflow 0
		.amdhsa_exception_fp_ieee_inexact 0
		.amdhsa_exception_int_div_zero 0
	.end_amdhsa_kernel
	.section	.text._ZN4vllm25paged_attention_v1_kernelIthLi256ELi16ELi128ELNS_18Fp8KVCacheDataTypeE1ELb1EEEvPT_PKS2_PKT0_S8_ifPKiSA_iPKfiiiSC_SC_iiiii,"axG",@progbits,_ZN4vllm25paged_attention_v1_kernelIthLi256ELi16ELi128ELNS_18Fp8KVCacheDataTypeE1ELb1EEEvPT_PKS2_PKT0_S8_ifPKiSA_iPKfiiiSC_SC_iiiii,comdat
.Lfunc_end246:
	.size	_ZN4vllm25paged_attention_v1_kernelIthLi256ELi16ELi128ELNS_18Fp8KVCacheDataTypeE1ELb1EEEvPT_PKS2_PKT0_S8_ifPKiSA_iPKfiiiSC_SC_iiiii, .Lfunc_end246-_ZN4vllm25paged_attention_v1_kernelIthLi256ELi16ELi128ELNS_18Fp8KVCacheDataTypeE1ELb1EEEvPT_PKS2_PKT0_S8_ifPKiSA_iPKfiiiSC_SC_iiiii
                                        ; -- End function
	.section	.AMDGPU.csdata,"",@progbits
; Kernel info:
; codeLenInByte = 252
; NumSgprs: 50
; NumVgprs: 64
; NumAgprs: 59
; TotalNumVgprs: 123
; ScratchSize: 184
; MemoryBound: 0
; FloatMode: 240
; IeeeMode: 1
; LDSByteSize: 528 bytes/workgroup (compile time only)
; SGPRBlocks: 6
; VGPRBlocks: 15
; NumSGPRsForWavesPerEU: 50
; NumVGPRsForWavesPerEU: 123
; AccumOffset: 64
; Occupancy: 4
; WaveLimiterHint : 1
; COMPUTE_PGM_RSRC2:SCRATCH_EN: 1
; COMPUTE_PGM_RSRC2:USER_SGPR: 2
; COMPUTE_PGM_RSRC2:TRAP_HANDLER: 0
; COMPUTE_PGM_RSRC2:TGID_X_EN: 1
; COMPUTE_PGM_RSRC2:TGID_Y_EN: 1
; COMPUTE_PGM_RSRC2:TGID_Z_EN: 1
; COMPUTE_PGM_RSRC2:TIDIG_COMP_CNT: 0
; COMPUTE_PGM_RSRC3_GFX90A:ACCUM_OFFSET: 15
; COMPUTE_PGM_RSRC3_GFX90A:TG_SPLIT: 0
	.section	.text._ZN4vllm25paged_attention_v1_kernelIthLi32ELi16ELi128ELNS_18Fp8KVCacheDataTypeE1ELb0EEEvPT_PKS2_PKT0_S8_ifPKiSA_iPKfiiiSC_SC_iiiii,"axG",@progbits,_ZN4vllm25paged_attention_v1_kernelIthLi32ELi16ELi128ELNS_18Fp8KVCacheDataTypeE1ELb0EEEvPT_PKS2_PKT0_S8_ifPKiSA_iPKfiiiSC_SC_iiiii,comdat
	.protected	_ZN4vllm25paged_attention_v1_kernelIthLi32ELi16ELi128ELNS_18Fp8KVCacheDataTypeE1ELb0EEEvPT_PKS2_PKT0_S8_ifPKiSA_iPKfiiiSC_SC_iiiii ; -- Begin function _ZN4vllm25paged_attention_v1_kernelIthLi32ELi16ELi128ELNS_18Fp8KVCacheDataTypeE1ELb0EEEvPT_PKS2_PKT0_S8_ifPKiSA_iPKfiiiSC_SC_iiiii
	.globl	_ZN4vllm25paged_attention_v1_kernelIthLi32ELi16ELi128ELNS_18Fp8KVCacheDataTypeE1ELb0EEEvPT_PKS2_PKT0_S8_ifPKiSA_iPKfiiiSC_SC_iiiii
	.p2align	8
	.type	_ZN4vllm25paged_attention_v1_kernelIthLi32ELi16ELi128ELNS_18Fp8KVCacheDataTypeE1ELb0EEEvPT_PKS2_PKT0_S8_ifPKiSA_iPKfiiiSC_SC_iiiii,@function
_ZN4vllm25paged_attention_v1_kernelIthLi32ELi16ELi128ELNS_18Fp8KVCacheDataTypeE1ELb0EEEvPT_PKS2_PKT0_S8_ifPKiSA_iPKfiiiSC_SC_iiiii: ; @_ZN4vllm25paged_attention_v1_kernelIthLi32ELi16ELi128ELNS_18Fp8KVCacheDataTypeE1ELb0EEEvPT_PKS2_PKT0_S8_ifPKiSA_iPKfiiiSC_SC_iiiii
; %bb.0:
	s_load_dword s5, s[0:1], 0x80
	s_load_dwordx2 s[6:7], s[0:1], 0x30
	s_load_dwordx2 s[28:29], s[0:1], 0x20
	s_mov_b32 s16, s3
	s_ashr_i32 s17, s3, 31
	s_lshl_b64 s[8:9], s[16:17], 2
	s_waitcnt lgkmcnt(0)
	s_add_u32 s6, s6, s8
	s_addc_u32 s7, s7, s9
	s_abs_i32 s3, s28
	v_cvt_f32_u32_e32 v1, s3
	s_sub_i32 s10, 0, s3
	s_abs_i32 s9, s5
	s_xor_b32 s8, s5, s28
	v_rcp_iflag_f32_e32 v1, v1
	s_ashr_i32 s8, s8, 31
	s_mov_b32 s28, 0
	v_mul_f32_e32 v1, 0x4f7ffffe, v1
	v_cvt_u32_f32_e32 v1, v1
	s_nop 0
	v_readfirstlane_b32 s11, v1
	s_mul_i32 s10, s10, s11
	s_mul_hi_u32 s10, s11, s10
	s_add_i32 s11, s11, s10
	s_mul_hi_u32 s10, s9, s11
	s_mul_i32 s11, s10, s3
	s_sub_i32 s9, s9, s11
	s_add_i32 s11, s10, 1
	s_sub_i32 s12, s9, s3
	s_cmp_ge_u32 s9, s3
	s_cselect_b32 s10, s11, s10
	s_cselect_b32 s9, s12, s9
	s_add_i32 s11, s10, 1
	s_cmp_ge_u32 s9, s3
	s_cselect_b32 s3, s11, s10
	s_xor_b32 s3, s3, s8
	s_sub_i32 s18, s3, s8
	s_abs_i32 s10, s18
	v_cvt_f32_u32_e32 v1, s10
	s_load_dwordx2 s[8:9], s[0:1], 0x40
	s_sub_i32 s3, 0, s10
	s_abs_i32 s11, s2
	v_rcp_iflag_f32_e32 v1, v1
	s_nop 0
	v_mul_f32_e32 v1, 0x4f7ffffe, v1
	v_cvt_u32_f32_e32 v1, v1
	s_nop 0
	v_readfirstlane_b32 s12, v1
	s_mul_i32 s3, s3, s12
	s_mul_hi_u32 s3, s12, s3
	s_add_i32 s12, s12, s3
	s_waitcnt lgkmcnt(0)
	s_cmp_eq_u64 s[8:9], 0
	s_mul_hi_u32 s20, s11, s12
	s_cbranch_scc1 .LBB247_2
; %bb.1:
	s_ashr_i32 s3, s2, 31
	s_lshl_b64 s[12:13], s[2:3], 2
	s_add_u32 s8, s8, s12
	s_addc_u32 s9, s9, s13
	s_load_dword s28, s[8:9], 0x0
.LBB247_2:
	s_load_dword s17, s[6:7], 0x0
	s_load_dwordx4 s[12:15], s[0:1], 0x48
	s_ashr_i32 s6, s2, 31
	s_ashr_i32 s7, s18, 31
	v_and_b32_e32 v7, 3, v0
	s_lshl_b32 s18, s2, 5
	v_cmp_gt_u32_e32 vcc, 16, v0
	s_and_saveexec_b64 s[2:3], vcc
	s_cbranch_execz .LBB247_4
; %bb.3:
	s_load_dwordx2 s[8:9], s[0:1], 0x8
	s_waitcnt lgkmcnt(0)
	s_mul_i32 s22, s16, s12
	s_ashr_i32 s23, s22, 31
	s_lshl_b64 s[22:23], s[22:23], 1
	v_lshlrev_b32_e32 v1, 2, v0
	s_add_u32 s12, s8, s22
	s_addc_u32 s15, s9, s23
	s_ashr_i32 s19, s18, 31
	s_lshl_b64 s[8:9], s[18:19], 1
	s_add_u32 s8, s12, s8
	s_addc_u32 s9, s15, s9
	global_load_dword v1, v1, s[8:9]
	v_and_b32_e32 v2, 0x3fc, v0
	v_lshl_add_u32 v2, v7, 4, v2
	s_waitcnt vmcnt(0)
	ds_write_b32 v2, v1
.LBB247_4:
	s_or_b64 exec, exec, s[2:3]
	s_waitcnt lgkmcnt(0)
	s_add_i32 s3, s17, 15
	s_ashr_i32 s8, s3, 31
	s_lshr_b32 s8, s8, 28
	s_add_i32 s3, s3, s8
	s_ashr_i32 s33, s3, 4
	s_xor_b32 s3, s6, s7
	s_mul_i32 s6, s20, s10
	s_sub_i32 s6, s11, s6
	s_add_i32 s7, s20, 1
	s_sub_i32 s8, s6, s10
	s_load_dwordx2 s[22:23], s[0:1], 0x28
	s_load_dword s2, s[0:1], 0x38
	s_cmp_ge_u32 s6, s10
	s_cselect_b32 s7, s7, s20
	s_cselect_b32 s6, s8, s6
	s_add_i32 s8, s7, 1
	s_cmp_ge_u32 s6, s10
	s_cselect_b32 s6, s8, s7
	v_lshrrev_b32_e32 v1, 6, v0
	s_xor_b32 s6, s6, s3
	s_waitcnt lgkmcnt(0)
	s_mul_i32 s24, s16, s2
	s_sub_i32 s12, s6, s3
	s_ashr_i32 s25, s24, 31
	v_cmp_gt_i32_e64 s[6:7], s33, v1
	v_cmp_le_i32_e32 vcc, s33, v1
	v_mbcnt_lo_u32_b32 v10, -1, 0
	s_barrier
	s_waitcnt lgkmcnt(0)
                                        ; implicit-def: $sgpr15
                                        ; implicit-def: $vgpr13
                                        ; implicit-def: $vgpr2
	s_and_saveexec_b64 s[2:3], vcc
	s_xor_b64 s[2:3], exec, s[2:3]
; %bb.5:
	v_mbcnt_hi_u32_b32 v13, -1, v10
	v_and_b32_e32 v2, 64, v13
	v_add_u32_e32 v2, 64, v2
	s_mov_b32 s15, 0xff7fffff
                                        ; implicit-def: $vgpr7
                                        ; implicit-def: $vgpr10
; %bb.6:
	s_or_saveexec_b64 s[30:31], s[2:3]
	s_load_dwordx2 s[20:21], s[0:1], 0x0
	s_load_dwordx2 s[26:27], s[0:1], 0x18
	s_load_dword s19, s[0:1], 0x88
	s_load_dwordx4 s[8:11], s[0:1], 0x58
	v_mov_b32_e32 v14, s15
	s_mul_i32 s12, s12, s14
	v_lshrrev_b32_e32 v12, 4, v0
	s_xor_b64 exec, exec, s[30:31]
	s_cbranch_execz .LBB247_76
; %bb.7:
	s_load_dwordx2 s[0:1], s[0:1], 0x10
	s_ashr_i32 s2, s12, 31
	v_bfe_u32 v8, v0, 2, 4
	v_lshlrev_b32_e32 v2, 4, v8
	v_mov_b32_e32 v3, 0
	s_waitcnt lgkmcnt(0)
	s_add_u32 s0, s0, s12
	s_addc_u32 s1, s1, s2
	v_lshl_add_u64 v[4:5], s[0:1], 0, v[2:3]
	s_sub_i32 s41, 1, s17
	v_lshlrev_b32_e32 v2, 2, v8
	s_lshl_b64 s[0:1], s[24:25], 2
	v_lshl_or_b32 v2, v1, 6, v2
	s_add_u32 s0, s22, s0
	v_add_u32_e32 v17, 0x50, v2
	v_and_b32_e32 v2, 60, v12
	s_addc_u32 s1, s23, s1
	s_mov_b32 s40, s13
	v_lshlrev_b32_e32 v6, 1, v7
	v_lshlrev_b32_e32 v15, 4, v7
	v_cmp_eq_u32_e32 vcc, 0, v7
	v_cmp_neq_f32_e64 s[2:3], s28, 0
	v_mov_b32_e32 v7, v3
	v_lshl_or_b32 v16, v1, 4, v8
	v_lshl_add_u64 v[8:9], s[0:1], 0, v[2:3]
	s_mov_b64 s[14:15], 0
	v_mov_b32_e32 v14, 0xff7fffff
	s_movk_i32 s42, 0x7f
	s_movk_i32 s43, 0x80
	s_mov_b32 s44, 0x8000
	v_mbcnt_hi_u32_b32 v13, -1, v10
	v_mov_b32_e32 v18, 0x1c00
	v_mov_b32_e32 v19, v1
	s_branch .LBB247_9
.LBB247_8:                              ;   in Loop: Header=BB247_9 Depth=1
	s_or_b64 exec, exec, s[34:35]
	v_add_u32_e32 v19, 2, v19
	v_cmp_le_i32_e64 s[0:1], s33, v19
	v_add_u32_e32 v16, 32, v16
	v_add_u32_e32 v17, 0x80, v17
	s_or_b64 s[14:15], s[0:1], s[14:15]
	v_lshl_add_u64 v[8:9], v[8:9], 0, 8
	s_andn2_b64 exec, exec, s[14:15]
	s_cbranch_execz .LBB247_75
.LBB247_9:                              ; =>This Inner Loop Header: Depth=1
	global_load_dword v2, v[8:9], off
                                        ; implicit-def: $sgpr38
	s_waitcnt vmcnt(0) lgkmcnt(0)
	v_mad_i64_i32 v[10:11], s[0:1], v2, s40, v[4:5]
	v_lshl_add_u64 v[10:11], v[10:11], 0, v[6:7]
	global_load_ushort v2, v[10:11], off
	global_load_dword v20, v3, s[8:9]
	s_mov_b64 s[0:1], 0
	s_waitcnt vmcnt(1)
	v_cmp_gt_i16_sdwa s[34:35], v2, s42 src0_sel:BYTE_0 src1_sel:DWORD
	s_and_saveexec_b64 s[36:37], s[34:35]
	s_xor_b64 s[34:35], exec, s[36:37]
	s_cbranch_execnz .LBB247_43
; %bb.10:                               ;   in Loop: Header=BB247_9 Depth=1
	s_or_saveexec_b64 s[34:35], s[34:35]
	v_mov_b32_e32 v21, s38
	s_xor_b64 exec, exec, s[34:35]
	s_cbranch_execnz .LBB247_46
.LBB247_11:                             ;   in Loop: Header=BB247_9 Depth=1
	s_or_b64 exec, exec, s[34:35]
	v_and_b32_e32 v2, 0xffff, v2
	s_and_saveexec_b64 s[34:35], s[0:1]
	s_cbranch_execz .LBB247_13
.LBB247_12:                             ;   in Loop: Header=BB247_9 Depth=1
	v_and_b32_e32 v21, 7, v2
	v_ffbh_u32_e32 v22, v21
	v_min_u32_e32 v25, 32, v22
	v_subrev_u32_e32 v22, 28, v25
	v_bfe_u32 v24, v2, 3, 4
	v_lshlrev_b64 v[22:23], v22, v[2:3]
	v_sub_u32_e32 v23, 29, v25
	v_cmp_eq_u32_e64 s[0:1], 0, v24
	v_and_b32_e32 v22, 7, v22
	s_nop 0
	v_cndmask_b32_e64 v23, v24, v23, s[0:1]
	v_cndmask_b32_e64 v21, v21, v22, s[0:1]
	v_lshlrev_b32_e32 v22, 8, v2
	v_lshl_add_u32 v23, v23, 10, v18
	v_and_or_b32 v22, v22, s44, v23
	v_lshl_or_b32 v21, v21, 7, v22
	v_cvt_f32_f16_e32 v21, v21
.LBB247_13:                             ;   in Loop: Header=BB247_9 Depth=1
	s_or_b64 exec, exec, s[34:35]
	v_lshrrev_b16_e32 v2, 8, v2
	v_cmp_lt_i16_e64 s[0:1], s42, v2
	s_mov_b64 s[34:35], 0
                                        ; implicit-def: $sgpr45
	s_and_saveexec_b64 s[36:37], s[0:1]
	s_xor_b64 s[36:37], exec, s[36:37]
	s_cbranch_execnz .LBB247_47
; %bb.14:                               ;   in Loop: Header=BB247_9 Depth=1
	s_or_saveexec_b64 s[36:37], s[36:37]
	v_mov_b32_e32 v22, s45
	s_xor_b64 exec, exec, s[36:37]
	s_cbranch_execnz .LBB247_50
.LBB247_15:                             ;   in Loop: Header=BB247_9 Depth=1
	s_or_b64 exec, exec, s[36:37]
	s_and_saveexec_b64 s[36:37], s[34:35]
	s_cbranch_execz .LBB247_17
.LBB247_16:                             ;   in Loop: Header=BB247_9 Depth=1
	v_and_b32_e32 v24, 7, v2
	v_ffbh_u32_e32 v22, v24
	v_min_u32_e32 v26, 32, v22
	v_subrev_u32_e32 v22, 28, v26
	v_bfe_u32 v25, v2, 3, 4
	v_lshlrev_b64 v[22:23], v22, v[2:3]
	v_sub_u32_e32 v23, 29, v26
	v_cmp_eq_u32_e64 s[0:1], 0, v25
	v_and_b32_e32 v22, 7, v22
	v_lshlrev_b32_e32 v2, 8, v2
	v_cndmask_b32_e64 v23, v25, v23, s[0:1]
	v_lshl_add_u32 v23, v23, 10, v18
	v_cndmask_b32_e64 v22, v24, v22, s[0:1]
	v_and_or_b32 v2, v2, s44, v23
	v_lshl_or_b32 v2, v22, 7, v2
	v_cvt_f32_f16_e32 v22, v2
.LBB247_17:                             ;   in Loop: Header=BB247_9 Depth=1
	s_or_b64 exec, exec, s[36:37]
	global_load_ushort v2, v[10:11], off offset:8
	s_mov_b64 s[0:1], 0
                                        ; implicit-def: $sgpr38
	s_waitcnt vmcnt(0)
	v_cmp_gt_i16_sdwa s[34:35], v2, s42 src0_sel:BYTE_0 src1_sel:DWORD
	s_and_saveexec_b64 s[36:37], s[34:35]
	s_xor_b64 s[34:35], exec, s[36:37]
	s_cbranch_execnz .LBB247_51
; %bb.18:                               ;   in Loop: Header=BB247_9 Depth=1
	s_or_saveexec_b64 s[34:35], s[34:35]
	v_mov_b32_e32 v23, s38
	s_xor_b64 exec, exec, s[34:35]
	s_cbranch_execnz .LBB247_54
.LBB247_19:                             ;   in Loop: Header=BB247_9 Depth=1
	s_or_b64 exec, exec, s[34:35]
	v_and_b32_e32 v2, 0xffff, v2
	s_and_saveexec_b64 s[34:35], s[0:1]
	s_cbranch_execz .LBB247_21
.LBB247_20:                             ;   in Loop: Header=BB247_9 Depth=1
	v_and_b32_e32 v23, 7, v2
	v_ffbh_u32_e32 v24, v23
	v_min_u32_e32 v27, 32, v24
	v_subrev_u32_e32 v24, 28, v27
	v_bfe_u32 v26, v2, 3, 4
	v_lshlrev_b64 v[24:25], v24, v[2:3]
	v_sub_u32_e32 v25, 29, v27
	v_cmp_eq_u32_e64 s[0:1], 0, v26
	v_and_b32_e32 v24, 7, v24
	s_nop 0
	v_cndmask_b32_e64 v25, v26, v25, s[0:1]
	v_cndmask_b32_e64 v23, v23, v24, s[0:1]
	v_lshlrev_b32_e32 v24, 8, v2
	v_lshl_add_u32 v25, v25, 10, v18
	v_and_or_b32 v24, v24, s44, v25
	v_lshl_or_b32 v23, v23, 7, v24
	v_cvt_f32_f16_e32 v23, v23
.LBB247_21:                             ;   in Loop: Header=BB247_9 Depth=1
	s_or_b64 exec, exec, s[34:35]
	v_lshrrev_b16_e32 v2, 8, v2
	v_cmp_lt_i16_e64 s[0:1], s42, v2
	s_mov_b64 s[34:35], 0
                                        ; implicit-def: $sgpr45
	s_and_saveexec_b64 s[36:37], s[0:1]
	s_xor_b64 s[36:37], exec, s[36:37]
	s_cbranch_execnz .LBB247_55
; %bb.22:                               ;   in Loop: Header=BB247_9 Depth=1
	s_or_saveexec_b64 s[36:37], s[36:37]
	v_mov_b32_e32 v24, s45
	s_xor_b64 exec, exec, s[36:37]
	s_cbranch_execnz .LBB247_58
.LBB247_23:                             ;   in Loop: Header=BB247_9 Depth=1
	s_or_b64 exec, exec, s[36:37]
	s_and_saveexec_b64 s[36:37], s[34:35]
	s_cbranch_execz .LBB247_25
.LBB247_24:                             ;   in Loop: Header=BB247_9 Depth=1
	v_and_b32_e32 v26, 7, v2
	v_ffbh_u32_e32 v24, v26
	v_min_u32_e32 v28, 32, v24
	v_subrev_u32_e32 v24, 28, v28
	v_bfe_u32 v27, v2, 3, 4
	v_lshlrev_b64 v[24:25], v24, v[2:3]
	v_sub_u32_e32 v25, 29, v28
	v_cmp_eq_u32_e64 s[0:1], 0, v27
	v_and_b32_e32 v24, 7, v24
	v_lshlrev_b32_e32 v2, 8, v2
	v_cndmask_b32_e64 v25, v27, v25, s[0:1]
	v_lshl_add_u32 v25, v25, 10, v18
	v_cndmask_b32_e64 v24, v26, v24, s[0:1]
	v_and_or_b32 v2, v2, s44, v25
	v_lshl_or_b32 v2, v24, 7, v2
	v_cvt_f32_f16_e32 v24, v2
.LBB247_25:                             ;   in Loop: Header=BB247_9 Depth=1
	s_or_b64 exec, exec, s[36:37]
	global_load_ushort v2, v[10:11], off offset:256
	s_mov_b64 s[0:1], 0
                                        ; implicit-def: $sgpr38
	s_waitcnt vmcnt(0)
	v_cmp_gt_i16_sdwa s[34:35], v2, s42 src0_sel:BYTE_0 src1_sel:DWORD
	s_and_saveexec_b64 s[36:37], s[34:35]
	s_xor_b64 s[34:35], exec, s[36:37]
	s_cbranch_execnz .LBB247_59
; %bb.26:                               ;   in Loop: Header=BB247_9 Depth=1
	s_or_saveexec_b64 s[34:35], s[34:35]
	v_mov_b32_e32 v25, s38
	s_xor_b64 exec, exec, s[34:35]
	s_cbranch_execnz .LBB247_62
.LBB247_27:                             ;   in Loop: Header=BB247_9 Depth=1
	s_or_b64 exec, exec, s[34:35]
	v_and_b32_e32 v2, 0xffff, v2
	s_and_saveexec_b64 s[34:35], s[0:1]
	s_cbranch_execz .LBB247_29
.LBB247_28:                             ;   in Loop: Header=BB247_9 Depth=1
	v_and_b32_e32 v25, 7, v2
	v_ffbh_u32_e32 v26, v25
	v_min_u32_e32 v29, 32, v26
	v_subrev_u32_e32 v26, 28, v29
	v_bfe_u32 v28, v2, 3, 4
	v_lshlrev_b64 v[26:27], v26, v[2:3]
	v_sub_u32_e32 v27, 29, v29
	v_cmp_eq_u32_e64 s[0:1], 0, v28
	v_and_b32_e32 v26, 7, v26
	s_nop 0
	v_cndmask_b32_e64 v27, v28, v27, s[0:1]
	v_cndmask_b32_e64 v25, v25, v26, s[0:1]
	v_lshlrev_b32_e32 v26, 8, v2
	v_lshl_add_u32 v27, v27, 10, v18
	v_and_or_b32 v26, v26, s44, v27
	v_lshl_or_b32 v25, v25, 7, v26
	v_cvt_f32_f16_e32 v25, v25
.LBB247_29:                             ;   in Loop: Header=BB247_9 Depth=1
	s_or_b64 exec, exec, s[34:35]
	v_lshrrev_b16_e32 v2, 8, v2
	v_cmp_lt_i16_e64 s[0:1], s42, v2
	s_mov_b64 s[34:35], 0
                                        ; implicit-def: $sgpr45
	s_and_saveexec_b64 s[36:37], s[0:1]
	s_xor_b64 s[36:37], exec, s[36:37]
	s_cbranch_execnz .LBB247_63
; %bb.30:                               ;   in Loop: Header=BB247_9 Depth=1
	s_or_saveexec_b64 s[36:37], s[36:37]
	v_mov_b32_e32 v26, s45
	s_xor_b64 exec, exec, s[36:37]
	s_cbranch_execnz .LBB247_66
.LBB247_31:                             ;   in Loop: Header=BB247_9 Depth=1
	s_or_b64 exec, exec, s[36:37]
	s_and_saveexec_b64 s[36:37], s[34:35]
	s_cbranch_execz .LBB247_33
.LBB247_32:                             ;   in Loop: Header=BB247_9 Depth=1
	v_and_b32_e32 v28, 7, v2
	v_ffbh_u32_e32 v26, v28
	v_min_u32_e32 v30, 32, v26
	v_subrev_u32_e32 v26, 28, v30
	v_bfe_u32 v29, v2, 3, 4
	v_lshlrev_b64 v[26:27], v26, v[2:3]
	v_sub_u32_e32 v27, 29, v30
	v_cmp_eq_u32_e64 s[0:1], 0, v29
	v_and_b32_e32 v26, 7, v26
	v_lshlrev_b32_e32 v2, 8, v2
	v_cndmask_b32_e64 v27, v29, v27, s[0:1]
	v_lshl_add_u32 v27, v27, 10, v18
	v_cndmask_b32_e64 v26, v28, v26, s[0:1]
	v_and_or_b32 v2, v2, s44, v27
	v_lshl_or_b32 v2, v26, 7, v2
	v_cvt_f32_f16_e32 v26, v2
.LBB247_33:                             ;   in Loop: Header=BB247_9 Depth=1
	s_or_b64 exec, exec, s[36:37]
	global_load_ushort v2, v[10:11], off offset:264
	s_mov_b64 s[0:1], 0
                                        ; implicit-def: $sgpr38
	s_waitcnt vmcnt(0)
	v_cmp_gt_i16_sdwa s[34:35], v2, s42 src0_sel:BYTE_0 src1_sel:DWORD
	s_and_saveexec_b64 s[36:37], s[34:35]
	s_xor_b64 s[34:35], exec, s[36:37]
	s_cbranch_execnz .LBB247_67
; %bb.34:                               ;   in Loop: Header=BB247_9 Depth=1
	s_or_saveexec_b64 s[34:35], s[34:35]
	v_mov_b32_e32 v10, s38
	s_xor_b64 exec, exec, s[34:35]
	s_cbranch_execnz .LBB247_70
.LBB247_35:                             ;   in Loop: Header=BB247_9 Depth=1
	s_or_b64 exec, exec, s[34:35]
	v_and_b32_e32 v2, 0xffff, v2
	s_and_saveexec_b64 s[34:35], s[0:1]
	s_cbranch_execz .LBB247_37
.LBB247_36:                             ;   in Loop: Header=BB247_9 Depth=1
	v_and_b32_e32 v27, 7, v2
	v_ffbh_u32_e32 v10, v27
	v_min_u32_e32 v29, 32, v10
	v_subrev_u32_e32 v10, 28, v29
	v_bfe_u32 v28, v2, 3, 4
	v_lshlrev_b64 v[10:11], v10, v[2:3]
	v_sub_u32_e32 v11, 29, v29
	v_cmp_eq_u32_e64 s[0:1], 0, v28
	v_and_b32_e32 v10, 7, v10
	s_nop 0
	v_cndmask_b32_e64 v11, v28, v11, s[0:1]
	v_cndmask_b32_e64 v10, v27, v10, s[0:1]
	v_lshlrev_b32_e32 v27, 8, v2
	v_lshl_add_u32 v11, v11, 10, v18
	v_and_or_b32 v11, v27, s44, v11
	v_lshl_or_b32 v10, v10, 7, v11
	v_cvt_f32_f16_e32 v10, v10
.LBB247_37:                             ;   in Loop: Header=BB247_9 Depth=1
	s_or_b64 exec, exec, s[34:35]
	v_lshrrev_b16_e32 v2, 8, v2
	v_cmp_lt_i16_e64 s[0:1], s42, v2
	s_mov_b64 s[34:35], 0
                                        ; implicit-def: $sgpr45
	s_and_saveexec_b64 s[36:37], s[0:1]
	s_xor_b64 s[36:37], exec, s[36:37]
	s_cbranch_execnz .LBB247_71
; %bb.38:                               ;   in Loop: Header=BB247_9 Depth=1
	s_or_saveexec_b64 s[36:37], s[36:37]
	v_mov_b32_e32 v11, s45
	s_xor_b64 exec, exec, s[36:37]
	s_cbranch_execnz .LBB247_74
.LBB247_39:                             ;   in Loop: Header=BB247_9 Depth=1
	s_or_b64 exec, exec, s[36:37]
	s_and_saveexec_b64 s[36:37], s[34:35]
	s_cbranch_execz .LBB247_41
.LBB247_40:                             ;   in Loop: Header=BB247_9 Depth=1
	v_and_b32_e32 v11, 7, v2
	v_ffbh_u32_e32 v28, v11
	v_min_u32_e32 v30, 32, v28
	v_subrev_u32_e32 v28, 28, v30
	v_bfe_u32 v27, v2, 3, 4
	v_lshlrev_b64 v[28:29], v28, v[2:3]
	v_sub_u32_e32 v29, 29, v30
	v_cmp_eq_u32_e64 s[0:1], 0, v27
	v_and_b32_e32 v28, 7, v28
	v_lshlrev_b32_e32 v2, 8, v2
	v_cndmask_b32_e64 v27, v27, v29, s[0:1]
	v_lshl_add_u32 v27, v27, 10, v18
	v_cndmask_b32_e64 v11, v11, v28, s[0:1]
	v_and_or_b32 v2, v2, s44, v27
	v_lshl_or_b32 v2, v11, 7, v2
	v_cvt_f32_f16_e32 v11, v2
.LBB247_41:                             ;   in Loop: Header=BB247_9 Depth=1
	s_or_b64 exec, exec, s[36:37]
	ds_read_b32 v2, v15
	v_fma_mixlo_f16 v21, v20, v21, 0
	v_fma_mixlo_f16 v22, v20, v22, 0
	v_and_b32_e32 v21, 0xffff, v21
	v_and_b32_e32 v22, 0xffff, v22
	s_waitcnt lgkmcnt(0)
	v_lshrrev_b32_e32 v27, 16, v2
	v_and_b32_e32 v2, 0xffff, v2
	;;#ASMSTART
	v_cvt_f32_f16 v2, v2;
	;;#ASMEND
	;;#ASMSTART
	v_cvt_f32_f16 v27, v27;
	;;#ASMEND
	;; [unrolled: 3-line block ×4, first 2 shown]
	ds_read_b32 v28, v15 offset:4
	v_fma_mixlo_f16 v23, v20, v23, 0
	v_fma_mixlo_f16 v24, v20, v24, 0
	v_and_b32_e32 v23, 0xffff, v23
	v_and_b32_e32 v24, 0xffff, v24
	s_waitcnt lgkmcnt(0)
	v_lshrrev_b32_e32 v29, 16, v28
	v_and_b32_e32 v28, 0xffff, v28
	;;#ASMSTART
	v_cvt_f32_f16 v28, v28;
	;;#ASMEND
	;;#ASMSTART
	v_cvt_f32_f16 v29, v29;
	;;#ASMEND
	;; [unrolled: 3-line block ×4, first 2 shown]
	ds_read_b32 v30, v15 offset:8
	v_fma_mixlo_f16 v25, v20, v25, 0
	v_fma_mixlo_f16 v26, v20, v26, 0
	;; [unrolled: 1-line block ×4, first 2 shown]
	v_mul_f32_e32 v20, v28, v23
	v_fmac_f32_e32 v20, v2, v21
	s_waitcnt lgkmcnt(0)
	v_lshrrev_b32_e32 v2, 16, v30
	v_and_b32_e32 v21, 0xffff, v30
	v_and_b32_e32 v23, 0xffff, v25
	;; [unrolled: 1-line block ×3, first 2 shown]
	;;#ASMSTART
	v_cvt_f32_f16 v21, v21;
	;;#ASMEND
	;;#ASMSTART
	v_cvt_f32_f16 v2, v2;
	;;#ASMEND
	;; [unrolled: 3-line block ×4, first 2 shown]
	ds_read_b32 v26, v15 offset:12
	v_mul_f32_e32 v24, v29, v24
	v_fmac_f32_e32 v24, v27, v22
	v_fmac_f32_e32 v20, v21, v23
	;; [unrolled: 1-line block ×3, first 2 shown]
	s_waitcnt lgkmcnt(0)
	v_lshrrev_b32_e32 v2, 16, v26
	v_and_b32_e32 v21, 0xffff, v26
	;;#ASMSTART
	v_cvt_f32_f16 v21, v21;
	;;#ASMEND
	;;#ASMSTART
	v_cvt_f32_f16 v2, v2;
	;;#ASMEND
	v_and_b32_e32 v10, 0xffff, v10
	v_and_b32_e32 v11, 0xffff, v11
	;;#ASMSTART
	v_cvt_f32_f16 v10, v10;
	;;#ASMEND
	;;#ASMSTART
	v_cvt_f32_f16 v11, v11;
	;;#ASMEND
	s_nop 0
	v_fmac_f32_e32 v24, v2, v11
	v_and_b32_e32 v2, 64, v13
	v_add_u32_e32 v2, 64, v2
	v_xor_b32_e32 v11, 2, v13
	v_cmp_lt_i32_e64 s[0:1], v11, v2
	v_fmac_f32_e32 v20, v21, v10
	v_add_f32_e32 v10, v20, v24
	v_cndmask_b32_e64 v11, v13, v11, s[0:1]
	v_lshlrev_b32_e32 v11, 2, v11
	ds_bpermute_b32 v11, v11, v10
	s_waitcnt lgkmcnt(0)
	v_add_f32_e32 v10, v10, v11
	v_xor_b32_e32 v11, 1, v13
	v_cmp_lt_i32_e64 s[0:1], v11, v2
	s_nop 1
	v_cndmask_b32_e64 v11, v13, v11, s[0:1]
	v_lshlrev_b32_e32 v11, 2, v11
	ds_bpermute_b32 v11, v11, v10
	s_and_saveexec_b64 s[34:35], vcc
	s_cbranch_execz .LBB247_8
; %bb.42:                               ;   in Loop: Header=BB247_9 Depth=1
	v_add_u32_e32 v20, s41, v16
	v_cvt_f32_i32_e32 v20, v20
	s_waitcnt lgkmcnt(0)
	v_add_f32_e32 v10, v10, v11
	v_cmp_gt_i32_e64 s[0:1], s17, v16
	v_max_f32_e32 v11, v14, v14
	v_mul_f32_e32 v20, s28, v20
	v_cndmask_b32_e64 v20, 0, v20, s[2:3]
	v_fmac_f32_e32 v20, s29, v10
	v_cndmask_b32_e64 v10, 0, v20, s[0:1]
	ds_write_b32 v17, v10
	v_max_f32_e32 v10, v11, v20
	v_cndmask_b32_e64 v14, v14, v10, s[0:1]
	s_branch .LBB247_8
.LBB247_43:                             ;   in Loop: Header=BB247_9 Depth=1
	v_cmp_eq_u16_sdwa s[46:47], v2, s43 src0_sel:BYTE_0 src1_sel:DWORD
	s_mov_b64 s[0:1], -1
                                        ; implicit-def: $sgpr38
	s_and_saveexec_b64 s[36:37], s[46:47]
; %bb.44:                               ;   in Loop: Header=BB247_9 Depth=1
	s_mov_b32 s38, 0x7fc02000
	s_xor_b64 s[0:1], exec, -1
; %bb.45:                               ;   in Loop: Header=BB247_9 Depth=1
	s_or_b64 exec, exec, s[36:37]
	s_and_b64 s[0:1], s[0:1], exec
	s_or_saveexec_b64 s[34:35], s[34:35]
	v_mov_b32_e32 v21, s38
	s_xor_b64 exec, exec, s[34:35]
	s_cbranch_execz .LBB247_11
.LBB247_46:                             ;   in Loop: Header=BB247_9 Depth=1
	v_cmp_ne_u16_sdwa s[36:37], v2, v3 src0_sel:BYTE_0 src1_sel:DWORD
	s_andn2_b64 s[0:1], s[0:1], exec
	s_and_b64 s[36:37], s[36:37], exec
	v_mov_b32_e32 v21, 0
	s_or_b64 s[0:1], s[0:1], s[36:37]
	s_or_b64 exec, exec, s[34:35]
	v_and_b32_e32 v2, 0xffff, v2
	s_and_saveexec_b64 s[34:35], s[0:1]
	s_cbranch_execnz .LBB247_12
	s_branch .LBB247_13
.LBB247_47:                             ;   in Loop: Header=BB247_9 Depth=1
	v_cmp_eq_u16_e64 s[0:1], s43, v2
	s_mov_b64 s[34:35], -1
                                        ; implicit-def: $sgpr45
	s_and_saveexec_b64 s[38:39], s[0:1]
; %bb.48:                               ;   in Loop: Header=BB247_9 Depth=1
	s_mov_b32 s45, 0x7fc02000
	s_xor_b64 s[34:35], exec, -1
; %bb.49:                               ;   in Loop: Header=BB247_9 Depth=1
	s_or_b64 exec, exec, s[38:39]
	s_and_b64 s[34:35], s[34:35], exec
	s_or_saveexec_b64 s[36:37], s[36:37]
	v_mov_b32_e32 v22, s45
	s_xor_b64 exec, exec, s[36:37]
	s_cbranch_execz .LBB247_15
.LBB247_50:                             ;   in Loop: Header=BB247_9 Depth=1
	v_cmp_ne_u16_e64 s[0:1], 0, v2
	s_andn2_b64 s[34:35], s[34:35], exec
	s_and_b64 s[0:1], s[0:1], exec
	v_mov_b32_e32 v22, 0
	s_or_b64 s[34:35], s[34:35], s[0:1]
	s_or_b64 exec, exec, s[36:37]
	s_and_saveexec_b64 s[36:37], s[34:35]
	s_cbranch_execnz .LBB247_16
	s_branch .LBB247_17
.LBB247_51:                             ;   in Loop: Header=BB247_9 Depth=1
	v_cmp_eq_u16_sdwa s[46:47], v2, s43 src0_sel:BYTE_0 src1_sel:DWORD
	s_mov_b64 s[0:1], -1
                                        ; implicit-def: $sgpr38
	s_and_saveexec_b64 s[36:37], s[46:47]
; %bb.52:                               ;   in Loop: Header=BB247_9 Depth=1
	s_mov_b32 s38, 0x7fc02000
	s_xor_b64 s[0:1], exec, -1
; %bb.53:                               ;   in Loop: Header=BB247_9 Depth=1
	s_or_b64 exec, exec, s[36:37]
	s_and_b64 s[0:1], s[0:1], exec
	s_or_saveexec_b64 s[34:35], s[34:35]
	v_mov_b32_e32 v23, s38
	s_xor_b64 exec, exec, s[34:35]
	s_cbranch_execz .LBB247_19
.LBB247_54:                             ;   in Loop: Header=BB247_9 Depth=1
	v_cmp_ne_u16_sdwa s[36:37], v2, v3 src0_sel:BYTE_0 src1_sel:DWORD
	s_andn2_b64 s[0:1], s[0:1], exec
	s_and_b64 s[36:37], s[36:37], exec
	v_mov_b32_e32 v23, 0
	s_or_b64 s[0:1], s[0:1], s[36:37]
	s_or_b64 exec, exec, s[34:35]
	v_and_b32_e32 v2, 0xffff, v2
	s_and_saveexec_b64 s[34:35], s[0:1]
	s_cbranch_execnz .LBB247_20
	s_branch .LBB247_21
.LBB247_55:                             ;   in Loop: Header=BB247_9 Depth=1
	v_cmp_eq_u16_e64 s[0:1], s43, v2
	s_mov_b64 s[34:35], -1
                                        ; implicit-def: $sgpr45
	s_and_saveexec_b64 s[38:39], s[0:1]
; %bb.56:                               ;   in Loop: Header=BB247_9 Depth=1
	s_mov_b32 s45, 0x7fc02000
	s_xor_b64 s[34:35], exec, -1
; %bb.57:                               ;   in Loop: Header=BB247_9 Depth=1
	s_or_b64 exec, exec, s[38:39]
	s_and_b64 s[34:35], s[34:35], exec
	s_or_saveexec_b64 s[36:37], s[36:37]
	v_mov_b32_e32 v24, s45
	s_xor_b64 exec, exec, s[36:37]
	s_cbranch_execz .LBB247_23
.LBB247_58:                             ;   in Loop: Header=BB247_9 Depth=1
	v_cmp_ne_u16_e64 s[0:1], 0, v2
	s_andn2_b64 s[34:35], s[34:35], exec
	s_and_b64 s[0:1], s[0:1], exec
	v_mov_b32_e32 v24, 0
	s_or_b64 s[34:35], s[34:35], s[0:1]
	s_or_b64 exec, exec, s[36:37]
	s_and_saveexec_b64 s[36:37], s[34:35]
	s_cbranch_execnz .LBB247_24
	s_branch .LBB247_25
.LBB247_59:                             ;   in Loop: Header=BB247_9 Depth=1
	v_cmp_eq_u16_sdwa s[46:47], v2, s43 src0_sel:BYTE_0 src1_sel:DWORD
	s_mov_b64 s[0:1], -1
                                        ; implicit-def: $sgpr38
	s_and_saveexec_b64 s[36:37], s[46:47]
; %bb.60:                               ;   in Loop: Header=BB247_9 Depth=1
	s_mov_b32 s38, 0x7fc02000
	s_xor_b64 s[0:1], exec, -1
; %bb.61:                               ;   in Loop: Header=BB247_9 Depth=1
	s_or_b64 exec, exec, s[36:37]
	s_and_b64 s[0:1], s[0:1], exec
	s_or_saveexec_b64 s[34:35], s[34:35]
	v_mov_b32_e32 v25, s38
	s_xor_b64 exec, exec, s[34:35]
	s_cbranch_execz .LBB247_27
.LBB247_62:                             ;   in Loop: Header=BB247_9 Depth=1
	v_cmp_ne_u16_sdwa s[36:37], v2, v3 src0_sel:BYTE_0 src1_sel:DWORD
	s_andn2_b64 s[0:1], s[0:1], exec
	s_and_b64 s[36:37], s[36:37], exec
	v_mov_b32_e32 v25, 0
	s_or_b64 s[0:1], s[0:1], s[36:37]
	s_or_b64 exec, exec, s[34:35]
	v_and_b32_e32 v2, 0xffff, v2
	s_and_saveexec_b64 s[34:35], s[0:1]
	s_cbranch_execnz .LBB247_28
	s_branch .LBB247_29
.LBB247_63:                             ;   in Loop: Header=BB247_9 Depth=1
	v_cmp_eq_u16_e64 s[0:1], s43, v2
	s_mov_b64 s[34:35], -1
                                        ; implicit-def: $sgpr45
	s_and_saveexec_b64 s[38:39], s[0:1]
; %bb.64:                               ;   in Loop: Header=BB247_9 Depth=1
	s_mov_b32 s45, 0x7fc02000
	s_xor_b64 s[34:35], exec, -1
; %bb.65:                               ;   in Loop: Header=BB247_9 Depth=1
	s_or_b64 exec, exec, s[38:39]
	s_and_b64 s[34:35], s[34:35], exec
	s_or_saveexec_b64 s[36:37], s[36:37]
	v_mov_b32_e32 v26, s45
	s_xor_b64 exec, exec, s[36:37]
	s_cbranch_execz .LBB247_31
.LBB247_66:                             ;   in Loop: Header=BB247_9 Depth=1
	v_cmp_ne_u16_e64 s[0:1], 0, v2
	s_andn2_b64 s[34:35], s[34:35], exec
	s_and_b64 s[0:1], s[0:1], exec
	v_mov_b32_e32 v26, 0
	s_or_b64 s[34:35], s[34:35], s[0:1]
	s_or_b64 exec, exec, s[36:37]
	s_and_saveexec_b64 s[36:37], s[34:35]
	s_cbranch_execnz .LBB247_32
	s_branch .LBB247_33
.LBB247_67:                             ;   in Loop: Header=BB247_9 Depth=1
	v_cmp_eq_u16_sdwa s[46:47], v2, s43 src0_sel:BYTE_0 src1_sel:DWORD
	s_mov_b64 s[0:1], -1
                                        ; implicit-def: $sgpr38
	s_and_saveexec_b64 s[36:37], s[46:47]
; %bb.68:                               ;   in Loop: Header=BB247_9 Depth=1
	s_mov_b32 s38, 0x7fc02000
	s_xor_b64 s[0:1], exec, -1
; %bb.69:                               ;   in Loop: Header=BB247_9 Depth=1
	s_or_b64 exec, exec, s[36:37]
	s_and_b64 s[0:1], s[0:1], exec
	s_or_saveexec_b64 s[34:35], s[34:35]
	v_mov_b32_e32 v10, s38
	s_xor_b64 exec, exec, s[34:35]
	s_cbranch_execz .LBB247_35
.LBB247_70:                             ;   in Loop: Header=BB247_9 Depth=1
	v_cmp_ne_u16_sdwa s[36:37], v2, v3 src0_sel:BYTE_0 src1_sel:DWORD
	s_andn2_b64 s[0:1], s[0:1], exec
	s_and_b64 s[36:37], s[36:37], exec
	v_mov_b32_e32 v10, 0
	s_or_b64 s[0:1], s[0:1], s[36:37]
	s_or_b64 exec, exec, s[34:35]
	v_and_b32_e32 v2, 0xffff, v2
	s_and_saveexec_b64 s[34:35], s[0:1]
	s_cbranch_execnz .LBB247_36
	s_branch .LBB247_37
.LBB247_71:                             ;   in Loop: Header=BB247_9 Depth=1
	v_cmp_eq_u16_e64 s[0:1], s43, v2
	s_mov_b64 s[34:35], -1
                                        ; implicit-def: $sgpr45
	s_and_saveexec_b64 s[38:39], s[0:1]
; %bb.72:                               ;   in Loop: Header=BB247_9 Depth=1
	s_mov_b32 s45, 0x7fc02000
	s_xor_b64 s[34:35], exec, -1
; %bb.73:                               ;   in Loop: Header=BB247_9 Depth=1
	s_or_b64 exec, exec, s[38:39]
	s_and_b64 s[34:35], s[34:35], exec
	s_or_saveexec_b64 s[36:37], s[36:37]
	v_mov_b32_e32 v11, s45
	s_xor_b64 exec, exec, s[36:37]
	s_cbranch_execz .LBB247_39
.LBB247_74:                             ;   in Loop: Header=BB247_9 Depth=1
	v_cmp_ne_u16_e64 s[0:1], 0, v2
	s_andn2_b64 s[34:35], s[34:35], exec
	s_and_b64 s[0:1], s[0:1], exec
	v_mov_b32_e32 v11, 0
	s_or_b64 s[34:35], s[34:35], s[0:1]
	s_or_b64 exec, exec, s[36:37]
	s_and_saveexec_b64 s[36:37], s[34:35]
	s_cbranch_execnz .LBB247_40
	s_branch .LBB247_41
.LBB247_75:
	s_or_b64 exec, exec, s[14:15]
.LBB247_76:
	s_or_b64 exec, exec, s[30:31]
	v_xor_b32_e32 v3, 32, v13
	v_cmp_lt_i32_e32 vcc, v3, v2
	v_xor_b32_e32 v6, 16, v13
	v_max_f32_e32 v5, v14, v14
	v_cndmask_b32_e32 v3, v13, v3, vcc
	v_lshlrev_b32_e32 v3, 2, v3
	ds_bpermute_b32 v4, v3, v14
	v_cmp_lt_i32_e32 vcc, v6, v2
	v_xor_b32_e32 v7, 8, v13
	v_xor_b32_e32 v8, 4, v13
	v_and_b32_e32 v9, 63, v0
	s_waitcnt lgkmcnt(0)
	v_max_f32_e32 v4, v4, v4
	v_max_f32_e32 v5, v5, v4
	v_cndmask_b32_e32 v4, v13, v6, vcc
	v_lshlrev_b32_e32 v4, 2, v4
	ds_bpermute_b32 v6, v4, v5
	v_cmp_lt_i32_e32 vcc, v7, v2
	s_waitcnt lgkmcnt(0)
	v_max_f32_e32 v6, v6, v6
	v_max_f32_e32 v5, v5, v6
	v_cndmask_b32_e32 v6, v13, v7, vcc
	v_lshlrev_b32_e32 v7, 2, v6
	ds_bpermute_b32 v6, v7, v5
	v_cmp_lt_i32_e32 vcc, v8, v2
	s_waitcnt lgkmcnt(0)
	v_max_f32_e32 v6, v6, v6
	v_max_f32_e32 v6, v5, v6
	v_cndmask_b32_e32 v5, v13, v8, vcc
	v_lshlrev_b32_e32 v8, 2, v5
	ds_bpermute_b32 v10, v8, v6
	v_cmp_eq_u32_e32 vcc, 0, v9
	v_lshlrev_b32_e32 v5, 2, v1
	s_and_saveexec_b64 s[0:1], vcc
	s_cbranch_execz .LBB247_78
; %bb.77:
	s_waitcnt lgkmcnt(0)
	v_max_f32_e32 v10, v10, v10
	v_max_f32_e32 v6, v6, v6
	;; [unrolled: 1-line block ×3, first 2 shown]
	ds_write_b32 v5, v6 offset:64
.LBB247_78:
	s_or_b64 exec, exec, s[0:1]
	v_cmp_gt_u32_e64 s[0:1], 2, v9
	s_waitcnt lgkmcnt(0)
	v_mov_b32_e32 v10, 0xff7fffff
	v_lshlrev_b32_e32 v6, 2, v9
	s_barrier
	s_and_saveexec_b64 s[2:3], s[0:1]
	s_cbranch_execz .LBB247_80
; %bb.79:
	ds_read_b32 v10, v6 offset:64
.LBB247_80:
	s_or_b64 exec, exec, s[2:3]
	v_xor_b32_e32 v11, 1, v13
	v_cmp_lt_i32_e64 s[2:3], v11, v2
	v_lshlrev_b32_e32 v14, 2, v13
	s_nop 0
	v_cndmask_b32_e64 v11, v13, v11, s[2:3]
	v_lshlrev_b32_e32 v16, 2, v11
	s_waitcnt lgkmcnt(0)
	ds_bpermute_b32 v11, v16, v10
	v_max_f32_e32 v10, v10, v10
	s_lshl_b32 s2, s33, 4
	s_min_i32 s30, s2, s17
	v_cmp_gt_i32_e64 s[2:3], s30, v0
	s_waitcnt lgkmcnt(0)
	v_max_f32_e32 v11, v11, v11
	v_max_f32_e32 v11, v10, v11
	v_and_b32_e32 v10, 0xffffff00, v14
	ds_bpermute_b32 v14, v10, v11
	v_mov_b32_e32 v11, 0
	s_and_saveexec_b64 s[14:15], s[2:3]
	s_cbranch_execz .LBB247_84
; %bb.81:
	v_mov_b32_e32 v11, 0x50
	v_lshl_add_u32 v15, v0, 2, v11
	s_mov_b64 s[28:29], 0
	v_mov_b32_e32 v11, 0
	v_mov_b32_e32 v17, v0
.LBB247_82:                             ; =>This Inner Loop Header: Depth=1
	ds_read_b32 v18, v15
	v_add_u32_e32 v17, 0x80, v17
	v_cmp_le_i32_e64 s[8:9], s30, v17
	s_or_b64 s[28:29], s[8:9], s[28:29]
	s_waitcnt lgkmcnt(0)
	v_sub_f32_e32 v18, v18, v14
	v_mul_f32_e32 v18, 0x3fb8aa3b, v18
	v_exp_f32_e32 v18, v18
	ds_write_b32 v15, v18
	v_add_f32_e32 v11, v11, v18
	v_add_u32_e32 v15, 0x200, v15
	s_andn2_b64 exec, exec, s[28:29]
	s_cbranch_execnz .LBB247_82
; %bb.83:
	s_or_b64 exec, exec, s[28:29]
.LBB247_84:
	s_or_b64 exec, exec, s[14:15]
	ds_bpermute_b32 v3, v3, v11
	s_waitcnt lgkmcnt(0)
	v_add_f32_e32 v3, v11, v3
	ds_bpermute_b32 v4, v4, v3
	s_waitcnt lgkmcnt(0)
	v_add_f32_e32 v3, v3, v4
	ds_bpermute_b32 v4, v7, v3
	v_xor_b32_e32 v7, 2, v13
	v_cmp_lt_i32_e64 s[8:9], v7, v2
	s_waitcnt lgkmcnt(0)
	v_add_f32_e32 v3, v3, v4
	ds_bpermute_b32 v4, v8, v3
	v_cndmask_b32_e64 v2, v13, v7, s[8:9]
	v_lshlrev_b32_e32 v2, 2, v2
	s_waitcnt lgkmcnt(0)
	v_add_f32_e32 v3, v3, v4
	ds_bpermute_b32 v2, v2, v3
	s_waitcnt lgkmcnt(0)
	v_add_f32_e32 v2, v3, v2
	ds_bpermute_b32 v3, v16, v2
	s_waitcnt lgkmcnt(0)
	v_add_f32_e32 v2, v2, v3
	s_and_saveexec_b64 s[8:9], vcc
	s_cbranch_execz .LBB247_86
; %bb.85:
	ds_write_b32 v5, v2 offset:72
.LBB247_86:
	s_or_b64 exec, exec, s[8:9]
	s_waitcnt lgkmcnt(0)
	s_barrier
	s_and_saveexec_b64 s[8:9], s[0:1]
	s_cbranch_execz .LBB247_88
; %bb.87:
	ds_read_b32 v2, v6 offset:72
.LBB247_88:
	s_or_b64 exec, exec, s[8:9]
	s_waitcnt lgkmcnt(0)
	ds_bpermute_b32 v3, v16, v2
	s_waitcnt lgkmcnt(0)
	v_add_f32_e32 v2, v2, v3
	ds_bpermute_b32 v2, v10, v2
	s_and_saveexec_b64 s[0:1], s[2:3]
	s_cbranch_execz .LBB247_101
; %bb.89:
	s_waitcnt lgkmcnt(0)
	v_add_f32_e32 v2, 0x358637bd, v2
	v_div_scale_f32 v3, s[2:3], v2, v2, 1.0
	v_rcp_f32_e32 v4, v3
	v_div_scale_f32 v5, vcc, 1.0, v2, 1.0
	s_movk_i32 s2, 0x7f
	v_fma_f32 v6, -v3, v4, 1.0
	v_fmac_f32_e32 v4, v6, v4
	v_mul_f32_e32 v6, v5, v4
	v_fma_f32 v7, -v3, v6, v5
	v_fmac_f32_e32 v6, v7, v4
	v_fma_f32 v3, -v3, v6, v5
	v_div_fmas_f32 v3, v3, v4, v6
	v_xad_u32 v4, v0, -1, s30
	v_div_fixup_f32 v2, v3, v2, 1.0
	v_cmp_lt_u32_e32 vcc, s2, v4
	s_mov_b64 s[8:9], -1
	v_mov_b32_e32 v3, v0
	s_and_saveexec_b64 s[2:3], vcc
	s_cbranch_execz .LBB247_98
; %bb.90:
	v_lshrrev_b32_e32 v4, 7, v4
	v_add_u32_e32 v6, -1, v4
	v_lshrrev_b32_e32 v5, 1, v6
	v_mov_b32_e32 v3, v2
	v_add_u32_e32 v5, 1, v5
	v_cmp_lt_u32_e32 vcc, 13, v6
	v_mov_b32_e32 v8, 0
	s_and_saveexec_b64 s[8:9], vcc
	s_cbranch_execz .LBB247_94
; %bb.91:
	v_mov_b32_e32 v7, 0x50
	v_and_b32_e32 v6, -8, v5
	v_lshl_add_u32 v7, v0, 2, v7
	s_mov_b32 s28, 0
	s_mov_b64 s[14:15], 0
.LBB247_92:                             ; =>This Inner Loop Header: Depth=1
	ds_read2st64_b32 v[10:11], v7 offset1:2
	ds_read2st64_b32 v[14:15], v7 offset0:4 offset1:6
	ds_read2st64_b32 v[18:19], v7 offset0:8 offset1:10
	;; [unrolled: 1-line block ×3, first 2 shown]
	v_add_u32_e32 v6, -8, v6
	s_waitcnt lgkmcnt(3)
	v_pk_mul_f32 v[10:11], v[2:3], v[10:11]
	s_waitcnt lgkmcnt(2)
	v_pk_mul_f32 v[14:15], v[2:3], v[14:15]
	ds_write2st64_b32 v7, v10, v11 offset1:2
	ds_write2st64_b32 v7, v14, v15 offset0:4 offset1:6
	ds_read2st64_b32 v[14:15], v7 offset0:16 offset1:18
	s_waitcnt lgkmcnt(4)
	v_pk_mul_f32 v[10:11], v[2:3], v[18:19]
	ds_write2st64_b32 v7, v10, v11 offset0:8 offset1:10
	s_waitcnt lgkmcnt(4)
	v_pk_mul_f32 v[10:11], v[2:3], v[20:21]
	ds_write2st64_b32 v7, v10, v11 offset0:12 offset1:14
	ds_read2st64_b32 v[10:11], v7 offset0:20 offset1:22
	s_waitcnt lgkmcnt(3)
	v_pk_mul_f32 v[14:15], v[2:3], v[14:15]
	ds_read2st64_b32 v[18:19], v7 offset0:24 offset1:26
	ds_write2st64_b32 v7, v14, v15 offset0:16 offset1:18
	ds_read2st64_b32 v[14:15], v7 offset0:28 offset1:30
	s_waitcnt lgkmcnt(3)
	v_pk_mul_f32 v[10:11], v[2:3], v[10:11]
	ds_write2st64_b32 v7, v10, v11 offset0:20 offset1:22
	s_waitcnt lgkmcnt(3)
	v_pk_mul_f32 v[10:11], v[2:3], v[18:19]
	ds_write2st64_b32 v7, v10, v11 offset0:24 offset1:26
	s_waitcnt lgkmcnt(2)
	v_pk_mul_f32 v[10:11], v[2:3], v[14:15]
	s_add_i32 s28, s28, 16
	v_cmp_eq_u32_e32 vcc, 0, v6
	ds_write2st64_b32 v7, v10, v11 offset0:28 offset1:30
	v_add_u32_e32 v7, 0x2000, v7
	s_or_b64 s[14:15], vcc, s[14:15]
	v_mov_b32_e32 v8, s28
	s_andn2_b64 exec, exec, s[14:15]
	s_cbranch_execnz .LBB247_92
; %bb.93:
	s_or_b64 exec, exec, s[14:15]
.LBB247_94:
	s_or_b64 exec, exec, s[8:9]
	v_and_b32_e32 v5, 7, v5
	v_cmp_ne_u32_e32 vcc, 0, v5
	s_and_saveexec_b64 s[8:9], vcc
	s_cbranch_execz .LBB247_97
; %bb.95:
	v_lshlrev_b32_e32 v6, 9, v8
	v_lshlrev_b32_e32 v7, 2, v0
	s_movk_i32 s14, 0x50
	v_add3_u32 v6, v6, v7, s14
	s_mov_b64 s[14:15], 0
.LBB247_96:                             ; =>This Inner Loop Header: Depth=1
	ds_read2st64_b32 v[10:11], v6 offset1:2
	v_add_u32_e32 v5, -1, v5
	v_cmp_eq_u32_e32 vcc, 0, v5
	s_or_b64 s[14:15], vcc, s[14:15]
	s_waitcnt lgkmcnt(0)
	v_pk_mul_f32 v[10:11], v[2:3], v[10:11]
	ds_write2st64_b32 v6, v10, v11 offset1:2
	v_add_u32_e32 v6, 0x400, v6
	s_andn2_b64 exec, exec, s[14:15]
	s_cbranch_execnz .LBB247_96
.LBB247_97:
	s_or_b64 exec, exec, s[8:9]
	v_add_u32_e32 v4, 1, v4
	v_and_b32_e32 v5, 0x3fffffe, v4
	v_cmp_ne_u32_e32 vcc, v4, v5
	v_lshl_add_u32 v3, v5, 7, v0
	s_orn2_b64 s[8:9], vcc, exec
.LBB247_98:
	s_or_b64 exec, exec, s[2:3]
	s_and_b64 exec, exec, s[8:9]
	s_cbranch_execz .LBB247_101
; %bb.99:
	v_mov_b32_e32 v4, 0x50
	v_lshl_add_u32 v4, v3, 2, v4
	s_mov_b64 s[2:3], 0
.LBB247_100:                            ; =>This Inner Loop Header: Depth=1
	ds_read_b32 v5, v4
	v_add_u32_e32 v3, 0x80, v3
	v_cmp_le_i32_e32 vcc, s30, v3
	s_or_b64 s[2:3], vcc, s[2:3]
	s_waitcnt lgkmcnt(0)
	v_mul_f32_e32 v5, v2, v5
	ds_write_b32 v4, v5
	v_add_u32_e32 v4, 0x200, v4
	s_andn2_b64 exec, exec, s[2:3]
	s_cbranch_execnz .LBB247_100
.LBB247_101:
	s_or_b64 exec, exec, s[0:1]
	v_mov_b32_e32 v19, 0
	s_waitcnt lgkmcnt(0)
	s_barrier
	s_and_saveexec_b64 s[0:1], s[6:7]
	s_cbranch_execz .LBB247_171
; %bb.102:
	s_ashr_i32 s3, s12, 31
	v_lshlrev_b32_e32 v2, 3, v0
	s_add_u32 s2, s26, s12
	v_and_b32_e32 v6, 8, v2
	s_addc_u32 s3, s27, s3
	v_and_b32_e32 v2, 0x1f8, v2
	v_mov_b32_e32 v3, 0
	v_lshl_add_u64 v[4:5], s[2:3], 0, v[2:3]
	v_and_b32_e32 v2, 1, v0
	s_add_i32 s15, s33, -1
	v_lshlrev_b32_e32 v2, 5, v2
	s_lshl_b64 s[2:3], s[24:25], 2
	v_lshl_or_b32 v2, v1, 6, v2
	s_add_u32 s2, s22, s2
	v_add_u32_e32 v18, 0x50, v2
	v_and_b32_e32 v2, 60, v12
	s_addc_u32 s3, s23, s3
	s_mov_b32 s14, s13
	s_mov_b32 s26, s17
	v_lshl_or_b32 v17, v1, 4, v6
	v_lshl_add_u64 v[6:7], s[2:3], 0, v[2:3]
	s_mov_b64 s[2:3], 0
	s_movk_i32 s22, 0x7f
	s_movk_i32 s23, 0x80
	s_mov_b32 s24, 0x8000
	s_movk_i32 s25, 0x380
	s_mov_b32 s27, 0x3020706
	s_mov_b32 s28, 0x1000504
	;; [unrolled: 1-line block ×3, first 2 shown]
	v_mov_b32_e32 v20, 0x1c00
	v_mov_b32_e32 v19, 0
	s_branch .LBB247_104
.LBB247_103:                            ;   in Loop: Header=BB247_104 Depth=1
	s_or_b64 exec, exec, s[6:7]
	v_and_b32_e32 v12, 0xffff, v21
	v_and_b32_e32 v13, 0xffff, v23
	v_lshl_or_b32 v12, v22, 16, v12
	v_lshl_or_b32 v13, v24, 16, v13
	v_and_b32_e32 v14, 0xffff, v25
	v_and_b32_e32 v15, 0xffff, v27
	;;#ASMSTART
	v_pk_mul_f16 v11, v12, v11;

	;;#ASMEND
	;;#ASMSTART
	v_pk_mul_f16 v2, v13, v2;

	;;#ASMEND
	v_lshl_or_b32 v14, v26, 16, v14
	v_lshl_or_b32 v15, v28, 16, v15
	;;#ASMSTART
	v_pk_mul_f16 v10, v14, v10;

	;;#ASMEND
	;;#ASMSTART
	v_pk_mul_f16 v8, v15, v8;

	;;#ASMEND
	;;#ASMSTART
	v_pk_add_f16 v2, v11, v2;

	;;#ASMEND
	v_add_u32_e32 v1, 2, v1
	;;#ASMSTART
	v_pk_add_f16 v2, v2, v10;

	;;#ASMEND
	v_cmp_le_i32_e32 vcc, s33, v1
	;;#ASMSTART
	v_pk_add_f16 v2, v2, v8;

	;;#ASMEND
	v_add_u32_e32 v17, 32, v17
	v_lshrrev_b32_e32 v8, 16, v2
	v_and_b32_e32 v2, 0xffff, v2
	;;#ASMSTART
	v_cvt_f32_f16 v2, v2;
	;;#ASMEND
	;;#ASMSTART
	v_cvt_f32_f16 v8, v8;
	;;#ASMEND
	v_add_u32_e32 v18, 0x80, v18
	v_add_f32_e32 v2, v2, v8
	v_add_f32_e32 v19, v19, v2
	s_or_b64 s[2:3], vcc, s[2:3]
	v_lshl_add_u64 v[6:7], v[6:7], 0, 8
	s_andn2_b64 exec, exec, s[2:3]
	s_cbranch_execz .LBB247_170
.LBB247_104:                            ; =>This Inner Loop Header: Depth=1
	ds_read2_b64 v[10:13], v18 offset1:1
	ds_read2_b64 v[26:29], v18 offset0:2 offset1:3
                                        ; implicit-def: $sgpr30
	s_waitcnt lgkmcnt(1)
	;;#ASMSTART
	v_cvt_f16_f32 v21, v10;

	;;#ASMEND
	;;#ASMSTART
	v_cvt_f16_f32 v22, v11;

	;;#ASMEND
	;; [unrolled: 4-line block ×4, first 2 shown]
	s_waitcnt lgkmcnt(0)
	;;#ASMSTART
	v_cvt_f16_f32 v25, v26;

	;;#ASMEND
	;;#ASMSTART
	v_cvt_f16_f32 v26, v27;

	;;#ASMEND
	;;#ASMSTART
	v_cvt_f16_f32 v27, v28;

	;;#ASMEND
	;;#ASMSTART
	v_cvt_f16_f32 v28, v29;

	;;#ASMEND
	global_load_dword v2, v[6:7], off
	s_waitcnt vmcnt(0)
	v_mad_i64_i32 v[12:13], s[6:7], v2, s14, v[4:5]
	global_load_dwordx2 v[10:11], v[12:13], off
	global_load_dword v8, v3, s[10:11]
	s_mov_b64 s[6:7], 0
	s_waitcnt vmcnt(1)
	v_cmp_gt_i16_sdwa s[8:9], v10, s22 src0_sel:BYTE_0 src1_sel:DWORD
	s_and_saveexec_b64 s[12:13], s[8:9]
	s_xor_b64 s[8:9], exec, s[12:13]
	s_cbranch_execnz .LBB247_138
; %bb.105:                              ;   in Loop: Header=BB247_104 Depth=1
	s_or_saveexec_b64 s[8:9], s[8:9]
	v_mov_b32_e32 v12, s30
	s_xor_b64 exec, exec, s[8:9]
	s_cbranch_execnz .LBB247_141
.LBB247_106:                            ;   in Loop: Header=BB247_104 Depth=1
	s_or_b64 exec, exec, s[8:9]
	s_and_saveexec_b64 s[8:9], s[6:7]
	s_cbranch_execz .LBB247_108
.LBB247_107:                            ;   in Loop: Header=BB247_104 Depth=1
	v_and_b32_e32 v2, 7, v10
	v_ffbh_u32_e32 v2, v2
	v_bfe_u32 v12, v10, 3, 4
	v_min_u32_e32 v2, 32, v2
	v_subrev_u32_e32 v13, 28, v2
	v_sub_u32_e32 v2, 29, v2
	v_cmp_eq_u32_e32 vcc, 0, v12
	s_nop 1
	v_cndmask_b32_e32 v2, v12, v2, vcc
	v_cndmask_b32_e32 v12, 0, v13, vcc
	v_lshlrev_b64 v[12:13], v12, v[10:11]
	v_lshlrev_b32_e32 v13, 8, v10
	v_lshl_add_u32 v2, v2, 10, v20
	v_lshlrev_b32_e32 v12, 7, v12
	v_and_or_b32 v2, v13, s24, v2
	v_and_or_b32 v2, v12, s25, v2
	v_cvt_f32_f16_e32 v12, v2
.LBB247_108:                            ;   in Loop: Header=BB247_104 Depth=1
	s_or_b64 exec, exec, s[8:9]
	v_lshrrev_b16_e32 v2, 8, v10
	v_cmp_lt_i16_e32 vcc, s22, v2
	s_mov_b64 s[6:7], 0
                                        ; implicit-def: $sgpr30
	s_and_saveexec_b64 s[8:9], vcc
	s_xor_b64 s[8:9], exec, s[8:9]
	s_cbranch_execnz .LBB247_142
; %bb.109:                              ;   in Loop: Header=BB247_104 Depth=1
	s_or_saveexec_b64 s[8:9], s[8:9]
	v_mov_b32_e32 v14, s30
	s_xor_b64 exec, exec, s[8:9]
	s_cbranch_execnz .LBB247_145
.LBB247_110:                            ;   in Loop: Header=BB247_104 Depth=1
	s_or_b64 exec, exec, s[8:9]
	s_and_saveexec_b64 s[8:9], s[6:7]
	s_cbranch_execz .LBB247_112
.LBB247_111:                            ;   in Loop: Header=BB247_104 Depth=1
	v_and_b32_e32 v13, 7, v2
	v_ffbh_u32_e32 v14, v13
	v_min_u32_e32 v30, 32, v14
	v_subrev_u32_e32 v14, 28, v30
	v_bfe_u32 v29, v2, 3, 4
	v_lshlrev_b64 v[14:15], v14, v[2:3]
	v_sub_u32_e32 v15, 29, v30
	v_cmp_eq_u32_e32 vcc, 0, v29
	v_and_b32_e32 v14, 7, v14
	v_lshlrev_b32_e32 v2, 8, v2
	v_cndmask_b32_e32 v15, v29, v15, vcc
	v_cndmask_b32_e32 v13, v13, v14, vcc
	v_lshl_add_u32 v14, v15, 10, v20
	v_and_or_b32 v2, v2, s24, v14
	v_lshl_or_b32 v2, v13, 7, v2
	v_cvt_f32_f16_e32 v14, v2
.LBB247_112:                            ;   in Loop: Header=BB247_104 Depth=1
	s_or_b64 exec, exec, s[8:9]
	v_lshrrev_b32_e32 v2, 16, v10
	v_cmp_gt_i16_sdwa s[8:9], v2, s22 src0_sel:BYTE_0 src1_sel:DWORD
	s_mov_b64 s[6:7], 0
                                        ; implicit-def: $sgpr30
	s_and_saveexec_b64 s[12:13], s[8:9]
	s_xor_b64 s[8:9], exec, s[12:13]
	s_cbranch_execnz .LBB247_146
; %bb.113:                              ;   in Loop: Header=BB247_104 Depth=1
	s_or_saveexec_b64 s[8:9], s[8:9]
	v_mov_b32_e32 v13, s30
	s_xor_b64 exec, exec, s[8:9]
	s_cbranch_execnz .LBB247_149
.LBB247_114:                            ;   in Loop: Header=BB247_104 Depth=1
	s_or_b64 exec, exec, s[8:9]
	s_and_saveexec_b64 s[8:9], s[6:7]
	s_cbranch_execz .LBB247_116
.LBB247_115:                            ;   in Loop: Header=BB247_104 Depth=1
	v_bfe_u32 v13, v10, 16, 3
	v_ffbh_u32_e32 v29, v13
	v_bfe_u32 v15, v10, 19, 4
	v_min_u32_e32 v29, 32, v29
	v_subrev_u32_e32 v30, 28, v29
	v_sub_u32_e32 v29, 29, v29
	v_cmp_eq_u32_e32 vcc, 0, v15
	v_lshlrev_b64 v[30:31], v30, v[2:3]
	v_and_b32_e32 v30, 7, v30
	v_cndmask_b32_e32 v15, v15, v29, vcc
	v_lshlrev_b32_e32 v2, 8, v2
	v_lshl_add_u32 v15, v15, 10, v20
	v_cndmask_b32_e32 v13, v13, v30, vcc
	v_and_or_b32 v2, v2, s24, v15
	v_lshl_or_b32 v2, v13, 7, v2
	v_cvt_f32_f16_e32 v13, v2
.LBB247_116:                            ;   in Loop: Header=BB247_104 Depth=1
	s_or_b64 exec, exec, s[8:9]
	v_lshrrev_b32_e32 v2, 24, v10
	v_cmp_lt_i16_e32 vcc, s22, v2
	s_mov_b64 s[6:7], 0
                                        ; implicit-def: $sgpr30
	s_and_saveexec_b64 s[8:9], vcc
	s_xor_b64 s[8:9], exec, s[8:9]
	s_cbranch_execnz .LBB247_150
; %bb.117:                              ;   in Loop: Header=BB247_104 Depth=1
	s_or_saveexec_b64 s[8:9], s[8:9]
	v_mov_b32_e32 v15, s30
	s_xor_b64 exec, exec, s[8:9]
	s_cbranch_execnz .LBB247_153
.LBB247_118:                            ;   in Loop: Header=BB247_104 Depth=1
	s_or_b64 exec, exec, s[8:9]
	s_and_saveexec_b64 s[8:9], s[6:7]
	s_cbranch_execz .LBB247_120
.LBB247_119:                            ;   in Loop: Header=BB247_104 Depth=1
	v_bfe_u32 v15, v10, 24, 3
	v_ffbh_u32_e32 v29, v15
	v_bfe_u32 v10, v10, 27, 4
	v_min_u32_e32 v29, 32, v29
	v_subrev_u32_e32 v30, 28, v29
	v_sub_u32_e32 v29, 29, v29
	v_cmp_eq_u32_e32 vcc, 0, v10
	v_lshlrev_b64 v[30:31], v30, v[2:3]
	v_and_b32_e32 v30, 7, v30
	v_cndmask_b32_e32 v10, v10, v29, vcc
	v_lshlrev_b32_e32 v2, 8, v2
	v_lshl_add_u32 v10, v10, 10, v20
	v_cndmask_b32_e32 v15, v15, v30, vcc
	v_and_or_b32 v2, v2, s24, v10
	v_lshl_or_b32 v2, v15, 7, v2
	v_cvt_f32_f16_e32 v15, v2
.LBB247_120:                            ;   in Loop: Header=BB247_104 Depth=1
	s_or_b64 exec, exec, s[8:9]
	v_cmp_gt_i16_sdwa s[8:9], v11, s22 src0_sel:BYTE_0 src1_sel:DWORD
	s_mov_b64 s[6:7], 0
                                        ; implicit-def: $sgpr30
	s_and_saveexec_b64 s[12:13], s[8:9]
	s_xor_b64 s[8:9], exec, s[12:13]
	s_cbranch_execnz .LBB247_154
; %bb.121:                              ;   in Loop: Header=BB247_104 Depth=1
	s_or_saveexec_b64 s[8:9], s[8:9]
	v_mov_b32_e32 v10, s30
	s_xor_b64 exec, exec, s[8:9]
	s_cbranch_execnz .LBB247_157
.LBB247_122:                            ;   in Loop: Header=BB247_104 Depth=1
	s_or_b64 exec, exec, s[8:9]
	v_mov_b32_e32 v2, v11
	s_and_saveexec_b64 s[8:9], s[6:7]
	s_cbranch_execz .LBB247_124
.LBB247_123:                            ;   in Loop: Header=BB247_104 Depth=1
	v_and_b32_e32 v10, 7, v11
	v_ffbh_u32_e32 v10, v10
	v_bfe_u32 v29, v11, 3, 4
	v_min_u32_e32 v10, 32, v10
	v_subrev_u32_e32 v30, 28, v10
	v_sub_u32_e32 v10, 29, v10
	v_cmp_eq_u32_e32 vcc, 0, v29
	s_nop 1
	v_cndmask_b32_e32 v10, v29, v10, vcc
	v_cndmask_b32_e32 v29, 0, v30, vcc
	v_lshlrev_b64 v[30:31], v29, v[2:3]
	v_lshlrev_b32_e32 v29, 7, v30
	v_lshlrev_b32_e32 v30, 8, v11
	v_lshl_add_u32 v10, v10, 10, v20
	v_and_or_b32 v10, v30, s24, v10
	v_and_or_b32 v10, v29, s25, v10
	v_cvt_f32_f16_e32 v10, v10
.LBB247_124:                            ;   in Loop: Header=BB247_104 Depth=1
	s_or_b64 exec, exec, s[8:9]
	v_lshrrev_b16_e32 v2, 8, v2
	v_cmp_lt_i16_e32 vcc, s22, v2
	s_mov_b64 s[6:7], 0
                                        ; implicit-def: $sgpr30
	s_and_saveexec_b64 s[8:9], vcc
	s_xor_b64 s[8:9], exec, s[8:9]
	s_cbranch_execnz .LBB247_158
; %bb.125:                              ;   in Loop: Header=BB247_104 Depth=1
	s_or_saveexec_b64 s[8:9], s[8:9]
	v_mov_b32_e32 v29, s30
	s_xor_b64 exec, exec, s[8:9]
	s_cbranch_execnz .LBB247_161
.LBB247_126:                            ;   in Loop: Header=BB247_104 Depth=1
	s_or_b64 exec, exec, s[8:9]
	s_and_saveexec_b64 s[8:9], s[6:7]
	s_cbranch_execz .LBB247_128
.LBB247_127:                            ;   in Loop: Header=BB247_104 Depth=1
	v_and_b32_e32 v29, 7, v2
	v_ffbh_u32_e32 v30, v29
	v_min_u32_e32 v33, 32, v30
	v_subrev_u32_e32 v30, 28, v33
	v_bfe_u32 v32, v2, 3, 4
	v_lshlrev_b64 v[30:31], v30, v[2:3]
	v_sub_u32_e32 v31, 29, v33
	v_cmp_eq_u32_e32 vcc, 0, v32
	v_and_b32_e32 v30, 7, v30
	v_lshlrev_b32_e32 v2, 8, v2
	v_cndmask_b32_e32 v31, v32, v31, vcc
	v_cndmask_b32_e32 v29, v29, v30, vcc
	v_lshl_add_u32 v30, v31, 10, v20
	v_and_or_b32 v2, v2, s24, v30
	v_lshl_or_b32 v2, v29, 7, v2
	v_cvt_f32_f16_e32 v29, v2
.LBB247_128:                            ;   in Loop: Header=BB247_104 Depth=1
	s_or_b64 exec, exec, s[8:9]
	v_lshrrev_b32_e32 v2, 16, v11
	v_cmp_gt_i16_sdwa s[8:9], v2, s22 src0_sel:BYTE_0 src1_sel:DWORD
	s_mov_b64 s[6:7], 0
                                        ; implicit-def: $sgpr30
	s_and_saveexec_b64 s[12:13], s[8:9]
	s_xor_b64 s[8:9], exec, s[12:13]
	s_cbranch_execnz .LBB247_162
; %bb.129:                              ;   in Loop: Header=BB247_104 Depth=1
	s_or_saveexec_b64 s[8:9], s[8:9]
	v_mov_b32_e32 v30, s30
	s_xor_b64 exec, exec, s[8:9]
	s_cbranch_execnz .LBB247_165
.LBB247_130:                            ;   in Loop: Header=BB247_104 Depth=1
	s_or_b64 exec, exec, s[8:9]
	s_and_saveexec_b64 s[8:9], s[6:7]
	s_cbranch_execz .LBB247_132
.LBB247_131:                            ;   in Loop: Header=BB247_104 Depth=1
	v_bfe_u32 v32, v11, 16, 3
	v_ffbh_u32_e32 v30, v32
	v_min_u32_e32 v34, 32, v30
	v_subrev_u32_e32 v30, 28, v34
	v_bfe_u32 v33, v11, 19, 4
	v_lshlrev_b64 v[30:31], v30, v[2:3]
	v_sub_u32_e32 v31, 29, v34
	v_cmp_eq_u32_e32 vcc, 0, v33
	v_and_b32_e32 v30, 7, v30
	v_lshlrev_b32_e32 v2, 8, v2
	v_cndmask_b32_e32 v31, v33, v31, vcc
	v_lshl_add_u32 v31, v31, 10, v20
	v_cndmask_b32_e32 v30, v32, v30, vcc
	v_and_or_b32 v2, v2, s24, v31
	v_lshl_or_b32 v2, v30, 7, v2
	v_cvt_f32_f16_e32 v30, v2
.LBB247_132:                            ;   in Loop: Header=BB247_104 Depth=1
	s_or_b64 exec, exec, s[8:9]
	v_lshrrev_b32_e32 v2, 24, v11
	v_cmp_lt_i16_e32 vcc, s22, v2
	s_mov_b64 s[6:7], 0
                                        ; implicit-def: $sgpr30
	s_and_saveexec_b64 s[8:9], vcc
	s_xor_b64 s[8:9], exec, s[8:9]
	s_cbranch_execnz .LBB247_166
; %bb.133:                              ;   in Loop: Header=BB247_104 Depth=1
	s_or_saveexec_b64 s[8:9], s[8:9]
	v_mov_b32_e32 v31, s30
	s_xor_b64 exec, exec, s[8:9]
	s_cbranch_execnz .LBB247_169
.LBB247_134:                            ;   in Loop: Header=BB247_104 Depth=1
	s_or_b64 exec, exec, s[8:9]
	s_and_saveexec_b64 s[8:9], s[6:7]
	s_cbranch_execz .LBB247_136
.LBB247_135:                            ;   in Loop: Header=BB247_104 Depth=1
	v_bfe_u32 v31, v11, 24, 3
	v_ffbh_u32_e32 v32, v31
	v_min_u32_e32 v34, 32, v32
	v_subrev_u32_e32 v32, 28, v34
	v_bfe_u32 v11, v11, 27, 4
	v_lshlrev_b64 v[32:33], v32, v[2:3]
	v_sub_u32_e32 v33, 29, v34
	v_cmp_eq_u32_e32 vcc, 0, v11
	v_and_b32_e32 v32, 7, v32
	v_lshlrev_b32_e32 v2, 8, v2
	v_cndmask_b32_e32 v11, v11, v33, vcc
	v_lshl_add_u32 v11, v11, 10, v20
	v_cndmask_b32_e32 v31, v31, v32, vcc
	v_and_or_b32 v2, v2, s24, v11
	v_lshl_or_b32 v2, v31, 7, v2
	v_cvt_f32_f16_e32 v31, v2
.LBB247_136:                            ;   in Loop: Header=BB247_104 Depth=1
	s_or_b64 exec, exec, s[8:9]
	s_waitcnt vmcnt(0)
	v_pk_mul_f32 v[14:15], v[8:9], v[14:15] op_sel_hi:[0,1]
	v_pk_mul_f32 v[12:13], v[8:9], v[12:13] op_sel_hi:[0,1]
	v_cvt_f16_f32_e32 v2, v15
	v_cvt_f16_f32_e32 v11, v14
	;; [unrolled: 1-line block ×4, first 2 shown]
	v_fma_mixlo_f16 v10, v8, v10, 0
	v_pack_b32_f16 v11, v11, v2
	v_cmp_eq_u32_e32 vcc, s15, v1
	v_pack_b32_f16 v12, v12, v13
	v_perm_b32 v2, v12, v11, s27
	v_perm_b32 v11, v12, v11, s28
	v_fma_mixlo_f16 v12, v8, v29, 0
	v_lshlrev_b32_e32 v12, 16, v12
	v_or_b32_sdwa v10, v12, v10 dst_sel:DWORD dst_unused:UNUSED_PAD src0_sel:DWORD src1_sel:WORD_0
	v_fma_mixlo_f16 v12, v8, v30, 0
	v_fma_mixlo_f16 v8, v8, v31, 0
	v_lshlrev_b32_e32 v8, 16, v8
	v_or_b32_sdwa v8, v8, v12 dst_sel:DWORD dst_unused:UNUSED_PAD src0_sel:DWORD src1_sel:WORD_0
	s_and_saveexec_b64 s[6:7], vcc
	s_cbranch_execz .LBB247_103
; %bb.137:                              ;   in Loop: Header=BB247_104 Depth=1
	v_add_u32_e32 v13, 1, v17
	v_lshrrev_b32_e32 v14, 16, v11
	v_cmp_gt_i32_e32 vcc, s26, v13
	v_lshrrev_b32_e32 v15, 16, v2
	v_lshrrev_b32_e32 v8, 16, v8
	v_cndmask_b32_e32 v13, 0, v14, vcc
	v_cmp_gt_i32_e32 vcc, s17, v17
	v_or_b32_e32 v14, 2, v17
	s_nop 0
	v_cndmask_b32_e32 v11, 0, v11, vcc
	v_perm_b32 v11, v13, v11, s29
	v_or_b32_e32 v13, 3, v17
	v_cmp_gt_i32_e32 vcc, s26, v13
	s_nop 1
	v_cndmask_b32_e32 v13, 0, v15, vcc
	v_cmp_gt_i32_e32 vcc, s17, v14
	v_or_b32_e32 v14, 4, v17
	v_lshrrev_b32_e32 v15, 16, v10
	v_cndmask_b32_e32 v2, 0, v2, vcc
	v_perm_b32 v2, v13, v2, s29
	v_or_b32_e32 v13, 5, v17
	v_cmp_gt_i32_e32 vcc, s26, v13
	s_nop 1
	v_cndmask_b32_e32 v13, 0, v15, vcc
	v_cmp_gt_i32_e32 vcc, s17, v14
	v_or_b32_e32 v14, 6, v17
	s_nop 0
	v_cndmask_b32_e32 v10, 0, v10, vcc
	v_perm_b32 v10, v13, v10, s29
	v_or_b32_e32 v13, 7, v17
	v_cmp_gt_i32_e32 vcc, s26, v13
	s_nop 1
	v_cndmask_b32_e32 v8, 0, v8, vcc
	v_cmp_gt_i32_e32 vcc, s17, v14
	s_nop 1
	v_cndmask_b32_e32 v12, 0, v12, vcc
	v_perm_b32 v8, v8, v12, s29
	s_branch .LBB247_103
.LBB247_138:                            ;   in Loop: Header=BB247_104 Depth=1
	v_cmp_eq_u16_sdwa s[34:35], v10, s23 src0_sel:BYTE_0 src1_sel:DWORD
	s_mov_b64 s[6:7], -1
                                        ; implicit-def: $sgpr30
	s_and_saveexec_b64 s[12:13], s[34:35]
; %bb.139:                              ;   in Loop: Header=BB247_104 Depth=1
	s_mov_b32 s30, 0x7fc02000
	s_xor_b64 s[6:7], exec, -1
; %bb.140:                              ;   in Loop: Header=BB247_104 Depth=1
	s_or_b64 exec, exec, s[12:13]
	s_and_b64 s[6:7], s[6:7], exec
	s_or_saveexec_b64 s[8:9], s[8:9]
	v_mov_b32_e32 v12, s30
	s_xor_b64 exec, exec, s[8:9]
	s_cbranch_execz .LBB247_106
.LBB247_141:                            ;   in Loop: Header=BB247_104 Depth=1
	v_cmp_ne_u16_sdwa s[12:13], v10, v3 src0_sel:BYTE_0 src1_sel:DWORD
	s_andn2_b64 s[6:7], s[6:7], exec
	s_and_b64 s[12:13], s[12:13], exec
	v_mov_b32_e32 v12, 0
	s_or_b64 s[6:7], s[6:7], s[12:13]
	s_or_b64 exec, exec, s[8:9]
	s_and_saveexec_b64 s[8:9], s[6:7]
	s_cbranch_execnz .LBB247_107
	s_branch .LBB247_108
.LBB247_142:                            ;   in Loop: Header=BB247_104 Depth=1
	v_cmp_eq_u16_e32 vcc, s23, v2
	s_mov_b64 s[6:7], -1
                                        ; implicit-def: $sgpr30
	s_and_saveexec_b64 s[12:13], vcc
; %bb.143:                              ;   in Loop: Header=BB247_104 Depth=1
	s_mov_b32 s30, 0x7fc02000
	s_xor_b64 s[6:7], exec, -1
; %bb.144:                              ;   in Loop: Header=BB247_104 Depth=1
	s_or_b64 exec, exec, s[12:13]
	s_and_b64 s[6:7], s[6:7], exec
	s_or_saveexec_b64 s[8:9], s[8:9]
	v_mov_b32_e32 v14, s30
	s_xor_b64 exec, exec, s[8:9]
	s_cbranch_execz .LBB247_110
.LBB247_145:                            ;   in Loop: Header=BB247_104 Depth=1
	v_cmp_ne_u16_e32 vcc, 0, v2
	s_andn2_b64 s[6:7], s[6:7], exec
	s_and_b64 s[12:13], vcc, exec
	v_mov_b32_e32 v14, 0
	s_or_b64 s[6:7], s[6:7], s[12:13]
	s_or_b64 exec, exec, s[8:9]
	s_and_saveexec_b64 s[8:9], s[6:7]
	s_cbranch_execnz .LBB247_111
	s_branch .LBB247_112
.LBB247_146:                            ;   in Loop: Header=BB247_104 Depth=1
	v_cmp_eq_u16_sdwa s[34:35], v2, s23 src0_sel:BYTE_0 src1_sel:DWORD
	s_mov_b64 s[6:7], -1
                                        ; implicit-def: $sgpr30
	s_and_saveexec_b64 s[12:13], s[34:35]
; %bb.147:                              ;   in Loop: Header=BB247_104 Depth=1
	s_mov_b32 s30, 0x7fc02000
	s_xor_b64 s[6:7], exec, -1
; %bb.148:                              ;   in Loop: Header=BB247_104 Depth=1
	s_or_b64 exec, exec, s[12:13]
	s_and_b64 s[6:7], s[6:7], exec
	s_or_saveexec_b64 s[8:9], s[8:9]
	v_mov_b32_e32 v13, s30
	s_xor_b64 exec, exec, s[8:9]
	s_cbranch_execz .LBB247_114
.LBB247_149:                            ;   in Loop: Header=BB247_104 Depth=1
	v_cmp_ne_u16_sdwa s[12:13], v2, v3 src0_sel:BYTE_0 src1_sel:DWORD
	s_andn2_b64 s[6:7], s[6:7], exec
	s_and_b64 s[12:13], s[12:13], exec
	v_mov_b32_e32 v13, 0
	s_or_b64 s[6:7], s[6:7], s[12:13]
	s_or_b64 exec, exec, s[8:9]
	s_and_saveexec_b64 s[8:9], s[6:7]
	s_cbranch_execnz .LBB247_115
	s_branch .LBB247_116
.LBB247_150:                            ;   in Loop: Header=BB247_104 Depth=1
	v_cmp_eq_u16_e32 vcc, s23, v2
	s_mov_b64 s[6:7], -1
                                        ; implicit-def: $sgpr30
	s_and_saveexec_b64 s[12:13], vcc
; %bb.151:                              ;   in Loop: Header=BB247_104 Depth=1
	s_mov_b32 s30, 0x7fc02000
	s_xor_b64 s[6:7], exec, -1
; %bb.152:                              ;   in Loop: Header=BB247_104 Depth=1
	s_or_b64 exec, exec, s[12:13]
	s_and_b64 s[6:7], s[6:7], exec
	s_or_saveexec_b64 s[8:9], s[8:9]
	v_mov_b32_e32 v15, s30
	s_xor_b64 exec, exec, s[8:9]
	s_cbranch_execz .LBB247_118
.LBB247_153:                            ;   in Loop: Header=BB247_104 Depth=1
	v_cmp_ne_u16_e32 vcc, 0, v2
	s_andn2_b64 s[6:7], s[6:7], exec
	s_and_b64 s[12:13], vcc, exec
	v_mov_b32_e32 v15, 0
	s_or_b64 s[6:7], s[6:7], s[12:13]
	s_or_b64 exec, exec, s[8:9]
	s_and_saveexec_b64 s[8:9], s[6:7]
	s_cbranch_execnz .LBB247_119
	s_branch .LBB247_120
.LBB247_154:                            ;   in Loop: Header=BB247_104 Depth=1
	v_cmp_eq_u16_sdwa s[34:35], v11, s23 src0_sel:BYTE_0 src1_sel:DWORD
	s_mov_b64 s[6:7], -1
                                        ; implicit-def: $sgpr30
	s_and_saveexec_b64 s[12:13], s[34:35]
; %bb.155:                              ;   in Loop: Header=BB247_104 Depth=1
	s_mov_b32 s30, 0x7fc02000
	s_xor_b64 s[6:7], exec, -1
; %bb.156:                              ;   in Loop: Header=BB247_104 Depth=1
	s_or_b64 exec, exec, s[12:13]
	s_and_b64 s[6:7], s[6:7], exec
	s_or_saveexec_b64 s[8:9], s[8:9]
	v_mov_b32_e32 v10, s30
	s_xor_b64 exec, exec, s[8:9]
	s_cbranch_execz .LBB247_122
.LBB247_157:                            ;   in Loop: Header=BB247_104 Depth=1
	v_cmp_ne_u16_sdwa s[12:13], v11, v3 src0_sel:BYTE_0 src1_sel:DWORD
	s_andn2_b64 s[6:7], s[6:7], exec
	s_and_b64 s[12:13], s[12:13], exec
	v_mov_b32_e32 v10, 0
	s_or_b64 s[6:7], s[6:7], s[12:13]
	s_or_b64 exec, exec, s[8:9]
	v_mov_b32_e32 v2, v11
	s_and_saveexec_b64 s[8:9], s[6:7]
	s_cbranch_execnz .LBB247_123
	s_branch .LBB247_124
.LBB247_158:                            ;   in Loop: Header=BB247_104 Depth=1
	v_cmp_eq_u16_e32 vcc, s23, v2
	s_mov_b64 s[6:7], -1
                                        ; implicit-def: $sgpr30
	s_and_saveexec_b64 s[12:13], vcc
; %bb.159:                              ;   in Loop: Header=BB247_104 Depth=1
	s_mov_b32 s30, 0x7fc02000
	s_xor_b64 s[6:7], exec, -1
; %bb.160:                              ;   in Loop: Header=BB247_104 Depth=1
	s_or_b64 exec, exec, s[12:13]
	s_and_b64 s[6:7], s[6:7], exec
	s_or_saveexec_b64 s[8:9], s[8:9]
	v_mov_b32_e32 v29, s30
	s_xor_b64 exec, exec, s[8:9]
	s_cbranch_execz .LBB247_126
.LBB247_161:                            ;   in Loop: Header=BB247_104 Depth=1
	v_cmp_ne_u16_e32 vcc, 0, v2
	s_andn2_b64 s[6:7], s[6:7], exec
	s_and_b64 s[12:13], vcc, exec
	v_mov_b32_e32 v29, 0
	s_or_b64 s[6:7], s[6:7], s[12:13]
	s_or_b64 exec, exec, s[8:9]
	s_and_saveexec_b64 s[8:9], s[6:7]
	s_cbranch_execnz .LBB247_127
	s_branch .LBB247_128
.LBB247_162:                            ;   in Loop: Header=BB247_104 Depth=1
	v_cmp_eq_u16_sdwa s[34:35], v2, s23 src0_sel:BYTE_0 src1_sel:DWORD
	s_mov_b64 s[6:7], -1
                                        ; implicit-def: $sgpr30
	s_and_saveexec_b64 s[12:13], s[34:35]
; %bb.163:                              ;   in Loop: Header=BB247_104 Depth=1
	s_mov_b32 s30, 0x7fc02000
	s_xor_b64 s[6:7], exec, -1
; %bb.164:                              ;   in Loop: Header=BB247_104 Depth=1
	s_or_b64 exec, exec, s[12:13]
	s_and_b64 s[6:7], s[6:7], exec
	s_or_saveexec_b64 s[8:9], s[8:9]
	v_mov_b32_e32 v30, s30
	s_xor_b64 exec, exec, s[8:9]
	s_cbranch_execz .LBB247_130
.LBB247_165:                            ;   in Loop: Header=BB247_104 Depth=1
	v_cmp_ne_u16_sdwa s[12:13], v2, v3 src0_sel:BYTE_0 src1_sel:DWORD
	s_andn2_b64 s[6:7], s[6:7], exec
	s_and_b64 s[12:13], s[12:13], exec
	v_mov_b32_e32 v30, 0
	s_or_b64 s[6:7], s[6:7], s[12:13]
	s_or_b64 exec, exec, s[8:9]
	s_and_saveexec_b64 s[8:9], s[6:7]
	s_cbranch_execnz .LBB247_131
	s_branch .LBB247_132
.LBB247_166:                            ;   in Loop: Header=BB247_104 Depth=1
	v_cmp_eq_u16_e32 vcc, s23, v2
	s_mov_b64 s[6:7], -1
                                        ; implicit-def: $sgpr30
	s_and_saveexec_b64 s[12:13], vcc
; %bb.167:                              ;   in Loop: Header=BB247_104 Depth=1
	s_mov_b32 s30, 0x7fc02000
	s_xor_b64 s[6:7], exec, -1
; %bb.168:                              ;   in Loop: Header=BB247_104 Depth=1
	s_or_b64 exec, exec, s[12:13]
	s_and_b64 s[6:7], s[6:7], exec
	s_or_saveexec_b64 s[8:9], s[8:9]
	v_mov_b32_e32 v31, s30
	s_xor_b64 exec, exec, s[8:9]
	s_cbranch_execz .LBB247_134
.LBB247_169:                            ;   in Loop: Header=BB247_104 Depth=1
	v_cmp_ne_u16_e32 vcc, 0, v2
	s_andn2_b64 s[6:7], s[6:7], exec
	s_and_b64 s[12:13], vcc, exec
	v_mov_b32_e32 v31, 0
	s_or_b64 s[6:7], s[6:7], s[12:13]
	s_or_b64 exec, exec, s[8:9]
	s_and_saveexec_b64 s[8:9], s[6:7]
	s_cbranch_execnz .LBB247_135
	s_branch .LBB247_136
.LBB247_170:
	s_or_b64 exec, exec, s[2:3]
.LBB247_171:
	s_or_b64 exec, exec, s[0:1]
	ds_bpermute_b32 v1, v16, v19
	v_and_b32_e32 v2, 0x3c1, v0
	v_cmp_eq_u32_e32 vcc, 64, v2
	s_waitcnt lgkmcnt(0)
	s_barrier
	v_add_f32_e32 v1, v19, v1
	s_and_saveexec_b64 s[0:1], vcc
	s_cbranch_execz .LBB247_173
; %bb.172:
	v_mov_b32_e32 v3, 0x50
	v_lshl_add_u32 v3, v9, 1, v3
	ds_write_b32 v3, v1
.LBB247_173:
	s_or_b64 exec, exec, s[0:1]
	v_cmp_eq_u32_e32 vcc, 0, v2
	s_waitcnt lgkmcnt(0)
	s_barrier
	s_and_saveexec_b64 s[0:1], vcc
	s_cbranch_execz .LBB247_175
; %bb.174:
	v_mov_b32_e32 v2, 0x50
	v_lshl_add_u32 v2, v0, 1, v2
	ds_read_b32 v2, v2
	s_waitcnt lgkmcnt(0)
	v_add_f32_e32 v1, v1, v2
.LBB247_175:
	s_or_b64 exec, exec, s[0:1]
	s_barrier
	s_and_saveexec_b64 s[0:1], vcc
	s_cbranch_execz .LBB247_177
; %bb.176:
	s_mul_i32 s0, s16, s19
	s_mul_i32 s0, s0, s5
	s_lshl_b32 s0, s0, 5
	s_ashr_i32 s1, s0, 31
	s_lshl_b64 s[0:1], s[0:1], 1
	s_add_u32 s2, s20, s0
	s_mul_i32 s0, s19, s18
	s_addc_u32 s3, s21, s1
	s_ashr_i32 s1, s0, 31
	s_lshl_b64 s[0:1], s[0:1], 1
	s_add_u32 s2, s2, s0
	s_addc_u32 s3, s3, s1
	s_lshl_b32 s0, s4, 5
	s_ashr_i32 s1, s0, 31
	s_lshl_b64 s[0:1], s[0:1], 1
	s_add_u32 s0, s2, s0
	s_addc_u32 s1, s3, s1
	;;#ASMSTART
	v_cvt_f16_f32 v1, v1;

	;;#ASMEND
	global_store_short v0, v1, s[0:1]
.LBB247_177:
	s_endpgm
	.section	.rodata,"a",@progbits
	.p2align	6, 0x0
	.amdhsa_kernel _ZN4vllm25paged_attention_v1_kernelIthLi32ELi16ELi128ELNS_18Fp8KVCacheDataTypeE1ELb0EEEvPT_PKS2_PKT0_S8_ifPKiSA_iPKfiiiSC_SC_iiiii
		.amdhsa_group_segment_fixed_size 80
		.amdhsa_private_segment_fixed_size 0
		.amdhsa_kernarg_size 384
		.amdhsa_user_sgpr_count 2
		.amdhsa_user_sgpr_dispatch_ptr 0
		.amdhsa_user_sgpr_queue_ptr 0
		.amdhsa_user_sgpr_kernarg_segment_ptr 1
		.amdhsa_user_sgpr_dispatch_id 0
		.amdhsa_user_sgpr_kernarg_preload_length 0
		.amdhsa_user_sgpr_kernarg_preload_offset 0
		.amdhsa_user_sgpr_private_segment_size 0
		.amdhsa_uses_dynamic_stack 0
		.amdhsa_enable_private_segment 0
		.amdhsa_system_sgpr_workgroup_id_x 1
		.amdhsa_system_sgpr_workgroup_id_y 1
		.amdhsa_system_sgpr_workgroup_id_z 1
		.amdhsa_system_sgpr_workgroup_info 0
		.amdhsa_system_vgpr_workitem_id 0
		.amdhsa_next_free_vgpr 35
		.amdhsa_next_free_sgpr 48
		.amdhsa_accum_offset 36
		.amdhsa_reserve_vcc 1
		.amdhsa_float_round_mode_32 0
		.amdhsa_float_round_mode_16_64 0
		.amdhsa_float_denorm_mode_32 3
		.amdhsa_float_denorm_mode_16_64 3
		.amdhsa_dx10_clamp 1
		.amdhsa_ieee_mode 1
		.amdhsa_fp16_overflow 0
		.amdhsa_tg_split 0
		.amdhsa_exception_fp_ieee_invalid_op 0
		.amdhsa_exception_fp_denorm_src 0
		.amdhsa_exception_fp_ieee_div_zero 0
		.amdhsa_exception_fp_ieee_overflow 0
		.amdhsa_exception_fp_ieee_underflow 0
		.amdhsa_exception_fp_ieee_inexact 0
		.amdhsa_exception_int_div_zero 0
	.end_amdhsa_kernel
	.section	.text._ZN4vllm25paged_attention_v1_kernelIthLi32ELi16ELi128ELNS_18Fp8KVCacheDataTypeE1ELb0EEEvPT_PKS2_PKT0_S8_ifPKiSA_iPKfiiiSC_SC_iiiii,"axG",@progbits,_ZN4vllm25paged_attention_v1_kernelIthLi32ELi16ELi128ELNS_18Fp8KVCacheDataTypeE1ELb0EEEvPT_PKS2_PKT0_S8_ifPKiSA_iPKfiiiSC_SC_iiiii,comdat
.Lfunc_end247:
	.size	_ZN4vllm25paged_attention_v1_kernelIthLi32ELi16ELi128ELNS_18Fp8KVCacheDataTypeE1ELb0EEEvPT_PKS2_PKT0_S8_ifPKiSA_iPKfiiiSC_SC_iiiii, .Lfunc_end247-_ZN4vllm25paged_attention_v1_kernelIthLi32ELi16ELi128ELNS_18Fp8KVCacheDataTypeE1ELb0EEEvPT_PKS2_PKT0_S8_ifPKiSA_iPKfiiiSC_SC_iiiii
                                        ; -- End function
	.section	.AMDGPU.csdata,"",@progbits
; Kernel info:
; codeLenInByte = 7800
; NumSgprs: 54
; NumVgprs: 35
; NumAgprs: 0
; TotalNumVgprs: 35
; ScratchSize: 0
; MemoryBound: 0
; FloatMode: 240
; IeeeMode: 1
; LDSByteSize: 80 bytes/workgroup (compile time only)
; SGPRBlocks: 6
; VGPRBlocks: 4
; NumSGPRsForWavesPerEU: 54
; NumVGPRsForWavesPerEU: 35
; AccumOffset: 36
; Occupancy: 8
; WaveLimiterHint : 1
; COMPUTE_PGM_RSRC2:SCRATCH_EN: 0
; COMPUTE_PGM_RSRC2:USER_SGPR: 2
; COMPUTE_PGM_RSRC2:TRAP_HANDLER: 0
; COMPUTE_PGM_RSRC2:TGID_X_EN: 1
; COMPUTE_PGM_RSRC2:TGID_Y_EN: 1
; COMPUTE_PGM_RSRC2:TGID_Z_EN: 1
; COMPUTE_PGM_RSRC2:TIDIG_COMP_CNT: 0
; COMPUTE_PGM_RSRC3_GFX90A:ACCUM_OFFSET: 8
; COMPUTE_PGM_RSRC3_GFX90A:TG_SPLIT: 0
	.section	.text._ZN4vllm25paged_attention_v1_kernelIthLi64ELi16ELi128ELNS_18Fp8KVCacheDataTypeE1ELb0EEEvPT_PKS2_PKT0_S8_ifPKiSA_iPKfiiiSC_SC_iiiii,"axG",@progbits,_ZN4vllm25paged_attention_v1_kernelIthLi64ELi16ELi128ELNS_18Fp8KVCacheDataTypeE1ELb0EEEvPT_PKS2_PKT0_S8_ifPKiSA_iPKfiiiSC_SC_iiiii,comdat
	.protected	_ZN4vllm25paged_attention_v1_kernelIthLi64ELi16ELi128ELNS_18Fp8KVCacheDataTypeE1ELb0EEEvPT_PKS2_PKT0_S8_ifPKiSA_iPKfiiiSC_SC_iiiii ; -- Begin function _ZN4vllm25paged_attention_v1_kernelIthLi64ELi16ELi128ELNS_18Fp8KVCacheDataTypeE1ELb0EEEvPT_PKS2_PKT0_S8_ifPKiSA_iPKfiiiSC_SC_iiiii
	.globl	_ZN4vllm25paged_attention_v1_kernelIthLi64ELi16ELi128ELNS_18Fp8KVCacheDataTypeE1ELb0EEEvPT_PKS2_PKT0_S8_ifPKiSA_iPKfiiiSC_SC_iiiii
	.p2align	8
	.type	_ZN4vllm25paged_attention_v1_kernelIthLi64ELi16ELi128ELNS_18Fp8KVCacheDataTypeE1ELb0EEEvPT_PKS2_PKT0_S8_ifPKiSA_iPKfiiiSC_SC_iiiii,@function
_ZN4vllm25paged_attention_v1_kernelIthLi64ELi16ELi128ELNS_18Fp8KVCacheDataTypeE1ELb0EEEvPT_PKS2_PKT0_S8_ifPKiSA_iPKfiiiSC_SC_iiiii: ; @_ZN4vllm25paged_attention_v1_kernelIthLi64ELi16ELi128ELNS_18Fp8KVCacheDataTypeE1ELb0EEEvPT_PKS2_PKT0_S8_ifPKiSA_iPKfiiiSC_SC_iiiii
; %bb.0:
	s_load_dword s5, s[0:1], 0x80
	s_load_dwordx2 s[6:7], s[0:1], 0x30
	s_load_dwordx2 s[28:29], s[0:1], 0x20
	s_mov_b32 s16, s3
	s_ashr_i32 s17, s3, 31
	s_lshl_b64 s[8:9], s[16:17], 2
	s_waitcnt lgkmcnt(0)
	s_add_u32 s6, s6, s8
	s_addc_u32 s7, s7, s9
	s_abs_i32 s3, s28
	v_cvt_f32_u32_e32 v1, s3
	s_sub_i32 s10, 0, s3
	s_abs_i32 s9, s5
	s_xor_b32 s8, s5, s28
	v_rcp_iflag_f32_e32 v1, v1
	s_ashr_i32 s8, s8, 31
	s_mov_b32 s28, 0
	v_mul_f32_e32 v1, 0x4f7ffffe, v1
	v_cvt_u32_f32_e32 v1, v1
	s_nop 0
	v_readfirstlane_b32 s11, v1
	s_mul_i32 s10, s10, s11
	s_mul_hi_u32 s10, s11, s10
	s_add_i32 s11, s11, s10
	s_mul_hi_u32 s10, s9, s11
	s_mul_i32 s11, s10, s3
	s_sub_i32 s9, s9, s11
	s_add_i32 s11, s10, 1
	s_sub_i32 s12, s9, s3
	s_cmp_ge_u32 s9, s3
	s_cselect_b32 s10, s11, s10
	s_cselect_b32 s9, s12, s9
	s_add_i32 s11, s10, 1
	s_cmp_ge_u32 s9, s3
	s_cselect_b32 s3, s11, s10
	s_xor_b32 s3, s3, s8
	s_sub_i32 s18, s3, s8
	s_abs_i32 s10, s18
	v_cvt_f32_u32_e32 v1, s10
	s_load_dwordx2 s[8:9], s[0:1], 0x40
	s_sub_i32 s3, 0, s10
	s_abs_i32 s11, s2
	v_rcp_iflag_f32_e32 v1, v1
	s_nop 0
	v_mul_f32_e32 v1, 0x4f7ffffe, v1
	v_cvt_u32_f32_e32 v1, v1
	s_nop 0
	v_readfirstlane_b32 s12, v1
	s_mul_i32 s3, s3, s12
	s_mul_hi_u32 s3, s12, s3
	s_add_i32 s12, s12, s3
	s_waitcnt lgkmcnt(0)
	s_cmp_eq_u64 s[8:9], 0
	s_mul_hi_u32 s17, s11, s12
	s_cbranch_scc1 .LBB248_2
; %bb.1:
	s_ashr_i32 s3, s2, 31
	s_lshl_b64 s[12:13], s[2:3], 2
	s_add_u32 s8, s8, s12
	s_addc_u32 s9, s9, s13
	s_load_dword s28, s[8:9], 0x0
.LBB248_2:
	s_load_dword s33, s[6:7], 0x0
	s_load_dwordx4 s[12:15], s[0:1], 0x48
	s_ashr_i32 s6, s2, 31
	s_ashr_i32 s7, s18, 31
	v_and_b32_e32 v7, 3, v0
	s_lshl_b32 s18, s2, 6
	v_cmp_gt_u32_e32 vcc, 32, v0
	s_and_saveexec_b64 s[2:3], vcc
	s_cbranch_execz .LBB248_4
; %bb.3:
	s_load_dwordx2 s[8:9], s[0:1], 0x8
	s_waitcnt lgkmcnt(0)
	s_mul_i32 s20, s16, s12
	s_ashr_i32 s21, s20, 31
	s_lshl_b64 s[20:21], s[20:21], 1
	v_lshlrev_b32_e32 v1, 2, v0
	s_add_u32 s12, s8, s20
	s_addc_u32 s15, s9, s21
	s_ashr_i32 s19, s18, 31
	s_lshl_b64 s[8:9], s[18:19], 1
	s_add_u32 s8, s12, s8
	s_addc_u32 s9, s15, s9
	global_load_dword v1, v1, s[8:9]
	v_and_b32_e32 v2, 0x3fc, v0
	v_lshl_add_u32 v2, v7, 5, v2
	s_waitcnt vmcnt(0)
	ds_write_b32 v2, v1
.LBB248_4:
	s_or_b64 exec, exec, s[2:3]
	s_waitcnt lgkmcnt(0)
	s_add_i32 s3, s33, 15
	s_ashr_i32 s8, s3, 31
	s_lshr_b32 s8, s8, 28
	s_add_i32 s3, s3, s8
	s_ashr_i32 s19, s3, 4
	s_xor_b32 s3, s6, s7
	s_mul_i32 s6, s17, s10
	s_sub_i32 s6, s11, s6
	s_add_i32 s7, s17, 1
	s_sub_i32 s8, s6, s10
	s_load_dwordx2 s[22:23], s[0:1], 0x28
	s_load_dword s2, s[0:1], 0x38
	s_cmp_ge_u32 s6, s10
	s_cselect_b32 s7, s7, s17
	s_cselect_b32 s6, s8, s6
	s_add_i32 s8, s7, 1
	s_cmp_ge_u32 s6, s10
	s_cselect_b32 s6, s8, s7
	v_lshrrev_b32_e32 v1, 6, v0
	s_xor_b32 s6, s6, s3
	s_waitcnt lgkmcnt(0)
	s_mul_i32 s24, s16, s2
	s_sub_i32 s12, s6, s3
	s_ashr_i32 s25, s24, 31
	v_cmp_gt_i32_e64 s[6:7], s19, v1
	v_cmp_le_i32_e32 vcc, s19, v1
	v_mbcnt_lo_u32_b32 v10, -1, 0
	s_barrier
	s_waitcnt lgkmcnt(0)
                                        ; implicit-def: $sgpr15
                                        ; implicit-def: $vgpr14
                                        ; implicit-def: $vgpr2
	s_and_saveexec_b64 s[2:3], vcc
	s_xor_b64 s[2:3], exec, s[2:3]
; %bb.5:
	v_mbcnt_hi_u32_b32 v14, -1, v10
	v_and_b32_e32 v2, 64, v14
	v_add_u32_e32 v2, 64, v2
	s_mov_b32 s15, 0xff7fffff
                                        ; implicit-def: $vgpr7
                                        ; implicit-def: $vgpr10
; %bb.6:
	s_or_saveexec_b64 s[30:31], s[2:3]
	s_load_dwordx2 s[20:21], s[0:1], 0x0
	s_load_dwordx2 s[26:27], s[0:1], 0x18
	s_load_dword s17, s[0:1], 0x88
	s_load_dwordx4 s[8:11], s[0:1], 0x58
	v_mov_b32_e32 v13, s15
	s_mul_i32 s12, s12, s14
	v_lshrrev_b32_e32 v12, 4, v0
	s_xor_b64 exec, exec, s[30:31]
	s_cbranch_execz .LBB248_140
; %bb.7:
	s_load_dwordx2 s[0:1], s[0:1], 0x10
	s_ashr_i32 s2, s12, 31
	v_bfe_u32 v8, v0, 2, 4
	v_lshlrev_b32_e32 v2, 4, v8
	v_mov_b32_e32 v3, 0
	s_waitcnt lgkmcnt(0)
	s_add_u32 s0, s0, s12
	s_addc_u32 s1, s1, s2
	v_lshl_add_u64 v[4:5], s[0:1], 0, v[2:3]
	s_sub_i32 s41, 1, s33
	v_lshlrev_b32_e32 v2, 2, v8
	s_lshl_b64 s[0:1], s[24:25], 2
	v_lshl_or_b32 v2, v1, 6, v2
	s_add_u32 s0, s22, s0
	v_add_u32_e32 v17, 0x90, v2
	v_and_b32_e32 v2, 60, v12
	s_addc_u32 s1, s23, s1
	s_mov_b32 s40, s13
	v_lshlrev_b32_e32 v6, 1, v7
	v_lshlrev_b32_e32 v15, 5, v7
	v_cmp_eq_u32_e32 vcc, 0, v7
	v_cmp_neq_f32_e64 s[2:3], s28, 0
	v_mov_b32_e32 v7, v3
	v_lshl_or_b32 v16, v1, 4, v8
	v_lshl_add_u64 v[8:9], s[0:1], 0, v[2:3]
	s_mov_b64 s[14:15], 0
	v_mov_b32_e32 v13, 0xff7fffff
	s_movk_i32 s42, 0x7f
	s_movk_i32 s43, 0x80
	s_mov_b32 s44, 0x8000
	v_mbcnt_hi_u32_b32 v14, -1, v10
	v_mov_b32_e32 v18, 0x1c00
	v_mov_b32_e32 v19, v1
	s_branch .LBB248_9
.LBB248_8:                              ;   in Loop: Header=BB248_9 Depth=1
	s_or_b64 exec, exec, s[34:35]
	v_add_u32_e32 v19, 2, v19
	v_cmp_le_i32_e64 s[0:1], s19, v19
	v_add_u32_e32 v16, 32, v16
	v_add_u32_e32 v17, 0x80, v17
	s_or_b64 s[14:15], s[0:1], s[14:15]
	v_lshl_add_u64 v[8:9], v[8:9], 0, 8
	s_andn2_b64 exec, exec, s[14:15]
	s_cbranch_execz .LBB248_139
.LBB248_9:                              ; =>This Inner Loop Header: Depth=1
	global_load_dword v2, v[8:9], off
                                        ; implicit-def: $sgpr38
	s_waitcnt vmcnt(0) lgkmcnt(0)
	v_mad_i64_i32 v[10:11], s[0:1], v2, s40, v[4:5]
	v_lshl_add_u64 v[10:11], v[10:11], 0, v[6:7]
	global_load_ushort v2, v[10:11], off
	global_load_dword v20, v3, s[8:9]
	s_mov_b64 s[0:1], 0
	s_waitcnt vmcnt(1)
	v_cmp_gt_i16_sdwa s[34:35], v2, s42 src0_sel:BYTE_0 src1_sel:DWORD
	s_and_saveexec_b64 s[36:37], s[34:35]
	s_xor_b64 s[34:35], exec, s[36:37]
	s_cbranch_execnz .LBB248_75
; %bb.10:                               ;   in Loop: Header=BB248_9 Depth=1
	s_or_saveexec_b64 s[34:35], s[34:35]
	v_mov_b32_e32 v21, s38
	s_xor_b64 exec, exec, s[34:35]
	s_cbranch_execnz .LBB248_78
.LBB248_11:                             ;   in Loop: Header=BB248_9 Depth=1
	s_or_b64 exec, exec, s[34:35]
	v_and_b32_e32 v2, 0xffff, v2
	s_and_saveexec_b64 s[34:35], s[0:1]
	s_cbranch_execz .LBB248_13
.LBB248_12:                             ;   in Loop: Header=BB248_9 Depth=1
	v_and_b32_e32 v21, 7, v2
	v_ffbh_u32_e32 v22, v21
	v_min_u32_e32 v25, 32, v22
	v_subrev_u32_e32 v22, 28, v25
	v_bfe_u32 v24, v2, 3, 4
	v_lshlrev_b64 v[22:23], v22, v[2:3]
	v_sub_u32_e32 v23, 29, v25
	v_cmp_eq_u32_e64 s[0:1], 0, v24
	v_and_b32_e32 v22, 7, v22
	s_nop 0
	v_cndmask_b32_e64 v23, v24, v23, s[0:1]
	v_cndmask_b32_e64 v21, v21, v22, s[0:1]
	v_lshlrev_b32_e32 v22, 8, v2
	v_lshl_add_u32 v23, v23, 10, v18
	v_and_or_b32 v22, v22, s44, v23
	v_lshl_or_b32 v21, v21, 7, v22
	v_cvt_f32_f16_e32 v21, v21
.LBB248_13:                             ;   in Loop: Header=BB248_9 Depth=1
	s_or_b64 exec, exec, s[34:35]
	v_lshrrev_b16_e32 v2, 8, v2
	v_cmp_lt_i16_e64 s[0:1], s42, v2
	s_mov_b64 s[34:35], 0
                                        ; implicit-def: $sgpr45
	s_and_saveexec_b64 s[36:37], s[0:1]
	s_xor_b64 s[36:37], exec, s[36:37]
	s_cbranch_execnz .LBB248_79
; %bb.14:                               ;   in Loop: Header=BB248_9 Depth=1
	s_or_saveexec_b64 s[36:37], s[36:37]
	v_mov_b32_e32 v22, s45
	s_xor_b64 exec, exec, s[36:37]
	s_cbranch_execnz .LBB248_82
.LBB248_15:                             ;   in Loop: Header=BB248_9 Depth=1
	s_or_b64 exec, exec, s[36:37]
	s_and_saveexec_b64 s[36:37], s[34:35]
	s_cbranch_execz .LBB248_17
.LBB248_16:                             ;   in Loop: Header=BB248_9 Depth=1
	v_and_b32_e32 v24, 7, v2
	v_ffbh_u32_e32 v22, v24
	v_min_u32_e32 v26, 32, v22
	v_subrev_u32_e32 v22, 28, v26
	v_bfe_u32 v25, v2, 3, 4
	v_lshlrev_b64 v[22:23], v22, v[2:3]
	v_sub_u32_e32 v23, 29, v26
	v_cmp_eq_u32_e64 s[0:1], 0, v25
	v_and_b32_e32 v22, 7, v22
	v_lshlrev_b32_e32 v2, 8, v2
	v_cndmask_b32_e64 v23, v25, v23, s[0:1]
	v_lshl_add_u32 v23, v23, 10, v18
	v_cndmask_b32_e64 v22, v24, v22, s[0:1]
	v_and_or_b32 v2, v2, s44, v23
	v_lshl_or_b32 v2, v22, 7, v2
	v_cvt_f32_f16_e32 v22, v2
.LBB248_17:                             ;   in Loop: Header=BB248_9 Depth=1
	s_or_b64 exec, exec, s[36:37]
	global_load_ushort v2, v[10:11], off offset:8
	s_mov_b64 s[0:1], 0
                                        ; implicit-def: $sgpr38
	s_waitcnt vmcnt(0)
	v_cmp_gt_i16_sdwa s[34:35], v2, s42 src0_sel:BYTE_0 src1_sel:DWORD
	s_and_saveexec_b64 s[36:37], s[34:35]
	s_xor_b64 s[34:35], exec, s[36:37]
	s_cbranch_execnz .LBB248_83
; %bb.18:                               ;   in Loop: Header=BB248_9 Depth=1
	s_or_saveexec_b64 s[34:35], s[34:35]
	v_mov_b32_e32 v23, s38
	s_xor_b64 exec, exec, s[34:35]
	s_cbranch_execnz .LBB248_86
.LBB248_19:                             ;   in Loop: Header=BB248_9 Depth=1
	s_or_b64 exec, exec, s[34:35]
	v_and_b32_e32 v2, 0xffff, v2
	s_and_saveexec_b64 s[34:35], s[0:1]
	s_cbranch_execz .LBB248_21
.LBB248_20:                             ;   in Loop: Header=BB248_9 Depth=1
	v_and_b32_e32 v23, 7, v2
	v_ffbh_u32_e32 v24, v23
	v_min_u32_e32 v27, 32, v24
	v_subrev_u32_e32 v24, 28, v27
	v_bfe_u32 v26, v2, 3, 4
	v_lshlrev_b64 v[24:25], v24, v[2:3]
	v_sub_u32_e32 v25, 29, v27
	v_cmp_eq_u32_e64 s[0:1], 0, v26
	v_and_b32_e32 v24, 7, v24
	s_nop 0
	v_cndmask_b32_e64 v25, v26, v25, s[0:1]
	v_cndmask_b32_e64 v23, v23, v24, s[0:1]
	v_lshlrev_b32_e32 v24, 8, v2
	v_lshl_add_u32 v25, v25, 10, v18
	v_and_or_b32 v24, v24, s44, v25
	v_lshl_or_b32 v23, v23, 7, v24
	v_cvt_f32_f16_e32 v23, v23
.LBB248_21:                             ;   in Loop: Header=BB248_9 Depth=1
	s_or_b64 exec, exec, s[34:35]
	v_lshrrev_b16_e32 v2, 8, v2
	v_cmp_lt_i16_e64 s[0:1], s42, v2
	s_mov_b64 s[34:35], 0
                                        ; implicit-def: $sgpr45
	s_and_saveexec_b64 s[36:37], s[0:1]
	s_xor_b64 s[36:37], exec, s[36:37]
	s_cbranch_execnz .LBB248_87
; %bb.22:                               ;   in Loop: Header=BB248_9 Depth=1
	s_or_saveexec_b64 s[36:37], s[36:37]
	v_mov_b32_e32 v24, s45
	s_xor_b64 exec, exec, s[36:37]
	s_cbranch_execnz .LBB248_90
.LBB248_23:                             ;   in Loop: Header=BB248_9 Depth=1
	s_or_b64 exec, exec, s[36:37]
	s_and_saveexec_b64 s[36:37], s[34:35]
	s_cbranch_execz .LBB248_25
.LBB248_24:                             ;   in Loop: Header=BB248_9 Depth=1
	v_and_b32_e32 v26, 7, v2
	v_ffbh_u32_e32 v24, v26
	v_min_u32_e32 v28, 32, v24
	v_subrev_u32_e32 v24, 28, v28
	v_bfe_u32 v27, v2, 3, 4
	v_lshlrev_b64 v[24:25], v24, v[2:3]
	v_sub_u32_e32 v25, 29, v28
	v_cmp_eq_u32_e64 s[0:1], 0, v27
	v_and_b32_e32 v24, 7, v24
	v_lshlrev_b32_e32 v2, 8, v2
	v_cndmask_b32_e64 v25, v27, v25, s[0:1]
	v_lshl_add_u32 v25, v25, 10, v18
	v_cndmask_b32_e64 v24, v26, v24, s[0:1]
	v_and_or_b32 v2, v2, s44, v25
	v_lshl_or_b32 v2, v24, 7, v2
	v_cvt_f32_f16_e32 v24, v2
.LBB248_25:                             ;   in Loop: Header=BB248_9 Depth=1
	s_or_b64 exec, exec, s[36:37]
	global_load_ushort v2, v[10:11], off offset:256
	s_mov_b64 s[0:1], 0
                                        ; implicit-def: $sgpr38
	s_waitcnt vmcnt(0)
	v_cmp_gt_i16_sdwa s[34:35], v2, s42 src0_sel:BYTE_0 src1_sel:DWORD
	s_and_saveexec_b64 s[36:37], s[34:35]
	s_xor_b64 s[34:35], exec, s[36:37]
	s_cbranch_execnz .LBB248_91
; %bb.26:                               ;   in Loop: Header=BB248_9 Depth=1
	s_or_saveexec_b64 s[34:35], s[34:35]
	v_mov_b32_e32 v25, s38
	s_xor_b64 exec, exec, s[34:35]
	s_cbranch_execnz .LBB248_94
.LBB248_27:                             ;   in Loop: Header=BB248_9 Depth=1
	s_or_b64 exec, exec, s[34:35]
	v_and_b32_e32 v2, 0xffff, v2
	s_and_saveexec_b64 s[34:35], s[0:1]
	s_cbranch_execz .LBB248_29
.LBB248_28:                             ;   in Loop: Header=BB248_9 Depth=1
	v_and_b32_e32 v25, 7, v2
	v_ffbh_u32_e32 v26, v25
	v_min_u32_e32 v29, 32, v26
	v_subrev_u32_e32 v26, 28, v29
	v_bfe_u32 v28, v2, 3, 4
	v_lshlrev_b64 v[26:27], v26, v[2:3]
	v_sub_u32_e32 v27, 29, v29
	v_cmp_eq_u32_e64 s[0:1], 0, v28
	v_and_b32_e32 v26, 7, v26
	s_nop 0
	v_cndmask_b32_e64 v27, v28, v27, s[0:1]
	v_cndmask_b32_e64 v25, v25, v26, s[0:1]
	v_lshlrev_b32_e32 v26, 8, v2
	v_lshl_add_u32 v27, v27, 10, v18
	v_and_or_b32 v26, v26, s44, v27
	v_lshl_or_b32 v25, v25, 7, v26
	v_cvt_f32_f16_e32 v25, v25
.LBB248_29:                             ;   in Loop: Header=BB248_9 Depth=1
	s_or_b64 exec, exec, s[34:35]
	v_lshrrev_b16_e32 v2, 8, v2
	v_cmp_lt_i16_e64 s[0:1], s42, v2
	s_mov_b64 s[34:35], 0
                                        ; implicit-def: $sgpr45
	s_and_saveexec_b64 s[36:37], s[0:1]
	s_xor_b64 s[36:37], exec, s[36:37]
	s_cbranch_execnz .LBB248_95
; %bb.30:                               ;   in Loop: Header=BB248_9 Depth=1
	s_or_saveexec_b64 s[36:37], s[36:37]
	v_mov_b32_e32 v26, s45
	s_xor_b64 exec, exec, s[36:37]
	s_cbranch_execnz .LBB248_98
.LBB248_31:                             ;   in Loop: Header=BB248_9 Depth=1
	s_or_b64 exec, exec, s[36:37]
	s_and_saveexec_b64 s[36:37], s[34:35]
	s_cbranch_execz .LBB248_33
.LBB248_32:                             ;   in Loop: Header=BB248_9 Depth=1
	v_and_b32_e32 v28, 7, v2
	v_ffbh_u32_e32 v26, v28
	v_min_u32_e32 v30, 32, v26
	v_subrev_u32_e32 v26, 28, v30
	v_bfe_u32 v29, v2, 3, 4
	v_lshlrev_b64 v[26:27], v26, v[2:3]
	v_sub_u32_e32 v27, 29, v30
	v_cmp_eq_u32_e64 s[0:1], 0, v29
	v_and_b32_e32 v26, 7, v26
	v_lshlrev_b32_e32 v2, 8, v2
	v_cndmask_b32_e64 v27, v29, v27, s[0:1]
	v_lshl_add_u32 v27, v27, 10, v18
	v_cndmask_b32_e64 v26, v28, v26, s[0:1]
	v_and_or_b32 v2, v2, s44, v27
	v_lshl_or_b32 v2, v26, 7, v2
	v_cvt_f32_f16_e32 v26, v2
.LBB248_33:                             ;   in Loop: Header=BB248_9 Depth=1
	s_or_b64 exec, exec, s[36:37]
	global_load_ushort v2, v[10:11], off offset:264
	s_mov_b64 s[0:1], 0
                                        ; implicit-def: $sgpr38
	s_waitcnt vmcnt(0)
	v_cmp_gt_i16_sdwa s[34:35], v2, s42 src0_sel:BYTE_0 src1_sel:DWORD
	s_and_saveexec_b64 s[36:37], s[34:35]
	s_xor_b64 s[34:35], exec, s[36:37]
	s_cbranch_execnz .LBB248_99
; %bb.34:                               ;   in Loop: Header=BB248_9 Depth=1
	s_or_saveexec_b64 s[34:35], s[34:35]
	v_mov_b32_e32 v27, s38
	s_xor_b64 exec, exec, s[34:35]
	s_cbranch_execnz .LBB248_102
.LBB248_35:                             ;   in Loop: Header=BB248_9 Depth=1
	s_or_b64 exec, exec, s[34:35]
	v_and_b32_e32 v2, 0xffff, v2
	s_and_saveexec_b64 s[34:35], s[0:1]
	s_cbranch_execz .LBB248_37
.LBB248_36:                             ;   in Loop: Header=BB248_9 Depth=1
	v_and_b32_e32 v27, 7, v2
	v_ffbh_u32_e32 v28, v27
	v_min_u32_e32 v31, 32, v28
	v_subrev_u32_e32 v28, 28, v31
	v_bfe_u32 v30, v2, 3, 4
	v_lshlrev_b64 v[28:29], v28, v[2:3]
	v_sub_u32_e32 v29, 29, v31
	v_cmp_eq_u32_e64 s[0:1], 0, v30
	v_and_b32_e32 v28, 7, v28
	s_nop 0
	v_cndmask_b32_e64 v29, v30, v29, s[0:1]
	v_cndmask_b32_e64 v27, v27, v28, s[0:1]
	v_lshlrev_b32_e32 v28, 8, v2
	v_lshl_add_u32 v29, v29, 10, v18
	v_and_or_b32 v28, v28, s44, v29
	v_lshl_or_b32 v27, v27, 7, v28
	v_cvt_f32_f16_e32 v27, v27
.LBB248_37:                             ;   in Loop: Header=BB248_9 Depth=1
	s_or_b64 exec, exec, s[34:35]
	v_lshrrev_b16_e32 v2, 8, v2
	v_cmp_lt_i16_e64 s[0:1], s42, v2
	s_mov_b64 s[34:35], 0
                                        ; implicit-def: $sgpr45
	s_and_saveexec_b64 s[36:37], s[0:1]
	s_xor_b64 s[36:37], exec, s[36:37]
	s_cbranch_execnz .LBB248_103
; %bb.38:                               ;   in Loop: Header=BB248_9 Depth=1
	s_or_saveexec_b64 s[36:37], s[36:37]
	v_mov_b32_e32 v28, s45
	s_xor_b64 exec, exec, s[36:37]
	s_cbranch_execnz .LBB248_106
.LBB248_39:                             ;   in Loop: Header=BB248_9 Depth=1
	s_or_b64 exec, exec, s[36:37]
	s_and_saveexec_b64 s[36:37], s[34:35]
	s_cbranch_execz .LBB248_41
.LBB248_40:                             ;   in Loop: Header=BB248_9 Depth=1
	v_and_b32_e32 v30, 7, v2
	v_ffbh_u32_e32 v28, v30
	v_min_u32_e32 v32, 32, v28
	v_subrev_u32_e32 v28, 28, v32
	v_bfe_u32 v31, v2, 3, 4
	v_lshlrev_b64 v[28:29], v28, v[2:3]
	v_sub_u32_e32 v29, 29, v32
	v_cmp_eq_u32_e64 s[0:1], 0, v31
	v_and_b32_e32 v28, 7, v28
	v_lshlrev_b32_e32 v2, 8, v2
	v_cndmask_b32_e64 v29, v31, v29, s[0:1]
	v_lshl_add_u32 v29, v29, 10, v18
	v_cndmask_b32_e64 v28, v30, v28, s[0:1]
	v_and_or_b32 v2, v2, s44, v29
	v_lshl_or_b32 v2, v28, 7, v2
	v_cvt_f32_f16_e32 v28, v2
.LBB248_41:                             ;   in Loop: Header=BB248_9 Depth=1
	s_or_b64 exec, exec, s[36:37]
	global_load_ushort v2, v[10:11], off offset:512
	s_mov_b64 s[0:1], 0
                                        ; implicit-def: $sgpr38
	s_waitcnt vmcnt(0)
	v_cmp_gt_i16_sdwa s[34:35], v2, s42 src0_sel:BYTE_0 src1_sel:DWORD
	s_and_saveexec_b64 s[36:37], s[34:35]
	s_xor_b64 s[34:35], exec, s[36:37]
	s_cbranch_execnz .LBB248_107
; %bb.42:                               ;   in Loop: Header=BB248_9 Depth=1
	s_or_saveexec_b64 s[34:35], s[34:35]
	v_mov_b32_e32 v29, s38
	s_xor_b64 exec, exec, s[34:35]
	s_cbranch_execnz .LBB248_110
.LBB248_43:                             ;   in Loop: Header=BB248_9 Depth=1
	s_or_b64 exec, exec, s[34:35]
	v_and_b32_e32 v2, 0xffff, v2
	s_and_saveexec_b64 s[34:35], s[0:1]
	s_cbranch_execz .LBB248_45
.LBB248_44:                             ;   in Loop: Header=BB248_9 Depth=1
	v_and_b32_e32 v29, 7, v2
	v_ffbh_u32_e32 v30, v29
	v_min_u32_e32 v33, 32, v30
	v_subrev_u32_e32 v30, 28, v33
	v_bfe_u32 v32, v2, 3, 4
	v_lshlrev_b64 v[30:31], v30, v[2:3]
	v_sub_u32_e32 v31, 29, v33
	v_cmp_eq_u32_e64 s[0:1], 0, v32
	v_and_b32_e32 v30, 7, v30
	s_nop 0
	v_cndmask_b32_e64 v31, v32, v31, s[0:1]
	v_cndmask_b32_e64 v29, v29, v30, s[0:1]
	v_lshlrev_b32_e32 v30, 8, v2
	v_lshl_add_u32 v31, v31, 10, v18
	v_and_or_b32 v30, v30, s44, v31
	v_lshl_or_b32 v29, v29, 7, v30
	v_cvt_f32_f16_e32 v29, v29
.LBB248_45:                             ;   in Loop: Header=BB248_9 Depth=1
	s_or_b64 exec, exec, s[34:35]
	v_lshrrev_b16_e32 v2, 8, v2
	v_cmp_lt_i16_e64 s[0:1], s42, v2
	s_mov_b64 s[34:35], 0
                                        ; implicit-def: $sgpr45
	s_and_saveexec_b64 s[36:37], s[0:1]
	s_xor_b64 s[36:37], exec, s[36:37]
	s_cbranch_execnz .LBB248_111
; %bb.46:                               ;   in Loop: Header=BB248_9 Depth=1
	s_or_saveexec_b64 s[36:37], s[36:37]
	v_mov_b32_e32 v30, s45
	s_xor_b64 exec, exec, s[36:37]
	s_cbranch_execnz .LBB248_114
.LBB248_47:                             ;   in Loop: Header=BB248_9 Depth=1
	s_or_b64 exec, exec, s[36:37]
	s_and_saveexec_b64 s[36:37], s[34:35]
	s_cbranch_execz .LBB248_49
.LBB248_48:                             ;   in Loop: Header=BB248_9 Depth=1
	v_and_b32_e32 v32, 7, v2
	v_ffbh_u32_e32 v30, v32
	v_min_u32_e32 v34, 32, v30
	v_subrev_u32_e32 v30, 28, v34
	v_bfe_u32 v33, v2, 3, 4
	v_lshlrev_b64 v[30:31], v30, v[2:3]
	v_sub_u32_e32 v31, 29, v34
	v_cmp_eq_u32_e64 s[0:1], 0, v33
	v_and_b32_e32 v30, 7, v30
	v_lshlrev_b32_e32 v2, 8, v2
	v_cndmask_b32_e64 v31, v33, v31, s[0:1]
	v_lshl_add_u32 v31, v31, 10, v18
	v_cndmask_b32_e64 v30, v32, v30, s[0:1]
	v_and_or_b32 v2, v2, s44, v31
	v_lshl_or_b32 v2, v30, 7, v2
	v_cvt_f32_f16_e32 v30, v2
.LBB248_49:                             ;   in Loop: Header=BB248_9 Depth=1
	s_or_b64 exec, exec, s[36:37]
	global_load_ushort v2, v[10:11], off offset:520
	s_mov_b64 s[0:1], 0
                                        ; implicit-def: $sgpr38
	s_waitcnt vmcnt(0)
	v_cmp_gt_i16_sdwa s[34:35], v2, s42 src0_sel:BYTE_0 src1_sel:DWORD
	s_and_saveexec_b64 s[36:37], s[34:35]
	s_xor_b64 s[34:35], exec, s[36:37]
	s_cbranch_execnz .LBB248_115
; %bb.50:                               ;   in Loop: Header=BB248_9 Depth=1
	s_or_saveexec_b64 s[34:35], s[34:35]
	v_mov_b32_e32 v31, s38
	s_xor_b64 exec, exec, s[34:35]
	s_cbranch_execnz .LBB248_118
.LBB248_51:                             ;   in Loop: Header=BB248_9 Depth=1
	s_or_b64 exec, exec, s[34:35]
	v_and_b32_e32 v2, 0xffff, v2
	s_and_saveexec_b64 s[34:35], s[0:1]
	s_cbranch_execz .LBB248_53
.LBB248_52:                             ;   in Loop: Header=BB248_9 Depth=1
	v_and_b32_e32 v31, 7, v2
	v_ffbh_u32_e32 v32, v31
	v_min_u32_e32 v35, 32, v32
	v_subrev_u32_e32 v32, 28, v35
	v_bfe_u32 v34, v2, 3, 4
	v_lshlrev_b64 v[32:33], v32, v[2:3]
	v_sub_u32_e32 v33, 29, v35
	v_cmp_eq_u32_e64 s[0:1], 0, v34
	v_and_b32_e32 v32, 7, v32
	s_nop 0
	v_cndmask_b32_e64 v33, v34, v33, s[0:1]
	v_cndmask_b32_e64 v31, v31, v32, s[0:1]
	v_lshlrev_b32_e32 v32, 8, v2
	v_lshl_add_u32 v33, v33, 10, v18
	v_and_or_b32 v32, v32, s44, v33
	v_lshl_or_b32 v31, v31, 7, v32
	v_cvt_f32_f16_e32 v31, v31
.LBB248_53:                             ;   in Loop: Header=BB248_9 Depth=1
	s_or_b64 exec, exec, s[34:35]
	v_lshrrev_b16_e32 v2, 8, v2
	v_cmp_lt_i16_e64 s[0:1], s42, v2
	s_mov_b64 s[34:35], 0
                                        ; implicit-def: $sgpr45
	s_and_saveexec_b64 s[36:37], s[0:1]
	s_xor_b64 s[36:37], exec, s[36:37]
	s_cbranch_execnz .LBB248_119
; %bb.54:                               ;   in Loop: Header=BB248_9 Depth=1
	s_or_saveexec_b64 s[36:37], s[36:37]
	v_mov_b32_e32 v32, s45
	s_xor_b64 exec, exec, s[36:37]
	s_cbranch_execnz .LBB248_122
.LBB248_55:                             ;   in Loop: Header=BB248_9 Depth=1
	s_or_b64 exec, exec, s[36:37]
	s_and_saveexec_b64 s[36:37], s[34:35]
	s_cbranch_execz .LBB248_57
.LBB248_56:                             ;   in Loop: Header=BB248_9 Depth=1
	v_and_b32_e32 v34, 7, v2
	v_ffbh_u32_e32 v32, v34
	v_min_u32_e32 v36, 32, v32
	v_subrev_u32_e32 v32, 28, v36
	v_bfe_u32 v35, v2, 3, 4
	v_lshlrev_b64 v[32:33], v32, v[2:3]
	v_sub_u32_e32 v33, 29, v36
	v_cmp_eq_u32_e64 s[0:1], 0, v35
	v_and_b32_e32 v32, 7, v32
	v_lshlrev_b32_e32 v2, 8, v2
	v_cndmask_b32_e64 v33, v35, v33, s[0:1]
	v_lshl_add_u32 v33, v33, 10, v18
	v_cndmask_b32_e64 v32, v34, v32, s[0:1]
	v_and_or_b32 v2, v2, s44, v33
	v_lshl_or_b32 v2, v32, 7, v2
	v_cvt_f32_f16_e32 v32, v2
.LBB248_57:                             ;   in Loop: Header=BB248_9 Depth=1
	s_or_b64 exec, exec, s[36:37]
	global_load_ushort v2, v[10:11], off offset:768
	s_mov_b64 s[0:1], 0
                                        ; implicit-def: $sgpr38
	s_waitcnt vmcnt(0)
	v_cmp_gt_i16_sdwa s[34:35], v2, s42 src0_sel:BYTE_0 src1_sel:DWORD
	s_and_saveexec_b64 s[36:37], s[34:35]
	s_xor_b64 s[34:35], exec, s[36:37]
	s_cbranch_execnz .LBB248_123
; %bb.58:                               ;   in Loop: Header=BB248_9 Depth=1
	s_or_saveexec_b64 s[34:35], s[34:35]
	v_mov_b32_e32 v33, s38
	s_xor_b64 exec, exec, s[34:35]
	s_cbranch_execnz .LBB248_126
.LBB248_59:                             ;   in Loop: Header=BB248_9 Depth=1
	s_or_b64 exec, exec, s[34:35]
	v_and_b32_e32 v2, 0xffff, v2
	s_and_saveexec_b64 s[34:35], s[0:1]
	s_cbranch_execz .LBB248_61
.LBB248_60:                             ;   in Loop: Header=BB248_9 Depth=1
	v_and_b32_e32 v33, 7, v2
	v_ffbh_u32_e32 v34, v33
	v_min_u32_e32 v37, 32, v34
	v_subrev_u32_e32 v34, 28, v37
	v_bfe_u32 v36, v2, 3, 4
	v_lshlrev_b64 v[34:35], v34, v[2:3]
	v_sub_u32_e32 v35, 29, v37
	v_cmp_eq_u32_e64 s[0:1], 0, v36
	v_and_b32_e32 v34, 7, v34
	s_nop 0
	v_cndmask_b32_e64 v35, v36, v35, s[0:1]
	v_cndmask_b32_e64 v33, v33, v34, s[0:1]
	v_lshlrev_b32_e32 v34, 8, v2
	v_lshl_add_u32 v35, v35, 10, v18
	v_and_or_b32 v34, v34, s44, v35
	v_lshl_or_b32 v33, v33, 7, v34
	v_cvt_f32_f16_e32 v33, v33
.LBB248_61:                             ;   in Loop: Header=BB248_9 Depth=1
	s_or_b64 exec, exec, s[34:35]
	v_lshrrev_b16_e32 v2, 8, v2
	v_cmp_lt_i16_e64 s[0:1], s42, v2
	s_mov_b64 s[34:35], 0
                                        ; implicit-def: $sgpr45
	s_and_saveexec_b64 s[36:37], s[0:1]
	s_xor_b64 s[36:37], exec, s[36:37]
	s_cbranch_execnz .LBB248_127
; %bb.62:                               ;   in Loop: Header=BB248_9 Depth=1
	s_or_saveexec_b64 s[36:37], s[36:37]
	v_mov_b32_e32 v34, s45
	s_xor_b64 exec, exec, s[36:37]
	s_cbranch_execnz .LBB248_130
.LBB248_63:                             ;   in Loop: Header=BB248_9 Depth=1
	s_or_b64 exec, exec, s[36:37]
	s_and_saveexec_b64 s[36:37], s[34:35]
	s_cbranch_execz .LBB248_65
.LBB248_64:                             ;   in Loop: Header=BB248_9 Depth=1
	v_and_b32_e32 v36, 7, v2
	v_ffbh_u32_e32 v34, v36
	v_min_u32_e32 v38, 32, v34
	v_subrev_u32_e32 v34, 28, v38
	v_bfe_u32 v37, v2, 3, 4
	v_lshlrev_b64 v[34:35], v34, v[2:3]
	v_sub_u32_e32 v35, 29, v38
	v_cmp_eq_u32_e64 s[0:1], 0, v37
	v_and_b32_e32 v34, 7, v34
	v_lshlrev_b32_e32 v2, 8, v2
	v_cndmask_b32_e64 v35, v37, v35, s[0:1]
	v_lshl_add_u32 v35, v35, 10, v18
	v_cndmask_b32_e64 v34, v36, v34, s[0:1]
	v_and_or_b32 v2, v2, s44, v35
	v_lshl_or_b32 v2, v34, 7, v2
	v_cvt_f32_f16_e32 v34, v2
.LBB248_65:                             ;   in Loop: Header=BB248_9 Depth=1
	s_or_b64 exec, exec, s[36:37]
	global_load_ushort v2, v[10:11], off offset:776
	s_mov_b64 s[0:1], 0
                                        ; implicit-def: $sgpr38
	s_waitcnt vmcnt(0)
	v_cmp_gt_i16_sdwa s[34:35], v2, s42 src0_sel:BYTE_0 src1_sel:DWORD
	s_and_saveexec_b64 s[36:37], s[34:35]
	s_xor_b64 s[34:35], exec, s[36:37]
	s_cbranch_execnz .LBB248_131
; %bb.66:                               ;   in Loop: Header=BB248_9 Depth=1
	s_or_saveexec_b64 s[34:35], s[34:35]
	v_mov_b32_e32 v10, s38
	s_xor_b64 exec, exec, s[34:35]
	s_cbranch_execnz .LBB248_134
.LBB248_67:                             ;   in Loop: Header=BB248_9 Depth=1
	s_or_b64 exec, exec, s[34:35]
	v_and_b32_e32 v2, 0xffff, v2
	s_and_saveexec_b64 s[34:35], s[0:1]
	s_cbranch_execz .LBB248_69
.LBB248_68:                             ;   in Loop: Header=BB248_9 Depth=1
	v_and_b32_e32 v35, 7, v2
	v_ffbh_u32_e32 v10, v35
	v_min_u32_e32 v37, 32, v10
	v_subrev_u32_e32 v10, 28, v37
	v_bfe_u32 v36, v2, 3, 4
	v_lshlrev_b64 v[10:11], v10, v[2:3]
	v_sub_u32_e32 v11, 29, v37
	v_cmp_eq_u32_e64 s[0:1], 0, v36
	v_and_b32_e32 v10, 7, v10
	s_nop 0
	v_cndmask_b32_e64 v11, v36, v11, s[0:1]
	v_cndmask_b32_e64 v10, v35, v10, s[0:1]
	v_lshlrev_b32_e32 v35, 8, v2
	v_lshl_add_u32 v11, v11, 10, v18
	v_and_or_b32 v11, v35, s44, v11
	v_lshl_or_b32 v10, v10, 7, v11
	v_cvt_f32_f16_e32 v10, v10
.LBB248_69:                             ;   in Loop: Header=BB248_9 Depth=1
	s_or_b64 exec, exec, s[34:35]
	v_lshrrev_b16_e32 v2, 8, v2
	v_cmp_lt_i16_e64 s[0:1], s42, v2
	s_mov_b64 s[34:35], 0
                                        ; implicit-def: $sgpr45
	s_and_saveexec_b64 s[36:37], s[0:1]
	s_xor_b64 s[36:37], exec, s[36:37]
	s_cbranch_execnz .LBB248_135
; %bb.70:                               ;   in Loop: Header=BB248_9 Depth=1
	s_or_saveexec_b64 s[36:37], s[36:37]
	v_mov_b32_e32 v11, s45
	s_xor_b64 exec, exec, s[36:37]
	s_cbranch_execnz .LBB248_138
.LBB248_71:                             ;   in Loop: Header=BB248_9 Depth=1
	s_or_b64 exec, exec, s[36:37]
	s_and_saveexec_b64 s[36:37], s[34:35]
	s_cbranch_execz .LBB248_73
.LBB248_72:                             ;   in Loop: Header=BB248_9 Depth=1
	v_and_b32_e32 v11, 7, v2
	v_ffbh_u32_e32 v36, v11
	v_min_u32_e32 v38, 32, v36
	v_subrev_u32_e32 v36, 28, v38
	v_bfe_u32 v35, v2, 3, 4
	v_lshlrev_b64 v[36:37], v36, v[2:3]
	v_sub_u32_e32 v37, 29, v38
	v_cmp_eq_u32_e64 s[0:1], 0, v35
	v_and_b32_e32 v36, 7, v36
	v_lshlrev_b32_e32 v2, 8, v2
	v_cndmask_b32_e64 v35, v35, v37, s[0:1]
	v_lshl_add_u32 v35, v35, 10, v18
	v_cndmask_b32_e64 v11, v11, v36, s[0:1]
	v_and_or_b32 v2, v2, s44, v35
	v_lshl_or_b32 v2, v11, 7, v2
	v_cvt_f32_f16_e32 v11, v2
.LBB248_73:                             ;   in Loop: Header=BB248_9 Depth=1
	s_or_b64 exec, exec, s[36:37]
	ds_read_b32 v2, v15
	v_fma_mixlo_f16 v21, v20, v21, 0
	v_fma_mixlo_f16 v22, v20, v22, 0
	v_and_b32_e32 v21, 0xffff, v21
	v_and_b32_e32 v22, 0xffff, v22
	s_waitcnt lgkmcnt(0)
	v_lshrrev_b32_e32 v35, 16, v2
	v_and_b32_e32 v2, 0xffff, v2
	;;#ASMSTART
	v_cvt_f32_f16 v2, v2;
	;;#ASMEND
	;;#ASMSTART
	v_cvt_f32_f16 v35, v35;
	;;#ASMEND
	;;#ASMSTART
	v_cvt_f32_f16 v21, v21;
	;;#ASMEND
	;;#ASMSTART
	v_cvt_f32_f16 v22, v22;
	;;#ASMEND
	ds_read_b32 v36, v15 offset:4
	v_fma_mixlo_f16 v23, v20, v23, 0
	v_fma_mixlo_f16 v24, v20, v24, 0
	v_and_b32_e32 v23, 0xffff, v23
	v_and_b32_e32 v24, 0xffff, v24
	s_waitcnt lgkmcnt(0)
	v_lshrrev_b32_e32 v37, 16, v36
	v_and_b32_e32 v36, 0xffff, v36
	;;#ASMSTART
	v_cvt_f32_f16 v36, v36;
	;;#ASMEND
	;;#ASMSTART
	v_cvt_f32_f16 v37, v37;
	;;#ASMEND
	;;#ASMSTART
	v_cvt_f32_f16 v23, v23;
	;;#ASMEND
	;;#ASMSTART
	v_cvt_f32_f16 v24, v24;
	;;#ASMEND
	ds_read_b32 v38, v15 offset:8
	v_fma_mixlo_f16 v25, v20, v25, 0
	v_fma_mixlo_f16 v26, v20, v26, 0
	v_and_b32_e32 v25, 0xffff, v25
	v_and_b32_e32 v26, 0xffff, v26
	s_waitcnt lgkmcnt(0)
	v_lshrrev_b32_e32 v39, 16, v38
	v_and_b32_e32 v38, 0xffff, v38
	;;#ASMSTART
	v_cvt_f32_f16 v38, v38;
	;;#ASMEND
	;;#ASMSTART
	v_cvt_f32_f16 v39, v39;
	;;#ASMEND
	;;#ASMSTART
	v_cvt_f32_f16 v25, v25;
	;;#ASMEND
	;;#ASMSTART
	v_cvt_f32_f16 v26, v26;
	;;#ASMEND
	ds_read_b32 v40, v15 offset:12
	v_fma_mixlo_f16 v27, v20, v27, 0
	v_fma_mixlo_f16 v28, v20, v28, 0
	v_and_b32_e32 v27, 0xffff, v27
	v_and_b32_e32 v28, 0xffff, v28
	s_waitcnt lgkmcnt(0)
	v_lshrrev_b32_e32 v41, 16, v40
	v_and_b32_e32 v40, 0xffff, v40
	;;#ASMSTART
	v_cvt_f32_f16 v40, v40;
	;;#ASMEND
	;;#ASMSTART
	v_cvt_f32_f16 v41, v41;
	;;#ASMEND
	;;#ASMSTART
	v_cvt_f32_f16 v27, v27;
	;;#ASMEND
	;;#ASMSTART
	v_cvt_f32_f16 v28, v28;
	;;#ASMEND
	ds_read_b32 v42, v15 offset:16
	v_fma_mixlo_f16 v33, v20, v33, 0
	v_fma_mixlo_f16 v34, v20, v34, 0
	;; [unrolled: 1-line block ×8, first 2 shown]
	v_mul_f32_e32 v20, v36, v23
	v_fmac_f32_e32 v20, v2, v21
	s_waitcnt lgkmcnt(0)
	v_lshrrev_b32_e32 v2, 16, v42
	v_and_b32_e32 v21, 0xffff, v42
	v_and_b32_e32 v23, 0xffff, v29
	;; [unrolled: 1-line block ×3, first 2 shown]
	;;#ASMSTART
	v_cvt_f32_f16 v21, v21;
	;;#ASMEND
	;;#ASMSTART
	v_cvt_f32_f16 v2, v2;
	;;#ASMEND
	;; [unrolled: 3-line block ×4, first 2 shown]
	ds_read_b32 v30, v15 offset:20
	v_mul_f32_e32 v24, v37, v24
	v_fmac_f32_e32 v24, v35, v22
	v_fmac_f32_e32 v20, v38, v25
	;; [unrolled: 1-line block ×3, first 2 shown]
	s_waitcnt lgkmcnt(0)
	v_lshrrev_b32_e32 v22, 16, v30
	v_and_b32_e32 v25, 0xffff, v30
	v_and_b32_e32 v26, 0xffff, v31
	;; [unrolled: 1-line block ×3, first 2 shown]
	;;#ASMSTART
	v_cvt_f32_f16 v25, v25;
	;;#ASMEND
	;;#ASMSTART
	v_cvt_f32_f16 v22, v22;
	;;#ASMEND
	;;#ASMSTART
	v_cvt_f32_f16 v26, v26;
	;;#ASMEND
	;;#ASMSTART
	v_cvt_f32_f16 v30, v30;
	;;#ASMEND
	ds_read_b32 v31, v15 offset:24
	v_fmac_f32_e32 v20, v40, v27
	v_fmac_f32_e32 v24, v41, v28
	;; [unrolled: 1-line block ×4, first 2 shown]
	s_waitcnt lgkmcnt(0)
	v_lshrrev_b32_e32 v2, 16, v31
	v_and_b32_e32 v21, 0xffff, v31
	v_and_b32_e32 v23, 0xffff, v33
	;; [unrolled: 1-line block ×3, first 2 shown]
	;;#ASMSTART
	v_cvt_f32_f16 v21, v21;
	;;#ASMEND
	;;#ASMSTART
	v_cvt_f32_f16 v2, v2;
	;;#ASMEND
	;; [unrolled: 3-line block ×4, first 2 shown]
	ds_read_b32 v28, v15 offset:28
	v_fmac_f32_e32 v20, v25, v26
	v_fmac_f32_e32 v24, v22, v30
	;; [unrolled: 1-line block ×4, first 2 shown]
	s_waitcnt lgkmcnt(0)
	v_lshrrev_b32_e32 v2, 16, v28
	v_and_b32_e32 v21, 0xffff, v28
	;;#ASMSTART
	v_cvt_f32_f16 v21, v21;
	;;#ASMEND
	;;#ASMSTART
	v_cvt_f32_f16 v2, v2;
	;;#ASMEND
	v_and_b32_e32 v10, 0xffff, v10
	v_and_b32_e32 v11, 0xffff, v11
	;;#ASMSTART
	v_cvt_f32_f16 v10, v10;
	;;#ASMEND
	;;#ASMSTART
	v_cvt_f32_f16 v11, v11;
	;;#ASMEND
	s_nop 0
	v_fmac_f32_e32 v24, v2, v11
	v_and_b32_e32 v2, 64, v14
	v_add_u32_e32 v2, 64, v2
	v_xor_b32_e32 v11, 2, v14
	v_cmp_lt_i32_e64 s[0:1], v11, v2
	v_fmac_f32_e32 v20, v21, v10
	v_add_f32_e32 v10, v20, v24
	v_cndmask_b32_e64 v11, v14, v11, s[0:1]
	v_lshlrev_b32_e32 v11, 2, v11
	ds_bpermute_b32 v11, v11, v10
	s_waitcnt lgkmcnt(0)
	v_add_f32_e32 v10, v10, v11
	v_xor_b32_e32 v11, 1, v14
	v_cmp_lt_i32_e64 s[0:1], v11, v2
	s_nop 1
	v_cndmask_b32_e64 v11, v14, v11, s[0:1]
	v_lshlrev_b32_e32 v11, 2, v11
	ds_bpermute_b32 v11, v11, v10
	s_and_saveexec_b64 s[34:35], vcc
	s_cbranch_execz .LBB248_8
; %bb.74:                               ;   in Loop: Header=BB248_9 Depth=1
	v_add_u32_e32 v20, s41, v16
	v_cvt_f32_i32_e32 v20, v20
	s_waitcnt lgkmcnt(0)
	v_add_f32_e32 v10, v10, v11
	v_cmp_gt_i32_e64 s[0:1], s33, v16
	v_max_f32_e32 v11, v13, v13
	v_mul_f32_e32 v20, s28, v20
	v_cndmask_b32_e64 v20, 0, v20, s[2:3]
	v_fmac_f32_e32 v20, s29, v10
	v_cndmask_b32_e64 v10, 0, v20, s[0:1]
	ds_write_b32 v17, v10
	v_max_f32_e32 v10, v11, v20
	v_cndmask_b32_e64 v13, v13, v10, s[0:1]
	s_branch .LBB248_8
.LBB248_75:                             ;   in Loop: Header=BB248_9 Depth=1
	v_cmp_eq_u16_sdwa s[46:47], v2, s43 src0_sel:BYTE_0 src1_sel:DWORD
	s_mov_b64 s[0:1], -1
                                        ; implicit-def: $sgpr38
	s_and_saveexec_b64 s[36:37], s[46:47]
; %bb.76:                               ;   in Loop: Header=BB248_9 Depth=1
	s_mov_b32 s38, 0x7fc02000
	s_xor_b64 s[0:1], exec, -1
; %bb.77:                               ;   in Loop: Header=BB248_9 Depth=1
	s_or_b64 exec, exec, s[36:37]
	s_and_b64 s[0:1], s[0:1], exec
	s_or_saveexec_b64 s[34:35], s[34:35]
	v_mov_b32_e32 v21, s38
	s_xor_b64 exec, exec, s[34:35]
	s_cbranch_execz .LBB248_11
.LBB248_78:                             ;   in Loop: Header=BB248_9 Depth=1
	v_cmp_ne_u16_sdwa s[36:37], v2, v3 src0_sel:BYTE_0 src1_sel:DWORD
	s_andn2_b64 s[0:1], s[0:1], exec
	s_and_b64 s[36:37], s[36:37], exec
	v_mov_b32_e32 v21, 0
	s_or_b64 s[0:1], s[0:1], s[36:37]
	s_or_b64 exec, exec, s[34:35]
	v_and_b32_e32 v2, 0xffff, v2
	s_and_saveexec_b64 s[34:35], s[0:1]
	s_cbranch_execnz .LBB248_12
	s_branch .LBB248_13
.LBB248_79:                             ;   in Loop: Header=BB248_9 Depth=1
	v_cmp_eq_u16_e64 s[0:1], s43, v2
	s_mov_b64 s[34:35], -1
                                        ; implicit-def: $sgpr45
	s_and_saveexec_b64 s[38:39], s[0:1]
; %bb.80:                               ;   in Loop: Header=BB248_9 Depth=1
	s_mov_b32 s45, 0x7fc02000
	s_xor_b64 s[34:35], exec, -1
; %bb.81:                               ;   in Loop: Header=BB248_9 Depth=1
	s_or_b64 exec, exec, s[38:39]
	s_and_b64 s[34:35], s[34:35], exec
	s_or_saveexec_b64 s[36:37], s[36:37]
	v_mov_b32_e32 v22, s45
	s_xor_b64 exec, exec, s[36:37]
	s_cbranch_execz .LBB248_15
.LBB248_82:                             ;   in Loop: Header=BB248_9 Depth=1
	v_cmp_ne_u16_e64 s[0:1], 0, v2
	s_andn2_b64 s[34:35], s[34:35], exec
	s_and_b64 s[0:1], s[0:1], exec
	v_mov_b32_e32 v22, 0
	s_or_b64 s[34:35], s[34:35], s[0:1]
	s_or_b64 exec, exec, s[36:37]
	s_and_saveexec_b64 s[36:37], s[34:35]
	s_cbranch_execnz .LBB248_16
	s_branch .LBB248_17
.LBB248_83:                             ;   in Loop: Header=BB248_9 Depth=1
	v_cmp_eq_u16_sdwa s[46:47], v2, s43 src0_sel:BYTE_0 src1_sel:DWORD
	s_mov_b64 s[0:1], -1
                                        ; implicit-def: $sgpr38
	s_and_saveexec_b64 s[36:37], s[46:47]
; %bb.84:                               ;   in Loop: Header=BB248_9 Depth=1
	s_mov_b32 s38, 0x7fc02000
	s_xor_b64 s[0:1], exec, -1
; %bb.85:                               ;   in Loop: Header=BB248_9 Depth=1
	s_or_b64 exec, exec, s[36:37]
	s_and_b64 s[0:1], s[0:1], exec
	s_or_saveexec_b64 s[34:35], s[34:35]
	v_mov_b32_e32 v23, s38
	s_xor_b64 exec, exec, s[34:35]
	s_cbranch_execz .LBB248_19
.LBB248_86:                             ;   in Loop: Header=BB248_9 Depth=1
	v_cmp_ne_u16_sdwa s[36:37], v2, v3 src0_sel:BYTE_0 src1_sel:DWORD
	s_andn2_b64 s[0:1], s[0:1], exec
	s_and_b64 s[36:37], s[36:37], exec
	v_mov_b32_e32 v23, 0
	s_or_b64 s[0:1], s[0:1], s[36:37]
	s_or_b64 exec, exec, s[34:35]
	v_and_b32_e32 v2, 0xffff, v2
	s_and_saveexec_b64 s[34:35], s[0:1]
	s_cbranch_execnz .LBB248_20
	s_branch .LBB248_21
.LBB248_87:                             ;   in Loop: Header=BB248_9 Depth=1
	v_cmp_eq_u16_e64 s[0:1], s43, v2
	s_mov_b64 s[34:35], -1
                                        ; implicit-def: $sgpr45
	s_and_saveexec_b64 s[38:39], s[0:1]
; %bb.88:                               ;   in Loop: Header=BB248_9 Depth=1
	s_mov_b32 s45, 0x7fc02000
	s_xor_b64 s[34:35], exec, -1
; %bb.89:                               ;   in Loop: Header=BB248_9 Depth=1
	s_or_b64 exec, exec, s[38:39]
	s_and_b64 s[34:35], s[34:35], exec
	s_or_saveexec_b64 s[36:37], s[36:37]
	v_mov_b32_e32 v24, s45
	s_xor_b64 exec, exec, s[36:37]
	s_cbranch_execz .LBB248_23
.LBB248_90:                             ;   in Loop: Header=BB248_9 Depth=1
	v_cmp_ne_u16_e64 s[0:1], 0, v2
	s_andn2_b64 s[34:35], s[34:35], exec
	s_and_b64 s[0:1], s[0:1], exec
	v_mov_b32_e32 v24, 0
	s_or_b64 s[34:35], s[34:35], s[0:1]
	s_or_b64 exec, exec, s[36:37]
	s_and_saveexec_b64 s[36:37], s[34:35]
	s_cbranch_execnz .LBB248_24
	s_branch .LBB248_25
.LBB248_91:                             ;   in Loop: Header=BB248_9 Depth=1
	v_cmp_eq_u16_sdwa s[46:47], v2, s43 src0_sel:BYTE_0 src1_sel:DWORD
	s_mov_b64 s[0:1], -1
                                        ; implicit-def: $sgpr38
	s_and_saveexec_b64 s[36:37], s[46:47]
; %bb.92:                               ;   in Loop: Header=BB248_9 Depth=1
	s_mov_b32 s38, 0x7fc02000
	s_xor_b64 s[0:1], exec, -1
; %bb.93:                               ;   in Loop: Header=BB248_9 Depth=1
	s_or_b64 exec, exec, s[36:37]
	s_and_b64 s[0:1], s[0:1], exec
	s_or_saveexec_b64 s[34:35], s[34:35]
	v_mov_b32_e32 v25, s38
	s_xor_b64 exec, exec, s[34:35]
	s_cbranch_execz .LBB248_27
.LBB248_94:                             ;   in Loop: Header=BB248_9 Depth=1
	v_cmp_ne_u16_sdwa s[36:37], v2, v3 src0_sel:BYTE_0 src1_sel:DWORD
	s_andn2_b64 s[0:1], s[0:1], exec
	s_and_b64 s[36:37], s[36:37], exec
	v_mov_b32_e32 v25, 0
	s_or_b64 s[0:1], s[0:1], s[36:37]
	s_or_b64 exec, exec, s[34:35]
	v_and_b32_e32 v2, 0xffff, v2
	s_and_saveexec_b64 s[34:35], s[0:1]
	s_cbranch_execnz .LBB248_28
	s_branch .LBB248_29
.LBB248_95:                             ;   in Loop: Header=BB248_9 Depth=1
	v_cmp_eq_u16_e64 s[0:1], s43, v2
	s_mov_b64 s[34:35], -1
                                        ; implicit-def: $sgpr45
	s_and_saveexec_b64 s[38:39], s[0:1]
; %bb.96:                               ;   in Loop: Header=BB248_9 Depth=1
	s_mov_b32 s45, 0x7fc02000
	s_xor_b64 s[34:35], exec, -1
; %bb.97:                               ;   in Loop: Header=BB248_9 Depth=1
	s_or_b64 exec, exec, s[38:39]
	s_and_b64 s[34:35], s[34:35], exec
	s_or_saveexec_b64 s[36:37], s[36:37]
	v_mov_b32_e32 v26, s45
	s_xor_b64 exec, exec, s[36:37]
	s_cbranch_execz .LBB248_31
.LBB248_98:                             ;   in Loop: Header=BB248_9 Depth=1
	v_cmp_ne_u16_e64 s[0:1], 0, v2
	s_andn2_b64 s[34:35], s[34:35], exec
	s_and_b64 s[0:1], s[0:1], exec
	v_mov_b32_e32 v26, 0
	s_or_b64 s[34:35], s[34:35], s[0:1]
	s_or_b64 exec, exec, s[36:37]
	s_and_saveexec_b64 s[36:37], s[34:35]
	s_cbranch_execnz .LBB248_32
	s_branch .LBB248_33
.LBB248_99:                             ;   in Loop: Header=BB248_9 Depth=1
	v_cmp_eq_u16_sdwa s[46:47], v2, s43 src0_sel:BYTE_0 src1_sel:DWORD
	s_mov_b64 s[0:1], -1
                                        ; implicit-def: $sgpr38
	s_and_saveexec_b64 s[36:37], s[46:47]
; %bb.100:                              ;   in Loop: Header=BB248_9 Depth=1
	s_mov_b32 s38, 0x7fc02000
	s_xor_b64 s[0:1], exec, -1
; %bb.101:                              ;   in Loop: Header=BB248_9 Depth=1
	s_or_b64 exec, exec, s[36:37]
	s_and_b64 s[0:1], s[0:1], exec
	s_or_saveexec_b64 s[34:35], s[34:35]
	v_mov_b32_e32 v27, s38
	s_xor_b64 exec, exec, s[34:35]
	s_cbranch_execz .LBB248_35
.LBB248_102:                            ;   in Loop: Header=BB248_9 Depth=1
	v_cmp_ne_u16_sdwa s[36:37], v2, v3 src0_sel:BYTE_0 src1_sel:DWORD
	s_andn2_b64 s[0:1], s[0:1], exec
	s_and_b64 s[36:37], s[36:37], exec
	v_mov_b32_e32 v27, 0
	s_or_b64 s[0:1], s[0:1], s[36:37]
	s_or_b64 exec, exec, s[34:35]
	v_and_b32_e32 v2, 0xffff, v2
	s_and_saveexec_b64 s[34:35], s[0:1]
	s_cbranch_execnz .LBB248_36
	s_branch .LBB248_37
.LBB248_103:                            ;   in Loop: Header=BB248_9 Depth=1
	v_cmp_eq_u16_e64 s[0:1], s43, v2
	s_mov_b64 s[34:35], -1
                                        ; implicit-def: $sgpr45
	s_and_saveexec_b64 s[38:39], s[0:1]
; %bb.104:                              ;   in Loop: Header=BB248_9 Depth=1
	s_mov_b32 s45, 0x7fc02000
	s_xor_b64 s[34:35], exec, -1
; %bb.105:                              ;   in Loop: Header=BB248_9 Depth=1
	s_or_b64 exec, exec, s[38:39]
	s_and_b64 s[34:35], s[34:35], exec
	s_or_saveexec_b64 s[36:37], s[36:37]
	v_mov_b32_e32 v28, s45
	s_xor_b64 exec, exec, s[36:37]
	s_cbranch_execz .LBB248_39
.LBB248_106:                            ;   in Loop: Header=BB248_9 Depth=1
	v_cmp_ne_u16_e64 s[0:1], 0, v2
	s_andn2_b64 s[34:35], s[34:35], exec
	s_and_b64 s[0:1], s[0:1], exec
	v_mov_b32_e32 v28, 0
	s_or_b64 s[34:35], s[34:35], s[0:1]
	s_or_b64 exec, exec, s[36:37]
	s_and_saveexec_b64 s[36:37], s[34:35]
	s_cbranch_execnz .LBB248_40
	s_branch .LBB248_41
.LBB248_107:                            ;   in Loop: Header=BB248_9 Depth=1
	v_cmp_eq_u16_sdwa s[46:47], v2, s43 src0_sel:BYTE_0 src1_sel:DWORD
	s_mov_b64 s[0:1], -1
                                        ; implicit-def: $sgpr38
	s_and_saveexec_b64 s[36:37], s[46:47]
; %bb.108:                              ;   in Loop: Header=BB248_9 Depth=1
	s_mov_b32 s38, 0x7fc02000
	s_xor_b64 s[0:1], exec, -1
; %bb.109:                              ;   in Loop: Header=BB248_9 Depth=1
	s_or_b64 exec, exec, s[36:37]
	s_and_b64 s[0:1], s[0:1], exec
	s_or_saveexec_b64 s[34:35], s[34:35]
	v_mov_b32_e32 v29, s38
	s_xor_b64 exec, exec, s[34:35]
	s_cbranch_execz .LBB248_43
.LBB248_110:                            ;   in Loop: Header=BB248_9 Depth=1
	v_cmp_ne_u16_sdwa s[36:37], v2, v3 src0_sel:BYTE_0 src1_sel:DWORD
	s_andn2_b64 s[0:1], s[0:1], exec
	s_and_b64 s[36:37], s[36:37], exec
	v_mov_b32_e32 v29, 0
	s_or_b64 s[0:1], s[0:1], s[36:37]
	s_or_b64 exec, exec, s[34:35]
	v_and_b32_e32 v2, 0xffff, v2
	s_and_saveexec_b64 s[34:35], s[0:1]
	s_cbranch_execnz .LBB248_44
	s_branch .LBB248_45
.LBB248_111:                            ;   in Loop: Header=BB248_9 Depth=1
	v_cmp_eq_u16_e64 s[0:1], s43, v2
	s_mov_b64 s[34:35], -1
                                        ; implicit-def: $sgpr45
	s_and_saveexec_b64 s[38:39], s[0:1]
; %bb.112:                              ;   in Loop: Header=BB248_9 Depth=1
	s_mov_b32 s45, 0x7fc02000
	s_xor_b64 s[34:35], exec, -1
; %bb.113:                              ;   in Loop: Header=BB248_9 Depth=1
	s_or_b64 exec, exec, s[38:39]
	s_and_b64 s[34:35], s[34:35], exec
	s_or_saveexec_b64 s[36:37], s[36:37]
	v_mov_b32_e32 v30, s45
	s_xor_b64 exec, exec, s[36:37]
	s_cbranch_execz .LBB248_47
.LBB248_114:                            ;   in Loop: Header=BB248_9 Depth=1
	v_cmp_ne_u16_e64 s[0:1], 0, v2
	s_andn2_b64 s[34:35], s[34:35], exec
	s_and_b64 s[0:1], s[0:1], exec
	v_mov_b32_e32 v30, 0
	s_or_b64 s[34:35], s[34:35], s[0:1]
	s_or_b64 exec, exec, s[36:37]
	s_and_saveexec_b64 s[36:37], s[34:35]
	s_cbranch_execnz .LBB248_48
	s_branch .LBB248_49
.LBB248_115:                            ;   in Loop: Header=BB248_9 Depth=1
	v_cmp_eq_u16_sdwa s[46:47], v2, s43 src0_sel:BYTE_0 src1_sel:DWORD
	s_mov_b64 s[0:1], -1
                                        ; implicit-def: $sgpr38
	s_and_saveexec_b64 s[36:37], s[46:47]
; %bb.116:                              ;   in Loop: Header=BB248_9 Depth=1
	s_mov_b32 s38, 0x7fc02000
	s_xor_b64 s[0:1], exec, -1
; %bb.117:                              ;   in Loop: Header=BB248_9 Depth=1
	s_or_b64 exec, exec, s[36:37]
	s_and_b64 s[0:1], s[0:1], exec
	s_or_saveexec_b64 s[34:35], s[34:35]
	v_mov_b32_e32 v31, s38
	s_xor_b64 exec, exec, s[34:35]
	s_cbranch_execz .LBB248_51
.LBB248_118:                            ;   in Loop: Header=BB248_9 Depth=1
	v_cmp_ne_u16_sdwa s[36:37], v2, v3 src0_sel:BYTE_0 src1_sel:DWORD
	s_andn2_b64 s[0:1], s[0:1], exec
	s_and_b64 s[36:37], s[36:37], exec
	v_mov_b32_e32 v31, 0
	s_or_b64 s[0:1], s[0:1], s[36:37]
	s_or_b64 exec, exec, s[34:35]
	v_and_b32_e32 v2, 0xffff, v2
	s_and_saveexec_b64 s[34:35], s[0:1]
	s_cbranch_execnz .LBB248_52
	s_branch .LBB248_53
.LBB248_119:                            ;   in Loop: Header=BB248_9 Depth=1
	v_cmp_eq_u16_e64 s[0:1], s43, v2
	s_mov_b64 s[34:35], -1
                                        ; implicit-def: $sgpr45
	s_and_saveexec_b64 s[38:39], s[0:1]
; %bb.120:                              ;   in Loop: Header=BB248_9 Depth=1
	s_mov_b32 s45, 0x7fc02000
	s_xor_b64 s[34:35], exec, -1
; %bb.121:                              ;   in Loop: Header=BB248_9 Depth=1
	s_or_b64 exec, exec, s[38:39]
	s_and_b64 s[34:35], s[34:35], exec
	s_or_saveexec_b64 s[36:37], s[36:37]
	v_mov_b32_e32 v32, s45
	s_xor_b64 exec, exec, s[36:37]
	s_cbranch_execz .LBB248_55
.LBB248_122:                            ;   in Loop: Header=BB248_9 Depth=1
	v_cmp_ne_u16_e64 s[0:1], 0, v2
	s_andn2_b64 s[34:35], s[34:35], exec
	s_and_b64 s[0:1], s[0:1], exec
	v_mov_b32_e32 v32, 0
	s_or_b64 s[34:35], s[34:35], s[0:1]
	s_or_b64 exec, exec, s[36:37]
	s_and_saveexec_b64 s[36:37], s[34:35]
	s_cbranch_execnz .LBB248_56
	s_branch .LBB248_57
.LBB248_123:                            ;   in Loop: Header=BB248_9 Depth=1
	v_cmp_eq_u16_sdwa s[46:47], v2, s43 src0_sel:BYTE_0 src1_sel:DWORD
	s_mov_b64 s[0:1], -1
                                        ; implicit-def: $sgpr38
	s_and_saveexec_b64 s[36:37], s[46:47]
; %bb.124:                              ;   in Loop: Header=BB248_9 Depth=1
	s_mov_b32 s38, 0x7fc02000
	s_xor_b64 s[0:1], exec, -1
; %bb.125:                              ;   in Loop: Header=BB248_9 Depth=1
	s_or_b64 exec, exec, s[36:37]
	s_and_b64 s[0:1], s[0:1], exec
	s_or_saveexec_b64 s[34:35], s[34:35]
	v_mov_b32_e32 v33, s38
	s_xor_b64 exec, exec, s[34:35]
	s_cbranch_execz .LBB248_59
.LBB248_126:                            ;   in Loop: Header=BB248_9 Depth=1
	v_cmp_ne_u16_sdwa s[36:37], v2, v3 src0_sel:BYTE_0 src1_sel:DWORD
	s_andn2_b64 s[0:1], s[0:1], exec
	s_and_b64 s[36:37], s[36:37], exec
	v_mov_b32_e32 v33, 0
	s_or_b64 s[0:1], s[0:1], s[36:37]
	s_or_b64 exec, exec, s[34:35]
	v_and_b32_e32 v2, 0xffff, v2
	s_and_saveexec_b64 s[34:35], s[0:1]
	s_cbranch_execnz .LBB248_60
	s_branch .LBB248_61
.LBB248_127:                            ;   in Loop: Header=BB248_9 Depth=1
	v_cmp_eq_u16_e64 s[0:1], s43, v2
	s_mov_b64 s[34:35], -1
                                        ; implicit-def: $sgpr45
	s_and_saveexec_b64 s[38:39], s[0:1]
; %bb.128:                              ;   in Loop: Header=BB248_9 Depth=1
	s_mov_b32 s45, 0x7fc02000
	s_xor_b64 s[34:35], exec, -1
; %bb.129:                              ;   in Loop: Header=BB248_9 Depth=1
	s_or_b64 exec, exec, s[38:39]
	s_and_b64 s[34:35], s[34:35], exec
	s_or_saveexec_b64 s[36:37], s[36:37]
	v_mov_b32_e32 v34, s45
	s_xor_b64 exec, exec, s[36:37]
	s_cbranch_execz .LBB248_63
.LBB248_130:                            ;   in Loop: Header=BB248_9 Depth=1
	v_cmp_ne_u16_e64 s[0:1], 0, v2
	s_andn2_b64 s[34:35], s[34:35], exec
	s_and_b64 s[0:1], s[0:1], exec
	v_mov_b32_e32 v34, 0
	s_or_b64 s[34:35], s[34:35], s[0:1]
	s_or_b64 exec, exec, s[36:37]
	s_and_saveexec_b64 s[36:37], s[34:35]
	s_cbranch_execnz .LBB248_64
	s_branch .LBB248_65
.LBB248_131:                            ;   in Loop: Header=BB248_9 Depth=1
	v_cmp_eq_u16_sdwa s[46:47], v2, s43 src0_sel:BYTE_0 src1_sel:DWORD
	s_mov_b64 s[0:1], -1
                                        ; implicit-def: $sgpr38
	s_and_saveexec_b64 s[36:37], s[46:47]
; %bb.132:                              ;   in Loop: Header=BB248_9 Depth=1
	s_mov_b32 s38, 0x7fc02000
	s_xor_b64 s[0:1], exec, -1
; %bb.133:                              ;   in Loop: Header=BB248_9 Depth=1
	s_or_b64 exec, exec, s[36:37]
	s_and_b64 s[0:1], s[0:1], exec
	s_or_saveexec_b64 s[34:35], s[34:35]
	v_mov_b32_e32 v10, s38
	s_xor_b64 exec, exec, s[34:35]
	s_cbranch_execz .LBB248_67
.LBB248_134:                            ;   in Loop: Header=BB248_9 Depth=1
	v_cmp_ne_u16_sdwa s[36:37], v2, v3 src0_sel:BYTE_0 src1_sel:DWORD
	s_andn2_b64 s[0:1], s[0:1], exec
	s_and_b64 s[36:37], s[36:37], exec
	v_mov_b32_e32 v10, 0
	s_or_b64 s[0:1], s[0:1], s[36:37]
	s_or_b64 exec, exec, s[34:35]
	v_and_b32_e32 v2, 0xffff, v2
	s_and_saveexec_b64 s[34:35], s[0:1]
	s_cbranch_execnz .LBB248_68
	s_branch .LBB248_69
.LBB248_135:                            ;   in Loop: Header=BB248_9 Depth=1
	v_cmp_eq_u16_e64 s[0:1], s43, v2
	s_mov_b64 s[34:35], -1
                                        ; implicit-def: $sgpr45
	s_and_saveexec_b64 s[38:39], s[0:1]
; %bb.136:                              ;   in Loop: Header=BB248_9 Depth=1
	s_mov_b32 s45, 0x7fc02000
	s_xor_b64 s[34:35], exec, -1
; %bb.137:                              ;   in Loop: Header=BB248_9 Depth=1
	s_or_b64 exec, exec, s[38:39]
	s_and_b64 s[34:35], s[34:35], exec
	s_or_saveexec_b64 s[36:37], s[36:37]
	v_mov_b32_e32 v11, s45
	s_xor_b64 exec, exec, s[36:37]
	s_cbranch_execz .LBB248_71
.LBB248_138:                            ;   in Loop: Header=BB248_9 Depth=1
	v_cmp_ne_u16_e64 s[0:1], 0, v2
	s_andn2_b64 s[34:35], s[34:35], exec
	s_and_b64 s[0:1], s[0:1], exec
	v_mov_b32_e32 v11, 0
	s_or_b64 s[34:35], s[34:35], s[0:1]
	s_or_b64 exec, exec, s[36:37]
	s_and_saveexec_b64 s[36:37], s[34:35]
	s_cbranch_execnz .LBB248_72
	s_branch .LBB248_73
.LBB248_139:
	s_or_b64 exec, exec, s[14:15]
.LBB248_140:
	s_or_b64 exec, exec, s[30:31]
	v_xor_b32_e32 v3, 32, v14
	v_cmp_lt_i32_e32 vcc, v3, v2
	v_xor_b32_e32 v6, 16, v14
	v_max_f32_e32 v5, v13, v13
	v_cndmask_b32_e32 v3, v14, v3, vcc
	v_lshlrev_b32_e32 v3, 2, v3
	ds_bpermute_b32 v4, v3, v13
	v_cmp_lt_i32_e32 vcc, v6, v2
	v_xor_b32_e32 v7, 8, v14
	v_xor_b32_e32 v8, 4, v14
	v_and_b32_e32 v13, 63, v0
	s_waitcnt lgkmcnt(0)
	v_max_f32_e32 v4, v4, v4
	v_max_f32_e32 v5, v5, v4
	v_cndmask_b32_e32 v4, v14, v6, vcc
	v_lshlrev_b32_e32 v4, 2, v4
	ds_bpermute_b32 v6, v4, v5
	v_cmp_lt_i32_e32 vcc, v7, v2
	s_waitcnt lgkmcnt(0)
	v_max_f32_e32 v6, v6, v6
	v_max_f32_e32 v5, v5, v6
	v_cndmask_b32_e32 v6, v14, v7, vcc
	v_lshlrev_b32_e32 v7, 2, v6
	ds_bpermute_b32 v6, v7, v5
	v_cmp_lt_i32_e32 vcc, v8, v2
	s_waitcnt lgkmcnt(0)
	v_max_f32_e32 v6, v6, v6
	v_max_f32_e32 v6, v5, v6
	v_cndmask_b32_e32 v5, v14, v8, vcc
	v_lshlrev_b32_e32 v8, 2, v5
	ds_bpermute_b32 v9, v8, v6
	v_cmp_eq_u32_e32 vcc, 0, v13
	v_lshlrev_b32_e32 v5, 2, v1
	s_and_saveexec_b64 s[0:1], vcc
	s_cbranch_execz .LBB248_142
; %bb.141:
	s_waitcnt lgkmcnt(0)
	v_max_f32_e32 v9, v9, v9
	v_max_f32_e32 v6, v6, v6
	;; [unrolled: 1-line block ×3, first 2 shown]
	ds_write_b32 v5, v6 offset:128
.LBB248_142:
	s_or_b64 exec, exec, s[0:1]
	v_cmp_gt_u32_e64 s[0:1], 2, v13
	s_waitcnt lgkmcnt(0)
	v_mov_b32_e32 v9, 0xff7fffff
	v_lshlrev_b32_e32 v6, 2, v13
	s_barrier
	s_and_saveexec_b64 s[2:3], s[0:1]
	s_cbranch_execz .LBB248_144
; %bb.143:
	ds_read_b32 v9, v6 offset:128
.LBB248_144:
	s_or_b64 exec, exec, s[2:3]
	v_xor_b32_e32 v10, 1, v14
	v_cmp_lt_i32_e64 s[2:3], v10, v2
	v_lshlrev_b32_e32 v11, 2, v14
	s_nop 0
	v_cndmask_b32_e64 v10, v14, v10, s[2:3]
	v_lshlrev_b32_e32 v20, 2, v10
	s_waitcnt lgkmcnt(0)
	ds_bpermute_b32 v10, v20, v9
	v_max_f32_e32 v9, v9, v9
	s_lshl_b32 s2, s19, 4
	s_min_i32 s30, s2, s33
	v_cmp_gt_i32_e64 s[2:3], s30, v0
	s_waitcnt lgkmcnt(0)
	v_max_f32_e32 v10, v10, v10
	v_max_f32_e32 v10, v9, v10
	v_and_b32_e32 v9, 0xffffff00, v11
	ds_bpermute_b32 v11, v9, v10
	v_mov_b32_e32 v10, 0
	s_and_saveexec_b64 s[14:15], s[2:3]
	s_cbranch_execz .LBB248_148
; %bb.145:
	v_mov_b32_e32 v10, 0x90
	v_lshl_add_u32 v15, v0, 2, v10
	s_mov_b64 s[28:29], 0
	v_mov_b32_e32 v10, 0
	v_mov_b32_e32 v16, v0
.LBB248_146:                            ; =>This Inner Loop Header: Depth=1
	ds_read_b32 v17, v15
	v_add_u32_e32 v16, 0x80, v16
	v_cmp_le_i32_e64 s[8:9], s30, v16
	s_or_b64 s[28:29], s[8:9], s[28:29]
	s_waitcnt lgkmcnt(0)
	v_sub_f32_e32 v17, v17, v11
	v_mul_f32_e32 v17, 0x3fb8aa3b, v17
	v_exp_f32_e32 v17, v17
	ds_write_b32 v15, v17
	v_add_f32_e32 v10, v10, v17
	v_add_u32_e32 v15, 0x200, v15
	s_andn2_b64 exec, exec, s[28:29]
	s_cbranch_execnz .LBB248_146
; %bb.147:
	s_or_b64 exec, exec, s[28:29]
.LBB248_148:
	s_or_b64 exec, exec, s[14:15]
	ds_bpermute_b32 v3, v3, v10
	s_waitcnt lgkmcnt(0)
	v_add_f32_e32 v3, v10, v3
	ds_bpermute_b32 v4, v4, v3
	s_waitcnt lgkmcnt(0)
	v_add_f32_e32 v3, v3, v4
	ds_bpermute_b32 v4, v7, v3
	v_xor_b32_e32 v7, 2, v14
	v_cmp_lt_i32_e64 s[8:9], v7, v2
	s_waitcnt lgkmcnt(0)
	v_add_f32_e32 v3, v3, v4
	ds_bpermute_b32 v4, v8, v3
	v_cndmask_b32_e64 v2, v14, v7, s[8:9]
	v_lshlrev_b32_e32 v2, 2, v2
	s_waitcnt lgkmcnt(0)
	v_add_f32_e32 v3, v3, v4
	ds_bpermute_b32 v2, v2, v3
	s_waitcnt lgkmcnt(0)
	v_add_f32_e32 v2, v3, v2
	ds_bpermute_b32 v3, v20, v2
	s_waitcnt lgkmcnt(0)
	v_add_f32_e32 v2, v2, v3
	s_and_saveexec_b64 s[8:9], vcc
	s_cbranch_execz .LBB248_150
; %bb.149:
	ds_write_b32 v5, v2 offset:136
.LBB248_150:
	s_or_b64 exec, exec, s[8:9]
	s_waitcnt lgkmcnt(0)
	s_barrier
	s_and_saveexec_b64 s[8:9], s[0:1]
	s_cbranch_execz .LBB248_152
; %bb.151:
	ds_read_b32 v2, v6 offset:136
.LBB248_152:
	s_or_b64 exec, exec, s[8:9]
	s_waitcnt lgkmcnt(0)
	ds_bpermute_b32 v3, v20, v2
	s_waitcnt lgkmcnt(0)
	v_add_f32_e32 v2, v2, v3
	ds_bpermute_b32 v2, v9, v2
	s_and_saveexec_b64 s[0:1], s[2:3]
	s_cbranch_execz .LBB248_165
; %bb.153:
	s_waitcnt lgkmcnt(0)
	v_add_f32_e32 v2, 0x358637bd, v2
	v_div_scale_f32 v3, s[2:3], v2, v2, 1.0
	v_rcp_f32_e32 v4, v3
	v_div_scale_f32 v5, vcc, 1.0, v2, 1.0
	s_movk_i32 s2, 0x7f
	v_fma_f32 v6, -v3, v4, 1.0
	v_fmac_f32_e32 v4, v6, v4
	v_mul_f32_e32 v6, v5, v4
	v_fma_f32 v7, -v3, v6, v5
	v_fmac_f32_e32 v6, v7, v4
	v_fma_f32 v3, -v3, v6, v5
	v_div_fmas_f32 v3, v3, v4, v6
	v_xad_u32 v4, v0, -1, s30
	v_div_fixup_f32 v2, v3, v2, 1.0
	v_cmp_lt_u32_e32 vcc, s2, v4
	s_mov_b64 s[8:9], -1
	v_mov_b32_e32 v3, v0
	s_and_saveexec_b64 s[2:3], vcc
	s_cbranch_execz .LBB248_162
; %bb.154:
	v_lshrrev_b32_e32 v4, 7, v4
	v_add_u32_e32 v6, -1, v4
	v_lshrrev_b32_e32 v5, 1, v6
	v_mov_b32_e32 v3, v2
	v_add_u32_e32 v5, 1, v5
	v_cmp_lt_u32_e32 vcc, 13, v6
	v_mov_b32_e32 v8, 0
	s_and_saveexec_b64 s[8:9], vcc
	s_cbranch_execz .LBB248_158
; %bb.155:
	v_mov_b32_e32 v7, 0x90
	v_and_b32_e32 v6, -8, v5
	v_lshl_add_u32 v7, v0, 2, v7
	s_mov_b32 s28, 0
	s_mov_b64 s[14:15], 0
.LBB248_156:                            ; =>This Inner Loop Header: Depth=1
	ds_read2st64_b32 v[8:9], v7 offset1:2
	ds_read2st64_b32 v[10:11], v7 offset0:4 offset1:6
	ds_read2st64_b32 v[14:15], v7 offset0:8 offset1:10
	;; [unrolled: 1-line block ×3, first 2 shown]
	v_add_u32_e32 v6, -8, v6
	s_waitcnt lgkmcnt(3)
	v_pk_mul_f32 v[8:9], v[2:3], v[8:9]
	s_waitcnt lgkmcnt(2)
	v_pk_mul_f32 v[10:11], v[2:3], v[10:11]
	ds_write2st64_b32 v7, v8, v9 offset1:2
	ds_write2st64_b32 v7, v10, v11 offset0:4 offset1:6
	ds_read2st64_b32 v[10:11], v7 offset0:16 offset1:18
	s_waitcnt lgkmcnt(4)
	v_pk_mul_f32 v[8:9], v[2:3], v[14:15]
	ds_write2st64_b32 v7, v8, v9 offset0:8 offset1:10
	s_waitcnt lgkmcnt(4)
	v_pk_mul_f32 v[8:9], v[2:3], v[16:17]
	ds_write2st64_b32 v7, v8, v9 offset0:12 offset1:14
	ds_read2st64_b32 v[8:9], v7 offset0:20 offset1:22
	s_waitcnt lgkmcnt(3)
	v_pk_mul_f32 v[10:11], v[2:3], v[10:11]
	ds_read2st64_b32 v[14:15], v7 offset0:24 offset1:26
	ds_write2st64_b32 v7, v10, v11 offset0:16 offset1:18
	ds_read2st64_b32 v[10:11], v7 offset0:28 offset1:30
	s_waitcnt lgkmcnt(3)
	v_pk_mul_f32 v[8:9], v[2:3], v[8:9]
	ds_write2st64_b32 v7, v8, v9 offset0:20 offset1:22
	s_waitcnt lgkmcnt(3)
	v_pk_mul_f32 v[8:9], v[2:3], v[14:15]
	ds_write2st64_b32 v7, v8, v9 offset0:24 offset1:26
	s_waitcnt lgkmcnt(2)
	v_pk_mul_f32 v[8:9], v[2:3], v[10:11]
	s_add_i32 s28, s28, 16
	v_cmp_eq_u32_e32 vcc, 0, v6
	ds_write2st64_b32 v7, v8, v9 offset0:28 offset1:30
	v_add_u32_e32 v7, 0x2000, v7
	s_or_b64 s[14:15], vcc, s[14:15]
	v_mov_b32_e32 v8, s28
	s_andn2_b64 exec, exec, s[14:15]
	s_cbranch_execnz .LBB248_156
; %bb.157:
	s_or_b64 exec, exec, s[14:15]
.LBB248_158:
	s_or_b64 exec, exec, s[8:9]
	v_and_b32_e32 v5, 7, v5
	v_cmp_ne_u32_e32 vcc, 0, v5
	s_and_saveexec_b64 s[8:9], vcc
	s_cbranch_execz .LBB248_161
; %bb.159:
	v_lshlrev_b32_e32 v6, 9, v8
	v_lshlrev_b32_e32 v7, 2, v0
	s_movk_i32 s14, 0x90
	v_add3_u32 v6, v6, v7, s14
	s_mov_b64 s[14:15], 0
.LBB248_160:                            ; =>This Inner Loop Header: Depth=1
	ds_read2st64_b32 v[8:9], v6 offset1:2
	v_add_u32_e32 v5, -1, v5
	v_cmp_eq_u32_e32 vcc, 0, v5
	s_or_b64 s[14:15], vcc, s[14:15]
	s_waitcnt lgkmcnt(0)
	v_pk_mul_f32 v[8:9], v[2:3], v[8:9]
	ds_write2st64_b32 v6, v8, v9 offset1:2
	v_add_u32_e32 v6, 0x400, v6
	s_andn2_b64 exec, exec, s[14:15]
	s_cbranch_execnz .LBB248_160
.LBB248_161:
	s_or_b64 exec, exec, s[8:9]
	v_add_u32_e32 v4, 1, v4
	v_and_b32_e32 v5, 0x3fffffe, v4
	v_cmp_ne_u32_e32 vcc, v4, v5
	v_lshl_add_u32 v3, v5, 7, v0
	s_orn2_b64 s[8:9], vcc, exec
.LBB248_162:
	s_or_b64 exec, exec, s[2:3]
	s_and_b64 exec, exec, s[8:9]
	s_cbranch_execz .LBB248_165
; %bb.163:
	v_mov_b32_e32 v4, 0x90
	v_lshl_add_u32 v4, v3, 2, v4
	s_mov_b64 s[2:3], 0
.LBB248_164:                            ; =>This Inner Loop Header: Depth=1
	ds_read_b32 v5, v4
	v_add_u32_e32 v3, 0x80, v3
	v_cmp_le_i32_e32 vcc, s30, v3
	s_or_b64 s[2:3], vcc, s[2:3]
	s_waitcnt lgkmcnt(0)
	v_mul_f32_e32 v5, v2, v5
	ds_write_b32 v4, v5
	v_add_u32_e32 v4, 0x200, v4
	s_andn2_b64 exec, exec, s[2:3]
	s_cbranch_execnz .LBB248_164
.LBB248_165:
	s_or_b64 exec, exec, s[0:1]
	v_mov_b32_e32 v5, 0
	v_and_b32_e32 v21, 1, v0
	v_mov_b32_e32 v4, 0
	s_waitcnt lgkmcnt(0)
	s_barrier
	s_and_saveexec_b64 s[2:3], s[6:7]
	s_cbranch_execz .LBB248_301
; %bb.166:
	s_ashr_i32 s1, s12, 31
	v_lshlrev_b32_e32 v2, 3, v0
	s_add_u32 s0, s26, s12
	v_and_b32_e32 v4, 8, v2
	s_addc_u32 s1, s27, s1
	v_and_b32_e32 v2, 0x1f8, v2
	v_mov_b32_e32 v3, 0
	s_add_i32 s26, s19, -1
	v_lshl_add_u64 v[6:7], s[0:1], 0, v[2:3]
	v_lshlrev_b32_e32 v2, 5, v21
	s_lshl_b64 s[0:1], s[24:25], 2
	v_lshl_or_b32 v2, v1, 6, v2
	s_add_u32 s0, s22, s0
	v_add_u32_e32 v23, 0x90, v2
	v_and_b32_e32 v2, 60, v12
	s_addc_u32 s1, s23, s1
	s_mov_b32 s28, s13
	s_mov_b32 s27, s33
	v_lshl_or_b32 v22, v1, 4, v4
	v_lshl_add_u64 v[8:9], s[0:1], 0, v[2:3]
	s_mov_b64 s[6:7], 0
	s_movk_i32 s22, 0x7f
	s_movk_i32 s23, 0x80
	s_mov_b32 s24, 0x8000
	s_movk_i32 s25, 0x380
	s_mov_b32 s29, 0x3020706
	s_mov_b32 s30, 0x1000504
	;; [unrolled: 1-line block ×3, first 2 shown]
	v_mov_b32_e32 v24, 0x1c00
	v_mov_b32_e32 v5, 0
	;; [unrolled: 1-line block ×3, first 2 shown]
	s_branch .LBB248_168
.LBB248_167:                            ;   in Loop: Header=BB248_168 Depth=1
	s_or_b64 exec, exec, s[0:1]
	;;#ASMSTART
	v_pk_mul_f16 v10, v30, v10;

	;;#ASMEND
	;;#ASMSTART
	v_pk_mul_f16 v2, v31, v2;

	;;#ASMEND
	;; [unrolled: 4-line block ×4, first 2 shown]
	v_add_u32_e32 v1, 2, v1
	;;#ASMSTART
	v_pk_add_f16 v2, v10, v2;

	;;#ASMEND
	v_add_f32_e32 v14, v34, v35
	;;#ASMSTART
	v_pk_add_f16 v2, v2, v11;

	;;#ASMEND
	v_cmp_le_i32_e32 vcc, s19, v1
	;;#ASMSTART
	v_pk_add_f16 v2, v2, v12;

	;;#ASMEND
	v_add_f32_e32 v4, v4, v14
	v_lshrrev_b32_e32 v10, 16, v2
	v_and_b32_e32 v2, 0xffff, v2
	;;#ASMSTART
	v_cvt_f32_f16 v2, v2;
	;;#ASMEND
	;;#ASMSTART
	v_cvt_f32_f16 v10, v10;
	;;#ASMEND
	v_add_u32_e32 v22, 32, v22
	v_add_f32_e32 v2, v2, v10
	v_add_f32_e32 v5, v5, v2
	v_add_u32_e32 v23, 0x80, v23
	s_or_b64 s[6:7], vcc, s[6:7]
	v_lshl_add_u64 v[8:9], v[8:9], 0, 8
	s_andn2_b64 exec, exec, s[6:7]
	s_cbranch_execz .LBB248_300
.LBB248_168:                            ; =>This Inner Loop Header: Depth=1
	ds_read2_b64 v[14:17], v23 offset1:1
	ds_read2_b64 v[26:29], v23 offset0:2 offset1:3
                                        ; implicit-def: $sgpr14
	s_waitcnt lgkmcnt(1)
	;;#ASMSTART
	v_cvt_f16_f32 v30, v14;

	;;#ASMEND
	;;#ASMSTART
	v_cvt_f16_f32 v31, v15;

	;;#ASMEND
	;; [unrolled: 4-line block ×4, first 2 shown]
	s_waitcnt lgkmcnt(0)
	;;#ASMSTART
	v_cvt_f16_f32 v34, v26;

	;;#ASMEND
	;;#ASMSTART
	v_cvt_f16_f32 v35, v27;

	;;#ASMEND
	;; [unrolled: 4-line block ×4, first 2 shown]
	global_load_dword v2, v[8:9], off
	s_waitcnt vmcnt(0)
	v_mad_i64_i32 v[10:11], s[0:1], v2, s28, v[6:7]
	global_load_dwordx2 v[14:15], v[10:11], off
	global_load_dword v12, v3, s[10:11]
	s_mov_b64 s[0:1], 0
	s_waitcnt vmcnt(1)
	v_cmp_gt_i16_sdwa s[8:9], v14, s22 src0_sel:BYTE_0 src1_sel:DWORD
	s_and_saveexec_b64 s[12:13], s[8:9]
	s_xor_b64 s[8:9], exec, s[12:13]
	s_cbranch_execnz .LBB248_236
; %bb.169:                              ;   in Loop: Header=BB248_168 Depth=1
	s_or_saveexec_b64 s[8:9], s[8:9]
	v_mov_b32_e32 v16, s14
	s_xor_b64 exec, exec, s[8:9]
	s_cbranch_execnz .LBB248_239
.LBB248_170:                            ;   in Loop: Header=BB248_168 Depth=1
	s_or_b64 exec, exec, s[8:9]
	s_and_saveexec_b64 s[8:9], s[0:1]
	s_cbranch_execz .LBB248_172
.LBB248_171:                            ;   in Loop: Header=BB248_168 Depth=1
	v_and_b32_e32 v2, 7, v14
	v_ffbh_u32_e32 v2, v2
	v_bfe_u32 v16, v14, 3, 4
	v_min_u32_e32 v2, 32, v2
	v_subrev_u32_e32 v17, 28, v2
	v_sub_u32_e32 v2, 29, v2
	v_cmp_eq_u32_e32 vcc, 0, v16
	s_nop 1
	v_cndmask_b32_e32 v2, v16, v2, vcc
	v_cndmask_b32_e32 v16, 0, v17, vcc
	v_lshlrev_b64 v[16:17], v16, v[14:15]
	v_lshlrev_b32_e32 v17, 8, v14
	v_lshl_add_u32 v2, v2, 10, v24
	v_lshlrev_b32_e32 v16, 7, v16
	v_and_or_b32 v2, v17, s24, v2
	v_and_or_b32 v2, v16, s25, v2
	v_cvt_f32_f16_e32 v16, v2
.LBB248_172:                            ;   in Loop: Header=BB248_168 Depth=1
	s_or_b64 exec, exec, s[8:9]
	v_lshrrev_b16_e32 v2, 8, v14
	v_cmp_lt_i16_e32 vcc, s22, v2
	s_mov_b64 s[0:1], 0
                                        ; implicit-def: $sgpr14
	s_and_saveexec_b64 s[8:9], vcc
	s_xor_b64 s[8:9], exec, s[8:9]
	s_cbranch_execnz .LBB248_240
; %bb.173:                              ;   in Loop: Header=BB248_168 Depth=1
	s_or_saveexec_b64 s[8:9], s[8:9]
	v_mov_b32_e32 v18, s14
	s_xor_b64 exec, exec, s[8:9]
	s_cbranch_execnz .LBB248_243
.LBB248_174:                            ;   in Loop: Header=BB248_168 Depth=1
	s_or_b64 exec, exec, s[8:9]
	s_and_saveexec_b64 s[8:9], s[0:1]
	s_cbranch_execz .LBB248_176
.LBB248_175:                            ;   in Loop: Header=BB248_168 Depth=1
	v_and_b32_e32 v17, 7, v2
	v_ffbh_u32_e32 v18, v17
	v_min_u32_e32 v26, 32, v18
	v_subrev_u32_e32 v18, 28, v26
	v_bfe_u32 v25, v2, 3, 4
	v_lshlrev_b64 v[18:19], v18, v[2:3]
	v_sub_u32_e32 v19, 29, v26
	v_cmp_eq_u32_e32 vcc, 0, v25
	v_and_b32_e32 v18, 7, v18
	v_lshlrev_b32_e32 v2, 8, v2
	v_cndmask_b32_e32 v19, v25, v19, vcc
	v_cndmask_b32_e32 v17, v17, v18, vcc
	v_lshl_add_u32 v18, v19, 10, v24
	v_and_or_b32 v2, v2, s24, v18
	v_lshl_or_b32 v2, v17, 7, v2
	v_cvt_f32_f16_e32 v18, v2
.LBB248_176:                            ;   in Loop: Header=BB248_168 Depth=1
	s_or_b64 exec, exec, s[8:9]
	v_lshrrev_b32_e32 v2, 16, v14
	v_cmp_gt_i16_sdwa s[8:9], v2, s22 src0_sel:BYTE_0 src1_sel:DWORD
	s_mov_b64 s[0:1], 0
                                        ; implicit-def: $sgpr14
	s_and_saveexec_b64 s[12:13], s[8:9]
	s_xor_b64 s[8:9], exec, s[12:13]
	s_cbranch_execnz .LBB248_244
; %bb.177:                              ;   in Loop: Header=BB248_168 Depth=1
	s_or_saveexec_b64 s[8:9], s[8:9]
	v_mov_b32_e32 v17, s14
	s_xor_b64 exec, exec, s[8:9]
	s_cbranch_execnz .LBB248_247
.LBB248_178:                            ;   in Loop: Header=BB248_168 Depth=1
	s_or_b64 exec, exec, s[8:9]
	s_and_saveexec_b64 s[8:9], s[0:1]
	s_cbranch_execz .LBB248_180
.LBB248_179:                            ;   in Loop: Header=BB248_168 Depth=1
	v_bfe_u32 v17, v14, 16, 3
	v_ffbh_u32_e32 v25, v17
	v_bfe_u32 v19, v14, 19, 4
	v_min_u32_e32 v25, 32, v25
	v_subrev_u32_e32 v26, 28, v25
	v_sub_u32_e32 v25, 29, v25
	v_cmp_eq_u32_e32 vcc, 0, v19
	v_lshlrev_b64 v[26:27], v26, v[2:3]
	v_and_b32_e32 v26, 7, v26
	v_cndmask_b32_e32 v19, v19, v25, vcc
	v_lshlrev_b32_e32 v2, 8, v2
	v_lshl_add_u32 v19, v19, 10, v24
	v_cndmask_b32_e32 v17, v17, v26, vcc
	v_and_or_b32 v2, v2, s24, v19
	v_lshl_or_b32 v2, v17, 7, v2
	v_cvt_f32_f16_e32 v17, v2
.LBB248_180:                            ;   in Loop: Header=BB248_168 Depth=1
	s_or_b64 exec, exec, s[8:9]
	v_lshrrev_b32_e32 v2, 24, v14
	v_cmp_lt_i16_e32 vcc, s22, v2
	s_mov_b64 s[0:1], 0
                                        ; implicit-def: $sgpr14
	s_and_saveexec_b64 s[8:9], vcc
	s_xor_b64 s[8:9], exec, s[8:9]
	s_cbranch_execnz .LBB248_248
; %bb.181:                              ;   in Loop: Header=BB248_168 Depth=1
	s_or_saveexec_b64 s[8:9], s[8:9]
	v_mov_b32_e32 v19, s14
	s_xor_b64 exec, exec, s[8:9]
	s_cbranch_execnz .LBB248_251
.LBB248_182:                            ;   in Loop: Header=BB248_168 Depth=1
	s_or_b64 exec, exec, s[8:9]
	s_and_saveexec_b64 s[8:9], s[0:1]
	s_cbranch_execz .LBB248_184
.LBB248_183:                            ;   in Loop: Header=BB248_168 Depth=1
	v_bfe_u32 v19, v14, 24, 3
	v_ffbh_u32_e32 v25, v19
	v_bfe_u32 v14, v14, 27, 4
	v_min_u32_e32 v25, 32, v25
	v_subrev_u32_e32 v26, 28, v25
	v_sub_u32_e32 v25, 29, v25
	v_cmp_eq_u32_e32 vcc, 0, v14
	v_lshlrev_b64 v[26:27], v26, v[2:3]
	v_and_b32_e32 v26, 7, v26
	v_cndmask_b32_e32 v14, v14, v25, vcc
	v_lshlrev_b32_e32 v2, 8, v2
	v_lshl_add_u32 v14, v14, 10, v24
	v_cndmask_b32_e32 v19, v19, v26, vcc
	v_and_or_b32 v2, v2, s24, v14
	v_lshl_or_b32 v2, v19, 7, v2
	v_cvt_f32_f16_e32 v19, v2
.LBB248_184:                            ;   in Loop: Header=BB248_168 Depth=1
	s_or_b64 exec, exec, s[8:9]
	v_cmp_gt_i16_sdwa s[8:9], v15, s22 src0_sel:BYTE_0 src1_sel:DWORD
	s_mov_b64 s[0:1], 0
                                        ; implicit-def: $sgpr14
	s_and_saveexec_b64 s[12:13], s[8:9]
	s_xor_b64 s[8:9], exec, s[12:13]
	s_cbranch_execnz .LBB248_252
; %bb.185:                              ;   in Loop: Header=BB248_168 Depth=1
	s_or_saveexec_b64 s[8:9], s[8:9]
	v_mov_b32_e32 v14, s14
	s_xor_b64 exec, exec, s[8:9]
	s_cbranch_execnz .LBB248_255
.LBB248_186:                            ;   in Loop: Header=BB248_168 Depth=1
	s_or_b64 exec, exec, s[8:9]
	v_mov_b32_e32 v2, v15
	s_and_saveexec_b64 s[8:9], s[0:1]
	s_cbranch_execz .LBB248_188
.LBB248_187:                            ;   in Loop: Header=BB248_168 Depth=1
	v_and_b32_e32 v14, 7, v15
	v_ffbh_u32_e32 v14, v14
	v_bfe_u32 v25, v15, 3, 4
	v_min_u32_e32 v14, 32, v14
	v_subrev_u32_e32 v26, 28, v14
	v_sub_u32_e32 v14, 29, v14
	v_cmp_eq_u32_e32 vcc, 0, v25
	s_nop 1
	v_cndmask_b32_e32 v14, v25, v14, vcc
	v_cndmask_b32_e32 v25, 0, v26, vcc
	v_lshlrev_b64 v[26:27], v25, v[2:3]
	v_lshlrev_b32_e32 v25, 7, v26
	v_lshlrev_b32_e32 v26, 8, v15
	v_lshl_add_u32 v14, v14, 10, v24
	v_and_or_b32 v14, v26, s24, v14
	v_and_or_b32 v14, v25, s25, v14
	v_cvt_f32_f16_e32 v14, v14
.LBB248_188:                            ;   in Loop: Header=BB248_168 Depth=1
	s_or_b64 exec, exec, s[8:9]
	v_lshrrev_b16_e32 v2, 8, v2
	v_cmp_lt_i16_e32 vcc, s22, v2
	s_mov_b64 s[0:1], 0
                                        ; implicit-def: $sgpr14
	s_and_saveexec_b64 s[8:9], vcc
	s_xor_b64 s[8:9], exec, s[8:9]
	s_cbranch_execnz .LBB248_256
; %bb.189:                              ;   in Loop: Header=BB248_168 Depth=1
	s_or_saveexec_b64 s[8:9], s[8:9]
	v_mov_b32_e32 v25, s14
	s_xor_b64 exec, exec, s[8:9]
	s_cbranch_execnz .LBB248_259
.LBB248_190:                            ;   in Loop: Header=BB248_168 Depth=1
	s_or_b64 exec, exec, s[8:9]
	s_and_saveexec_b64 s[8:9], s[0:1]
	s_cbranch_execz .LBB248_192
.LBB248_191:                            ;   in Loop: Header=BB248_168 Depth=1
	v_and_b32_e32 v25, 7, v2
	v_ffbh_u32_e32 v26, v25
	v_min_u32_e32 v29, 32, v26
	v_subrev_u32_e32 v26, 28, v29
	v_bfe_u32 v28, v2, 3, 4
	v_lshlrev_b64 v[26:27], v26, v[2:3]
	v_sub_u32_e32 v27, 29, v29
	v_cmp_eq_u32_e32 vcc, 0, v28
	v_and_b32_e32 v26, 7, v26
	v_lshlrev_b32_e32 v2, 8, v2
	v_cndmask_b32_e32 v27, v28, v27, vcc
	v_cndmask_b32_e32 v25, v25, v26, vcc
	v_lshl_add_u32 v26, v27, 10, v24
	v_and_or_b32 v2, v2, s24, v26
	v_lshl_or_b32 v2, v25, 7, v2
	v_cvt_f32_f16_e32 v25, v2
.LBB248_192:                            ;   in Loop: Header=BB248_168 Depth=1
	s_or_b64 exec, exec, s[8:9]
	v_lshrrev_b32_e32 v2, 16, v15
	v_cmp_gt_i16_sdwa s[8:9], v2, s22 src0_sel:BYTE_0 src1_sel:DWORD
	s_mov_b64 s[0:1], 0
                                        ; implicit-def: $sgpr14
	s_and_saveexec_b64 s[12:13], s[8:9]
	s_xor_b64 s[8:9], exec, s[12:13]
	s_cbranch_execnz .LBB248_260
; %bb.193:                              ;   in Loop: Header=BB248_168 Depth=1
	s_or_saveexec_b64 s[8:9], s[8:9]
	v_mov_b32_e32 v26, s14
	s_xor_b64 exec, exec, s[8:9]
	s_cbranch_execnz .LBB248_263
.LBB248_194:                            ;   in Loop: Header=BB248_168 Depth=1
	s_or_b64 exec, exec, s[8:9]
	s_and_saveexec_b64 s[8:9], s[0:1]
	s_cbranch_execz .LBB248_196
.LBB248_195:                            ;   in Loop: Header=BB248_168 Depth=1
	v_bfe_u32 v28, v15, 16, 3
	v_ffbh_u32_e32 v26, v28
	v_min_u32_e32 v38, 32, v26
	v_subrev_u32_e32 v26, 28, v38
	v_bfe_u32 v29, v15, 19, 4
	v_lshlrev_b64 v[26:27], v26, v[2:3]
	v_sub_u32_e32 v27, 29, v38
	v_cmp_eq_u32_e32 vcc, 0, v29
	v_and_b32_e32 v26, 7, v26
	v_lshlrev_b32_e32 v2, 8, v2
	v_cndmask_b32_e32 v27, v29, v27, vcc
	v_lshl_add_u32 v27, v27, 10, v24
	v_cndmask_b32_e32 v26, v28, v26, vcc
	v_and_or_b32 v2, v2, s24, v27
	v_lshl_or_b32 v2, v26, 7, v2
	v_cvt_f32_f16_e32 v26, v2
.LBB248_196:                            ;   in Loop: Header=BB248_168 Depth=1
	s_or_b64 exec, exec, s[8:9]
	v_lshrrev_b32_e32 v2, 24, v15
	v_cmp_lt_i16_e32 vcc, s22, v2
	s_mov_b64 s[0:1], 0
                                        ; implicit-def: $sgpr14
	s_and_saveexec_b64 s[8:9], vcc
	s_xor_b64 s[8:9], exec, s[8:9]
	s_cbranch_execnz .LBB248_264
; %bb.197:                              ;   in Loop: Header=BB248_168 Depth=1
	s_or_saveexec_b64 s[8:9], s[8:9]
	v_mov_b32_e32 v27, s14
	s_xor_b64 exec, exec, s[8:9]
	s_cbranch_execnz .LBB248_267
.LBB248_198:                            ;   in Loop: Header=BB248_168 Depth=1
	s_or_b64 exec, exec, s[8:9]
	s_and_saveexec_b64 s[8:9], s[0:1]
	s_cbranch_execz .LBB248_200
.LBB248_199:                            ;   in Loop: Header=BB248_168 Depth=1
	v_bfe_u32 v27, v15, 24, 3
	v_ffbh_u32_e32 v28, v27
	v_min_u32_e32 v38, 32, v28
	v_subrev_u32_e32 v28, 28, v38
	v_bfe_u32 v15, v15, 27, 4
	v_lshlrev_b64 v[28:29], v28, v[2:3]
	v_sub_u32_e32 v29, 29, v38
	v_cmp_eq_u32_e32 vcc, 0, v15
	v_and_b32_e32 v28, 7, v28
	v_lshlrev_b32_e32 v2, 8, v2
	v_cndmask_b32_e32 v15, v15, v29, vcc
	v_lshl_add_u32 v15, v15, 10, v24
	v_cndmask_b32_e32 v27, v27, v28, vcc
	v_and_or_b32 v2, v2, s24, v15
	v_lshl_or_b32 v2, v27, 7, v2
	v_cvt_f32_f16_e32 v27, v2
.LBB248_200:                            ;   in Loop: Header=BB248_168 Depth=1
	s_or_b64 exec, exec, s[8:9]
	s_waitcnt vmcnt(0)
	v_pk_mul_f32 v[18:19], v[12:13], v[18:19] op_sel_hi:[0,1]
	v_pk_mul_f32 v[16:17], v[12:13], v[16:17] op_sel_hi:[0,1]
	v_cvt_f16_f32_e32 v2, v19
	v_cvt_f16_f32_e32 v15, v18
	;; [unrolled: 1-line block ×4, first 2 shown]
	v_fma_mixlo_f16 v14, v12, v14, 0
	v_pack_b32_f16 v15, v15, v2
	v_cmp_eq_u32_e32 vcc, s26, v1
	v_pack_b32_f16 v16, v16, v17
	v_perm_b32 v2, v16, v15, s29
	v_perm_b32 v15, v16, v15, s30
	v_fma_mixlo_f16 v16, v12, v25, 0
	v_lshlrev_b32_e32 v16, 16, v16
	v_or_b32_sdwa v14, v16, v14 dst_sel:DWORD dst_unused:UNUSED_PAD src0_sel:DWORD src1_sel:WORD_0
	v_fma_mixlo_f16 v16, v12, v26, 0
	v_fma_mixlo_f16 v12, v12, v27, 0
	v_lshlrev_b32_e32 v12, 16, v12
	v_or_b32_sdwa v12, v12, v16 dst_sel:DWORD dst_unused:UNUSED_PAD src0_sel:DWORD src1_sel:WORD_0
	v_add_u32_e32 v29, 1, v22
	v_or_b32_e32 v28, 3, v22
	v_or_b32_e32 v27, 2, v22
	;; [unrolled: 1-line block ×6, first 2 shown]
	s_and_saveexec_b64 s[8:9], vcc
	s_cbranch_execz .LBB248_202
; %bb.201:                              ;   in Loop: Header=BB248_168 Depth=1
	v_lshrrev_b32_e32 v17, 16, v15
	v_cmp_gt_i32_e64 s[0:1], s27, v29
	v_lshrrev_b32_e32 v12, 16, v12
	s_nop 0
	v_cndmask_b32_e64 v17, 0, v17, s[0:1]
	v_cmp_gt_i32_e64 s[0:1], s33, v22
	s_nop 1
	v_cndmask_b32_e64 v15, 0, v15, s[0:1]
	v_perm_b32 v15, v17, v15, s31
	v_lshrrev_b32_e32 v17, 16, v2
	v_cmp_gt_i32_e64 s[0:1], s27, v28
	s_nop 1
	v_cndmask_b32_e64 v17, 0, v17, s[0:1]
	v_cmp_gt_i32_e64 s[0:1], s33, v27
	s_nop 1
	v_cndmask_b32_e64 v2, 0, v2, s[0:1]
	v_perm_b32 v2, v17, v2, s31
	v_lshrrev_b32_e32 v17, 16, v14
	v_cmp_gt_i32_e64 s[0:1], s27, v26
	s_nop 1
	v_cndmask_b32_e64 v17, 0, v17, s[0:1]
	v_cmp_gt_i32_e64 s[0:1], s33, v25
	s_nop 1
	v_cndmask_b32_e64 v14, 0, v14, s[0:1]
	v_cmp_gt_i32_e64 s[0:1], s27, v19
	v_perm_b32 v14, v17, v14, s31
	s_nop 0
	v_cndmask_b32_e64 v12, 0, v12, s[0:1]
	v_cmp_gt_i32_e64 s[0:1], s33, v18
	s_nop 1
	v_cndmask_b32_e64 v16, 0, v16, s[0:1]
	v_perm_b32 v12, v12, v16, s31
.LBB248_202:                            ;   in Loop: Header=BB248_168 Depth=1
	s_or_b64 exec, exec, s[8:9]
	v_and_b32_e32 v16, 0xffff, v30
	v_lshl_or_b32 v30, v31, 16, v16
	v_and_b32_e32 v16, 0xffff, v32
	v_lshl_or_b32 v31, v33, 16, v16
	;; [unrolled: 2-line block ×3, first 2 shown]
	v_and_b32_e32 v16, 0xffff, v36
	;;#ASMSTART
	v_pk_mul_f16 v15, v30, v15;

	;;#ASMEND
	;;#ASMSTART
	v_pk_mul_f16 v2, v31, v2;

	;;#ASMEND
	v_lshl_or_b32 v33, v37, 16, v16
	;;#ASMSTART
	v_pk_mul_f16 v14, v32, v14;

	;;#ASMEND
	;;#ASMSTART
	v_pk_mul_f16 v12, v33, v12;

	;;#ASMEND
	;;#ASMSTART
	v_pk_add_f16 v2, v15, v2;

	;;#ASMEND
	s_mov_b64 s[0:1], 0
	;;#ASMSTART
	v_pk_add_f16 v2, v2, v14;

	;;#ASMEND
                                        ; implicit-def: $sgpr14
	s_nop 0
	;;#ASMSTART
	v_pk_add_f16 v2, v2, v12;

	;;#ASMEND
	s_nop 0
	v_lshrrev_b32_e32 v12, 16, v2
	v_and_b32_e32 v2, 0xffff, v2
	;;#ASMSTART
	v_cvt_f32_f16 v34, v2;
	;;#ASMEND
	;;#ASMSTART
	v_cvt_f32_f16 v35, v12;
	;;#ASMEND
	global_load_dwordx2 v[14:15], v[10:11], off offset:512
	global_load_dword v12, v3, s[10:11]
	s_waitcnt vmcnt(1)
	v_cmp_gt_i16_sdwa s[8:9], v14, s22 src0_sel:BYTE_0 src1_sel:DWORD
	s_and_saveexec_b64 s[12:13], s[8:9]
	s_xor_b64 s[8:9], exec, s[12:13]
	s_cbranch_execnz .LBB248_268
; %bb.203:                              ;   in Loop: Header=BB248_168 Depth=1
	s_or_saveexec_b64 s[8:9], s[8:9]
	v_mov_b32_e32 v10, s14
	s_xor_b64 exec, exec, s[8:9]
	s_cbranch_execnz .LBB248_271
.LBB248_204:                            ;   in Loop: Header=BB248_168 Depth=1
	s_or_b64 exec, exec, s[8:9]
	s_and_saveexec_b64 s[8:9], s[0:1]
	s_cbranch_execz .LBB248_206
.LBB248_205:                            ;   in Loop: Header=BB248_168 Depth=1
	v_and_b32_e32 v2, 7, v14
	v_ffbh_u32_e32 v2, v2
	v_bfe_u32 v10, v14, 3, 4
	v_min_u32_e32 v2, 32, v2
	v_subrev_u32_e32 v11, 28, v2
	v_sub_u32_e32 v2, 29, v2
	v_cmp_eq_u32_e64 s[0:1], 0, v10
	s_nop 1
	v_cndmask_b32_e64 v2, v10, v2, s[0:1]
	v_cndmask_b32_e64 v10, 0, v11, s[0:1]
	v_lshlrev_b64 v[10:11], v10, v[14:15]
	v_lshlrev_b32_e32 v11, 8, v14
	v_lshl_add_u32 v2, v2, 10, v24
	v_lshlrev_b32_e32 v10, 7, v10
	v_and_or_b32 v2, v11, s24, v2
	v_and_or_b32 v2, v10, s25, v2
	v_cvt_f32_f16_e32 v10, v2
.LBB248_206:                            ;   in Loop: Header=BB248_168 Depth=1
	s_or_b64 exec, exec, s[8:9]
	v_lshrrev_b16_e32 v2, 8, v14
	v_cmp_lt_i16_e64 s[0:1], s22, v2
	s_mov_b64 s[8:9], 0
                                        ; implicit-def: $sgpr34
	s_and_saveexec_b64 s[12:13], s[0:1]
	s_xor_b64 s[12:13], exec, s[12:13]
	s_cbranch_execnz .LBB248_272
; %bb.207:                              ;   in Loop: Header=BB248_168 Depth=1
	s_or_saveexec_b64 s[12:13], s[12:13]
	v_mov_b32_e32 v16, s34
	s_xor_b64 exec, exec, s[12:13]
	s_cbranch_execnz .LBB248_275
.LBB248_208:                            ;   in Loop: Header=BB248_168 Depth=1
	s_or_b64 exec, exec, s[12:13]
	s_and_saveexec_b64 s[12:13], s[8:9]
	s_cbranch_execz .LBB248_210
.LBB248_209:                            ;   in Loop: Header=BB248_168 Depth=1
	v_and_b32_e32 v11, 7, v2
	v_ffbh_u32_e32 v16, v11
	v_min_u32_e32 v37, 32, v16
	v_subrev_u32_e32 v16, 28, v37
	v_bfe_u32 v36, v2, 3, 4
	v_lshlrev_b64 v[16:17], v16, v[2:3]
	v_sub_u32_e32 v17, 29, v37
	v_cmp_eq_u32_e64 s[0:1], 0, v36
	v_and_b32_e32 v16, 7, v16
	v_lshlrev_b32_e32 v2, 8, v2
	v_cndmask_b32_e64 v17, v36, v17, s[0:1]
	v_cndmask_b32_e64 v11, v11, v16, s[0:1]
	v_lshl_add_u32 v16, v17, 10, v24
	v_and_or_b32 v2, v2, s24, v16
	v_lshl_or_b32 v2, v11, 7, v2
	v_cvt_f32_f16_e32 v16, v2
.LBB248_210:                            ;   in Loop: Header=BB248_168 Depth=1
	s_or_b64 exec, exec, s[12:13]
	v_lshrrev_b32_e32 v2, 16, v14
	v_cmp_gt_i16_sdwa s[8:9], v2, s22 src0_sel:BYTE_0 src1_sel:DWORD
	s_mov_b64 s[0:1], 0
                                        ; implicit-def: $sgpr14
	s_and_saveexec_b64 s[12:13], s[8:9]
	s_xor_b64 s[8:9], exec, s[12:13]
	s_cbranch_execnz .LBB248_276
; %bb.211:                              ;   in Loop: Header=BB248_168 Depth=1
	s_or_saveexec_b64 s[8:9], s[8:9]
	v_mov_b32_e32 v11, s14
	s_xor_b64 exec, exec, s[8:9]
	s_cbranch_execnz .LBB248_279
.LBB248_212:                            ;   in Loop: Header=BB248_168 Depth=1
	s_or_b64 exec, exec, s[8:9]
	s_and_saveexec_b64 s[8:9], s[0:1]
	s_cbranch_execz .LBB248_214
.LBB248_213:                            ;   in Loop: Header=BB248_168 Depth=1
	v_bfe_u32 v11, v14, 16, 3
	v_ffbh_u32_e32 v36, v11
	v_min_u32_e32 v38, 32, v36
	v_subrev_u32_e32 v36, 28, v38
	v_bfe_u32 v17, v14, 19, 4
	v_lshlrev_b64 v[36:37], v36, v[2:3]
	v_sub_u32_e32 v37, 29, v38
	v_cmp_eq_u32_e64 s[0:1], 0, v17
	v_and_b32_e32 v36, 7, v36
	v_lshlrev_b32_e32 v2, 8, v2
	v_cndmask_b32_e64 v17, v17, v37, s[0:1]
	v_lshl_add_u32 v17, v17, 10, v24
	v_cndmask_b32_e64 v11, v11, v36, s[0:1]
	v_and_or_b32 v2, v2, s24, v17
	v_lshl_or_b32 v2, v11, 7, v2
	v_cvt_f32_f16_e32 v11, v2
.LBB248_214:                            ;   in Loop: Header=BB248_168 Depth=1
	s_or_b64 exec, exec, s[8:9]
	v_lshrrev_b32_e32 v2, 24, v14
	v_cmp_lt_i16_e64 s[0:1], s22, v2
	s_mov_b64 s[8:9], 0
                                        ; implicit-def: $sgpr34
	s_and_saveexec_b64 s[12:13], s[0:1]
	s_xor_b64 s[12:13], exec, s[12:13]
	s_cbranch_execnz .LBB248_280
; %bb.215:                              ;   in Loop: Header=BB248_168 Depth=1
	s_or_saveexec_b64 s[12:13], s[12:13]
	v_mov_b32_e32 v17, s34
	s_xor_b64 exec, exec, s[12:13]
	s_cbranch_execnz .LBB248_283
.LBB248_216:                            ;   in Loop: Header=BB248_168 Depth=1
	s_or_b64 exec, exec, s[12:13]
	s_and_saveexec_b64 s[12:13], s[8:9]
	s_cbranch_execz .LBB248_218
.LBB248_217:                            ;   in Loop: Header=BB248_168 Depth=1
	v_bfe_u32 v17, v14, 24, 3
	v_ffbh_u32_e32 v36, v17
	v_min_u32_e32 v38, 32, v36
	v_subrev_u32_e32 v36, 28, v38
	v_bfe_u32 v14, v14, 27, 4
	v_lshlrev_b64 v[36:37], v36, v[2:3]
	v_sub_u32_e32 v37, 29, v38
	v_cmp_eq_u32_e64 s[0:1], 0, v14
	v_and_b32_e32 v36, 7, v36
	v_lshlrev_b32_e32 v2, 8, v2
	v_cndmask_b32_e64 v14, v14, v37, s[0:1]
	v_lshl_add_u32 v14, v14, 10, v24
	v_cndmask_b32_e64 v17, v17, v36, s[0:1]
	v_and_or_b32 v2, v2, s24, v14
	v_lshl_or_b32 v2, v17, 7, v2
	v_cvt_f32_f16_e32 v17, v2
.LBB248_218:                            ;   in Loop: Header=BB248_168 Depth=1
	s_or_b64 exec, exec, s[12:13]
	v_cmp_gt_i16_sdwa s[8:9], v15, s22 src0_sel:BYTE_0 src1_sel:DWORD
	s_mov_b64 s[0:1], 0
                                        ; implicit-def: $sgpr14
	s_and_saveexec_b64 s[12:13], s[8:9]
	s_xor_b64 s[8:9], exec, s[12:13]
	s_cbranch_execnz .LBB248_284
; %bb.219:                              ;   in Loop: Header=BB248_168 Depth=1
	s_or_saveexec_b64 s[8:9], s[8:9]
	v_mov_b32_e32 v14, s14
	s_xor_b64 exec, exec, s[8:9]
	s_cbranch_execnz .LBB248_287
.LBB248_220:                            ;   in Loop: Header=BB248_168 Depth=1
	s_or_b64 exec, exec, s[8:9]
	v_mov_b32_e32 v2, v15
	s_and_saveexec_b64 s[8:9], s[0:1]
	s_cbranch_execz .LBB248_222
.LBB248_221:                            ;   in Loop: Header=BB248_168 Depth=1
	v_and_b32_e32 v14, 7, v15
	v_ffbh_u32_e32 v14, v14
	v_bfe_u32 v36, v15, 3, 4
	v_min_u32_e32 v14, 32, v14
	v_subrev_u32_e32 v37, 28, v14
	v_sub_u32_e32 v14, 29, v14
	v_cmp_eq_u32_e64 s[0:1], 0, v36
	s_nop 1
	v_cndmask_b32_e64 v14, v36, v14, s[0:1]
	v_cndmask_b32_e64 v36, 0, v37, s[0:1]
	v_lshlrev_b64 v[36:37], v36, v[2:3]
	v_lshlrev_b32_e32 v37, 8, v15
	v_lshl_add_u32 v14, v14, 10, v24
	v_lshlrev_b32_e32 v36, 7, v36
	v_and_or_b32 v14, v37, s24, v14
	v_and_or_b32 v14, v36, s25, v14
	v_cvt_f32_f16_e32 v14, v14
.LBB248_222:                            ;   in Loop: Header=BB248_168 Depth=1
	s_or_b64 exec, exec, s[8:9]
	v_lshrrev_b16_e32 v2, 8, v2
	v_cmp_lt_i16_e64 s[0:1], s22, v2
	s_mov_b64 s[8:9], 0
                                        ; implicit-def: $sgpr34
	s_and_saveexec_b64 s[12:13], s[0:1]
	s_xor_b64 s[12:13], exec, s[12:13]
	s_cbranch_execnz .LBB248_288
; %bb.223:                              ;   in Loop: Header=BB248_168 Depth=1
	s_or_saveexec_b64 s[12:13], s[12:13]
	v_mov_b32_e32 v36, s34
	s_xor_b64 exec, exec, s[12:13]
	s_cbranch_execnz .LBB248_291
.LBB248_224:                            ;   in Loop: Header=BB248_168 Depth=1
	s_or_b64 exec, exec, s[12:13]
	s_and_saveexec_b64 s[12:13], s[8:9]
	s_cbranch_execz .LBB248_226
.LBB248_225:                            ;   in Loop: Header=BB248_168 Depth=1
	v_and_b32_e32 v38, 7, v2
	v_ffbh_u32_e32 v36, v38
	v_min_u32_e32 v40, 32, v36
	v_subrev_u32_e32 v36, 28, v40
	v_bfe_u32 v39, v2, 3, 4
	v_lshlrev_b64 v[36:37], v36, v[2:3]
	v_sub_u32_e32 v37, 29, v40
	v_cmp_eq_u32_e64 s[0:1], 0, v39
	v_and_b32_e32 v36, 7, v36
	v_lshlrev_b32_e32 v2, 8, v2
	v_cndmask_b32_e64 v37, v39, v37, s[0:1]
	v_lshl_add_u32 v37, v37, 10, v24
	v_cndmask_b32_e64 v36, v38, v36, s[0:1]
	v_and_or_b32 v2, v2, s24, v37
	v_lshl_or_b32 v2, v36, 7, v2
	v_cvt_f32_f16_e32 v36, v2
.LBB248_226:                            ;   in Loop: Header=BB248_168 Depth=1
	s_or_b64 exec, exec, s[12:13]
	v_lshrrev_b32_e32 v2, 16, v15
	v_cmp_gt_i16_sdwa s[8:9], v2, s22 src0_sel:BYTE_0 src1_sel:DWORD
	s_mov_b64 s[0:1], 0
                                        ; implicit-def: $sgpr14
	s_and_saveexec_b64 s[12:13], s[8:9]
	s_xor_b64 s[8:9], exec, s[12:13]
	s_cbranch_execnz .LBB248_292
; %bb.227:                              ;   in Loop: Header=BB248_168 Depth=1
	s_or_saveexec_b64 s[8:9], s[8:9]
	v_mov_b32_e32 v37, s14
	s_xor_b64 exec, exec, s[8:9]
	s_cbranch_execnz .LBB248_295
.LBB248_228:                            ;   in Loop: Header=BB248_168 Depth=1
	s_or_b64 exec, exec, s[8:9]
	s_and_saveexec_b64 s[8:9], s[0:1]
	s_cbranch_execz .LBB248_230
.LBB248_229:                            ;   in Loop: Header=BB248_168 Depth=1
	v_bfe_u32 v37, v15, 16, 3
	v_ffbh_u32_e32 v38, v37
	v_min_u32_e32 v41, 32, v38
	v_subrev_u32_e32 v38, 28, v41
	v_bfe_u32 v40, v15, 19, 4
	v_lshlrev_b64 v[38:39], v38, v[2:3]
	v_sub_u32_e32 v39, 29, v41
	v_cmp_eq_u32_e64 s[0:1], 0, v40
	v_and_b32_e32 v38, 7, v38
	v_lshlrev_b32_e32 v2, 8, v2
	v_cndmask_b32_e64 v39, v40, v39, s[0:1]
	v_cndmask_b32_e64 v37, v37, v38, s[0:1]
	v_lshl_add_u32 v38, v39, 10, v24
	v_and_or_b32 v2, v2, s24, v38
	v_lshl_or_b32 v2, v37, 7, v2
	v_cvt_f32_f16_e32 v37, v2
.LBB248_230:                            ;   in Loop: Header=BB248_168 Depth=1
	s_or_b64 exec, exec, s[8:9]
	v_lshrrev_b32_e32 v2, 24, v15
	v_cmp_lt_i16_e64 s[0:1], s22, v2
	s_mov_b64 s[8:9], 0
                                        ; implicit-def: $sgpr34
	s_and_saveexec_b64 s[12:13], s[0:1]
	s_xor_b64 s[12:13], exec, s[12:13]
	s_cbranch_execnz .LBB248_296
; %bb.231:                              ;   in Loop: Header=BB248_168 Depth=1
	s_or_saveexec_b64 s[12:13], s[12:13]
	v_mov_b32_e32 v38, s34
	s_xor_b64 exec, exec, s[12:13]
	s_cbranch_execnz .LBB248_299
.LBB248_232:                            ;   in Loop: Header=BB248_168 Depth=1
	s_or_b64 exec, exec, s[12:13]
	s_and_saveexec_b64 s[12:13], s[8:9]
	s_cbranch_execz .LBB248_234
.LBB248_233:                            ;   in Loop: Header=BB248_168 Depth=1
	v_bfe_u32 v40, v15, 24, 3
	v_ffbh_u32_e32 v38, v40
	v_min_u32_e32 v41, 32, v38
	v_subrev_u32_e32 v38, 28, v41
	v_bfe_u32 v15, v15, 27, 4
	v_lshlrev_b64 v[38:39], v38, v[2:3]
	v_sub_u32_e32 v39, 29, v41
	v_cmp_eq_u32_e64 s[0:1], 0, v15
	v_and_b32_e32 v38, 7, v38
	v_lshlrev_b32_e32 v2, 8, v2
	v_cndmask_b32_e64 v15, v15, v39, s[0:1]
	v_lshl_add_u32 v15, v15, 10, v24
	v_cndmask_b32_e64 v38, v40, v38, s[0:1]
	v_and_or_b32 v2, v2, s24, v15
	v_lshl_or_b32 v2, v38, 7, v2
	v_cvt_f32_f16_e32 v38, v2
.LBB248_234:                            ;   in Loop: Header=BB248_168 Depth=1
	s_or_b64 exec, exec, s[12:13]
	s_waitcnt vmcnt(0)
	v_pk_mul_f32 v[10:11], v[12:13], v[10:11] op_sel_hi:[0,1]
	v_cvt_f16_f32_e32 v11, v11
	v_cvt_f16_f32_e32 v10, v10
	v_pk_mul_f32 v[16:17], v[12:13], v[16:17] op_sel_hi:[0,1]
	v_cvt_f16_f32_e32 v2, v17
	v_cvt_f16_f32_e32 v15, v16
	v_pack_b32_f16 v10, v10, v11
	v_fma_mixlo_f16 v11, v12, v36, 0
	v_lshlrev_b32_e32 v11, 16, v11
	v_fma_mixlo_f16 v14, v12, v14, 0
	v_or_b32_sdwa v11, v11, v14 dst_sel:DWORD dst_unused:UNUSED_PAD src0_sel:DWORD src1_sel:WORD_0
	v_fma_mixlo_f16 v14, v12, v37, 0
	v_fma_mixlo_f16 v12, v12, v38, 0
	v_pack_b32_f16 v15, v15, v2
	v_lshlrev_b32_e32 v12, 16, v12
	v_perm_b32 v2, v10, v15, s29
	v_perm_b32 v10, v10, v15, s30
	v_or_b32_sdwa v12, v12, v14 dst_sel:DWORD dst_unused:UNUSED_PAD src0_sel:DWORD src1_sel:WORD_0
	s_and_saveexec_b64 s[0:1], vcc
	s_cbranch_execz .LBB248_167
; %bb.235:                              ;   in Loop: Header=BB248_168 Depth=1
	v_lshrrev_b32_e32 v15, 16, v10
	v_cmp_gt_i32_e32 vcc, s27, v29
	v_lshrrev_b32_e32 v12, 16, v12
	s_nop 0
	v_cndmask_b32_e32 v15, 0, v15, vcc
	v_cmp_gt_i32_e32 vcc, s33, v22
	s_nop 1
	v_cndmask_b32_e32 v10, 0, v10, vcc
	v_perm_b32 v10, v15, v10, s31
	v_lshrrev_b32_e32 v15, 16, v2
	v_cmp_gt_i32_e32 vcc, s27, v28
	s_nop 1
	v_cndmask_b32_e32 v15, 0, v15, vcc
	v_cmp_gt_i32_e32 vcc, s33, v27
	s_nop 1
	v_cndmask_b32_e32 v2, 0, v2, vcc
	v_perm_b32 v2, v15, v2, s31
	v_lshrrev_b32_e32 v15, 16, v11
	v_cmp_gt_i32_e32 vcc, s27, v26
	s_nop 1
	v_cndmask_b32_e32 v15, 0, v15, vcc
	v_cmp_gt_i32_e32 vcc, s33, v25
	s_nop 1
	v_cndmask_b32_e32 v11, 0, v11, vcc
	v_cmp_gt_i32_e32 vcc, s27, v19
	v_perm_b32 v11, v15, v11, s31
	s_nop 0
	v_cndmask_b32_e32 v12, 0, v12, vcc
	v_cmp_gt_i32_e32 vcc, s33, v18
	s_nop 1
	v_cndmask_b32_e32 v14, 0, v14, vcc
	v_perm_b32 v12, v12, v14, s31
	s_branch .LBB248_167
.LBB248_236:                            ;   in Loop: Header=BB248_168 Depth=1
	v_cmp_eq_u16_sdwa s[34:35], v14, s23 src0_sel:BYTE_0 src1_sel:DWORD
	s_mov_b64 s[0:1], -1
                                        ; implicit-def: $sgpr14
	s_and_saveexec_b64 s[12:13], s[34:35]
; %bb.237:                              ;   in Loop: Header=BB248_168 Depth=1
	s_mov_b32 s14, 0x7fc02000
	s_xor_b64 s[0:1], exec, -1
; %bb.238:                              ;   in Loop: Header=BB248_168 Depth=1
	s_or_b64 exec, exec, s[12:13]
	s_and_b64 s[0:1], s[0:1], exec
	s_or_saveexec_b64 s[8:9], s[8:9]
	v_mov_b32_e32 v16, s14
	s_xor_b64 exec, exec, s[8:9]
	s_cbranch_execz .LBB248_170
.LBB248_239:                            ;   in Loop: Header=BB248_168 Depth=1
	v_cmp_ne_u16_sdwa s[12:13], v14, v3 src0_sel:BYTE_0 src1_sel:DWORD
	s_andn2_b64 s[0:1], s[0:1], exec
	s_and_b64 s[12:13], s[12:13], exec
	v_mov_b32_e32 v16, 0
	s_or_b64 s[0:1], s[0:1], s[12:13]
	s_or_b64 exec, exec, s[8:9]
	s_and_saveexec_b64 s[8:9], s[0:1]
	s_cbranch_execnz .LBB248_171
	s_branch .LBB248_172
.LBB248_240:                            ;   in Loop: Header=BB248_168 Depth=1
	v_cmp_eq_u16_e32 vcc, s23, v2
	s_mov_b64 s[0:1], -1
                                        ; implicit-def: $sgpr14
	s_and_saveexec_b64 s[12:13], vcc
; %bb.241:                              ;   in Loop: Header=BB248_168 Depth=1
	s_mov_b32 s14, 0x7fc02000
	s_xor_b64 s[0:1], exec, -1
; %bb.242:                              ;   in Loop: Header=BB248_168 Depth=1
	s_or_b64 exec, exec, s[12:13]
	s_and_b64 s[0:1], s[0:1], exec
	s_or_saveexec_b64 s[8:9], s[8:9]
	v_mov_b32_e32 v18, s14
	s_xor_b64 exec, exec, s[8:9]
	s_cbranch_execz .LBB248_174
.LBB248_243:                            ;   in Loop: Header=BB248_168 Depth=1
	v_cmp_ne_u16_e32 vcc, 0, v2
	s_andn2_b64 s[0:1], s[0:1], exec
	s_and_b64 s[12:13], vcc, exec
	v_mov_b32_e32 v18, 0
	s_or_b64 s[0:1], s[0:1], s[12:13]
	s_or_b64 exec, exec, s[8:9]
	s_and_saveexec_b64 s[8:9], s[0:1]
	s_cbranch_execnz .LBB248_175
	s_branch .LBB248_176
.LBB248_244:                            ;   in Loop: Header=BB248_168 Depth=1
	v_cmp_eq_u16_sdwa s[34:35], v2, s23 src0_sel:BYTE_0 src1_sel:DWORD
	s_mov_b64 s[0:1], -1
                                        ; implicit-def: $sgpr14
	s_and_saveexec_b64 s[12:13], s[34:35]
; %bb.245:                              ;   in Loop: Header=BB248_168 Depth=1
	s_mov_b32 s14, 0x7fc02000
	s_xor_b64 s[0:1], exec, -1
; %bb.246:                              ;   in Loop: Header=BB248_168 Depth=1
	s_or_b64 exec, exec, s[12:13]
	s_and_b64 s[0:1], s[0:1], exec
	s_or_saveexec_b64 s[8:9], s[8:9]
	v_mov_b32_e32 v17, s14
	s_xor_b64 exec, exec, s[8:9]
	s_cbranch_execz .LBB248_178
.LBB248_247:                            ;   in Loop: Header=BB248_168 Depth=1
	v_cmp_ne_u16_sdwa s[12:13], v2, v3 src0_sel:BYTE_0 src1_sel:DWORD
	s_andn2_b64 s[0:1], s[0:1], exec
	s_and_b64 s[12:13], s[12:13], exec
	v_mov_b32_e32 v17, 0
	s_or_b64 s[0:1], s[0:1], s[12:13]
	s_or_b64 exec, exec, s[8:9]
	s_and_saveexec_b64 s[8:9], s[0:1]
	s_cbranch_execnz .LBB248_179
	s_branch .LBB248_180
.LBB248_248:                            ;   in Loop: Header=BB248_168 Depth=1
	v_cmp_eq_u16_e32 vcc, s23, v2
	s_mov_b64 s[0:1], -1
                                        ; implicit-def: $sgpr14
	s_and_saveexec_b64 s[12:13], vcc
; %bb.249:                              ;   in Loop: Header=BB248_168 Depth=1
	s_mov_b32 s14, 0x7fc02000
	s_xor_b64 s[0:1], exec, -1
; %bb.250:                              ;   in Loop: Header=BB248_168 Depth=1
	s_or_b64 exec, exec, s[12:13]
	s_and_b64 s[0:1], s[0:1], exec
	s_or_saveexec_b64 s[8:9], s[8:9]
	v_mov_b32_e32 v19, s14
	s_xor_b64 exec, exec, s[8:9]
	s_cbranch_execz .LBB248_182
.LBB248_251:                            ;   in Loop: Header=BB248_168 Depth=1
	v_cmp_ne_u16_e32 vcc, 0, v2
	s_andn2_b64 s[0:1], s[0:1], exec
	s_and_b64 s[12:13], vcc, exec
	v_mov_b32_e32 v19, 0
	s_or_b64 s[0:1], s[0:1], s[12:13]
	s_or_b64 exec, exec, s[8:9]
	s_and_saveexec_b64 s[8:9], s[0:1]
	s_cbranch_execnz .LBB248_183
	s_branch .LBB248_184
.LBB248_252:                            ;   in Loop: Header=BB248_168 Depth=1
	v_cmp_eq_u16_sdwa s[34:35], v15, s23 src0_sel:BYTE_0 src1_sel:DWORD
	s_mov_b64 s[0:1], -1
                                        ; implicit-def: $sgpr14
	s_and_saveexec_b64 s[12:13], s[34:35]
; %bb.253:                              ;   in Loop: Header=BB248_168 Depth=1
	s_mov_b32 s14, 0x7fc02000
	s_xor_b64 s[0:1], exec, -1
; %bb.254:                              ;   in Loop: Header=BB248_168 Depth=1
	s_or_b64 exec, exec, s[12:13]
	s_and_b64 s[0:1], s[0:1], exec
	s_or_saveexec_b64 s[8:9], s[8:9]
	v_mov_b32_e32 v14, s14
	s_xor_b64 exec, exec, s[8:9]
	s_cbranch_execz .LBB248_186
.LBB248_255:                            ;   in Loop: Header=BB248_168 Depth=1
	v_cmp_ne_u16_sdwa s[12:13], v15, v3 src0_sel:BYTE_0 src1_sel:DWORD
	s_andn2_b64 s[0:1], s[0:1], exec
	s_and_b64 s[12:13], s[12:13], exec
	v_mov_b32_e32 v14, 0
	s_or_b64 s[0:1], s[0:1], s[12:13]
	s_or_b64 exec, exec, s[8:9]
	v_mov_b32_e32 v2, v15
	s_and_saveexec_b64 s[8:9], s[0:1]
	s_cbranch_execnz .LBB248_187
	s_branch .LBB248_188
.LBB248_256:                            ;   in Loop: Header=BB248_168 Depth=1
	v_cmp_eq_u16_e32 vcc, s23, v2
	s_mov_b64 s[0:1], -1
                                        ; implicit-def: $sgpr14
	s_and_saveexec_b64 s[12:13], vcc
; %bb.257:                              ;   in Loop: Header=BB248_168 Depth=1
	s_mov_b32 s14, 0x7fc02000
	s_xor_b64 s[0:1], exec, -1
; %bb.258:                              ;   in Loop: Header=BB248_168 Depth=1
	s_or_b64 exec, exec, s[12:13]
	s_and_b64 s[0:1], s[0:1], exec
	s_or_saveexec_b64 s[8:9], s[8:9]
	v_mov_b32_e32 v25, s14
	s_xor_b64 exec, exec, s[8:9]
	s_cbranch_execz .LBB248_190
.LBB248_259:                            ;   in Loop: Header=BB248_168 Depth=1
	v_cmp_ne_u16_e32 vcc, 0, v2
	s_andn2_b64 s[0:1], s[0:1], exec
	s_and_b64 s[12:13], vcc, exec
	v_mov_b32_e32 v25, 0
	s_or_b64 s[0:1], s[0:1], s[12:13]
	s_or_b64 exec, exec, s[8:9]
	s_and_saveexec_b64 s[8:9], s[0:1]
	s_cbranch_execnz .LBB248_191
	s_branch .LBB248_192
.LBB248_260:                            ;   in Loop: Header=BB248_168 Depth=1
	v_cmp_eq_u16_sdwa s[34:35], v2, s23 src0_sel:BYTE_0 src1_sel:DWORD
	s_mov_b64 s[0:1], -1
                                        ; implicit-def: $sgpr14
	s_and_saveexec_b64 s[12:13], s[34:35]
; %bb.261:                              ;   in Loop: Header=BB248_168 Depth=1
	s_mov_b32 s14, 0x7fc02000
	s_xor_b64 s[0:1], exec, -1
; %bb.262:                              ;   in Loop: Header=BB248_168 Depth=1
	s_or_b64 exec, exec, s[12:13]
	s_and_b64 s[0:1], s[0:1], exec
	s_or_saveexec_b64 s[8:9], s[8:9]
	v_mov_b32_e32 v26, s14
	s_xor_b64 exec, exec, s[8:9]
	s_cbranch_execz .LBB248_194
.LBB248_263:                            ;   in Loop: Header=BB248_168 Depth=1
	v_cmp_ne_u16_sdwa s[12:13], v2, v3 src0_sel:BYTE_0 src1_sel:DWORD
	s_andn2_b64 s[0:1], s[0:1], exec
	s_and_b64 s[12:13], s[12:13], exec
	v_mov_b32_e32 v26, 0
	s_or_b64 s[0:1], s[0:1], s[12:13]
	s_or_b64 exec, exec, s[8:9]
	s_and_saveexec_b64 s[8:9], s[0:1]
	s_cbranch_execnz .LBB248_195
	s_branch .LBB248_196
.LBB248_264:                            ;   in Loop: Header=BB248_168 Depth=1
	v_cmp_eq_u16_e32 vcc, s23, v2
	s_mov_b64 s[0:1], -1
                                        ; implicit-def: $sgpr14
	s_and_saveexec_b64 s[12:13], vcc
; %bb.265:                              ;   in Loop: Header=BB248_168 Depth=1
	s_mov_b32 s14, 0x7fc02000
	s_xor_b64 s[0:1], exec, -1
; %bb.266:                              ;   in Loop: Header=BB248_168 Depth=1
	s_or_b64 exec, exec, s[12:13]
	s_and_b64 s[0:1], s[0:1], exec
	s_or_saveexec_b64 s[8:9], s[8:9]
	v_mov_b32_e32 v27, s14
	s_xor_b64 exec, exec, s[8:9]
	s_cbranch_execz .LBB248_198
.LBB248_267:                            ;   in Loop: Header=BB248_168 Depth=1
	v_cmp_ne_u16_e32 vcc, 0, v2
	s_andn2_b64 s[0:1], s[0:1], exec
	s_and_b64 s[12:13], vcc, exec
	v_mov_b32_e32 v27, 0
	s_or_b64 s[0:1], s[0:1], s[12:13]
	s_or_b64 exec, exec, s[8:9]
	s_and_saveexec_b64 s[8:9], s[0:1]
	s_cbranch_execnz .LBB248_199
	s_branch .LBB248_200
.LBB248_268:                            ;   in Loop: Header=BB248_168 Depth=1
	v_cmp_eq_u16_sdwa s[34:35], v14, s23 src0_sel:BYTE_0 src1_sel:DWORD
	s_mov_b64 s[0:1], -1
                                        ; implicit-def: $sgpr14
	s_and_saveexec_b64 s[12:13], s[34:35]
; %bb.269:                              ;   in Loop: Header=BB248_168 Depth=1
	s_mov_b32 s14, 0x7fc02000
	s_xor_b64 s[0:1], exec, -1
; %bb.270:                              ;   in Loop: Header=BB248_168 Depth=1
	s_or_b64 exec, exec, s[12:13]
	s_and_b64 s[0:1], s[0:1], exec
	s_or_saveexec_b64 s[8:9], s[8:9]
	v_mov_b32_e32 v10, s14
	s_xor_b64 exec, exec, s[8:9]
	s_cbranch_execz .LBB248_204
.LBB248_271:                            ;   in Loop: Header=BB248_168 Depth=1
	v_cmp_ne_u16_sdwa s[12:13], v14, v3 src0_sel:BYTE_0 src1_sel:DWORD
	s_andn2_b64 s[0:1], s[0:1], exec
	s_and_b64 s[12:13], s[12:13], exec
	v_mov_b32_e32 v10, 0
	s_or_b64 s[0:1], s[0:1], s[12:13]
	s_or_b64 exec, exec, s[8:9]
	s_and_saveexec_b64 s[8:9], s[0:1]
	s_cbranch_execnz .LBB248_205
	s_branch .LBB248_206
.LBB248_272:                            ;   in Loop: Header=BB248_168 Depth=1
	v_cmp_eq_u16_e64 s[0:1], s23, v2
	s_mov_b64 s[8:9], -1
                                        ; implicit-def: $sgpr34
	s_and_saveexec_b64 s[14:15], s[0:1]
; %bb.273:                              ;   in Loop: Header=BB248_168 Depth=1
	s_mov_b32 s34, 0x7fc02000
	s_xor_b64 s[8:9], exec, -1
; %bb.274:                              ;   in Loop: Header=BB248_168 Depth=1
	s_or_b64 exec, exec, s[14:15]
	s_and_b64 s[8:9], s[8:9], exec
	s_or_saveexec_b64 s[12:13], s[12:13]
	v_mov_b32_e32 v16, s34
	s_xor_b64 exec, exec, s[12:13]
	s_cbranch_execz .LBB248_208
.LBB248_275:                            ;   in Loop: Header=BB248_168 Depth=1
	v_cmp_ne_u16_e64 s[0:1], 0, v2
	s_andn2_b64 s[8:9], s[8:9], exec
	s_and_b64 s[0:1], s[0:1], exec
	v_mov_b32_e32 v16, 0
	s_or_b64 s[8:9], s[8:9], s[0:1]
	s_or_b64 exec, exec, s[12:13]
	s_and_saveexec_b64 s[12:13], s[8:9]
	s_cbranch_execnz .LBB248_209
	s_branch .LBB248_210
.LBB248_276:                            ;   in Loop: Header=BB248_168 Depth=1
	v_cmp_eq_u16_sdwa s[34:35], v2, s23 src0_sel:BYTE_0 src1_sel:DWORD
	s_mov_b64 s[0:1], -1
                                        ; implicit-def: $sgpr14
	s_and_saveexec_b64 s[12:13], s[34:35]
; %bb.277:                              ;   in Loop: Header=BB248_168 Depth=1
	s_mov_b32 s14, 0x7fc02000
	s_xor_b64 s[0:1], exec, -1
; %bb.278:                              ;   in Loop: Header=BB248_168 Depth=1
	s_or_b64 exec, exec, s[12:13]
	s_and_b64 s[0:1], s[0:1], exec
	s_or_saveexec_b64 s[8:9], s[8:9]
	v_mov_b32_e32 v11, s14
	s_xor_b64 exec, exec, s[8:9]
	s_cbranch_execz .LBB248_212
.LBB248_279:                            ;   in Loop: Header=BB248_168 Depth=1
	v_cmp_ne_u16_sdwa s[12:13], v2, v3 src0_sel:BYTE_0 src1_sel:DWORD
	s_andn2_b64 s[0:1], s[0:1], exec
	s_and_b64 s[12:13], s[12:13], exec
	v_mov_b32_e32 v11, 0
	s_or_b64 s[0:1], s[0:1], s[12:13]
	s_or_b64 exec, exec, s[8:9]
	s_and_saveexec_b64 s[8:9], s[0:1]
	s_cbranch_execnz .LBB248_213
	s_branch .LBB248_214
.LBB248_280:                            ;   in Loop: Header=BB248_168 Depth=1
	v_cmp_eq_u16_e64 s[0:1], s23, v2
	s_mov_b64 s[8:9], -1
                                        ; implicit-def: $sgpr34
	s_and_saveexec_b64 s[14:15], s[0:1]
; %bb.281:                              ;   in Loop: Header=BB248_168 Depth=1
	s_mov_b32 s34, 0x7fc02000
	s_xor_b64 s[8:9], exec, -1
; %bb.282:                              ;   in Loop: Header=BB248_168 Depth=1
	s_or_b64 exec, exec, s[14:15]
	s_and_b64 s[8:9], s[8:9], exec
	s_or_saveexec_b64 s[12:13], s[12:13]
	v_mov_b32_e32 v17, s34
	s_xor_b64 exec, exec, s[12:13]
	s_cbranch_execz .LBB248_216
.LBB248_283:                            ;   in Loop: Header=BB248_168 Depth=1
	v_cmp_ne_u16_e64 s[0:1], 0, v2
	s_andn2_b64 s[8:9], s[8:9], exec
	s_and_b64 s[0:1], s[0:1], exec
	v_mov_b32_e32 v17, 0
	s_or_b64 s[8:9], s[8:9], s[0:1]
	s_or_b64 exec, exec, s[12:13]
	s_and_saveexec_b64 s[12:13], s[8:9]
	s_cbranch_execnz .LBB248_217
	s_branch .LBB248_218
.LBB248_284:                            ;   in Loop: Header=BB248_168 Depth=1
	v_cmp_eq_u16_sdwa s[34:35], v15, s23 src0_sel:BYTE_0 src1_sel:DWORD
	s_mov_b64 s[0:1], -1
                                        ; implicit-def: $sgpr14
	s_and_saveexec_b64 s[12:13], s[34:35]
; %bb.285:                              ;   in Loop: Header=BB248_168 Depth=1
	s_mov_b32 s14, 0x7fc02000
	s_xor_b64 s[0:1], exec, -1
; %bb.286:                              ;   in Loop: Header=BB248_168 Depth=1
	s_or_b64 exec, exec, s[12:13]
	s_and_b64 s[0:1], s[0:1], exec
	s_or_saveexec_b64 s[8:9], s[8:9]
	v_mov_b32_e32 v14, s14
	s_xor_b64 exec, exec, s[8:9]
	s_cbranch_execz .LBB248_220
.LBB248_287:                            ;   in Loop: Header=BB248_168 Depth=1
	v_cmp_ne_u16_sdwa s[12:13], v15, v3 src0_sel:BYTE_0 src1_sel:DWORD
	s_andn2_b64 s[0:1], s[0:1], exec
	s_and_b64 s[12:13], s[12:13], exec
	v_mov_b32_e32 v14, 0
	s_or_b64 s[0:1], s[0:1], s[12:13]
	s_or_b64 exec, exec, s[8:9]
	v_mov_b32_e32 v2, v15
	s_and_saveexec_b64 s[8:9], s[0:1]
	s_cbranch_execnz .LBB248_221
	s_branch .LBB248_222
.LBB248_288:                            ;   in Loop: Header=BB248_168 Depth=1
	v_cmp_eq_u16_e64 s[0:1], s23, v2
	s_mov_b64 s[8:9], -1
                                        ; implicit-def: $sgpr34
	s_and_saveexec_b64 s[14:15], s[0:1]
; %bb.289:                              ;   in Loop: Header=BB248_168 Depth=1
	s_mov_b32 s34, 0x7fc02000
	s_xor_b64 s[8:9], exec, -1
; %bb.290:                              ;   in Loop: Header=BB248_168 Depth=1
	s_or_b64 exec, exec, s[14:15]
	s_and_b64 s[8:9], s[8:9], exec
	s_or_saveexec_b64 s[12:13], s[12:13]
	v_mov_b32_e32 v36, s34
	s_xor_b64 exec, exec, s[12:13]
	s_cbranch_execz .LBB248_224
.LBB248_291:                            ;   in Loop: Header=BB248_168 Depth=1
	v_cmp_ne_u16_e64 s[0:1], 0, v2
	s_andn2_b64 s[8:9], s[8:9], exec
	s_and_b64 s[0:1], s[0:1], exec
	v_mov_b32_e32 v36, 0
	s_or_b64 s[8:9], s[8:9], s[0:1]
	s_or_b64 exec, exec, s[12:13]
	s_and_saveexec_b64 s[12:13], s[8:9]
	s_cbranch_execnz .LBB248_225
	s_branch .LBB248_226
.LBB248_292:                            ;   in Loop: Header=BB248_168 Depth=1
	v_cmp_eq_u16_sdwa s[34:35], v2, s23 src0_sel:BYTE_0 src1_sel:DWORD
	s_mov_b64 s[0:1], -1
                                        ; implicit-def: $sgpr14
	s_and_saveexec_b64 s[12:13], s[34:35]
; %bb.293:                              ;   in Loop: Header=BB248_168 Depth=1
	s_mov_b32 s14, 0x7fc02000
	s_xor_b64 s[0:1], exec, -1
; %bb.294:                              ;   in Loop: Header=BB248_168 Depth=1
	s_or_b64 exec, exec, s[12:13]
	s_and_b64 s[0:1], s[0:1], exec
	s_or_saveexec_b64 s[8:9], s[8:9]
	v_mov_b32_e32 v37, s14
	s_xor_b64 exec, exec, s[8:9]
	s_cbranch_execz .LBB248_228
.LBB248_295:                            ;   in Loop: Header=BB248_168 Depth=1
	v_cmp_ne_u16_sdwa s[12:13], v2, v3 src0_sel:BYTE_0 src1_sel:DWORD
	s_andn2_b64 s[0:1], s[0:1], exec
	s_and_b64 s[12:13], s[12:13], exec
	v_mov_b32_e32 v37, 0
	s_or_b64 s[0:1], s[0:1], s[12:13]
	s_or_b64 exec, exec, s[8:9]
	s_and_saveexec_b64 s[8:9], s[0:1]
	s_cbranch_execnz .LBB248_229
	s_branch .LBB248_230
.LBB248_296:                            ;   in Loop: Header=BB248_168 Depth=1
	v_cmp_eq_u16_e64 s[0:1], s23, v2
	s_mov_b64 s[8:9], -1
                                        ; implicit-def: $sgpr34
	s_and_saveexec_b64 s[14:15], s[0:1]
; %bb.297:                              ;   in Loop: Header=BB248_168 Depth=1
	s_mov_b32 s34, 0x7fc02000
	s_xor_b64 s[8:9], exec, -1
; %bb.298:                              ;   in Loop: Header=BB248_168 Depth=1
	s_or_b64 exec, exec, s[14:15]
	s_and_b64 s[8:9], s[8:9], exec
	s_or_saveexec_b64 s[12:13], s[12:13]
	v_mov_b32_e32 v38, s34
	s_xor_b64 exec, exec, s[12:13]
	s_cbranch_execz .LBB248_232
.LBB248_299:                            ;   in Loop: Header=BB248_168 Depth=1
	v_cmp_ne_u16_e64 s[0:1], 0, v2
	s_andn2_b64 s[8:9], s[8:9], exec
	s_and_b64 s[0:1], s[0:1], exec
	v_mov_b32_e32 v38, 0
	s_or_b64 s[8:9], s[8:9], s[0:1]
	s_or_b64 exec, exec, s[12:13]
	s_and_saveexec_b64 s[12:13], s[8:9]
	s_cbranch_execnz .LBB248_233
	s_branch .LBB248_234
.LBB248_300:
	s_or_b64 exec, exec, s[6:7]
.LBB248_301:
	s_or_b64 exec, exec, s[2:3]
	ds_bpermute_b32 v2, v20, v4
	ds_bpermute_b32 v3, v20, v5
	v_and_b32_e32 v1, 0x3c1, v0
	v_cmp_eq_u32_e32 vcc, 64, v1
	s_waitcnt lgkmcnt(0)
	s_barrier
	v_pk_add_f32 v[2:3], v[4:5], v[2:3]
	s_and_saveexec_b64 s[0:1], vcc
	s_cbranch_execz .LBB248_303
; %bb.302:
	v_mov_b32_e32 v4, 0x90
	v_lshl_add_u32 v4, v13, 1, v4
	ds_write2_b32 v4, v2, v3 offset1:32
.LBB248_303:
	s_or_b64 exec, exec, s[0:1]
	v_cmp_gt_u32_e32 vcc, 64, v0
	s_waitcnt lgkmcnt(0)
	s_barrier
	s_and_saveexec_b64 s[0:1], vcc
	s_cbranch_execz .LBB248_309
; %bb.304:
	v_cmp_eq_u32_e32 vcc, 0, v21
	v_lshrrev_b32_e32 v4, 1, v0
	s_and_saveexec_b64 s[2:3], vcc
	s_cbranch_execz .LBB248_306
; %bb.305:
	v_mov_b32_e32 v5, 0x90
	v_lshl_add_u32 v5, v4, 2, v5
	ds_read_b32 v5, v5
	s_waitcnt lgkmcnt(0)
	v_add_f32_e32 v2, v2, v5
.LBB248_306:
	s_or_b64 exec, exec, s[2:3]
	s_and_saveexec_b64 s[2:3], vcc
	s_cbranch_execz .LBB248_308
; %bb.307:
	v_mov_b32_e32 v5, 0x90
	v_lshl_add_u32 v4, v4, 2, v5
	ds_read_b32 v4, v4 offset:128
	s_waitcnt lgkmcnt(0)
	v_add_f32_e32 v3, v3, v4
.LBB248_308:
	s_or_b64 exec, exec, s[2:3]
.LBB248_309:
	s_or_b64 exec, exec, s[0:1]
	v_cmp_eq_u32_e32 vcc, 0, v1
	s_barrier
	s_and_saveexec_b64 s[0:1], vcc
	s_cbranch_execz .LBB248_311
; %bb.310:
	s_mul_i32 s0, s16, s17
	s_mul_i32 s0, s0, s5
	s_lshl_b32 s0, s0, 6
	s_ashr_i32 s1, s0, 31
	s_lshl_b64 s[0:1], s[0:1], 1
	s_add_u32 s2, s20, s0
	s_mul_i32 s0, s17, s18
	s_addc_u32 s3, s21, s1
	s_ashr_i32 s1, s0, 31
	s_lshl_b64 s[0:1], s[0:1], 1
	s_add_u32 s2, s2, s0
	s_addc_u32 s3, s3, s1
	s_lshl_b32 s0, s4, 6
	s_ashr_i32 s1, s0, 31
	s_lshl_b64 s[0:1], s[0:1], 1
	s_add_u32 s0, s2, s0
	s_addc_u32 s1, s3, s1
	;;#ASMSTART
	v_cvt_f16_f32 v1, v2;

	;;#ASMEND
	global_store_short v0, v1, s[0:1]
	;;#ASMSTART
	v_cvt_f16_f32 v1, v3;

	;;#ASMEND
	global_store_short v0, v1, s[0:1] offset:64
.LBB248_311:
	s_endpgm
	.section	.rodata,"a",@progbits
	.p2align	6, 0x0
	.amdhsa_kernel _ZN4vllm25paged_attention_v1_kernelIthLi64ELi16ELi128ELNS_18Fp8KVCacheDataTypeE1ELb0EEEvPT_PKS2_PKT0_S8_ifPKiSA_iPKfiiiSC_SC_iiiii
		.amdhsa_group_segment_fixed_size 144
		.amdhsa_private_segment_fixed_size 0
		.amdhsa_kernarg_size 384
		.amdhsa_user_sgpr_count 2
		.amdhsa_user_sgpr_dispatch_ptr 0
		.amdhsa_user_sgpr_queue_ptr 0
		.amdhsa_user_sgpr_kernarg_segment_ptr 1
		.amdhsa_user_sgpr_dispatch_id 0
		.amdhsa_user_sgpr_kernarg_preload_length 0
		.amdhsa_user_sgpr_kernarg_preload_offset 0
		.amdhsa_user_sgpr_private_segment_size 0
		.amdhsa_uses_dynamic_stack 0
		.amdhsa_enable_private_segment 0
		.amdhsa_system_sgpr_workgroup_id_x 1
		.amdhsa_system_sgpr_workgroup_id_y 1
		.amdhsa_system_sgpr_workgroup_id_z 1
		.amdhsa_system_sgpr_workgroup_info 0
		.amdhsa_system_vgpr_workitem_id 0
		.amdhsa_next_free_vgpr 43
		.amdhsa_next_free_sgpr 48
		.amdhsa_accum_offset 44
		.amdhsa_reserve_vcc 1
		.amdhsa_float_round_mode_32 0
		.amdhsa_float_round_mode_16_64 0
		.amdhsa_float_denorm_mode_32 3
		.amdhsa_float_denorm_mode_16_64 3
		.amdhsa_dx10_clamp 1
		.amdhsa_ieee_mode 1
		.amdhsa_fp16_overflow 0
		.amdhsa_tg_split 0
		.amdhsa_exception_fp_ieee_invalid_op 0
		.amdhsa_exception_fp_denorm_src 0
		.amdhsa_exception_fp_ieee_div_zero 0
		.amdhsa_exception_fp_ieee_overflow 0
		.amdhsa_exception_fp_ieee_underflow 0
		.amdhsa_exception_fp_ieee_inexact 0
		.amdhsa_exception_int_div_zero 0
	.end_amdhsa_kernel
	.section	.text._ZN4vllm25paged_attention_v1_kernelIthLi64ELi16ELi128ELNS_18Fp8KVCacheDataTypeE1ELb0EEEvPT_PKS2_PKT0_S8_ifPKiSA_iPKfiiiSC_SC_iiiii,"axG",@progbits,_ZN4vllm25paged_attention_v1_kernelIthLi64ELi16ELi128ELNS_18Fp8KVCacheDataTypeE1ELb0EEEvPT_PKS2_PKT0_S8_ifPKiSA_iPKfiiiSC_SC_iiiii,comdat
.Lfunc_end248:
	.size	_ZN4vllm25paged_attention_v1_kernelIthLi64ELi16ELi128ELNS_18Fp8KVCacheDataTypeE1ELb0EEEvPT_PKS2_PKT0_S8_ifPKiSA_iPKfiiiSC_SC_iiiii, .Lfunc_end248-_ZN4vllm25paged_attention_v1_kernelIthLi64ELi16ELi128ELNS_18Fp8KVCacheDataTypeE1ELb0EEEvPT_PKS2_PKT0_S8_ifPKiSA_iPKfiiiSC_SC_iiiii
                                        ; -- End function
	.section	.AMDGPU.csdata,"",@progbits
; Kernel info:
; codeLenInByte = 12864
; NumSgprs: 54
; NumVgprs: 43
; NumAgprs: 0
; TotalNumVgprs: 43
; ScratchSize: 0
; MemoryBound: 0
; FloatMode: 240
; IeeeMode: 1
; LDSByteSize: 144 bytes/workgroup (compile time only)
; SGPRBlocks: 6
; VGPRBlocks: 5
; NumSGPRsForWavesPerEU: 54
; NumVGPRsForWavesPerEU: 43
; AccumOffset: 44
; Occupancy: 8
; WaveLimiterHint : 1
; COMPUTE_PGM_RSRC2:SCRATCH_EN: 0
; COMPUTE_PGM_RSRC2:USER_SGPR: 2
; COMPUTE_PGM_RSRC2:TRAP_HANDLER: 0
; COMPUTE_PGM_RSRC2:TGID_X_EN: 1
; COMPUTE_PGM_RSRC2:TGID_Y_EN: 1
; COMPUTE_PGM_RSRC2:TGID_Z_EN: 1
; COMPUTE_PGM_RSRC2:TIDIG_COMP_CNT: 0
; COMPUTE_PGM_RSRC3_GFX90A:ACCUM_OFFSET: 10
; COMPUTE_PGM_RSRC3_GFX90A:TG_SPLIT: 0
	.section	.text._ZN4vllm25paged_attention_v1_kernelIthLi80ELi16ELi128ELNS_18Fp8KVCacheDataTypeE1ELb0EEEvPT_PKS2_PKT0_S8_ifPKiSA_iPKfiiiSC_SC_iiiii,"axG",@progbits,_ZN4vllm25paged_attention_v1_kernelIthLi80ELi16ELi128ELNS_18Fp8KVCacheDataTypeE1ELb0EEEvPT_PKS2_PKT0_S8_ifPKiSA_iPKfiiiSC_SC_iiiii,comdat
	.protected	_ZN4vllm25paged_attention_v1_kernelIthLi80ELi16ELi128ELNS_18Fp8KVCacheDataTypeE1ELb0EEEvPT_PKS2_PKT0_S8_ifPKiSA_iPKfiiiSC_SC_iiiii ; -- Begin function _ZN4vllm25paged_attention_v1_kernelIthLi80ELi16ELi128ELNS_18Fp8KVCacheDataTypeE1ELb0EEEvPT_PKS2_PKT0_S8_ifPKiSA_iPKfiiiSC_SC_iiiii
	.globl	_ZN4vllm25paged_attention_v1_kernelIthLi80ELi16ELi128ELNS_18Fp8KVCacheDataTypeE1ELb0EEEvPT_PKS2_PKT0_S8_ifPKiSA_iPKfiiiSC_SC_iiiii
	.p2align	8
	.type	_ZN4vllm25paged_attention_v1_kernelIthLi80ELi16ELi128ELNS_18Fp8KVCacheDataTypeE1ELb0EEEvPT_PKS2_PKT0_S8_ifPKiSA_iPKfiiiSC_SC_iiiii,@function
_ZN4vllm25paged_attention_v1_kernelIthLi80ELi16ELi128ELNS_18Fp8KVCacheDataTypeE1ELb0EEEvPT_PKS2_PKT0_S8_ifPKiSA_iPKfiiiSC_SC_iiiii: ; @_ZN4vllm25paged_attention_v1_kernelIthLi80ELi16ELi128ELNS_18Fp8KVCacheDataTypeE1ELb0EEEvPT_PKS2_PKT0_S8_ifPKiSA_iPKfiiiSC_SC_iiiii
; %bb.0:
	s_load_dword s5, s[0:1], 0x80
	s_load_dwordx2 s[6:7], s[0:1], 0x30
	s_load_dwordx2 s[28:29], s[0:1], 0x20
	s_mov_b32 s16, s3
	s_ashr_i32 s17, s3, 31
	s_lshl_b64 s[8:9], s[16:17], 2
	s_waitcnt lgkmcnt(0)
	s_add_u32 s6, s6, s8
	s_addc_u32 s7, s7, s9
	s_abs_i32 s3, s28
	v_cvt_f32_u32_e32 v1, s3
	s_sub_i32 s10, 0, s3
	s_abs_i32 s9, s5
	s_xor_b32 s8, s5, s28
	v_rcp_iflag_f32_e32 v1, v1
	s_ashr_i32 s8, s8, 31
	s_mov_b32 s28, 0
	v_mul_f32_e32 v1, 0x4f7ffffe, v1
	v_cvt_u32_f32_e32 v1, v1
	s_nop 0
	v_readfirstlane_b32 s11, v1
	s_mul_i32 s10, s10, s11
	s_mul_hi_u32 s10, s11, s10
	s_add_i32 s11, s11, s10
	s_mul_hi_u32 s10, s9, s11
	s_mul_i32 s11, s10, s3
	s_sub_i32 s9, s9, s11
	s_add_i32 s11, s10, 1
	s_sub_i32 s12, s9, s3
	s_cmp_ge_u32 s9, s3
	s_cselect_b32 s10, s11, s10
	s_cselect_b32 s9, s12, s9
	s_add_i32 s11, s10, 1
	s_cmp_ge_u32 s9, s3
	s_cselect_b32 s3, s11, s10
	s_xor_b32 s3, s3, s8
	s_sub_i32 s18, s3, s8
	s_abs_i32 s10, s18
	v_cvt_f32_u32_e32 v1, s10
	s_load_dwordx2 s[8:9], s[0:1], 0x40
	s_sub_i32 s3, 0, s10
	s_abs_i32 s11, s2
	v_rcp_iflag_f32_e32 v1, v1
	s_nop 0
	v_mul_f32_e32 v1, 0x4f7ffffe, v1
	v_cvt_u32_f32_e32 v1, v1
	s_nop 0
	v_readfirstlane_b32 s12, v1
	s_mul_i32 s3, s3, s12
	s_mul_hi_u32 s3, s12, s3
	s_add_i32 s12, s12, s3
	s_waitcnt lgkmcnt(0)
	s_cmp_eq_u64 s[8:9], 0
	s_mul_hi_u32 s17, s11, s12
	s_cbranch_scc1 .LBB249_2
; %bb.1:
	s_ashr_i32 s3, s2, 31
	s_lshl_b64 s[12:13], s[2:3], 2
	s_add_u32 s8, s8, s12
	s_addc_u32 s9, s9, s13
	s_load_dword s28, s[8:9], 0x0
.LBB249_2:
	s_load_dword s33, s[6:7], 0x0
	s_load_dwordx4 s[12:15], s[0:1], 0x48
	s_ashr_i32 s6, s2, 31
	s_ashr_i32 s7, s18, 31
	v_and_b32_e32 v7, 3, v0
	s_mul_i32 s18, s2, 0x50
	v_cmp_gt_u32_e32 vcc, 40, v0
	s_and_saveexec_b64 s[2:3], vcc
	s_cbranch_execz .LBB249_4
; %bb.3:
	s_load_dwordx2 s[8:9], s[0:1], 0x8
	s_waitcnt lgkmcnt(0)
	s_mul_i32 s20, s16, s12
	s_ashr_i32 s21, s20, 31
	s_lshl_b64 s[20:21], s[20:21], 1
	v_lshlrev_b32_e32 v1, 2, v0
	s_add_u32 s12, s8, s20
	s_addc_u32 s15, s9, s21
	s_ashr_i32 s19, s18, 31
	s_lshl_b64 s[8:9], s[18:19], 1
	s_add_u32 s8, s12, s8
	s_addc_u32 s9, s15, s9
	global_load_dword v1, v1, s[8:9]
	v_and_b32_e32 v2, 0x3fc, v0
	v_mad_u32_u24 v2, v7, 40, v2
	s_waitcnt vmcnt(0)
	ds_write_b32 v2, v1
.LBB249_4:
	s_or_b64 exec, exec, s[2:3]
	s_waitcnt lgkmcnt(0)
	s_add_i32 s3, s33, 15
	s_ashr_i32 s8, s3, 31
	s_lshr_b32 s8, s8, 28
	s_add_i32 s3, s3, s8
	s_ashr_i32 s19, s3, 4
	s_xor_b32 s3, s6, s7
	s_mul_i32 s6, s17, s10
	s_sub_i32 s6, s11, s6
	s_add_i32 s7, s17, 1
	s_sub_i32 s8, s6, s10
	s_load_dwordx2 s[22:23], s[0:1], 0x28
	s_load_dword s2, s[0:1], 0x38
	s_cmp_ge_u32 s6, s10
	s_cselect_b32 s7, s7, s17
	s_cselect_b32 s6, s8, s6
	s_add_i32 s8, s7, 1
	s_cmp_ge_u32 s6, s10
	s_cselect_b32 s6, s8, s7
	v_lshrrev_b32_e32 v1, 6, v0
	s_xor_b32 s6, s6, s3
	s_waitcnt lgkmcnt(0)
	s_mul_i32 s24, s16, s2
	s_sub_i32 s12, s6, s3
	s_ashr_i32 s25, s24, 31
	v_cmp_gt_i32_e64 s[6:7], s19, v1
	v_cmp_le_i32_e32 vcc, s19, v1
	v_mbcnt_lo_u32_b32 v10, -1, 0
	s_barrier
	s_waitcnt lgkmcnt(0)
                                        ; implicit-def: $sgpr15
                                        ; implicit-def: $vgpr13
                                        ; implicit-def: $vgpr2
	s_and_saveexec_b64 s[2:3], vcc
	s_xor_b64 s[2:3], exec, s[2:3]
; %bb.5:
	v_mbcnt_hi_u32_b32 v13, -1, v10
	v_and_b32_e32 v2, 64, v13
	v_add_u32_e32 v2, 64, v2
	s_mov_b32 s15, 0xff7fffff
                                        ; implicit-def: $vgpr7
                                        ; implicit-def: $vgpr10
; %bb.6:
	s_or_saveexec_b64 s[30:31], s[2:3]
	s_load_dwordx2 s[20:21], s[0:1], 0x0
	s_load_dwordx2 s[26:27], s[0:1], 0x18
	s_load_dword s17, s[0:1], 0x88
	s_load_dwordx4 s[8:11], s[0:1], 0x58
	v_mov_b32_e32 v14, s15
	s_mul_i32 s12, s12, s14
	v_lshrrev_b32_e32 v12, 4, v0
	s_xor_b64 exec, exec, s[30:31]
	s_cbranch_execz .LBB249_172
; %bb.7:
	s_load_dwordx2 s[0:1], s[0:1], 0x10
	s_ashr_i32 s2, s12, 31
	v_bfe_u32 v8, v0, 2, 4
	v_lshlrev_b32_e32 v2, 4, v8
	v_mov_b32_e32 v3, 0
	s_waitcnt lgkmcnt(0)
	s_add_u32 s0, s0, s12
	s_addc_u32 s1, s1, s2
	v_lshl_add_u64 v[4:5], s[0:1], 0, v[2:3]
	s_sub_i32 s41, 1, s33
	v_lshlrev_b32_e32 v2, 2, v8
	s_lshl_b64 s[0:1], s[24:25], 2
	v_lshl_or_b32 v2, v1, 6, v2
	s_add_u32 s0, s22, s0
	v_add_u32_e32 v17, 0xb0, v2
	v_and_b32_e32 v2, 60, v12
	s_addc_u32 s1, s23, s1
	s_mov_b32 s40, s13
	v_lshlrev_b32_e32 v6, 1, v7
	v_mul_u32_u24_e32 v15, 40, v7
	v_cmp_eq_u32_e32 vcc, 0, v7
	v_cmp_neq_f32_e64 s[2:3], s28, 0
	v_mov_b32_e32 v7, v3
	v_lshl_or_b32 v16, v1, 4, v8
	v_lshl_add_u64 v[8:9], s[0:1], 0, v[2:3]
	s_mov_b64 s[14:15], 0
	v_mov_b32_e32 v14, 0xff7fffff
	s_movk_i32 s42, 0x7f
	s_movk_i32 s43, 0x80
	s_mov_b32 s44, 0x8000
	v_mbcnt_hi_u32_b32 v13, -1, v10
	v_mov_b32_e32 v18, 0x1c00
	v_mov_b32_e32 v19, v1
	s_branch .LBB249_9
.LBB249_8:                              ;   in Loop: Header=BB249_9 Depth=1
	s_or_b64 exec, exec, s[34:35]
	v_add_u32_e32 v19, 2, v19
	v_cmp_le_i32_e64 s[0:1], s19, v19
	v_add_u32_e32 v16, 32, v16
	v_add_u32_e32 v17, 0x80, v17
	s_or_b64 s[14:15], s[0:1], s[14:15]
	v_lshl_add_u64 v[8:9], v[8:9], 0, 8
	s_andn2_b64 exec, exec, s[14:15]
	s_cbranch_execz .LBB249_171
.LBB249_9:                              ; =>This Inner Loop Header: Depth=1
	global_load_dword v2, v[8:9], off
                                        ; implicit-def: $sgpr38
	s_waitcnt vmcnt(0) lgkmcnt(0)
	v_mad_i64_i32 v[10:11], s[0:1], v2, s40, v[4:5]
	v_lshl_add_u64 v[10:11], v[10:11], 0, v[6:7]
	global_load_ushort v2, v[10:11], off
	global_load_dword v20, v3, s[8:9]
	s_mov_b64 s[0:1], 0
	s_waitcnt vmcnt(1)
	v_cmp_gt_i16_sdwa s[34:35], v2, s42 src0_sel:BYTE_0 src1_sel:DWORD
	s_and_saveexec_b64 s[36:37], s[34:35]
	s_xor_b64 s[34:35], exec, s[36:37]
	s_cbranch_execnz .LBB249_91
; %bb.10:                               ;   in Loop: Header=BB249_9 Depth=1
	s_or_saveexec_b64 s[34:35], s[34:35]
	v_mov_b32_e32 v21, s38
	s_xor_b64 exec, exec, s[34:35]
	s_cbranch_execnz .LBB249_94
.LBB249_11:                             ;   in Loop: Header=BB249_9 Depth=1
	s_or_b64 exec, exec, s[34:35]
	v_and_b32_e32 v2, 0xffff, v2
	s_and_saveexec_b64 s[34:35], s[0:1]
	s_cbranch_execz .LBB249_13
.LBB249_12:                             ;   in Loop: Header=BB249_9 Depth=1
	v_and_b32_e32 v21, 7, v2
	v_ffbh_u32_e32 v22, v21
	v_min_u32_e32 v25, 32, v22
	v_subrev_u32_e32 v22, 28, v25
	v_bfe_u32 v24, v2, 3, 4
	v_lshlrev_b64 v[22:23], v22, v[2:3]
	v_sub_u32_e32 v23, 29, v25
	v_cmp_eq_u32_e64 s[0:1], 0, v24
	v_and_b32_e32 v22, 7, v22
	s_nop 0
	v_cndmask_b32_e64 v23, v24, v23, s[0:1]
	v_cndmask_b32_e64 v21, v21, v22, s[0:1]
	v_lshlrev_b32_e32 v22, 8, v2
	v_lshl_add_u32 v23, v23, 10, v18
	v_and_or_b32 v22, v22, s44, v23
	v_lshl_or_b32 v21, v21, 7, v22
	v_cvt_f32_f16_e32 v21, v21
.LBB249_13:                             ;   in Loop: Header=BB249_9 Depth=1
	s_or_b64 exec, exec, s[34:35]
	v_lshrrev_b16_e32 v2, 8, v2
	v_cmp_lt_i16_e64 s[0:1], s42, v2
	s_mov_b64 s[34:35], 0
                                        ; implicit-def: $sgpr45
	s_and_saveexec_b64 s[36:37], s[0:1]
	s_xor_b64 s[36:37], exec, s[36:37]
	s_cbranch_execnz .LBB249_95
; %bb.14:                               ;   in Loop: Header=BB249_9 Depth=1
	s_or_saveexec_b64 s[36:37], s[36:37]
	v_mov_b32_e32 v22, s45
	s_xor_b64 exec, exec, s[36:37]
	s_cbranch_execnz .LBB249_98
.LBB249_15:                             ;   in Loop: Header=BB249_9 Depth=1
	s_or_b64 exec, exec, s[36:37]
	s_and_saveexec_b64 s[36:37], s[34:35]
	s_cbranch_execz .LBB249_17
.LBB249_16:                             ;   in Loop: Header=BB249_9 Depth=1
	v_and_b32_e32 v24, 7, v2
	v_ffbh_u32_e32 v22, v24
	v_min_u32_e32 v26, 32, v22
	v_subrev_u32_e32 v22, 28, v26
	v_bfe_u32 v25, v2, 3, 4
	v_lshlrev_b64 v[22:23], v22, v[2:3]
	v_sub_u32_e32 v23, 29, v26
	v_cmp_eq_u32_e64 s[0:1], 0, v25
	v_and_b32_e32 v22, 7, v22
	v_lshlrev_b32_e32 v2, 8, v2
	v_cndmask_b32_e64 v23, v25, v23, s[0:1]
	v_lshl_add_u32 v23, v23, 10, v18
	v_cndmask_b32_e64 v22, v24, v22, s[0:1]
	v_and_or_b32 v2, v2, s44, v23
	v_lshl_or_b32 v2, v22, 7, v2
	v_cvt_f32_f16_e32 v22, v2
.LBB249_17:                             ;   in Loop: Header=BB249_9 Depth=1
	s_or_b64 exec, exec, s[36:37]
	global_load_ushort v2, v[10:11], off offset:8
	s_mov_b64 s[0:1], 0
                                        ; implicit-def: $sgpr38
	s_waitcnt vmcnt(0)
	v_cmp_gt_i16_sdwa s[34:35], v2, s42 src0_sel:BYTE_0 src1_sel:DWORD
	s_and_saveexec_b64 s[36:37], s[34:35]
	s_xor_b64 s[34:35], exec, s[36:37]
	s_cbranch_execnz .LBB249_99
; %bb.18:                               ;   in Loop: Header=BB249_9 Depth=1
	s_or_saveexec_b64 s[34:35], s[34:35]
	v_mov_b32_e32 v23, s38
	s_xor_b64 exec, exec, s[34:35]
	s_cbranch_execnz .LBB249_102
.LBB249_19:                             ;   in Loop: Header=BB249_9 Depth=1
	s_or_b64 exec, exec, s[34:35]
	v_and_b32_e32 v2, 0xffff, v2
	s_and_saveexec_b64 s[34:35], s[0:1]
	s_cbranch_execz .LBB249_21
.LBB249_20:                             ;   in Loop: Header=BB249_9 Depth=1
	v_and_b32_e32 v23, 7, v2
	v_ffbh_u32_e32 v24, v23
	v_min_u32_e32 v27, 32, v24
	v_subrev_u32_e32 v24, 28, v27
	v_bfe_u32 v26, v2, 3, 4
	v_lshlrev_b64 v[24:25], v24, v[2:3]
	v_sub_u32_e32 v25, 29, v27
	v_cmp_eq_u32_e64 s[0:1], 0, v26
	v_and_b32_e32 v24, 7, v24
	s_nop 0
	v_cndmask_b32_e64 v25, v26, v25, s[0:1]
	v_cndmask_b32_e64 v23, v23, v24, s[0:1]
	v_lshlrev_b32_e32 v24, 8, v2
	v_lshl_add_u32 v25, v25, 10, v18
	v_and_or_b32 v24, v24, s44, v25
	v_lshl_or_b32 v23, v23, 7, v24
	v_cvt_f32_f16_e32 v23, v23
.LBB249_21:                             ;   in Loop: Header=BB249_9 Depth=1
	s_or_b64 exec, exec, s[34:35]
	v_lshrrev_b16_e32 v2, 8, v2
	v_cmp_lt_i16_e64 s[0:1], s42, v2
	s_mov_b64 s[34:35], 0
                                        ; implicit-def: $sgpr45
	s_and_saveexec_b64 s[36:37], s[0:1]
	s_xor_b64 s[36:37], exec, s[36:37]
	s_cbranch_execnz .LBB249_103
; %bb.22:                               ;   in Loop: Header=BB249_9 Depth=1
	s_or_saveexec_b64 s[36:37], s[36:37]
	v_mov_b32_e32 v24, s45
	s_xor_b64 exec, exec, s[36:37]
	s_cbranch_execnz .LBB249_106
.LBB249_23:                             ;   in Loop: Header=BB249_9 Depth=1
	s_or_b64 exec, exec, s[36:37]
	s_and_saveexec_b64 s[36:37], s[34:35]
	s_cbranch_execz .LBB249_25
.LBB249_24:                             ;   in Loop: Header=BB249_9 Depth=1
	v_and_b32_e32 v26, 7, v2
	v_ffbh_u32_e32 v24, v26
	v_min_u32_e32 v28, 32, v24
	v_subrev_u32_e32 v24, 28, v28
	v_bfe_u32 v27, v2, 3, 4
	v_lshlrev_b64 v[24:25], v24, v[2:3]
	v_sub_u32_e32 v25, 29, v28
	v_cmp_eq_u32_e64 s[0:1], 0, v27
	v_and_b32_e32 v24, 7, v24
	v_lshlrev_b32_e32 v2, 8, v2
	v_cndmask_b32_e64 v25, v27, v25, s[0:1]
	v_lshl_add_u32 v25, v25, 10, v18
	v_cndmask_b32_e64 v24, v26, v24, s[0:1]
	v_and_or_b32 v2, v2, s44, v25
	v_lshl_or_b32 v2, v24, 7, v2
	v_cvt_f32_f16_e32 v24, v2
.LBB249_25:                             ;   in Loop: Header=BB249_9 Depth=1
	s_or_b64 exec, exec, s[36:37]
	global_load_ushort v2, v[10:11], off offset:256
	s_mov_b64 s[0:1], 0
                                        ; implicit-def: $sgpr38
	s_waitcnt vmcnt(0)
	v_cmp_gt_i16_sdwa s[34:35], v2, s42 src0_sel:BYTE_0 src1_sel:DWORD
	s_and_saveexec_b64 s[36:37], s[34:35]
	s_xor_b64 s[34:35], exec, s[36:37]
	s_cbranch_execnz .LBB249_107
; %bb.26:                               ;   in Loop: Header=BB249_9 Depth=1
	s_or_saveexec_b64 s[34:35], s[34:35]
	v_mov_b32_e32 v25, s38
	s_xor_b64 exec, exec, s[34:35]
	s_cbranch_execnz .LBB249_110
.LBB249_27:                             ;   in Loop: Header=BB249_9 Depth=1
	s_or_b64 exec, exec, s[34:35]
	v_and_b32_e32 v2, 0xffff, v2
	s_and_saveexec_b64 s[34:35], s[0:1]
	s_cbranch_execz .LBB249_29
.LBB249_28:                             ;   in Loop: Header=BB249_9 Depth=1
	v_and_b32_e32 v25, 7, v2
	v_ffbh_u32_e32 v26, v25
	v_min_u32_e32 v29, 32, v26
	v_subrev_u32_e32 v26, 28, v29
	v_bfe_u32 v28, v2, 3, 4
	v_lshlrev_b64 v[26:27], v26, v[2:3]
	v_sub_u32_e32 v27, 29, v29
	v_cmp_eq_u32_e64 s[0:1], 0, v28
	v_and_b32_e32 v26, 7, v26
	s_nop 0
	v_cndmask_b32_e64 v27, v28, v27, s[0:1]
	v_cndmask_b32_e64 v25, v25, v26, s[0:1]
	v_lshlrev_b32_e32 v26, 8, v2
	v_lshl_add_u32 v27, v27, 10, v18
	v_and_or_b32 v26, v26, s44, v27
	v_lshl_or_b32 v25, v25, 7, v26
	v_cvt_f32_f16_e32 v25, v25
.LBB249_29:                             ;   in Loop: Header=BB249_9 Depth=1
	s_or_b64 exec, exec, s[34:35]
	v_lshrrev_b16_e32 v2, 8, v2
	v_cmp_lt_i16_e64 s[0:1], s42, v2
	s_mov_b64 s[34:35], 0
                                        ; implicit-def: $sgpr45
	s_and_saveexec_b64 s[36:37], s[0:1]
	s_xor_b64 s[36:37], exec, s[36:37]
	s_cbranch_execnz .LBB249_111
; %bb.30:                               ;   in Loop: Header=BB249_9 Depth=1
	s_or_saveexec_b64 s[36:37], s[36:37]
	v_mov_b32_e32 v26, s45
	s_xor_b64 exec, exec, s[36:37]
	s_cbranch_execnz .LBB249_114
.LBB249_31:                             ;   in Loop: Header=BB249_9 Depth=1
	s_or_b64 exec, exec, s[36:37]
	s_and_saveexec_b64 s[36:37], s[34:35]
	s_cbranch_execz .LBB249_33
.LBB249_32:                             ;   in Loop: Header=BB249_9 Depth=1
	v_and_b32_e32 v28, 7, v2
	v_ffbh_u32_e32 v26, v28
	v_min_u32_e32 v30, 32, v26
	v_subrev_u32_e32 v26, 28, v30
	v_bfe_u32 v29, v2, 3, 4
	v_lshlrev_b64 v[26:27], v26, v[2:3]
	v_sub_u32_e32 v27, 29, v30
	v_cmp_eq_u32_e64 s[0:1], 0, v29
	v_and_b32_e32 v26, 7, v26
	v_lshlrev_b32_e32 v2, 8, v2
	v_cndmask_b32_e64 v27, v29, v27, s[0:1]
	v_lshl_add_u32 v27, v27, 10, v18
	v_cndmask_b32_e64 v26, v28, v26, s[0:1]
	v_and_or_b32 v2, v2, s44, v27
	v_lshl_or_b32 v2, v26, 7, v2
	v_cvt_f32_f16_e32 v26, v2
.LBB249_33:                             ;   in Loop: Header=BB249_9 Depth=1
	s_or_b64 exec, exec, s[36:37]
	global_load_ushort v2, v[10:11], off offset:264
	s_mov_b64 s[0:1], 0
                                        ; implicit-def: $sgpr38
	s_waitcnt vmcnt(0)
	v_cmp_gt_i16_sdwa s[34:35], v2, s42 src0_sel:BYTE_0 src1_sel:DWORD
	s_and_saveexec_b64 s[36:37], s[34:35]
	s_xor_b64 s[34:35], exec, s[36:37]
	s_cbranch_execnz .LBB249_115
; %bb.34:                               ;   in Loop: Header=BB249_9 Depth=1
	s_or_saveexec_b64 s[34:35], s[34:35]
	v_mov_b32_e32 v27, s38
	s_xor_b64 exec, exec, s[34:35]
	s_cbranch_execnz .LBB249_118
.LBB249_35:                             ;   in Loop: Header=BB249_9 Depth=1
	s_or_b64 exec, exec, s[34:35]
	v_and_b32_e32 v2, 0xffff, v2
	s_and_saveexec_b64 s[34:35], s[0:1]
	s_cbranch_execz .LBB249_37
.LBB249_36:                             ;   in Loop: Header=BB249_9 Depth=1
	v_and_b32_e32 v27, 7, v2
	v_ffbh_u32_e32 v28, v27
	v_min_u32_e32 v31, 32, v28
	v_subrev_u32_e32 v28, 28, v31
	v_bfe_u32 v30, v2, 3, 4
	v_lshlrev_b64 v[28:29], v28, v[2:3]
	v_sub_u32_e32 v29, 29, v31
	v_cmp_eq_u32_e64 s[0:1], 0, v30
	v_and_b32_e32 v28, 7, v28
	s_nop 0
	v_cndmask_b32_e64 v29, v30, v29, s[0:1]
	v_cndmask_b32_e64 v27, v27, v28, s[0:1]
	v_lshlrev_b32_e32 v28, 8, v2
	v_lshl_add_u32 v29, v29, 10, v18
	v_and_or_b32 v28, v28, s44, v29
	v_lshl_or_b32 v27, v27, 7, v28
	v_cvt_f32_f16_e32 v27, v27
.LBB249_37:                             ;   in Loop: Header=BB249_9 Depth=1
	s_or_b64 exec, exec, s[34:35]
	v_lshrrev_b16_e32 v2, 8, v2
	v_cmp_lt_i16_e64 s[0:1], s42, v2
	s_mov_b64 s[34:35], 0
                                        ; implicit-def: $sgpr45
	s_and_saveexec_b64 s[36:37], s[0:1]
	s_xor_b64 s[36:37], exec, s[36:37]
	s_cbranch_execnz .LBB249_119
; %bb.38:                               ;   in Loop: Header=BB249_9 Depth=1
	s_or_saveexec_b64 s[36:37], s[36:37]
	v_mov_b32_e32 v28, s45
	s_xor_b64 exec, exec, s[36:37]
	s_cbranch_execnz .LBB249_122
.LBB249_39:                             ;   in Loop: Header=BB249_9 Depth=1
	s_or_b64 exec, exec, s[36:37]
	s_and_saveexec_b64 s[36:37], s[34:35]
	s_cbranch_execz .LBB249_41
.LBB249_40:                             ;   in Loop: Header=BB249_9 Depth=1
	v_and_b32_e32 v30, 7, v2
	v_ffbh_u32_e32 v28, v30
	v_min_u32_e32 v32, 32, v28
	v_subrev_u32_e32 v28, 28, v32
	v_bfe_u32 v31, v2, 3, 4
	v_lshlrev_b64 v[28:29], v28, v[2:3]
	v_sub_u32_e32 v29, 29, v32
	v_cmp_eq_u32_e64 s[0:1], 0, v31
	v_and_b32_e32 v28, 7, v28
	v_lshlrev_b32_e32 v2, 8, v2
	v_cndmask_b32_e64 v29, v31, v29, s[0:1]
	v_lshl_add_u32 v29, v29, 10, v18
	v_cndmask_b32_e64 v28, v30, v28, s[0:1]
	v_and_or_b32 v2, v2, s44, v29
	v_lshl_or_b32 v2, v28, 7, v2
	v_cvt_f32_f16_e32 v28, v2
.LBB249_41:                             ;   in Loop: Header=BB249_9 Depth=1
	s_or_b64 exec, exec, s[36:37]
	global_load_ushort v2, v[10:11], off offset:512
	s_mov_b64 s[0:1], 0
                                        ; implicit-def: $sgpr38
	s_waitcnt vmcnt(0)
	v_cmp_gt_i16_sdwa s[34:35], v2, s42 src0_sel:BYTE_0 src1_sel:DWORD
	s_and_saveexec_b64 s[36:37], s[34:35]
	s_xor_b64 s[34:35], exec, s[36:37]
	s_cbranch_execnz .LBB249_123
; %bb.42:                               ;   in Loop: Header=BB249_9 Depth=1
	s_or_saveexec_b64 s[34:35], s[34:35]
	v_mov_b32_e32 v29, s38
	s_xor_b64 exec, exec, s[34:35]
	s_cbranch_execnz .LBB249_126
.LBB249_43:                             ;   in Loop: Header=BB249_9 Depth=1
	s_or_b64 exec, exec, s[34:35]
	v_and_b32_e32 v2, 0xffff, v2
	s_and_saveexec_b64 s[34:35], s[0:1]
	s_cbranch_execz .LBB249_45
.LBB249_44:                             ;   in Loop: Header=BB249_9 Depth=1
	v_and_b32_e32 v29, 7, v2
	v_ffbh_u32_e32 v30, v29
	v_min_u32_e32 v33, 32, v30
	v_subrev_u32_e32 v30, 28, v33
	v_bfe_u32 v32, v2, 3, 4
	v_lshlrev_b64 v[30:31], v30, v[2:3]
	v_sub_u32_e32 v31, 29, v33
	v_cmp_eq_u32_e64 s[0:1], 0, v32
	v_and_b32_e32 v30, 7, v30
	s_nop 0
	v_cndmask_b32_e64 v31, v32, v31, s[0:1]
	v_cndmask_b32_e64 v29, v29, v30, s[0:1]
	v_lshlrev_b32_e32 v30, 8, v2
	v_lshl_add_u32 v31, v31, 10, v18
	v_and_or_b32 v30, v30, s44, v31
	v_lshl_or_b32 v29, v29, 7, v30
	v_cvt_f32_f16_e32 v29, v29
.LBB249_45:                             ;   in Loop: Header=BB249_9 Depth=1
	s_or_b64 exec, exec, s[34:35]
	v_lshrrev_b16_e32 v2, 8, v2
	v_cmp_lt_i16_e64 s[0:1], s42, v2
	s_mov_b64 s[34:35], 0
                                        ; implicit-def: $sgpr45
	s_and_saveexec_b64 s[36:37], s[0:1]
	s_xor_b64 s[36:37], exec, s[36:37]
	s_cbranch_execnz .LBB249_127
; %bb.46:                               ;   in Loop: Header=BB249_9 Depth=1
	s_or_saveexec_b64 s[36:37], s[36:37]
	v_mov_b32_e32 v30, s45
	s_xor_b64 exec, exec, s[36:37]
	s_cbranch_execnz .LBB249_130
.LBB249_47:                             ;   in Loop: Header=BB249_9 Depth=1
	s_or_b64 exec, exec, s[36:37]
	s_and_saveexec_b64 s[36:37], s[34:35]
	s_cbranch_execz .LBB249_49
.LBB249_48:                             ;   in Loop: Header=BB249_9 Depth=1
	v_and_b32_e32 v32, 7, v2
	v_ffbh_u32_e32 v30, v32
	v_min_u32_e32 v34, 32, v30
	v_subrev_u32_e32 v30, 28, v34
	v_bfe_u32 v33, v2, 3, 4
	v_lshlrev_b64 v[30:31], v30, v[2:3]
	v_sub_u32_e32 v31, 29, v34
	v_cmp_eq_u32_e64 s[0:1], 0, v33
	v_and_b32_e32 v30, 7, v30
	v_lshlrev_b32_e32 v2, 8, v2
	v_cndmask_b32_e64 v31, v33, v31, s[0:1]
	v_lshl_add_u32 v31, v31, 10, v18
	v_cndmask_b32_e64 v30, v32, v30, s[0:1]
	v_and_or_b32 v2, v2, s44, v31
	v_lshl_or_b32 v2, v30, 7, v2
	v_cvt_f32_f16_e32 v30, v2
.LBB249_49:                             ;   in Loop: Header=BB249_9 Depth=1
	s_or_b64 exec, exec, s[36:37]
	global_load_ushort v2, v[10:11], off offset:520
	s_mov_b64 s[0:1], 0
                                        ; implicit-def: $sgpr38
	s_waitcnt vmcnt(0)
	v_cmp_gt_i16_sdwa s[34:35], v2, s42 src0_sel:BYTE_0 src1_sel:DWORD
	s_and_saveexec_b64 s[36:37], s[34:35]
	s_xor_b64 s[34:35], exec, s[36:37]
	s_cbranch_execnz .LBB249_131
; %bb.50:                               ;   in Loop: Header=BB249_9 Depth=1
	s_or_saveexec_b64 s[34:35], s[34:35]
	v_mov_b32_e32 v31, s38
	s_xor_b64 exec, exec, s[34:35]
	s_cbranch_execnz .LBB249_134
.LBB249_51:                             ;   in Loop: Header=BB249_9 Depth=1
	s_or_b64 exec, exec, s[34:35]
	v_and_b32_e32 v2, 0xffff, v2
	s_and_saveexec_b64 s[34:35], s[0:1]
	s_cbranch_execz .LBB249_53
.LBB249_52:                             ;   in Loop: Header=BB249_9 Depth=1
	v_and_b32_e32 v31, 7, v2
	v_ffbh_u32_e32 v32, v31
	v_min_u32_e32 v35, 32, v32
	v_subrev_u32_e32 v32, 28, v35
	v_bfe_u32 v34, v2, 3, 4
	v_lshlrev_b64 v[32:33], v32, v[2:3]
	v_sub_u32_e32 v33, 29, v35
	v_cmp_eq_u32_e64 s[0:1], 0, v34
	v_and_b32_e32 v32, 7, v32
	s_nop 0
	v_cndmask_b32_e64 v33, v34, v33, s[0:1]
	v_cndmask_b32_e64 v31, v31, v32, s[0:1]
	v_lshlrev_b32_e32 v32, 8, v2
	v_lshl_add_u32 v33, v33, 10, v18
	v_and_or_b32 v32, v32, s44, v33
	v_lshl_or_b32 v31, v31, 7, v32
	v_cvt_f32_f16_e32 v31, v31
.LBB249_53:                             ;   in Loop: Header=BB249_9 Depth=1
	s_or_b64 exec, exec, s[34:35]
	v_lshrrev_b16_e32 v2, 8, v2
	v_cmp_lt_i16_e64 s[0:1], s42, v2
	s_mov_b64 s[34:35], 0
                                        ; implicit-def: $sgpr45
	s_and_saveexec_b64 s[36:37], s[0:1]
	s_xor_b64 s[36:37], exec, s[36:37]
	s_cbranch_execnz .LBB249_135
; %bb.54:                               ;   in Loop: Header=BB249_9 Depth=1
	s_or_saveexec_b64 s[36:37], s[36:37]
	v_mov_b32_e32 v32, s45
	s_xor_b64 exec, exec, s[36:37]
	s_cbranch_execnz .LBB249_138
.LBB249_55:                             ;   in Loop: Header=BB249_9 Depth=1
	s_or_b64 exec, exec, s[36:37]
	s_and_saveexec_b64 s[36:37], s[34:35]
	s_cbranch_execz .LBB249_57
.LBB249_56:                             ;   in Loop: Header=BB249_9 Depth=1
	v_and_b32_e32 v34, 7, v2
	v_ffbh_u32_e32 v32, v34
	v_min_u32_e32 v36, 32, v32
	v_subrev_u32_e32 v32, 28, v36
	v_bfe_u32 v35, v2, 3, 4
	v_lshlrev_b64 v[32:33], v32, v[2:3]
	v_sub_u32_e32 v33, 29, v36
	v_cmp_eq_u32_e64 s[0:1], 0, v35
	v_and_b32_e32 v32, 7, v32
	v_lshlrev_b32_e32 v2, 8, v2
	v_cndmask_b32_e64 v33, v35, v33, s[0:1]
	v_lshl_add_u32 v33, v33, 10, v18
	v_cndmask_b32_e64 v32, v34, v32, s[0:1]
	v_and_or_b32 v2, v2, s44, v33
	v_lshl_or_b32 v2, v32, 7, v2
	v_cvt_f32_f16_e32 v32, v2
.LBB249_57:                             ;   in Loop: Header=BB249_9 Depth=1
	s_or_b64 exec, exec, s[36:37]
	global_load_ushort v2, v[10:11], off offset:768
	s_mov_b64 s[0:1], 0
                                        ; implicit-def: $sgpr38
	s_waitcnt vmcnt(0)
	v_cmp_gt_i16_sdwa s[34:35], v2, s42 src0_sel:BYTE_0 src1_sel:DWORD
	s_and_saveexec_b64 s[36:37], s[34:35]
	s_xor_b64 s[34:35], exec, s[36:37]
	s_cbranch_execnz .LBB249_139
; %bb.58:                               ;   in Loop: Header=BB249_9 Depth=1
	s_or_saveexec_b64 s[34:35], s[34:35]
	v_mov_b32_e32 v33, s38
	s_xor_b64 exec, exec, s[34:35]
	s_cbranch_execnz .LBB249_142
.LBB249_59:                             ;   in Loop: Header=BB249_9 Depth=1
	s_or_b64 exec, exec, s[34:35]
	v_and_b32_e32 v2, 0xffff, v2
	s_and_saveexec_b64 s[34:35], s[0:1]
	s_cbranch_execz .LBB249_61
.LBB249_60:                             ;   in Loop: Header=BB249_9 Depth=1
	v_and_b32_e32 v33, 7, v2
	v_ffbh_u32_e32 v34, v33
	v_min_u32_e32 v37, 32, v34
	v_subrev_u32_e32 v34, 28, v37
	v_bfe_u32 v36, v2, 3, 4
	v_lshlrev_b64 v[34:35], v34, v[2:3]
	v_sub_u32_e32 v35, 29, v37
	v_cmp_eq_u32_e64 s[0:1], 0, v36
	v_and_b32_e32 v34, 7, v34
	s_nop 0
	v_cndmask_b32_e64 v35, v36, v35, s[0:1]
	v_cndmask_b32_e64 v33, v33, v34, s[0:1]
	v_lshlrev_b32_e32 v34, 8, v2
	v_lshl_add_u32 v35, v35, 10, v18
	v_and_or_b32 v34, v34, s44, v35
	v_lshl_or_b32 v33, v33, 7, v34
	v_cvt_f32_f16_e32 v33, v33
.LBB249_61:                             ;   in Loop: Header=BB249_9 Depth=1
	s_or_b64 exec, exec, s[34:35]
	v_lshrrev_b16_e32 v2, 8, v2
	v_cmp_lt_i16_e64 s[0:1], s42, v2
	s_mov_b64 s[34:35], 0
                                        ; implicit-def: $sgpr45
	s_and_saveexec_b64 s[36:37], s[0:1]
	s_xor_b64 s[36:37], exec, s[36:37]
	s_cbranch_execnz .LBB249_143
; %bb.62:                               ;   in Loop: Header=BB249_9 Depth=1
	s_or_saveexec_b64 s[36:37], s[36:37]
	v_mov_b32_e32 v34, s45
	s_xor_b64 exec, exec, s[36:37]
	s_cbranch_execnz .LBB249_146
.LBB249_63:                             ;   in Loop: Header=BB249_9 Depth=1
	s_or_b64 exec, exec, s[36:37]
	s_and_saveexec_b64 s[36:37], s[34:35]
	s_cbranch_execz .LBB249_65
.LBB249_64:                             ;   in Loop: Header=BB249_9 Depth=1
	v_and_b32_e32 v36, 7, v2
	v_ffbh_u32_e32 v34, v36
	v_min_u32_e32 v38, 32, v34
	v_subrev_u32_e32 v34, 28, v38
	v_bfe_u32 v37, v2, 3, 4
	v_lshlrev_b64 v[34:35], v34, v[2:3]
	v_sub_u32_e32 v35, 29, v38
	v_cmp_eq_u32_e64 s[0:1], 0, v37
	v_and_b32_e32 v34, 7, v34
	v_lshlrev_b32_e32 v2, 8, v2
	v_cndmask_b32_e64 v35, v37, v35, s[0:1]
	v_lshl_add_u32 v35, v35, 10, v18
	v_cndmask_b32_e64 v34, v36, v34, s[0:1]
	v_and_or_b32 v2, v2, s44, v35
	v_lshl_or_b32 v2, v34, 7, v2
	v_cvt_f32_f16_e32 v34, v2
.LBB249_65:                             ;   in Loop: Header=BB249_9 Depth=1
	s_or_b64 exec, exec, s[36:37]
	global_load_ushort v2, v[10:11], off offset:776
	s_mov_b64 s[0:1], 0
                                        ; implicit-def: $sgpr38
	s_waitcnt vmcnt(0)
	v_cmp_gt_i16_sdwa s[34:35], v2, s42 src0_sel:BYTE_0 src1_sel:DWORD
	s_and_saveexec_b64 s[36:37], s[34:35]
	s_xor_b64 s[34:35], exec, s[36:37]
	s_cbranch_execnz .LBB249_147
; %bb.66:                               ;   in Loop: Header=BB249_9 Depth=1
	s_or_saveexec_b64 s[34:35], s[34:35]
	v_mov_b32_e32 v35, s38
	s_xor_b64 exec, exec, s[34:35]
	s_cbranch_execnz .LBB249_150
.LBB249_67:                             ;   in Loop: Header=BB249_9 Depth=1
	s_or_b64 exec, exec, s[34:35]
	v_and_b32_e32 v2, 0xffff, v2
	s_and_saveexec_b64 s[34:35], s[0:1]
	s_cbranch_execz .LBB249_69
.LBB249_68:                             ;   in Loop: Header=BB249_9 Depth=1
	v_and_b32_e32 v35, 7, v2
	v_ffbh_u32_e32 v36, v35
	v_min_u32_e32 v39, 32, v36
	v_subrev_u32_e32 v36, 28, v39
	v_bfe_u32 v38, v2, 3, 4
	v_lshlrev_b64 v[36:37], v36, v[2:3]
	v_sub_u32_e32 v37, 29, v39
	v_cmp_eq_u32_e64 s[0:1], 0, v38
	v_and_b32_e32 v36, 7, v36
	s_nop 0
	v_cndmask_b32_e64 v37, v38, v37, s[0:1]
	v_cndmask_b32_e64 v35, v35, v36, s[0:1]
	v_lshlrev_b32_e32 v36, 8, v2
	v_lshl_add_u32 v37, v37, 10, v18
	v_and_or_b32 v36, v36, s44, v37
	v_lshl_or_b32 v35, v35, 7, v36
	v_cvt_f32_f16_e32 v35, v35
.LBB249_69:                             ;   in Loop: Header=BB249_9 Depth=1
	s_or_b64 exec, exec, s[34:35]
	v_lshrrev_b16_e32 v2, 8, v2
	v_cmp_lt_i16_e64 s[0:1], s42, v2
	s_mov_b64 s[34:35], 0
                                        ; implicit-def: $sgpr45
	s_and_saveexec_b64 s[36:37], s[0:1]
	s_xor_b64 s[36:37], exec, s[36:37]
	s_cbranch_execnz .LBB249_151
; %bb.70:                               ;   in Loop: Header=BB249_9 Depth=1
	s_or_saveexec_b64 s[36:37], s[36:37]
	v_mov_b32_e32 v36, s45
	s_xor_b64 exec, exec, s[36:37]
	s_cbranch_execnz .LBB249_154
.LBB249_71:                             ;   in Loop: Header=BB249_9 Depth=1
	s_or_b64 exec, exec, s[36:37]
	s_and_saveexec_b64 s[36:37], s[34:35]
	s_cbranch_execz .LBB249_73
.LBB249_72:                             ;   in Loop: Header=BB249_9 Depth=1
	v_and_b32_e32 v38, 7, v2
	v_ffbh_u32_e32 v36, v38
	v_min_u32_e32 v40, 32, v36
	v_subrev_u32_e32 v36, 28, v40
	v_bfe_u32 v39, v2, 3, 4
	v_lshlrev_b64 v[36:37], v36, v[2:3]
	v_sub_u32_e32 v37, 29, v40
	v_cmp_eq_u32_e64 s[0:1], 0, v39
	v_and_b32_e32 v36, 7, v36
	v_lshlrev_b32_e32 v2, 8, v2
	v_cndmask_b32_e64 v37, v39, v37, s[0:1]
	v_lshl_add_u32 v37, v37, 10, v18
	v_cndmask_b32_e64 v36, v38, v36, s[0:1]
	v_and_or_b32 v2, v2, s44, v37
	v_lshl_or_b32 v2, v36, 7, v2
	v_cvt_f32_f16_e32 v36, v2
.LBB249_73:                             ;   in Loop: Header=BB249_9 Depth=1
	s_or_b64 exec, exec, s[36:37]
	global_load_ushort v2, v[10:11], off offset:1024
	s_mov_b64 s[0:1], 0
                                        ; implicit-def: $sgpr38
	s_waitcnt vmcnt(0)
	v_cmp_gt_i16_sdwa s[34:35], v2, s42 src0_sel:BYTE_0 src1_sel:DWORD
	s_and_saveexec_b64 s[36:37], s[34:35]
	s_xor_b64 s[34:35], exec, s[36:37]
	s_cbranch_execnz .LBB249_155
; %bb.74:                               ;   in Loop: Header=BB249_9 Depth=1
	s_or_saveexec_b64 s[34:35], s[34:35]
	v_mov_b32_e32 v37, s38
	s_xor_b64 exec, exec, s[34:35]
	s_cbranch_execnz .LBB249_158
.LBB249_75:                             ;   in Loop: Header=BB249_9 Depth=1
	s_or_b64 exec, exec, s[34:35]
	v_and_b32_e32 v2, 0xffff, v2
	s_and_saveexec_b64 s[34:35], s[0:1]
	s_cbranch_execz .LBB249_77
.LBB249_76:                             ;   in Loop: Header=BB249_9 Depth=1
	v_and_b32_e32 v37, 7, v2
	v_ffbh_u32_e32 v38, v37
	v_min_u32_e32 v41, 32, v38
	v_subrev_u32_e32 v38, 28, v41
	v_bfe_u32 v40, v2, 3, 4
	v_lshlrev_b64 v[38:39], v38, v[2:3]
	v_sub_u32_e32 v39, 29, v41
	v_cmp_eq_u32_e64 s[0:1], 0, v40
	v_and_b32_e32 v38, 7, v38
	s_nop 0
	v_cndmask_b32_e64 v39, v40, v39, s[0:1]
	v_cndmask_b32_e64 v37, v37, v38, s[0:1]
	v_lshlrev_b32_e32 v38, 8, v2
	v_lshl_add_u32 v39, v39, 10, v18
	v_and_or_b32 v38, v38, s44, v39
	v_lshl_or_b32 v37, v37, 7, v38
	v_cvt_f32_f16_e32 v37, v37
.LBB249_77:                             ;   in Loop: Header=BB249_9 Depth=1
	s_or_b64 exec, exec, s[34:35]
	v_lshrrev_b16_e32 v2, 8, v2
	v_cmp_lt_i16_e64 s[0:1], s42, v2
	s_mov_b64 s[34:35], 0
                                        ; implicit-def: $sgpr45
	s_and_saveexec_b64 s[36:37], s[0:1]
	s_xor_b64 s[36:37], exec, s[36:37]
	s_cbranch_execnz .LBB249_159
; %bb.78:                               ;   in Loop: Header=BB249_9 Depth=1
	s_or_saveexec_b64 s[36:37], s[36:37]
	v_mov_b32_e32 v38, s45
	s_xor_b64 exec, exec, s[36:37]
	s_cbranch_execnz .LBB249_162
.LBB249_79:                             ;   in Loop: Header=BB249_9 Depth=1
	s_or_b64 exec, exec, s[36:37]
	s_and_saveexec_b64 s[36:37], s[34:35]
	s_cbranch_execz .LBB249_81
.LBB249_80:                             ;   in Loop: Header=BB249_9 Depth=1
	v_and_b32_e32 v40, 7, v2
	v_ffbh_u32_e32 v38, v40
	v_min_u32_e32 v42, 32, v38
	v_subrev_u32_e32 v38, 28, v42
	v_bfe_u32 v41, v2, 3, 4
	v_lshlrev_b64 v[38:39], v38, v[2:3]
	v_sub_u32_e32 v39, 29, v42
	v_cmp_eq_u32_e64 s[0:1], 0, v41
	v_and_b32_e32 v38, 7, v38
	v_lshlrev_b32_e32 v2, 8, v2
	v_cndmask_b32_e64 v39, v41, v39, s[0:1]
	v_lshl_add_u32 v39, v39, 10, v18
	v_cndmask_b32_e64 v38, v40, v38, s[0:1]
	v_and_or_b32 v2, v2, s44, v39
	v_lshl_or_b32 v2, v38, 7, v2
	v_cvt_f32_f16_e32 v38, v2
.LBB249_81:                             ;   in Loop: Header=BB249_9 Depth=1
	s_or_b64 exec, exec, s[36:37]
	global_load_ushort v2, v[10:11], off offset:1032
	s_mov_b64 s[0:1], 0
                                        ; implicit-def: $sgpr38
	s_waitcnt vmcnt(0)
	v_cmp_gt_i16_sdwa s[34:35], v2, s42 src0_sel:BYTE_0 src1_sel:DWORD
	s_and_saveexec_b64 s[36:37], s[34:35]
	s_xor_b64 s[34:35], exec, s[36:37]
	s_cbranch_execnz .LBB249_163
; %bb.82:                               ;   in Loop: Header=BB249_9 Depth=1
	s_or_saveexec_b64 s[34:35], s[34:35]
	v_mov_b32_e32 v10, s38
	s_xor_b64 exec, exec, s[34:35]
	s_cbranch_execnz .LBB249_166
.LBB249_83:                             ;   in Loop: Header=BB249_9 Depth=1
	s_or_b64 exec, exec, s[34:35]
	v_and_b32_e32 v2, 0xffff, v2
	s_and_saveexec_b64 s[34:35], s[0:1]
	s_cbranch_execz .LBB249_85
.LBB249_84:                             ;   in Loop: Header=BB249_9 Depth=1
	v_and_b32_e32 v39, 7, v2
	v_ffbh_u32_e32 v10, v39
	v_min_u32_e32 v41, 32, v10
	v_subrev_u32_e32 v10, 28, v41
	v_bfe_u32 v40, v2, 3, 4
	v_lshlrev_b64 v[10:11], v10, v[2:3]
	v_sub_u32_e32 v11, 29, v41
	v_cmp_eq_u32_e64 s[0:1], 0, v40
	v_and_b32_e32 v10, 7, v10
	s_nop 0
	v_cndmask_b32_e64 v11, v40, v11, s[0:1]
	v_cndmask_b32_e64 v10, v39, v10, s[0:1]
	v_lshlrev_b32_e32 v39, 8, v2
	v_lshl_add_u32 v11, v11, 10, v18
	v_and_or_b32 v11, v39, s44, v11
	v_lshl_or_b32 v10, v10, 7, v11
	v_cvt_f32_f16_e32 v10, v10
.LBB249_85:                             ;   in Loop: Header=BB249_9 Depth=1
	s_or_b64 exec, exec, s[34:35]
	v_lshrrev_b16_e32 v2, 8, v2
	v_cmp_lt_i16_e64 s[0:1], s42, v2
	s_mov_b64 s[34:35], 0
                                        ; implicit-def: $sgpr45
	s_and_saveexec_b64 s[36:37], s[0:1]
	s_xor_b64 s[36:37], exec, s[36:37]
	s_cbranch_execnz .LBB249_167
; %bb.86:                               ;   in Loop: Header=BB249_9 Depth=1
	s_or_saveexec_b64 s[36:37], s[36:37]
	v_mov_b32_e32 v11, s45
	s_xor_b64 exec, exec, s[36:37]
	s_cbranch_execnz .LBB249_170
.LBB249_87:                             ;   in Loop: Header=BB249_9 Depth=1
	s_or_b64 exec, exec, s[36:37]
	s_and_saveexec_b64 s[36:37], s[34:35]
	s_cbranch_execz .LBB249_89
.LBB249_88:                             ;   in Loop: Header=BB249_9 Depth=1
	v_and_b32_e32 v11, 7, v2
	v_ffbh_u32_e32 v40, v11
	v_min_u32_e32 v42, 32, v40
	v_subrev_u32_e32 v40, 28, v42
	v_bfe_u32 v39, v2, 3, 4
	v_lshlrev_b64 v[40:41], v40, v[2:3]
	v_sub_u32_e32 v41, 29, v42
	v_cmp_eq_u32_e64 s[0:1], 0, v39
	v_and_b32_e32 v40, 7, v40
	v_lshlrev_b32_e32 v2, 8, v2
	v_cndmask_b32_e64 v39, v39, v41, s[0:1]
	v_lshl_add_u32 v39, v39, 10, v18
	v_cndmask_b32_e64 v11, v11, v40, s[0:1]
	v_and_or_b32 v2, v2, s44, v39
	v_lshl_or_b32 v2, v11, 7, v2
	v_cvt_f32_f16_e32 v11, v2
.LBB249_89:                             ;   in Loop: Header=BB249_9 Depth=1
	s_or_b64 exec, exec, s[36:37]
	ds_read_b32 v2, v15
	v_fma_mixlo_f16 v21, v20, v21, 0
	v_fma_mixlo_f16 v22, v20, v22, 0
	v_and_b32_e32 v21, 0xffff, v21
	v_and_b32_e32 v22, 0xffff, v22
	s_waitcnt lgkmcnt(0)
	v_lshrrev_b32_e32 v39, 16, v2
	v_and_b32_e32 v2, 0xffff, v2
	;;#ASMSTART
	v_cvt_f32_f16 v2, v2;
	;;#ASMEND
	;;#ASMSTART
	v_cvt_f32_f16 v39, v39;
	;;#ASMEND
	;;#ASMSTART
	v_cvt_f32_f16 v21, v21;
	;;#ASMEND
	;;#ASMSTART
	v_cvt_f32_f16 v22, v22;
	;;#ASMEND
	ds_read_b32 v40, v15 offset:4
	v_fma_mixlo_f16 v23, v20, v23, 0
	v_fma_mixlo_f16 v24, v20, v24, 0
	v_and_b32_e32 v23, 0xffff, v23
	v_and_b32_e32 v24, 0xffff, v24
	s_waitcnt lgkmcnt(0)
	v_lshrrev_b32_e32 v41, 16, v40
	v_and_b32_e32 v40, 0xffff, v40
	;;#ASMSTART
	v_cvt_f32_f16 v40, v40;
	;;#ASMEND
	;;#ASMSTART
	v_cvt_f32_f16 v41, v41;
	;;#ASMEND
	;;#ASMSTART
	v_cvt_f32_f16 v23, v23;
	;;#ASMEND
	;;#ASMSTART
	v_cvt_f32_f16 v24, v24;
	;;#ASMEND
	ds_read_b32 v42, v15 offset:8
	;; [unrolled: 20-line block ×5, first 2 shown]
	v_fma_mixlo_f16 v37, v20, v37, 0
	v_fma_mixlo_f16 v38, v20, v38, 0
	;; [unrolled: 1-line block ×10, first 2 shown]
	v_mul_f32_e32 v20, v40, v23
	v_fmac_f32_e32 v20, v2, v21
	s_waitcnt lgkmcnt(0)
	v_lshrrev_b32_e32 v2, 16, v48
	v_and_b32_e32 v21, 0xffff, v48
	v_and_b32_e32 v23, 0xffff, v31
	;; [unrolled: 1-line block ×3, first 2 shown]
	;;#ASMSTART
	v_cvt_f32_f16 v21, v21;
	;;#ASMEND
	;;#ASMSTART
	v_cvt_f32_f16 v2, v2;
	;;#ASMEND
	;; [unrolled: 3-line block ×4, first 2 shown]
	ds_read_b32 v32, v15 offset:24
	v_mul_f32_e32 v24, v41, v24
	v_fmac_f32_e32 v24, v39, v22
	v_fmac_f32_e32 v20, v42, v25
	;; [unrolled: 1-line block ×3, first 2 shown]
	s_waitcnt lgkmcnt(0)
	v_lshrrev_b32_e32 v22, 16, v32
	v_and_b32_e32 v25, 0xffff, v32
	v_and_b32_e32 v26, 0xffff, v33
	;; [unrolled: 1-line block ×3, first 2 shown]
	;;#ASMSTART
	v_cvt_f32_f16 v25, v25;
	;;#ASMEND
	;;#ASMSTART
	v_cvt_f32_f16 v22, v22;
	;;#ASMEND
	;; [unrolled: 3-line block ×4, first 2 shown]
	ds_read_b32 v33, v15 offset:28
	v_fmac_f32_e32 v20, v44, v27
	v_fmac_f32_e32 v24, v45, v28
	;; [unrolled: 1-line block ×4, first 2 shown]
	s_waitcnt lgkmcnt(0)
	v_lshrrev_b32_e32 v27, 16, v33
	v_and_b32_e32 v28, 0xffff, v33
	v_and_b32_e32 v29, 0xffff, v35
	v_and_b32_e32 v30, 0xffff, v36
	;;#ASMSTART
	v_cvt_f32_f16 v28, v28;
	;;#ASMEND
	;;#ASMSTART
	v_cvt_f32_f16 v27, v27;
	;;#ASMEND
	;; [unrolled: 3-line block ×4, first 2 shown]
	ds_read_b32 v33, v15 offset:32
	v_fmac_f32_e32 v24, v2, v31
	v_fmac_f32_e32 v20, v21, v23
	;; [unrolled: 1-line block ×3, first 2 shown]
	v_and_b32_e32 v22, 0xffff, v37
	s_waitcnt lgkmcnt(0)
	v_lshrrev_b32_e32 v2, 16, v33
	v_and_b32_e32 v21, 0xffff, v33
	v_and_b32_e32 v23, 0xffff, v38
	v_fmac_f32_e32 v20, v25, v26
	;;#ASMSTART
	v_cvt_f32_f16 v21, v21;
	;;#ASMEND
	;;#ASMSTART
	v_cvt_f32_f16 v2, v2;
	;;#ASMEND
	;; [unrolled: 3-line block ×4, first 2 shown]
	ds_read_b32 v25, v15 offset:36
	v_fmac_f32_e32 v20, v28, v29
	v_fmac_f32_e32 v24, v27, v30
	;; [unrolled: 1-line block ×4, first 2 shown]
	s_waitcnt lgkmcnt(0)
	v_lshrrev_b32_e32 v2, 16, v25
	v_and_b32_e32 v21, 0xffff, v25
	;;#ASMSTART
	v_cvt_f32_f16 v21, v21;
	;;#ASMEND
	;;#ASMSTART
	v_cvt_f32_f16 v2, v2;
	;;#ASMEND
	v_and_b32_e32 v10, 0xffff, v10
	v_and_b32_e32 v11, 0xffff, v11
	;;#ASMSTART
	v_cvt_f32_f16 v10, v10;
	;;#ASMEND
	;;#ASMSTART
	v_cvt_f32_f16 v11, v11;
	;;#ASMEND
	s_nop 0
	v_fmac_f32_e32 v24, v2, v11
	v_and_b32_e32 v2, 64, v13
	v_add_u32_e32 v2, 64, v2
	v_xor_b32_e32 v11, 2, v13
	v_cmp_lt_i32_e64 s[0:1], v11, v2
	v_fmac_f32_e32 v20, v21, v10
	v_add_f32_e32 v10, v20, v24
	v_cndmask_b32_e64 v11, v13, v11, s[0:1]
	v_lshlrev_b32_e32 v11, 2, v11
	ds_bpermute_b32 v11, v11, v10
	s_waitcnt lgkmcnt(0)
	v_add_f32_e32 v10, v10, v11
	v_xor_b32_e32 v11, 1, v13
	v_cmp_lt_i32_e64 s[0:1], v11, v2
	s_nop 1
	v_cndmask_b32_e64 v11, v13, v11, s[0:1]
	v_lshlrev_b32_e32 v11, 2, v11
	ds_bpermute_b32 v11, v11, v10
	s_and_saveexec_b64 s[34:35], vcc
	s_cbranch_execz .LBB249_8
; %bb.90:                               ;   in Loop: Header=BB249_9 Depth=1
	v_add_u32_e32 v20, s41, v16
	v_cvt_f32_i32_e32 v20, v20
	s_waitcnt lgkmcnt(0)
	v_add_f32_e32 v10, v10, v11
	v_cmp_gt_i32_e64 s[0:1], s33, v16
	v_max_f32_e32 v11, v14, v14
	v_mul_f32_e32 v20, s28, v20
	v_cndmask_b32_e64 v20, 0, v20, s[2:3]
	v_fmac_f32_e32 v20, s29, v10
	v_cndmask_b32_e64 v10, 0, v20, s[0:1]
	ds_write_b32 v17, v10
	v_max_f32_e32 v10, v11, v20
	v_cndmask_b32_e64 v14, v14, v10, s[0:1]
	s_branch .LBB249_8
.LBB249_91:                             ;   in Loop: Header=BB249_9 Depth=1
	v_cmp_eq_u16_sdwa s[46:47], v2, s43 src0_sel:BYTE_0 src1_sel:DWORD
	s_mov_b64 s[0:1], -1
                                        ; implicit-def: $sgpr38
	s_and_saveexec_b64 s[36:37], s[46:47]
; %bb.92:                               ;   in Loop: Header=BB249_9 Depth=1
	s_mov_b32 s38, 0x7fc02000
	s_xor_b64 s[0:1], exec, -1
; %bb.93:                               ;   in Loop: Header=BB249_9 Depth=1
	s_or_b64 exec, exec, s[36:37]
	s_and_b64 s[0:1], s[0:1], exec
	s_or_saveexec_b64 s[34:35], s[34:35]
	v_mov_b32_e32 v21, s38
	s_xor_b64 exec, exec, s[34:35]
	s_cbranch_execz .LBB249_11
.LBB249_94:                             ;   in Loop: Header=BB249_9 Depth=1
	v_cmp_ne_u16_sdwa s[36:37], v2, v3 src0_sel:BYTE_0 src1_sel:DWORD
	s_andn2_b64 s[0:1], s[0:1], exec
	s_and_b64 s[36:37], s[36:37], exec
	v_mov_b32_e32 v21, 0
	s_or_b64 s[0:1], s[0:1], s[36:37]
	s_or_b64 exec, exec, s[34:35]
	v_and_b32_e32 v2, 0xffff, v2
	s_and_saveexec_b64 s[34:35], s[0:1]
	s_cbranch_execnz .LBB249_12
	s_branch .LBB249_13
.LBB249_95:                             ;   in Loop: Header=BB249_9 Depth=1
	v_cmp_eq_u16_e64 s[0:1], s43, v2
	s_mov_b64 s[34:35], -1
                                        ; implicit-def: $sgpr45
	s_and_saveexec_b64 s[38:39], s[0:1]
; %bb.96:                               ;   in Loop: Header=BB249_9 Depth=1
	s_mov_b32 s45, 0x7fc02000
	s_xor_b64 s[34:35], exec, -1
; %bb.97:                               ;   in Loop: Header=BB249_9 Depth=1
	s_or_b64 exec, exec, s[38:39]
	s_and_b64 s[34:35], s[34:35], exec
	s_or_saveexec_b64 s[36:37], s[36:37]
	v_mov_b32_e32 v22, s45
	s_xor_b64 exec, exec, s[36:37]
	s_cbranch_execz .LBB249_15
.LBB249_98:                             ;   in Loop: Header=BB249_9 Depth=1
	v_cmp_ne_u16_e64 s[0:1], 0, v2
	s_andn2_b64 s[34:35], s[34:35], exec
	s_and_b64 s[0:1], s[0:1], exec
	v_mov_b32_e32 v22, 0
	s_or_b64 s[34:35], s[34:35], s[0:1]
	s_or_b64 exec, exec, s[36:37]
	s_and_saveexec_b64 s[36:37], s[34:35]
	s_cbranch_execnz .LBB249_16
	s_branch .LBB249_17
.LBB249_99:                             ;   in Loop: Header=BB249_9 Depth=1
	v_cmp_eq_u16_sdwa s[46:47], v2, s43 src0_sel:BYTE_0 src1_sel:DWORD
	s_mov_b64 s[0:1], -1
                                        ; implicit-def: $sgpr38
	s_and_saveexec_b64 s[36:37], s[46:47]
; %bb.100:                              ;   in Loop: Header=BB249_9 Depth=1
	s_mov_b32 s38, 0x7fc02000
	s_xor_b64 s[0:1], exec, -1
; %bb.101:                              ;   in Loop: Header=BB249_9 Depth=1
	s_or_b64 exec, exec, s[36:37]
	s_and_b64 s[0:1], s[0:1], exec
	s_or_saveexec_b64 s[34:35], s[34:35]
	v_mov_b32_e32 v23, s38
	s_xor_b64 exec, exec, s[34:35]
	s_cbranch_execz .LBB249_19
.LBB249_102:                            ;   in Loop: Header=BB249_9 Depth=1
	v_cmp_ne_u16_sdwa s[36:37], v2, v3 src0_sel:BYTE_0 src1_sel:DWORD
	s_andn2_b64 s[0:1], s[0:1], exec
	s_and_b64 s[36:37], s[36:37], exec
	v_mov_b32_e32 v23, 0
	s_or_b64 s[0:1], s[0:1], s[36:37]
	s_or_b64 exec, exec, s[34:35]
	v_and_b32_e32 v2, 0xffff, v2
	s_and_saveexec_b64 s[34:35], s[0:1]
	s_cbranch_execnz .LBB249_20
	s_branch .LBB249_21
.LBB249_103:                            ;   in Loop: Header=BB249_9 Depth=1
	v_cmp_eq_u16_e64 s[0:1], s43, v2
	s_mov_b64 s[34:35], -1
                                        ; implicit-def: $sgpr45
	s_and_saveexec_b64 s[38:39], s[0:1]
; %bb.104:                              ;   in Loop: Header=BB249_9 Depth=1
	s_mov_b32 s45, 0x7fc02000
	s_xor_b64 s[34:35], exec, -1
; %bb.105:                              ;   in Loop: Header=BB249_9 Depth=1
	s_or_b64 exec, exec, s[38:39]
	s_and_b64 s[34:35], s[34:35], exec
	s_or_saveexec_b64 s[36:37], s[36:37]
	v_mov_b32_e32 v24, s45
	s_xor_b64 exec, exec, s[36:37]
	s_cbranch_execz .LBB249_23
.LBB249_106:                            ;   in Loop: Header=BB249_9 Depth=1
	v_cmp_ne_u16_e64 s[0:1], 0, v2
	s_andn2_b64 s[34:35], s[34:35], exec
	s_and_b64 s[0:1], s[0:1], exec
	v_mov_b32_e32 v24, 0
	s_or_b64 s[34:35], s[34:35], s[0:1]
	s_or_b64 exec, exec, s[36:37]
	s_and_saveexec_b64 s[36:37], s[34:35]
	s_cbranch_execnz .LBB249_24
	s_branch .LBB249_25
.LBB249_107:                            ;   in Loop: Header=BB249_9 Depth=1
	v_cmp_eq_u16_sdwa s[46:47], v2, s43 src0_sel:BYTE_0 src1_sel:DWORD
	s_mov_b64 s[0:1], -1
                                        ; implicit-def: $sgpr38
	s_and_saveexec_b64 s[36:37], s[46:47]
; %bb.108:                              ;   in Loop: Header=BB249_9 Depth=1
	s_mov_b32 s38, 0x7fc02000
	s_xor_b64 s[0:1], exec, -1
; %bb.109:                              ;   in Loop: Header=BB249_9 Depth=1
	s_or_b64 exec, exec, s[36:37]
	s_and_b64 s[0:1], s[0:1], exec
	s_or_saveexec_b64 s[34:35], s[34:35]
	v_mov_b32_e32 v25, s38
	s_xor_b64 exec, exec, s[34:35]
	s_cbranch_execz .LBB249_27
.LBB249_110:                            ;   in Loop: Header=BB249_9 Depth=1
	v_cmp_ne_u16_sdwa s[36:37], v2, v3 src0_sel:BYTE_0 src1_sel:DWORD
	s_andn2_b64 s[0:1], s[0:1], exec
	s_and_b64 s[36:37], s[36:37], exec
	v_mov_b32_e32 v25, 0
	s_or_b64 s[0:1], s[0:1], s[36:37]
	s_or_b64 exec, exec, s[34:35]
	v_and_b32_e32 v2, 0xffff, v2
	s_and_saveexec_b64 s[34:35], s[0:1]
	s_cbranch_execnz .LBB249_28
	s_branch .LBB249_29
.LBB249_111:                            ;   in Loop: Header=BB249_9 Depth=1
	v_cmp_eq_u16_e64 s[0:1], s43, v2
	s_mov_b64 s[34:35], -1
                                        ; implicit-def: $sgpr45
	s_and_saveexec_b64 s[38:39], s[0:1]
; %bb.112:                              ;   in Loop: Header=BB249_9 Depth=1
	s_mov_b32 s45, 0x7fc02000
	s_xor_b64 s[34:35], exec, -1
; %bb.113:                              ;   in Loop: Header=BB249_9 Depth=1
	s_or_b64 exec, exec, s[38:39]
	s_and_b64 s[34:35], s[34:35], exec
	s_or_saveexec_b64 s[36:37], s[36:37]
	v_mov_b32_e32 v26, s45
	s_xor_b64 exec, exec, s[36:37]
	s_cbranch_execz .LBB249_31
.LBB249_114:                            ;   in Loop: Header=BB249_9 Depth=1
	v_cmp_ne_u16_e64 s[0:1], 0, v2
	s_andn2_b64 s[34:35], s[34:35], exec
	s_and_b64 s[0:1], s[0:1], exec
	v_mov_b32_e32 v26, 0
	s_or_b64 s[34:35], s[34:35], s[0:1]
	s_or_b64 exec, exec, s[36:37]
	s_and_saveexec_b64 s[36:37], s[34:35]
	s_cbranch_execnz .LBB249_32
	s_branch .LBB249_33
.LBB249_115:                            ;   in Loop: Header=BB249_9 Depth=1
	v_cmp_eq_u16_sdwa s[46:47], v2, s43 src0_sel:BYTE_0 src1_sel:DWORD
	s_mov_b64 s[0:1], -1
                                        ; implicit-def: $sgpr38
	s_and_saveexec_b64 s[36:37], s[46:47]
; %bb.116:                              ;   in Loop: Header=BB249_9 Depth=1
	s_mov_b32 s38, 0x7fc02000
	s_xor_b64 s[0:1], exec, -1
; %bb.117:                              ;   in Loop: Header=BB249_9 Depth=1
	s_or_b64 exec, exec, s[36:37]
	s_and_b64 s[0:1], s[0:1], exec
	s_or_saveexec_b64 s[34:35], s[34:35]
	v_mov_b32_e32 v27, s38
	s_xor_b64 exec, exec, s[34:35]
	s_cbranch_execz .LBB249_35
.LBB249_118:                            ;   in Loop: Header=BB249_9 Depth=1
	v_cmp_ne_u16_sdwa s[36:37], v2, v3 src0_sel:BYTE_0 src1_sel:DWORD
	s_andn2_b64 s[0:1], s[0:1], exec
	s_and_b64 s[36:37], s[36:37], exec
	v_mov_b32_e32 v27, 0
	s_or_b64 s[0:1], s[0:1], s[36:37]
	s_or_b64 exec, exec, s[34:35]
	v_and_b32_e32 v2, 0xffff, v2
	s_and_saveexec_b64 s[34:35], s[0:1]
	s_cbranch_execnz .LBB249_36
	s_branch .LBB249_37
.LBB249_119:                            ;   in Loop: Header=BB249_9 Depth=1
	v_cmp_eq_u16_e64 s[0:1], s43, v2
	s_mov_b64 s[34:35], -1
                                        ; implicit-def: $sgpr45
	s_and_saveexec_b64 s[38:39], s[0:1]
; %bb.120:                              ;   in Loop: Header=BB249_9 Depth=1
	s_mov_b32 s45, 0x7fc02000
	s_xor_b64 s[34:35], exec, -1
; %bb.121:                              ;   in Loop: Header=BB249_9 Depth=1
	s_or_b64 exec, exec, s[38:39]
	s_and_b64 s[34:35], s[34:35], exec
	s_or_saveexec_b64 s[36:37], s[36:37]
	v_mov_b32_e32 v28, s45
	s_xor_b64 exec, exec, s[36:37]
	s_cbranch_execz .LBB249_39
.LBB249_122:                            ;   in Loop: Header=BB249_9 Depth=1
	v_cmp_ne_u16_e64 s[0:1], 0, v2
	s_andn2_b64 s[34:35], s[34:35], exec
	s_and_b64 s[0:1], s[0:1], exec
	v_mov_b32_e32 v28, 0
	s_or_b64 s[34:35], s[34:35], s[0:1]
	s_or_b64 exec, exec, s[36:37]
	s_and_saveexec_b64 s[36:37], s[34:35]
	s_cbranch_execnz .LBB249_40
	s_branch .LBB249_41
.LBB249_123:                            ;   in Loop: Header=BB249_9 Depth=1
	v_cmp_eq_u16_sdwa s[46:47], v2, s43 src0_sel:BYTE_0 src1_sel:DWORD
	s_mov_b64 s[0:1], -1
                                        ; implicit-def: $sgpr38
	s_and_saveexec_b64 s[36:37], s[46:47]
; %bb.124:                              ;   in Loop: Header=BB249_9 Depth=1
	s_mov_b32 s38, 0x7fc02000
	s_xor_b64 s[0:1], exec, -1
; %bb.125:                              ;   in Loop: Header=BB249_9 Depth=1
	s_or_b64 exec, exec, s[36:37]
	s_and_b64 s[0:1], s[0:1], exec
	s_or_saveexec_b64 s[34:35], s[34:35]
	v_mov_b32_e32 v29, s38
	s_xor_b64 exec, exec, s[34:35]
	s_cbranch_execz .LBB249_43
.LBB249_126:                            ;   in Loop: Header=BB249_9 Depth=1
	v_cmp_ne_u16_sdwa s[36:37], v2, v3 src0_sel:BYTE_0 src1_sel:DWORD
	s_andn2_b64 s[0:1], s[0:1], exec
	s_and_b64 s[36:37], s[36:37], exec
	v_mov_b32_e32 v29, 0
	s_or_b64 s[0:1], s[0:1], s[36:37]
	s_or_b64 exec, exec, s[34:35]
	v_and_b32_e32 v2, 0xffff, v2
	s_and_saveexec_b64 s[34:35], s[0:1]
	s_cbranch_execnz .LBB249_44
	s_branch .LBB249_45
.LBB249_127:                            ;   in Loop: Header=BB249_9 Depth=1
	v_cmp_eq_u16_e64 s[0:1], s43, v2
	s_mov_b64 s[34:35], -1
                                        ; implicit-def: $sgpr45
	s_and_saveexec_b64 s[38:39], s[0:1]
; %bb.128:                              ;   in Loop: Header=BB249_9 Depth=1
	s_mov_b32 s45, 0x7fc02000
	s_xor_b64 s[34:35], exec, -1
; %bb.129:                              ;   in Loop: Header=BB249_9 Depth=1
	s_or_b64 exec, exec, s[38:39]
	s_and_b64 s[34:35], s[34:35], exec
	s_or_saveexec_b64 s[36:37], s[36:37]
	v_mov_b32_e32 v30, s45
	s_xor_b64 exec, exec, s[36:37]
	s_cbranch_execz .LBB249_47
.LBB249_130:                            ;   in Loop: Header=BB249_9 Depth=1
	v_cmp_ne_u16_e64 s[0:1], 0, v2
	s_andn2_b64 s[34:35], s[34:35], exec
	s_and_b64 s[0:1], s[0:1], exec
	v_mov_b32_e32 v30, 0
	s_or_b64 s[34:35], s[34:35], s[0:1]
	s_or_b64 exec, exec, s[36:37]
	s_and_saveexec_b64 s[36:37], s[34:35]
	s_cbranch_execnz .LBB249_48
	s_branch .LBB249_49
.LBB249_131:                            ;   in Loop: Header=BB249_9 Depth=1
	v_cmp_eq_u16_sdwa s[46:47], v2, s43 src0_sel:BYTE_0 src1_sel:DWORD
	s_mov_b64 s[0:1], -1
                                        ; implicit-def: $sgpr38
	s_and_saveexec_b64 s[36:37], s[46:47]
; %bb.132:                              ;   in Loop: Header=BB249_9 Depth=1
	s_mov_b32 s38, 0x7fc02000
	s_xor_b64 s[0:1], exec, -1
; %bb.133:                              ;   in Loop: Header=BB249_9 Depth=1
	s_or_b64 exec, exec, s[36:37]
	s_and_b64 s[0:1], s[0:1], exec
	s_or_saveexec_b64 s[34:35], s[34:35]
	v_mov_b32_e32 v31, s38
	s_xor_b64 exec, exec, s[34:35]
	s_cbranch_execz .LBB249_51
.LBB249_134:                            ;   in Loop: Header=BB249_9 Depth=1
	v_cmp_ne_u16_sdwa s[36:37], v2, v3 src0_sel:BYTE_0 src1_sel:DWORD
	s_andn2_b64 s[0:1], s[0:1], exec
	s_and_b64 s[36:37], s[36:37], exec
	v_mov_b32_e32 v31, 0
	s_or_b64 s[0:1], s[0:1], s[36:37]
	s_or_b64 exec, exec, s[34:35]
	v_and_b32_e32 v2, 0xffff, v2
	s_and_saveexec_b64 s[34:35], s[0:1]
	s_cbranch_execnz .LBB249_52
	s_branch .LBB249_53
.LBB249_135:                            ;   in Loop: Header=BB249_9 Depth=1
	v_cmp_eq_u16_e64 s[0:1], s43, v2
	s_mov_b64 s[34:35], -1
                                        ; implicit-def: $sgpr45
	s_and_saveexec_b64 s[38:39], s[0:1]
; %bb.136:                              ;   in Loop: Header=BB249_9 Depth=1
	s_mov_b32 s45, 0x7fc02000
	s_xor_b64 s[34:35], exec, -1
; %bb.137:                              ;   in Loop: Header=BB249_9 Depth=1
	s_or_b64 exec, exec, s[38:39]
	s_and_b64 s[34:35], s[34:35], exec
	s_or_saveexec_b64 s[36:37], s[36:37]
	v_mov_b32_e32 v32, s45
	s_xor_b64 exec, exec, s[36:37]
	s_cbranch_execz .LBB249_55
.LBB249_138:                            ;   in Loop: Header=BB249_9 Depth=1
	v_cmp_ne_u16_e64 s[0:1], 0, v2
	s_andn2_b64 s[34:35], s[34:35], exec
	s_and_b64 s[0:1], s[0:1], exec
	v_mov_b32_e32 v32, 0
	s_or_b64 s[34:35], s[34:35], s[0:1]
	s_or_b64 exec, exec, s[36:37]
	s_and_saveexec_b64 s[36:37], s[34:35]
	s_cbranch_execnz .LBB249_56
	s_branch .LBB249_57
.LBB249_139:                            ;   in Loop: Header=BB249_9 Depth=1
	v_cmp_eq_u16_sdwa s[46:47], v2, s43 src0_sel:BYTE_0 src1_sel:DWORD
	s_mov_b64 s[0:1], -1
                                        ; implicit-def: $sgpr38
	s_and_saveexec_b64 s[36:37], s[46:47]
; %bb.140:                              ;   in Loop: Header=BB249_9 Depth=1
	s_mov_b32 s38, 0x7fc02000
	s_xor_b64 s[0:1], exec, -1
; %bb.141:                              ;   in Loop: Header=BB249_9 Depth=1
	s_or_b64 exec, exec, s[36:37]
	s_and_b64 s[0:1], s[0:1], exec
	s_or_saveexec_b64 s[34:35], s[34:35]
	v_mov_b32_e32 v33, s38
	s_xor_b64 exec, exec, s[34:35]
	s_cbranch_execz .LBB249_59
.LBB249_142:                            ;   in Loop: Header=BB249_9 Depth=1
	v_cmp_ne_u16_sdwa s[36:37], v2, v3 src0_sel:BYTE_0 src1_sel:DWORD
	s_andn2_b64 s[0:1], s[0:1], exec
	s_and_b64 s[36:37], s[36:37], exec
	v_mov_b32_e32 v33, 0
	s_or_b64 s[0:1], s[0:1], s[36:37]
	s_or_b64 exec, exec, s[34:35]
	v_and_b32_e32 v2, 0xffff, v2
	s_and_saveexec_b64 s[34:35], s[0:1]
	s_cbranch_execnz .LBB249_60
	s_branch .LBB249_61
.LBB249_143:                            ;   in Loop: Header=BB249_9 Depth=1
	v_cmp_eq_u16_e64 s[0:1], s43, v2
	s_mov_b64 s[34:35], -1
                                        ; implicit-def: $sgpr45
	s_and_saveexec_b64 s[38:39], s[0:1]
; %bb.144:                              ;   in Loop: Header=BB249_9 Depth=1
	s_mov_b32 s45, 0x7fc02000
	s_xor_b64 s[34:35], exec, -1
; %bb.145:                              ;   in Loop: Header=BB249_9 Depth=1
	s_or_b64 exec, exec, s[38:39]
	s_and_b64 s[34:35], s[34:35], exec
	s_or_saveexec_b64 s[36:37], s[36:37]
	v_mov_b32_e32 v34, s45
	s_xor_b64 exec, exec, s[36:37]
	s_cbranch_execz .LBB249_63
.LBB249_146:                            ;   in Loop: Header=BB249_9 Depth=1
	v_cmp_ne_u16_e64 s[0:1], 0, v2
	s_andn2_b64 s[34:35], s[34:35], exec
	s_and_b64 s[0:1], s[0:1], exec
	v_mov_b32_e32 v34, 0
	s_or_b64 s[34:35], s[34:35], s[0:1]
	s_or_b64 exec, exec, s[36:37]
	s_and_saveexec_b64 s[36:37], s[34:35]
	s_cbranch_execnz .LBB249_64
	s_branch .LBB249_65
.LBB249_147:                            ;   in Loop: Header=BB249_9 Depth=1
	v_cmp_eq_u16_sdwa s[46:47], v2, s43 src0_sel:BYTE_0 src1_sel:DWORD
	s_mov_b64 s[0:1], -1
                                        ; implicit-def: $sgpr38
	s_and_saveexec_b64 s[36:37], s[46:47]
; %bb.148:                              ;   in Loop: Header=BB249_9 Depth=1
	s_mov_b32 s38, 0x7fc02000
	s_xor_b64 s[0:1], exec, -1
; %bb.149:                              ;   in Loop: Header=BB249_9 Depth=1
	s_or_b64 exec, exec, s[36:37]
	s_and_b64 s[0:1], s[0:1], exec
	s_or_saveexec_b64 s[34:35], s[34:35]
	v_mov_b32_e32 v35, s38
	s_xor_b64 exec, exec, s[34:35]
	s_cbranch_execz .LBB249_67
.LBB249_150:                            ;   in Loop: Header=BB249_9 Depth=1
	v_cmp_ne_u16_sdwa s[36:37], v2, v3 src0_sel:BYTE_0 src1_sel:DWORD
	s_andn2_b64 s[0:1], s[0:1], exec
	s_and_b64 s[36:37], s[36:37], exec
	v_mov_b32_e32 v35, 0
	s_or_b64 s[0:1], s[0:1], s[36:37]
	s_or_b64 exec, exec, s[34:35]
	v_and_b32_e32 v2, 0xffff, v2
	s_and_saveexec_b64 s[34:35], s[0:1]
	s_cbranch_execnz .LBB249_68
	s_branch .LBB249_69
.LBB249_151:                            ;   in Loop: Header=BB249_9 Depth=1
	v_cmp_eq_u16_e64 s[0:1], s43, v2
	s_mov_b64 s[34:35], -1
                                        ; implicit-def: $sgpr45
	s_and_saveexec_b64 s[38:39], s[0:1]
; %bb.152:                              ;   in Loop: Header=BB249_9 Depth=1
	s_mov_b32 s45, 0x7fc02000
	s_xor_b64 s[34:35], exec, -1
; %bb.153:                              ;   in Loop: Header=BB249_9 Depth=1
	s_or_b64 exec, exec, s[38:39]
	s_and_b64 s[34:35], s[34:35], exec
	s_or_saveexec_b64 s[36:37], s[36:37]
	v_mov_b32_e32 v36, s45
	s_xor_b64 exec, exec, s[36:37]
	s_cbranch_execz .LBB249_71
.LBB249_154:                            ;   in Loop: Header=BB249_9 Depth=1
	v_cmp_ne_u16_e64 s[0:1], 0, v2
	s_andn2_b64 s[34:35], s[34:35], exec
	s_and_b64 s[0:1], s[0:1], exec
	v_mov_b32_e32 v36, 0
	s_or_b64 s[34:35], s[34:35], s[0:1]
	s_or_b64 exec, exec, s[36:37]
	s_and_saveexec_b64 s[36:37], s[34:35]
	s_cbranch_execnz .LBB249_72
	s_branch .LBB249_73
.LBB249_155:                            ;   in Loop: Header=BB249_9 Depth=1
	v_cmp_eq_u16_sdwa s[46:47], v2, s43 src0_sel:BYTE_0 src1_sel:DWORD
	s_mov_b64 s[0:1], -1
                                        ; implicit-def: $sgpr38
	s_and_saveexec_b64 s[36:37], s[46:47]
; %bb.156:                              ;   in Loop: Header=BB249_9 Depth=1
	s_mov_b32 s38, 0x7fc02000
	s_xor_b64 s[0:1], exec, -1
; %bb.157:                              ;   in Loop: Header=BB249_9 Depth=1
	s_or_b64 exec, exec, s[36:37]
	s_and_b64 s[0:1], s[0:1], exec
	s_or_saveexec_b64 s[34:35], s[34:35]
	v_mov_b32_e32 v37, s38
	s_xor_b64 exec, exec, s[34:35]
	s_cbranch_execz .LBB249_75
.LBB249_158:                            ;   in Loop: Header=BB249_9 Depth=1
	v_cmp_ne_u16_sdwa s[36:37], v2, v3 src0_sel:BYTE_0 src1_sel:DWORD
	s_andn2_b64 s[0:1], s[0:1], exec
	s_and_b64 s[36:37], s[36:37], exec
	v_mov_b32_e32 v37, 0
	s_or_b64 s[0:1], s[0:1], s[36:37]
	s_or_b64 exec, exec, s[34:35]
	v_and_b32_e32 v2, 0xffff, v2
	s_and_saveexec_b64 s[34:35], s[0:1]
	s_cbranch_execnz .LBB249_76
	s_branch .LBB249_77
.LBB249_159:                            ;   in Loop: Header=BB249_9 Depth=1
	v_cmp_eq_u16_e64 s[0:1], s43, v2
	s_mov_b64 s[34:35], -1
                                        ; implicit-def: $sgpr45
	s_and_saveexec_b64 s[38:39], s[0:1]
; %bb.160:                              ;   in Loop: Header=BB249_9 Depth=1
	s_mov_b32 s45, 0x7fc02000
	s_xor_b64 s[34:35], exec, -1
; %bb.161:                              ;   in Loop: Header=BB249_9 Depth=1
	s_or_b64 exec, exec, s[38:39]
	s_and_b64 s[34:35], s[34:35], exec
	s_or_saveexec_b64 s[36:37], s[36:37]
	v_mov_b32_e32 v38, s45
	s_xor_b64 exec, exec, s[36:37]
	s_cbranch_execz .LBB249_79
.LBB249_162:                            ;   in Loop: Header=BB249_9 Depth=1
	v_cmp_ne_u16_e64 s[0:1], 0, v2
	s_andn2_b64 s[34:35], s[34:35], exec
	s_and_b64 s[0:1], s[0:1], exec
	v_mov_b32_e32 v38, 0
	s_or_b64 s[34:35], s[34:35], s[0:1]
	s_or_b64 exec, exec, s[36:37]
	s_and_saveexec_b64 s[36:37], s[34:35]
	s_cbranch_execnz .LBB249_80
	s_branch .LBB249_81
.LBB249_163:                            ;   in Loop: Header=BB249_9 Depth=1
	v_cmp_eq_u16_sdwa s[46:47], v2, s43 src0_sel:BYTE_0 src1_sel:DWORD
	s_mov_b64 s[0:1], -1
                                        ; implicit-def: $sgpr38
	s_and_saveexec_b64 s[36:37], s[46:47]
; %bb.164:                              ;   in Loop: Header=BB249_9 Depth=1
	s_mov_b32 s38, 0x7fc02000
	s_xor_b64 s[0:1], exec, -1
; %bb.165:                              ;   in Loop: Header=BB249_9 Depth=1
	s_or_b64 exec, exec, s[36:37]
	s_and_b64 s[0:1], s[0:1], exec
	s_or_saveexec_b64 s[34:35], s[34:35]
	v_mov_b32_e32 v10, s38
	s_xor_b64 exec, exec, s[34:35]
	s_cbranch_execz .LBB249_83
.LBB249_166:                            ;   in Loop: Header=BB249_9 Depth=1
	v_cmp_ne_u16_sdwa s[36:37], v2, v3 src0_sel:BYTE_0 src1_sel:DWORD
	s_andn2_b64 s[0:1], s[0:1], exec
	s_and_b64 s[36:37], s[36:37], exec
	v_mov_b32_e32 v10, 0
	s_or_b64 s[0:1], s[0:1], s[36:37]
	s_or_b64 exec, exec, s[34:35]
	v_and_b32_e32 v2, 0xffff, v2
	s_and_saveexec_b64 s[34:35], s[0:1]
	s_cbranch_execnz .LBB249_84
	s_branch .LBB249_85
.LBB249_167:                            ;   in Loop: Header=BB249_9 Depth=1
	v_cmp_eq_u16_e64 s[0:1], s43, v2
	s_mov_b64 s[34:35], -1
                                        ; implicit-def: $sgpr45
	s_and_saveexec_b64 s[38:39], s[0:1]
; %bb.168:                              ;   in Loop: Header=BB249_9 Depth=1
	s_mov_b32 s45, 0x7fc02000
	s_xor_b64 s[34:35], exec, -1
; %bb.169:                              ;   in Loop: Header=BB249_9 Depth=1
	s_or_b64 exec, exec, s[38:39]
	s_and_b64 s[34:35], s[34:35], exec
	s_or_saveexec_b64 s[36:37], s[36:37]
	v_mov_b32_e32 v11, s45
	s_xor_b64 exec, exec, s[36:37]
	s_cbranch_execz .LBB249_87
.LBB249_170:                            ;   in Loop: Header=BB249_9 Depth=1
	v_cmp_ne_u16_e64 s[0:1], 0, v2
	s_andn2_b64 s[34:35], s[34:35], exec
	s_and_b64 s[0:1], s[0:1], exec
	v_mov_b32_e32 v11, 0
	s_or_b64 s[34:35], s[34:35], s[0:1]
	s_or_b64 exec, exec, s[36:37]
	s_and_saveexec_b64 s[36:37], s[34:35]
	s_cbranch_execnz .LBB249_88
	s_branch .LBB249_89
.LBB249_171:
	s_or_b64 exec, exec, s[14:15]
.LBB249_172:
	s_or_b64 exec, exec, s[30:31]
	v_xor_b32_e32 v3, 32, v13
	v_cmp_lt_i32_e32 vcc, v3, v2
	v_xor_b32_e32 v6, 16, v13
	v_max_f32_e32 v5, v14, v14
	v_cndmask_b32_e32 v3, v13, v3, vcc
	v_lshlrev_b32_e32 v3, 2, v3
	ds_bpermute_b32 v4, v3, v14
	v_cmp_lt_i32_e32 vcc, v6, v2
	v_xor_b32_e32 v7, 8, v13
	v_xor_b32_e32 v9, 4, v13
	s_waitcnt lgkmcnt(0)
	v_max_f32_e32 v4, v4, v4
	v_max_f32_e32 v4, v5, v4
	v_cndmask_b32_e32 v5, v13, v6, vcc
	v_lshlrev_b32_e32 v5, 2, v5
	ds_bpermute_b32 v6, v5, v4
	v_cmp_lt_i32_e32 vcc, v7, v2
	s_waitcnt lgkmcnt(0)
	v_max_f32_e32 v6, v6, v6
	v_max_f32_e32 v4, v4, v6
	v_cndmask_b32_e32 v6, v13, v7, vcc
	v_lshlrev_b32_e32 v8, 2, v6
	ds_bpermute_b32 v6, v8, v4
	v_cmp_lt_i32_e32 vcc, v9, v2
	s_waitcnt lgkmcnt(0)
	v_max_f32_e32 v6, v6, v6
	v_max_f32_e32 v7, v4, v6
	v_cndmask_b32_e32 v4, v13, v9, vcc
	v_lshlrev_b32_e32 v9, 2, v4
	ds_bpermute_b32 v10, v9, v7
	v_and_b32_e32 v4, 63, v0
	v_cmp_eq_u32_e32 vcc, 0, v4
	v_lshlrev_b32_e32 v6, 2, v1
	s_and_saveexec_b64 s[0:1], vcc
	s_cbranch_execz .LBB249_174
; %bb.173:
	s_waitcnt lgkmcnt(0)
	v_max_f32_e32 v10, v10, v10
	v_max_f32_e32 v7, v7, v7
	;; [unrolled: 1-line block ×3, first 2 shown]
	ds_write_b32 v6, v7 offset:160
.LBB249_174:
	s_or_b64 exec, exec, s[0:1]
	v_cmp_gt_u32_e64 s[0:1], 2, v4
	s_waitcnt lgkmcnt(0)
	v_mov_b32_e32 v10, 0xff7fffff
	v_lshlrev_b32_e32 v7, 2, v4
	s_barrier
	s_and_saveexec_b64 s[2:3], s[0:1]
	s_cbranch_execz .LBB249_176
; %bb.175:
	ds_read_b32 v10, v7 offset:160
.LBB249_176:
	s_or_b64 exec, exec, s[2:3]
	v_xor_b32_e32 v11, 1, v13
	v_cmp_lt_i32_e64 s[2:3], v11, v2
	v_lshlrev_b32_e32 v14, 2, v13
	s_nop 0
	v_cndmask_b32_e64 v11, v13, v11, s[2:3]
	v_lshlrev_b32_e32 v28, 2, v11
	s_waitcnt lgkmcnt(0)
	ds_bpermute_b32 v11, v28, v10
	v_max_f32_e32 v10, v10, v10
	s_lshl_b32 s2, s19, 4
	s_min_i32 s30, s2, s33
	v_cmp_gt_i32_e64 s[2:3], s30, v0
	s_waitcnt lgkmcnt(0)
	v_max_f32_e32 v11, v11, v11
	v_max_f32_e32 v11, v10, v11
	v_and_b32_e32 v10, 0xffffff00, v14
	ds_bpermute_b32 v14, v10, v11
	v_mov_b32_e32 v11, 0
	s_and_saveexec_b64 s[14:15], s[2:3]
	s_cbranch_execz .LBB249_180
; %bb.177:
	v_mov_b32_e32 v11, 0xb0
	v_lshl_add_u32 v15, v0, 2, v11
	s_mov_b64 s[28:29], 0
	v_mov_b32_e32 v11, 0
	v_mov_b32_e32 v16, v0
.LBB249_178:                            ; =>This Inner Loop Header: Depth=1
	ds_read_b32 v17, v15
	v_add_u32_e32 v16, 0x80, v16
	v_cmp_le_i32_e64 s[8:9], s30, v16
	s_or_b64 s[28:29], s[8:9], s[28:29]
	s_waitcnt lgkmcnt(0)
	v_sub_f32_e32 v17, v17, v14
	v_mul_f32_e32 v17, 0x3fb8aa3b, v17
	v_exp_f32_e32 v17, v17
	ds_write_b32 v15, v17
	v_add_f32_e32 v11, v11, v17
	v_add_u32_e32 v15, 0x200, v15
	s_andn2_b64 exec, exec, s[28:29]
	s_cbranch_execnz .LBB249_178
; %bb.179:
	s_or_b64 exec, exec, s[28:29]
.LBB249_180:
	s_or_b64 exec, exec, s[14:15]
	ds_bpermute_b32 v3, v3, v11
	s_waitcnt lgkmcnt(0)
	v_add_f32_e32 v3, v11, v3
	ds_bpermute_b32 v5, v5, v3
	s_waitcnt lgkmcnt(0)
	v_add_f32_e32 v3, v3, v5
	ds_bpermute_b32 v5, v8, v3
	v_xor_b32_e32 v8, 2, v13
	v_cmp_lt_i32_e64 s[8:9], v8, v2
	s_waitcnt lgkmcnt(0)
	v_add_f32_e32 v3, v3, v5
	ds_bpermute_b32 v5, v9, v3
	v_cndmask_b32_e64 v2, v13, v8, s[8:9]
	v_lshlrev_b32_e32 v2, 2, v2
	s_waitcnt lgkmcnt(0)
	v_add_f32_e32 v3, v3, v5
	ds_bpermute_b32 v2, v2, v3
	s_waitcnt lgkmcnt(0)
	v_add_f32_e32 v2, v3, v2
	ds_bpermute_b32 v3, v28, v2
	s_waitcnt lgkmcnt(0)
	v_add_f32_e32 v2, v2, v3
	s_and_saveexec_b64 s[8:9], vcc
	s_cbranch_execz .LBB249_182
; %bb.181:
	ds_write_b32 v6, v2 offset:168
.LBB249_182:
	s_or_b64 exec, exec, s[8:9]
	s_waitcnt lgkmcnt(0)
	s_barrier
	s_and_saveexec_b64 s[8:9], s[0:1]
	s_cbranch_execz .LBB249_184
; %bb.183:
	ds_read_b32 v2, v7 offset:168
.LBB249_184:
	s_or_b64 exec, exec, s[8:9]
	s_waitcnt lgkmcnt(0)
	ds_bpermute_b32 v3, v28, v2
	s_waitcnt lgkmcnt(0)
	v_add_f32_e32 v2, v2, v3
	ds_bpermute_b32 v2, v10, v2
	s_and_saveexec_b64 s[0:1], s[2:3]
	s_cbranch_execz .LBB249_197
; %bb.185:
	s_waitcnt lgkmcnt(0)
	v_add_f32_e32 v2, 0x358637bd, v2
	v_div_scale_f32 v3, s[2:3], v2, v2, 1.0
	v_rcp_f32_e32 v5, v3
	v_div_scale_f32 v6, vcc, 1.0, v2, 1.0
	s_movk_i32 s2, 0x7f
	v_fma_f32 v7, -v3, v5, 1.0
	v_fmac_f32_e32 v5, v7, v5
	v_mul_f32_e32 v7, v6, v5
	v_fma_f32 v8, -v3, v7, v6
	v_fmac_f32_e32 v7, v8, v5
	v_fma_f32 v3, -v3, v7, v6
	v_div_fmas_f32 v3, v3, v5, v7
	v_xad_u32 v5, v0, -1, s30
	v_div_fixup_f32 v2, v3, v2, 1.0
	v_cmp_lt_u32_e32 vcc, s2, v5
	s_mov_b64 s[8:9], -1
	v_mov_b32_e32 v3, v0
	s_and_saveexec_b64 s[2:3], vcc
	s_cbranch_execz .LBB249_194
; %bb.186:
	v_lshrrev_b32_e32 v5, 7, v5
	v_add_u32_e32 v7, -1, v5
	v_lshrrev_b32_e32 v6, 1, v7
	v_mov_b32_e32 v3, v2
	v_add_u32_e32 v6, 1, v6
	v_cmp_lt_u32_e32 vcc, 13, v7
	v_mov_b32_e32 v9, 0
	s_and_saveexec_b64 s[8:9], vcc
	s_cbranch_execz .LBB249_190
; %bb.187:
	v_mov_b32_e32 v8, 0xb0
	v_and_b32_e32 v7, -8, v6
	v_lshl_add_u32 v8, v0, 2, v8
	s_mov_b32 s28, 0
	s_mov_b64 s[14:15], 0
.LBB249_188:                            ; =>This Inner Loop Header: Depth=1
	ds_read2st64_b32 v[10:11], v8 offset1:2
	ds_read2st64_b32 v[14:15], v8 offset0:4 offset1:6
	ds_read2st64_b32 v[16:17], v8 offset0:8 offset1:10
	;; [unrolled: 1-line block ×3, first 2 shown]
	v_add_u32_e32 v7, -8, v7
	s_waitcnt lgkmcnt(3)
	v_pk_mul_f32 v[10:11], v[2:3], v[10:11]
	s_waitcnt lgkmcnt(2)
	v_pk_mul_f32 v[14:15], v[2:3], v[14:15]
	ds_write2st64_b32 v8, v10, v11 offset1:2
	ds_write2st64_b32 v8, v14, v15 offset0:4 offset1:6
	ds_read2st64_b32 v[14:15], v8 offset0:16 offset1:18
	s_waitcnt lgkmcnt(4)
	v_pk_mul_f32 v[10:11], v[2:3], v[16:17]
	ds_write2st64_b32 v8, v10, v11 offset0:8 offset1:10
	s_waitcnt lgkmcnt(4)
	v_pk_mul_f32 v[10:11], v[2:3], v[18:19]
	ds_write2st64_b32 v8, v10, v11 offset0:12 offset1:14
	ds_read2st64_b32 v[10:11], v8 offset0:20 offset1:22
	s_waitcnt lgkmcnt(3)
	v_pk_mul_f32 v[14:15], v[2:3], v[14:15]
	ds_read2st64_b32 v[16:17], v8 offset0:24 offset1:26
	ds_write2st64_b32 v8, v14, v15 offset0:16 offset1:18
	ds_read2st64_b32 v[14:15], v8 offset0:28 offset1:30
	s_waitcnt lgkmcnt(3)
	v_pk_mul_f32 v[10:11], v[2:3], v[10:11]
	ds_write2st64_b32 v8, v10, v11 offset0:20 offset1:22
	s_waitcnt lgkmcnt(3)
	v_pk_mul_f32 v[10:11], v[2:3], v[16:17]
	ds_write2st64_b32 v8, v10, v11 offset0:24 offset1:26
	s_waitcnt lgkmcnt(2)
	v_pk_mul_f32 v[10:11], v[2:3], v[14:15]
	s_add_i32 s28, s28, 16
	v_cmp_eq_u32_e32 vcc, 0, v7
	ds_write2st64_b32 v8, v10, v11 offset0:28 offset1:30
	v_add_u32_e32 v8, 0x2000, v8
	s_or_b64 s[14:15], vcc, s[14:15]
	v_mov_b32_e32 v9, s28
	s_andn2_b64 exec, exec, s[14:15]
	s_cbranch_execnz .LBB249_188
; %bb.189:
	s_or_b64 exec, exec, s[14:15]
.LBB249_190:
	s_or_b64 exec, exec, s[8:9]
	v_and_b32_e32 v6, 7, v6
	v_cmp_ne_u32_e32 vcc, 0, v6
	s_and_saveexec_b64 s[8:9], vcc
	s_cbranch_execz .LBB249_193
; %bb.191:
	v_lshlrev_b32_e32 v7, 9, v9
	v_lshlrev_b32_e32 v8, 2, v0
	s_movk_i32 s14, 0xb0
	v_add3_u32 v7, v7, v8, s14
	s_mov_b64 s[14:15], 0
.LBB249_192:                            ; =>This Inner Loop Header: Depth=1
	ds_read2st64_b32 v[8:9], v7 offset1:2
	v_add_u32_e32 v6, -1, v6
	v_cmp_eq_u32_e32 vcc, 0, v6
	s_or_b64 s[14:15], vcc, s[14:15]
	s_waitcnt lgkmcnt(0)
	v_pk_mul_f32 v[8:9], v[2:3], v[8:9]
	ds_write2st64_b32 v7, v8, v9 offset1:2
	v_add_u32_e32 v7, 0x400, v7
	s_andn2_b64 exec, exec, s[14:15]
	s_cbranch_execnz .LBB249_192
.LBB249_193:
	s_or_b64 exec, exec, s[8:9]
	v_add_u32_e32 v5, 1, v5
	v_and_b32_e32 v6, 0x3fffffe, v5
	v_cmp_ne_u32_e32 vcc, v5, v6
	v_lshl_add_u32 v3, v6, 7, v0
	s_orn2_b64 s[8:9], vcc, exec
.LBB249_194:
	s_or_b64 exec, exec, s[2:3]
	s_and_b64 exec, exec, s[8:9]
	s_cbranch_execz .LBB249_197
; %bb.195:
	v_mov_b32_e32 v5, 0xb0
	v_lshl_add_u32 v5, v3, 2, v5
	s_mov_b64 s[2:3], 0
.LBB249_196:                            ; =>This Inner Loop Header: Depth=1
	ds_read_b32 v6, v5
	v_add_u32_e32 v3, 0x80, v3
	v_cmp_le_i32_e32 vcc, s30, v3
	s_or_b64 s[2:3], vcc, s[2:3]
	s_waitcnt lgkmcnt(0)
	v_mul_f32_e32 v6, v2, v6
	ds_write_b32 v5, v6
	v_add_u32_e32 v5, 0x200, v5
	s_andn2_b64 exec, exec, s[2:3]
	s_cbranch_execnz .LBB249_196
.LBB249_197:
	s_or_b64 exec, exec, s[0:1]
	s_waitcnt lgkmcnt(0)
	v_mov_b32_e32 v2, 0
	v_lshrrev_b32_e32 v29, 1, v4
	v_and_b32_e32 v3, 1, v0
	v_mov_b32_e32 v11, v2
	v_mov_b32_e32 v10, v2
	s_barrier
	s_and_saveexec_b64 s[8:9], s[6:7]
	s_cbranch_execz .LBB249_401
; %bb.198:
	s_ashr_i32 s1, s12, 31
	v_lshlrev_b32_e32 v2, 3, v0
	s_add_u32 s0, s26, s12
	v_or_b32_e32 v6, 64, v29
	s_movk_i32 s2, 0x50
	v_and_b32_e32 v2, 8, v2
	s_addc_u32 s1, s27, s1
	s_add_i32 s26, s19, -1
	v_cmp_gt_u32_e32 vcc, s2, v6
	s_lshl_b64 s[2:3], s[24:25], 2
	v_lshl_or_b32 v4, v29, 4, v2
	v_lshl_or_b32 v8, v6, 4, v2
	;; [unrolled: 1-line block ×3, first 2 shown]
	v_lshlrev_b32_e32 v2, 5, v3
	s_add_u32 s2, s22, s2
	v_mov_b32_e32 v7, 0
	v_lshl_or_b32 v2, v1, 6, v2
	v_and_b32_e32 v6, 60, v12
	s_addc_u32 s3, s23, s3
	s_mov_b32 s28, s13
	v_mov_b32_e32 v5, v7
	v_mov_b32_e32 v9, v7
	s_mov_b32 s27, s33
	v_add_u32_e32 v31, 0xb0, v2
	v_lshl_add_u64 v[12:13], s[2:3], 0, v[6:7]
	s_mov_b64 s[6:7], 0
	v_mov_b64_e32 v[14:15], s[0:1]
	s_movk_i32 s29, 0x7f
	s_movk_i32 s30, 0x80
	s_mov_b32 s31, 0x8000
	s_movk_i32 s34, 0x380
	s_mov_b32 s35, 0x3020706
	s_mov_b32 s36, 0x1000504
	s_mov_b32 s37, 0x5040100
	v_mov_b32_e32 v32, 0x1c00
	v_mov_b32_e32 v10, v7
	;; [unrolled: 1-line block ×4, first 2 shown]
	s_branch .LBB249_201
.LBB249_199:                            ;   in Loop: Header=BB249_201 Depth=1
	s_or_b64 exec, exec, s[2:3]
	;;#ASMSTART
	v_pk_mul_f16 v18, v34, v19;

	;;#ASMEND
	;;#ASMSTART
	v_pk_mul_f16 v6, v33, v6;

	;;#ASMEND
	;; [unrolled: 4-line block ×4, first 2 shown]
	s_nop 0
	;;#ASMSTART
	v_pk_add_f16 v6, v18, v6;

	;;#ASMEND
	s_nop 0
	;;#ASMSTART
	v_pk_add_f16 v6, v6, v17;

	;;#ASMEND
	;; [unrolled: 5-line block ×3, first 2 shown]
	s_nop 0
	v_lshrrev_b32_e32 v16, 16, v6
	v_and_b32_e32 v6, 0xffff, v6
	;;#ASMSTART
	v_cvt_f32_f16 v6, v6;
	;;#ASMEND
	;;#ASMSTART
	v_cvt_f32_f16 v16, v16;
	;;#ASMEND
	s_nop 0
	v_add_f32_e32 v6, v6, v16
	v_add_f32_e32 v2, v2, v6
.LBB249_200:                            ;   in Loop: Header=BB249_201 Depth=1
	s_or_b64 exec, exec, s[12:13]
	v_add_u32_e32 v1, 2, v1
	v_cmp_le_i32_e64 s[0:1], s19, v1
	v_add_u32_e32 v30, 32, v30
	v_add_u32_e32 v31, 0x80, v31
	s_or_b64 s[6:7], s[0:1], s[6:7]
	v_lshl_add_u64 v[12:13], v[12:13], 0, 8
	s_andn2_b64 exec, exec, s[6:7]
	s_cbranch_execz .LBB249_400
.LBB249_201:                            ; =>This Inner Loop Header: Depth=1
	ds_read2_b64 v[16:19], v31 offset1:1
	ds_read2_b64 v[22:25], v31 offset0:2 offset1:3
                                        ; implicit-def: $sgpr14
	s_waitcnt lgkmcnt(1)
	;;#ASMSTART
	v_cvt_f16_f32 v21, v16;

	;;#ASMEND
	;;#ASMSTART
	v_cvt_f16_f32 v33, v17;

	;;#ASMEND
	;; [unrolled: 4-line block ×4, first 2 shown]
	s_waitcnt lgkmcnt(0)
	;;#ASMSTART
	v_cvt_f16_f32 v37, v22;

	;;#ASMEND
	;;#ASMSTART
	v_cvt_f16_f32 v38, v23;

	;;#ASMEND
	;; [unrolled: 4-line block ×4, first 2 shown]
	global_load_dword v6, v[12:13], off
	s_waitcnt vmcnt(0)
	v_mad_i64_i32 v[16:17], s[0:1], v6, s28, v[14:15]
	v_lshl_add_u64 v[18:19], v[16:17], 0, v[4:5]
	global_load_dwordx2 v[22:23], v[18:19], off
	global_load_dword v20, v7, s[10:11]
	s_mov_b64 s[0:1], 0
	s_waitcnt vmcnt(1)
	v_cmp_gt_i16_sdwa s[2:3], v22, s29 src0_sel:BYTE_0 src1_sel:DWORD
	s_and_saveexec_b64 s[12:13], s[2:3]
	s_xor_b64 s[2:3], exec, s[12:13]
	s_cbranch_execnz .LBB249_304
; %bb.202:                              ;   in Loop: Header=BB249_201 Depth=1
	s_or_saveexec_b64 s[2:3], s[2:3]
	v_mov_b32_e32 v24, s14
	s_xor_b64 exec, exec, s[2:3]
	s_cbranch_execnz .LBB249_307
.LBB249_203:                            ;   in Loop: Header=BB249_201 Depth=1
	s_or_b64 exec, exec, s[2:3]
	s_and_saveexec_b64 s[2:3], s[0:1]
	s_cbranch_execz .LBB249_205
.LBB249_204:                            ;   in Loop: Header=BB249_201 Depth=1
	v_and_b32_e32 v6, 7, v22
	v_ffbh_u32_e32 v6, v6
	v_bfe_u32 v24, v22, 3, 4
	v_min_u32_e32 v6, 32, v6
	v_subrev_u32_e32 v25, 28, v6
	v_sub_u32_e32 v6, 29, v6
	v_cmp_eq_u32_e64 s[0:1], 0, v24
	s_nop 1
	v_cndmask_b32_e64 v6, v24, v6, s[0:1]
	v_cndmask_b32_e64 v24, 0, v25, s[0:1]
	v_lshlrev_b64 v[24:25], v24, v[22:23]
	v_lshlrev_b32_e32 v25, 8, v22
	v_lshl_add_u32 v6, v6, 10, v32
	v_lshlrev_b32_e32 v24, 7, v24
	v_and_or_b32 v6, v25, s31, v6
	v_and_or_b32 v6, v24, s34, v6
	v_cvt_f32_f16_e32 v24, v6
.LBB249_205:                            ;   in Loop: Header=BB249_201 Depth=1
	s_or_b64 exec, exec, s[2:3]
	v_lshrrev_b16_e32 v6, 8, v22
	v_cmp_lt_i16_e64 s[0:1], s29, v6
	s_mov_b64 s[2:3], 0
                                        ; implicit-def: $sgpr22
	s_and_saveexec_b64 s[12:13], s[0:1]
	s_xor_b64 s[12:13], exec, s[12:13]
	s_cbranch_execnz .LBB249_308
; %bb.206:                              ;   in Loop: Header=BB249_201 Depth=1
	s_or_saveexec_b64 s[12:13], s[12:13]
	v_mov_b32_e32 v26, s22
	s_xor_b64 exec, exec, s[12:13]
	s_cbranch_execnz .LBB249_311
.LBB249_207:                            ;   in Loop: Header=BB249_201 Depth=1
	s_or_b64 exec, exec, s[12:13]
	s_and_saveexec_b64 s[12:13], s[2:3]
	s_cbranch_execz .LBB249_209
.LBB249_208:                            ;   in Loop: Header=BB249_201 Depth=1
	v_and_b32_e32 v25, 7, v6
	v_ffbh_u32_e32 v26, v25
	v_min_u32_e32 v41, 32, v26
	v_subrev_u32_e32 v26, 28, v41
	v_bfe_u32 v34, v6, 3, 4
	v_lshlrev_b64 v[26:27], v26, v[6:7]
	v_sub_u32_e32 v27, 29, v41
	v_cmp_eq_u32_e64 s[0:1], 0, v34
	v_and_b32_e32 v26, 7, v26
	v_lshlrev_b32_e32 v6, 8, v6
	v_cndmask_b32_e64 v27, v34, v27, s[0:1]
	v_cndmask_b32_e64 v25, v25, v26, s[0:1]
	v_lshl_add_u32 v26, v27, 10, v32
	v_and_or_b32 v6, v6, s31, v26
	v_lshl_or_b32 v6, v25, 7, v6
	v_cvt_f32_f16_e32 v26, v6
.LBB249_209:                            ;   in Loop: Header=BB249_201 Depth=1
	s_or_b64 exec, exec, s[12:13]
	v_lshrrev_b32_e32 v6, 16, v22
	v_cmp_gt_i16_sdwa s[2:3], v6, s29 src0_sel:BYTE_0 src1_sel:DWORD
	s_mov_b64 s[0:1], 0
                                        ; implicit-def: $sgpr14
	s_and_saveexec_b64 s[12:13], s[2:3]
	s_xor_b64 s[2:3], exec, s[12:13]
	s_cbranch_execnz .LBB249_312
; %bb.210:                              ;   in Loop: Header=BB249_201 Depth=1
	s_or_saveexec_b64 s[2:3], s[2:3]
	v_mov_b32_e32 v25, s14
	s_xor_b64 exec, exec, s[2:3]
	s_cbranch_execnz .LBB249_315
.LBB249_211:                            ;   in Loop: Header=BB249_201 Depth=1
	s_or_b64 exec, exec, s[2:3]
	s_and_saveexec_b64 s[2:3], s[0:1]
	s_cbranch_execz .LBB249_213
.LBB249_212:                            ;   in Loop: Header=BB249_201 Depth=1
	v_bfe_u32 v25, v22, 16, 3
	v_ffbh_u32_e32 v34, v25
	v_bfe_u32 v27, v22, 19, 4
	v_min_u32_e32 v34, 32, v34
	v_subrev_u32_e32 v41, 28, v34
	v_sub_u32_e32 v34, 29, v34
	v_cmp_eq_u32_e64 s[0:1], 0, v27
	v_lshlrev_b64 v[42:43], v41, v[6:7]
	v_and_b32_e32 v41, 7, v42
	v_cndmask_b32_e64 v27, v27, v34, s[0:1]
	v_lshlrev_b32_e32 v6, 8, v6
	v_lshl_add_u32 v27, v27, 10, v32
	v_cndmask_b32_e64 v25, v25, v41, s[0:1]
	v_and_or_b32 v6, v6, s31, v27
	v_lshl_or_b32 v6, v25, 7, v6
	v_cvt_f32_f16_e32 v25, v6
.LBB249_213:                            ;   in Loop: Header=BB249_201 Depth=1
	s_or_b64 exec, exec, s[2:3]
	v_lshrrev_b32_e32 v6, 24, v22
	v_cmp_lt_i16_e64 s[0:1], s29, v6
	s_mov_b64 s[2:3], 0
                                        ; implicit-def: $sgpr22
	s_and_saveexec_b64 s[12:13], s[0:1]
	s_xor_b64 s[12:13], exec, s[12:13]
	s_cbranch_execnz .LBB249_316
; %bb.214:                              ;   in Loop: Header=BB249_201 Depth=1
	s_or_saveexec_b64 s[12:13], s[12:13]
	v_mov_b32_e32 v27, s22
	s_xor_b64 exec, exec, s[12:13]
	s_cbranch_execnz .LBB249_319
.LBB249_215:                            ;   in Loop: Header=BB249_201 Depth=1
	s_or_b64 exec, exec, s[12:13]
	s_and_saveexec_b64 s[12:13], s[2:3]
	s_cbranch_execz .LBB249_217
.LBB249_216:                            ;   in Loop: Header=BB249_201 Depth=1
	v_bfe_u32 v27, v22, 24, 3
	v_ffbh_u32_e32 v34, v27
	v_bfe_u32 v22, v22, 27, 4
	v_min_u32_e32 v34, 32, v34
	v_subrev_u32_e32 v41, 28, v34
	v_sub_u32_e32 v34, 29, v34
	v_cmp_eq_u32_e64 s[0:1], 0, v22
	v_lshlrev_b64 v[42:43], v41, v[6:7]
	v_and_b32_e32 v41, 7, v42
	v_cndmask_b32_e64 v22, v22, v34, s[0:1]
	v_lshlrev_b32_e32 v6, 8, v6
	v_lshl_add_u32 v22, v22, 10, v32
	v_cndmask_b32_e64 v27, v27, v41, s[0:1]
	v_and_or_b32 v6, v6, s31, v22
	v_lshl_or_b32 v6, v27, 7, v6
	v_cvt_f32_f16_e32 v27, v6
.LBB249_217:                            ;   in Loop: Header=BB249_201 Depth=1
	s_or_b64 exec, exec, s[12:13]
	v_cmp_gt_i16_sdwa s[2:3], v23, s29 src0_sel:BYTE_0 src1_sel:DWORD
	s_mov_b64 s[0:1], 0
                                        ; implicit-def: $sgpr14
	s_and_saveexec_b64 s[12:13], s[2:3]
	s_xor_b64 s[2:3], exec, s[12:13]
	s_cbranch_execnz .LBB249_320
; %bb.218:                              ;   in Loop: Header=BB249_201 Depth=1
	s_or_saveexec_b64 s[2:3], s[2:3]
	v_mov_b32_e32 v22, s14
	s_xor_b64 exec, exec, s[2:3]
	s_cbranch_execnz .LBB249_323
.LBB249_219:                            ;   in Loop: Header=BB249_201 Depth=1
	s_or_b64 exec, exec, s[2:3]
	v_mov_b32_e32 v6, v23
	s_and_saveexec_b64 s[2:3], s[0:1]
	s_cbranch_execz .LBB249_221
.LBB249_220:                            ;   in Loop: Header=BB249_201 Depth=1
	v_and_b32_e32 v22, 7, v23
	v_ffbh_u32_e32 v22, v22
	v_bfe_u32 v34, v23, 3, 4
	v_min_u32_e32 v22, 32, v22
	v_subrev_u32_e32 v41, 28, v22
	v_sub_u32_e32 v22, 29, v22
	v_cmp_eq_u32_e64 s[0:1], 0, v34
	s_nop 1
	v_cndmask_b32_e64 v22, v34, v22, s[0:1]
	v_cndmask_b32_e64 v34, 0, v41, s[0:1]
	v_lshlrev_b64 v[42:43], v34, v[6:7]
	v_lshlrev_b32_e32 v41, 8, v23
	v_lshl_add_u32 v22, v22, 10, v32
	v_lshlrev_b32_e32 v34, 7, v42
	v_and_or_b32 v22, v41, s31, v22
	v_and_or_b32 v22, v34, s34, v22
	v_cvt_f32_f16_e32 v22, v22
.LBB249_221:                            ;   in Loop: Header=BB249_201 Depth=1
	s_or_b64 exec, exec, s[2:3]
	v_lshrrev_b16_e32 v6, 8, v6
	v_cmp_lt_i16_e64 s[0:1], s29, v6
	s_mov_b64 s[2:3], 0
                                        ; implicit-def: $sgpr22
	s_and_saveexec_b64 s[12:13], s[0:1]
	s_xor_b64 s[12:13], exec, s[12:13]
	s_cbranch_execnz .LBB249_324
; %bb.222:                              ;   in Loop: Header=BB249_201 Depth=1
	s_or_saveexec_b64 s[12:13], s[12:13]
	v_mov_b32_e32 v34, s22
	s_xor_b64 exec, exec, s[12:13]
	s_cbranch_execnz .LBB249_327
.LBB249_223:                            ;   in Loop: Header=BB249_201 Depth=1
	s_or_b64 exec, exec, s[12:13]
	s_and_saveexec_b64 s[12:13], s[2:3]
	s_cbranch_execz .LBB249_225
.LBB249_224:                            ;   in Loop: Header=BB249_201 Depth=1
	v_and_b32_e32 v34, 7, v6
	v_ffbh_u32_e32 v42, v34
	v_min_u32_e32 v44, 32, v42
	v_subrev_u32_e32 v42, 28, v44
	v_bfe_u32 v41, v6, 3, 4
	v_lshlrev_b64 v[42:43], v42, v[6:7]
	v_sub_u32_e32 v43, 29, v44
	v_cmp_eq_u32_e64 s[0:1], 0, v41
	v_and_b32_e32 v42, 7, v42
	v_lshlrev_b32_e32 v6, 8, v6
	v_cndmask_b32_e64 v41, v41, v43, s[0:1]
	v_lshl_add_u32 v41, v41, 10, v32
	v_cndmask_b32_e64 v34, v34, v42, s[0:1]
	v_and_or_b32 v6, v6, s31, v41
	v_lshl_or_b32 v6, v34, 7, v6
	v_cvt_f32_f16_e32 v34, v6
.LBB249_225:                            ;   in Loop: Header=BB249_201 Depth=1
	s_or_b64 exec, exec, s[12:13]
	v_lshrrev_b32_e32 v6, 16, v23
	v_cmp_gt_i16_sdwa s[2:3], v6, s29 src0_sel:BYTE_0 src1_sel:DWORD
	s_mov_b64 s[0:1], 0
                                        ; implicit-def: $sgpr14
	s_and_saveexec_b64 s[12:13], s[2:3]
	s_xor_b64 s[2:3], exec, s[12:13]
	s_cbranch_execnz .LBB249_328
; %bb.226:                              ;   in Loop: Header=BB249_201 Depth=1
	s_or_saveexec_b64 s[2:3], s[2:3]
	v_mov_b32_e32 v41, s14
	s_xor_b64 exec, exec, s[2:3]
	s_cbranch_execnz .LBB249_331
.LBB249_227:                            ;   in Loop: Header=BB249_201 Depth=1
	s_or_b64 exec, exec, s[2:3]
	s_and_saveexec_b64 s[2:3], s[0:1]
	s_cbranch_execz .LBB249_229
.LBB249_228:                            ;   in Loop: Header=BB249_201 Depth=1
	v_bfe_u32 v41, v23, 16, 3
	v_ffbh_u32_e32 v42, v41
	v_min_u32_e32 v45, 32, v42
	v_subrev_u32_e32 v42, 28, v45
	v_bfe_u32 v44, v23, 19, 4
	v_lshlrev_b64 v[42:43], v42, v[6:7]
	v_sub_u32_e32 v43, 29, v45
	v_cmp_eq_u32_e64 s[0:1], 0, v44
	v_and_b32_e32 v42, 7, v42
	v_lshlrev_b32_e32 v6, 8, v6
	v_cndmask_b32_e64 v43, v44, v43, s[0:1]
	v_cndmask_b32_e64 v41, v41, v42, s[0:1]
	v_lshl_add_u32 v42, v43, 10, v32
	v_and_or_b32 v6, v6, s31, v42
	v_lshl_or_b32 v6, v41, 7, v6
	v_cvt_f32_f16_e32 v41, v6
.LBB249_229:                            ;   in Loop: Header=BB249_201 Depth=1
	s_or_b64 exec, exec, s[2:3]
	v_lshrrev_b32_e32 v6, 24, v23
	v_cmp_lt_i16_e64 s[0:1], s29, v6
	s_mov_b64 s[2:3], 0
                                        ; implicit-def: $sgpr22
	s_and_saveexec_b64 s[12:13], s[0:1]
	s_xor_b64 s[12:13], exec, s[12:13]
	s_cbranch_execnz .LBB249_332
; %bb.230:                              ;   in Loop: Header=BB249_201 Depth=1
	s_or_saveexec_b64 s[12:13], s[12:13]
	v_mov_b32_e32 v42, s22
	s_xor_b64 exec, exec, s[12:13]
	s_cbranch_execnz .LBB249_335
.LBB249_231:                            ;   in Loop: Header=BB249_201 Depth=1
	s_or_b64 exec, exec, s[12:13]
	s_and_saveexec_b64 s[12:13], s[2:3]
	s_cbranch_execz .LBB249_233
.LBB249_232:                            ;   in Loop: Header=BB249_201 Depth=1
	v_bfe_u32 v44, v23, 24, 3
	v_ffbh_u32_e32 v42, v44
	v_min_u32_e32 v45, 32, v42
	v_subrev_u32_e32 v42, 28, v45
	v_bfe_u32 v23, v23, 27, 4
	v_lshlrev_b64 v[42:43], v42, v[6:7]
	v_sub_u32_e32 v43, 29, v45
	v_cmp_eq_u32_e64 s[0:1], 0, v23
	v_and_b32_e32 v42, 7, v42
	v_lshlrev_b32_e32 v6, 8, v6
	v_cndmask_b32_e64 v23, v23, v43, s[0:1]
	v_lshl_add_u32 v23, v23, 10, v32
	v_cndmask_b32_e64 v42, v44, v42, s[0:1]
	v_and_or_b32 v6, v6, s31, v23
	v_lshl_or_b32 v6, v42, 7, v6
	v_cvt_f32_f16_e32 v42, v6
.LBB249_233:                            ;   in Loop: Header=BB249_201 Depth=1
	s_or_b64 exec, exec, s[12:13]
	s_waitcnt vmcnt(0)
	v_pk_mul_f32 v[26:27], v[20:21], v[26:27] op_sel_hi:[0,1]
	v_pk_mul_f32 v[24:25], v[20:21], v[24:25] op_sel_hi:[0,1]
	v_cvt_f16_f32_e32 v6, v27
	v_cvt_f16_f32_e32 v23, v26
	v_cvt_f16_f32_e32 v25, v25
	v_cvt_f16_f32_e32 v24, v24
	v_fma_mixlo_f16 v22, v20, v22, 0
	v_pack_b32_f16 v23, v23, v6
	v_cmp_eq_u32_e64 s[0:1], s26, v1
	v_pack_b32_f16 v24, v24, v25
	v_perm_b32 v6, v24, v23, s35
	v_perm_b32 v23, v24, v23, s36
	v_fma_mixlo_f16 v24, v20, v34, 0
	v_lshlrev_b32_e32 v24, 16, v24
	v_or_b32_sdwa v22, v24, v22 dst_sel:DWORD dst_unused:UNUSED_PAD src0_sel:DWORD src1_sel:WORD_0
	v_fma_mixlo_f16 v24, v20, v41, 0
	v_fma_mixlo_f16 v20, v20, v42, 0
	v_lshlrev_b32_e32 v20, 16, v20
	v_or_b32_sdwa v20, v20, v24 dst_sel:DWORD dst_unused:UNUSED_PAD src0_sel:DWORD src1_sel:WORD_0
	s_and_saveexec_b64 s[12:13], s[0:1]
	s_cbranch_execz .LBB249_235
; %bb.234:                              ;   in Loop: Header=BB249_201 Depth=1
	v_add_u32_e32 v25, 1, v30
	v_lshrrev_b32_e32 v26, 16, v23
	v_cmp_gt_i32_e64 s[2:3], s27, v25
	v_lshrrev_b32_e32 v27, 16, v6
	v_lshrrev_b32_e32 v20, 16, v20
	v_cndmask_b32_e64 v25, 0, v26, s[2:3]
	v_cmp_gt_i32_e64 s[2:3], s33, v30
	v_or_b32_e32 v26, 2, v30
	s_nop 0
	v_cndmask_b32_e64 v23, 0, v23, s[2:3]
	v_perm_b32 v23, v25, v23, s37
	v_or_b32_e32 v25, 3, v30
	v_cmp_gt_i32_e64 s[2:3], s27, v25
	s_nop 1
	v_cndmask_b32_e64 v25, 0, v27, s[2:3]
	v_cmp_gt_i32_e64 s[2:3], s33, v26
	v_or_b32_e32 v26, 4, v30
	v_lshrrev_b32_e32 v27, 16, v22
	v_cndmask_b32_e64 v6, 0, v6, s[2:3]
	v_perm_b32 v6, v25, v6, s37
	v_or_b32_e32 v25, 5, v30
	v_cmp_gt_i32_e64 s[2:3], s27, v25
	s_nop 1
	v_cndmask_b32_e64 v25, 0, v27, s[2:3]
	v_cmp_gt_i32_e64 s[2:3], s33, v26
	v_or_b32_e32 v26, 6, v30
	s_nop 0
	v_cndmask_b32_e64 v22, 0, v22, s[2:3]
	v_perm_b32 v22, v25, v22, s37
	v_or_b32_e32 v25, 7, v30
	v_cmp_gt_i32_e64 s[2:3], s27, v25
	s_nop 1
	v_cndmask_b32_e64 v20, 0, v20, s[2:3]
	v_cmp_gt_i32_e64 s[2:3], s33, v26
	s_nop 1
	v_cndmask_b32_e64 v24, 0, v24, s[2:3]
	v_perm_b32 v20, v20, v24, s37
.LBB249_235:                            ;   in Loop: Header=BB249_201 Depth=1
	s_or_b64 exec, exec, s[12:13]
	v_and_b32_e32 v21, 0xffff, v21
	v_lshl_or_b32 v34, v33, 16, v21
	v_and_b32_e32 v21, 0xffff, v35
	v_lshl_or_b32 v33, v36, 16, v21
	;; [unrolled: 2-line block ×4, first 2 shown]
	;;#ASMSTART
	v_pk_mul_f16 v21, v34, v23;

	;;#ASMEND
	;;#ASMSTART
	v_pk_mul_f16 v6, v33, v6;

	;;#ASMEND
	;; [unrolled: 4-line block ×4, first 2 shown]
	s_mov_b64 s[2:3], 0
	;;#ASMSTART
	v_pk_add_f16 v6, v21, v6;

	;;#ASMEND
                                        ; implicit-def: $sgpr22
	s_nop 0
	;;#ASMSTART
	v_pk_add_f16 v6, v6, v22;

	;;#ASMEND
	s_nop 0
	;;#ASMSTART
	v_pk_add_f16 v6, v6, v20;

	;;#ASMEND
	s_nop 0
	v_lshrrev_b32_e32 v20, 16, v6
	v_and_b32_e32 v6, 0xffff, v6
	;;#ASMSTART
	v_cvt_f32_f16 v21, v6;
	;;#ASMEND
	;;#ASMSTART
	v_cvt_f32_f16 v35, v20;
	;;#ASMEND
	global_load_dwordx2 v[22:23], v[18:19], off offset:512
	global_load_dword v20, v7, s[10:11]
	s_waitcnt vmcnt(1)
	v_cmp_gt_i16_sdwa s[12:13], v22, s29 src0_sel:BYTE_0 src1_sel:DWORD
	s_and_saveexec_b64 s[14:15], s[12:13]
	s_xor_b64 s[12:13], exec, s[14:15]
	s_cbranch_execnz .LBB249_336
; %bb.236:                              ;   in Loop: Header=BB249_201 Depth=1
	s_or_saveexec_b64 s[12:13], s[12:13]
	v_mov_b32_e32 v18, s22
	s_xor_b64 exec, exec, s[12:13]
	s_cbranch_execnz .LBB249_339
.LBB249_237:                            ;   in Loop: Header=BB249_201 Depth=1
	s_or_b64 exec, exec, s[12:13]
	s_and_saveexec_b64 s[12:13], s[2:3]
	s_cbranch_execz .LBB249_239
.LBB249_238:                            ;   in Loop: Header=BB249_201 Depth=1
	v_and_b32_e32 v6, 7, v22
	v_ffbh_u32_e32 v6, v6
	v_bfe_u32 v18, v22, 3, 4
	v_min_u32_e32 v6, 32, v6
	v_subrev_u32_e32 v19, 28, v6
	v_sub_u32_e32 v6, 29, v6
	v_cmp_eq_u32_e64 s[2:3], 0, v18
	s_nop 1
	v_cndmask_b32_e64 v6, v18, v6, s[2:3]
	v_cndmask_b32_e64 v18, 0, v19, s[2:3]
	v_lshlrev_b64 v[18:19], v18, v[22:23]
	v_lshlrev_b32_e32 v19, 8, v22
	v_lshl_add_u32 v6, v6, 10, v32
	v_lshlrev_b32_e32 v18, 7, v18
	v_and_or_b32 v6, v19, s31, v6
	v_and_or_b32 v6, v18, s34, v6
	v_cvt_f32_f16_e32 v18, v6
.LBB249_239:                            ;   in Loop: Header=BB249_201 Depth=1
	s_or_b64 exec, exec, s[12:13]
	v_lshrrev_b16_e32 v6, 8, v22
	v_cmp_lt_i16_e64 s[2:3], s29, v6
	s_mov_b64 s[12:13], 0
                                        ; implicit-def: $sgpr24
	s_and_saveexec_b64 s[14:15], s[2:3]
	s_xor_b64 s[14:15], exec, s[14:15]
	s_cbranch_execnz .LBB249_340
; %bb.240:                              ;   in Loop: Header=BB249_201 Depth=1
	s_or_saveexec_b64 s[14:15], s[14:15]
	v_mov_b32_e32 v24, s24
	s_xor_b64 exec, exec, s[14:15]
	s_cbranch_execnz .LBB249_343
.LBB249_241:                            ;   in Loop: Header=BB249_201 Depth=1
	s_or_b64 exec, exec, s[14:15]
	s_and_saveexec_b64 s[14:15], s[12:13]
	s_cbranch_execz .LBB249_243
.LBB249_242:                            ;   in Loop: Header=BB249_201 Depth=1
	v_and_b32_e32 v19, 7, v6
	v_ffbh_u32_e32 v24, v19
	v_min_u32_e32 v37, 32, v24
	v_subrev_u32_e32 v24, 28, v37
	v_bfe_u32 v36, v6, 3, 4
	v_lshlrev_b64 v[24:25], v24, v[6:7]
	v_sub_u32_e32 v25, 29, v37
	v_cmp_eq_u32_e64 s[2:3], 0, v36
	v_and_b32_e32 v24, 7, v24
	v_lshlrev_b32_e32 v6, 8, v6
	v_cndmask_b32_e64 v25, v36, v25, s[2:3]
	v_cndmask_b32_e64 v19, v19, v24, s[2:3]
	v_lshl_add_u32 v24, v25, 10, v32
	v_and_or_b32 v6, v6, s31, v24
	v_lshl_or_b32 v6, v19, 7, v6
	v_cvt_f32_f16_e32 v24, v6
.LBB249_243:                            ;   in Loop: Header=BB249_201 Depth=1
	s_or_b64 exec, exec, s[14:15]
	v_lshrrev_b32_e32 v6, 16, v22
	v_cmp_gt_i16_sdwa s[12:13], v6, s29 src0_sel:BYTE_0 src1_sel:DWORD
	s_mov_b64 s[2:3], 0
                                        ; implicit-def: $sgpr22
	s_and_saveexec_b64 s[14:15], s[12:13]
	s_xor_b64 s[12:13], exec, s[14:15]
	s_cbranch_execnz .LBB249_344
; %bb.244:                              ;   in Loop: Header=BB249_201 Depth=1
	s_or_saveexec_b64 s[12:13], s[12:13]
	v_mov_b32_e32 v19, s22
	s_xor_b64 exec, exec, s[12:13]
	s_cbranch_execnz .LBB249_347
.LBB249_245:                            ;   in Loop: Header=BB249_201 Depth=1
	s_or_b64 exec, exec, s[12:13]
	s_and_saveexec_b64 s[12:13], s[2:3]
	s_cbranch_execz .LBB249_247
.LBB249_246:                            ;   in Loop: Header=BB249_201 Depth=1
	v_bfe_u32 v19, v22, 16, 3
	v_ffbh_u32_e32 v36, v19
	v_min_u32_e32 v38, 32, v36
	v_subrev_u32_e32 v36, 28, v38
	v_bfe_u32 v25, v22, 19, 4
	v_lshlrev_b64 v[36:37], v36, v[6:7]
	v_sub_u32_e32 v37, 29, v38
	v_cmp_eq_u32_e64 s[2:3], 0, v25
	v_and_b32_e32 v36, 7, v36
	v_lshlrev_b32_e32 v6, 8, v6
	v_cndmask_b32_e64 v25, v25, v37, s[2:3]
	v_lshl_add_u32 v25, v25, 10, v32
	v_cndmask_b32_e64 v19, v19, v36, s[2:3]
	v_and_or_b32 v6, v6, s31, v25
	v_lshl_or_b32 v6, v19, 7, v6
	v_cvt_f32_f16_e32 v19, v6
.LBB249_247:                            ;   in Loop: Header=BB249_201 Depth=1
	s_or_b64 exec, exec, s[12:13]
	v_lshrrev_b32_e32 v6, 24, v22
	v_cmp_lt_i16_e64 s[2:3], s29, v6
	s_mov_b64 s[12:13], 0
                                        ; implicit-def: $sgpr24
	s_and_saveexec_b64 s[14:15], s[2:3]
	s_xor_b64 s[14:15], exec, s[14:15]
	s_cbranch_execnz .LBB249_348
; %bb.248:                              ;   in Loop: Header=BB249_201 Depth=1
	s_or_saveexec_b64 s[14:15], s[14:15]
	v_mov_b32_e32 v25, s24
	s_xor_b64 exec, exec, s[14:15]
	s_cbranch_execnz .LBB249_351
.LBB249_249:                            ;   in Loop: Header=BB249_201 Depth=1
	s_or_b64 exec, exec, s[14:15]
	s_and_saveexec_b64 s[14:15], s[12:13]
	s_cbranch_execz .LBB249_251
.LBB249_250:                            ;   in Loop: Header=BB249_201 Depth=1
	v_bfe_u32 v25, v22, 24, 3
	v_ffbh_u32_e32 v36, v25
	v_min_u32_e32 v38, 32, v36
	v_subrev_u32_e32 v36, 28, v38
	v_bfe_u32 v22, v22, 27, 4
	v_lshlrev_b64 v[36:37], v36, v[6:7]
	v_sub_u32_e32 v37, 29, v38
	v_cmp_eq_u32_e64 s[2:3], 0, v22
	v_and_b32_e32 v36, 7, v36
	v_lshlrev_b32_e32 v6, 8, v6
	v_cndmask_b32_e64 v22, v22, v37, s[2:3]
	v_lshl_add_u32 v22, v22, 10, v32
	v_cndmask_b32_e64 v25, v25, v36, s[2:3]
	v_and_or_b32 v6, v6, s31, v22
	v_lshl_or_b32 v6, v25, 7, v6
	v_cvt_f32_f16_e32 v25, v6
.LBB249_251:                            ;   in Loop: Header=BB249_201 Depth=1
	s_or_b64 exec, exec, s[14:15]
	v_cmp_gt_i16_sdwa s[12:13], v23, s29 src0_sel:BYTE_0 src1_sel:DWORD
	s_mov_b64 s[2:3], 0
                                        ; implicit-def: $sgpr22
	s_and_saveexec_b64 s[14:15], s[12:13]
	s_xor_b64 s[12:13], exec, s[14:15]
	s_cbranch_execnz .LBB249_352
; %bb.252:                              ;   in Loop: Header=BB249_201 Depth=1
	s_or_saveexec_b64 s[12:13], s[12:13]
	v_mov_b32_e32 v22, s22
	s_xor_b64 exec, exec, s[12:13]
	s_cbranch_execnz .LBB249_355
.LBB249_253:                            ;   in Loop: Header=BB249_201 Depth=1
	s_or_b64 exec, exec, s[12:13]
	v_mov_b32_e32 v6, v23
	s_and_saveexec_b64 s[12:13], s[2:3]
	s_cbranch_execz .LBB249_255
.LBB249_254:                            ;   in Loop: Header=BB249_201 Depth=1
	v_and_b32_e32 v22, 7, v23
	v_ffbh_u32_e32 v22, v22
	v_bfe_u32 v36, v23, 3, 4
	v_min_u32_e32 v22, 32, v22
	v_subrev_u32_e32 v37, 28, v22
	v_sub_u32_e32 v22, 29, v22
	v_cmp_eq_u32_e64 s[2:3], 0, v36
	s_nop 1
	v_cndmask_b32_e64 v22, v36, v22, s[2:3]
	v_cndmask_b32_e64 v36, 0, v37, s[2:3]
	v_lshlrev_b64 v[36:37], v36, v[6:7]
	v_lshlrev_b32_e32 v37, 8, v23
	v_lshl_add_u32 v22, v22, 10, v32
	v_lshlrev_b32_e32 v36, 7, v36
	v_and_or_b32 v22, v37, s31, v22
	v_and_or_b32 v22, v36, s34, v22
	v_cvt_f32_f16_e32 v22, v22
.LBB249_255:                            ;   in Loop: Header=BB249_201 Depth=1
	s_or_b64 exec, exec, s[12:13]
	v_lshrrev_b16_e32 v6, 8, v6
	v_cmp_lt_i16_e64 s[2:3], s29, v6
	s_mov_b64 s[12:13], 0
                                        ; implicit-def: $sgpr24
	s_and_saveexec_b64 s[14:15], s[2:3]
	s_xor_b64 s[14:15], exec, s[14:15]
	s_cbranch_execnz .LBB249_356
; %bb.256:                              ;   in Loop: Header=BB249_201 Depth=1
	s_or_saveexec_b64 s[14:15], s[14:15]
	v_mov_b32_e32 v36, s24
	s_xor_b64 exec, exec, s[14:15]
	s_cbranch_execnz .LBB249_359
.LBB249_257:                            ;   in Loop: Header=BB249_201 Depth=1
	s_or_b64 exec, exec, s[14:15]
	s_and_saveexec_b64 s[14:15], s[12:13]
	s_cbranch_execz .LBB249_259
.LBB249_258:                            ;   in Loop: Header=BB249_201 Depth=1
	v_and_b32_e32 v38, 7, v6
	v_ffbh_u32_e32 v36, v38
	v_min_u32_e32 v40, 32, v36
	v_subrev_u32_e32 v36, 28, v40
	v_bfe_u32 v39, v6, 3, 4
	v_lshlrev_b64 v[36:37], v36, v[6:7]
	v_sub_u32_e32 v37, 29, v40
	v_cmp_eq_u32_e64 s[2:3], 0, v39
	v_and_b32_e32 v36, 7, v36
	v_lshlrev_b32_e32 v6, 8, v6
	v_cndmask_b32_e64 v37, v39, v37, s[2:3]
	v_lshl_add_u32 v37, v37, 10, v32
	v_cndmask_b32_e64 v36, v38, v36, s[2:3]
	v_and_or_b32 v6, v6, s31, v37
	v_lshl_or_b32 v6, v36, 7, v6
	v_cvt_f32_f16_e32 v36, v6
.LBB249_259:                            ;   in Loop: Header=BB249_201 Depth=1
	s_or_b64 exec, exec, s[14:15]
	v_lshrrev_b32_e32 v6, 16, v23
	v_cmp_gt_i16_sdwa s[12:13], v6, s29 src0_sel:BYTE_0 src1_sel:DWORD
	s_mov_b64 s[2:3], 0
                                        ; implicit-def: $sgpr22
	s_and_saveexec_b64 s[14:15], s[12:13]
	s_xor_b64 s[12:13], exec, s[14:15]
	s_cbranch_execnz .LBB249_360
; %bb.260:                              ;   in Loop: Header=BB249_201 Depth=1
	s_or_saveexec_b64 s[12:13], s[12:13]
	v_mov_b32_e32 v37, s22
	s_xor_b64 exec, exec, s[12:13]
	s_cbranch_execnz .LBB249_363
.LBB249_261:                            ;   in Loop: Header=BB249_201 Depth=1
	s_or_b64 exec, exec, s[12:13]
	s_and_saveexec_b64 s[12:13], s[2:3]
	s_cbranch_execz .LBB249_263
.LBB249_262:                            ;   in Loop: Header=BB249_201 Depth=1
	v_bfe_u32 v37, v23, 16, 3
	v_ffbh_u32_e32 v38, v37
	v_min_u32_e32 v41, 32, v38
	v_subrev_u32_e32 v38, 28, v41
	v_bfe_u32 v40, v23, 19, 4
	v_lshlrev_b64 v[38:39], v38, v[6:7]
	v_sub_u32_e32 v39, 29, v41
	v_cmp_eq_u32_e64 s[2:3], 0, v40
	v_and_b32_e32 v38, 7, v38
	v_lshlrev_b32_e32 v6, 8, v6
	v_cndmask_b32_e64 v39, v40, v39, s[2:3]
	v_cndmask_b32_e64 v37, v37, v38, s[2:3]
	v_lshl_add_u32 v38, v39, 10, v32
	v_and_or_b32 v6, v6, s31, v38
	v_lshl_or_b32 v6, v37, 7, v6
	v_cvt_f32_f16_e32 v37, v6
.LBB249_263:                            ;   in Loop: Header=BB249_201 Depth=1
	s_or_b64 exec, exec, s[12:13]
	v_lshrrev_b32_e32 v6, 24, v23
	v_cmp_lt_i16_e64 s[2:3], s29, v6
	s_mov_b64 s[12:13], 0
                                        ; implicit-def: $sgpr24
	s_and_saveexec_b64 s[14:15], s[2:3]
	s_xor_b64 s[14:15], exec, s[14:15]
	s_cbranch_execnz .LBB249_364
; %bb.264:                              ;   in Loop: Header=BB249_201 Depth=1
	s_or_saveexec_b64 s[14:15], s[14:15]
	v_mov_b32_e32 v38, s24
	s_xor_b64 exec, exec, s[14:15]
	s_cbranch_execnz .LBB249_367
.LBB249_265:                            ;   in Loop: Header=BB249_201 Depth=1
	s_or_b64 exec, exec, s[14:15]
	s_and_saveexec_b64 s[14:15], s[12:13]
	s_cbranch_execz .LBB249_267
.LBB249_266:                            ;   in Loop: Header=BB249_201 Depth=1
	v_bfe_u32 v40, v23, 24, 3
	v_ffbh_u32_e32 v38, v40
	v_min_u32_e32 v41, 32, v38
	v_subrev_u32_e32 v38, 28, v41
	v_bfe_u32 v23, v23, 27, 4
	v_lshlrev_b64 v[38:39], v38, v[6:7]
	v_sub_u32_e32 v39, 29, v41
	v_cmp_eq_u32_e64 s[2:3], 0, v23
	v_and_b32_e32 v38, 7, v38
	v_lshlrev_b32_e32 v6, 8, v6
	v_cndmask_b32_e64 v23, v23, v39, s[2:3]
	v_lshl_add_u32 v23, v23, 10, v32
	v_cndmask_b32_e64 v38, v40, v38, s[2:3]
	v_and_or_b32 v6, v6, s31, v23
	v_lshl_or_b32 v6, v38, 7, v6
	v_cvt_f32_f16_e32 v38, v6
.LBB249_267:                            ;   in Loop: Header=BB249_201 Depth=1
	s_or_b64 exec, exec, s[14:15]
	s_waitcnt vmcnt(0)
	v_pk_mul_f32 v[18:19], v[20:21], v[18:19] op_sel_hi:[0,1]
	v_cvt_f16_f32_e32 v19, v19
	v_cvt_f16_f32_e32 v18, v18
	v_pk_mul_f32 v[24:25], v[20:21], v[24:25] op_sel_hi:[0,1]
	v_cvt_f16_f32_e32 v6, v25
	v_cvt_f16_f32_e32 v23, v24
	v_pack_b32_f16 v18, v18, v19
	v_fma_mixlo_f16 v19, v20, v36, 0
	v_lshlrev_b32_e32 v19, 16, v19
	v_fma_mixlo_f16 v22, v20, v22, 0
	v_or_b32_sdwa v19, v19, v22 dst_sel:DWORD dst_unused:UNUSED_PAD src0_sel:DWORD src1_sel:WORD_0
	v_fma_mixlo_f16 v22, v20, v37, 0
	v_fma_mixlo_f16 v20, v20, v38, 0
	v_pack_b32_f16 v23, v23, v6
	v_lshlrev_b32_e32 v20, 16, v20
	v_perm_b32 v6, v18, v23, s35
	v_perm_b32 v18, v18, v23, s36
	v_or_b32_sdwa v20, v20, v22 dst_sel:DWORD dst_unused:UNUSED_PAD src0_sel:DWORD src1_sel:WORD_0
	s_and_saveexec_b64 s[12:13], s[0:1]
	s_cbranch_execz .LBB249_269
; %bb.268:                              ;   in Loop: Header=BB249_201 Depth=1
	v_add_u32_e32 v23, 1, v30
	v_lshrrev_b32_e32 v24, 16, v18
	v_cmp_gt_i32_e64 s[2:3], s27, v23
	v_lshrrev_b32_e32 v25, 16, v6
	v_lshrrev_b32_e32 v20, 16, v20
	v_cndmask_b32_e64 v23, 0, v24, s[2:3]
	v_cmp_gt_i32_e64 s[2:3], s33, v30
	v_or_b32_e32 v24, 2, v30
	s_nop 0
	v_cndmask_b32_e64 v18, 0, v18, s[2:3]
	v_perm_b32 v18, v23, v18, s37
	v_or_b32_e32 v23, 3, v30
	v_cmp_gt_i32_e64 s[2:3], s27, v23
	s_nop 1
	v_cndmask_b32_e64 v23, 0, v25, s[2:3]
	v_cmp_gt_i32_e64 s[2:3], s33, v24
	v_or_b32_e32 v24, 4, v30
	v_lshrrev_b32_e32 v25, 16, v19
	v_cndmask_b32_e64 v6, 0, v6, s[2:3]
	v_perm_b32 v6, v23, v6, s37
	v_or_b32_e32 v23, 5, v30
	v_cmp_gt_i32_e64 s[2:3], s27, v23
	s_nop 1
	v_cndmask_b32_e64 v23, 0, v25, s[2:3]
	v_cmp_gt_i32_e64 s[2:3], s33, v24
	v_or_b32_e32 v24, 6, v30
	s_nop 0
	v_cndmask_b32_e64 v19, 0, v19, s[2:3]
	v_perm_b32 v19, v23, v19, s37
	v_or_b32_e32 v23, 7, v30
	v_cmp_gt_i32_e64 s[2:3], s27, v23
	s_nop 1
	v_cndmask_b32_e64 v20, 0, v20, s[2:3]
	v_cmp_gt_i32_e64 s[2:3], s33, v24
	s_nop 1
	v_cndmask_b32_e64 v22, 0, v22, s[2:3]
	v_perm_b32 v20, v20, v22, s37
.LBB249_269:                            ;   in Loop: Header=BB249_201 Depth=1
	s_or_b64 exec, exec, s[12:13]
	;;#ASMSTART
	v_pk_mul_f16 v18, v34, v18;

	;;#ASMEND
	;;#ASMSTART
	v_pk_mul_f16 v6, v33, v6;

	;;#ASMEND
	;; [unrolled: 4-line block ×4, first 2 shown]
	v_add_f32_e32 v21, v21, v35
	;;#ASMSTART
	v_pk_add_f16 v6, v18, v6;

	;;#ASMEND
	v_add_f32_e32 v10, v10, v21
	;;#ASMSTART
	v_pk_add_f16 v6, v6, v19;

	;;#ASMEND
	s_nop 0
	;;#ASMSTART
	v_pk_add_f16 v6, v6, v20;

	;;#ASMEND
	s_nop 0
	v_lshrrev_b32_e32 v18, 16, v6
	v_and_b32_e32 v6, 0xffff, v6
	;;#ASMSTART
	v_cvt_f32_f16 v6, v6;
	;;#ASMEND
	;;#ASMSTART
	v_cvt_f32_f16 v18, v18;
	;;#ASMEND
	s_nop 0
	v_add_f32_e32 v6, v6, v18
	v_add_f32_e32 v11, v11, v6
	s_and_saveexec_b64 s[12:13], vcc
	s_cbranch_execz .LBB249_200
; %bb.270:                              ;   in Loop: Header=BB249_201 Depth=1
	v_lshl_add_u64 v[20:21], v[16:17], 0, v[8:9]
	global_load_dwordx2 v[18:19], v[20:21], off
	global_load_dword v16, v7, s[10:11]
	s_mov_b64 s[2:3], 0
                                        ; implicit-def: $sgpr24
	s_waitcnt vmcnt(1)
	v_cmp_gt_i16_sdwa s[14:15], v18, s29 src0_sel:BYTE_0 src1_sel:DWORD
	s_and_saveexec_b64 s[22:23], s[14:15]
	s_xor_b64 s[14:15], exec, s[22:23]
	s_cbranch_execnz .LBB249_368
; %bb.271:                              ;   in Loop: Header=BB249_201 Depth=1
	s_or_saveexec_b64 s[14:15], s[14:15]
	v_mov_b32_e32 v20, s24
	s_xor_b64 exec, exec, s[14:15]
	s_cbranch_execnz .LBB249_371
.LBB249_272:                            ;   in Loop: Header=BB249_201 Depth=1
	s_or_b64 exec, exec, s[14:15]
	s_and_saveexec_b64 s[14:15], s[2:3]
	s_cbranch_execz .LBB249_274
.LBB249_273:                            ;   in Loop: Header=BB249_201 Depth=1
	v_and_b32_e32 v6, 7, v18
	v_ffbh_u32_e32 v6, v6
	v_bfe_u32 v17, v18, 3, 4
	v_min_u32_e32 v6, 32, v6
	v_subrev_u32_e32 v20, 28, v6
	v_sub_u32_e32 v6, 29, v6
	v_cmp_eq_u32_e64 s[2:3], 0, v17
	s_nop 1
	v_cndmask_b32_e64 v6, v17, v6, s[2:3]
	v_cndmask_b32_e64 v17, 0, v20, s[2:3]
	v_lshlrev_b64 v[20:21], v17, v[18:19]
	v_lshlrev_b32_e32 v17, 7, v20
	v_lshlrev_b32_e32 v20, 8, v18
	v_lshl_add_u32 v6, v6, 10, v32
	v_and_or_b32 v6, v20, s31, v6
	v_and_or_b32 v6, v17, s34, v6
	v_cvt_f32_f16_e32 v20, v6
.LBB249_274:                            ;   in Loop: Header=BB249_201 Depth=1
	s_or_b64 exec, exec, s[14:15]
	v_lshrrev_b16_e32 v6, 8, v18
	v_cmp_lt_i16_e64 s[2:3], s29, v6
	s_mov_b64 s[14:15], 0
                                        ; implicit-def: $sgpr38
	s_and_saveexec_b64 s[22:23], s[2:3]
	s_xor_b64 s[22:23], exec, s[22:23]
	s_cbranch_execnz .LBB249_372
; %bb.275:                              ;   in Loop: Header=BB249_201 Depth=1
	s_or_saveexec_b64 s[22:23], s[22:23]
	v_mov_b32_e32 v22, s38
	s_xor_b64 exec, exec, s[22:23]
	s_cbranch_execnz .LBB249_375
.LBB249_276:                            ;   in Loop: Header=BB249_201 Depth=1
	s_or_b64 exec, exec, s[22:23]
	s_and_saveexec_b64 s[22:23], s[14:15]
	s_cbranch_execz .LBB249_278
.LBB249_277:                            ;   in Loop: Header=BB249_201 Depth=1
	v_and_b32_e32 v17, 7, v6
	v_ffbh_u32_e32 v22, v17
	v_min_u32_e32 v24, 32, v22
	v_subrev_u32_e32 v22, 28, v24
	v_bfe_u32 v21, v6, 3, 4
	v_lshlrev_b64 v[22:23], v22, v[6:7]
	v_sub_u32_e32 v23, 29, v24
	v_cmp_eq_u32_e64 s[2:3], 0, v21
	v_and_b32_e32 v22, 7, v22
	v_lshlrev_b32_e32 v6, 8, v6
	v_cndmask_b32_e64 v21, v21, v23, s[2:3]
	v_lshl_add_u32 v21, v21, 10, v32
	v_cndmask_b32_e64 v17, v17, v22, s[2:3]
	v_and_or_b32 v6, v6, s31, v21
	v_lshl_or_b32 v6, v17, 7, v6
	v_cvt_f32_f16_e32 v22, v6
.LBB249_278:                            ;   in Loop: Header=BB249_201 Depth=1
	s_or_b64 exec, exec, s[22:23]
	v_lshrrev_b32_e32 v6, 16, v18
	v_cmp_gt_i16_sdwa s[14:15], v6, s29 src0_sel:BYTE_0 src1_sel:DWORD
	s_mov_b64 s[2:3], 0
                                        ; implicit-def: $sgpr24
	s_and_saveexec_b64 s[22:23], s[14:15]
	s_xor_b64 s[14:15], exec, s[22:23]
	s_cbranch_execnz .LBB249_376
; %bb.279:                              ;   in Loop: Header=BB249_201 Depth=1
	s_or_saveexec_b64 s[14:15], s[14:15]
	v_mov_b32_e32 v21, s24
	s_xor_b64 exec, exec, s[14:15]
	s_cbranch_execnz .LBB249_379
.LBB249_280:                            ;   in Loop: Header=BB249_201 Depth=1
	s_or_b64 exec, exec, s[14:15]
	s_and_saveexec_b64 s[14:15], s[2:3]
	s_cbranch_execz .LBB249_282
.LBB249_281:                            ;   in Loop: Header=BB249_201 Depth=1
	v_bfe_u32 v17, v18, 16, 3
	v_ffbh_u32_e32 v23, v17
	v_bfe_u32 v21, v18, 19, 4
	v_min_u32_e32 v23, 32, v23
	v_subrev_u32_e32 v24, 28, v23
	v_sub_u32_e32 v23, 29, v23
	v_cmp_eq_u32_e64 s[2:3], 0, v21
	v_lshlrev_b64 v[24:25], v24, v[6:7]
	v_and_b32_e32 v24, 7, v24
	v_cndmask_b32_e64 v21, v21, v23, s[2:3]
	v_lshlrev_b32_e32 v6, 8, v6
	v_lshl_add_u32 v21, v21, 10, v32
	v_cndmask_b32_e64 v17, v17, v24, s[2:3]
	v_and_or_b32 v6, v6, s31, v21
	v_lshl_or_b32 v6, v17, 7, v6
	v_cvt_f32_f16_e32 v21, v6
.LBB249_282:                            ;   in Loop: Header=BB249_201 Depth=1
	s_or_b64 exec, exec, s[14:15]
	v_lshrrev_b32_e32 v6, 24, v18
	v_cmp_lt_i16_e64 s[2:3], s29, v6
	s_mov_b64 s[14:15], 0
                                        ; implicit-def: $sgpr38
	s_and_saveexec_b64 s[22:23], s[2:3]
	s_xor_b64 s[22:23], exec, s[22:23]
	s_cbranch_execnz .LBB249_380
; %bb.283:                              ;   in Loop: Header=BB249_201 Depth=1
	s_or_saveexec_b64 s[22:23], s[22:23]
	v_mov_b32_e32 v23, s38
	s_xor_b64 exec, exec, s[22:23]
	s_cbranch_execnz .LBB249_383
.LBB249_284:                            ;   in Loop: Header=BB249_201 Depth=1
	s_or_b64 exec, exec, s[22:23]
	s_and_saveexec_b64 s[22:23], s[14:15]
	s_cbranch_execz .LBB249_286
.LBB249_285:                            ;   in Loop: Header=BB249_201 Depth=1
	v_bfe_u32 v17, v18, 24, 3
	v_ffbh_u32_e32 v23, v17
	v_bfe_u32 v18, v18, 27, 4
	v_min_u32_e32 v23, 32, v23
	v_subrev_u32_e32 v24, 28, v23
	v_sub_u32_e32 v23, 29, v23
	v_cmp_eq_u32_e64 s[2:3], 0, v18
	v_lshlrev_b64 v[24:25], v24, v[6:7]
	v_and_b32_e32 v24, 7, v24
	v_cndmask_b32_e64 v18, v18, v23, s[2:3]
	v_lshlrev_b32_e32 v6, 8, v6
	v_lshl_add_u32 v18, v18, 10, v32
	v_cndmask_b32_e64 v17, v17, v24, s[2:3]
	v_and_or_b32 v6, v6, s31, v18
	v_lshl_or_b32 v6, v17, 7, v6
	v_cvt_f32_f16_e32 v23, v6
.LBB249_286:                            ;   in Loop: Header=BB249_201 Depth=1
	s_or_b64 exec, exec, s[22:23]
	v_cmp_gt_i16_sdwa s[14:15], v19, s29 src0_sel:BYTE_0 src1_sel:DWORD
	s_mov_b64 s[2:3], 0
                                        ; implicit-def: $sgpr24
	s_and_saveexec_b64 s[22:23], s[14:15]
	s_xor_b64 s[14:15], exec, s[22:23]
	s_cbranch_execnz .LBB249_384
; %bb.287:                              ;   in Loop: Header=BB249_201 Depth=1
	s_or_saveexec_b64 s[14:15], s[14:15]
	v_mov_b32_e32 v17, s24
	s_xor_b64 exec, exec, s[14:15]
	s_cbranch_execnz .LBB249_387
.LBB249_288:                            ;   in Loop: Header=BB249_201 Depth=1
	s_or_b64 exec, exec, s[14:15]
	v_mov_b32_e32 v6, v19
	s_and_saveexec_b64 s[14:15], s[2:3]
	s_cbranch_execz .LBB249_290
.LBB249_289:                            ;   in Loop: Header=BB249_201 Depth=1
	v_and_b32_e32 v17, 7, v19
	v_ffbh_u32_e32 v17, v17
	v_bfe_u32 v18, v19, 3, 4
	v_min_u32_e32 v17, 32, v17
	v_subrev_u32_e32 v24, 28, v17
	v_sub_u32_e32 v17, 29, v17
	v_cmp_eq_u32_e64 s[2:3], 0, v18
	s_nop 1
	v_cndmask_b32_e64 v17, v18, v17, s[2:3]
	v_cndmask_b32_e64 v18, 0, v24, s[2:3]
	v_lshlrev_b64 v[24:25], v18, v[6:7]
	v_lshlrev_b32_e32 v18, 7, v24
	v_lshlrev_b32_e32 v24, 8, v19
	v_lshl_add_u32 v17, v17, 10, v32
	v_and_or_b32 v17, v24, s31, v17
	v_and_or_b32 v17, v18, s34, v17
	v_cvt_f32_f16_e32 v17, v17
.LBB249_290:                            ;   in Loop: Header=BB249_201 Depth=1
	s_or_b64 exec, exec, s[14:15]
	v_lshrrev_b16_e32 v6, 8, v6
	v_cmp_lt_i16_e64 s[2:3], s29, v6
	s_mov_b64 s[14:15], 0
                                        ; implicit-def: $sgpr38
	s_and_saveexec_b64 s[22:23], s[2:3]
	s_xor_b64 s[22:23], exec, s[22:23]
	s_cbranch_execnz .LBB249_388
; %bb.291:                              ;   in Loop: Header=BB249_201 Depth=1
	s_or_saveexec_b64 s[22:23], s[22:23]
	v_mov_b32_e32 v18, s38
	s_xor_b64 exec, exec, s[22:23]
	s_cbranch_execnz .LBB249_391
.LBB249_292:                            ;   in Loop: Header=BB249_201 Depth=1
	s_or_b64 exec, exec, s[22:23]
	s_and_saveexec_b64 s[22:23], s[14:15]
	s_cbranch_execz .LBB249_294
.LBB249_293:                            ;   in Loop: Header=BB249_201 Depth=1
	v_and_b32_e32 v18, 7, v6
	v_ffbh_u32_e32 v24, v18
	v_min_u32_e32 v36, 32, v24
	v_subrev_u32_e32 v24, 28, v36
	v_bfe_u32 v35, v6, 3, 4
	v_lshlrev_b64 v[24:25], v24, v[6:7]
	v_sub_u32_e32 v25, 29, v36
	v_cmp_eq_u32_e64 s[2:3], 0, v35
	v_and_b32_e32 v24, 7, v24
	v_lshlrev_b32_e32 v6, 8, v6
	v_cndmask_b32_e64 v25, v35, v25, s[2:3]
	v_cndmask_b32_e64 v18, v18, v24, s[2:3]
	v_lshl_add_u32 v24, v25, 10, v32
	v_and_or_b32 v6, v6, s31, v24
	v_lshl_or_b32 v6, v18, 7, v6
	v_cvt_f32_f16_e32 v18, v6
.LBB249_294:                            ;   in Loop: Header=BB249_201 Depth=1
	s_or_b64 exec, exec, s[22:23]
	v_lshrrev_b32_e32 v6, 16, v19
	v_cmp_gt_i16_sdwa s[14:15], v6, s29 src0_sel:BYTE_0 src1_sel:DWORD
	s_mov_b64 s[2:3], 0
                                        ; implicit-def: $sgpr24
	s_and_saveexec_b64 s[22:23], s[14:15]
	s_xor_b64 s[14:15], exec, s[22:23]
	s_cbranch_execnz .LBB249_392
; %bb.295:                              ;   in Loop: Header=BB249_201 Depth=1
	s_or_saveexec_b64 s[14:15], s[14:15]
	v_mov_b32_e32 v24, s24
	s_xor_b64 exec, exec, s[14:15]
	s_cbranch_execnz .LBB249_395
.LBB249_296:                            ;   in Loop: Header=BB249_201 Depth=1
	s_or_b64 exec, exec, s[14:15]
	s_and_saveexec_b64 s[14:15], s[2:3]
	s_cbranch_execz .LBB249_298
.LBB249_297:                            ;   in Loop: Header=BB249_201 Depth=1
	v_bfe_u32 v35, v19, 16, 3
	v_ffbh_u32_e32 v24, v35
	v_min_u32_e32 v37, 32, v24
	v_subrev_u32_e32 v24, 28, v37
	v_bfe_u32 v36, v19, 19, 4
	v_lshlrev_b64 v[24:25], v24, v[6:7]
	v_sub_u32_e32 v25, 29, v37
	v_cmp_eq_u32_e64 s[2:3], 0, v36
	v_and_b32_e32 v24, 7, v24
	v_lshlrev_b32_e32 v6, 8, v6
	v_cndmask_b32_e64 v25, v36, v25, s[2:3]
	v_lshl_add_u32 v25, v25, 10, v32
	v_cndmask_b32_e64 v24, v35, v24, s[2:3]
	v_and_or_b32 v6, v6, s31, v25
	v_lshl_or_b32 v6, v24, 7, v6
	v_cvt_f32_f16_e32 v24, v6
.LBB249_298:                            ;   in Loop: Header=BB249_201 Depth=1
	s_or_b64 exec, exec, s[14:15]
	v_lshrrev_b32_e32 v6, 24, v19
	v_cmp_lt_i16_e64 s[2:3], s29, v6
	s_mov_b64 s[14:15], 0
                                        ; implicit-def: $sgpr38
	s_and_saveexec_b64 s[22:23], s[2:3]
	s_xor_b64 s[22:23], exec, s[22:23]
	s_cbranch_execnz .LBB249_396
; %bb.299:                              ;   in Loop: Header=BB249_201 Depth=1
	s_or_saveexec_b64 s[22:23], s[22:23]
	v_mov_b32_e32 v25, s38
	s_xor_b64 exec, exec, s[22:23]
	s_cbranch_execnz .LBB249_399
.LBB249_300:                            ;   in Loop: Header=BB249_201 Depth=1
	s_or_b64 exec, exec, s[22:23]
	s_and_saveexec_b64 s[22:23], s[14:15]
	s_cbranch_execz .LBB249_302
.LBB249_301:                            ;   in Loop: Header=BB249_201 Depth=1
	v_bfe_u32 v25, v19, 24, 3
	v_ffbh_u32_e32 v35, v25
	v_bfe_u32 v19, v19, 27, 4
	v_min_u32_e32 v35, 32, v35
	v_subrev_u32_e32 v36, 28, v35
	v_sub_u32_e32 v35, 29, v35
	v_cmp_eq_u32_e64 s[2:3], 0, v19
	v_lshlrev_b64 v[36:37], v36, v[6:7]
	v_and_b32_e32 v36, 7, v36
	v_cndmask_b32_e64 v19, v19, v35, s[2:3]
	v_lshlrev_b32_e32 v6, 8, v6
	v_lshl_add_u32 v19, v19, 10, v32
	v_cndmask_b32_e64 v25, v25, v36, s[2:3]
	v_and_or_b32 v6, v6, s31, v19
	v_lshl_or_b32 v6, v25, 7, v6
	v_cvt_f32_f16_e32 v25, v6
.LBB249_302:                            ;   in Loop: Header=BB249_201 Depth=1
	s_or_b64 exec, exec, s[22:23]
	s_waitcnt vmcnt(0)
	v_pk_mul_f32 v[22:23], v[16:17], v[22:23] op_sel_hi:[0,1]
	v_pk_mul_f32 v[20:21], v[16:17], v[20:21] op_sel_hi:[0,1]
	v_cvt_f16_f32_e32 v6, v23
	v_cvt_f16_f32_e32 v19, v22
	;; [unrolled: 1-line block ×4, first 2 shown]
	v_fma_mixlo_f16 v18, v16, v18, 0
	v_lshlrev_b32_e32 v18, 16, v18
	v_fma_mixlo_f16 v17, v16, v17, 0
	v_or_b32_sdwa v17, v18, v17 dst_sel:DWORD dst_unused:UNUSED_PAD src0_sel:DWORD src1_sel:WORD_0
	v_fma_mixlo_f16 v18, v16, v24, 0
	v_fma_mixlo_f16 v16, v16, v25, 0
	v_pack_b32_f16 v19, v19, v6
	v_pack_b32_f16 v20, v20, v21
	v_lshlrev_b32_e32 v16, 16, v16
	v_perm_b32 v6, v20, v19, s35
	v_perm_b32 v19, v20, v19, s36
	v_or_b32_sdwa v16, v16, v18 dst_sel:DWORD dst_unused:UNUSED_PAD src0_sel:DWORD src1_sel:WORD_0
	s_and_saveexec_b64 s[2:3], s[0:1]
	s_cbranch_execz .LBB249_199
; %bb.303:                              ;   in Loop: Header=BB249_201 Depth=1
	v_add_u32_e32 v20, 1, v30
	v_lshrrev_b32_e32 v21, 16, v19
	v_cmp_gt_i32_e64 s[0:1], s27, v20
	v_lshrrev_b32_e32 v22, 16, v6
	v_lshrrev_b32_e32 v16, 16, v16
	v_cndmask_b32_e64 v20, 0, v21, s[0:1]
	v_cmp_gt_i32_e64 s[0:1], s33, v30
	v_or_b32_e32 v21, 2, v30
	s_nop 0
	v_cndmask_b32_e64 v19, 0, v19, s[0:1]
	v_perm_b32 v19, v20, v19, s37
	v_or_b32_e32 v20, 3, v30
	v_cmp_gt_i32_e64 s[0:1], s27, v20
	s_nop 1
	v_cndmask_b32_e64 v20, 0, v22, s[0:1]
	v_cmp_gt_i32_e64 s[0:1], s33, v21
	v_or_b32_e32 v21, 4, v30
	v_lshrrev_b32_e32 v22, 16, v17
	v_cndmask_b32_e64 v6, 0, v6, s[0:1]
	v_perm_b32 v6, v20, v6, s37
	v_or_b32_e32 v20, 5, v30
	v_cmp_gt_i32_e64 s[0:1], s27, v20
	s_nop 1
	v_cndmask_b32_e64 v20, 0, v22, s[0:1]
	v_cmp_gt_i32_e64 s[0:1], s33, v21
	v_or_b32_e32 v21, 6, v30
	s_nop 0
	v_cndmask_b32_e64 v17, 0, v17, s[0:1]
	v_perm_b32 v17, v20, v17, s37
	v_or_b32_e32 v20, 7, v30
	v_cmp_gt_i32_e64 s[0:1], s27, v20
	s_nop 1
	v_cndmask_b32_e64 v16, 0, v16, s[0:1]
	v_cmp_gt_i32_e64 s[0:1], s33, v21
	s_nop 1
	v_cndmask_b32_e64 v18, 0, v18, s[0:1]
	v_perm_b32 v16, v16, v18, s37
	s_branch .LBB249_199
.LBB249_304:                            ;   in Loop: Header=BB249_201 Depth=1
	v_cmp_eq_u16_sdwa s[22:23], v22, s30 src0_sel:BYTE_0 src1_sel:DWORD
	s_mov_b64 s[0:1], -1
                                        ; implicit-def: $sgpr14
	s_and_saveexec_b64 s[12:13], s[22:23]
; %bb.305:                              ;   in Loop: Header=BB249_201 Depth=1
	s_mov_b32 s14, 0x7fc02000
	s_xor_b64 s[0:1], exec, -1
; %bb.306:                              ;   in Loop: Header=BB249_201 Depth=1
	s_or_b64 exec, exec, s[12:13]
	s_and_b64 s[0:1], s[0:1], exec
	s_or_saveexec_b64 s[2:3], s[2:3]
	v_mov_b32_e32 v24, s14
	s_xor_b64 exec, exec, s[2:3]
	s_cbranch_execz .LBB249_203
.LBB249_307:                            ;   in Loop: Header=BB249_201 Depth=1
	v_cmp_ne_u16_sdwa s[12:13], v22, v7 src0_sel:BYTE_0 src1_sel:DWORD
	s_andn2_b64 s[0:1], s[0:1], exec
	s_and_b64 s[12:13], s[12:13], exec
	v_mov_b32_e32 v24, 0
	s_or_b64 s[0:1], s[0:1], s[12:13]
	s_or_b64 exec, exec, s[2:3]
	s_and_saveexec_b64 s[2:3], s[0:1]
	s_cbranch_execnz .LBB249_204
	s_branch .LBB249_205
.LBB249_308:                            ;   in Loop: Header=BB249_201 Depth=1
	v_cmp_eq_u16_e64 s[0:1], s30, v6
	s_mov_b64 s[2:3], -1
                                        ; implicit-def: $sgpr22
	s_and_saveexec_b64 s[14:15], s[0:1]
; %bb.309:                              ;   in Loop: Header=BB249_201 Depth=1
	s_mov_b32 s22, 0x7fc02000
	s_xor_b64 s[2:3], exec, -1
; %bb.310:                              ;   in Loop: Header=BB249_201 Depth=1
	s_or_b64 exec, exec, s[14:15]
	s_and_b64 s[2:3], s[2:3], exec
	s_or_saveexec_b64 s[12:13], s[12:13]
	v_mov_b32_e32 v26, s22
	s_xor_b64 exec, exec, s[12:13]
	s_cbranch_execz .LBB249_207
.LBB249_311:                            ;   in Loop: Header=BB249_201 Depth=1
	v_cmp_ne_u16_e64 s[0:1], 0, v6
	s_andn2_b64 s[2:3], s[2:3], exec
	s_and_b64 s[0:1], s[0:1], exec
	v_mov_b32_e32 v26, 0
	s_or_b64 s[2:3], s[2:3], s[0:1]
	s_or_b64 exec, exec, s[12:13]
	s_and_saveexec_b64 s[12:13], s[2:3]
	s_cbranch_execnz .LBB249_208
	s_branch .LBB249_209
.LBB249_312:                            ;   in Loop: Header=BB249_201 Depth=1
	v_cmp_eq_u16_sdwa s[22:23], v6, s30 src0_sel:BYTE_0 src1_sel:DWORD
	s_mov_b64 s[0:1], -1
                                        ; implicit-def: $sgpr14
	s_and_saveexec_b64 s[12:13], s[22:23]
; %bb.313:                              ;   in Loop: Header=BB249_201 Depth=1
	s_mov_b32 s14, 0x7fc02000
	s_xor_b64 s[0:1], exec, -1
; %bb.314:                              ;   in Loop: Header=BB249_201 Depth=1
	s_or_b64 exec, exec, s[12:13]
	s_and_b64 s[0:1], s[0:1], exec
	s_or_saveexec_b64 s[2:3], s[2:3]
	v_mov_b32_e32 v25, s14
	s_xor_b64 exec, exec, s[2:3]
	s_cbranch_execz .LBB249_211
.LBB249_315:                            ;   in Loop: Header=BB249_201 Depth=1
	v_cmp_ne_u16_sdwa s[12:13], v6, v7 src0_sel:BYTE_0 src1_sel:DWORD
	s_andn2_b64 s[0:1], s[0:1], exec
	s_and_b64 s[12:13], s[12:13], exec
	v_mov_b32_e32 v25, 0
	s_or_b64 s[0:1], s[0:1], s[12:13]
	s_or_b64 exec, exec, s[2:3]
	s_and_saveexec_b64 s[2:3], s[0:1]
	s_cbranch_execnz .LBB249_212
	s_branch .LBB249_213
.LBB249_316:                            ;   in Loop: Header=BB249_201 Depth=1
	v_cmp_eq_u16_e64 s[0:1], s30, v6
	s_mov_b64 s[2:3], -1
                                        ; implicit-def: $sgpr22
	s_and_saveexec_b64 s[14:15], s[0:1]
; %bb.317:                              ;   in Loop: Header=BB249_201 Depth=1
	s_mov_b32 s22, 0x7fc02000
	s_xor_b64 s[2:3], exec, -1
; %bb.318:                              ;   in Loop: Header=BB249_201 Depth=1
	s_or_b64 exec, exec, s[14:15]
	s_and_b64 s[2:3], s[2:3], exec
	s_or_saveexec_b64 s[12:13], s[12:13]
	v_mov_b32_e32 v27, s22
	s_xor_b64 exec, exec, s[12:13]
	s_cbranch_execz .LBB249_215
.LBB249_319:                            ;   in Loop: Header=BB249_201 Depth=1
	v_cmp_ne_u16_e64 s[0:1], 0, v6
	s_andn2_b64 s[2:3], s[2:3], exec
	s_and_b64 s[0:1], s[0:1], exec
	v_mov_b32_e32 v27, 0
	s_or_b64 s[2:3], s[2:3], s[0:1]
	s_or_b64 exec, exec, s[12:13]
	s_and_saveexec_b64 s[12:13], s[2:3]
	s_cbranch_execnz .LBB249_216
	s_branch .LBB249_217
.LBB249_320:                            ;   in Loop: Header=BB249_201 Depth=1
	v_cmp_eq_u16_sdwa s[22:23], v23, s30 src0_sel:BYTE_0 src1_sel:DWORD
	s_mov_b64 s[0:1], -1
                                        ; implicit-def: $sgpr14
	s_and_saveexec_b64 s[12:13], s[22:23]
; %bb.321:                              ;   in Loop: Header=BB249_201 Depth=1
	s_mov_b32 s14, 0x7fc02000
	s_xor_b64 s[0:1], exec, -1
; %bb.322:                              ;   in Loop: Header=BB249_201 Depth=1
	s_or_b64 exec, exec, s[12:13]
	s_and_b64 s[0:1], s[0:1], exec
	s_or_saveexec_b64 s[2:3], s[2:3]
	v_mov_b32_e32 v22, s14
	s_xor_b64 exec, exec, s[2:3]
	s_cbranch_execz .LBB249_219
.LBB249_323:                            ;   in Loop: Header=BB249_201 Depth=1
	v_cmp_ne_u16_sdwa s[12:13], v23, v7 src0_sel:BYTE_0 src1_sel:DWORD
	s_andn2_b64 s[0:1], s[0:1], exec
	s_and_b64 s[12:13], s[12:13], exec
	v_mov_b32_e32 v22, 0
	s_or_b64 s[0:1], s[0:1], s[12:13]
	s_or_b64 exec, exec, s[2:3]
	v_mov_b32_e32 v6, v23
	s_and_saveexec_b64 s[2:3], s[0:1]
	s_cbranch_execnz .LBB249_220
	s_branch .LBB249_221
.LBB249_324:                            ;   in Loop: Header=BB249_201 Depth=1
	v_cmp_eq_u16_e64 s[0:1], s30, v6
	s_mov_b64 s[2:3], -1
                                        ; implicit-def: $sgpr22
	s_and_saveexec_b64 s[14:15], s[0:1]
; %bb.325:                              ;   in Loop: Header=BB249_201 Depth=1
	s_mov_b32 s22, 0x7fc02000
	s_xor_b64 s[2:3], exec, -1
; %bb.326:                              ;   in Loop: Header=BB249_201 Depth=1
	s_or_b64 exec, exec, s[14:15]
	s_and_b64 s[2:3], s[2:3], exec
	s_or_saveexec_b64 s[12:13], s[12:13]
	v_mov_b32_e32 v34, s22
	s_xor_b64 exec, exec, s[12:13]
	s_cbranch_execz .LBB249_223
.LBB249_327:                            ;   in Loop: Header=BB249_201 Depth=1
	v_cmp_ne_u16_e64 s[0:1], 0, v6
	s_andn2_b64 s[2:3], s[2:3], exec
	s_and_b64 s[0:1], s[0:1], exec
	v_mov_b32_e32 v34, 0
	s_or_b64 s[2:3], s[2:3], s[0:1]
	s_or_b64 exec, exec, s[12:13]
	s_and_saveexec_b64 s[12:13], s[2:3]
	s_cbranch_execnz .LBB249_224
	s_branch .LBB249_225
.LBB249_328:                            ;   in Loop: Header=BB249_201 Depth=1
	v_cmp_eq_u16_sdwa s[22:23], v6, s30 src0_sel:BYTE_0 src1_sel:DWORD
	s_mov_b64 s[0:1], -1
                                        ; implicit-def: $sgpr14
	s_and_saveexec_b64 s[12:13], s[22:23]
; %bb.329:                              ;   in Loop: Header=BB249_201 Depth=1
	s_mov_b32 s14, 0x7fc02000
	s_xor_b64 s[0:1], exec, -1
; %bb.330:                              ;   in Loop: Header=BB249_201 Depth=1
	s_or_b64 exec, exec, s[12:13]
	s_and_b64 s[0:1], s[0:1], exec
	s_or_saveexec_b64 s[2:3], s[2:3]
	v_mov_b32_e32 v41, s14
	s_xor_b64 exec, exec, s[2:3]
	s_cbranch_execz .LBB249_227
.LBB249_331:                            ;   in Loop: Header=BB249_201 Depth=1
	v_cmp_ne_u16_sdwa s[12:13], v6, v7 src0_sel:BYTE_0 src1_sel:DWORD
	s_andn2_b64 s[0:1], s[0:1], exec
	s_and_b64 s[12:13], s[12:13], exec
	v_mov_b32_e32 v41, 0
	s_or_b64 s[0:1], s[0:1], s[12:13]
	s_or_b64 exec, exec, s[2:3]
	s_and_saveexec_b64 s[2:3], s[0:1]
	s_cbranch_execnz .LBB249_228
	s_branch .LBB249_229
.LBB249_332:                            ;   in Loop: Header=BB249_201 Depth=1
	v_cmp_eq_u16_e64 s[0:1], s30, v6
	s_mov_b64 s[2:3], -1
                                        ; implicit-def: $sgpr22
	s_and_saveexec_b64 s[14:15], s[0:1]
; %bb.333:                              ;   in Loop: Header=BB249_201 Depth=1
	s_mov_b32 s22, 0x7fc02000
	s_xor_b64 s[2:3], exec, -1
; %bb.334:                              ;   in Loop: Header=BB249_201 Depth=1
	s_or_b64 exec, exec, s[14:15]
	s_and_b64 s[2:3], s[2:3], exec
	s_or_saveexec_b64 s[12:13], s[12:13]
	v_mov_b32_e32 v42, s22
	s_xor_b64 exec, exec, s[12:13]
	s_cbranch_execz .LBB249_231
.LBB249_335:                            ;   in Loop: Header=BB249_201 Depth=1
	v_cmp_ne_u16_e64 s[0:1], 0, v6
	s_andn2_b64 s[2:3], s[2:3], exec
	s_and_b64 s[0:1], s[0:1], exec
	v_mov_b32_e32 v42, 0
	s_or_b64 s[2:3], s[2:3], s[0:1]
	s_or_b64 exec, exec, s[12:13]
	s_and_saveexec_b64 s[12:13], s[2:3]
	s_cbranch_execnz .LBB249_232
	s_branch .LBB249_233
.LBB249_336:                            ;   in Loop: Header=BB249_201 Depth=1
	v_cmp_eq_u16_sdwa s[24:25], v22, s30 src0_sel:BYTE_0 src1_sel:DWORD
	s_mov_b64 s[2:3], -1
                                        ; implicit-def: $sgpr22
	s_and_saveexec_b64 s[14:15], s[24:25]
; %bb.337:                              ;   in Loop: Header=BB249_201 Depth=1
	s_mov_b32 s22, 0x7fc02000
	s_xor_b64 s[2:3], exec, -1
; %bb.338:                              ;   in Loop: Header=BB249_201 Depth=1
	s_or_b64 exec, exec, s[14:15]
	s_and_b64 s[2:3], s[2:3], exec
	s_or_saveexec_b64 s[12:13], s[12:13]
	v_mov_b32_e32 v18, s22
	s_xor_b64 exec, exec, s[12:13]
	s_cbranch_execz .LBB249_237
.LBB249_339:                            ;   in Loop: Header=BB249_201 Depth=1
	v_cmp_ne_u16_sdwa s[14:15], v22, v7 src0_sel:BYTE_0 src1_sel:DWORD
	s_andn2_b64 s[2:3], s[2:3], exec
	s_and_b64 s[14:15], s[14:15], exec
	v_mov_b32_e32 v18, 0
	s_or_b64 s[2:3], s[2:3], s[14:15]
	s_or_b64 exec, exec, s[12:13]
	s_and_saveexec_b64 s[12:13], s[2:3]
	s_cbranch_execnz .LBB249_238
	s_branch .LBB249_239
.LBB249_340:                            ;   in Loop: Header=BB249_201 Depth=1
	v_cmp_eq_u16_e64 s[2:3], s30, v6
	s_mov_b64 s[12:13], -1
                                        ; implicit-def: $sgpr24
	s_and_saveexec_b64 s[22:23], s[2:3]
; %bb.341:                              ;   in Loop: Header=BB249_201 Depth=1
	s_mov_b32 s24, 0x7fc02000
	s_xor_b64 s[12:13], exec, -1
; %bb.342:                              ;   in Loop: Header=BB249_201 Depth=1
	s_or_b64 exec, exec, s[22:23]
	s_and_b64 s[12:13], s[12:13], exec
	s_or_saveexec_b64 s[14:15], s[14:15]
	v_mov_b32_e32 v24, s24
	s_xor_b64 exec, exec, s[14:15]
	s_cbranch_execz .LBB249_241
.LBB249_343:                            ;   in Loop: Header=BB249_201 Depth=1
	v_cmp_ne_u16_e64 s[2:3], 0, v6
	s_andn2_b64 s[12:13], s[12:13], exec
	s_and_b64 s[2:3], s[2:3], exec
	v_mov_b32_e32 v24, 0
	s_or_b64 s[12:13], s[12:13], s[2:3]
	s_or_b64 exec, exec, s[14:15]
	s_and_saveexec_b64 s[14:15], s[12:13]
	s_cbranch_execnz .LBB249_242
	s_branch .LBB249_243
.LBB249_344:                            ;   in Loop: Header=BB249_201 Depth=1
	v_cmp_eq_u16_sdwa s[24:25], v6, s30 src0_sel:BYTE_0 src1_sel:DWORD
	s_mov_b64 s[2:3], -1
                                        ; implicit-def: $sgpr22
	s_and_saveexec_b64 s[14:15], s[24:25]
; %bb.345:                              ;   in Loop: Header=BB249_201 Depth=1
	s_mov_b32 s22, 0x7fc02000
	s_xor_b64 s[2:3], exec, -1
; %bb.346:                              ;   in Loop: Header=BB249_201 Depth=1
	s_or_b64 exec, exec, s[14:15]
	s_and_b64 s[2:3], s[2:3], exec
	s_or_saveexec_b64 s[12:13], s[12:13]
	v_mov_b32_e32 v19, s22
	s_xor_b64 exec, exec, s[12:13]
	s_cbranch_execz .LBB249_245
.LBB249_347:                            ;   in Loop: Header=BB249_201 Depth=1
	v_cmp_ne_u16_sdwa s[14:15], v6, v7 src0_sel:BYTE_0 src1_sel:DWORD
	s_andn2_b64 s[2:3], s[2:3], exec
	s_and_b64 s[14:15], s[14:15], exec
	v_mov_b32_e32 v19, 0
	s_or_b64 s[2:3], s[2:3], s[14:15]
	s_or_b64 exec, exec, s[12:13]
	s_and_saveexec_b64 s[12:13], s[2:3]
	s_cbranch_execnz .LBB249_246
	s_branch .LBB249_247
.LBB249_348:                            ;   in Loop: Header=BB249_201 Depth=1
	v_cmp_eq_u16_e64 s[2:3], s30, v6
	s_mov_b64 s[12:13], -1
                                        ; implicit-def: $sgpr24
	s_and_saveexec_b64 s[22:23], s[2:3]
; %bb.349:                              ;   in Loop: Header=BB249_201 Depth=1
	s_mov_b32 s24, 0x7fc02000
	s_xor_b64 s[12:13], exec, -1
; %bb.350:                              ;   in Loop: Header=BB249_201 Depth=1
	s_or_b64 exec, exec, s[22:23]
	s_and_b64 s[12:13], s[12:13], exec
	s_or_saveexec_b64 s[14:15], s[14:15]
	v_mov_b32_e32 v25, s24
	s_xor_b64 exec, exec, s[14:15]
	s_cbranch_execz .LBB249_249
.LBB249_351:                            ;   in Loop: Header=BB249_201 Depth=1
	v_cmp_ne_u16_e64 s[2:3], 0, v6
	s_andn2_b64 s[12:13], s[12:13], exec
	s_and_b64 s[2:3], s[2:3], exec
	v_mov_b32_e32 v25, 0
	s_or_b64 s[12:13], s[12:13], s[2:3]
	s_or_b64 exec, exec, s[14:15]
	s_and_saveexec_b64 s[14:15], s[12:13]
	s_cbranch_execnz .LBB249_250
	s_branch .LBB249_251
.LBB249_352:                            ;   in Loop: Header=BB249_201 Depth=1
	v_cmp_eq_u16_sdwa s[24:25], v23, s30 src0_sel:BYTE_0 src1_sel:DWORD
	s_mov_b64 s[2:3], -1
                                        ; implicit-def: $sgpr22
	s_and_saveexec_b64 s[14:15], s[24:25]
; %bb.353:                              ;   in Loop: Header=BB249_201 Depth=1
	s_mov_b32 s22, 0x7fc02000
	s_xor_b64 s[2:3], exec, -1
; %bb.354:                              ;   in Loop: Header=BB249_201 Depth=1
	s_or_b64 exec, exec, s[14:15]
	s_and_b64 s[2:3], s[2:3], exec
	s_or_saveexec_b64 s[12:13], s[12:13]
	v_mov_b32_e32 v22, s22
	s_xor_b64 exec, exec, s[12:13]
	s_cbranch_execz .LBB249_253
.LBB249_355:                            ;   in Loop: Header=BB249_201 Depth=1
	v_cmp_ne_u16_sdwa s[14:15], v23, v7 src0_sel:BYTE_0 src1_sel:DWORD
	s_andn2_b64 s[2:3], s[2:3], exec
	s_and_b64 s[14:15], s[14:15], exec
	v_mov_b32_e32 v22, 0
	s_or_b64 s[2:3], s[2:3], s[14:15]
	s_or_b64 exec, exec, s[12:13]
	v_mov_b32_e32 v6, v23
	s_and_saveexec_b64 s[12:13], s[2:3]
	s_cbranch_execnz .LBB249_254
	s_branch .LBB249_255
.LBB249_356:                            ;   in Loop: Header=BB249_201 Depth=1
	v_cmp_eq_u16_e64 s[2:3], s30, v6
	s_mov_b64 s[12:13], -1
                                        ; implicit-def: $sgpr24
	s_and_saveexec_b64 s[22:23], s[2:3]
; %bb.357:                              ;   in Loop: Header=BB249_201 Depth=1
	s_mov_b32 s24, 0x7fc02000
	s_xor_b64 s[12:13], exec, -1
; %bb.358:                              ;   in Loop: Header=BB249_201 Depth=1
	s_or_b64 exec, exec, s[22:23]
	s_and_b64 s[12:13], s[12:13], exec
	s_or_saveexec_b64 s[14:15], s[14:15]
	v_mov_b32_e32 v36, s24
	s_xor_b64 exec, exec, s[14:15]
	s_cbranch_execz .LBB249_257
.LBB249_359:                            ;   in Loop: Header=BB249_201 Depth=1
	v_cmp_ne_u16_e64 s[2:3], 0, v6
	s_andn2_b64 s[12:13], s[12:13], exec
	s_and_b64 s[2:3], s[2:3], exec
	v_mov_b32_e32 v36, 0
	s_or_b64 s[12:13], s[12:13], s[2:3]
	s_or_b64 exec, exec, s[14:15]
	s_and_saveexec_b64 s[14:15], s[12:13]
	s_cbranch_execnz .LBB249_258
	s_branch .LBB249_259
.LBB249_360:                            ;   in Loop: Header=BB249_201 Depth=1
	v_cmp_eq_u16_sdwa s[24:25], v6, s30 src0_sel:BYTE_0 src1_sel:DWORD
	s_mov_b64 s[2:3], -1
                                        ; implicit-def: $sgpr22
	s_and_saveexec_b64 s[14:15], s[24:25]
; %bb.361:                              ;   in Loop: Header=BB249_201 Depth=1
	s_mov_b32 s22, 0x7fc02000
	s_xor_b64 s[2:3], exec, -1
; %bb.362:                              ;   in Loop: Header=BB249_201 Depth=1
	s_or_b64 exec, exec, s[14:15]
	s_and_b64 s[2:3], s[2:3], exec
	s_or_saveexec_b64 s[12:13], s[12:13]
	v_mov_b32_e32 v37, s22
	s_xor_b64 exec, exec, s[12:13]
	s_cbranch_execz .LBB249_261
.LBB249_363:                            ;   in Loop: Header=BB249_201 Depth=1
	v_cmp_ne_u16_sdwa s[14:15], v6, v7 src0_sel:BYTE_0 src1_sel:DWORD
	s_andn2_b64 s[2:3], s[2:3], exec
	s_and_b64 s[14:15], s[14:15], exec
	v_mov_b32_e32 v37, 0
	s_or_b64 s[2:3], s[2:3], s[14:15]
	s_or_b64 exec, exec, s[12:13]
	s_and_saveexec_b64 s[12:13], s[2:3]
	s_cbranch_execnz .LBB249_262
	s_branch .LBB249_263
.LBB249_364:                            ;   in Loop: Header=BB249_201 Depth=1
	v_cmp_eq_u16_e64 s[2:3], s30, v6
	s_mov_b64 s[12:13], -1
                                        ; implicit-def: $sgpr24
	s_and_saveexec_b64 s[22:23], s[2:3]
; %bb.365:                              ;   in Loop: Header=BB249_201 Depth=1
	s_mov_b32 s24, 0x7fc02000
	s_xor_b64 s[12:13], exec, -1
; %bb.366:                              ;   in Loop: Header=BB249_201 Depth=1
	s_or_b64 exec, exec, s[22:23]
	s_and_b64 s[12:13], s[12:13], exec
	s_or_saveexec_b64 s[14:15], s[14:15]
	v_mov_b32_e32 v38, s24
	s_xor_b64 exec, exec, s[14:15]
	s_cbranch_execz .LBB249_265
.LBB249_367:                            ;   in Loop: Header=BB249_201 Depth=1
	v_cmp_ne_u16_e64 s[2:3], 0, v6
	s_andn2_b64 s[12:13], s[12:13], exec
	s_and_b64 s[2:3], s[2:3], exec
	v_mov_b32_e32 v38, 0
	s_or_b64 s[12:13], s[12:13], s[2:3]
	s_or_b64 exec, exec, s[14:15]
	s_and_saveexec_b64 s[14:15], s[12:13]
	s_cbranch_execnz .LBB249_266
	s_branch .LBB249_267
.LBB249_368:                            ;   in Loop: Header=BB249_201 Depth=1
	v_cmp_eq_u16_sdwa s[38:39], v18, s30 src0_sel:BYTE_0 src1_sel:DWORD
	s_mov_b64 s[2:3], -1
                                        ; implicit-def: $sgpr24
	s_and_saveexec_b64 s[22:23], s[38:39]
; %bb.369:                              ;   in Loop: Header=BB249_201 Depth=1
	s_mov_b32 s24, 0x7fc02000
	s_xor_b64 s[2:3], exec, -1
; %bb.370:                              ;   in Loop: Header=BB249_201 Depth=1
	s_or_b64 exec, exec, s[22:23]
	s_and_b64 s[2:3], s[2:3], exec
	s_or_saveexec_b64 s[14:15], s[14:15]
	v_mov_b32_e32 v20, s24
	s_xor_b64 exec, exec, s[14:15]
	s_cbranch_execz .LBB249_272
.LBB249_371:                            ;   in Loop: Header=BB249_201 Depth=1
	v_cmp_ne_u16_sdwa s[22:23], v18, v7 src0_sel:BYTE_0 src1_sel:DWORD
	s_andn2_b64 s[2:3], s[2:3], exec
	s_and_b64 s[22:23], s[22:23], exec
	v_mov_b32_e32 v20, 0
	s_or_b64 s[2:3], s[2:3], s[22:23]
	s_or_b64 exec, exec, s[14:15]
	s_and_saveexec_b64 s[14:15], s[2:3]
	s_cbranch_execnz .LBB249_273
	s_branch .LBB249_274
.LBB249_372:                            ;   in Loop: Header=BB249_201 Depth=1
	v_cmp_eq_u16_e64 s[2:3], s30, v6
	s_mov_b64 s[14:15], -1
                                        ; implicit-def: $sgpr38
	s_and_saveexec_b64 s[24:25], s[2:3]
; %bb.373:                              ;   in Loop: Header=BB249_201 Depth=1
	s_mov_b32 s38, 0x7fc02000
	s_xor_b64 s[14:15], exec, -1
; %bb.374:                              ;   in Loop: Header=BB249_201 Depth=1
	s_or_b64 exec, exec, s[24:25]
	s_and_b64 s[14:15], s[14:15], exec
	s_or_saveexec_b64 s[22:23], s[22:23]
	v_mov_b32_e32 v22, s38
	s_xor_b64 exec, exec, s[22:23]
	s_cbranch_execz .LBB249_276
.LBB249_375:                            ;   in Loop: Header=BB249_201 Depth=1
	v_cmp_ne_u16_e64 s[2:3], 0, v6
	s_andn2_b64 s[14:15], s[14:15], exec
	s_and_b64 s[2:3], s[2:3], exec
	v_mov_b32_e32 v22, 0
	s_or_b64 s[14:15], s[14:15], s[2:3]
	s_or_b64 exec, exec, s[22:23]
	s_and_saveexec_b64 s[22:23], s[14:15]
	s_cbranch_execnz .LBB249_277
	s_branch .LBB249_278
.LBB249_376:                            ;   in Loop: Header=BB249_201 Depth=1
	v_cmp_eq_u16_sdwa s[38:39], v6, s30 src0_sel:BYTE_0 src1_sel:DWORD
	s_mov_b64 s[2:3], -1
                                        ; implicit-def: $sgpr24
	s_and_saveexec_b64 s[22:23], s[38:39]
; %bb.377:                              ;   in Loop: Header=BB249_201 Depth=1
	s_mov_b32 s24, 0x7fc02000
	s_xor_b64 s[2:3], exec, -1
; %bb.378:                              ;   in Loop: Header=BB249_201 Depth=1
	s_or_b64 exec, exec, s[22:23]
	s_and_b64 s[2:3], s[2:3], exec
	s_or_saveexec_b64 s[14:15], s[14:15]
	v_mov_b32_e32 v21, s24
	s_xor_b64 exec, exec, s[14:15]
	s_cbranch_execz .LBB249_280
.LBB249_379:                            ;   in Loop: Header=BB249_201 Depth=1
	v_cmp_ne_u16_sdwa s[22:23], v6, v7 src0_sel:BYTE_0 src1_sel:DWORD
	s_andn2_b64 s[2:3], s[2:3], exec
	s_and_b64 s[22:23], s[22:23], exec
	v_mov_b32_e32 v21, 0
	s_or_b64 s[2:3], s[2:3], s[22:23]
	s_or_b64 exec, exec, s[14:15]
	s_and_saveexec_b64 s[14:15], s[2:3]
	s_cbranch_execnz .LBB249_281
	s_branch .LBB249_282
.LBB249_380:                            ;   in Loop: Header=BB249_201 Depth=1
	v_cmp_eq_u16_e64 s[2:3], s30, v6
	s_mov_b64 s[14:15], -1
                                        ; implicit-def: $sgpr38
	s_and_saveexec_b64 s[24:25], s[2:3]
; %bb.381:                              ;   in Loop: Header=BB249_201 Depth=1
	s_mov_b32 s38, 0x7fc02000
	s_xor_b64 s[14:15], exec, -1
; %bb.382:                              ;   in Loop: Header=BB249_201 Depth=1
	s_or_b64 exec, exec, s[24:25]
	s_and_b64 s[14:15], s[14:15], exec
	s_or_saveexec_b64 s[22:23], s[22:23]
	v_mov_b32_e32 v23, s38
	s_xor_b64 exec, exec, s[22:23]
	s_cbranch_execz .LBB249_284
.LBB249_383:                            ;   in Loop: Header=BB249_201 Depth=1
	v_cmp_ne_u16_e64 s[2:3], 0, v6
	s_andn2_b64 s[14:15], s[14:15], exec
	s_and_b64 s[2:3], s[2:3], exec
	v_mov_b32_e32 v23, 0
	s_or_b64 s[14:15], s[14:15], s[2:3]
	s_or_b64 exec, exec, s[22:23]
	s_and_saveexec_b64 s[22:23], s[14:15]
	s_cbranch_execnz .LBB249_285
	s_branch .LBB249_286
.LBB249_384:                            ;   in Loop: Header=BB249_201 Depth=1
	v_cmp_eq_u16_sdwa s[38:39], v19, s30 src0_sel:BYTE_0 src1_sel:DWORD
	s_mov_b64 s[2:3], -1
                                        ; implicit-def: $sgpr24
	s_and_saveexec_b64 s[22:23], s[38:39]
; %bb.385:                              ;   in Loop: Header=BB249_201 Depth=1
	s_mov_b32 s24, 0x7fc02000
	s_xor_b64 s[2:3], exec, -1
; %bb.386:                              ;   in Loop: Header=BB249_201 Depth=1
	s_or_b64 exec, exec, s[22:23]
	s_and_b64 s[2:3], s[2:3], exec
	s_or_saveexec_b64 s[14:15], s[14:15]
	v_mov_b32_e32 v17, s24
	s_xor_b64 exec, exec, s[14:15]
	s_cbranch_execz .LBB249_288
.LBB249_387:                            ;   in Loop: Header=BB249_201 Depth=1
	v_cmp_ne_u16_sdwa s[22:23], v19, v7 src0_sel:BYTE_0 src1_sel:DWORD
	s_andn2_b64 s[2:3], s[2:3], exec
	s_and_b64 s[22:23], s[22:23], exec
	v_mov_b32_e32 v17, 0
	s_or_b64 s[2:3], s[2:3], s[22:23]
	s_or_b64 exec, exec, s[14:15]
	v_mov_b32_e32 v6, v19
	s_and_saveexec_b64 s[14:15], s[2:3]
	s_cbranch_execnz .LBB249_289
	s_branch .LBB249_290
.LBB249_388:                            ;   in Loop: Header=BB249_201 Depth=1
	v_cmp_eq_u16_e64 s[2:3], s30, v6
	s_mov_b64 s[14:15], -1
                                        ; implicit-def: $sgpr38
	s_and_saveexec_b64 s[24:25], s[2:3]
; %bb.389:                              ;   in Loop: Header=BB249_201 Depth=1
	s_mov_b32 s38, 0x7fc02000
	s_xor_b64 s[14:15], exec, -1
; %bb.390:                              ;   in Loop: Header=BB249_201 Depth=1
	s_or_b64 exec, exec, s[24:25]
	s_and_b64 s[14:15], s[14:15], exec
	s_or_saveexec_b64 s[22:23], s[22:23]
	v_mov_b32_e32 v18, s38
	s_xor_b64 exec, exec, s[22:23]
	s_cbranch_execz .LBB249_292
.LBB249_391:                            ;   in Loop: Header=BB249_201 Depth=1
	v_cmp_ne_u16_e64 s[2:3], 0, v6
	s_andn2_b64 s[14:15], s[14:15], exec
	s_and_b64 s[2:3], s[2:3], exec
	v_mov_b32_e32 v18, 0
	s_or_b64 s[14:15], s[14:15], s[2:3]
	s_or_b64 exec, exec, s[22:23]
	s_and_saveexec_b64 s[22:23], s[14:15]
	s_cbranch_execnz .LBB249_293
	s_branch .LBB249_294
.LBB249_392:                            ;   in Loop: Header=BB249_201 Depth=1
	v_cmp_eq_u16_sdwa s[38:39], v6, s30 src0_sel:BYTE_0 src1_sel:DWORD
	s_mov_b64 s[2:3], -1
                                        ; implicit-def: $sgpr24
	s_and_saveexec_b64 s[22:23], s[38:39]
; %bb.393:                              ;   in Loop: Header=BB249_201 Depth=1
	s_mov_b32 s24, 0x7fc02000
	s_xor_b64 s[2:3], exec, -1
; %bb.394:                              ;   in Loop: Header=BB249_201 Depth=1
	s_or_b64 exec, exec, s[22:23]
	s_and_b64 s[2:3], s[2:3], exec
	s_or_saveexec_b64 s[14:15], s[14:15]
	v_mov_b32_e32 v24, s24
	s_xor_b64 exec, exec, s[14:15]
	s_cbranch_execz .LBB249_296
.LBB249_395:                            ;   in Loop: Header=BB249_201 Depth=1
	v_cmp_ne_u16_sdwa s[22:23], v6, v7 src0_sel:BYTE_0 src1_sel:DWORD
	s_andn2_b64 s[2:3], s[2:3], exec
	s_and_b64 s[22:23], s[22:23], exec
	v_mov_b32_e32 v24, 0
	s_or_b64 s[2:3], s[2:3], s[22:23]
	s_or_b64 exec, exec, s[14:15]
	s_and_saveexec_b64 s[14:15], s[2:3]
	s_cbranch_execnz .LBB249_297
	s_branch .LBB249_298
.LBB249_396:                            ;   in Loop: Header=BB249_201 Depth=1
	v_cmp_eq_u16_e64 s[2:3], s30, v6
	s_mov_b64 s[14:15], -1
                                        ; implicit-def: $sgpr38
	s_and_saveexec_b64 s[24:25], s[2:3]
; %bb.397:                              ;   in Loop: Header=BB249_201 Depth=1
	s_mov_b32 s38, 0x7fc02000
	s_xor_b64 s[14:15], exec, -1
; %bb.398:                              ;   in Loop: Header=BB249_201 Depth=1
	s_or_b64 exec, exec, s[24:25]
	s_and_b64 s[14:15], s[14:15], exec
	s_or_saveexec_b64 s[22:23], s[22:23]
	v_mov_b32_e32 v25, s38
	s_xor_b64 exec, exec, s[22:23]
	s_cbranch_execz .LBB249_300
.LBB249_399:                            ;   in Loop: Header=BB249_201 Depth=1
	v_cmp_ne_u16_e64 s[2:3], 0, v6
	s_andn2_b64 s[14:15], s[14:15], exec
	s_and_b64 s[2:3], s[2:3], exec
	v_mov_b32_e32 v25, 0
	s_or_b64 s[14:15], s[14:15], s[2:3]
	s_or_b64 exec, exec, s[22:23]
	s_and_saveexec_b64 s[22:23], s[14:15]
	s_cbranch_execnz .LBB249_301
	s_branch .LBB249_302
.LBB249_400:
	s_or_b64 exec, exec, s[6:7]
.LBB249_401:
	s_or_b64 exec, exec, s[8:9]
	ds_bpermute_b32 v1, v28, v2
	ds_bpermute_b32 v4, v28, v10
	;; [unrolled: 1-line block ×3, first 2 shown]
	s_waitcnt lgkmcnt(0)
	s_barrier
	v_add_f32_e32 v1, v2, v1
	v_and_b32_e32 v2, 0x3c0, v0
	v_pk_add_f32 v[4:5], v[10:11], v[4:5]
	v_cmp_eq_u32_e32 vcc, 64, v2
	s_and_saveexec_b64 s[2:3], vcc
	s_cbranch_execz .LBB249_406
; %bb.402:
	v_cmp_eq_u32_e32 vcc, 0, v3
	s_and_saveexec_b64 s[0:1], vcc
	s_cbranch_execz .LBB249_404
; %bb.403:
	v_mov_b32_e32 v2, 0xb0
	v_lshl_add_u32 v2, v29, 2, v2
	ds_write2_b32 v2, v4, v5 offset1:32
.LBB249_404:
	s_or_b64 exec, exec, s[0:1]
	v_or_b32_e32 v2, 64, v29
	s_movk_i32 s0, 0x50
	v_cmp_gt_u32_e64 s[0:1], s0, v2
	s_and_b64 s[0:1], vcc, s[0:1]
	s_and_b64 exec, exec, s[0:1]
	s_cbranch_execz .LBB249_406
; %bb.405:
	v_mov_b32_e32 v2, 0xb0
	v_lshl_add_u32 v2, v29, 2, v2
	ds_write_b32 v2, v1 offset:256
.LBB249_406:
	s_or_b64 exec, exec, s[2:3]
	v_cmp_gt_u32_e32 vcc, 64, v0
	v_lshrrev_b32_e32 v0, 1, v0
	s_waitcnt lgkmcnt(0)
	s_barrier
	s_and_saveexec_b64 s[6:7], vcc
	s_cbranch_execz .LBB249_414
; %bb.407:
	v_cmp_eq_u32_e64 s[0:1], 0, v3
	s_and_saveexec_b64 s[2:3], s[0:1]
	s_cbranch_execz .LBB249_409
; %bb.408:
	v_mov_b32_e32 v2, 0xb0
	v_lshl_add_u32 v2, v0, 2, v2
	ds_read_b32 v2, v2
	s_waitcnt lgkmcnt(0)
	v_add_f32_e32 v4, v4, v2
.LBB249_409:
	s_or_b64 exec, exec, s[2:3]
	s_and_saveexec_b64 s[2:3], s[0:1]
	s_cbranch_execz .LBB249_411
; %bb.410:
	v_mov_b32_e32 v2, 0xb0
	v_lshl_add_u32 v2, v0, 2, v2
	ds_read_b32 v2, v2 offset:128
	s_waitcnt lgkmcnt(0)
	v_add_f32_e32 v5, v5, v2
.LBB249_411:
	s_or_b64 exec, exec, s[2:3]
	v_or_b32_e32 v2, 64, v0
	s_movk_i32 s2, 0x50
	v_cmp_gt_u32_e64 s[2:3], s2, v2
	s_and_b64 s[2:3], s[0:1], s[2:3]
	s_and_saveexec_b64 s[0:1], s[2:3]
	s_cbranch_execz .LBB249_413
; %bb.412:
	v_mov_b32_e32 v2, 0xb0
	v_lshl_add_u32 v2, v0, 2, v2
	ds_read_b32 v2, v2 offset:256
	s_waitcnt lgkmcnt(0)
	v_add_f32_e32 v1, v1, v2
.LBB249_413:
	s_or_b64 exec, exec, s[0:1]
.LBB249_414:
	s_or_b64 exec, exec, s[6:7]
	s_barrier
	s_and_saveexec_b64 s[0:1], vcc
	s_cbranch_execz .LBB249_419
; %bb.415:
	s_mul_i32 s0, s16, s17
	s_mul_i32 s0, s0, s5
	s_mulk_i32 s0, 0x50
	s_ashr_i32 s1, s0, 31
	s_lshl_b64 s[0:1], s[0:1], 1
	s_add_u32 s2, s20, s0
	s_mul_i32 s0, s17, s18
	s_addc_u32 s3, s21, s1
	s_ashr_i32 s1, s0, 31
	s_lshl_b64 s[0:1], s[0:1], 1
	s_add_u32 s2, s2, s0
	s_mul_i32 s0, s4, 0x50
	s_addc_u32 s3, s3, s1
	s_ashr_i32 s1, s0, 31
	s_lshl_b64 s[0:1], s[0:1], 1
	s_add_u32 s2, s2, s0
	s_movk_i32 s5, 0x50
	s_addc_u32 s3, s3, s1
	v_cmp_eq_u32_e32 vcc, 0, v3
	v_lshlrev_b32_e32 v2, 1, v0
	s_and_saveexec_b64 s[0:1], vcc
	s_cbranch_execz .LBB249_417
; %bb.416:
	;;#ASMSTART
	v_cvt_f16_f32 v3, v4;

	;;#ASMEND
	global_store_short v2, v3, s[2:3]
	;;#ASMSTART
	v_cvt_f16_f32 v3, v5;

	;;#ASMEND
	global_store_short v2, v3, s[2:3] offset:64
.LBB249_417:
	s_or_b64 exec, exec, s[0:1]
	v_or_b32_e32 v0, 64, v0
	v_cmp_gt_u32_e64 s[0:1], s5, v0
	s_and_b64 s[0:1], vcc, s[0:1]
	s_and_b64 exec, exec, s[0:1]
	s_cbranch_execz .LBB249_419
; %bb.418:
	;;#ASMSTART
	v_cvt_f16_f32 v0, v1;

	;;#ASMEND
	global_store_short v2, v0, s[2:3] offset:128
.LBB249_419:
	s_endpgm
	.section	.rodata,"a",@progbits
	.p2align	6, 0x0
	.amdhsa_kernel _ZN4vllm25paged_attention_v1_kernelIthLi80ELi16ELi128ELNS_18Fp8KVCacheDataTypeE1ELb0EEEvPT_PKS2_PKT0_S8_ifPKiSA_iPKfiiiSC_SC_iiiii
		.amdhsa_group_segment_fixed_size 176
		.amdhsa_private_segment_fixed_size 0
		.amdhsa_kernarg_size 384
		.amdhsa_user_sgpr_count 2
		.amdhsa_user_sgpr_dispatch_ptr 0
		.amdhsa_user_sgpr_queue_ptr 0
		.amdhsa_user_sgpr_kernarg_segment_ptr 1
		.amdhsa_user_sgpr_dispatch_id 0
		.amdhsa_user_sgpr_kernarg_preload_length 0
		.amdhsa_user_sgpr_kernarg_preload_offset 0
		.amdhsa_user_sgpr_private_segment_size 0
		.amdhsa_uses_dynamic_stack 0
		.amdhsa_enable_private_segment 0
		.amdhsa_system_sgpr_workgroup_id_x 1
		.amdhsa_system_sgpr_workgroup_id_y 1
		.amdhsa_system_sgpr_workgroup_id_z 1
		.amdhsa_system_sgpr_workgroup_info 0
		.amdhsa_system_vgpr_workitem_id 0
		.amdhsa_next_free_vgpr 49
		.amdhsa_next_free_sgpr 48
		.amdhsa_accum_offset 52
		.amdhsa_reserve_vcc 1
		.amdhsa_float_round_mode_32 0
		.amdhsa_float_round_mode_16_64 0
		.amdhsa_float_denorm_mode_32 3
		.amdhsa_float_denorm_mode_16_64 3
		.amdhsa_dx10_clamp 1
		.amdhsa_ieee_mode 1
		.amdhsa_fp16_overflow 0
		.amdhsa_tg_split 0
		.amdhsa_exception_fp_ieee_invalid_op 0
		.amdhsa_exception_fp_denorm_src 0
		.amdhsa_exception_fp_ieee_div_zero 0
		.amdhsa_exception_fp_ieee_overflow 0
		.amdhsa_exception_fp_ieee_underflow 0
		.amdhsa_exception_fp_ieee_inexact 0
		.amdhsa_exception_int_div_zero 0
	.end_amdhsa_kernel
	.section	.text._ZN4vllm25paged_attention_v1_kernelIthLi80ELi16ELi128ELNS_18Fp8KVCacheDataTypeE1ELb0EEEvPT_PKS2_PKT0_S8_ifPKiSA_iPKfiiiSC_SC_iiiii,"axG",@progbits,_ZN4vllm25paged_attention_v1_kernelIthLi80ELi16ELi128ELNS_18Fp8KVCacheDataTypeE1ELb0EEEvPT_PKS2_PKT0_S8_ifPKiSA_iPKfiiiSC_SC_iiiii,comdat
.Lfunc_end249:
	.size	_ZN4vllm25paged_attention_v1_kernelIthLi80ELi16ELi128ELNS_18Fp8KVCacheDataTypeE1ELb0EEEvPT_PKS2_PKT0_S8_ifPKiSA_iPKfiiiSC_SC_iiiii, .Lfunc_end249-_ZN4vllm25paged_attention_v1_kernelIthLi80ELi16ELi128ELNS_18Fp8KVCacheDataTypeE1ELb0EEEvPT_PKS2_PKT0_S8_ifPKiSA_iPKfiiiSC_SC_iiiii
                                        ; -- End function
	.section	.AMDGPU.csdata,"",@progbits
; Kernel info:
; codeLenInByte = 17132
; NumSgprs: 54
; NumVgprs: 49
; NumAgprs: 0
; TotalNumVgprs: 49
; ScratchSize: 0
; MemoryBound: 0
; FloatMode: 240
; IeeeMode: 1
; LDSByteSize: 176 bytes/workgroup (compile time only)
; SGPRBlocks: 6
; VGPRBlocks: 6
; NumSGPRsForWavesPerEU: 54
; NumVGPRsForWavesPerEU: 49
; AccumOffset: 52
; Occupancy: 8
; WaveLimiterHint : 1
; COMPUTE_PGM_RSRC2:SCRATCH_EN: 0
; COMPUTE_PGM_RSRC2:USER_SGPR: 2
; COMPUTE_PGM_RSRC2:TRAP_HANDLER: 0
; COMPUTE_PGM_RSRC2:TGID_X_EN: 1
; COMPUTE_PGM_RSRC2:TGID_Y_EN: 1
; COMPUTE_PGM_RSRC2:TGID_Z_EN: 1
; COMPUTE_PGM_RSRC2:TIDIG_COMP_CNT: 0
; COMPUTE_PGM_RSRC3_GFX90A:ACCUM_OFFSET: 12
; COMPUTE_PGM_RSRC3_GFX90A:TG_SPLIT: 0
	.section	.text._ZN4vllm25paged_attention_v1_kernelIthLi96ELi16ELi128ELNS_18Fp8KVCacheDataTypeE1ELb0EEEvPT_PKS2_PKT0_S8_ifPKiSA_iPKfiiiSC_SC_iiiii,"axG",@progbits,_ZN4vllm25paged_attention_v1_kernelIthLi96ELi16ELi128ELNS_18Fp8KVCacheDataTypeE1ELb0EEEvPT_PKS2_PKT0_S8_ifPKiSA_iPKfiiiSC_SC_iiiii,comdat
	.protected	_ZN4vllm25paged_attention_v1_kernelIthLi96ELi16ELi128ELNS_18Fp8KVCacheDataTypeE1ELb0EEEvPT_PKS2_PKT0_S8_ifPKiSA_iPKfiiiSC_SC_iiiii ; -- Begin function _ZN4vllm25paged_attention_v1_kernelIthLi96ELi16ELi128ELNS_18Fp8KVCacheDataTypeE1ELb0EEEvPT_PKS2_PKT0_S8_ifPKiSA_iPKfiiiSC_SC_iiiii
	.globl	_ZN4vllm25paged_attention_v1_kernelIthLi96ELi16ELi128ELNS_18Fp8KVCacheDataTypeE1ELb0EEEvPT_PKS2_PKT0_S8_ifPKiSA_iPKfiiiSC_SC_iiiii
	.p2align	8
	.type	_ZN4vllm25paged_attention_v1_kernelIthLi96ELi16ELi128ELNS_18Fp8KVCacheDataTypeE1ELb0EEEvPT_PKS2_PKT0_S8_ifPKiSA_iPKfiiiSC_SC_iiiii,@function
_ZN4vllm25paged_attention_v1_kernelIthLi96ELi16ELi128ELNS_18Fp8KVCacheDataTypeE1ELb0EEEvPT_PKS2_PKT0_S8_ifPKiSA_iPKfiiiSC_SC_iiiii: ; @_ZN4vllm25paged_attention_v1_kernelIthLi96ELi16ELi128ELNS_18Fp8KVCacheDataTypeE1ELb0EEEvPT_PKS2_PKT0_S8_ifPKiSA_iPKfiiiSC_SC_iiiii
; %bb.0:
	s_load_dword s5, s[0:1], 0x80
	s_load_dwordx2 s[6:7], s[0:1], 0x30
	s_load_dwordx2 s[28:29], s[0:1], 0x20
	s_mov_b32 s16, s3
	s_ashr_i32 s17, s3, 31
	s_lshl_b64 s[8:9], s[16:17], 2
	s_waitcnt lgkmcnt(0)
	s_add_u32 s6, s6, s8
	s_addc_u32 s7, s7, s9
	s_abs_i32 s3, s28
	v_cvt_f32_u32_e32 v1, s3
	s_sub_i32 s10, 0, s3
	s_abs_i32 s9, s5
	s_xor_b32 s8, s5, s28
	v_rcp_iflag_f32_e32 v1, v1
	s_ashr_i32 s8, s8, 31
	s_mov_b32 s28, 0
	v_mul_f32_e32 v1, 0x4f7ffffe, v1
	v_cvt_u32_f32_e32 v1, v1
	s_nop 0
	v_readfirstlane_b32 s11, v1
	s_mul_i32 s10, s10, s11
	s_mul_hi_u32 s10, s11, s10
	s_add_i32 s11, s11, s10
	s_mul_hi_u32 s10, s9, s11
	s_mul_i32 s11, s10, s3
	s_sub_i32 s9, s9, s11
	s_add_i32 s11, s10, 1
	s_sub_i32 s12, s9, s3
	s_cmp_ge_u32 s9, s3
	s_cselect_b32 s10, s11, s10
	s_cselect_b32 s9, s12, s9
	s_add_i32 s11, s10, 1
	s_cmp_ge_u32 s9, s3
	s_cselect_b32 s3, s11, s10
	s_xor_b32 s3, s3, s8
	s_sub_i32 s18, s3, s8
	s_abs_i32 s10, s18
	v_cvt_f32_u32_e32 v1, s10
	s_load_dwordx2 s[8:9], s[0:1], 0x40
	s_sub_i32 s3, 0, s10
	s_abs_i32 s11, s2
	v_rcp_iflag_f32_e32 v1, v1
	s_nop 0
	v_mul_f32_e32 v1, 0x4f7ffffe, v1
	v_cvt_u32_f32_e32 v1, v1
	s_nop 0
	v_readfirstlane_b32 s12, v1
	s_mul_i32 s3, s3, s12
	s_mul_hi_u32 s3, s12, s3
	s_add_i32 s12, s12, s3
	s_waitcnt lgkmcnt(0)
	s_cmp_eq_u64 s[8:9], 0
	s_mul_hi_u32 s17, s11, s12
	s_cbranch_scc1 .LBB250_2
; %bb.1:
	s_ashr_i32 s3, s2, 31
	s_lshl_b64 s[12:13], s[2:3], 2
	s_add_u32 s8, s8, s12
	s_addc_u32 s9, s9, s13
	s_load_dword s28, s[8:9], 0x0
.LBB250_2:
	s_load_dword s33, s[6:7], 0x0
	s_load_dwordx4 s[12:15], s[0:1], 0x48
	s_ashr_i32 s6, s2, 31
	s_ashr_i32 s7, s18, 31
	v_and_b32_e32 v7, 3, v0
	s_mul_i32 s18, s2, 0x60
	v_cmp_gt_u32_e32 vcc, 48, v0
	s_and_saveexec_b64 s[2:3], vcc
	s_cbranch_execz .LBB250_4
; %bb.3:
	s_load_dwordx2 s[8:9], s[0:1], 0x8
	s_waitcnt lgkmcnt(0)
	s_mul_i32 s20, s16, s12
	s_ashr_i32 s21, s20, 31
	s_lshl_b64 s[20:21], s[20:21], 1
	v_lshlrev_b32_e32 v1, 2, v0
	s_add_u32 s12, s8, s20
	s_addc_u32 s15, s9, s21
	s_ashr_i32 s19, s18, 31
	s_lshl_b64 s[8:9], s[18:19], 1
	s_add_u32 s8, s12, s8
	s_addc_u32 s9, s15, s9
	global_load_dword v1, v1, s[8:9]
	v_and_b32_e32 v2, 0x3fc, v0
	v_mad_u32_u24 v2, v7, 48, v2
	s_waitcnt vmcnt(0)
	ds_write_b32 v2, v1
.LBB250_4:
	s_or_b64 exec, exec, s[2:3]
	s_waitcnt lgkmcnt(0)
	s_add_i32 s3, s33, 15
	s_ashr_i32 s8, s3, 31
	s_lshr_b32 s8, s8, 28
	s_add_i32 s3, s3, s8
	s_ashr_i32 s19, s3, 4
	s_xor_b32 s3, s6, s7
	s_mul_i32 s6, s17, s10
	s_sub_i32 s6, s11, s6
	s_add_i32 s7, s17, 1
	s_sub_i32 s8, s6, s10
	s_load_dwordx2 s[22:23], s[0:1], 0x28
	s_load_dword s2, s[0:1], 0x38
	s_cmp_ge_u32 s6, s10
	s_cselect_b32 s7, s7, s17
	s_cselect_b32 s6, s8, s6
	s_add_i32 s8, s7, 1
	s_cmp_ge_u32 s6, s10
	s_cselect_b32 s6, s8, s7
	v_lshrrev_b32_e32 v1, 6, v0
	s_xor_b32 s6, s6, s3
	s_waitcnt lgkmcnt(0)
	s_mul_i32 s24, s16, s2
	s_sub_i32 s12, s6, s3
	s_ashr_i32 s25, s24, 31
	v_cmp_gt_i32_e64 s[6:7], s19, v1
	v_cmp_le_i32_e32 vcc, s19, v1
	v_mbcnt_lo_u32_b32 v10, -1, 0
	s_barrier
	s_waitcnt lgkmcnt(0)
                                        ; implicit-def: $sgpr15
                                        ; implicit-def: $vgpr14
                                        ; implicit-def: $vgpr2
	s_and_saveexec_b64 s[2:3], vcc
	s_xor_b64 s[2:3], exec, s[2:3]
; %bb.5:
	v_mbcnt_hi_u32_b32 v14, -1, v10
	v_and_b32_e32 v2, 64, v14
	v_add_u32_e32 v2, 64, v2
	s_mov_b32 s15, 0xff7fffff
                                        ; implicit-def: $vgpr7
                                        ; implicit-def: $vgpr10
; %bb.6:
	s_or_saveexec_b64 s[30:31], s[2:3]
	s_load_dwordx2 s[20:21], s[0:1], 0x0
	s_load_dwordx2 s[26:27], s[0:1], 0x18
	s_load_dword s17, s[0:1], 0x88
	s_load_dwordx4 s[8:11], s[0:1], 0x58
	v_mov_b32_e32 v13, s15
	s_mul_i32 s12, s12, s14
	v_lshrrev_b32_e32 v12, 4, v0
	s_xor_b64 exec, exec, s[30:31]
	s_cbranch_execz .LBB250_204
; %bb.7:
	s_load_dwordx2 s[0:1], s[0:1], 0x10
	s_ashr_i32 s2, s12, 31
	v_bfe_u32 v8, v0, 2, 4
	v_lshlrev_b32_e32 v2, 4, v8
	v_mov_b32_e32 v3, 0
	s_waitcnt lgkmcnt(0)
	s_add_u32 s0, s0, s12
	s_addc_u32 s1, s1, s2
	v_lshl_add_u64 v[4:5], s[0:1], 0, v[2:3]
	s_sub_i32 s41, 1, s33
	v_lshlrev_b32_e32 v2, 2, v8
	s_lshl_b64 s[0:1], s[24:25], 2
	v_lshl_or_b32 v2, v1, 6, v2
	s_add_u32 s0, s22, s0
	v_add_u32_e32 v17, 0xd0, v2
	v_and_b32_e32 v2, 60, v12
	s_addc_u32 s1, s23, s1
	s_mov_b32 s40, s13
	v_lshlrev_b32_e32 v6, 1, v7
	v_mul_u32_u24_e32 v15, 48, v7
	v_cmp_eq_u32_e32 vcc, 0, v7
	v_cmp_neq_f32_e64 s[2:3], s28, 0
	v_mov_b32_e32 v7, v3
	v_lshl_or_b32 v16, v1, 4, v8
	v_lshl_add_u64 v[8:9], s[0:1], 0, v[2:3]
	s_mov_b64 s[14:15], 0
	v_mov_b32_e32 v13, 0xff7fffff
	s_movk_i32 s42, 0x7f
	s_movk_i32 s43, 0x80
	s_mov_b32 s44, 0x8000
	v_mbcnt_hi_u32_b32 v14, -1, v10
	v_mov_b32_e32 v18, 0x1c00
	v_mov_b32_e32 v19, v1
	s_branch .LBB250_9
.LBB250_8:                              ;   in Loop: Header=BB250_9 Depth=1
	s_or_b64 exec, exec, s[34:35]
	v_add_u32_e32 v19, 2, v19
	v_cmp_le_i32_e64 s[0:1], s19, v19
	v_add_u32_e32 v16, 32, v16
	v_add_u32_e32 v17, 0x80, v17
	s_or_b64 s[14:15], s[0:1], s[14:15]
	v_lshl_add_u64 v[8:9], v[8:9], 0, 8
	s_andn2_b64 exec, exec, s[14:15]
	s_cbranch_execz .LBB250_203
.LBB250_9:                              ; =>This Inner Loop Header: Depth=1
	global_load_dword v2, v[8:9], off
                                        ; implicit-def: $sgpr38
	s_waitcnt vmcnt(0) lgkmcnt(0)
	v_mad_i64_i32 v[10:11], s[0:1], v2, s40, v[4:5]
	v_lshl_add_u64 v[10:11], v[10:11], 0, v[6:7]
	global_load_ushort v2, v[10:11], off
	global_load_dword v20, v3, s[8:9]
	s_mov_b64 s[0:1], 0
	s_waitcnt vmcnt(1)
	v_cmp_gt_i16_sdwa s[34:35], v2, s42 src0_sel:BYTE_0 src1_sel:DWORD
	s_and_saveexec_b64 s[36:37], s[34:35]
	s_xor_b64 s[34:35], exec, s[36:37]
	s_cbranch_execnz .LBB250_107
; %bb.10:                               ;   in Loop: Header=BB250_9 Depth=1
	s_or_saveexec_b64 s[34:35], s[34:35]
	v_mov_b32_e32 v21, s38
	s_xor_b64 exec, exec, s[34:35]
	s_cbranch_execnz .LBB250_110
.LBB250_11:                             ;   in Loop: Header=BB250_9 Depth=1
	s_or_b64 exec, exec, s[34:35]
	v_and_b32_e32 v2, 0xffff, v2
	s_and_saveexec_b64 s[34:35], s[0:1]
	s_cbranch_execz .LBB250_13
.LBB250_12:                             ;   in Loop: Header=BB250_9 Depth=1
	v_and_b32_e32 v21, 7, v2
	v_ffbh_u32_e32 v22, v21
	v_min_u32_e32 v25, 32, v22
	v_subrev_u32_e32 v22, 28, v25
	v_bfe_u32 v24, v2, 3, 4
	v_lshlrev_b64 v[22:23], v22, v[2:3]
	v_sub_u32_e32 v23, 29, v25
	v_cmp_eq_u32_e64 s[0:1], 0, v24
	v_and_b32_e32 v22, 7, v22
	s_nop 0
	v_cndmask_b32_e64 v23, v24, v23, s[0:1]
	v_cndmask_b32_e64 v21, v21, v22, s[0:1]
	v_lshlrev_b32_e32 v22, 8, v2
	v_lshl_add_u32 v23, v23, 10, v18
	v_and_or_b32 v22, v22, s44, v23
	v_lshl_or_b32 v21, v21, 7, v22
	v_cvt_f32_f16_e32 v21, v21
.LBB250_13:                             ;   in Loop: Header=BB250_9 Depth=1
	s_or_b64 exec, exec, s[34:35]
	v_lshrrev_b16_e32 v2, 8, v2
	v_cmp_lt_i16_e64 s[0:1], s42, v2
	s_mov_b64 s[34:35], 0
                                        ; implicit-def: $sgpr45
	s_and_saveexec_b64 s[36:37], s[0:1]
	s_xor_b64 s[36:37], exec, s[36:37]
	s_cbranch_execnz .LBB250_111
; %bb.14:                               ;   in Loop: Header=BB250_9 Depth=1
	s_or_saveexec_b64 s[36:37], s[36:37]
	v_mov_b32_e32 v22, s45
	s_xor_b64 exec, exec, s[36:37]
	s_cbranch_execnz .LBB250_114
.LBB250_15:                             ;   in Loop: Header=BB250_9 Depth=1
	s_or_b64 exec, exec, s[36:37]
	s_and_saveexec_b64 s[36:37], s[34:35]
	s_cbranch_execz .LBB250_17
.LBB250_16:                             ;   in Loop: Header=BB250_9 Depth=1
	v_and_b32_e32 v24, 7, v2
	v_ffbh_u32_e32 v22, v24
	v_min_u32_e32 v26, 32, v22
	v_subrev_u32_e32 v22, 28, v26
	v_bfe_u32 v25, v2, 3, 4
	v_lshlrev_b64 v[22:23], v22, v[2:3]
	v_sub_u32_e32 v23, 29, v26
	v_cmp_eq_u32_e64 s[0:1], 0, v25
	v_and_b32_e32 v22, 7, v22
	v_lshlrev_b32_e32 v2, 8, v2
	v_cndmask_b32_e64 v23, v25, v23, s[0:1]
	v_lshl_add_u32 v23, v23, 10, v18
	v_cndmask_b32_e64 v22, v24, v22, s[0:1]
	v_and_or_b32 v2, v2, s44, v23
	v_lshl_or_b32 v2, v22, 7, v2
	v_cvt_f32_f16_e32 v22, v2
.LBB250_17:                             ;   in Loop: Header=BB250_9 Depth=1
	s_or_b64 exec, exec, s[36:37]
	global_load_ushort v2, v[10:11], off offset:8
	s_mov_b64 s[0:1], 0
                                        ; implicit-def: $sgpr38
	s_waitcnt vmcnt(0)
	v_cmp_gt_i16_sdwa s[34:35], v2, s42 src0_sel:BYTE_0 src1_sel:DWORD
	s_and_saveexec_b64 s[36:37], s[34:35]
	s_xor_b64 s[34:35], exec, s[36:37]
	s_cbranch_execnz .LBB250_115
; %bb.18:                               ;   in Loop: Header=BB250_9 Depth=1
	s_or_saveexec_b64 s[34:35], s[34:35]
	v_mov_b32_e32 v23, s38
	s_xor_b64 exec, exec, s[34:35]
	s_cbranch_execnz .LBB250_118
.LBB250_19:                             ;   in Loop: Header=BB250_9 Depth=1
	s_or_b64 exec, exec, s[34:35]
	v_and_b32_e32 v2, 0xffff, v2
	s_and_saveexec_b64 s[34:35], s[0:1]
	s_cbranch_execz .LBB250_21
.LBB250_20:                             ;   in Loop: Header=BB250_9 Depth=1
	v_and_b32_e32 v23, 7, v2
	v_ffbh_u32_e32 v24, v23
	v_min_u32_e32 v27, 32, v24
	v_subrev_u32_e32 v24, 28, v27
	v_bfe_u32 v26, v2, 3, 4
	v_lshlrev_b64 v[24:25], v24, v[2:3]
	v_sub_u32_e32 v25, 29, v27
	v_cmp_eq_u32_e64 s[0:1], 0, v26
	v_and_b32_e32 v24, 7, v24
	s_nop 0
	v_cndmask_b32_e64 v25, v26, v25, s[0:1]
	v_cndmask_b32_e64 v23, v23, v24, s[0:1]
	v_lshlrev_b32_e32 v24, 8, v2
	v_lshl_add_u32 v25, v25, 10, v18
	v_and_or_b32 v24, v24, s44, v25
	v_lshl_or_b32 v23, v23, 7, v24
	v_cvt_f32_f16_e32 v23, v23
.LBB250_21:                             ;   in Loop: Header=BB250_9 Depth=1
	s_or_b64 exec, exec, s[34:35]
	v_lshrrev_b16_e32 v2, 8, v2
	v_cmp_lt_i16_e64 s[0:1], s42, v2
	s_mov_b64 s[34:35], 0
                                        ; implicit-def: $sgpr45
	s_and_saveexec_b64 s[36:37], s[0:1]
	s_xor_b64 s[36:37], exec, s[36:37]
	s_cbranch_execnz .LBB250_119
; %bb.22:                               ;   in Loop: Header=BB250_9 Depth=1
	s_or_saveexec_b64 s[36:37], s[36:37]
	v_mov_b32_e32 v24, s45
	s_xor_b64 exec, exec, s[36:37]
	s_cbranch_execnz .LBB250_122
.LBB250_23:                             ;   in Loop: Header=BB250_9 Depth=1
	s_or_b64 exec, exec, s[36:37]
	s_and_saveexec_b64 s[36:37], s[34:35]
	s_cbranch_execz .LBB250_25
.LBB250_24:                             ;   in Loop: Header=BB250_9 Depth=1
	v_and_b32_e32 v26, 7, v2
	v_ffbh_u32_e32 v24, v26
	v_min_u32_e32 v28, 32, v24
	v_subrev_u32_e32 v24, 28, v28
	v_bfe_u32 v27, v2, 3, 4
	v_lshlrev_b64 v[24:25], v24, v[2:3]
	v_sub_u32_e32 v25, 29, v28
	v_cmp_eq_u32_e64 s[0:1], 0, v27
	v_and_b32_e32 v24, 7, v24
	v_lshlrev_b32_e32 v2, 8, v2
	v_cndmask_b32_e64 v25, v27, v25, s[0:1]
	v_lshl_add_u32 v25, v25, 10, v18
	v_cndmask_b32_e64 v24, v26, v24, s[0:1]
	v_and_or_b32 v2, v2, s44, v25
	v_lshl_or_b32 v2, v24, 7, v2
	v_cvt_f32_f16_e32 v24, v2
.LBB250_25:                             ;   in Loop: Header=BB250_9 Depth=1
	s_or_b64 exec, exec, s[36:37]
	global_load_ushort v2, v[10:11], off offset:256
	s_mov_b64 s[0:1], 0
                                        ; implicit-def: $sgpr38
	s_waitcnt vmcnt(0)
	v_cmp_gt_i16_sdwa s[34:35], v2, s42 src0_sel:BYTE_0 src1_sel:DWORD
	s_and_saveexec_b64 s[36:37], s[34:35]
	s_xor_b64 s[34:35], exec, s[36:37]
	s_cbranch_execnz .LBB250_123
; %bb.26:                               ;   in Loop: Header=BB250_9 Depth=1
	s_or_saveexec_b64 s[34:35], s[34:35]
	v_mov_b32_e32 v25, s38
	s_xor_b64 exec, exec, s[34:35]
	s_cbranch_execnz .LBB250_126
.LBB250_27:                             ;   in Loop: Header=BB250_9 Depth=1
	s_or_b64 exec, exec, s[34:35]
	v_and_b32_e32 v2, 0xffff, v2
	s_and_saveexec_b64 s[34:35], s[0:1]
	s_cbranch_execz .LBB250_29
.LBB250_28:                             ;   in Loop: Header=BB250_9 Depth=1
	v_and_b32_e32 v25, 7, v2
	v_ffbh_u32_e32 v26, v25
	v_min_u32_e32 v29, 32, v26
	v_subrev_u32_e32 v26, 28, v29
	v_bfe_u32 v28, v2, 3, 4
	v_lshlrev_b64 v[26:27], v26, v[2:3]
	v_sub_u32_e32 v27, 29, v29
	v_cmp_eq_u32_e64 s[0:1], 0, v28
	v_and_b32_e32 v26, 7, v26
	s_nop 0
	v_cndmask_b32_e64 v27, v28, v27, s[0:1]
	v_cndmask_b32_e64 v25, v25, v26, s[0:1]
	v_lshlrev_b32_e32 v26, 8, v2
	v_lshl_add_u32 v27, v27, 10, v18
	v_and_or_b32 v26, v26, s44, v27
	v_lshl_or_b32 v25, v25, 7, v26
	v_cvt_f32_f16_e32 v25, v25
.LBB250_29:                             ;   in Loop: Header=BB250_9 Depth=1
	s_or_b64 exec, exec, s[34:35]
	v_lshrrev_b16_e32 v2, 8, v2
	v_cmp_lt_i16_e64 s[0:1], s42, v2
	s_mov_b64 s[34:35], 0
                                        ; implicit-def: $sgpr45
	s_and_saveexec_b64 s[36:37], s[0:1]
	s_xor_b64 s[36:37], exec, s[36:37]
	s_cbranch_execnz .LBB250_127
; %bb.30:                               ;   in Loop: Header=BB250_9 Depth=1
	s_or_saveexec_b64 s[36:37], s[36:37]
	v_mov_b32_e32 v26, s45
	s_xor_b64 exec, exec, s[36:37]
	s_cbranch_execnz .LBB250_130
.LBB250_31:                             ;   in Loop: Header=BB250_9 Depth=1
	s_or_b64 exec, exec, s[36:37]
	s_and_saveexec_b64 s[36:37], s[34:35]
	s_cbranch_execz .LBB250_33
.LBB250_32:                             ;   in Loop: Header=BB250_9 Depth=1
	v_and_b32_e32 v28, 7, v2
	v_ffbh_u32_e32 v26, v28
	v_min_u32_e32 v30, 32, v26
	v_subrev_u32_e32 v26, 28, v30
	v_bfe_u32 v29, v2, 3, 4
	v_lshlrev_b64 v[26:27], v26, v[2:3]
	v_sub_u32_e32 v27, 29, v30
	v_cmp_eq_u32_e64 s[0:1], 0, v29
	v_and_b32_e32 v26, 7, v26
	v_lshlrev_b32_e32 v2, 8, v2
	v_cndmask_b32_e64 v27, v29, v27, s[0:1]
	v_lshl_add_u32 v27, v27, 10, v18
	v_cndmask_b32_e64 v26, v28, v26, s[0:1]
	v_and_or_b32 v2, v2, s44, v27
	v_lshl_or_b32 v2, v26, 7, v2
	v_cvt_f32_f16_e32 v26, v2
.LBB250_33:                             ;   in Loop: Header=BB250_9 Depth=1
	s_or_b64 exec, exec, s[36:37]
	global_load_ushort v2, v[10:11], off offset:264
	s_mov_b64 s[0:1], 0
                                        ; implicit-def: $sgpr38
	s_waitcnt vmcnt(0)
	v_cmp_gt_i16_sdwa s[34:35], v2, s42 src0_sel:BYTE_0 src1_sel:DWORD
	s_and_saveexec_b64 s[36:37], s[34:35]
	s_xor_b64 s[34:35], exec, s[36:37]
	s_cbranch_execnz .LBB250_131
; %bb.34:                               ;   in Loop: Header=BB250_9 Depth=1
	s_or_saveexec_b64 s[34:35], s[34:35]
	v_mov_b32_e32 v27, s38
	s_xor_b64 exec, exec, s[34:35]
	s_cbranch_execnz .LBB250_134
.LBB250_35:                             ;   in Loop: Header=BB250_9 Depth=1
	s_or_b64 exec, exec, s[34:35]
	v_and_b32_e32 v2, 0xffff, v2
	s_and_saveexec_b64 s[34:35], s[0:1]
	s_cbranch_execz .LBB250_37
.LBB250_36:                             ;   in Loop: Header=BB250_9 Depth=1
	v_and_b32_e32 v27, 7, v2
	v_ffbh_u32_e32 v28, v27
	v_min_u32_e32 v31, 32, v28
	v_subrev_u32_e32 v28, 28, v31
	v_bfe_u32 v30, v2, 3, 4
	v_lshlrev_b64 v[28:29], v28, v[2:3]
	v_sub_u32_e32 v29, 29, v31
	v_cmp_eq_u32_e64 s[0:1], 0, v30
	v_and_b32_e32 v28, 7, v28
	s_nop 0
	v_cndmask_b32_e64 v29, v30, v29, s[0:1]
	v_cndmask_b32_e64 v27, v27, v28, s[0:1]
	v_lshlrev_b32_e32 v28, 8, v2
	v_lshl_add_u32 v29, v29, 10, v18
	v_and_or_b32 v28, v28, s44, v29
	v_lshl_or_b32 v27, v27, 7, v28
	v_cvt_f32_f16_e32 v27, v27
.LBB250_37:                             ;   in Loop: Header=BB250_9 Depth=1
	s_or_b64 exec, exec, s[34:35]
	v_lshrrev_b16_e32 v2, 8, v2
	v_cmp_lt_i16_e64 s[0:1], s42, v2
	s_mov_b64 s[34:35], 0
                                        ; implicit-def: $sgpr45
	s_and_saveexec_b64 s[36:37], s[0:1]
	s_xor_b64 s[36:37], exec, s[36:37]
	s_cbranch_execnz .LBB250_135
; %bb.38:                               ;   in Loop: Header=BB250_9 Depth=1
	s_or_saveexec_b64 s[36:37], s[36:37]
	v_mov_b32_e32 v28, s45
	s_xor_b64 exec, exec, s[36:37]
	s_cbranch_execnz .LBB250_138
.LBB250_39:                             ;   in Loop: Header=BB250_9 Depth=1
	s_or_b64 exec, exec, s[36:37]
	s_and_saveexec_b64 s[36:37], s[34:35]
	s_cbranch_execz .LBB250_41
.LBB250_40:                             ;   in Loop: Header=BB250_9 Depth=1
	v_and_b32_e32 v30, 7, v2
	v_ffbh_u32_e32 v28, v30
	v_min_u32_e32 v32, 32, v28
	v_subrev_u32_e32 v28, 28, v32
	v_bfe_u32 v31, v2, 3, 4
	v_lshlrev_b64 v[28:29], v28, v[2:3]
	v_sub_u32_e32 v29, 29, v32
	v_cmp_eq_u32_e64 s[0:1], 0, v31
	v_and_b32_e32 v28, 7, v28
	v_lshlrev_b32_e32 v2, 8, v2
	v_cndmask_b32_e64 v29, v31, v29, s[0:1]
	v_lshl_add_u32 v29, v29, 10, v18
	v_cndmask_b32_e64 v28, v30, v28, s[0:1]
	v_and_or_b32 v2, v2, s44, v29
	v_lshl_or_b32 v2, v28, 7, v2
	v_cvt_f32_f16_e32 v28, v2
.LBB250_41:                             ;   in Loop: Header=BB250_9 Depth=1
	s_or_b64 exec, exec, s[36:37]
	global_load_ushort v2, v[10:11], off offset:512
	s_mov_b64 s[0:1], 0
                                        ; implicit-def: $sgpr38
	s_waitcnt vmcnt(0)
	v_cmp_gt_i16_sdwa s[34:35], v2, s42 src0_sel:BYTE_0 src1_sel:DWORD
	s_and_saveexec_b64 s[36:37], s[34:35]
	s_xor_b64 s[34:35], exec, s[36:37]
	s_cbranch_execnz .LBB250_139
; %bb.42:                               ;   in Loop: Header=BB250_9 Depth=1
	s_or_saveexec_b64 s[34:35], s[34:35]
	v_mov_b32_e32 v29, s38
	s_xor_b64 exec, exec, s[34:35]
	s_cbranch_execnz .LBB250_142
.LBB250_43:                             ;   in Loop: Header=BB250_9 Depth=1
	s_or_b64 exec, exec, s[34:35]
	v_and_b32_e32 v2, 0xffff, v2
	s_and_saveexec_b64 s[34:35], s[0:1]
	s_cbranch_execz .LBB250_45
.LBB250_44:                             ;   in Loop: Header=BB250_9 Depth=1
	v_and_b32_e32 v29, 7, v2
	v_ffbh_u32_e32 v30, v29
	v_min_u32_e32 v33, 32, v30
	v_subrev_u32_e32 v30, 28, v33
	v_bfe_u32 v32, v2, 3, 4
	v_lshlrev_b64 v[30:31], v30, v[2:3]
	v_sub_u32_e32 v31, 29, v33
	v_cmp_eq_u32_e64 s[0:1], 0, v32
	v_and_b32_e32 v30, 7, v30
	s_nop 0
	v_cndmask_b32_e64 v31, v32, v31, s[0:1]
	v_cndmask_b32_e64 v29, v29, v30, s[0:1]
	v_lshlrev_b32_e32 v30, 8, v2
	v_lshl_add_u32 v31, v31, 10, v18
	v_and_or_b32 v30, v30, s44, v31
	v_lshl_or_b32 v29, v29, 7, v30
	v_cvt_f32_f16_e32 v29, v29
.LBB250_45:                             ;   in Loop: Header=BB250_9 Depth=1
	s_or_b64 exec, exec, s[34:35]
	v_lshrrev_b16_e32 v2, 8, v2
	v_cmp_lt_i16_e64 s[0:1], s42, v2
	s_mov_b64 s[34:35], 0
                                        ; implicit-def: $sgpr45
	s_and_saveexec_b64 s[36:37], s[0:1]
	s_xor_b64 s[36:37], exec, s[36:37]
	s_cbranch_execnz .LBB250_143
; %bb.46:                               ;   in Loop: Header=BB250_9 Depth=1
	s_or_saveexec_b64 s[36:37], s[36:37]
	v_mov_b32_e32 v30, s45
	s_xor_b64 exec, exec, s[36:37]
	s_cbranch_execnz .LBB250_146
.LBB250_47:                             ;   in Loop: Header=BB250_9 Depth=1
	s_or_b64 exec, exec, s[36:37]
	s_and_saveexec_b64 s[36:37], s[34:35]
	s_cbranch_execz .LBB250_49
.LBB250_48:                             ;   in Loop: Header=BB250_9 Depth=1
	v_and_b32_e32 v32, 7, v2
	v_ffbh_u32_e32 v30, v32
	v_min_u32_e32 v34, 32, v30
	v_subrev_u32_e32 v30, 28, v34
	v_bfe_u32 v33, v2, 3, 4
	v_lshlrev_b64 v[30:31], v30, v[2:3]
	v_sub_u32_e32 v31, 29, v34
	v_cmp_eq_u32_e64 s[0:1], 0, v33
	v_and_b32_e32 v30, 7, v30
	v_lshlrev_b32_e32 v2, 8, v2
	v_cndmask_b32_e64 v31, v33, v31, s[0:1]
	v_lshl_add_u32 v31, v31, 10, v18
	v_cndmask_b32_e64 v30, v32, v30, s[0:1]
	v_and_or_b32 v2, v2, s44, v31
	v_lshl_or_b32 v2, v30, 7, v2
	v_cvt_f32_f16_e32 v30, v2
.LBB250_49:                             ;   in Loop: Header=BB250_9 Depth=1
	s_or_b64 exec, exec, s[36:37]
	global_load_ushort v2, v[10:11], off offset:520
	s_mov_b64 s[0:1], 0
                                        ; implicit-def: $sgpr38
	s_waitcnt vmcnt(0)
	v_cmp_gt_i16_sdwa s[34:35], v2, s42 src0_sel:BYTE_0 src1_sel:DWORD
	s_and_saveexec_b64 s[36:37], s[34:35]
	s_xor_b64 s[34:35], exec, s[36:37]
	s_cbranch_execnz .LBB250_147
; %bb.50:                               ;   in Loop: Header=BB250_9 Depth=1
	s_or_saveexec_b64 s[34:35], s[34:35]
	v_mov_b32_e32 v31, s38
	s_xor_b64 exec, exec, s[34:35]
	s_cbranch_execnz .LBB250_150
.LBB250_51:                             ;   in Loop: Header=BB250_9 Depth=1
	s_or_b64 exec, exec, s[34:35]
	v_and_b32_e32 v2, 0xffff, v2
	s_and_saveexec_b64 s[34:35], s[0:1]
	s_cbranch_execz .LBB250_53
.LBB250_52:                             ;   in Loop: Header=BB250_9 Depth=1
	v_and_b32_e32 v31, 7, v2
	v_ffbh_u32_e32 v32, v31
	v_min_u32_e32 v35, 32, v32
	v_subrev_u32_e32 v32, 28, v35
	v_bfe_u32 v34, v2, 3, 4
	v_lshlrev_b64 v[32:33], v32, v[2:3]
	v_sub_u32_e32 v33, 29, v35
	v_cmp_eq_u32_e64 s[0:1], 0, v34
	v_and_b32_e32 v32, 7, v32
	s_nop 0
	v_cndmask_b32_e64 v33, v34, v33, s[0:1]
	v_cndmask_b32_e64 v31, v31, v32, s[0:1]
	v_lshlrev_b32_e32 v32, 8, v2
	v_lshl_add_u32 v33, v33, 10, v18
	v_and_or_b32 v32, v32, s44, v33
	v_lshl_or_b32 v31, v31, 7, v32
	v_cvt_f32_f16_e32 v31, v31
.LBB250_53:                             ;   in Loop: Header=BB250_9 Depth=1
	s_or_b64 exec, exec, s[34:35]
	v_lshrrev_b16_e32 v2, 8, v2
	v_cmp_lt_i16_e64 s[0:1], s42, v2
	s_mov_b64 s[34:35], 0
                                        ; implicit-def: $sgpr45
	s_and_saveexec_b64 s[36:37], s[0:1]
	s_xor_b64 s[36:37], exec, s[36:37]
	s_cbranch_execnz .LBB250_151
; %bb.54:                               ;   in Loop: Header=BB250_9 Depth=1
	s_or_saveexec_b64 s[36:37], s[36:37]
	v_mov_b32_e32 v32, s45
	s_xor_b64 exec, exec, s[36:37]
	s_cbranch_execnz .LBB250_154
.LBB250_55:                             ;   in Loop: Header=BB250_9 Depth=1
	s_or_b64 exec, exec, s[36:37]
	s_and_saveexec_b64 s[36:37], s[34:35]
	s_cbranch_execz .LBB250_57
.LBB250_56:                             ;   in Loop: Header=BB250_9 Depth=1
	v_and_b32_e32 v34, 7, v2
	v_ffbh_u32_e32 v32, v34
	v_min_u32_e32 v36, 32, v32
	v_subrev_u32_e32 v32, 28, v36
	v_bfe_u32 v35, v2, 3, 4
	v_lshlrev_b64 v[32:33], v32, v[2:3]
	v_sub_u32_e32 v33, 29, v36
	v_cmp_eq_u32_e64 s[0:1], 0, v35
	v_and_b32_e32 v32, 7, v32
	v_lshlrev_b32_e32 v2, 8, v2
	v_cndmask_b32_e64 v33, v35, v33, s[0:1]
	v_lshl_add_u32 v33, v33, 10, v18
	v_cndmask_b32_e64 v32, v34, v32, s[0:1]
	v_and_or_b32 v2, v2, s44, v33
	v_lshl_or_b32 v2, v32, 7, v2
	v_cvt_f32_f16_e32 v32, v2
.LBB250_57:                             ;   in Loop: Header=BB250_9 Depth=1
	s_or_b64 exec, exec, s[36:37]
	global_load_ushort v2, v[10:11], off offset:768
	s_mov_b64 s[0:1], 0
                                        ; implicit-def: $sgpr38
	s_waitcnt vmcnt(0)
	v_cmp_gt_i16_sdwa s[34:35], v2, s42 src0_sel:BYTE_0 src1_sel:DWORD
	s_and_saveexec_b64 s[36:37], s[34:35]
	s_xor_b64 s[34:35], exec, s[36:37]
	s_cbranch_execnz .LBB250_155
; %bb.58:                               ;   in Loop: Header=BB250_9 Depth=1
	s_or_saveexec_b64 s[34:35], s[34:35]
	v_mov_b32_e32 v33, s38
	s_xor_b64 exec, exec, s[34:35]
	s_cbranch_execnz .LBB250_158
.LBB250_59:                             ;   in Loop: Header=BB250_9 Depth=1
	s_or_b64 exec, exec, s[34:35]
	v_and_b32_e32 v2, 0xffff, v2
	s_and_saveexec_b64 s[34:35], s[0:1]
	s_cbranch_execz .LBB250_61
.LBB250_60:                             ;   in Loop: Header=BB250_9 Depth=1
	v_and_b32_e32 v33, 7, v2
	v_ffbh_u32_e32 v34, v33
	v_min_u32_e32 v37, 32, v34
	v_subrev_u32_e32 v34, 28, v37
	v_bfe_u32 v36, v2, 3, 4
	v_lshlrev_b64 v[34:35], v34, v[2:3]
	v_sub_u32_e32 v35, 29, v37
	v_cmp_eq_u32_e64 s[0:1], 0, v36
	v_and_b32_e32 v34, 7, v34
	s_nop 0
	v_cndmask_b32_e64 v35, v36, v35, s[0:1]
	v_cndmask_b32_e64 v33, v33, v34, s[0:1]
	v_lshlrev_b32_e32 v34, 8, v2
	v_lshl_add_u32 v35, v35, 10, v18
	v_and_or_b32 v34, v34, s44, v35
	v_lshl_or_b32 v33, v33, 7, v34
	v_cvt_f32_f16_e32 v33, v33
.LBB250_61:                             ;   in Loop: Header=BB250_9 Depth=1
	s_or_b64 exec, exec, s[34:35]
	v_lshrrev_b16_e32 v2, 8, v2
	v_cmp_lt_i16_e64 s[0:1], s42, v2
	s_mov_b64 s[34:35], 0
                                        ; implicit-def: $sgpr45
	s_and_saveexec_b64 s[36:37], s[0:1]
	s_xor_b64 s[36:37], exec, s[36:37]
	s_cbranch_execnz .LBB250_159
; %bb.62:                               ;   in Loop: Header=BB250_9 Depth=1
	s_or_saveexec_b64 s[36:37], s[36:37]
	v_mov_b32_e32 v34, s45
	s_xor_b64 exec, exec, s[36:37]
	s_cbranch_execnz .LBB250_162
.LBB250_63:                             ;   in Loop: Header=BB250_9 Depth=1
	s_or_b64 exec, exec, s[36:37]
	s_and_saveexec_b64 s[36:37], s[34:35]
	s_cbranch_execz .LBB250_65
.LBB250_64:                             ;   in Loop: Header=BB250_9 Depth=1
	v_and_b32_e32 v36, 7, v2
	v_ffbh_u32_e32 v34, v36
	v_min_u32_e32 v38, 32, v34
	v_subrev_u32_e32 v34, 28, v38
	v_bfe_u32 v37, v2, 3, 4
	v_lshlrev_b64 v[34:35], v34, v[2:3]
	v_sub_u32_e32 v35, 29, v38
	v_cmp_eq_u32_e64 s[0:1], 0, v37
	v_and_b32_e32 v34, 7, v34
	v_lshlrev_b32_e32 v2, 8, v2
	v_cndmask_b32_e64 v35, v37, v35, s[0:1]
	v_lshl_add_u32 v35, v35, 10, v18
	v_cndmask_b32_e64 v34, v36, v34, s[0:1]
	v_and_or_b32 v2, v2, s44, v35
	v_lshl_or_b32 v2, v34, 7, v2
	v_cvt_f32_f16_e32 v34, v2
.LBB250_65:                             ;   in Loop: Header=BB250_9 Depth=1
	s_or_b64 exec, exec, s[36:37]
	global_load_ushort v2, v[10:11], off offset:776
	s_mov_b64 s[0:1], 0
                                        ; implicit-def: $sgpr38
	s_waitcnt vmcnt(0)
	v_cmp_gt_i16_sdwa s[34:35], v2, s42 src0_sel:BYTE_0 src1_sel:DWORD
	s_and_saveexec_b64 s[36:37], s[34:35]
	s_xor_b64 s[34:35], exec, s[36:37]
	s_cbranch_execnz .LBB250_163
; %bb.66:                               ;   in Loop: Header=BB250_9 Depth=1
	s_or_saveexec_b64 s[34:35], s[34:35]
	v_mov_b32_e32 v35, s38
	s_xor_b64 exec, exec, s[34:35]
	s_cbranch_execnz .LBB250_166
.LBB250_67:                             ;   in Loop: Header=BB250_9 Depth=1
	s_or_b64 exec, exec, s[34:35]
	v_and_b32_e32 v2, 0xffff, v2
	s_and_saveexec_b64 s[34:35], s[0:1]
	s_cbranch_execz .LBB250_69
.LBB250_68:                             ;   in Loop: Header=BB250_9 Depth=1
	v_and_b32_e32 v35, 7, v2
	v_ffbh_u32_e32 v36, v35
	v_min_u32_e32 v39, 32, v36
	v_subrev_u32_e32 v36, 28, v39
	v_bfe_u32 v38, v2, 3, 4
	v_lshlrev_b64 v[36:37], v36, v[2:3]
	v_sub_u32_e32 v37, 29, v39
	v_cmp_eq_u32_e64 s[0:1], 0, v38
	v_and_b32_e32 v36, 7, v36
	s_nop 0
	v_cndmask_b32_e64 v37, v38, v37, s[0:1]
	v_cndmask_b32_e64 v35, v35, v36, s[0:1]
	v_lshlrev_b32_e32 v36, 8, v2
	v_lshl_add_u32 v37, v37, 10, v18
	v_and_or_b32 v36, v36, s44, v37
	v_lshl_or_b32 v35, v35, 7, v36
	v_cvt_f32_f16_e32 v35, v35
.LBB250_69:                             ;   in Loop: Header=BB250_9 Depth=1
	s_or_b64 exec, exec, s[34:35]
	v_lshrrev_b16_e32 v2, 8, v2
	v_cmp_lt_i16_e64 s[0:1], s42, v2
	s_mov_b64 s[34:35], 0
                                        ; implicit-def: $sgpr45
	s_and_saveexec_b64 s[36:37], s[0:1]
	s_xor_b64 s[36:37], exec, s[36:37]
	s_cbranch_execnz .LBB250_167
; %bb.70:                               ;   in Loop: Header=BB250_9 Depth=1
	s_or_saveexec_b64 s[36:37], s[36:37]
	v_mov_b32_e32 v36, s45
	s_xor_b64 exec, exec, s[36:37]
	s_cbranch_execnz .LBB250_170
.LBB250_71:                             ;   in Loop: Header=BB250_9 Depth=1
	s_or_b64 exec, exec, s[36:37]
	s_and_saveexec_b64 s[36:37], s[34:35]
	s_cbranch_execz .LBB250_73
.LBB250_72:                             ;   in Loop: Header=BB250_9 Depth=1
	v_and_b32_e32 v38, 7, v2
	v_ffbh_u32_e32 v36, v38
	v_min_u32_e32 v40, 32, v36
	v_subrev_u32_e32 v36, 28, v40
	v_bfe_u32 v39, v2, 3, 4
	v_lshlrev_b64 v[36:37], v36, v[2:3]
	v_sub_u32_e32 v37, 29, v40
	v_cmp_eq_u32_e64 s[0:1], 0, v39
	v_and_b32_e32 v36, 7, v36
	v_lshlrev_b32_e32 v2, 8, v2
	v_cndmask_b32_e64 v37, v39, v37, s[0:1]
	v_lshl_add_u32 v37, v37, 10, v18
	v_cndmask_b32_e64 v36, v38, v36, s[0:1]
	v_and_or_b32 v2, v2, s44, v37
	v_lshl_or_b32 v2, v36, 7, v2
	v_cvt_f32_f16_e32 v36, v2
.LBB250_73:                             ;   in Loop: Header=BB250_9 Depth=1
	s_or_b64 exec, exec, s[36:37]
	global_load_ushort v2, v[10:11], off offset:1024
	s_mov_b64 s[0:1], 0
                                        ; implicit-def: $sgpr38
	s_waitcnt vmcnt(0)
	v_cmp_gt_i16_sdwa s[34:35], v2, s42 src0_sel:BYTE_0 src1_sel:DWORD
	s_and_saveexec_b64 s[36:37], s[34:35]
	s_xor_b64 s[34:35], exec, s[36:37]
	s_cbranch_execnz .LBB250_171
; %bb.74:                               ;   in Loop: Header=BB250_9 Depth=1
	s_or_saveexec_b64 s[34:35], s[34:35]
	v_mov_b32_e32 v37, s38
	s_xor_b64 exec, exec, s[34:35]
	s_cbranch_execnz .LBB250_174
.LBB250_75:                             ;   in Loop: Header=BB250_9 Depth=1
	s_or_b64 exec, exec, s[34:35]
	v_and_b32_e32 v2, 0xffff, v2
	s_and_saveexec_b64 s[34:35], s[0:1]
	s_cbranch_execz .LBB250_77
.LBB250_76:                             ;   in Loop: Header=BB250_9 Depth=1
	v_and_b32_e32 v37, 7, v2
	v_ffbh_u32_e32 v38, v37
	v_min_u32_e32 v41, 32, v38
	v_subrev_u32_e32 v38, 28, v41
	v_bfe_u32 v40, v2, 3, 4
	v_lshlrev_b64 v[38:39], v38, v[2:3]
	v_sub_u32_e32 v39, 29, v41
	v_cmp_eq_u32_e64 s[0:1], 0, v40
	v_and_b32_e32 v38, 7, v38
	s_nop 0
	v_cndmask_b32_e64 v39, v40, v39, s[0:1]
	v_cndmask_b32_e64 v37, v37, v38, s[0:1]
	v_lshlrev_b32_e32 v38, 8, v2
	v_lshl_add_u32 v39, v39, 10, v18
	v_and_or_b32 v38, v38, s44, v39
	v_lshl_or_b32 v37, v37, 7, v38
	v_cvt_f32_f16_e32 v37, v37
.LBB250_77:                             ;   in Loop: Header=BB250_9 Depth=1
	s_or_b64 exec, exec, s[34:35]
	v_lshrrev_b16_e32 v2, 8, v2
	v_cmp_lt_i16_e64 s[0:1], s42, v2
	s_mov_b64 s[34:35], 0
                                        ; implicit-def: $sgpr45
	s_and_saveexec_b64 s[36:37], s[0:1]
	s_xor_b64 s[36:37], exec, s[36:37]
	s_cbranch_execnz .LBB250_175
; %bb.78:                               ;   in Loop: Header=BB250_9 Depth=1
	s_or_saveexec_b64 s[36:37], s[36:37]
	v_mov_b32_e32 v38, s45
	s_xor_b64 exec, exec, s[36:37]
	s_cbranch_execnz .LBB250_178
.LBB250_79:                             ;   in Loop: Header=BB250_9 Depth=1
	s_or_b64 exec, exec, s[36:37]
	s_and_saveexec_b64 s[36:37], s[34:35]
	s_cbranch_execz .LBB250_81
.LBB250_80:                             ;   in Loop: Header=BB250_9 Depth=1
	v_and_b32_e32 v40, 7, v2
	v_ffbh_u32_e32 v38, v40
	v_min_u32_e32 v42, 32, v38
	v_subrev_u32_e32 v38, 28, v42
	v_bfe_u32 v41, v2, 3, 4
	v_lshlrev_b64 v[38:39], v38, v[2:3]
	v_sub_u32_e32 v39, 29, v42
	v_cmp_eq_u32_e64 s[0:1], 0, v41
	v_and_b32_e32 v38, 7, v38
	v_lshlrev_b32_e32 v2, 8, v2
	v_cndmask_b32_e64 v39, v41, v39, s[0:1]
	v_lshl_add_u32 v39, v39, 10, v18
	v_cndmask_b32_e64 v38, v40, v38, s[0:1]
	v_and_or_b32 v2, v2, s44, v39
	v_lshl_or_b32 v2, v38, 7, v2
	v_cvt_f32_f16_e32 v38, v2
.LBB250_81:                             ;   in Loop: Header=BB250_9 Depth=1
	s_or_b64 exec, exec, s[36:37]
	global_load_ushort v2, v[10:11], off offset:1032
	s_mov_b64 s[0:1], 0
                                        ; implicit-def: $sgpr38
	s_waitcnt vmcnt(0)
	v_cmp_gt_i16_sdwa s[34:35], v2, s42 src0_sel:BYTE_0 src1_sel:DWORD
	s_and_saveexec_b64 s[36:37], s[34:35]
	s_xor_b64 s[34:35], exec, s[36:37]
	s_cbranch_execnz .LBB250_179
; %bb.82:                               ;   in Loop: Header=BB250_9 Depth=1
	s_or_saveexec_b64 s[34:35], s[34:35]
	v_mov_b32_e32 v39, s38
	s_xor_b64 exec, exec, s[34:35]
	s_cbranch_execnz .LBB250_182
.LBB250_83:                             ;   in Loop: Header=BB250_9 Depth=1
	s_or_b64 exec, exec, s[34:35]
	v_and_b32_e32 v2, 0xffff, v2
	s_and_saveexec_b64 s[34:35], s[0:1]
	s_cbranch_execz .LBB250_85
.LBB250_84:                             ;   in Loop: Header=BB250_9 Depth=1
	v_and_b32_e32 v39, 7, v2
	v_ffbh_u32_e32 v40, v39
	v_min_u32_e32 v43, 32, v40
	v_subrev_u32_e32 v40, 28, v43
	v_bfe_u32 v42, v2, 3, 4
	v_lshlrev_b64 v[40:41], v40, v[2:3]
	v_sub_u32_e32 v41, 29, v43
	v_cmp_eq_u32_e64 s[0:1], 0, v42
	v_and_b32_e32 v40, 7, v40
	s_nop 0
	v_cndmask_b32_e64 v41, v42, v41, s[0:1]
	v_cndmask_b32_e64 v39, v39, v40, s[0:1]
	v_lshlrev_b32_e32 v40, 8, v2
	v_lshl_add_u32 v41, v41, 10, v18
	v_and_or_b32 v40, v40, s44, v41
	v_lshl_or_b32 v39, v39, 7, v40
	v_cvt_f32_f16_e32 v39, v39
.LBB250_85:                             ;   in Loop: Header=BB250_9 Depth=1
	s_or_b64 exec, exec, s[34:35]
	v_lshrrev_b16_e32 v2, 8, v2
	v_cmp_lt_i16_e64 s[0:1], s42, v2
	s_mov_b64 s[34:35], 0
                                        ; implicit-def: $sgpr45
	s_and_saveexec_b64 s[36:37], s[0:1]
	s_xor_b64 s[36:37], exec, s[36:37]
	s_cbranch_execnz .LBB250_183
; %bb.86:                               ;   in Loop: Header=BB250_9 Depth=1
	s_or_saveexec_b64 s[36:37], s[36:37]
	v_mov_b32_e32 v40, s45
	s_xor_b64 exec, exec, s[36:37]
	s_cbranch_execnz .LBB250_186
.LBB250_87:                             ;   in Loop: Header=BB250_9 Depth=1
	s_or_b64 exec, exec, s[36:37]
	s_and_saveexec_b64 s[36:37], s[34:35]
	s_cbranch_execz .LBB250_89
.LBB250_88:                             ;   in Loop: Header=BB250_9 Depth=1
	v_and_b32_e32 v42, 7, v2
	v_ffbh_u32_e32 v40, v42
	v_min_u32_e32 v44, 32, v40
	v_subrev_u32_e32 v40, 28, v44
	v_bfe_u32 v43, v2, 3, 4
	v_lshlrev_b64 v[40:41], v40, v[2:3]
	v_sub_u32_e32 v41, 29, v44
	v_cmp_eq_u32_e64 s[0:1], 0, v43
	v_and_b32_e32 v40, 7, v40
	v_lshlrev_b32_e32 v2, 8, v2
	v_cndmask_b32_e64 v41, v43, v41, s[0:1]
	v_lshl_add_u32 v41, v41, 10, v18
	v_cndmask_b32_e64 v40, v42, v40, s[0:1]
	v_and_or_b32 v2, v2, s44, v41
	v_lshl_or_b32 v2, v40, 7, v2
	v_cvt_f32_f16_e32 v40, v2
.LBB250_89:                             ;   in Loop: Header=BB250_9 Depth=1
	s_or_b64 exec, exec, s[36:37]
	global_load_ushort v2, v[10:11], off offset:1280
	s_mov_b64 s[0:1], 0
                                        ; implicit-def: $sgpr38
	s_waitcnt vmcnt(0)
	v_cmp_gt_i16_sdwa s[34:35], v2, s42 src0_sel:BYTE_0 src1_sel:DWORD
	s_and_saveexec_b64 s[36:37], s[34:35]
	s_xor_b64 s[34:35], exec, s[36:37]
	s_cbranch_execnz .LBB250_187
; %bb.90:                               ;   in Loop: Header=BB250_9 Depth=1
	s_or_saveexec_b64 s[34:35], s[34:35]
	v_mov_b32_e32 v41, s38
	s_xor_b64 exec, exec, s[34:35]
	s_cbranch_execnz .LBB250_190
.LBB250_91:                             ;   in Loop: Header=BB250_9 Depth=1
	s_or_b64 exec, exec, s[34:35]
	v_and_b32_e32 v2, 0xffff, v2
	s_and_saveexec_b64 s[34:35], s[0:1]
	s_cbranch_execz .LBB250_93
.LBB250_92:                             ;   in Loop: Header=BB250_9 Depth=1
	v_and_b32_e32 v41, 7, v2
	v_ffbh_u32_e32 v42, v41
	v_min_u32_e32 v45, 32, v42
	v_subrev_u32_e32 v42, 28, v45
	v_bfe_u32 v44, v2, 3, 4
	v_lshlrev_b64 v[42:43], v42, v[2:3]
	v_sub_u32_e32 v43, 29, v45
	v_cmp_eq_u32_e64 s[0:1], 0, v44
	v_and_b32_e32 v42, 7, v42
	s_nop 0
	v_cndmask_b32_e64 v43, v44, v43, s[0:1]
	v_cndmask_b32_e64 v41, v41, v42, s[0:1]
	v_lshlrev_b32_e32 v42, 8, v2
	v_lshl_add_u32 v43, v43, 10, v18
	v_and_or_b32 v42, v42, s44, v43
	v_lshl_or_b32 v41, v41, 7, v42
	v_cvt_f32_f16_e32 v41, v41
.LBB250_93:                             ;   in Loop: Header=BB250_9 Depth=1
	s_or_b64 exec, exec, s[34:35]
	v_lshrrev_b16_e32 v2, 8, v2
	v_cmp_lt_i16_e64 s[0:1], s42, v2
	s_mov_b64 s[34:35], 0
                                        ; implicit-def: $sgpr45
	s_and_saveexec_b64 s[36:37], s[0:1]
	s_xor_b64 s[36:37], exec, s[36:37]
	s_cbranch_execnz .LBB250_191
; %bb.94:                               ;   in Loop: Header=BB250_9 Depth=1
	s_or_saveexec_b64 s[36:37], s[36:37]
	v_mov_b32_e32 v42, s45
	s_xor_b64 exec, exec, s[36:37]
	s_cbranch_execnz .LBB250_194
.LBB250_95:                             ;   in Loop: Header=BB250_9 Depth=1
	s_or_b64 exec, exec, s[36:37]
	s_and_saveexec_b64 s[36:37], s[34:35]
	s_cbranch_execz .LBB250_97
.LBB250_96:                             ;   in Loop: Header=BB250_9 Depth=1
	v_and_b32_e32 v44, 7, v2
	v_ffbh_u32_e32 v42, v44
	v_min_u32_e32 v46, 32, v42
	v_subrev_u32_e32 v42, 28, v46
	v_bfe_u32 v45, v2, 3, 4
	v_lshlrev_b64 v[42:43], v42, v[2:3]
	v_sub_u32_e32 v43, 29, v46
	v_cmp_eq_u32_e64 s[0:1], 0, v45
	v_and_b32_e32 v42, 7, v42
	v_lshlrev_b32_e32 v2, 8, v2
	v_cndmask_b32_e64 v43, v45, v43, s[0:1]
	v_lshl_add_u32 v43, v43, 10, v18
	v_cndmask_b32_e64 v42, v44, v42, s[0:1]
	v_and_or_b32 v2, v2, s44, v43
	v_lshl_or_b32 v2, v42, 7, v2
	v_cvt_f32_f16_e32 v42, v2
.LBB250_97:                             ;   in Loop: Header=BB250_9 Depth=1
	s_or_b64 exec, exec, s[36:37]
	global_load_ushort v2, v[10:11], off offset:1288
	s_mov_b64 s[0:1], 0
                                        ; implicit-def: $sgpr38
	s_waitcnt vmcnt(0)
	v_cmp_gt_i16_sdwa s[34:35], v2, s42 src0_sel:BYTE_0 src1_sel:DWORD
	s_and_saveexec_b64 s[36:37], s[34:35]
	s_xor_b64 s[34:35], exec, s[36:37]
	s_cbranch_execnz .LBB250_195
; %bb.98:                               ;   in Loop: Header=BB250_9 Depth=1
	s_or_saveexec_b64 s[34:35], s[34:35]
	v_mov_b32_e32 v10, s38
	s_xor_b64 exec, exec, s[34:35]
	s_cbranch_execnz .LBB250_198
.LBB250_99:                             ;   in Loop: Header=BB250_9 Depth=1
	s_or_b64 exec, exec, s[34:35]
	v_and_b32_e32 v2, 0xffff, v2
	s_and_saveexec_b64 s[34:35], s[0:1]
	s_cbranch_execz .LBB250_101
.LBB250_100:                            ;   in Loop: Header=BB250_9 Depth=1
	v_and_b32_e32 v43, 7, v2
	v_ffbh_u32_e32 v10, v43
	v_min_u32_e32 v45, 32, v10
	v_subrev_u32_e32 v10, 28, v45
	v_bfe_u32 v44, v2, 3, 4
	v_lshlrev_b64 v[10:11], v10, v[2:3]
	v_sub_u32_e32 v11, 29, v45
	v_cmp_eq_u32_e64 s[0:1], 0, v44
	v_and_b32_e32 v10, 7, v10
	s_nop 0
	v_cndmask_b32_e64 v11, v44, v11, s[0:1]
	v_cndmask_b32_e64 v10, v43, v10, s[0:1]
	v_lshlrev_b32_e32 v43, 8, v2
	v_lshl_add_u32 v11, v11, 10, v18
	v_and_or_b32 v11, v43, s44, v11
	v_lshl_or_b32 v10, v10, 7, v11
	v_cvt_f32_f16_e32 v10, v10
.LBB250_101:                            ;   in Loop: Header=BB250_9 Depth=1
	s_or_b64 exec, exec, s[34:35]
	v_lshrrev_b16_e32 v2, 8, v2
	v_cmp_lt_i16_e64 s[0:1], s42, v2
	s_mov_b64 s[34:35], 0
                                        ; implicit-def: $sgpr45
	s_and_saveexec_b64 s[36:37], s[0:1]
	s_xor_b64 s[36:37], exec, s[36:37]
	s_cbranch_execnz .LBB250_199
; %bb.102:                              ;   in Loop: Header=BB250_9 Depth=1
	s_or_saveexec_b64 s[36:37], s[36:37]
	v_mov_b32_e32 v11, s45
	s_xor_b64 exec, exec, s[36:37]
	s_cbranch_execnz .LBB250_202
.LBB250_103:                            ;   in Loop: Header=BB250_9 Depth=1
	s_or_b64 exec, exec, s[36:37]
	s_and_saveexec_b64 s[36:37], s[34:35]
	s_cbranch_execz .LBB250_105
.LBB250_104:                            ;   in Loop: Header=BB250_9 Depth=1
	v_and_b32_e32 v11, 7, v2
	v_ffbh_u32_e32 v44, v11
	v_min_u32_e32 v46, 32, v44
	v_subrev_u32_e32 v44, 28, v46
	v_bfe_u32 v43, v2, 3, 4
	v_lshlrev_b64 v[44:45], v44, v[2:3]
	v_sub_u32_e32 v45, 29, v46
	v_cmp_eq_u32_e64 s[0:1], 0, v43
	v_and_b32_e32 v44, 7, v44
	v_lshlrev_b32_e32 v2, 8, v2
	v_cndmask_b32_e64 v43, v43, v45, s[0:1]
	v_lshl_add_u32 v43, v43, 10, v18
	v_cndmask_b32_e64 v11, v11, v44, s[0:1]
	v_and_or_b32 v2, v2, s44, v43
	v_lshl_or_b32 v2, v11, 7, v2
	v_cvt_f32_f16_e32 v11, v2
.LBB250_105:                            ;   in Loop: Header=BB250_9 Depth=1
	s_or_b64 exec, exec, s[36:37]
	ds_read_b32 v2, v15
	v_fma_mixlo_f16 v21, v20, v21, 0
	v_fma_mixlo_f16 v22, v20, v22, 0
	v_and_b32_e32 v21, 0xffff, v21
	v_and_b32_e32 v22, 0xffff, v22
	s_waitcnt lgkmcnt(0)
	v_lshrrev_b32_e32 v43, 16, v2
	v_and_b32_e32 v2, 0xffff, v2
	;;#ASMSTART
	v_cvt_f32_f16 v2, v2;
	;;#ASMEND
	;;#ASMSTART
	v_cvt_f32_f16 v43, v43;
	;;#ASMEND
	;;#ASMSTART
	v_cvt_f32_f16 v21, v21;
	;;#ASMEND
	;;#ASMSTART
	v_cvt_f32_f16 v22, v22;
	;;#ASMEND
	ds_read_b32 v44, v15 offset:4
	v_fma_mixlo_f16 v23, v20, v23, 0
	v_fma_mixlo_f16 v24, v20, v24, 0
	v_and_b32_e32 v23, 0xffff, v23
	v_and_b32_e32 v24, 0xffff, v24
	s_waitcnt lgkmcnt(0)
	v_lshrrev_b32_e32 v45, 16, v44
	v_and_b32_e32 v44, 0xffff, v44
	;;#ASMSTART
	v_cvt_f32_f16 v44, v44;
	;;#ASMEND
	;;#ASMSTART
	v_cvt_f32_f16 v45, v45;
	;;#ASMEND
	;;#ASMSTART
	v_cvt_f32_f16 v23, v23;
	;;#ASMEND
	;;#ASMSTART
	v_cvt_f32_f16 v24, v24;
	;;#ASMEND
	ds_read_b32 v46, v15 offset:8
	;; [unrolled: 20-line block ×6, first 2 shown]
	v_fma_mixlo_f16 v41, v20, v41, 0
	v_fma_mixlo_f16 v42, v20, v42, 0
	;; [unrolled: 1-line block ×12, first 2 shown]
	v_mul_f32_e32 v20, v44, v23
	v_fmac_f32_e32 v20, v2, v21
	s_waitcnt lgkmcnt(0)
	v_lshrrev_b32_e32 v2, 16, v54
	v_and_b32_e32 v21, 0xffff, v54
	v_and_b32_e32 v23, 0xffff, v33
	;; [unrolled: 1-line block ×3, first 2 shown]
	;;#ASMSTART
	v_cvt_f32_f16 v21, v21;
	;;#ASMEND
	;;#ASMSTART
	v_cvt_f32_f16 v2, v2;
	;;#ASMEND
	;; [unrolled: 3-line block ×4, first 2 shown]
	ds_read_b32 v34, v15 offset:28
	v_mul_f32_e32 v24, v45, v24
	v_fmac_f32_e32 v24, v43, v22
	v_fmac_f32_e32 v20, v46, v25
	v_fmac_f32_e32 v24, v47, v26
	s_waitcnt lgkmcnt(0)
	v_lshrrev_b32_e32 v22, 16, v34
	v_and_b32_e32 v25, 0xffff, v34
	v_and_b32_e32 v26, 0xffff, v35
	v_and_b32_e32 v34, 0xffff, v36
	;;#ASMSTART
	v_cvt_f32_f16 v25, v25;
	;;#ASMEND
	;;#ASMSTART
	v_cvt_f32_f16 v22, v22;
	;;#ASMEND
	;;#ASMSTART
	v_cvt_f32_f16 v26, v26;
	;;#ASMEND
	;;#ASMSTART
	v_cvt_f32_f16 v34, v34;
	;;#ASMEND
	ds_read_b32 v35, v15 offset:32
	v_fmac_f32_e32 v20, v48, v27
	v_fmac_f32_e32 v24, v49, v28
	v_fmac_f32_e32 v20, v50, v29
	v_fmac_f32_e32 v24, v51, v30
	s_waitcnt lgkmcnt(0)
	v_lshrrev_b32_e32 v27, 16, v35
	v_and_b32_e32 v28, 0xffff, v35
	v_and_b32_e32 v29, 0xffff, v37
	v_and_b32_e32 v30, 0xffff, v38
	;;#ASMSTART
	v_cvt_f32_f16 v28, v28;
	;;#ASMEND
	;;#ASMSTART
	v_cvt_f32_f16 v27, v27;
	;;#ASMEND
	;;#ASMSTART
	v_cvt_f32_f16 v29, v29;
	;;#ASMEND
	;;#ASMSTART
	v_cvt_f32_f16 v30, v30;
	;;#ASMEND
	ds_read_b32 v35, v15 offset:36
	v_fmac_f32_e32 v20, v52, v31
	v_fmac_f32_e32 v24, v53, v32
	v_fmac_f32_e32 v20, v21, v23
	v_fmac_f32_e32 v24, v2, v33
	s_waitcnt lgkmcnt(0)
	v_lshrrev_b32_e32 v2, 16, v35
	v_and_b32_e32 v21, 0xffff, v35
	v_and_b32_e32 v23, 0xffff, v39
	v_and_b32_e32 v31, 0xffff, v40
	;;#ASMSTART
	v_cvt_f32_f16 v21, v21;
	;;#ASMEND
	;;#ASMSTART
	v_cvt_f32_f16 v2, v2;
	;;#ASMEND
	;;#ASMSTART
	v_cvt_f32_f16 v23, v23;
	;;#ASMEND
	;;#ASMSTART
	v_cvt_f32_f16 v31, v31;
	;;#ASMEND
	ds_read_b32 v32, v15 offset:40
	v_fmac_f32_e32 v24, v22, v34
	v_fmac_f32_e32 v20, v25, v26
	v_fmac_f32_e32 v24, v27, v30
	v_and_b32_e32 v26, 0xffff, v41
	s_waitcnt lgkmcnt(0)
	v_lshrrev_b32_e32 v22, 16, v32
	v_and_b32_e32 v25, 0xffff, v32
	v_and_b32_e32 v27, 0xffff, v42
	v_fmac_f32_e32 v20, v28, v29
	;;#ASMSTART
	v_cvt_f32_f16 v25, v25;
	;;#ASMEND
	;;#ASMSTART
	v_cvt_f32_f16 v22, v22;
	;;#ASMEND
	;; [unrolled: 3-line block ×4, first 2 shown]
	ds_read_b32 v28, v15 offset:44
	v_fmac_f32_e32 v20, v21, v23
	v_fmac_f32_e32 v24, v2, v31
	;; [unrolled: 1-line block ×3, first 2 shown]
	v_and_b32_e32 v10, 0xffff, v10
	s_waitcnt lgkmcnt(0)
	v_lshrrev_b32_e32 v2, 16, v28
	v_and_b32_e32 v21, 0xffff, v28
	;;#ASMSTART
	v_cvt_f32_f16 v21, v21;
	;;#ASMEND
	;;#ASMSTART
	v_cvt_f32_f16 v2, v2;
	;;#ASMEND
	v_and_b32_e32 v11, 0xffff, v11
	;;#ASMSTART
	v_cvt_f32_f16 v10, v10;
	;;#ASMEND
	;;#ASMSTART
	v_cvt_f32_f16 v11, v11;
	;;#ASMEND
	v_fmac_f32_e32 v20, v25, v26
	v_fmac_f32_e32 v24, v2, v11
	v_and_b32_e32 v2, 64, v14
	v_add_u32_e32 v2, 64, v2
	v_xor_b32_e32 v11, 2, v14
	v_cmp_lt_i32_e64 s[0:1], v11, v2
	v_fmac_f32_e32 v20, v21, v10
	v_add_f32_e32 v10, v20, v24
	v_cndmask_b32_e64 v11, v14, v11, s[0:1]
	v_lshlrev_b32_e32 v11, 2, v11
	ds_bpermute_b32 v11, v11, v10
	s_waitcnt lgkmcnt(0)
	v_add_f32_e32 v10, v10, v11
	v_xor_b32_e32 v11, 1, v14
	v_cmp_lt_i32_e64 s[0:1], v11, v2
	s_nop 1
	v_cndmask_b32_e64 v11, v14, v11, s[0:1]
	v_lshlrev_b32_e32 v11, 2, v11
	ds_bpermute_b32 v11, v11, v10
	s_and_saveexec_b64 s[34:35], vcc
	s_cbranch_execz .LBB250_8
; %bb.106:                              ;   in Loop: Header=BB250_9 Depth=1
	v_add_u32_e32 v20, s41, v16
	v_cvt_f32_i32_e32 v20, v20
	s_waitcnt lgkmcnt(0)
	v_add_f32_e32 v10, v10, v11
	v_cmp_gt_i32_e64 s[0:1], s33, v16
	v_max_f32_e32 v11, v13, v13
	v_mul_f32_e32 v20, s28, v20
	v_cndmask_b32_e64 v20, 0, v20, s[2:3]
	v_fmac_f32_e32 v20, s29, v10
	v_cndmask_b32_e64 v10, 0, v20, s[0:1]
	ds_write_b32 v17, v10
	v_max_f32_e32 v10, v11, v20
	v_cndmask_b32_e64 v13, v13, v10, s[0:1]
	s_branch .LBB250_8
.LBB250_107:                            ;   in Loop: Header=BB250_9 Depth=1
	v_cmp_eq_u16_sdwa s[46:47], v2, s43 src0_sel:BYTE_0 src1_sel:DWORD
	s_mov_b64 s[0:1], -1
                                        ; implicit-def: $sgpr38
	s_and_saveexec_b64 s[36:37], s[46:47]
; %bb.108:                              ;   in Loop: Header=BB250_9 Depth=1
	s_mov_b32 s38, 0x7fc02000
	s_xor_b64 s[0:1], exec, -1
; %bb.109:                              ;   in Loop: Header=BB250_9 Depth=1
	s_or_b64 exec, exec, s[36:37]
	s_and_b64 s[0:1], s[0:1], exec
	s_or_saveexec_b64 s[34:35], s[34:35]
	v_mov_b32_e32 v21, s38
	s_xor_b64 exec, exec, s[34:35]
	s_cbranch_execz .LBB250_11
.LBB250_110:                            ;   in Loop: Header=BB250_9 Depth=1
	v_cmp_ne_u16_sdwa s[36:37], v2, v3 src0_sel:BYTE_0 src1_sel:DWORD
	s_andn2_b64 s[0:1], s[0:1], exec
	s_and_b64 s[36:37], s[36:37], exec
	v_mov_b32_e32 v21, 0
	s_or_b64 s[0:1], s[0:1], s[36:37]
	s_or_b64 exec, exec, s[34:35]
	v_and_b32_e32 v2, 0xffff, v2
	s_and_saveexec_b64 s[34:35], s[0:1]
	s_cbranch_execnz .LBB250_12
	s_branch .LBB250_13
.LBB250_111:                            ;   in Loop: Header=BB250_9 Depth=1
	v_cmp_eq_u16_e64 s[0:1], s43, v2
	s_mov_b64 s[34:35], -1
                                        ; implicit-def: $sgpr45
	s_and_saveexec_b64 s[38:39], s[0:1]
; %bb.112:                              ;   in Loop: Header=BB250_9 Depth=1
	s_mov_b32 s45, 0x7fc02000
	s_xor_b64 s[34:35], exec, -1
; %bb.113:                              ;   in Loop: Header=BB250_9 Depth=1
	s_or_b64 exec, exec, s[38:39]
	s_and_b64 s[34:35], s[34:35], exec
	s_or_saveexec_b64 s[36:37], s[36:37]
	v_mov_b32_e32 v22, s45
	s_xor_b64 exec, exec, s[36:37]
	s_cbranch_execz .LBB250_15
.LBB250_114:                            ;   in Loop: Header=BB250_9 Depth=1
	v_cmp_ne_u16_e64 s[0:1], 0, v2
	s_andn2_b64 s[34:35], s[34:35], exec
	s_and_b64 s[0:1], s[0:1], exec
	v_mov_b32_e32 v22, 0
	s_or_b64 s[34:35], s[34:35], s[0:1]
	s_or_b64 exec, exec, s[36:37]
	s_and_saveexec_b64 s[36:37], s[34:35]
	s_cbranch_execnz .LBB250_16
	s_branch .LBB250_17
.LBB250_115:                            ;   in Loop: Header=BB250_9 Depth=1
	v_cmp_eq_u16_sdwa s[46:47], v2, s43 src0_sel:BYTE_0 src1_sel:DWORD
	s_mov_b64 s[0:1], -1
                                        ; implicit-def: $sgpr38
	s_and_saveexec_b64 s[36:37], s[46:47]
; %bb.116:                              ;   in Loop: Header=BB250_9 Depth=1
	s_mov_b32 s38, 0x7fc02000
	s_xor_b64 s[0:1], exec, -1
; %bb.117:                              ;   in Loop: Header=BB250_9 Depth=1
	s_or_b64 exec, exec, s[36:37]
	s_and_b64 s[0:1], s[0:1], exec
	s_or_saveexec_b64 s[34:35], s[34:35]
	v_mov_b32_e32 v23, s38
	s_xor_b64 exec, exec, s[34:35]
	s_cbranch_execz .LBB250_19
.LBB250_118:                            ;   in Loop: Header=BB250_9 Depth=1
	v_cmp_ne_u16_sdwa s[36:37], v2, v3 src0_sel:BYTE_0 src1_sel:DWORD
	s_andn2_b64 s[0:1], s[0:1], exec
	s_and_b64 s[36:37], s[36:37], exec
	v_mov_b32_e32 v23, 0
	s_or_b64 s[0:1], s[0:1], s[36:37]
	s_or_b64 exec, exec, s[34:35]
	v_and_b32_e32 v2, 0xffff, v2
	s_and_saveexec_b64 s[34:35], s[0:1]
	s_cbranch_execnz .LBB250_20
	s_branch .LBB250_21
.LBB250_119:                            ;   in Loop: Header=BB250_9 Depth=1
	v_cmp_eq_u16_e64 s[0:1], s43, v2
	s_mov_b64 s[34:35], -1
                                        ; implicit-def: $sgpr45
	s_and_saveexec_b64 s[38:39], s[0:1]
; %bb.120:                              ;   in Loop: Header=BB250_9 Depth=1
	s_mov_b32 s45, 0x7fc02000
	s_xor_b64 s[34:35], exec, -1
; %bb.121:                              ;   in Loop: Header=BB250_9 Depth=1
	s_or_b64 exec, exec, s[38:39]
	s_and_b64 s[34:35], s[34:35], exec
	s_or_saveexec_b64 s[36:37], s[36:37]
	v_mov_b32_e32 v24, s45
	s_xor_b64 exec, exec, s[36:37]
	s_cbranch_execz .LBB250_23
.LBB250_122:                            ;   in Loop: Header=BB250_9 Depth=1
	v_cmp_ne_u16_e64 s[0:1], 0, v2
	s_andn2_b64 s[34:35], s[34:35], exec
	s_and_b64 s[0:1], s[0:1], exec
	v_mov_b32_e32 v24, 0
	s_or_b64 s[34:35], s[34:35], s[0:1]
	s_or_b64 exec, exec, s[36:37]
	s_and_saveexec_b64 s[36:37], s[34:35]
	s_cbranch_execnz .LBB250_24
	s_branch .LBB250_25
.LBB250_123:                            ;   in Loop: Header=BB250_9 Depth=1
	v_cmp_eq_u16_sdwa s[46:47], v2, s43 src0_sel:BYTE_0 src1_sel:DWORD
	s_mov_b64 s[0:1], -1
                                        ; implicit-def: $sgpr38
	s_and_saveexec_b64 s[36:37], s[46:47]
; %bb.124:                              ;   in Loop: Header=BB250_9 Depth=1
	s_mov_b32 s38, 0x7fc02000
	s_xor_b64 s[0:1], exec, -1
; %bb.125:                              ;   in Loop: Header=BB250_9 Depth=1
	s_or_b64 exec, exec, s[36:37]
	s_and_b64 s[0:1], s[0:1], exec
	s_or_saveexec_b64 s[34:35], s[34:35]
	v_mov_b32_e32 v25, s38
	s_xor_b64 exec, exec, s[34:35]
	s_cbranch_execz .LBB250_27
.LBB250_126:                            ;   in Loop: Header=BB250_9 Depth=1
	v_cmp_ne_u16_sdwa s[36:37], v2, v3 src0_sel:BYTE_0 src1_sel:DWORD
	s_andn2_b64 s[0:1], s[0:1], exec
	s_and_b64 s[36:37], s[36:37], exec
	v_mov_b32_e32 v25, 0
	s_or_b64 s[0:1], s[0:1], s[36:37]
	s_or_b64 exec, exec, s[34:35]
	v_and_b32_e32 v2, 0xffff, v2
	s_and_saveexec_b64 s[34:35], s[0:1]
	s_cbranch_execnz .LBB250_28
	s_branch .LBB250_29
.LBB250_127:                            ;   in Loop: Header=BB250_9 Depth=1
	v_cmp_eq_u16_e64 s[0:1], s43, v2
	s_mov_b64 s[34:35], -1
                                        ; implicit-def: $sgpr45
	s_and_saveexec_b64 s[38:39], s[0:1]
; %bb.128:                              ;   in Loop: Header=BB250_9 Depth=1
	s_mov_b32 s45, 0x7fc02000
	s_xor_b64 s[34:35], exec, -1
; %bb.129:                              ;   in Loop: Header=BB250_9 Depth=1
	s_or_b64 exec, exec, s[38:39]
	s_and_b64 s[34:35], s[34:35], exec
	s_or_saveexec_b64 s[36:37], s[36:37]
	v_mov_b32_e32 v26, s45
	s_xor_b64 exec, exec, s[36:37]
	s_cbranch_execz .LBB250_31
.LBB250_130:                            ;   in Loop: Header=BB250_9 Depth=1
	v_cmp_ne_u16_e64 s[0:1], 0, v2
	s_andn2_b64 s[34:35], s[34:35], exec
	s_and_b64 s[0:1], s[0:1], exec
	v_mov_b32_e32 v26, 0
	s_or_b64 s[34:35], s[34:35], s[0:1]
	s_or_b64 exec, exec, s[36:37]
	s_and_saveexec_b64 s[36:37], s[34:35]
	s_cbranch_execnz .LBB250_32
	s_branch .LBB250_33
.LBB250_131:                            ;   in Loop: Header=BB250_9 Depth=1
	v_cmp_eq_u16_sdwa s[46:47], v2, s43 src0_sel:BYTE_0 src1_sel:DWORD
	s_mov_b64 s[0:1], -1
                                        ; implicit-def: $sgpr38
	s_and_saveexec_b64 s[36:37], s[46:47]
; %bb.132:                              ;   in Loop: Header=BB250_9 Depth=1
	s_mov_b32 s38, 0x7fc02000
	s_xor_b64 s[0:1], exec, -1
; %bb.133:                              ;   in Loop: Header=BB250_9 Depth=1
	s_or_b64 exec, exec, s[36:37]
	s_and_b64 s[0:1], s[0:1], exec
	s_or_saveexec_b64 s[34:35], s[34:35]
	v_mov_b32_e32 v27, s38
	s_xor_b64 exec, exec, s[34:35]
	s_cbranch_execz .LBB250_35
.LBB250_134:                            ;   in Loop: Header=BB250_9 Depth=1
	v_cmp_ne_u16_sdwa s[36:37], v2, v3 src0_sel:BYTE_0 src1_sel:DWORD
	s_andn2_b64 s[0:1], s[0:1], exec
	s_and_b64 s[36:37], s[36:37], exec
	v_mov_b32_e32 v27, 0
	s_or_b64 s[0:1], s[0:1], s[36:37]
	s_or_b64 exec, exec, s[34:35]
	v_and_b32_e32 v2, 0xffff, v2
	s_and_saveexec_b64 s[34:35], s[0:1]
	s_cbranch_execnz .LBB250_36
	s_branch .LBB250_37
.LBB250_135:                            ;   in Loop: Header=BB250_9 Depth=1
	v_cmp_eq_u16_e64 s[0:1], s43, v2
	s_mov_b64 s[34:35], -1
                                        ; implicit-def: $sgpr45
	s_and_saveexec_b64 s[38:39], s[0:1]
; %bb.136:                              ;   in Loop: Header=BB250_9 Depth=1
	s_mov_b32 s45, 0x7fc02000
	s_xor_b64 s[34:35], exec, -1
; %bb.137:                              ;   in Loop: Header=BB250_9 Depth=1
	s_or_b64 exec, exec, s[38:39]
	s_and_b64 s[34:35], s[34:35], exec
	s_or_saveexec_b64 s[36:37], s[36:37]
	v_mov_b32_e32 v28, s45
	s_xor_b64 exec, exec, s[36:37]
	s_cbranch_execz .LBB250_39
.LBB250_138:                            ;   in Loop: Header=BB250_9 Depth=1
	v_cmp_ne_u16_e64 s[0:1], 0, v2
	s_andn2_b64 s[34:35], s[34:35], exec
	s_and_b64 s[0:1], s[0:1], exec
	v_mov_b32_e32 v28, 0
	s_or_b64 s[34:35], s[34:35], s[0:1]
	s_or_b64 exec, exec, s[36:37]
	s_and_saveexec_b64 s[36:37], s[34:35]
	s_cbranch_execnz .LBB250_40
	s_branch .LBB250_41
.LBB250_139:                            ;   in Loop: Header=BB250_9 Depth=1
	v_cmp_eq_u16_sdwa s[46:47], v2, s43 src0_sel:BYTE_0 src1_sel:DWORD
	s_mov_b64 s[0:1], -1
                                        ; implicit-def: $sgpr38
	s_and_saveexec_b64 s[36:37], s[46:47]
; %bb.140:                              ;   in Loop: Header=BB250_9 Depth=1
	s_mov_b32 s38, 0x7fc02000
	s_xor_b64 s[0:1], exec, -1
; %bb.141:                              ;   in Loop: Header=BB250_9 Depth=1
	s_or_b64 exec, exec, s[36:37]
	s_and_b64 s[0:1], s[0:1], exec
	s_or_saveexec_b64 s[34:35], s[34:35]
	v_mov_b32_e32 v29, s38
	s_xor_b64 exec, exec, s[34:35]
	s_cbranch_execz .LBB250_43
.LBB250_142:                            ;   in Loop: Header=BB250_9 Depth=1
	v_cmp_ne_u16_sdwa s[36:37], v2, v3 src0_sel:BYTE_0 src1_sel:DWORD
	s_andn2_b64 s[0:1], s[0:1], exec
	s_and_b64 s[36:37], s[36:37], exec
	v_mov_b32_e32 v29, 0
	s_or_b64 s[0:1], s[0:1], s[36:37]
	s_or_b64 exec, exec, s[34:35]
	v_and_b32_e32 v2, 0xffff, v2
	s_and_saveexec_b64 s[34:35], s[0:1]
	s_cbranch_execnz .LBB250_44
	s_branch .LBB250_45
.LBB250_143:                            ;   in Loop: Header=BB250_9 Depth=1
	v_cmp_eq_u16_e64 s[0:1], s43, v2
	s_mov_b64 s[34:35], -1
                                        ; implicit-def: $sgpr45
	s_and_saveexec_b64 s[38:39], s[0:1]
; %bb.144:                              ;   in Loop: Header=BB250_9 Depth=1
	s_mov_b32 s45, 0x7fc02000
	s_xor_b64 s[34:35], exec, -1
; %bb.145:                              ;   in Loop: Header=BB250_9 Depth=1
	s_or_b64 exec, exec, s[38:39]
	s_and_b64 s[34:35], s[34:35], exec
	s_or_saveexec_b64 s[36:37], s[36:37]
	v_mov_b32_e32 v30, s45
	s_xor_b64 exec, exec, s[36:37]
	s_cbranch_execz .LBB250_47
.LBB250_146:                            ;   in Loop: Header=BB250_9 Depth=1
	v_cmp_ne_u16_e64 s[0:1], 0, v2
	s_andn2_b64 s[34:35], s[34:35], exec
	s_and_b64 s[0:1], s[0:1], exec
	v_mov_b32_e32 v30, 0
	s_or_b64 s[34:35], s[34:35], s[0:1]
	s_or_b64 exec, exec, s[36:37]
	s_and_saveexec_b64 s[36:37], s[34:35]
	s_cbranch_execnz .LBB250_48
	s_branch .LBB250_49
.LBB250_147:                            ;   in Loop: Header=BB250_9 Depth=1
	v_cmp_eq_u16_sdwa s[46:47], v2, s43 src0_sel:BYTE_0 src1_sel:DWORD
	s_mov_b64 s[0:1], -1
                                        ; implicit-def: $sgpr38
	s_and_saveexec_b64 s[36:37], s[46:47]
; %bb.148:                              ;   in Loop: Header=BB250_9 Depth=1
	s_mov_b32 s38, 0x7fc02000
	s_xor_b64 s[0:1], exec, -1
; %bb.149:                              ;   in Loop: Header=BB250_9 Depth=1
	s_or_b64 exec, exec, s[36:37]
	s_and_b64 s[0:1], s[0:1], exec
	s_or_saveexec_b64 s[34:35], s[34:35]
	v_mov_b32_e32 v31, s38
	s_xor_b64 exec, exec, s[34:35]
	s_cbranch_execz .LBB250_51
.LBB250_150:                            ;   in Loop: Header=BB250_9 Depth=1
	v_cmp_ne_u16_sdwa s[36:37], v2, v3 src0_sel:BYTE_0 src1_sel:DWORD
	s_andn2_b64 s[0:1], s[0:1], exec
	s_and_b64 s[36:37], s[36:37], exec
	v_mov_b32_e32 v31, 0
	s_or_b64 s[0:1], s[0:1], s[36:37]
	s_or_b64 exec, exec, s[34:35]
	v_and_b32_e32 v2, 0xffff, v2
	s_and_saveexec_b64 s[34:35], s[0:1]
	s_cbranch_execnz .LBB250_52
	s_branch .LBB250_53
.LBB250_151:                            ;   in Loop: Header=BB250_9 Depth=1
	v_cmp_eq_u16_e64 s[0:1], s43, v2
	s_mov_b64 s[34:35], -1
                                        ; implicit-def: $sgpr45
	s_and_saveexec_b64 s[38:39], s[0:1]
; %bb.152:                              ;   in Loop: Header=BB250_9 Depth=1
	s_mov_b32 s45, 0x7fc02000
	s_xor_b64 s[34:35], exec, -1
; %bb.153:                              ;   in Loop: Header=BB250_9 Depth=1
	s_or_b64 exec, exec, s[38:39]
	s_and_b64 s[34:35], s[34:35], exec
	s_or_saveexec_b64 s[36:37], s[36:37]
	v_mov_b32_e32 v32, s45
	s_xor_b64 exec, exec, s[36:37]
	s_cbranch_execz .LBB250_55
.LBB250_154:                            ;   in Loop: Header=BB250_9 Depth=1
	v_cmp_ne_u16_e64 s[0:1], 0, v2
	s_andn2_b64 s[34:35], s[34:35], exec
	s_and_b64 s[0:1], s[0:1], exec
	v_mov_b32_e32 v32, 0
	s_or_b64 s[34:35], s[34:35], s[0:1]
	s_or_b64 exec, exec, s[36:37]
	s_and_saveexec_b64 s[36:37], s[34:35]
	s_cbranch_execnz .LBB250_56
	s_branch .LBB250_57
.LBB250_155:                            ;   in Loop: Header=BB250_9 Depth=1
	v_cmp_eq_u16_sdwa s[46:47], v2, s43 src0_sel:BYTE_0 src1_sel:DWORD
	s_mov_b64 s[0:1], -1
                                        ; implicit-def: $sgpr38
	s_and_saveexec_b64 s[36:37], s[46:47]
; %bb.156:                              ;   in Loop: Header=BB250_9 Depth=1
	s_mov_b32 s38, 0x7fc02000
	s_xor_b64 s[0:1], exec, -1
; %bb.157:                              ;   in Loop: Header=BB250_9 Depth=1
	s_or_b64 exec, exec, s[36:37]
	s_and_b64 s[0:1], s[0:1], exec
	s_or_saveexec_b64 s[34:35], s[34:35]
	v_mov_b32_e32 v33, s38
	s_xor_b64 exec, exec, s[34:35]
	s_cbranch_execz .LBB250_59
.LBB250_158:                            ;   in Loop: Header=BB250_9 Depth=1
	v_cmp_ne_u16_sdwa s[36:37], v2, v3 src0_sel:BYTE_0 src1_sel:DWORD
	s_andn2_b64 s[0:1], s[0:1], exec
	s_and_b64 s[36:37], s[36:37], exec
	v_mov_b32_e32 v33, 0
	s_or_b64 s[0:1], s[0:1], s[36:37]
	s_or_b64 exec, exec, s[34:35]
	v_and_b32_e32 v2, 0xffff, v2
	s_and_saveexec_b64 s[34:35], s[0:1]
	s_cbranch_execnz .LBB250_60
	s_branch .LBB250_61
.LBB250_159:                            ;   in Loop: Header=BB250_9 Depth=1
	v_cmp_eq_u16_e64 s[0:1], s43, v2
	s_mov_b64 s[34:35], -1
                                        ; implicit-def: $sgpr45
	s_and_saveexec_b64 s[38:39], s[0:1]
; %bb.160:                              ;   in Loop: Header=BB250_9 Depth=1
	s_mov_b32 s45, 0x7fc02000
	s_xor_b64 s[34:35], exec, -1
; %bb.161:                              ;   in Loop: Header=BB250_9 Depth=1
	s_or_b64 exec, exec, s[38:39]
	s_and_b64 s[34:35], s[34:35], exec
	s_or_saveexec_b64 s[36:37], s[36:37]
	v_mov_b32_e32 v34, s45
	s_xor_b64 exec, exec, s[36:37]
	s_cbranch_execz .LBB250_63
.LBB250_162:                            ;   in Loop: Header=BB250_9 Depth=1
	v_cmp_ne_u16_e64 s[0:1], 0, v2
	s_andn2_b64 s[34:35], s[34:35], exec
	s_and_b64 s[0:1], s[0:1], exec
	v_mov_b32_e32 v34, 0
	s_or_b64 s[34:35], s[34:35], s[0:1]
	s_or_b64 exec, exec, s[36:37]
	s_and_saveexec_b64 s[36:37], s[34:35]
	s_cbranch_execnz .LBB250_64
	s_branch .LBB250_65
.LBB250_163:                            ;   in Loop: Header=BB250_9 Depth=1
	v_cmp_eq_u16_sdwa s[46:47], v2, s43 src0_sel:BYTE_0 src1_sel:DWORD
	s_mov_b64 s[0:1], -1
                                        ; implicit-def: $sgpr38
	s_and_saveexec_b64 s[36:37], s[46:47]
; %bb.164:                              ;   in Loop: Header=BB250_9 Depth=1
	s_mov_b32 s38, 0x7fc02000
	s_xor_b64 s[0:1], exec, -1
; %bb.165:                              ;   in Loop: Header=BB250_9 Depth=1
	s_or_b64 exec, exec, s[36:37]
	s_and_b64 s[0:1], s[0:1], exec
	s_or_saveexec_b64 s[34:35], s[34:35]
	v_mov_b32_e32 v35, s38
	s_xor_b64 exec, exec, s[34:35]
	s_cbranch_execz .LBB250_67
.LBB250_166:                            ;   in Loop: Header=BB250_9 Depth=1
	v_cmp_ne_u16_sdwa s[36:37], v2, v3 src0_sel:BYTE_0 src1_sel:DWORD
	s_andn2_b64 s[0:1], s[0:1], exec
	s_and_b64 s[36:37], s[36:37], exec
	v_mov_b32_e32 v35, 0
	s_or_b64 s[0:1], s[0:1], s[36:37]
	s_or_b64 exec, exec, s[34:35]
	v_and_b32_e32 v2, 0xffff, v2
	s_and_saveexec_b64 s[34:35], s[0:1]
	s_cbranch_execnz .LBB250_68
	s_branch .LBB250_69
.LBB250_167:                            ;   in Loop: Header=BB250_9 Depth=1
	v_cmp_eq_u16_e64 s[0:1], s43, v2
	s_mov_b64 s[34:35], -1
                                        ; implicit-def: $sgpr45
	s_and_saveexec_b64 s[38:39], s[0:1]
; %bb.168:                              ;   in Loop: Header=BB250_9 Depth=1
	s_mov_b32 s45, 0x7fc02000
	s_xor_b64 s[34:35], exec, -1
; %bb.169:                              ;   in Loop: Header=BB250_9 Depth=1
	s_or_b64 exec, exec, s[38:39]
	s_and_b64 s[34:35], s[34:35], exec
	s_or_saveexec_b64 s[36:37], s[36:37]
	v_mov_b32_e32 v36, s45
	s_xor_b64 exec, exec, s[36:37]
	s_cbranch_execz .LBB250_71
.LBB250_170:                            ;   in Loop: Header=BB250_9 Depth=1
	v_cmp_ne_u16_e64 s[0:1], 0, v2
	s_andn2_b64 s[34:35], s[34:35], exec
	s_and_b64 s[0:1], s[0:1], exec
	v_mov_b32_e32 v36, 0
	s_or_b64 s[34:35], s[34:35], s[0:1]
	s_or_b64 exec, exec, s[36:37]
	s_and_saveexec_b64 s[36:37], s[34:35]
	s_cbranch_execnz .LBB250_72
	s_branch .LBB250_73
.LBB250_171:                            ;   in Loop: Header=BB250_9 Depth=1
	v_cmp_eq_u16_sdwa s[46:47], v2, s43 src0_sel:BYTE_0 src1_sel:DWORD
	s_mov_b64 s[0:1], -1
                                        ; implicit-def: $sgpr38
	s_and_saveexec_b64 s[36:37], s[46:47]
; %bb.172:                              ;   in Loop: Header=BB250_9 Depth=1
	s_mov_b32 s38, 0x7fc02000
	s_xor_b64 s[0:1], exec, -1
; %bb.173:                              ;   in Loop: Header=BB250_9 Depth=1
	s_or_b64 exec, exec, s[36:37]
	s_and_b64 s[0:1], s[0:1], exec
	s_or_saveexec_b64 s[34:35], s[34:35]
	v_mov_b32_e32 v37, s38
	s_xor_b64 exec, exec, s[34:35]
	s_cbranch_execz .LBB250_75
.LBB250_174:                            ;   in Loop: Header=BB250_9 Depth=1
	v_cmp_ne_u16_sdwa s[36:37], v2, v3 src0_sel:BYTE_0 src1_sel:DWORD
	s_andn2_b64 s[0:1], s[0:1], exec
	s_and_b64 s[36:37], s[36:37], exec
	v_mov_b32_e32 v37, 0
	s_or_b64 s[0:1], s[0:1], s[36:37]
	s_or_b64 exec, exec, s[34:35]
	v_and_b32_e32 v2, 0xffff, v2
	s_and_saveexec_b64 s[34:35], s[0:1]
	s_cbranch_execnz .LBB250_76
	s_branch .LBB250_77
.LBB250_175:                            ;   in Loop: Header=BB250_9 Depth=1
	v_cmp_eq_u16_e64 s[0:1], s43, v2
	s_mov_b64 s[34:35], -1
                                        ; implicit-def: $sgpr45
	s_and_saveexec_b64 s[38:39], s[0:1]
; %bb.176:                              ;   in Loop: Header=BB250_9 Depth=1
	s_mov_b32 s45, 0x7fc02000
	s_xor_b64 s[34:35], exec, -1
; %bb.177:                              ;   in Loop: Header=BB250_9 Depth=1
	s_or_b64 exec, exec, s[38:39]
	s_and_b64 s[34:35], s[34:35], exec
	s_or_saveexec_b64 s[36:37], s[36:37]
	v_mov_b32_e32 v38, s45
	s_xor_b64 exec, exec, s[36:37]
	s_cbranch_execz .LBB250_79
.LBB250_178:                            ;   in Loop: Header=BB250_9 Depth=1
	v_cmp_ne_u16_e64 s[0:1], 0, v2
	s_andn2_b64 s[34:35], s[34:35], exec
	s_and_b64 s[0:1], s[0:1], exec
	v_mov_b32_e32 v38, 0
	s_or_b64 s[34:35], s[34:35], s[0:1]
	s_or_b64 exec, exec, s[36:37]
	s_and_saveexec_b64 s[36:37], s[34:35]
	s_cbranch_execnz .LBB250_80
	s_branch .LBB250_81
.LBB250_179:                            ;   in Loop: Header=BB250_9 Depth=1
	v_cmp_eq_u16_sdwa s[46:47], v2, s43 src0_sel:BYTE_0 src1_sel:DWORD
	s_mov_b64 s[0:1], -1
                                        ; implicit-def: $sgpr38
	s_and_saveexec_b64 s[36:37], s[46:47]
; %bb.180:                              ;   in Loop: Header=BB250_9 Depth=1
	s_mov_b32 s38, 0x7fc02000
	s_xor_b64 s[0:1], exec, -1
; %bb.181:                              ;   in Loop: Header=BB250_9 Depth=1
	s_or_b64 exec, exec, s[36:37]
	s_and_b64 s[0:1], s[0:1], exec
	s_or_saveexec_b64 s[34:35], s[34:35]
	v_mov_b32_e32 v39, s38
	s_xor_b64 exec, exec, s[34:35]
	s_cbranch_execz .LBB250_83
.LBB250_182:                            ;   in Loop: Header=BB250_9 Depth=1
	v_cmp_ne_u16_sdwa s[36:37], v2, v3 src0_sel:BYTE_0 src1_sel:DWORD
	s_andn2_b64 s[0:1], s[0:1], exec
	s_and_b64 s[36:37], s[36:37], exec
	v_mov_b32_e32 v39, 0
	s_or_b64 s[0:1], s[0:1], s[36:37]
	s_or_b64 exec, exec, s[34:35]
	v_and_b32_e32 v2, 0xffff, v2
	s_and_saveexec_b64 s[34:35], s[0:1]
	s_cbranch_execnz .LBB250_84
	s_branch .LBB250_85
.LBB250_183:                            ;   in Loop: Header=BB250_9 Depth=1
	v_cmp_eq_u16_e64 s[0:1], s43, v2
	s_mov_b64 s[34:35], -1
                                        ; implicit-def: $sgpr45
	s_and_saveexec_b64 s[38:39], s[0:1]
; %bb.184:                              ;   in Loop: Header=BB250_9 Depth=1
	s_mov_b32 s45, 0x7fc02000
	s_xor_b64 s[34:35], exec, -1
; %bb.185:                              ;   in Loop: Header=BB250_9 Depth=1
	s_or_b64 exec, exec, s[38:39]
	s_and_b64 s[34:35], s[34:35], exec
	s_or_saveexec_b64 s[36:37], s[36:37]
	v_mov_b32_e32 v40, s45
	s_xor_b64 exec, exec, s[36:37]
	s_cbranch_execz .LBB250_87
.LBB250_186:                            ;   in Loop: Header=BB250_9 Depth=1
	v_cmp_ne_u16_e64 s[0:1], 0, v2
	s_andn2_b64 s[34:35], s[34:35], exec
	s_and_b64 s[0:1], s[0:1], exec
	v_mov_b32_e32 v40, 0
	s_or_b64 s[34:35], s[34:35], s[0:1]
	s_or_b64 exec, exec, s[36:37]
	s_and_saveexec_b64 s[36:37], s[34:35]
	s_cbranch_execnz .LBB250_88
	s_branch .LBB250_89
.LBB250_187:                            ;   in Loop: Header=BB250_9 Depth=1
	v_cmp_eq_u16_sdwa s[46:47], v2, s43 src0_sel:BYTE_0 src1_sel:DWORD
	s_mov_b64 s[0:1], -1
                                        ; implicit-def: $sgpr38
	s_and_saveexec_b64 s[36:37], s[46:47]
; %bb.188:                              ;   in Loop: Header=BB250_9 Depth=1
	s_mov_b32 s38, 0x7fc02000
	s_xor_b64 s[0:1], exec, -1
; %bb.189:                              ;   in Loop: Header=BB250_9 Depth=1
	s_or_b64 exec, exec, s[36:37]
	s_and_b64 s[0:1], s[0:1], exec
	s_or_saveexec_b64 s[34:35], s[34:35]
	v_mov_b32_e32 v41, s38
	s_xor_b64 exec, exec, s[34:35]
	s_cbranch_execz .LBB250_91
.LBB250_190:                            ;   in Loop: Header=BB250_9 Depth=1
	v_cmp_ne_u16_sdwa s[36:37], v2, v3 src0_sel:BYTE_0 src1_sel:DWORD
	s_andn2_b64 s[0:1], s[0:1], exec
	s_and_b64 s[36:37], s[36:37], exec
	v_mov_b32_e32 v41, 0
	s_or_b64 s[0:1], s[0:1], s[36:37]
	s_or_b64 exec, exec, s[34:35]
	v_and_b32_e32 v2, 0xffff, v2
	s_and_saveexec_b64 s[34:35], s[0:1]
	s_cbranch_execnz .LBB250_92
	s_branch .LBB250_93
.LBB250_191:                            ;   in Loop: Header=BB250_9 Depth=1
	v_cmp_eq_u16_e64 s[0:1], s43, v2
	s_mov_b64 s[34:35], -1
                                        ; implicit-def: $sgpr45
	s_and_saveexec_b64 s[38:39], s[0:1]
; %bb.192:                              ;   in Loop: Header=BB250_9 Depth=1
	s_mov_b32 s45, 0x7fc02000
	s_xor_b64 s[34:35], exec, -1
; %bb.193:                              ;   in Loop: Header=BB250_9 Depth=1
	s_or_b64 exec, exec, s[38:39]
	s_and_b64 s[34:35], s[34:35], exec
	s_or_saveexec_b64 s[36:37], s[36:37]
	v_mov_b32_e32 v42, s45
	s_xor_b64 exec, exec, s[36:37]
	s_cbranch_execz .LBB250_95
.LBB250_194:                            ;   in Loop: Header=BB250_9 Depth=1
	v_cmp_ne_u16_e64 s[0:1], 0, v2
	s_andn2_b64 s[34:35], s[34:35], exec
	s_and_b64 s[0:1], s[0:1], exec
	v_mov_b32_e32 v42, 0
	s_or_b64 s[34:35], s[34:35], s[0:1]
	s_or_b64 exec, exec, s[36:37]
	s_and_saveexec_b64 s[36:37], s[34:35]
	s_cbranch_execnz .LBB250_96
	s_branch .LBB250_97
.LBB250_195:                            ;   in Loop: Header=BB250_9 Depth=1
	v_cmp_eq_u16_sdwa s[46:47], v2, s43 src0_sel:BYTE_0 src1_sel:DWORD
	s_mov_b64 s[0:1], -1
                                        ; implicit-def: $sgpr38
	s_and_saveexec_b64 s[36:37], s[46:47]
; %bb.196:                              ;   in Loop: Header=BB250_9 Depth=1
	s_mov_b32 s38, 0x7fc02000
	s_xor_b64 s[0:1], exec, -1
; %bb.197:                              ;   in Loop: Header=BB250_9 Depth=1
	s_or_b64 exec, exec, s[36:37]
	s_and_b64 s[0:1], s[0:1], exec
	s_or_saveexec_b64 s[34:35], s[34:35]
	v_mov_b32_e32 v10, s38
	s_xor_b64 exec, exec, s[34:35]
	s_cbranch_execz .LBB250_99
.LBB250_198:                            ;   in Loop: Header=BB250_9 Depth=1
	v_cmp_ne_u16_sdwa s[36:37], v2, v3 src0_sel:BYTE_0 src1_sel:DWORD
	s_andn2_b64 s[0:1], s[0:1], exec
	s_and_b64 s[36:37], s[36:37], exec
	v_mov_b32_e32 v10, 0
	s_or_b64 s[0:1], s[0:1], s[36:37]
	s_or_b64 exec, exec, s[34:35]
	v_and_b32_e32 v2, 0xffff, v2
	s_and_saveexec_b64 s[34:35], s[0:1]
	s_cbranch_execnz .LBB250_100
	s_branch .LBB250_101
.LBB250_199:                            ;   in Loop: Header=BB250_9 Depth=1
	v_cmp_eq_u16_e64 s[0:1], s43, v2
	s_mov_b64 s[34:35], -1
                                        ; implicit-def: $sgpr45
	s_and_saveexec_b64 s[38:39], s[0:1]
; %bb.200:                              ;   in Loop: Header=BB250_9 Depth=1
	s_mov_b32 s45, 0x7fc02000
	s_xor_b64 s[34:35], exec, -1
; %bb.201:                              ;   in Loop: Header=BB250_9 Depth=1
	s_or_b64 exec, exec, s[38:39]
	s_and_b64 s[34:35], s[34:35], exec
	s_or_saveexec_b64 s[36:37], s[36:37]
	v_mov_b32_e32 v11, s45
	s_xor_b64 exec, exec, s[36:37]
	s_cbranch_execz .LBB250_103
.LBB250_202:                            ;   in Loop: Header=BB250_9 Depth=1
	v_cmp_ne_u16_e64 s[0:1], 0, v2
	s_andn2_b64 s[34:35], s[34:35], exec
	s_and_b64 s[0:1], s[0:1], exec
	v_mov_b32_e32 v11, 0
	s_or_b64 s[34:35], s[34:35], s[0:1]
	s_or_b64 exec, exec, s[36:37]
	s_and_saveexec_b64 s[36:37], s[34:35]
	s_cbranch_execnz .LBB250_104
	s_branch .LBB250_105
.LBB250_203:
	s_or_b64 exec, exec, s[14:15]
.LBB250_204:
	s_or_b64 exec, exec, s[30:31]
	v_xor_b32_e32 v3, 32, v14
	v_cmp_lt_i32_e32 vcc, v3, v2
	v_xor_b32_e32 v6, 16, v14
	v_max_f32_e32 v5, v13, v13
	v_cndmask_b32_e32 v3, v14, v3, vcc
	v_lshlrev_b32_e32 v3, 2, v3
	ds_bpermute_b32 v4, v3, v13
	v_cmp_lt_i32_e32 vcc, v6, v2
	v_xor_b32_e32 v7, 8, v14
	v_xor_b32_e32 v8, 4, v14
	v_and_b32_e32 v13, 63, v0
	s_waitcnt lgkmcnt(0)
	v_max_f32_e32 v4, v4, v4
	v_max_f32_e32 v5, v5, v4
	v_cndmask_b32_e32 v4, v14, v6, vcc
	v_lshlrev_b32_e32 v4, 2, v4
	ds_bpermute_b32 v6, v4, v5
	v_cmp_lt_i32_e32 vcc, v7, v2
	s_waitcnt lgkmcnt(0)
	v_max_f32_e32 v6, v6, v6
	v_max_f32_e32 v5, v5, v6
	v_cndmask_b32_e32 v6, v14, v7, vcc
	v_lshlrev_b32_e32 v7, 2, v6
	ds_bpermute_b32 v6, v7, v5
	v_cmp_lt_i32_e32 vcc, v8, v2
	s_waitcnt lgkmcnt(0)
	v_max_f32_e32 v6, v6, v6
	v_max_f32_e32 v6, v5, v6
	v_cndmask_b32_e32 v5, v14, v8, vcc
	v_lshlrev_b32_e32 v8, 2, v5
	ds_bpermute_b32 v9, v8, v6
	v_cmp_eq_u32_e32 vcc, 0, v13
	v_lshlrev_b32_e32 v5, 2, v1
	s_and_saveexec_b64 s[0:1], vcc
	s_cbranch_execz .LBB250_206
; %bb.205:
	s_waitcnt lgkmcnt(0)
	v_max_f32_e32 v9, v9, v9
	v_max_f32_e32 v6, v6, v6
	;; [unrolled: 1-line block ×3, first 2 shown]
	ds_write_b32 v5, v6 offset:192
.LBB250_206:
	s_or_b64 exec, exec, s[0:1]
	v_cmp_gt_u32_e64 s[0:1], 2, v13
	s_waitcnt lgkmcnt(0)
	v_mov_b32_e32 v9, 0xff7fffff
	v_lshlrev_b32_e32 v6, 2, v13
	s_barrier
	s_and_saveexec_b64 s[2:3], s[0:1]
	s_cbranch_execz .LBB250_208
; %bb.207:
	ds_read_b32 v9, v6 offset:192
.LBB250_208:
	s_or_b64 exec, exec, s[2:3]
	v_xor_b32_e32 v10, 1, v14
	v_cmp_lt_i32_e64 s[2:3], v10, v2
	v_lshlrev_b32_e32 v11, 2, v14
	s_nop 0
	v_cndmask_b32_e64 v10, v14, v10, s[2:3]
	v_lshlrev_b32_e32 v20, 2, v10
	s_waitcnt lgkmcnt(0)
	ds_bpermute_b32 v10, v20, v9
	v_max_f32_e32 v9, v9, v9
	s_lshl_b32 s2, s19, 4
	s_min_i32 s30, s2, s33
	v_cmp_gt_i32_e64 s[2:3], s30, v0
	s_waitcnt lgkmcnt(0)
	v_max_f32_e32 v10, v10, v10
	v_max_f32_e32 v10, v9, v10
	v_and_b32_e32 v9, 0xffffff00, v11
	ds_bpermute_b32 v11, v9, v10
	v_mov_b32_e32 v10, 0
	s_and_saveexec_b64 s[14:15], s[2:3]
	s_cbranch_execz .LBB250_212
; %bb.209:
	v_mov_b32_e32 v10, 0xd0
	v_lshl_add_u32 v15, v0, 2, v10
	s_mov_b64 s[28:29], 0
	v_mov_b32_e32 v10, 0
	v_mov_b32_e32 v16, v0
.LBB250_210:                            ; =>This Inner Loop Header: Depth=1
	ds_read_b32 v17, v15
	v_add_u32_e32 v16, 0x80, v16
	v_cmp_le_i32_e64 s[8:9], s30, v16
	s_or_b64 s[28:29], s[8:9], s[28:29]
	s_waitcnt lgkmcnt(0)
	v_sub_f32_e32 v17, v17, v11
	v_mul_f32_e32 v17, 0x3fb8aa3b, v17
	v_exp_f32_e32 v17, v17
	ds_write_b32 v15, v17
	v_add_f32_e32 v10, v10, v17
	v_add_u32_e32 v15, 0x200, v15
	s_andn2_b64 exec, exec, s[28:29]
	s_cbranch_execnz .LBB250_210
; %bb.211:
	s_or_b64 exec, exec, s[28:29]
.LBB250_212:
	s_or_b64 exec, exec, s[14:15]
	ds_bpermute_b32 v3, v3, v10
	s_waitcnt lgkmcnt(0)
	v_add_f32_e32 v3, v10, v3
	ds_bpermute_b32 v4, v4, v3
	s_waitcnt lgkmcnt(0)
	v_add_f32_e32 v3, v3, v4
	ds_bpermute_b32 v4, v7, v3
	v_xor_b32_e32 v7, 2, v14
	v_cmp_lt_i32_e64 s[8:9], v7, v2
	s_waitcnt lgkmcnt(0)
	v_add_f32_e32 v3, v3, v4
	ds_bpermute_b32 v4, v8, v3
	v_cndmask_b32_e64 v2, v14, v7, s[8:9]
	v_lshlrev_b32_e32 v2, 2, v2
	s_waitcnt lgkmcnt(0)
	v_add_f32_e32 v3, v3, v4
	ds_bpermute_b32 v2, v2, v3
	s_waitcnt lgkmcnt(0)
	v_add_f32_e32 v2, v3, v2
	ds_bpermute_b32 v3, v20, v2
	s_waitcnt lgkmcnt(0)
	v_add_f32_e32 v2, v2, v3
	s_and_saveexec_b64 s[8:9], vcc
	s_cbranch_execz .LBB250_214
; %bb.213:
	ds_write_b32 v5, v2 offset:200
.LBB250_214:
	s_or_b64 exec, exec, s[8:9]
	s_waitcnt lgkmcnt(0)
	s_barrier
	s_and_saveexec_b64 s[8:9], s[0:1]
	s_cbranch_execz .LBB250_216
; %bb.215:
	ds_read_b32 v2, v6 offset:200
.LBB250_216:
	s_or_b64 exec, exec, s[8:9]
	s_waitcnt lgkmcnt(0)
	ds_bpermute_b32 v3, v20, v2
	s_waitcnt lgkmcnt(0)
	v_add_f32_e32 v2, v2, v3
	ds_bpermute_b32 v2, v9, v2
	s_and_saveexec_b64 s[0:1], s[2:3]
	s_cbranch_execz .LBB250_229
; %bb.217:
	s_waitcnt lgkmcnt(0)
	v_add_f32_e32 v2, 0x358637bd, v2
	v_div_scale_f32 v3, s[2:3], v2, v2, 1.0
	v_rcp_f32_e32 v4, v3
	v_div_scale_f32 v5, vcc, 1.0, v2, 1.0
	s_movk_i32 s2, 0x7f
	v_fma_f32 v6, -v3, v4, 1.0
	v_fmac_f32_e32 v4, v6, v4
	v_mul_f32_e32 v6, v5, v4
	v_fma_f32 v7, -v3, v6, v5
	v_fmac_f32_e32 v6, v7, v4
	v_fma_f32 v3, -v3, v6, v5
	v_div_fmas_f32 v3, v3, v4, v6
	v_xad_u32 v4, v0, -1, s30
	v_div_fixup_f32 v2, v3, v2, 1.0
	v_cmp_lt_u32_e32 vcc, s2, v4
	s_mov_b64 s[8:9], -1
	v_mov_b32_e32 v3, v0
	s_and_saveexec_b64 s[2:3], vcc
	s_cbranch_execz .LBB250_226
; %bb.218:
	v_lshrrev_b32_e32 v4, 7, v4
	v_add_u32_e32 v6, -1, v4
	v_lshrrev_b32_e32 v5, 1, v6
	v_mov_b32_e32 v3, v2
	v_add_u32_e32 v5, 1, v5
	v_cmp_lt_u32_e32 vcc, 13, v6
	v_mov_b32_e32 v8, 0
	s_and_saveexec_b64 s[8:9], vcc
	s_cbranch_execz .LBB250_222
; %bb.219:
	v_mov_b32_e32 v7, 0xd0
	v_and_b32_e32 v6, -8, v5
	v_lshl_add_u32 v7, v0, 2, v7
	s_mov_b32 s28, 0
	s_mov_b64 s[14:15], 0
.LBB250_220:                            ; =>This Inner Loop Header: Depth=1
	ds_read2st64_b32 v[8:9], v7 offset1:2
	ds_read2st64_b32 v[10:11], v7 offset0:4 offset1:6
	ds_read2st64_b32 v[14:15], v7 offset0:8 offset1:10
	;; [unrolled: 1-line block ×3, first 2 shown]
	v_add_u32_e32 v6, -8, v6
	s_waitcnt lgkmcnt(3)
	v_pk_mul_f32 v[8:9], v[2:3], v[8:9]
	s_waitcnt lgkmcnt(2)
	v_pk_mul_f32 v[10:11], v[2:3], v[10:11]
	ds_write2st64_b32 v7, v8, v9 offset1:2
	ds_write2st64_b32 v7, v10, v11 offset0:4 offset1:6
	ds_read2st64_b32 v[10:11], v7 offset0:16 offset1:18
	s_waitcnt lgkmcnt(4)
	v_pk_mul_f32 v[8:9], v[2:3], v[14:15]
	ds_write2st64_b32 v7, v8, v9 offset0:8 offset1:10
	s_waitcnt lgkmcnt(4)
	v_pk_mul_f32 v[8:9], v[2:3], v[16:17]
	ds_write2st64_b32 v7, v8, v9 offset0:12 offset1:14
	ds_read2st64_b32 v[8:9], v7 offset0:20 offset1:22
	s_waitcnt lgkmcnt(3)
	v_pk_mul_f32 v[10:11], v[2:3], v[10:11]
	ds_read2st64_b32 v[14:15], v7 offset0:24 offset1:26
	ds_write2st64_b32 v7, v10, v11 offset0:16 offset1:18
	ds_read2st64_b32 v[10:11], v7 offset0:28 offset1:30
	s_waitcnt lgkmcnt(3)
	v_pk_mul_f32 v[8:9], v[2:3], v[8:9]
	ds_write2st64_b32 v7, v8, v9 offset0:20 offset1:22
	s_waitcnt lgkmcnt(3)
	v_pk_mul_f32 v[8:9], v[2:3], v[14:15]
	ds_write2st64_b32 v7, v8, v9 offset0:24 offset1:26
	s_waitcnt lgkmcnt(2)
	v_pk_mul_f32 v[8:9], v[2:3], v[10:11]
	s_add_i32 s28, s28, 16
	v_cmp_eq_u32_e32 vcc, 0, v6
	ds_write2st64_b32 v7, v8, v9 offset0:28 offset1:30
	v_add_u32_e32 v7, 0x2000, v7
	s_or_b64 s[14:15], vcc, s[14:15]
	v_mov_b32_e32 v8, s28
	s_andn2_b64 exec, exec, s[14:15]
	s_cbranch_execnz .LBB250_220
; %bb.221:
	s_or_b64 exec, exec, s[14:15]
.LBB250_222:
	s_or_b64 exec, exec, s[8:9]
	v_and_b32_e32 v5, 7, v5
	v_cmp_ne_u32_e32 vcc, 0, v5
	s_and_saveexec_b64 s[8:9], vcc
	s_cbranch_execz .LBB250_225
; %bb.223:
	v_lshlrev_b32_e32 v6, 9, v8
	v_lshlrev_b32_e32 v7, 2, v0
	s_movk_i32 s14, 0xd0
	v_add3_u32 v6, v6, v7, s14
	s_mov_b64 s[14:15], 0
.LBB250_224:                            ; =>This Inner Loop Header: Depth=1
	ds_read2st64_b32 v[8:9], v6 offset1:2
	v_add_u32_e32 v5, -1, v5
	v_cmp_eq_u32_e32 vcc, 0, v5
	s_or_b64 s[14:15], vcc, s[14:15]
	s_waitcnt lgkmcnt(0)
	v_pk_mul_f32 v[8:9], v[2:3], v[8:9]
	ds_write2st64_b32 v6, v8, v9 offset1:2
	v_add_u32_e32 v6, 0x400, v6
	s_andn2_b64 exec, exec, s[14:15]
	s_cbranch_execnz .LBB250_224
.LBB250_225:
	s_or_b64 exec, exec, s[8:9]
	v_add_u32_e32 v4, 1, v4
	v_and_b32_e32 v5, 0x3fffffe, v4
	v_cmp_ne_u32_e32 vcc, v4, v5
	v_lshl_add_u32 v3, v5, 7, v0
	s_orn2_b64 s[8:9], vcc, exec
.LBB250_226:
	s_or_b64 exec, exec, s[2:3]
	s_and_b64 exec, exec, s[8:9]
	s_cbranch_execz .LBB250_229
; %bb.227:
	v_mov_b32_e32 v4, 0xd0
	v_lshl_add_u32 v4, v3, 2, v4
	s_mov_b64 s[2:3], 0
.LBB250_228:                            ; =>This Inner Loop Header: Depth=1
	ds_read_b32 v5, v4
	v_add_u32_e32 v3, 0x80, v3
	v_cmp_le_i32_e32 vcc, s30, v3
	s_or_b64 s[2:3], vcc, s[2:3]
	s_waitcnt lgkmcnt(0)
	v_mul_f32_e32 v5, v2, v5
	ds_write_b32 v4, v5
	v_add_u32_e32 v4, 0x200, v4
	s_andn2_b64 exec, exec, s[2:3]
	s_cbranch_execnz .LBB250_228
.LBB250_229:
	s_or_b64 exec, exec, s[0:1]
	v_mov_b32_e32 v22, 0
	v_and_b32_e32 v21, 1, v0
	v_mov_b32_e32 v5, 0
	v_mov_b32_e32 v4, 0
	s_waitcnt lgkmcnt(0)
	s_barrier
	s_and_saveexec_b64 s[2:3], s[6:7]
	s_cbranch_execz .LBB250_431
; %bb.230:
	s_ashr_i32 s1, s12, 31
	v_lshlrev_b32_e32 v2, 3, v0
	s_add_u32 s0, s26, s12
	v_and_b32_e32 v4, 8, v2
	s_addc_u32 s1, s27, s1
	v_and_b32_e32 v2, 0x1f8, v2
	v_mov_b32_e32 v3, 0
	s_add_i32 s26, s19, -1
	v_lshl_add_u64 v[6:7], s[0:1], 0, v[2:3]
	v_lshlrev_b32_e32 v2, 5, v21
	s_lshl_b64 s[0:1], s[24:25], 2
	v_lshl_or_b32 v2, v1, 6, v2
	s_add_u32 s0, s22, s0
	v_add_u32_e32 v24, 0xd0, v2
	v_and_b32_e32 v2, 60, v12
	s_addc_u32 s1, s23, s1
	s_mov_b32 s28, s13
	s_mov_b32 s27, s33
	v_lshl_or_b32 v23, v1, 4, v4
	v_lshl_add_u64 v[8:9], s[0:1], 0, v[2:3]
	s_mov_b64 s[6:7], 0
	s_movk_i32 s22, 0x7f
	s_movk_i32 s23, 0x80
	s_mov_b32 s24, 0x8000
	s_movk_i32 s25, 0x380
	s_mov_b32 s29, 0x3020706
	s_mov_b32 s30, 0x1000504
	;; [unrolled: 1-line block ×3, first 2 shown]
	v_mov_b32_e32 v25, 0x1c00
	v_mov_b32_e32 v4, 0
	v_mov_b32_e32 v5, 0
	v_mov_b32_e32 v22, 0
	s_branch .LBB250_232
.LBB250_231:                            ;   in Loop: Header=BB250_232 Depth=1
	s_or_b64 exec, exec, s[0:1]
	;;#ASMSTART
	v_pk_mul_f16 v10, v33, v10;

	;;#ASMEND
	;;#ASMSTART
	v_pk_mul_f16 v2, v34, v2;

	;;#ASMEND
	;; [unrolled: 4-line block ×4, first 2 shown]
	v_add_f32_e32 v14, v37, v38
	;;#ASMSTART
	v_pk_add_f16 v2, v10, v2;

	;;#ASMEND
	v_add_u32_e32 v1, 2, v1
	;;#ASMSTART
	v_pk_add_f16 v2, v2, v11;

	;;#ASMEND
	v_add_f32_e32 v4, v4, v14
	;;#ASMSTART
	v_pk_add_f16 v2, v2, v12;

	;;#ASMEND
	v_add_f32_e32 v14, v18, v19
	v_lshrrev_b32_e32 v10, 16, v2
	v_and_b32_e32 v2, 0xffff, v2
	;;#ASMSTART
	v_cvt_f32_f16 v2, v2;
	;;#ASMEND
	;;#ASMSTART
	v_cvt_f32_f16 v10, v10;
	;;#ASMEND
	v_cmp_le_i32_e32 vcc, s19, v1
	v_add_f32_e32 v2, v2, v10
	v_add_f32_e32 v5, v5, v14
	;; [unrolled: 1-line block ×3, first 2 shown]
	v_add_u32_e32 v23, 32, v23
	v_add_u32_e32 v24, 0x80, v24
	s_or_b64 s[6:7], vcc, s[6:7]
	v_lshl_add_u64 v[8:9], v[8:9], 0, 8
	s_andn2_b64 exec, exec, s[6:7]
	s_cbranch_execz .LBB250_430
.LBB250_232:                            ; =>This Inner Loop Header: Depth=1
	ds_read2_b64 v[14:17], v24 offset1:1
	ds_read2_b64 v[26:29], v24 offset0:2 offset1:3
                                        ; implicit-def: $sgpr14
	s_waitcnt lgkmcnt(1)
	;;#ASMSTART
	v_cvt_f16_f32 v33, v14;

	;;#ASMEND
	;;#ASMSTART
	v_cvt_f16_f32 v34, v15;

	;;#ASMEND
	;; [unrolled: 4-line block ×4, first 2 shown]
	s_waitcnt lgkmcnt(0)
	;;#ASMSTART
	v_cvt_f16_f32 v37, v26;

	;;#ASMEND
	;;#ASMSTART
	v_cvt_f16_f32 v38, v27;

	;;#ASMEND
	;; [unrolled: 4-line block ×4, first 2 shown]
	global_load_dword v2, v[8:9], off
	s_waitcnt vmcnt(0)
	v_mad_i64_i32 v[10:11], s[0:1], v2, s28, v[6:7]
	global_load_dwordx2 v[14:15], v[10:11], off
	global_load_dword v12, v3, s[10:11]
	s_mov_b64 s[0:1], 0
	s_waitcnt vmcnt(1)
	v_cmp_gt_i16_sdwa s[8:9], v14, s22 src0_sel:BYTE_0 src1_sel:DWORD
	s_and_saveexec_b64 s[12:13], s[8:9]
	s_xor_b64 s[8:9], exec, s[12:13]
	s_cbranch_execnz .LBB250_334
; %bb.233:                              ;   in Loop: Header=BB250_232 Depth=1
	s_or_saveexec_b64 s[8:9], s[8:9]
	v_mov_b32_e32 v16, s14
	s_xor_b64 exec, exec, s[8:9]
	s_cbranch_execnz .LBB250_337
.LBB250_234:                            ;   in Loop: Header=BB250_232 Depth=1
	s_or_b64 exec, exec, s[8:9]
	s_and_saveexec_b64 s[8:9], s[0:1]
	s_cbranch_execz .LBB250_236
.LBB250_235:                            ;   in Loop: Header=BB250_232 Depth=1
	v_and_b32_e32 v2, 7, v14
	v_ffbh_u32_e32 v2, v2
	v_bfe_u32 v16, v14, 3, 4
	v_min_u32_e32 v2, 32, v2
	v_subrev_u32_e32 v17, 28, v2
	v_sub_u32_e32 v2, 29, v2
	v_cmp_eq_u32_e32 vcc, 0, v16
	s_nop 1
	v_cndmask_b32_e32 v2, v16, v2, vcc
	v_cndmask_b32_e32 v16, 0, v17, vcc
	v_lshlrev_b64 v[16:17], v16, v[14:15]
	v_lshlrev_b32_e32 v17, 8, v14
	v_lshl_add_u32 v2, v2, 10, v25
	v_lshlrev_b32_e32 v16, 7, v16
	v_and_or_b32 v2, v17, s24, v2
	v_and_or_b32 v2, v16, s25, v2
	v_cvt_f32_f16_e32 v16, v2
.LBB250_236:                            ;   in Loop: Header=BB250_232 Depth=1
	s_or_b64 exec, exec, s[8:9]
	v_lshrrev_b16_e32 v2, 8, v14
	v_cmp_lt_i16_e32 vcc, s22, v2
	s_mov_b64 s[0:1], 0
                                        ; implicit-def: $sgpr14
	s_and_saveexec_b64 s[8:9], vcc
	s_xor_b64 s[8:9], exec, s[8:9]
	s_cbranch_execnz .LBB250_338
; %bb.237:                              ;   in Loop: Header=BB250_232 Depth=1
	s_or_saveexec_b64 s[8:9], s[8:9]
	v_mov_b32_e32 v18, s14
	s_xor_b64 exec, exec, s[8:9]
	s_cbranch_execnz .LBB250_341
.LBB250_238:                            ;   in Loop: Header=BB250_232 Depth=1
	s_or_b64 exec, exec, s[8:9]
	s_and_saveexec_b64 s[8:9], s[0:1]
	s_cbranch_execz .LBB250_240
.LBB250_239:                            ;   in Loop: Header=BB250_232 Depth=1
	v_and_b32_e32 v17, 7, v2
	v_ffbh_u32_e32 v18, v17
	v_min_u32_e32 v27, 32, v18
	v_subrev_u32_e32 v18, 28, v27
	v_bfe_u32 v26, v2, 3, 4
	v_lshlrev_b64 v[18:19], v18, v[2:3]
	v_sub_u32_e32 v19, 29, v27
	v_cmp_eq_u32_e32 vcc, 0, v26
	v_and_b32_e32 v18, 7, v18
	v_lshlrev_b32_e32 v2, 8, v2
	v_cndmask_b32_e32 v19, v26, v19, vcc
	v_cndmask_b32_e32 v17, v17, v18, vcc
	v_lshl_add_u32 v18, v19, 10, v25
	v_and_or_b32 v2, v2, s24, v18
	v_lshl_or_b32 v2, v17, 7, v2
	v_cvt_f32_f16_e32 v18, v2
.LBB250_240:                            ;   in Loop: Header=BB250_232 Depth=1
	s_or_b64 exec, exec, s[8:9]
	v_lshrrev_b32_e32 v2, 16, v14
	v_cmp_gt_i16_sdwa s[8:9], v2, s22 src0_sel:BYTE_0 src1_sel:DWORD
	s_mov_b64 s[0:1], 0
                                        ; implicit-def: $sgpr14
	s_and_saveexec_b64 s[12:13], s[8:9]
	s_xor_b64 s[8:9], exec, s[12:13]
	s_cbranch_execnz .LBB250_342
; %bb.241:                              ;   in Loop: Header=BB250_232 Depth=1
	s_or_saveexec_b64 s[8:9], s[8:9]
	v_mov_b32_e32 v17, s14
	s_xor_b64 exec, exec, s[8:9]
	s_cbranch_execnz .LBB250_345
.LBB250_242:                            ;   in Loop: Header=BB250_232 Depth=1
	s_or_b64 exec, exec, s[8:9]
	s_and_saveexec_b64 s[8:9], s[0:1]
	s_cbranch_execz .LBB250_244
.LBB250_243:                            ;   in Loop: Header=BB250_232 Depth=1
	v_bfe_u32 v17, v14, 16, 3
	v_ffbh_u32_e32 v26, v17
	v_min_u32_e32 v28, 32, v26
	v_subrev_u32_e32 v26, 28, v28
	v_bfe_u32 v19, v14, 19, 4
	v_lshlrev_b64 v[26:27], v26, v[2:3]
	v_sub_u32_e32 v27, 29, v28
	v_cmp_eq_u32_e32 vcc, 0, v19
	v_and_b32_e32 v26, 7, v26
	v_lshlrev_b32_e32 v2, 8, v2
	v_cndmask_b32_e32 v19, v19, v27, vcc
	v_lshl_add_u32 v19, v19, 10, v25
	v_cndmask_b32_e32 v17, v17, v26, vcc
	v_and_or_b32 v2, v2, s24, v19
	v_lshl_or_b32 v2, v17, 7, v2
	v_cvt_f32_f16_e32 v17, v2
.LBB250_244:                            ;   in Loop: Header=BB250_232 Depth=1
	s_or_b64 exec, exec, s[8:9]
	v_lshrrev_b32_e32 v2, 24, v14
	v_cmp_lt_i16_e32 vcc, s22, v2
	s_mov_b64 s[0:1], 0
                                        ; implicit-def: $sgpr14
	s_and_saveexec_b64 s[8:9], vcc
	s_xor_b64 s[8:9], exec, s[8:9]
	s_cbranch_execnz .LBB250_346
; %bb.245:                              ;   in Loop: Header=BB250_232 Depth=1
	s_or_saveexec_b64 s[8:9], s[8:9]
	v_mov_b32_e32 v19, s14
	s_xor_b64 exec, exec, s[8:9]
	s_cbranch_execnz .LBB250_349
.LBB250_246:                            ;   in Loop: Header=BB250_232 Depth=1
	s_or_b64 exec, exec, s[8:9]
	s_and_saveexec_b64 s[8:9], s[0:1]
	s_cbranch_execz .LBB250_248
.LBB250_247:                            ;   in Loop: Header=BB250_232 Depth=1
	v_bfe_u32 v19, v14, 24, 3
	v_ffbh_u32_e32 v26, v19
	v_min_u32_e32 v28, 32, v26
	v_subrev_u32_e32 v26, 28, v28
	v_bfe_u32 v14, v14, 27, 4
	v_lshlrev_b64 v[26:27], v26, v[2:3]
	v_sub_u32_e32 v27, 29, v28
	v_cmp_eq_u32_e32 vcc, 0, v14
	v_and_b32_e32 v26, 7, v26
	v_lshlrev_b32_e32 v2, 8, v2
	v_cndmask_b32_e32 v14, v14, v27, vcc
	v_lshl_add_u32 v14, v14, 10, v25
	v_cndmask_b32_e32 v19, v19, v26, vcc
	v_and_or_b32 v2, v2, s24, v14
	v_lshl_or_b32 v2, v19, 7, v2
	v_cvt_f32_f16_e32 v19, v2
.LBB250_248:                            ;   in Loop: Header=BB250_232 Depth=1
	s_or_b64 exec, exec, s[8:9]
	v_cmp_gt_i16_sdwa s[8:9], v15, s22 src0_sel:BYTE_0 src1_sel:DWORD
	s_mov_b64 s[0:1], 0
                                        ; implicit-def: $sgpr14
	s_and_saveexec_b64 s[12:13], s[8:9]
	s_xor_b64 s[8:9], exec, s[12:13]
	s_cbranch_execnz .LBB250_350
; %bb.249:                              ;   in Loop: Header=BB250_232 Depth=1
	s_or_saveexec_b64 s[8:9], s[8:9]
	v_mov_b32_e32 v14, s14
	s_xor_b64 exec, exec, s[8:9]
	s_cbranch_execnz .LBB250_353
.LBB250_250:                            ;   in Loop: Header=BB250_232 Depth=1
	s_or_b64 exec, exec, s[8:9]
	v_mov_b32_e32 v2, v15
	s_and_saveexec_b64 s[8:9], s[0:1]
	s_cbranch_execz .LBB250_252
.LBB250_251:                            ;   in Loop: Header=BB250_232 Depth=1
	v_and_b32_e32 v14, 7, v15
	v_ffbh_u32_e32 v14, v14
	v_bfe_u32 v26, v15, 3, 4
	v_min_u32_e32 v14, 32, v14
	v_subrev_u32_e32 v27, 28, v14
	v_sub_u32_e32 v14, 29, v14
	v_cmp_eq_u32_e32 vcc, 0, v26
	s_nop 1
	v_cndmask_b32_e32 v14, v26, v14, vcc
	v_cndmask_b32_e32 v26, 0, v27, vcc
	v_lshlrev_b64 v[26:27], v26, v[2:3]
	v_lshlrev_b32_e32 v27, 8, v15
	v_lshl_add_u32 v14, v14, 10, v25
	v_lshlrev_b32_e32 v26, 7, v26
	v_and_or_b32 v14, v27, s24, v14
	v_and_or_b32 v14, v26, s25, v14
	v_cvt_f32_f16_e32 v14, v14
.LBB250_252:                            ;   in Loop: Header=BB250_232 Depth=1
	s_or_b64 exec, exec, s[8:9]
	v_lshrrev_b16_e32 v2, 8, v2
	v_cmp_lt_i16_e32 vcc, s22, v2
	s_mov_b64 s[0:1], 0
                                        ; implicit-def: $sgpr14
	s_and_saveexec_b64 s[8:9], vcc
	s_xor_b64 s[8:9], exec, s[8:9]
	s_cbranch_execnz .LBB250_354
; %bb.253:                              ;   in Loop: Header=BB250_232 Depth=1
	s_or_saveexec_b64 s[8:9], s[8:9]
	v_mov_b32_e32 v26, s14
	s_xor_b64 exec, exec, s[8:9]
	s_cbranch_execnz .LBB250_357
.LBB250_254:                            ;   in Loop: Header=BB250_232 Depth=1
	s_or_b64 exec, exec, s[8:9]
	s_and_saveexec_b64 s[8:9], s[0:1]
	s_cbranch_execz .LBB250_256
.LBB250_255:                            ;   in Loop: Header=BB250_232 Depth=1
	v_and_b32_e32 v28, 7, v2
	v_ffbh_u32_e32 v26, v28
	v_min_u32_e32 v30, 32, v26
	v_subrev_u32_e32 v26, 28, v30
	v_bfe_u32 v29, v2, 3, 4
	v_lshlrev_b64 v[26:27], v26, v[2:3]
	v_sub_u32_e32 v27, 29, v30
	v_cmp_eq_u32_e32 vcc, 0, v29
	v_and_b32_e32 v26, 7, v26
	v_lshlrev_b32_e32 v2, 8, v2
	v_cndmask_b32_e32 v27, v29, v27, vcc
	v_lshl_add_u32 v27, v27, 10, v25
	v_cndmask_b32_e32 v26, v28, v26, vcc
	v_and_or_b32 v2, v2, s24, v27
	v_lshl_or_b32 v2, v26, 7, v2
	v_cvt_f32_f16_e32 v26, v2
.LBB250_256:                            ;   in Loop: Header=BB250_232 Depth=1
	s_or_b64 exec, exec, s[8:9]
	v_lshrrev_b32_e32 v2, 16, v15
	v_cmp_gt_i16_sdwa s[8:9], v2, s22 src0_sel:BYTE_0 src1_sel:DWORD
	s_mov_b64 s[0:1], 0
                                        ; implicit-def: $sgpr14
	s_and_saveexec_b64 s[12:13], s[8:9]
	s_xor_b64 s[8:9], exec, s[12:13]
	s_cbranch_execnz .LBB250_358
; %bb.257:                              ;   in Loop: Header=BB250_232 Depth=1
	s_or_saveexec_b64 s[8:9], s[8:9]
	v_mov_b32_e32 v27, s14
	s_xor_b64 exec, exec, s[8:9]
	s_cbranch_execnz .LBB250_361
.LBB250_258:                            ;   in Loop: Header=BB250_232 Depth=1
	s_or_b64 exec, exec, s[8:9]
	s_and_saveexec_b64 s[8:9], s[0:1]
	s_cbranch_execz .LBB250_260
.LBB250_259:                            ;   in Loop: Header=BB250_232 Depth=1
	v_bfe_u32 v27, v15, 16, 3
	v_ffbh_u32_e32 v28, v27
	v_min_u32_e32 v31, 32, v28
	v_subrev_u32_e32 v28, 28, v31
	v_bfe_u32 v30, v15, 19, 4
	v_lshlrev_b64 v[28:29], v28, v[2:3]
	v_sub_u32_e32 v29, 29, v31
	v_cmp_eq_u32_e32 vcc, 0, v30
	v_and_b32_e32 v28, 7, v28
	v_lshlrev_b32_e32 v2, 8, v2
	v_cndmask_b32_e32 v29, v30, v29, vcc
	v_cndmask_b32_e32 v27, v27, v28, vcc
	v_lshl_add_u32 v28, v29, 10, v25
	v_and_or_b32 v2, v2, s24, v28
	v_lshl_or_b32 v2, v27, 7, v2
	v_cvt_f32_f16_e32 v27, v2
.LBB250_260:                            ;   in Loop: Header=BB250_232 Depth=1
	s_or_b64 exec, exec, s[8:9]
	v_lshrrev_b32_e32 v2, 24, v15
	v_cmp_lt_i16_e32 vcc, s22, v2
	s_mov_b64 s[0:1], 0
                                        ; implicit-def: $sgpr14
	s_and_saveexec_b64 s[8:9], vcc
	s_xor_b64 s[8:9], exec, s[8:9]
	s_cbranch_execnz .LBB250_362
; %bb.261:                              ;   in Loop: Header=BB250_232 Depth=1
	s_or_saveexec_b64 s[8:9], s[8:9]
	v_mov_b32_e32 v28, s14
	s_xor_b64 exec, exec, s[8:9]
	s_cbranch_execnz .LBB250_365
.LBB250_262:                            ;   in Loop: Header=BB250_232 Depth=1
	s_or_b64 exec, exec, s[8:9]
	s_and_saveexec_b64 s[8:9], s[0:1]
	s_cbranch_execz .LBB250_264
.LBB250_263:                            ;   in Loop: Header=BB250_232 Depth=1
	v_bfe_u32 v30, v15, 24, 3
	v_ffbh_u32_e32 v28, v30
	v_min_u32_e32 v31, 32, v28
	v_subrev_u32_e32 v28, 28, v31
	v_bfe_u32 v15, v15, 27, 4
	v_lshlrev_b64 v[28:29], v28, v[2:3]
	v_sub_u32_e32 v29, 29, v31
	v_cmp_eq_u32_e32 vcc, 0, v15
	v_and_b32_e32 v28, 7, v28
	v_lshlrev_b32_e32 v2, 8, v2
	v_cndmask_b32_e32 v15, v15, v29, vcc
	v_lshl_add_u32 v15, v15, 10, v25
	v_cndmask_b32_e32 v28, v30, v28, vcc
	v_and_or_b32 v2, v2, s24, v15
	v_lshl_or_b32 v2, v28, 7, v2
	v_cvt_f32_f16_e32 v28, v2
.LBB250_264:                            ;   in Loop: Header=BB250_232 Depth=1
	s_or_b64 exec, exec, s[8:9]
	s_waitcnt vmcnt(0)
	v_pk_mul_f32 v[18:19], v[12:13], v[18:19] op_sel_hi:[0,1]
	v_pk_mul_f32 v[16:17], v[12:13], v[16:17] op_sel_hi:[0,1]
	v_cvt_f16_f32_e32 v2, v19
	v_cvt_f16_f32_e32 v15, v18
	;; [unrolled: 1-line block ×4, first 2 shown]
	v_fma_mixlo_f16 v14, v12, v14, 0
	v_pack_b32_f16 v15, v15, v2
	v_cmp_eq_u32_e32 vcc, s26, v1
	v_pack_b32_f16 v16, v16, v17
	v_perm_b32 v2, v16, v15, s29
	v_perm_b32 v15, v16, v15, s30
	v_fma_mixlo_f16 v16, v12, v26, 0
	v_lshlrev_b32_e32 v16, 16, v16
	v_or_b32_sdwa v14, v16, v14 dst_sel:DWORD dst_unused:UNUSED_PAD src0_sel:DWORD src1_sel:WORD_0
	v_fma_mixlo_f16 v16, v12, v27, 0
	v_fma_mixlo_f16 v12, v12, v28, 0
	v_lshlrev_b32_e32 v12, 16, v12
	v_or_b32_sdwa v12, v12, v16 dst_sel:DWORD dst_unused:UNUSED_PAD src0_sel:DWORD src1_sel:WORD_0
	v_add_u32_e32 v32, 1, v23
	v_or_b32_e32 v31, 3, v23
	v_or_b32_e32 v30, 2, v23
	;; [unrolled: 1-line block ×6, first 2 shown]
	s_and_saveexec_b64 s[8:9], vcc
	s_cbranch_execz .LBB250_266
; %bb.265:                              ;   in Loop: Header=BB250_232 Depth=1
	v_lshrrev_b32_e32 v17, 16, v15
	v_cmp_gt_i32_e64 s[0:1], s27, v32
	v_lshrrev_b32_e32 v12, 16, v12
	s_nop 0
	v_cndmask_b32_e64 v17, 0, v17, s[0:1]
	v_cmp_gt_i32_e64 s[0:1], s33, v23
	s_nop 1
	v_cndmask_b32_e64 v15, 0, v15, s[0:1]
	v_perm_b32 v15, v17, v15, s31
	v_lshrrev_b32_e32 v17, 16, v2
	v_cmp_gt_i32_e64 s[0:1], s27, v31
	s_nop 1
	v_cndmask_b32_e64 v17, 0, v17, s[0:1]
	v_cmp_gt_i32_e64 s[0:1], s33, v30
	s_nop 1
	v_cndmask_b32_e64 v2, 0, v2, s[0:1]
	v_perm_b32 v2, v17, v2, s31
	v_lshrrev_b32_e32 v17, 16, v14
	v_cmp_gt_i32_e64 s[0:1], s27, v29
	s_nop 1
	v_cndmask_b32_e64 v17, 0, v17, s[0:1]
	v_cmp_gt_i32_e64 s[0:1], s33, v28
	s_nop 1
	v_cndmask_b32_e64 v14, 0, v14, s[0:1]
	v_cmp_gt_i32_e64 s[0:1], s27, v27
	v_perm_b32 v14, v17, v14, s31
	s_nop 0
	v_cndmask_b32_e64 v12, 0, v12, s[0:1]
	v_cmp_gt_i32_e64 s[0:1], s33, v26
	s_nop 1
	v_cndmask_b32_e64 v16, 0, v16, s[0:1]
	v_perm_b32 v12, v12, v16, s31
.LBB250_266:                            ;   in Loop: Header=BB250_232 Depth=1
	s_or_b64 exec, exec, s[8:9]
	v_and_b32_e32 v16, 0xffff, v33
	v_lshl_or_b32 v33, v34, 16, v16
	v_and_b32_e32 v16, 0xffff, v35
	v_lshl_or_b32 v34, v36, 16, v16
	v_and_b32_e32 v16, 0xffff, v37
	v_lshl_or_b32 v35, v38, 16, v16
	v_and_b32_e32 v16, 0xffff, v39
	;;#ASMSTART
	v_pk_mul_f16 v15, v33, v15;

	;;#ASMEND
	;;#ASMSTART
	v_pk_mul_f16 v2, v34, v2;

	;;#ASMEND
	v_lshl_or_b32 v36, v40, 16, v16
	;;#ASMSTART
	v_pk_mul_f16 v14, v35, v14;

	;;#ASMEND
	;;#ASMSTART
	v_pk_mul_f16 v12, v36, v12;

	;;#ASMEND
	;;#ASMSTART
	v_pk_add_f16 v2, v15, v2;

	;;#ASMEND
	s_mov_b64 s[0:1], 0
	;;#ASMSTART
	v_pk_add_f16 v2, v2, v14;

	;;#ASMEND
                                        ; implicit-def: $sgpr14
	s_nop 0
	;;#ASMSTART
	v_pk_add_f16 v2, v2, v12;

	;;#ASMEND
	s_nop 0
	v_lshrrev_b32_e32 v12, 16, v2
	v_and_b32_e32 v2, 0xffff, v2
	;;#ASMSTART
	v_cvt_f32_f16 v37, v2;
	;;#ASMEND
	;;#ASMSTART
	v_cvt_f32_f16 v38, v12;
	;;#ASMEND
	global_load_dwordx2 v[14:15], v[10:11], off offset:512
	global_load_dword v12, v3, s[10:11]
	s_waitcnt vmcnt(1)
	v_cmp_gt_i16_sdwa s[8:9], v14, s22 src0_sel:BYTE_0 src1_sel:DWORD
	s_and_saveexec_b64 s[12:13], s[8:9]
	s_xor_b64 s[8:9], exec, s[12:13]
	s_cbranch_execnz .LBB250_366
; %bb.267:                              ;   in Loop: Header=BB250_232 Depth=1
	s_or_saveexec_b64 s[8:9], s[8:9]
	v_mov_b32_e32 v16, s14
	s_xor_b64 exec, exec, s[8:9]
	s_cbranch_execnz .LBB250_369
.LBB250_268:                            ;   in Loop: Header=BB250_232 Depth=1
	s_or_b64 exec, exec, s[8:9]
	s_and_saveexec_b64 s[8:9], s[0:1]
	s_cbranch_execz .LBB250_270
.LBB250_269:                            ;   in Loop: Header=BB250_232 Depth=1
	v_and_b32_e32 v2, 7, v14
	v_ffbh_u32_e32 v2, v2
	v_bfe_u32 v16, v14, 3, 4
	v_min_u32_e32 v2, 32, v2
	v_subrev_u32_e32 v17, 28, v2
	v_sub_u32_e32 v2, 29, v2
	v_cmp_eq_u32_e64 s[0:1], 0, v16
	s_nop 1
	v_cndmask_b32_e64 v2, v16, v2, s[0:1]
	v_cndmask_b32_e64 v16, 0, v17, s[0:1]
	v_lshlrev_b64 v[16:17], v16, v[14:15]
	v_lshlrev_b32_e32 v17, 8, v14
	v_lshl_add_u32 v2, v2, 10, v25
	v_lshlrev_b32_e32 v16, 7, v16
	v_and_or_b32 v2, v17, s24, v2
	v_and_or_b32 v2, v16, s25, v2
	v_cvt_f32_f16_e32 v16, v2
.LBB250_270:                            ;   in Loop: Header=BB250_232 Depth=1
	s_or_b64 exec, exec, s[8:9]
	v_lshrrev_b16_e32 v2, 8, v14
	v_cmp_lt_i16_e64 s[0:1], s22, v2
	s_mov_b64 s[8:9], 0
                                        ; implicit-def: $sgpr34
	s_and_saveexec_b64 s[12:13], s[0:1]
	s_xor_b64 s[12:13], exec, s[12:13]
	s_cbranch_execnz .LBB250_370
; %bb.271:                              ;   in Loop: Header=BB250_232 Depth=1
	s_or_saveexec_b64 s[12:13], s[12:13]
	v_mov_b32_e32 v18, s34
	s_xor_b64 exec, exec, s[12:13]
	s_cbranch_execnz .LBB250_373
.LBB250_272:                            ;   in Loop: Header=BB250_232 Depth=1
	s_or_b64 exec, exec, s[12:13]
	s_and_saveexec_b64 s[12:13], s[8:9]
	s_cbranch_execz .LBB250_274
.LBB250_273:                            ;   in Loop: Header=BB250_232 Depth=1
	v_and_b32_e32 v17, 7, v2
	v_ffbh_u32_e32 v18, v17
	v_min_u32_e32 v40, 32, v18
	v_subrev_u32_e32 v18, 28, v40
	v_bfe_u32 v39, v2, 3, 4
	v_lshlrev_b64 v[18:19], v18, v[2:3]
	v_sub_u32_e32 v19, 29, v40
	v_cmp_eq_u32_e64 s[0:1], 0, v39
	v_and_b32_e32 v18, 7, v18
	v_lshlrev_b32_e32 v2, 8, v2
	v_cndmask_b32_e64 v19, v39, v19, s[0:1]
	v_cndmask_b32_e64 v17, v17, v18, s[0:1]
	v_lshl_add_u32 v18, v19, 10, v25
	v_and_or_b32 v2, v2, s24, v18
	v_lshl_or_b32 v2, v17, 7, v2
	v_cvt_f32_f16_e32 v18, v2
.LBB250_274:                            ;   in Loop: Header=BB250_232 Depth=1
	s_or_b64 exec, exec, s[12:13]
	v_lshrrev_b32_e32 v2, 16, v14
	v_cmp_gt_i16_sdwa s[8:9], v2, s22 src0_sel:BYTE_0 src1_sel:DWORD
	s_mov_b64 s[0:1], 0
                                        ; implicit-def: $sgpr14
	s_and_saveexec_b64 s[12:13], s[8:9]
	s_xor_b64 s[8:9], exec, s[12:13]
	s_cbranch_execnz .LBB250_374
; %bb.275:                              ;   in Loop: Header=BB250_232 Depth=1
	s_or_saveexec_b64 s[8:9], s[8:9]
	v_mov_b32_e32 v17, s14
	s_xor_b64 exec, exec, s[8:9]
	s_cbranch_execnz .LBB250_377
.LBB250_276:                            ;   in Loop: Header=BB250_232 Depth=1
	s_or_b64 exec, exec, s[8:9]
	s_and_saveexec_b64 s[8:9], s[0:1]
	s_cbranch_execz .LBB250_278
.LBB250_277:                            ;   in Loop: Header=BB250_232 Depth=1
	v_bfe_u32 v17, v14, 16, 3
	v_ffbh_u32_e32 v39, v17
	v_bfe_u32 v19, v14, 19, 4
	v_min_u32_e32 v39, 32, v39
	v_subrev_u32_e32 v40, 28, v39
	v_sub_u32_e32 v39, 29, v39
	v_cmp_eq_u32_e64 s[0:1], 0, v19
	v_lshlrev_b64 v[40:41], v40, v[2:3]
	v_and_b32_e32 v40, 7, v40
	v_cndmask_b32_e64 v19, v19, v39, s[0:1]
	v_lshlrev_b32_e32 v2, 8, v2
	v_lshl_add_u32 v19, v19, 10, v25
	v_cndmask_b32_e64 v17, v17, v40, s[0:1]
	v_and_or_b32 v2, v2, s24, v19
	v_lshl_or_b32 v2, v17, 7, v2
	v_cvt_f32_f16_e32 v17, v2
.LBB250_278:                            ;   in Loop: Header=BB250_232 Depth=1
	s_or_b64 exec, exec, s[8:9]
	v_lshrrev_b32_e32 v2, 24, v14
	v_cmp_lt_i16_e64 s[0:1], s22, v2
	s_mov_b64 s[8:9], 0
                                        ; implicit-def: $sgpr34
	s_and_saveexec_b64 s[12:13], s[0:1]
	s_xor_b64 s[12:13], exec, s[12:13]
	s_cbranch_execnz .LBB250_378
; %bb.279:                              ;   in Loop: Header=BB250_232 Depth=1
	s_or_saveexec_b64 s[12:13], s[12:13]
	v_mov_b32_e32 v19, s34
	s_xor_b64 exec, exec, s[12:13]
	s_cbranch_execnz .LBB250_381
.LBB250_280:                            ;   in Loop: Header=BB250_232 Depth=1
	s_or_b64 exec, exec, s[12:13]
	s_and_saveexec_b64 s[12:13], s[8:9]
	s_cbranch_execz .LBB250_282
.LBB250_281:                            ;   in Loop: Header=BB250_232 Depth=1
	v_bfe_u32 v19, v14, 24, 3
	v_ffbh_u32_e32 v39, v19
	v_bfe_u32 v14, v14, 27, 4
	v_min_u32_e32 v39, 32, v39
	v_subrev_u32_e32 v40, 28, v39
	v_sub_u32_e32 v39, 29, v39
	v_cmp_eq_u32_e64 s[0:1], 0, v14
	v_lshlrev_b64 v[40:41], v40, v[2:3]
	v_and_b32_e32 v40, 7, v40
	v_cndmask_b32_e64 v14, v14, v39, s[0:1]
	v_lshlrev_b32_e32 v2, 8, v2
	v_lshl_add_u32 v14, v14, 10, v25
	v_cndmask_b32_e64 v19, v19, v40, s[0:1]
	v_and_or_b32 v2, v2, s24, v14
	v_lshl_or_b32 v2, v19, 7, v2
	v_cvt_f32_f16_e32 v19, v2
.LBB250_282:                            ;   in Loop: Header=BB250_232 Depth=1
	s_or_b64 exec, exec, s[12:13]
	v_cmp_gt_i16_sdwa s[8:9], v15, s22 src0_sel:BYTE_0 src1_sel:DWORD
	s_mov_b64 s[0:1], 0
                                        ; implicit-def: $sgpr14
	s_and_saveexec_b64 s[12:13], s[8:9]
	s_xor_b64 s[8:9], exec, s[12:13]
	s_cbranch_execnz .LBB250_382
; %bb.283:                              ;   in Loop: Header=BB250_232 Depth=1
	s_or_saveexec_b64 s[8:9], s[8:9]
	v_mov_b32_e32 v14, s14
	s_xor_b64 exec, exec, s[8:9]
	s_cbranch_execnz .LBB250_385
.LBB250_284:                            ;   in Loop: Header=BB250_232 Depth=1
	s_or_b64 exec, exec, s[8:9]
	v_mov_b32_e32 v2, v15
	s_and_saveexec_b64 s[8:9], s[0:1]
	s_cbranch_execz .LBB250_286
.LBB250_285:                            ;   in Loop: Header=BB250_232 Depth=1
	v_and_b32_e32 v14, 7, v15
	v_ffbh_u32_e32 v14, v14
	v_bfe_u32 v39, v15, 3, 4
	v_min_u32_e32 v14, 32, v14
	v_subrev_u32_e32 v40, 28, v14
	v_sub_u32_e32 v14, 29, v14
	v_cmp_eq_u32_e64 s[0:1], 0, v39
	s_nop 1
	v_cndmask_b32_e64 v14, v39, v14, s[0:1]
	v_cndmask_b32_e64 v39, 0, v40, s[0:1]
	v_lshlrev_b64 v[40:41], v39, v[2:3]
	v_lshlrev_b32_e32 v39, 7, v40
	v_lshlrev_b32_e32 v40, 8, v15
	v_lshl_add_u32 v14, v14, 10, v25
	v_and_or_b32 v14, v40, s24, v14
	v_and_or_b32 v14, v39, s25, v14
	v_cvt_f32_f16_e32 v14, v14
.LBB250_286:                            ;   in Loop: Header=BB250_232 Depth=1
	s_or_b64 exec, exec, s[8:9]
	v_lshrrev_b16_e32 v2, 8, v2
	v_cmp_lt_i16_e64 s[0:1], s22, v2
	s_mov_b64 s[8:9], 0
                                        ; implicit-def: $sgpr34
	s_and_saveexec_b64 s[12:13], s[0:1]
	s_xor_b64 s[12:13], exec, s[12:13]
	s_cbranch_execnz .LBB250_386
; %bb.287:                              ;   in Loop: Header=BB250_232 Depth=1
	s_or_saveexec_b64 s[12:13], s[12:13]
	v_mov_b32_e32 v39, s34
	s_xor_b64 exec, exec, s[12:13]
	s_cbranch_execnz .LBB250_389
.LBB250_288:                            ;   in Loop: Header=BB250_232 Depth=1
	s_or_b64 exec, exec, s[12:13]
	s_and_saveexec_b64 s[12:13], s[8:9]
	s_cbranch_execz .LBB250_290
.LBB250_289:                            ;   in Loop: Header=BB250_232 Depth=1
	v_and_b32_e32 v39, 7, v2
	v_ffbh_u32_e32 v40, v39
	v_min_u32_e32 v43, 32, v40
	v_subrev_u32_e32 v40, 28, v43
	v_bfe_u32 v42, v2, 3, 4
	v_lshlrev_b64 v[40:41], v40, v[2:3]
	v_sub_u32_e32 v41, 29, v43
	v_cmp_eq_u32_e64 s[0:1], 0, v42
	v_and_b32_e32 v40, 7, v40
	v_lshlrev_b32_e32 v2, 8, v2
	v_cndmask_b32_e64 v41, v42, v41, s[0:1]
	v_cndmask_b32_e64 v39, v39, v40, s[0:1]
	v_lshl_add_u32 v40, v41, 10, v25
	v_and_or_b32 v2, v2, s24, v40
	v_lshl_or_b32 v2, v39, 7, v2
	v_cvt_f32_f16_e32 v39, v2
.LBB250_290:                            ;   in Loop: Header=BB250_232 Depth=1
	s_or_b64 exec, exec, s[12:13]
	v_lshrrev_b32_e32 v2, 16, v15
	v_cmp_gt_i16_sdwa s[8:9], v2, s22 src0_sel:BYTE_0 src1_sel:DWORD
	s_mov_b64 s[0:1], 0
                                        ; implicit-def: $sgpr14
	s_and_saveexec_b64 s[12:13], s[8:9]
	s_xor_b64 s[8:9], exec, s[12:13]
	s_cbranch_execnz .LBB250_390
; %bb.291:                              ;   in Loop: Header=BB250_232 Depth=1
	s_or_saveexec_b64 s[8:9], s[8:9]
	v_mov_b32_e32 v40, s14
	s_xor_b64 exec, exec, s[8:9]
	s_cbranch_execnz .LBB250_393
.LBB250_292:                            ;   in Loop: Header=BB250_232 Depth=1
	s_or_b64 exec, exec, s[8:9]
	s_and_saveexec_b64 s[8:9], s[0:1]
	s_cbranch_execz .LBB250_294
.LBB250_293:                            ;   in Loop: Header=BB250_232 Depth=1
	v_bfe_u32 v42, v15, 16, 3
	v_ffbh_u32_e32 v40, v42
	v_min_u32_e32 v44, 32, v40
	v_subrev_u32_e32 v40, 28, v44
	v_bfe_u32 v43, v15, 19, 4
	v_lshlrev_b64 v[40:41], v40, v[2:3]
	v_sub_u32_e32 v41, 29, v44
	v_cmp_eq_u32_e64 s[0:1], 0, v43
	v_and_b32_e32 v40, 7, v40
	v_lshlrev_b32_e32 v2, 8, v2
	v_cndmask_b32_e64 v41, v43, v41, s[0:1]
	v_lshl_add_u32 v41, v41, 10, v25
	v_cndmask_b32_e64 v40, v42, v40, s[0:1]
	v_and_or_b32 v2, v2, s24, v41
	v_lshl_or_b32 v2, v40, 7, v2
	v_cvt_f32_f16_e32 v40, v2
.LBB250_294:                            ;   in Loop: Header=BB250_232 Depth=1
	s_or_b64 exec, exec, s[8:9]
	v_lshrrev_b32_e32 v2, 24, v15
	v_cmp_lt_i16_e64 s[0:1], s22, v2
	s_mov_b64 s[8:9], 0
                                        ; implicit-def: $sgpr34
	s_and_saveexec_b64 s[12:13], s[0:1]
	s_xor_b64 s[12:13], exec, s[12:13]
	s_cbranch_execnz .LBB250_394
; %bb.295:                              ;   in Loop: Header=BB250_232 Depth=1
	s_or_saveexec_b64 s[12:13], s[12:13]
	v_mov_b32_e32 v41, s34
	s_xor_b64 exec, exec, s[12:13]
	s_cbranch_execnz .LBB250_397
.LBB250_296:                            ;   in Loop: Header=BB250_232 Depth=1
	s_or_b64 exec, exec, s[12:13]
	s_and_saveexec_b64 s[12:13], s[8:9]
	s_cbranch_execz .LBB250_298
.LBB250_297:                            ;   in Loop: Header=BB250_232 Depth=1
	v_bfe_u32 v41, v15, 24, 3
	v_ffbh_u32_e32 v42, v41
	v_min_u32_e32 v44, 32, v42
	v_subrev_u32_e32 v42, 28, v44
	v_bfe_u32 v15, v15, 27, 4
	v_lshlrev_b64 v[42:43], v42, v[2:3]
	v_sub_u32_e32 v43, 29, v44
	v_cmp_eq_u32_e64 s[0:1], 0, v15
	v_and_b32_e32 v42, 7, v42
	v_lshlrev_b32_e32 v2, 8, v2
	v_cndmask_b32_e64 v15, v15, v43, s[0:1]
	v_lshl_add_u32 v15, v15, 10, v25
	v_cndmask_b32_e64 v41, v41, v42, s[0:1]
	v_and_or_b32 v2, v2, s24, v15
	v_lshl_or_b32 v2, v41, 7, v2
	v_cvt_f32_f16_e32 v41, v2
.LBB250_298:                            ;   in Loop: Header=BB250_232 Depth=1
	s_or_b64 exec, exec, s[12:13]
	s_waitcnt vmcnt(0)
	v_pk_mul_f32 v[18:19], v[12:13], v[18:19] op_sel_hi:[0,1]
	v_pk_mul_f32 v[16:17], v[12:13], v[16:17] op_sel_hi:[0,1]
	v_cvt_f16_f32_e32 v2, v19
	v_cvt_f16_f32_e32 v15, v18
	;; [unrolled: 1-line block ×4, first 2 shown]
	v_fma_mixlo_f16 v14, v12, v14, 0
	v_pack_b32_f16 v15, v15, v2
	v_pack_b32_f16 v16, v16, v17
	v_perm_b32 v2, v16, v15, s29
	v_perm_b32 v15, v16, v15, s30
	v_fma_mixlo_f16 v16, v12, v39, 0
	v_lshlrev_b32_e32 v16, 16, v16
	v_or_b32_sdwa v14, v16, v14 dst_sel:DWORD dst_unused:UNUSED_PAD src0_sel:DWORD src1_sel:WORD_0
	v_fma_mixlo_f16 v16, v12, v40, 0
	v_fma_mixlo_f16 v12, v12, v41, 0
	v_lshlrev_b32_e32 v12, 16, v12
	v_or_b32_sdwa v12, v12, v16 dst_sel:DWORD dst_unused:UNUSED_PAD src0_sel:DWORD src1_sel:WORD_0
	s_and_saveexec_b64 s[8:9], vcc
	s_cbranch_execz .LBB250_300
; %bb.299:                              ;   in Loop: Header=BB250_232 Depth=1
	v_lshrrev_b32_e32 v17, 16, v15
	v_cmp_gt_i32_e64 s[0:1], s27, v32
	v_lshrrev_b32_e32 v12, 16, v12
	s_nop 0
	v_cndmask_b32_e64 v17, 0, v17, s[0:1]
	v_cmp_gt_i32_e64 s[0:1], s33, v23
	s_nop 1
	v_cndmask_b32_e64 v15, 0, v15, s[0:1]
	v_perm_b32 v15, v17, v15, s31
	v_lshrrev_b32_e32 v17, 16, v2
	v_cmp_gt_i32_e64 s[0:1], s27, v31
	s_nop 1
	v_cndmask_b32_e64 v17, 0, v17, s[0:1]
	v_cmp_gt_i32_e64 s[0:1], s33, v30
	s_nop 1
	v_cndmask_b32_e64 v2, 0, v2, s[0:1]
	v_perm_b32 v2, v17, v2, s31
	v_lshrrev_b32_e32 v17, 16, v14
	v_cmp_gt_i32_e64 s[0:1], s27, v29
	s_nop 1
	v_cndmask_b32_e64 v17, 0, v17, s[0:1]
	v_cmp_gt_i32_e64 s[0:1], s33, v28
	s_nop 1
	v_cndmask_b32_e64 v14, 0, v14, s[0:1]
	v_cmp_gt_i32_e64 s[0:1], s27, v27
	v_perm_b32 v14, v17, v14, s31
	s_nop 0
	v_cndmask_b32_e64 v12, 0, v12, s[0:1]
	v_cmp_gt_i32_e64 s[0:1], s33, v26
	s_nop 1
	v_cndmask_b32_e64 v16, 0, v16, s[0:1]
	v_perm_b32 v12, v12, v16, s31
.LBB250_300:                            ;   in Loop: Header=BB250_232 Depth=1
	s_or_b64 exec, exec, s[8:9]
	;;#ASMSTART
	v_pk_mul_f16 v15, v33, v15;

	;;#ASMEND
	;;#ASMSTART
	v_pk_mul_f16 v2, v34, v2;

	;;#ASMEND
	;; [unrolled: 4-line block ×4, first 2 shown]
	s_mov_b64 s[0:1], 0
	;;#ASMSTART
	v_pk_add_f16 v2, v15, v2;

	;;#ASMEND
                                        ; implicit-def: $sgpr14
	s_nop 0
	;;#ASMSTART
	v_pk_add_f16 v2, v2, v14;

	;;#ASMEND
	s_nop 0
	;;#ASMSTART
	v_pk_add_f16 v2, v2, v12;

	;;#ASMEND
	s_nop 0
	v_lshrrev_b32_e32 v12, 16, v2
	v_and_b32_e32 v2, 0xffff, v2
	;;#ASMSTART
	v_cvt_f32_f16 v18, v2;
	;;#ASMEND
	;;#ASMSTART
	v_cvt_f32_f16 v19, v12;
	;;#ASMEND
	global_load_dwordx2 v[14:15], v[10:11], off offset:1024
	global_load_dword v12, v3, s[10:11]
	s_waitcnt vmcnt(1)
	v_cmp_gt_i16_sdwa s[8:9], v14, s22 src0_sel:BYTE_0 src1_sel:DWORD
	s_and_saveexec_b64 s[12:13], s[8:9]
	s_xor_b64 s[8:9], exec, s[12:13]
	s_cbranch_execnz .LBB250_398
; %bb.301:                              ;   in Loop: Header=BB250_232 Depth=1
	s_or_saveexec_b64 s[8:9], s[8:9]
	v_mov_b32_e32 v10, s14
	s_xor_b64 exec, exec, s[8:9]
	s_cbranch_execnz .LBB250_401
.LBB250_302:                            ;   in Loop: Header=BB250_232 Depth=1
	s_or_b64 exec, exec, s[8:9]
	s_and_saveexec_b64 s[8:9], s[0:1]
	s_cbranch_execz .LBB250_304
.LBB250_303:                            ;   in Loop: Header=BB250_232 Depth=1
	v_and_b32_e32 v2, 7, v14
	v_ffbh_u32_e32 v2, v2
	v_bfe_u32 v10, v14, 3, 4
	v_min_u32_e32 v2, 32, v2
	v_subrev_u32_e32 v11, 28, v2
	v_sub_u32_e32 v2, 29, v2
	v_cmp_eq_u32_e64 s[0:1], 0, v10
	s_nop 1
	v_cndmask_b32_e64 v2, v10, v2, s[0:1]
	v_cndmask_b32_e64 v10, 0, v11, s[0:1]
	v_lshlrev_b64 v[10:11], v10, v[14:15]
	v_lshlrev_b32_e32 v11, 8, v14
	v_lshl_add_u32 v2, v2, 10, v25
	v_lshlrev_b32_e32 v10, 7, v10
	v_and_or_b32 v2, v11, s24, v2
	v_and_or_b32 v2, v10, s25, v2
	v_cvt_f32_f16_e32 v10, v2
.LBB250_304:                            ;   in Loop: Header=BB250_232 Depth=1
	s_or_b64 exec, exec, s[8:9]
	v_lshrrev_b16_e32 v2, 8, v14
	v_cmp_lt_i16_e64 s[0:1], s22, v2
	s_mov_b64 s[8:9], 0
                                        ; implicit-def: $sgpr34
	s_and_saveexec_b64 s[12:13], s[0:1]
	s_xor_b64 s[12:13], exec, s[12:13]
	s_cbranch_execnz .LBB250_402
; %bb.305:                              ;   in Loop: Header=BB250_232 Depth=1
	s_or_saveexec_b64 s[12:13], s[12:13]
	v_mov_b32_e32 v16, s34
	s_xor_b64 exec, exec, s[12:13]
	s_cbranch_execnz .LBB250_405
.LBB250_306:                            ;   in Loop: Header=BB250_232 Depth=1
	s_or_b64 exec, exec, s[12:13]
	s_and_saveexec_b64 s[12:13], s[8:9]
	s_cbranch_execz .LBB250_308
.LBB250_307:                            ;   in Loop: Header=BB250_232 Depth=1
	v_and_b32_e32 v11, 7, v2
	v_ffbh_u32_e32 v16, v11
	v_min_u32_e32 v40, 32, v16
	v_subrev_u32_e32 v16, 28, v40
	v_bfe_u32 v39, v2, 3, 4
	v_lshlrev_b64 v[16:17], v16, v[2:3]
	v_sub_u32_e32 v17, 29, v40
	v_cmp_eq_u32_e64 s[0:1], 0, v39
	v_and_b32_e32 v16, 7, v16
	v_lshlrev_b32_e32 v2, 8, v2
	v_cndmask_b32_e64 v17, v39, v17, s[0:1]
	v_cndmask_b32_e64 v11, v11, v16, s[0:1]
	v_lshl_add_u32 v16, v17, 10, v25
	v_and_or_b32 v2, v2, s24, v16
	v_lshl_or_b32 v2, v11, 7, v2
	v_cvt_f32_f16_e32 v16, v2
.LBB250_308:                            ;   in Loop: Header=BB250_232 Depth=1
	s_or_b64 exec, exec, s[12:13]
	v_lshrrev_b32_e32 v2, 16, v14
	v_cmp_gt_i16_sdwa s[8:9], v2, s22 src0_sel:BYTE_0 src1_sel:DWORD
	s_mov_b64 s[0:1], 0
                                        ; implicit-def: $sgpr14
	s_and_saveexec_b64 s[12:13], s[8:9]
	s_xor_b64 s[8:9], exec, s[12:13]
	s_cbranch_execnz .LBB250_406
; %bb.309:                              ;   in Loop: Header=BB250_232 Depth=1
	s_or_saveexec_b64 s[8:9], s[8:9]
	v_mov_b32_e32 v11, s14
	s_xor_b64 exec, exec, s[8:9]
	s_cbranch_execnz .LBB250_409
.LBB250_310:                            ;   in Loop: Header=BB250_232 Depth=1
	s_or_b64 exec, exec, s[8:9]
	s_and_saveexec_b64 s[8:9], s[0:1]
	s_cbranch_execz .LBB250_312
.LBB250_311:                            ;   in Loop: Header=BB250_232 Depth=1
	v_bfe_u32 v11, v14, 16, 3
	v_ffbh_u32_e32 v39, v11
	v_bfe_u32 v17, v14, 19, 4
	v_min_u32_e32 v39, 32, v39
	v_subrev_u32_e32 v40, 28, v39
	v_sub_u32_e32 v39, 29, v39
	v_cmp_eq_u32_e64 s[0:1], 0, v17
	v_lshlrev_b64 v[40:41], v40, v[2:3]
	v_and_b32_e32 v40, 7, v40
	v_cndmask_b32_e64 v17, v17, v39, s[0:1]
	v_lshlrev_b32_e32 v2, 8, v2
	v_lshl_add_u32 v17, v17, 10, v25
	v_cndmask_b32_e64 v11, v11, v40, s[0:1]
	v_and_or_b32 v2, v2, s24, v17
	v_lshl_or_b32 v2, v11, 7, v2
	v_cvt_f32_f16_e32 v11, v2
.LBB250_312:                            ;   in Loop: Header=BB250_232 Depth=1
	s_or_b64 exec, exec, s[8:9]
	v_lshrrev_b32_e32 v2, 24, v14
	v_cmp_lt_i16_e64 s[0:1], s22, v2
	s_mov_b64 s[8:9], 0
                                        ; implicit-def: $sgpr34
	s_and_saveexec_b64 s[12:13], s[0:1]
	s_xor_b64 s[12:13], exec, s[12:13]
	s_cbranch_execnz .LBB250_410
; %bb.313:                              ;   in Loop: Header=BB250_232 Depth=1
	s_or_saveexec_b64 s[12:13], s[12:13]
	v_mov_b32_e32 v17, s34
	s_xor_b64 exec, exec, s[12:13]
	s_cbranch_execnz .LBB250_413
.LBB250_314:                            ;   in Loop: Header=BB250_232 Depth=1
	s_or_b64 exec, exec, s[12:13]
	s_and_saveexec_b64 s[12:13], s[8:9]
	s_cbranch_execz .LBB250_316
.LBB250_315:                            ;   in Loop: Header=BB250_232 Depth=1
	v_bfe_u32 v17, v14, 24, 3
	v_ffbh_u32_e32 v39, v17
	v_bfe_u32 v14, v14, 27, 4
	v_min_u32_e32 v39, 32, v39
	v_subrev_u32_e32 v40, 28, v39
	v_sub_u32_e32 v39, 29, v39
	v_cmp_eq_u32_e64 s[0:1], 0, v14
	v_lshlrev_b64 v[40:41], v40, v[2:3]
	v_and_b32_e32 v40, 7, v40
	v_cndmask_b32_e64 v14, v14, v39, s[0:1]
	v_lshlrev_b32_e32 v2, 8, v2
	v_lshl_add_u32 v14, v14, 10, v25
	v_cndmask_b32_e64 v17, v17, v40, s[0:1]
	v_and_or_b32 v2, v2, s24, v14
	v_lshl_or_b32 v2, v17, 7, v2
	v_cvt_f32_f16_e32 v17, v2
.LBB250_316:                            ;   in Loop: Header=BB250_232 Depth=1
	s_or_b64 exec, exec, s[12:13]
	v_cmp_gt_i16_sdwa s[8:9], v15, s22 src0_sel:BYTE_0 src1_sel:DWORD
	s_mov_b64 s[0:1], 0
                                        ; implicit-def: $sgpr14
	s_and_saveexec_b64 s[12:13], s[8:9]
	s_xor_b64 s[8:9], exec, s[12:13]
	s_cbranch_execnz .LBB250_414
; %bb.317:                              ;   in Loop: Header=BB250_232 Depth=1
	s_or_saveexec_b64 s[8:9], s[8:9]
	v_mov_b32_e32 v14, s14
	s_xor_b64 exec, exec, s[8:9]
	s_cbranch_execnz .LBB250_417
.LBB250_318:                            ;   in Loop: Header=BB250_232 Depth=1
	s_or_b64 exec, exec, s[8:9]
	v_mov_b32_e32 v2, v15
	s_and_saveexec_b64 s[8:9], s[0:1]
	s_cbranch_execz .LBB250_320
.LBB250_319:                            ;   in Loop: Header=BB250_232 Depth=1
	v_and_b32_e32 v14, 7, v15
	v_ffbh_u32_e32 v14, v14
	v_bfe_u32 v39, v15, 3, 4
	v_min_u32_e32 v14, 32, v14
	v_subrev_u32_e32 v40, 28, v14
	v_sub_u32_e32 v14, 29, v14
	v_cmp_eq_u32_e64 s[0:1], 0, v39
	s_nop 1
	v_cndmask_b32_e64 v14, v39, v14, s[0:1]
	v_cndmask_b32_e64 v39, 0, v40, s[0:1]
	v_lshlrev_b64 v[40:41], v39, v[2:3]
	v_lshlrev_b32_e32 v39, 7, v40
	v_lshlrev_b32_e32 v40, 8, v15
	v_lshl_add_u32 v14, v14, 10, v25
	v_and_or_b32 v14, v40, s24, v14
	v_and_or_b32 v14, v39, s25, v14
	v_cvt_f32_f16_e32 v14, v14
.LBB250_320:                            ;   in Loop: Header=BB250_232 Depth=1
	s_or_b64 exec, exec, s[8:9]
	v_lshrrev_b16_e32 v2, 8, v2
	v_cmp_lt_i16_e64 s[0:1], s22, v2
	s_mov_b64 s[8:9], 0
                                        ; implicit-def: $sgpr34
	s_and_saveexec_b64 s[12:13], s[0:1]
	s_xor_b64 s[12:13], exec, s[12:13]
	s_cbranch_execnz .LBB250_418
; %bb.321:                              ;   in Loop: Header=BB250_232 Depth=1
	s_or_saveexec_b64 s[12:13], s[12:13]
	v_mov_b32_e32 v39, s34
	s_xor_b64 exec, exec, s[12:13]
	s_cbranch_execnz .LBB250_421
.LBB250_322:                            ;   in Loop: Header=BB250_232 Depth=1
	s_or_b64 exec, exec, s[12:13]
	s_and_saveexec_b64 s[12:13], s[8:9]
	s_cbranch_execz .LBB250_324
.LBB250_323:                            ;   in Loop: Header=BB250_232 Depth=1
	v_and_b32_e32 v39, 7, v2
	v_ffbh_u32_e32 v40, v39
	v_min_u32_e32 v43, 32, v40
	v_subrev_u32_e32 v40, 28, v43
	v_bfe_u32 v42, v2, 3, 4
	v_lshlrev_b64 v[40:41], v40, v[2:3]
	v_sub_u32_e32 v41, 29, v43
	v_cmp_eq_u32_e64 s[0:1], 0, v42
	v_and_b32_e32 v40, 7, v40
	v_lshlrev_b32_e32 v2, 8, v2
	v_cndmask_b32_e64 v41, v42, v41, s[0:1]
	v_cndmask_b32_e64 v39, v39, v40, s[0:1]
	v_lshl_add_u32 v40, v41, 10, v25
	v_and_or_b32 v2, v2, s24, v40
	v_lshl_or_b32 v2, v39, 7, v2
	v_cvt_f32_f16_e32 v39, v2
.LBB250_324:                            ;   in Loop: Header=BB250_232 Depth=1
	s_or_b64 exec, exec, s[12:13]
	v_lshrrev_b32_e32 v2, 16, v15
	v_cmp_gt_i16_sdwa s[8:9], v2, s22 src0_sel:BYTE_0 src1_sel:DWORD
	s_mov_b64 s[0:1], 0
                                        ; implicit-def: $sgpr14
	s_and_saveexec_b64 s[12:13], s[8:9]
	s_xor_b64 s[8:9], exec, s[12:13]
	s_cbranch_execnz .LBB250_422
; %bb.325:                              ;   in Loop: Header=BB250_232 Depth=1
	s_or_saveexec_b64 s[8:9], s[8:9]
	v_mov_b32_e32 v40, s14
	s_xor_b64 exec, exec, s[8:9]
	s_cbranch_execnz .LBB250_425
.LBB250_326:                            ;   in Loop: Header=BB250_232 Depth=1
	s_or_b64 exec, exec, s[8:9]
	s_and_saveexec_b64 s[8:9], s[0:1]
	s_cbranch_execz .LBB250_328
.LBB250_327:                            ;   in Loop: Header=BB250_232 Depth=1
	v_bfe_u32 v42, v15, 16, 3
	v_ffbh_u32_e32 v40, v42
	v_min_u32_e32 v44, 32, v40
	v_subrev_u32_e32 v40, 28, v44
	v_bfe_u32 v43, v15, 19, 4
	v_lshlrev_b64 v[40:41], v40, v[2:3]
	v_sub_u32_e32 v41, 29, v44
	v_cmp_eq_u32_e64 s[0:1], 0, v43
	v_and_b32_e32 v40, 7, v40
	v_lshlrev_b32_e32 v2, 8, v2
	v_cndmask_b32_e64 v41, v43, v41, s[0:1]
	v_lshl_add_u32 v41, v41, 10, v25
	v_cndmask_b32_e64 v40, v42, v40, s[0:1]
	v_and_or_b32 v2, v2, s24, v41
	v_lshl_or_b32 v2, v40, 7, v2
	v_cvt_f32_f16_e32 v40, v2
.LBB250_328:                            ;   in Loop: Header=BB250_232 Depth=1
	s_or_b64 exec, exec, s[8:9]
	v_lshrrev_b32_e32 v2, 24, v15
	v_cmp_lt_i16_e64 s[0:1], s22, v2
	s_mov_b64 s[8:9], 0
                                        ; implicit-def: $sgpr34
	s_and_saveexec_b64 s[12:13], s[0:1]
	s_xor_b64 s[12:13], exec, s[12:13]
	s_cbranch_execnz .LBB250_426
; %bb.329:                              ;   in Loop: Header=BB250_232 Depth=1
	s_or_saveexec_b64 s[12:13], s[12:13]
	v_mov_b32_e32 v41, s34
	s_xor_b64 exec, exec, s[12:13]
	s_cbranch_execnz .LBB250_429
.LBB250_330:                            ;   in Loop: Header=BB250_232 Depth=1
	s_or_b64 exec, exec, s[12:13]
	s_and_saveexec_b64 s[12:13], s[8:9]
	s_cbranch_execz .LBB250_332
.LBB250_331:                            ;   in Loop: Header=BB250_232 Depth=1
	v_bfe_u32 v41, v15, 24, 3
	v_ffbh_u32_e32 v42, v41
	v_min_u32_e32 v44, 32, v42
	v_subrev_u32_e32 v42, 28, v44
	v_bfe_u32 v15, v15, 27, 4
	v_lshlrev_b64 v[42:43], v42, v[2:3]
	v_sub_u32_e32 v43, 29, v44
	v_cmp_eq_u32_e64 s[0:1], 0, v15
	v_and_b32_e32 v42, 7, v42
	v_lshlrev_b32_e32 v2, 8, v2
	v_cndmask_b32_e64 v15, v15, v43, s[0:1]
	v_lshl_add_u32 v15, v15, 10, v25
	v_cndmask_b32_e64 v41, v41, v42, s[0:1]
	v_and_or_b32 v2, v2, s24, v15
	v_lshl_or_b32 v2, v41, 7, v2
	v_cvt_f32_f16_e32 v41, v2
.LBB250_332:                            ;   in Loop: Header=BB250_232 Depth=1
	s_or_b64 exec, exec, s[12:13]
	s_waitcnt vmcnt(0)
	v_pk_mul_f32 v[10:11], v[12:13], v[10:11] op_sel_hi:[0,1]
	v_cvt_f16_f32_e32 v11, v11
	v_cvt_f16_f32_e32 v10, v10
	v_pk_mul_f32 v[16:17], v[12:13], v[16:17] op_sel_hi:[0,1]
	v_cvt_f16_f32_e32 v2, v17
	v_cvt_f16_f32_e32 v15, v16
	v_pack_b32_f16 v10, v10, v11
	v_fma_mixlo_f16 v11, v12, v39, 0
	v_lshlrev_b32_e32 v11, 16, v11
	v_fma_mixlo_f16 v14, v12, v14, 0
	v_or_b32_sdwa v11, v11, v14 dst_sel:DWORD dst_unused:UNUSED_PAD src0_sel:DWORD src1_sel:WORD_0
	v_fma_mixlo_f16 v14, v12, v40, 0
	v_fma_mixlo_f16 v12, v12, v41, 0
	v_pack_b32_f16 v15, v15, v2
	v_lshlrev_b32_e32 v12, 16, v12
	v_perm_b32 v2, v10, v15, s29
	v_perm_b32 v10, v10, v15, s30
	v_or_b32_sdwa v12, v12, v14 dst_sel:DWORD dst_unused:UNUSED_PAD src0_sel:DWORD src1_sel:WORD_0
	s_and_saveexec_b64 s[0:1], vcc
	s_cbranch_execz .LBB250_231
; %bb.333:                              ;   in Loop: Header=BB250_232 Depth=1
	v_lshrrev_b32_e32 v15, 16, v10
	v_cmp_gt_i32_e32 vcc, s27, v32
	v_lshrrev_b32_e32 v12, 16, v12
	s_nop 0
	v_cndmask_b32_e32 v15, 0, v15, vcc
	v_cmp_gt_i32_e32 vcc, s33, v23
	s_nop 1
	v_cndmask_b32_e32 v10, 0, v10, vcc
	v_perm_b32 v10, v15, v10, s31
	v_lshrrev_b32_e32 v15, 16, v2
	v_cmp_gt_i32_e32 vcc, s27, v31
	s_nop 1
	v_cndmask_b32_e32 v15, 0, v15, vcc
	v_cmp_gt_i32_e32 vcc, s33, v30
	s_nop 1
	v_cndmask_b32_e32 v2, 0, v2, vcc
	v_perm_b32 v2, v15, v2, s31
	v_lshrrev_b32_e32 v15, 16, v11
	v_cmp_gt_i32_e32 vcc, s27, v29
	s_nop 1
	v_cndmask_b32_e32 v15, 0, v15, vcc
	v_cmp_gt_i32_e32 vcc, s33, v28
	s_nop 1
	v_cndmask_b32_e32 v11, 0, v11, vcc
	v_cmp_gt_i32_e32 vcc, s27, v27
	v_perm_b32 v11, v15, v11, s31
	s_nop 0
	v_cndmask_b32_e32 v12, 0, v12, vcc
	v_cmp_gt_i32_e32 vcc, s33, v26
	s_nop 1
	v_cndmask_b32_e32 v14, 0, v14, vcc
	v_perm_b32 v12, v12, v14, s31
	s_branch .LBB250_231
.LBB250_334:                            ;   in Loop: Header=BB250_232 Depth=1
	v_cmp_eq_u16_sdwa s[34:35], v14, s23 src0_sel:BYTE_0 src1_sel:DWORD
	s_mov_b64 s[0:1], -1
                                        ; implicit-def: $sgpr14
	s_and_saveexec_b64 s[12:13], s[34:35]
; %bb.335:                              ;   in Loop: Header=BB250_232 Depth=1
	s_mov_b32 s14, 0x7fc02000
	s_xor_b64 s[0:1], exec, -1
; %bb.336:                              ;   in Loop: Header=BB250_232 Depth=1
	s_or_b64 exec, exec, s[12:13]
	s_and_b64 s[0:1], s[0:1], exec
	s_or_saveexec_b64 s[8:9], s[8:9]
	v_mov_b32_e32 v16, s14
	s_xor_b64 exec, exec, s[8:9]
	s_cbranch_execz .LBB250_234
.LBB250_337:                            ;   in Loop: Header=BB250_232 Depth=1
	v_cmp_ne_u16_sdwa s[12:13], v14, v3 src0_sel:BYTE_0 src1_sel:DWORD
	s_andn2_b64 s[0:1], s[0:1], exec
	s_and_b64 s[12:13], s[12:13], exec
	v_mov_b32_e32 v16, 0
	s_or_b64 s[0:1], s[0:1], s[12:13]
	s_or_b64 exec, exec, s[8:9]
	s_and_saveexec_b64 s[8:9], s[0:1]
	s_cbranch_execnz .LBB250_235
	s_branch .LBB250_236
.LBB250_338:                            ;   in Loop: Header=BB250_232 Depth=1
	v_cmp_eq_u16_e32 vcc, s23, v2
	s_mov_b64 s[0:1], -1
                                        ; implicit-def: $sgpr14
	s_and_saveexec_b64 s[12:13], vcc
; %bb.339:                              ;   in Loop: Header=BB250_232 Depth=1
	s_mov_b32 s14, 0x7fc02000
	s_xor_b64 s[0:1], exec, -1
; %bb.340:                              ;   in Loop: Header=BB250_232 Depth=1
	s_or_b64 exec, exec, s[12:13]
	s_and_b64 s[0:1], s[0:1], exec
	s_or_saveexec_b64 s[8:9], s[8:9]
	v_mov_b32_e32 v18, s14
	s_xor_b64 exec, exec, s[8:9]
	s_cbranch_execz .LBB250_238
.LBB250_341:                            ;   in Loop: Header=BB250_232 Depth=1
	v_cmp_ne_u16_e32 vcc, 0, v2
	s_andn2_b64 s[0:1], s[0:1], exec
	s_and_b64 s[12:13], vcc, exec
	v_mov_b32_e32 v18, 0
	s_or_b64 s[0:1], s[0:1], s[12:13]
	s_or_b64 exec, exec, s[8:9]
	s_and_saveexec_b64 s[8:9], s[0:1]
	s_cbranch_execnz .LBB250_239
	s_branch .LBB250_240
.LBB250_342:                            ;   in Loop: Header=BB250_232 Depth=1
	v_cmp_eq_u16_sdwa s[34:35], v2, s23 src0_sel:BYTE_0 src1_sel:DWORD
	s_mov_b64 s[0:1], -1
                                        ; implicit-def: $sgpr14
	s_and_saveexec_b64 s[12:13], s[34:35]
; %bb.343:                              ;   in Loop: Header=BB250_232 Depth=1
	s_mov_b32 s14, 0x7fc02000
	s_xor_b64 s[0:1], exec, -1
; %bb.344:                              ;   in Loop: Header=BB250_232 Depth=1
	s_or_b64 exec, exec, s[12:13]
	s_and_b64 s[0:1], s[0:1], exec
	s_or_saveexec_b64 s[8:9], s[8:9]
	v_mov_b32_e32 v17, s14
	s_xor_b64 exec, exec, s[8:9]
	s_cbranch_execz .LBB250_242
.LBB250_345:                            ;   in Loop: Header=BB250_232 Depth=1
	v_cmp_ne_u16_sdwa s[12:13], v2, v3 src0_sel:BYTE_0 src1_sel:DWORD
	s_andn2_b64 s[0:1], s[0:1], exec
	s_and_b64 s[12:13], s[12:13], exec
	v_mov_b32_e32 v17, 0
	s_or_b64 s[0:1], s[0:1], s[12:13]
	s_or_b64 exec, exec, s[8:9]
	s_and_saveexec_b64 s[8:9], s[0:1]
	s_cbranch_execnz .LBB250_243
	s_branch .LBB250_244
.LBB250_346:                            ;   in Loop: Header=BB250_232 Depth=1
	v_cmp_eq_u16_e32 vcc, s23, v2
	s_mov_b64 s[0:1], -1
                                        ; implicit-def: $sgpr14
	s_and_saveexec_b64 s[12:13], vcc
; %bb.347:                              ;   in Loop: Header=BB250_232 Depth=1
	s_mov_b32 s14, 0x7fc02000
	s_xor_b64 s[0:1], exec, -1
; %bb.348:                              ;   in Loop: Header=BB250_232 Depth=1
	s_or_b64 exec, exec, s[12:13]
	s_and_b64 s[0:1], s[0:1], exec
	s_or_saveexec_b64 s[8:9], s[8:9]
	v_mov_b32_e32 v19, s14
	s_xor_b64 exec, exec, s[8:9]
	s_cbranch_execz .LBB250_246
.LBB250_349:                            ;   in Loop: Header=BB250_232 Depth=1
	v_cmp_ne_u16_e32 vcc, 0, v2
	s_andn2_b64 s[0:1], s[0:1], exec
	s_and_b64 s[12:13], vcc, exec
	v_mov_b32_e32 v19, 0
	s_or_b64 s[0:1], s[0:1], s[12:13]
	s_or_b64 exec, exec, s[8:9]
	s_and_saveexec_b64 s[8:9], s[0:1]
	s_cbranch_execnz .LBB250_247
	s_branch .LBB250_248
.LBB250_350:                            ;   in Loop: Header=BB250_232 Depth=1
	v_cmp_eq_u16_sdwa s[34:35], v15, s23 src0_sel:BYTE_0 src1_sel:DWORD
	s_mov_b64 s[0:1], -1
                                        ; implicit-def: $sgpr14
	s_and_saveexec_b64 s[12:13], s[34:35]
; %bb.351:                              ;   in Loop: Header=BB250_232 Depth=1
	s_mov_b32 s14, 0x7fc02000
	s_xor_b64 s[0:1], exec, -1
; %bb.352:                              ;   in Loop: Header=BB250_232 Depth=1
	s_or_b64 exec, exec, s[12:13]
	s_and_b64 s[0:1], s[0:1], exec
	s_or_saveexec_b64 s[8:9], s[8:9]
	v_mov_b32_e32 v14, s14
	s_xor_b64 exec, exec, s[8:9]
	s_cbranch_execz .LBB250_250
.LBB250_353:                            ;   in Loop: Header=BB250_232 Depth=1
	v_cmp_ne_u16_sdwa s[12:13], v15, v3 src0_sel:BYTE_0 src1_sel:DWORD
	s_andn2_b64 s[0:1], s[0:1], exec
	s_and_b64 s[12:13], s[12:13], exec
	v_mov_b32_e32 v14, 0
	s_or_b64 s[0:1], s[0:1], s[12:13]
	s_or_b64 exec, exec, s[8:9]
	v_mov_b32_e32 v2, v15
	s_and_saveexec_b64 s[8:9], s[0:1]
	s_cbranch_execnz .LBB250_251
	s_branch .LBB250_252
.LBB250_354:                            ;   in Loop: Header=BB250_232 Depth=1
	v_cmp_eq_u16_e32 vcc, s23, v2
	s_mov_b64 s[0:1], -1
                                        ; implicit-def: $sgpr14
	s_and_saveexec_b64 s[12:13], vcc
; %bb.355:                              ;   in Loop: Header=BB250_232 Depth=1
	s_mov_b32 s14, 0x7fc02000
	s_xor_b64 s[0:1], exec, -1
; %bb.356:                              ;   in Loop: Header=BB250_232 Depth=1
	s_or_b64 exec, exec, s[12:13]
	s_and_b64 s[0:1], s[0:1], exec
	s_or_saveexec_b64 s[8:9], s[8:9]
	v_mov_b32_e32 v26, s14
	s_xor_b64 exec, exec, s[8:9]
	s_cbranch_execz .LBB250_254
.LBB250_357:                            ;   in Loop: Header=BB250_232 Depth=1
	v_cmp_ne_u16_e32 vcc, 0, v2
	s_andn2_b64 s[0:1], s[0:1], exec
	s_and_b64 s[12:13], vcc, exec
	v_mov_b32_e32 v26, 0
	s_or_b64 s[0:1], s[0:1], s[12:13]
	s_or_b64 exec, exec, s[8:9]
	s_and_saveexec_b64 s[8:9], s[0:1]
	s_cbranch_execnz .LBB250_255
	s_branch .LBB250_256
.LBB250_358:                            ;   in Loop: Header=BB250_232 Depth=1
	v_cmp_eq_u16_sdwa s[34:35], v2, s23 src0_sel:BYTE_0 src1_sel:DWORD
	s_mov_b64 s[0:1], -1
                                        ; implicit-def: $sgpr14
	s_and_saveexec_b64 s[12:13], s[34:35]
; %bb.359:                              ;   in Loop: Header=BB250_232 Depth=1
	s_mov_b32 s14, 0x7fc02000
	s_xor_b64 s[0:1], exec, -1
; %bb.360:                              ;   in Loop: Header=BB250_232 Depth=1
	s_or_b64 exec, exec, s[12:13]
	s_and_b64 s[0:1], s[0:1], exec
	s_or_saveexec_b64 s[8:9], s[8:9]
	v_mov_b32_e32 v27, s14
	s_xor_b64 exec, exec, s[8:9]
	s_cbranch_execz .LBB250_258
.LBB250_361:                            ;   in Loop: Header=BB250_232 Depth=1
	v_cmp_ne_u16_sdwa s[12:13], v2, v3 src0_sel:BYTE_0 src1_sel:DWORD
	s_andn2_b64 s[0:1], s[0:1], exec
	s_and_b64 s[12:13], s[12:13], exec
	v_mov_b32_e32 v27, 0
	s_or_b64 s[0:1], s[0:1], s[12:13]
	s_or_b64 exec, exec, s[8:9]
	s_and_saveexec_b64 s[8:9], s[0:1]
	s_cbranch_execnz .LBB250_259
	s_branch .LBB250_260
.LBB250_362:                            ;   in Loop: Header=BB250_232 Depth=1
	v_cmp_eq_u16_e32 vcc, s23, v2
	s_mov_b64 s[0:1], -1
                                        ; implicit-def: $sgpr14
	s_and_saveexec_b64 s[12:13], vcc
; %bb.363:                              ;   in Loop: Header=BB250_232 Depth=1
	s_mov_b32 s14, 0x7fc02000
	s_xor_b64 s[0:1], exec, -1
; %bb.364:                              ;   in Loop: Header=BB250_232 Depth=1
	s_or_b64 exec, exec, s[12:13]
	s_and_b64 s[0:1], s[0:1], exec
	s_or_saveexec_b64 s[8:9], s[8:9]
	v_mov_b32_e32 v28, s14
	s_xor_b64 exec, exec, s[8:9]
	s_cbranch_execz .LBB250_262
.LBB250_365:                            ;   in Loop: Header=BB250_232 Depth=1
	v_cmp_ne_u16_e32 vcc, 0, v2
	s_andn2_b64 s[0:1], s[0:1], exec
	s_and_b64 s[12:13], vcc, exec
	v_mov_b32_e32 v28, 0
	s_or_b64 s[0:1], s[0:1], s[12:13]
	s_or_b64 exec, exec, s[8:9]
	s_and_saveexec_b64 s[8:9], s[0:1]
	s_cbranch_execnz .LBB250_263
	s_branch .LBB250_264
.LBB250_366:                            ;   in Loop: Header=BB250_232 Depth=1
	v_cmp_eq_u16_sdwa s[34:35], v14, s23 src0_sel:BYTE_0 src1_sel:DWORD
	s_mov_b64 s[0:1], -1
                                        ; implicit-def: $sgpr14
	s_and_saveexec_b64 s[12:13], s[34:35]
; %bb.367:                              ;   in Loop: Header=BB250_232 Depth=1
	s_mov_b32 s14, 0x7fc02000
	s_xor_b64 s[0:1], exec, -1
; %bb.368:                              ;   in Loop: Header=BB250_232 Depth=1
	s_or_b64 exec, exec, s[12:13]
	s_and_b64 s[0:1], s[0:1], exec
	s_or_saveexec_b64 s[8:9], s[8:9]
	v_mov_b32_e32 v16, s14
	s_xor_b64 exec, exec, s[8:9]
	s_cbranch_execz .LBB250_268
.LBB250_369:                            ;   in Loop: Header=BB250_232 Depth=1
	v_cmp_ne_u16_sdwa s[12:13], v14, v3 src0_sel:BYTE_0 src1_sel:DWORD
	s_andn2_b64 s[0:1], s[0:1], exec
	s_and_b64 s[12:13], s[12:13], exec
	v_mov_b32_e32 v16, 0
	s_or_b64 s[0:1], s[0:1], s[12:13]
	s_or_b64 exec, exec, s[8:9]
	s_and_saveexec_b64 s[8:9], s[0:1]
	s_cbranch_execnz .LBB250_269
	s_branch .LBB250_270
.LBB250_370:                            ;   in Loop: Header=BB250_232 Depth=1
	v_cmp_eq_u16_e64 s[0:1], s23, v2
	s_mov_b64 s[8:9], -1
                                        ; implicit-def: $sgpr34
	s_and_saveexec_b64 s[14:15], s[0:1]
; %bb.371:                              ;   in Loop: Header=BB250_232 Depth=1
	s_mov_b32 s34, 0x7fc02000
	s_xor_b64 s[8:9], exec, -1
; %bb.372:                              ;   in Loop: Header=BB250_232 Depth=1
	s_or_b64 exec, exec, s[14:15]
	s_and_b64 s[8:9], s[8:9], exec
	s_or_saveexec_b64 s[12:13], s[12:13]
	v_mov_b32_e32 v18, s34
	s_xor_b64 exec, exec, s[12:13]
	s_cbranch_execz .LBB250_272
.LBB250_373:                            ;   in Loop: Header=BB250_232 Depth=1
	v_cmp_ne_u16_e64 s[0:1], 0, v2
	s_andn2_b64 s[8:9], s[8:9], exec
	s_and_b64 s[0:1], s[0:1], exec
	v_mov_b32_e32 v18, 0
	s_or_b64 s[8:9], s[8:9], s[0:1]
	s_or_b64 exec, exec, s[12:13]
	s_and_saveexec_b64 s[12:13], s[8:9]
	s_cbranch_execnz .LBB250_273
	s_branch .LBB250_274
.LBB250_374:                            ;   in Loop: Header=BB250_232 Depth=1
	v_cmp_eq_u16_sdwa s[34:35], v2, s23 src0_sel:BYTE_0 src1_sel:DWORD
	s_mov_b64 s[0:1], -1
                                        ; implicit-def: $sgpr14
	s_and_saveexec_b64 s[12:13], s[34:35]
; %bb.375:                              ;   in Loop: Header=BB250_232 Depth=1
	s_mov_b32 s14, 0x7fc02000
	s_xor_b64 s[0:1], exec, -1
; %bb.376:                              ;   in Loop: Header=BB250_232 Depth=1
	s_or_b64 exec, exec, s[12:13]
	s_and_b64 s[0:1], s[0:1], exec
	s_or_saveexec_b64 s[8:9], s[8:9]
	v_mov_b32_e32 v17, s14
	s_xor_b64 exec, exec, s[8:9]
	s_cbranch_execz .LBB250_276
.LBB250_377:                            ;   in Loop: Header=BB250_232 Depth=1
	v_cmp_ne_u16_sdwa s[12:13], v2, v3 src0_sel:BYTE_0 src1_sel:DWORD
	s_andn2_b64 s[0:1], s[0:1], exec
	s_and_b64 s[12:13], s[12:13], exec
	v_mov_b32_e32 v17, 0
	s_or_b64 s[0:1], s[0:1], s[12:13]
	s_or_b64 exec, exec, s[8:9]
	s_and_saveexec_b64 s[8:9], s[0:1]
	s_cbranch_execnz .LBB250_277
	s_branch .LBB250_278
.LBB250_378:                            ;   in Loop: Header=BB250_232 Depth=1
	v_cmp_eq_u16_e64 s[0:1], s23, v2
	s_mov_b64 s[8:9], -1
                                        ; implicit-def: $sgpr34
	s_and_saveexec_b64 s[14:15], s[0:1]
; %bb.379:                              ;   in Loop: Header=BB250_232 Depth=1
	s_mov_b32 s34, 0x7fc02000
	s_xor_b64 s[8:9], exec, -1
; %bb.380:                              ;   in Loop: Header=BB250_232 Depth=1
	s_or_b64 exec, exec, s[14:15]
	s_and_b64 s[8:9], s[8:9], exec
	s_or_saveexec_b64 s[12:13], s[12:13]
	v_mov_b32_e32 v19, s34
	s_xor_b64 exec, exec, s[12:13]
	s_cbranch_execz .LBB250_280
.LBB250_381:                            ;   in Loop: Header=BB250_232 Depth=1
	v_cmp_ne_u16_e64 s[0:1], 0, v2
	s_andn2_b64 s[8:9], s[8:9], exec
	s_and_b64 s[0:1], s[0:1], exec
	v_mov_b32_e32 v19, 0
	s_or_b64 s[8:9], s[8:9], s[0:1]
	s_or_b64 exec, exec, s[12:13]
	s_and_saveexec_b64 s[12:13], s[8:9]
	s_cbranch_execnz .LBB250_281
	s_branch .LBB250_282
.LBB250_382:                            ;   in Loop: Header=BB250_232 Depth=1
	v_cmp_eq_u16_sdwa s[34:35], v15, s23 src0_sel:BYTE_0 src1_sel:DWORD
	s_mov_b64 s[0:1], -1
                                        ; implicit-def: $sgpr14
	s_and_saveexec_b64 s[12:13], s[34:35]
; %bb.383:                              ;   in Loop: Header=BB250_232 Depth=1
	s_mov_b32 s14, 0x7fc02000
	s_xor_b64 s[0:1], exec, -1
; %bb.384:                              ;   in Loop: Header=BB250_232 Depth=1
	s_or_b64 exec, exec, s[12:13]
	s_and_b64 s[0:1], s[0:1], exec
	s_or_saveexec_b64 s[8:9], s[8:9]
	v_mov_b32_e32 v14, s14
	s_xor_b64 exec, exec, s[8:9]
	s_cbranch_execz .LBB250_284
.LBB250_385:                            ;   in Loop: Header=BB250_232 Depth=1
	v_cmp_ne_u16_sdwa s[12:13], v15, v3 src0_sel:BYTE_0 src1_sel:DWORD
	s_andn2_b64 s[0:1], s[0:1], exec
	s_and_b64 s[12:13], s[12:13], exec
	v_mov_b32_e32 v14, 0
	s_or_b64 s[0:1], s[0:1], s[12:13]
	s_or_b64 exec, exec, s[8:9]
	v_mov_b32_e32 v2, v15
	s_and_saveexec_b64 s[8:9], s[0:1]
	s_cbranch_execnz .LBB250_285
	s_branch .LBB250_286
.LBB250_386:                            ;   in Loop: Header=BB250_232 Depth=1
	v_cmp_eq_u16_e64 s[0:1], s23, v2
	s_mov_b64 s[8:9], -1
                                        ; implicit-def: $sgpr34
	s_and_saveexec_b64 s[14:15], s[0:1]
; %bb.387:                              ;   in Loop: Header=BB250_232 Depth=1
	s_mov_b32 s34, 0x7fc02000
	s_xor_b64 s[8:9], exec, -1
; %bb.388:                              ;   in Loop: Header=BB250_232 Depth=1
	s_or_b64 exec, exec, s[14:15]
	s_and_b64 s[8:9], s[8:9], exec
	s_or_saveexec_b64 s[12:13], s[12:13]
	v_mov_b32_e32 v39, s34
	s_xor_b64 exec, exec, s[12:13]
	s_cbranch_execz .LBB250_288
.LBB250_389:                            ;   in Loop: Header=BB250_232 Depth=1
	v_cmp_ne_u16_e64 s[0:1], 0, v2
	s_andn2_b64 s[8:9], s[8:9], exec
	s_and_b64 s[0:1], s[0:1], exec
	v_mov_b32_e32 v39, 0
	s_or_b64 s[8:9], s[8:9], s[0:1]
	s_or_b64 exec, exec, s[12:13]
	s_and_saveexec_b64 s[12:13], s[8:9]
	s_cbranch_execnz .LBB250_289
	s_branch .LBB250_290
.LBB250_390:                            ;   in Loop: Header=BB250_232 Depth=1
	v_cmp_eq_u16_sdwa s[34:35], v2, s23 src0_sel:BYTE_0 src1_sel:DWORD
	s_mov_b64 s[0:1], -1
                                        ; implicit-def: $sgpr14
	s_and_saveexec_b64 s[12:13], s[34:35]
; %bb.391:                              ;   in Loop: Header=BB250_232 Depth=1
	s_mov_b32 s14, 0x7fc02000
	s_xor_b64 s[0:1], exec, -1
; %bb.392:                              ;   in Loop: Header=BB250_232 Depth=1
	s_or_b64 exec, exec, s[12:13]
	s_and_b64 s[0:1], s[0:1], exec
	s_or_saveexec_b64 s[8:9], s[8:9]
	v_mov_b32_e32 v40, s14
	s_xor_b64 exec, exec, s[8:9]
	s_cbranch_execz .LBB250_292
.LBB250_393:                            ;   in Loop: Header=BB250_232 Depth=1
	v_cmp_ne_u16_sdwa s[12:13], v2, v3 src0_sel:BYTE_0 src1_sel:DWORD
	s_andn2_b64 s[0:1], s[0:1], exec
	s_and_b64 s[12:13], s[12:13], exec
	v_mov_b32_e32 v40, 0
	s_or_b64 s[0:1], s[0:1], s[12:13]
	s_or_b64 exec, exec, s[8:9]
	s_and_saveexec_b64 s[8:9], s[0:1]
	s_cbranch_execnz .LBB250_293
	s_branch .LBB250_294
.LBB250_394:                            ;   in Loop: Header=BB250_232 Depth=1
	v_cmp_eq_u16_e64 s[0:1], s23, v2
	s_mov_b64 s[8:9], -1
                                        ; implicit-def: $sgpr34
	s_and_saveexec_b64 s[14:15], s[0:1]
; %bb.395:                              ;   in Loop: Header=BB250_232 Depth=1
	s_mov_b32 s34, 0x7fc02000
	s_xor_b64 s[8:9], exec, -1
; %bb.396:                              ;   in Loop: Header=BB250_232 Depth=1
	s_or_b64 exec, exec, s[14:15]
	s_and_b64 s[8:9], s[8:9], exec
	s_or_saveexec_b64 s[12:13], s[12:13]
	v_mov_b32_e32 v41, s34
	s_xor_b64 exec, exec, s[12:13]
	s_cbranch_execz .LBB250_296
.LBB250_397:                            ;   in Loop: Header=BB250_232 Depth=1
	v_cmp_ne_u16_e64 s[0:1], 0, v2
	s_andn2_b64 s[8:9], s[8:9], exec
	s_and_b64 s[0:1], s[0:1], exec
	v_mov_b32_e32 v41, 0
	s_or_b64 s[8:9], s[8:9], s[0:1]
	s_or_b64 exec, exec, s[12:13]
	s_and_saveexec_b64 s[12:13], s[8:9]
	s_cbranch_execnz .LBB250_297
	s_branch .LBB250_298
.LBB250_398:                            ;   in Loop: Header=BB250_232 Depth=1
	v_cmp_eq_u16_sdwa s[34:35], v14, s23 src0_sel:BYTE_0 src1_sel:DWORD
	s_mov_b64 s[0:1], -1
                                        ; implicit-def: $sgpr14
	s_and_saveexec_b64 s[12:13], s[34:35]
; %bb.399:                              ;   in Loop: Header=BB250_232 Depth=1
	s_mov_b32 s14, 0x7fc02000
	s_xor_b64 s[0:1], exec, -1
; %bb.400:                              ;   in Loop: Header=BB250_232 Depth=1
	s_or_b64 exec, exec, s[12:13]
	s_and_b64 s[0:1], s[0:1], exec
	s_or_saveexec_b64 s[8:9], s[8:9]
	v_mov_b32_e32 v10, s14
	s_xor_b64 exec, exec, s[8:9]
	s_cbranch_execz .LBB250_302
.LBB250_401:                            ;   in Loop: Header=BB250_232 Depth=1
	v_cmp_ne_u16_sdwa s[12:13], v14, v3 src0_sel:BYTE_0 src1_sel:DWORD
	s_andn2_b64 s[0:1], s[0:1], exec
	s_and_b64 s[12:13], s[12:13], exec
	v_mov_b32_e32 v10, 0
	s_or_b64 s[0:1], s[0:1], s[12:13]
	s_or_b64 exec, exec, s[8:9]
	s_and_saveexec_b64 s[8:9], s[0:1]
	s_cbranch_execnz .LBB250_303
	s_branch .LBB250_304
.LBB250_402:                            ;   in Loop: Header=BB250_232 Depth=1
	v_cmp_eq_u16_e64 s[0:1], s23, v2
	s_mov_b64 s[8:9], -1
                                        ; implicit-def: $sgpr34
	s_and_saveexec_b64 s[14:15], s[0:1]
; %bb.403:                              ;   in Loop: Header=BB250_232 Depth=1
	s_mov_b32 s34, 0x7fc02000
	s_xor_b64 s[8:9], exec, -1
; %bb.404:                              ;   in Loop: Header=BB250_232 Depth=1
	s_or_b64 exec, exec, s[14:15]
	s_and_b64 s[8:9], s[8:9], exec
	s_or_saveexec_b64 s[12:13], s[12:13]
	v_mov_b32_e32 v16, s34
	s_xor_b64 exec, exec, s[12:13]
	s_cbranch_execz .LBB250_306
.LBB250_405:                            ;   in Loop: Header=BB250_232 Depth=1
	v_cmp_ne_u16_e64 s[0:1], 0, v2
	s_andn2_b64 s[8:9], s[8:9], exec
	s_and_b64 s[0:1], s[0:1], exec
	v_mov_b32_e32 v16, 0
	s_or_b64 s[8:9], s[8:9], s[0:1]
	s_or_b64 exec, exec, s[12:13]
	s_and_saveexec_b64 s[12:13], s[8:9]
	s_cbranch_execnz .LBB250_307
	s_branch .LBB250_308
.LBB250_406:                            ;   in Loop: Header=BB250_232 Depth=1
	v_cmp_eq_u16_sdwa s[34:35], v2, s23 src0_sel:BYTE_0 src1_sel:DWORD
	s_mov_b64 s[0:1], -1
                                        ; implicit-def: $sgpr14
	s_and_saveexec_b64 s[12:13], s[34:35]
; %bb.407:                              ;   in Loop: Header=BB250_232 Depth=1
	s_mov_b32 s14, 0x7fc02000
	s_xor_b64 s[0:1], exec, -1
; %bb.408:                              ;   in Loop: Header=BB250_232 Depth=1
	s_or_b64 exec, exec, s[12:13]
	s_and_b64 s[0:1], s[0:1], exec
	s_or_saveexec_b64 s[8:9], s[8:9]
	v_mov_b32_e32 v11, s14
	s_xor_b64 exec, exec, s[8:9]
	s_cbranch_execz .LBB250_310
.LBB250_409:                            ;   in Loop: Header=BB250_232 Depth=1
	v_cmp_ne_u16_sdwa s[12:13], v2, v3 src0_sel:BYTE_0 src1_sel:DWORD
	s_andn2_b64 s[0:1], s[0:1], exec
	s_and_b64 s[12:13], s[12:13], exec
	v_mov_b32_e32 v11, 0
	s_or_b64 s[0:1], s[0:1], s[12:13]
	s_or_b64 exec, exec, s[8:9]
	s_and_saveexec_b64 s[8:9], s[0:1]
	s_cbranch_execnz .LBB250_311
	s_branch .LBB250_312
.LBB250_410:                            ;   in Loop: Header=BB250_232 Depth=1
	v_cmp_eq_u16_e64 s[0:1], s23, v2
	s_mov_b64 s[8:9], -1
                                        ; implicit-def: $sgpr34
	s_and_saveexec_b64 s[14:15], s[0:1]
; %bb.411:                              ;   in Loop: Header=BB250_232 Depth=1
	s_mov_b32 s34, 0x7fc02000
	s_xor_b64 s[8:9], exec, -1
; %bb.412:                              ;   in Loop: Header=BB250_232 Depth=1
	s_or_b64 exec, exec, s[14:15]
	s_and_b64 s[8:9], s[8:9], exec
	s_or_saveexec_b64 s[12:13], s[12:13]
	v_mov_b32_e32 v17, s34
	s_xor_b64 exec, exec, s[12:13]
	s_cbranch_execz .LBB250_314
.LBB250_413:                            ;   in Loop: Header=BB250_232 Depth=1
	v_cmp_ne_u16_e64 s[0:1], 0, v2
	s_andn2_b64 s[8:9], s[8:9], exec
	s_and_b64 s[0:1], s[0:1], exec
	v_mov_b32_e32 v17, 0
	s_or_b64 s[8:9], s[8:9], s[0:1]
	s_or_b64 exec, exec, s[12:13]
	s_and_saveexec_b64 s[12:13], s[8:9]
	s_cbranch_execnz .LBB250_315
	s_branch .LBB250_316
.LBB250_414:                            ;   in Loop: Header=BB250_232 Depth=1
	v_cmp_eq_u16_sdwa s[34:35], v15, s23 src0_sel:BYTE_0 src1_sel:DWORD
	s_mov_b64 s[0:1], -1
                                        ; implicit-def: $sgpr14
	s_and_saveexec_b64 s[12:13], s[34:35]
; %bb.415:                              ;   in Loop: Header=BB250_232 Depth=1
	s_mov_b32 s14, 0x7fc02000
	s_xor_b64 s[0:1], exec, -1
; %bb.416:                              ;   in Loop: Header=BB250_232 Depth=1
	s_or_b64 exec, exec, s[12:13]
	s_and_b64 s[0:1], s[0:1], exec
	s_or_saveexec_b64 s[8:9], s[8:9]
	v_mov_b32_e32 v14, s14
	s_xor_b64 exec, exec, s[8:9]
	s_cbranch_execz .LBB250_318
.LBB250_417:                            ;   in Loop: Header=BB250_232 Depth=1
	v_cmp_ne_u16_sdwa s[12:13], v15, v3 src0_sel:BYTE_0 src1_sel:DWORD
	s_andn2_b64 s[0:1], s[0:1], exec
	s_and_b64 s[12:13], s[12:13], exec
	v_mov_b32_e32 v14, 0
	s_or_b64 s[0:1], s[0:1], s[12:13]
	s_or_b64 exec, exec, s[8:9]
	v_mov_b32_e32 v2, v15
	s_and_saveexec_b64 s[8:9], s[0:1]
	s_cbranch_execnz .LBB250_319
	s_branch .LBB250_320
.LBB250_418:                            ;   in Loop: Header=BB250_232 Depth=1
	v_cmp_eq_u16_e64 s[0:1], s23, v2
	s_mov_b64 s[8:9], -1
                                        ; implicit-def: $sgpr34
	s_and_saveexec_b64 s[14:15], s[0:1]
; %bb.419:                              ;   in Loop: Header=BB250_232 Depth=1
	s_mov_b32 s34, 0x7fc02000
	s_xor_b64 s[8:9], exec, -1
; %bb.420:                              ;   in Loop: Header=BB250_232 Depth=1
	s_or_b64 exec, exec, s[14:15]
	s_and_b64 s[8:9], s[8:9], exec
	s_or_saveexec_b64 s[12:13], s[12:13]
	v_mov_b32_e32 v39, s34
	s_xor_b64 exec, exec, s[12:13]
	s_cbranch_execz .LBB250_322
.LBB250_421:                            ;   in Loop: Header=BB250_232 Depth=1
	v_cmp_ne_u16_e64 s[0:1], 0, v2
	s_andn2_b64 s[8:9], s[8:9], exec
	s_and_b64 s[0:1], s[0:1], exec
	v_mov_b32_e32 v39, 0
	s_or_b64 s[8:9], s[8:9], s[0:1]
	s_or_b64 exec, exec, s[12:13]
	s_and_saveexec_b64 s[12:13], s[8:9]
	s_cbranch_execnz .LBB250_323
	s_branch .LBB250_324
.LBB250_422:                            ;   in Loop: Header=BB250_232 Depth=1
	v_cmp_eq_u16_sdwa s[34:35], v2, s23 src0_sel:BYTE_0 src1_sel:DWORD
	s_mov_b64 s[0:1], -1
                                        ; implicit-def: $sgpr14
	s_and_saveexec_b64 s[12:13], s[34:35]
; %bb.423:                              ;   in Loop: Header=BB250_232 Depth=1
	s_mov_b32 s14, 0x7fc02000
	s_xor_b64 s[0:1], exec, -1
; %bb.424:                              ;   in Loop: Header=BB250_232 Depth=1
	s_or_b64 exec, exec, s[12:13]
	s_and_b64 s[0:1], s[0:1], exec
	s_or_saveexec_b64 s[8:9], s[8:9]
	v_mov_b32_e32 v40, s14
	s_xor_b64 exec, exec, s[8:9]
	s_cbranch_execz .LBB250_326
.LBB250_425:                            ;   in Loop: Header=BB250_232 Depth=1
	v_cmp_ne_u16_sdwa s[12:13], v2, v3 src0_sel:BYTE_0 src1_sel:DWORD
	s_andn2_b64 s[0:1], s[0:1], exec
	s_and_b64 s[12:13], s[12:13], exec
	v_mov_b32_e32 v40, 0
	s_or_b64 s[0:1], s[0:1], s[12:13]
	s_or_b64 exec, exec, s[8:9]
	s_and_saveexec_b64 s[8:9], s[0:1]
	s_cbranch_execnz .LBB250_327
	s_branch .LBB250_328
.LBB250_426:                            ;   in Loop: Header=BB250_232 Depth=1
	v_cmp_eq_u16_e64 s[0:1], s23, v2
	s_mov_b64 s[8:9], -1
                                        ; implicit-def: $sgpr34
	s_and_saveexec_b64 s[14:15], s[0:1]
; %bb.427:                              ;   in Loop: Header=BB250_232 Depth=1
	s_mov_b32 s34, 0x7fc02000
	s_xor_b64 s[8:9], exec, -1
; %bb.428:                              ;   in Loop: Header=BB250_232 Depth=1
	s_or_b64 exec, exec, s[14:15]
	s_and_b64 s[8:9], s[8:9], exec
	s_or_saveexec_b64 s[12:13], s[12:13]
	v_mov_b32_e32 v41, s34
	s_xor_b64 exec, exec, s[12:13]
	s_cbranch_execz .LBB250_330
.LBB250_429:                            ;   in Loop: Header=BB250_232 Depth=1
	v_cmp_ne_u16_e64 s[0:1], 0, v2
	s_andn2_b64 s[8:9], s[8:9], exec
	s_and_b64 s[0:1], s[0:1], exec
	v_mov_b32_e32 v41, 0
	s_or_b64 s[8:9], s[8:9], s[0:1]
	s_or_b64 exec, exec, s[12:13]
	s_and_saveexec_b64 s[12:13], s[8:9]
	s_cbranch_execnz .LBB250_331
	s_branch .LBB250_332
.LBB250_430:
	s_or_b64 exec, exec, s[6:7]
.LBB250_431:
	s_or_b64 exec, exec, s[2:3]
	ds_bpermute_b32 v2, v20, v4
	ds_bpermute_b32 v3, v20, v5
	;; [unrolled: 1-line block ×3, first 2 shown]
	s_waitcnt lgkmcnt(0)
	s_barrier
	v_pk_add_f32 v[2:3], v[4:5], v[2:3]
	v_and_b32_e32 v4, 0x3c1, v0
	v_add_f32_e32 v1, v22, v1
	v_cmp_eq_u32_e32 vcc, 64, v4
	s_and_saveexec_b64 s[0:1], vcc
	s_cbranch_execz .LBB250_433
; %bb.432:
	v_mov_b32_e32 v5, 0xd0
	v_lshl_add_u32 v5, v13, 1, v5
	ds_write2_b32 v5, v2, v3 offset1:32
	ds_write_b32 v5, v1 offset:256
.LBB250_433:
	s_or_b64 exec, exec, s[0:1]
	v_cmp_gt_u32_e32 vcc, 64, v0
	s_waitcnt lgkmcnt(0)
	s_barrier
	s_and_saveexec_b64 s[0:1], vcc
	s_cbranch_execz .LBB250_439
; %bb.434:
	v_cmp_eq_u32_e32 vcc, 0, v21
	v_lshrrev_b32_e32 v5, 1, v0
	s_and_saveexec_b64 s[2:3], vcc
	s_cbranch_execnz .LBB250_442
; %bb.435:
	s_or_b64 exec, exec, s[2:3]
	s_and_saveexec_b64 s[2:3], vcc
	s_cbranch_execnz .LBB250_443
.LBB250_436:
	s_or_b64 exec, exec, s[2:3]
	s_and_saveexec_b64 s[2:3], vcc
	s_cbranch_execz .LBB250_438
.LBB250_437:
	v_mov_b32_e32 v6, 0xd0
	v_lshl_add_u32 v5, v5, 2, v6
	ds_read_b32 v5, v5 offset:256
	s_waitcnt lgkmcnt(0)
	v_add_f32_e32 v1, v1, v5
.LBB250_438:
	s_or_b64 exec, exec, s[2:3]
.LBB250_439:
	s_or_b64 exec, exec, s[0:1]
	v_cmp_eq_u32_e32 vcc, 0, v4
	s_barrier
	s_and_saveexec_b64 s[0:1], vcc
	s_cbranch_execz .LBB250_441
; %bb.440:
	s_mul_i32 s0, s16, s17
	s_mul_i32 s0, s0, s5
	s_mulk_i32 s0, 0x60
	s_ashr_i32 s1, s0, 31
	s_lshl_b64 s[0:1], s[0:1], 1
	s_add_u32 s2, s20, s0
	s_mul_i32 s0, s17, s18
	s_addc_u32 s3, s21, s1
	s_ashr_i32 s1, s0, 31
	s_lshl_b64 s[0:1], s[0:1], 1
	s_add_u32 s2, s2, s0
	s_mul_i32 s0, s4, 0x60
	s_addc_u32 s3, s3, s1
	s_ashr_i32 s1, s0, 31
	s_lshl_b64 s[0:1], s[0:1], 1
	s_add_u32 s0, s2, s0
	s_addc_u32 s1, s3, s1
	;;#ASMSTART
	v_cvt_f16_f32 v2, v2;

	;;#ASMEND
	global_store_short v0, v2, s[0:1]
	;;#ASMSTART
	v_cvt_f16_f32 v2, v3;

	;;#ASMEND
	global_store_short v0, v2, s[0:1] offset:64
	;;#ASMSTART
	v_cvt_f16_f32 v1, v1;

	;;#ASMEND
	global_store_short v0, v1, s[0:1] offset:128
.LBB250_441:
	s_endpgm
.LBB250_442:
	v_mov_b32_e32 v6, 0xd0
	v_lshl_add_u32 v6, v5, 2, v6
	ds_read_b32 v6, v6
	s_waitcnt lgkmcnt(0)
	v_add_f32_e32 v2, v2, v6
	s_or_b64 exec, exec, s[2:3]
	s_and_saveexec_b64 s[2:3], vcc
	s_cbranch_execz .LBB250_436
.LBB250_443:
	v_mov_b32_e32 v6, 0xd0
	v_lshl_add_u32 v6, v5, 2, v6
	ds_read_b32 v6, v6 offset:128
	s_waitcnt lgkmcnt(0)
	v_add_f32_e32 v3, v3, v6
	s_or_b64 exec, exec, s[2:3]
	s_and_saveexec_b64 s[2:3], vcc
	s_cbranch_execnz .LBB250_437
	s_branch .LBB250_438
	.section	.rodata,"a",@progbits
	.p2align	6, 0x0
	.amdhsa_kernel _ZN4vllm25paged_attention_v1_kernelIthLi96ELi16ELi128ELNS_18Fp8KVCacheDataTypeE1ELb0EEEvPT_PKS2_PKT0_S8_ifPKiSA_iPKfiiiSC_SC_iiiii
		.amdhsa_group_segment_fixed_size 208
		.amdhsa_private_segment_fixed_size 0
		.amdhsa_kernarg_size 384
		.amdhsa_user_sgpr_count 2
		.amdhsa_user_sgpr_dispatch_ptr 0
		.amdhsa_user_sgpr_queue_ptr 0
		.amdhsa_user_sgpr_kernarg_segment_ptr 1
		.amdhsa_user_sgpr_dispatch_id 0
		.amdhsa_user_sgpr_kernarg_preload_length 0
		.amdhsa_user_sgpr_kernarg_preload_offset 0
		.amdhsa_user_sgpr_private_segment_size 0
		.amdhsa_uses_dynamic_stack 0
		.amdhsa_enable_private_segment 0
		.amdhsa_system_sgpr_workgroup_id_x 1
		.amdhsa_system_sgpr_workgroup_id_y 1
		.amdhsa_system_sgpr_workgroup_id_z 1
		.amdhsa_system_sgpr_workgroup_info 0
		.amdhsa_system_vgpr_workitem_id 0
		.amdhsa_next_free_vgpr 55
		.amdhsa_next_free_sgpr 48
		.amdhsa_accum_offset 56
		.amdhsa_reserve_vcc 1
		.amdhsa_float_round_mode_32 0
		.amdhsa_float_round_mode_16_64 0
		.amdhsa_float_denorm_mode_32 3
		.amdhsa_float_denorm_mode_16_64 3
		.amdhsa_dx10_clamp 1
		.amdhsa_ieee_mode 1
		.amdhsa_fp16_overflow 0
		.amdhsa_tg_split 0
		.amdhsa_exception_fp_ieee_invalid_op 0
		.amdhsa_exception_fp_denorm_src 0
		.amdhsa_exception_fp_ieee_div_zero 0
		.amdhsa_exception_fp_ieee_overflow 0
		.amdhsa_exception_fp_ieee_underflow 0
		.amdhsa_exception_fp_ieee_inexact 0
		.amdhsa_exception_int_div_zero 0
	.end_amdhsa_kernel
	.section	.text._ZN4vllm25paged_attention_v1_kernelIthLi96ELi16ELi128ELNS_18Fp8KVCacheDataTypeE1ELb0EEEvPT_PKS2_PKT0_S8_ifPKiSA_iPKfiiiSC_SC_iiiii,"axG",@progbits,_ZN4vllm25paged_attention_v1_kernelIthLi96ELi16ELi128ELNS_18Fp8KVCacheDataTypeE1ELb0EEEvPT_PKS2_PKT0_S8_ifPKiSA_iPKfiiiSC_SC_iiiii,comdat
.Lfunc_end250:
	.size	_ZN4vllm25paged_attention_v1_kernelIthLi96ELi16ELi128ELNS_18Fp8KVCacheDataTypeE1ELb0EEEvPT_PKS2_PKT0_S8_ifPKiSA_iPKfiiiSC_SC_iiiii, .Lfunc_end250-_ZN4vllm25paged_attention_v1_kernelIthLi96ELi16ELi128ELNS_18Fp8KVCacheDataTypeE1ELb0EEEvPT_PKS2_PKT0_S8_ifPKiSA_iPKfiiiSC_SC_iiiii
                                        ; -- End function
	.section	.AMDGPU.csdata,"",@progbits
; Kernel info:
; codeLenInByte = 17940
; NumSgprs: 54
; NumVgprs: 55
; NumAgprs: 0
; TotalNumVgprs: 55
; ScratchSize: 0
; MemoryBound: 0
; FloatMode: 240
; IeeeMode: 1
; LDSByteSize: 208 bytes/workgroup (compile time only)
; SGPRBlocks: 6
; VGPRBlocks: 6
; NumSGPRsForWavesPerEU: 54
; NumVGPRsForWavesPerEU: 55
; AccumOffset: 56
; Occupancy: 8
; WaveLimiterHint : 1
; COMPUTE_PGM_RSRC2:SCRATCH_EN: 0
; COMPUTE_PGM_RSRC2:USER_SGPR: 2
; COMPUTE_PGM_RSRC2:TRAP_HANDLER: 0
; COMPUTE_PGM_RSRC2:TGID_X_EN: 1
; COMPUTE_PGM_RSRC2:TGID_Y_EN: 1
; COMPUTE_PGM_RSRC2:TGID_Z_EN: 1
; COMPUTE_PGM_RSRC2:TIDIG_COMP_CNT: 0
; COMPUTE_PGM_RSRC3_GFX90A:ACCUM_OFFSET: 13
; COMPUTE_PGM_RSRC3_GFX90A:TG_SPLIT: 0
	.section	.text._ZN4vllm25paged_attention_v1_kernelIthLi112ELi16ELi128ELNS_18Fp8KVCacheDataTypeE1ELb0EEEvPT_PKS2_PKT0_S8_ifPKiSA_iPKfiiiSC_SC_iiiii,"axG",@progbits,_ZN4vllm25paged_attention_v1_kernelIthLi112ELi16ELi128ELNS_18Fp8KVCacheDataTypeE1ELb0EEEvPT_PKS2_PKT0_S8_ifPKiSA_iPKfiiiSC_SC_iiiii,comdat
	.protected	_ZN4vllm25paged_attention_v1_kernelIthLi112ELi16ELi128ELNS_18Fp8KVCacheDataTypeE1ELb0EEEvPT_PKS2_PKT0_S8_ifPKiSA_iPKfiiiSC_SC_iiiii ; -- Begin function _ZN4vllm25paged_attention_v1_kernelIthLi112ELi16ELi128ELNS_18Fp8KVCacheDataTypeE1ELb0EEEvPT_PKS2_PKT0_S8_ifPKiSA_iPKfiiiSC_SC_iiiii
	.globl	_ZN4vllm25paged_attention_v1_kernelIthLi112ELi16ELi128ELNS_18Fp8KVCacheDataTypeE1ELb0EEEvPT_PKS2_PKT0_S8_ifPKiSA_iPKfiiiSC_SC_iiiii
	.p2align	8
	.type	_ZN4vllm25paged_attention_v1_kernelIthLi112ELi16ELi128ELNS_18Fp8KVCacheDataTypeE1ELb0EEEvPT_PKS2_PKT0_S8_ifPKiSA_iPKfiiiSC_SC_iiiii,@function
_ZN4vllm25paged_attention_v1_kernelIthLi112ELi16ELi128ELNS_18Fp8KVCacheDataTypeE1ELb0EEEvPT_PKS2_PKT0_S8_ifPKiSA_iPKfiiiSC_SC_iiiii: ; @_ZN4vllm25paged_attention_v1_kernelIthLi112ELi16ELi128ELNS_18Fp8KVCacheDataTypeE1ELb0EEEvPT_PKS2_PKT0_S8_ifPKiSA_iPKfiiiSC_SC_iiiii
; %bb.0:
	s_load_dword s5, s[0:1], 0x80
	s_load_dwordx2 s[6:7], s[0:1], 0x30
	s_load_dwordx2 s[28:29], s[0:1], 0x20
	s_mov_b32 s16, s3
	s_ashr_i32 s17, s3, 31
	s_lshl_b64 s[8:9], s[16:17], 2
	s_waitcnt lgkmcnt(0)
	s_add_u32 s6, s6, s8
	s_addc_u32 s7, s7, s9
	s_abs_i32 s3, s28
	v_cvt_f32_u32_e32 v1, s3
	s_sub_i32 s10, 0, s3
	s_abs_i32 s9, s5
	s_xor_b32 s8, s5, s28
	v_rcp_iflag_f32_e32 v1, v1
	s_ashr_i32 s8, s8, 31
	s_mov_b32 s28, 0
	v_mul_f32_e32 v1, 0x4f7ffffe, v1
	v_cvt_u32_f32_e32 v1, v1
	s_nop 0
	v_readfirstlane_b32 s11, v1
	s_mul_i32 s10, s10, s11
	s_mul_hi_u32 s10, s11, s10
	s_add_i32 s11, s11, s10
	s_mul_hi_u32 s10, s9, s11
	s_mul_i32 s11, s10, s3
	s_sub_i32 s9, s9, s11
	s_add_i32 s11, s10, 1
	s_sub_i32 s12, s9, s3
	s_cmp_ge_u32 s9, s3
	s_cselect_b32 s10, s11, s10
	s_cselect_b32 s9, s12, s9
	s_add_i32 s11, s10, 1
	s_cmp_ge_u32 s9, s3
	s_cselect_b32 s3, s11, s10
	s_xor_b32 s3, s3, s8
	s_sub_i32 s18, s3, s8
	s_abs_i32 s10, s18
	v_cvt_f32_u32_e32 v1, s10
	s_load_dwordx2 s[8:9], s[0:1], 0x40
	s_sub_i32 s3, 0, s10
	s_abs_i32 s11, s2
	v_rcp_iflag_f32_e32 v1, v1
	s_nop 0
	v_mul_f32_e32 v1, 0x4f7ffffe, v1
	v_cvt_u32_f32_e32 v1, v1
	s_nop 0
	v_readfirstlane_b32 s12, v1
	s_mul_i32 s3, s3, s12
	s_mul_hi_u32 s3, s12, s3
	s_add_i32 s12, s12, s3
	s_waitcnt lgkmcnt(0)
	s_cmp_eq_u64 s[8:9], 0
	s_mul_hi_u32 s17, s11, s12
	s_cbranch_scc1 .LBB251_2
; %bb.1:
	s_ashr_i32 s3, s2, 31
	s_lshl_b64 s[12:13], s[2:3], 2
	s_add_u32 s8, s8, s12
	s_addc_u32 s9, s9, s13
	s_load_dword s28, s[8:9], 0x0
.LBB251_2:
	s_load_dword s33, s[6:7], 0x0
	s_load_dwordx4 s[12:15], s[0:1], 0x48
	s_ashr_i32 s6, s2, 31
	s_ashr_i32 s7, s18, 31
	v_and_b32_e32 v7, 3, v0
	s_mul_i32 s18, s2, 0x70
	v_cmp_gt_u32_e32 vcc, 56, v0
	s_and_saveexec_b64 s[2:3], vcc
	s_cbranch_execz .LBB251_4
; %bb.3:
	s_load_dwordx2 s[8:9], s[0:1], 0x8
	s_waitcnt lgkmcnt(0)
	s_mul_i32 s20, s16, s12
	s_ashr_i32 s21, s20, 31
	s_lshl_b64 s[20:21], s[20:21], 1
	v_lshlrev_b32_e32 v1, 2, v0
	s_add_u32 s12, s8, s20
	s_addc_u32 s15, s9, s21
	s_ashr_i32 s19, s18, 31
	s_lshl_b64 s[8:9], s[18:19], 1
	s_add_u32 s8, s12, s8
	s_addc_u32 s9, s15, s9
	global_load_dword v1, v1, s[8:9]
	v_and_b32_e32 v2, 0x3fc, v0
	v_mad_u32_u24 v2, v7, 56, v2
	s_waitcnt vmcnt(0)
	ds_write_b32 v2, v1
.LBB251_4:
	s_or_b64 exec, exec, s[2:3]
	s_waitcnt lgkmcnt(0)
	s_add_i32 s3, s33, 15
	s_ashr_i32 s8, s3, 31
	s_lshr_b32 s8, s8, 28
	s_add_i32 s3, s3, s8
	s_ashr_i32 s19, s3, 4
	s_xor_b32 s3, s6, s7
	s_mul_i32 s6, s17, s10
	s_sub_i32 s6, s11, s6
	s_add_i32 s7, s17, 1
	s_sub_i32 s8, s6, s10
	s_load_dwordx2 s[22:23], s[0:1], 0x28
	s_load_dword s2, s[0:1], 0x38
	s_cmp_ge_u32 s6, s10
	s_cselect_b32 s7, s7, s17
	s_cselect_b32 s6, s8, s6
	s_add_i32 s8, s7, 1
	s_cmp_ge_u32 s6, s10
	s_cselect_b32 s6, s8, s7
	v_lshrrev_b32_e32 v1, 6, v0
	s_xor_b32 s6, s6, s3
	s_waitcnt lgkmcnt(0)
	s_mul_i32 s24, s16, s2
	s_sub_i32 s12, s6, s3
	s_ashr_i32 s25, s24, 31
	v_cmp_gt_i32_e64 s[6:7], s19, v1
	v_cmp_le_i32_e32 vcc, s19, v1
	v_mbcnt_lo_u32_b32 v10, -1, 0
	s_barrier
	s_waitcnt lgkmcnt(0)
                                        ; implicit-def: $sgpr15
                                        ; implicit-def: $vgpr13
                                        ; implicit-def: $vgpr2
	s_and_saveexec_b64 s[2:3], vcc
	s_xor_b64 s[2:3], exec, s[2:3]
; %bb.5:
	v_mbcnt_hi_u32_b32 v13, -1, v10
	v_and_b32_e32 v2, 64, v13
	v_add_u32_e32 v2, 64, v2
	s_mov_b32 s15, 0xff7fffff
                                        ; implicit-def: $vgpr7
                                        ; implicit-def: $vgpr10
; %bb.6:
	s_or_saveexec_b64 s[30:31], s[2:3]
	s_load_dwordx2 s[20:21], s[0:1], 0x0
	s_load_dwordx2 s[26:27], s[0:1], 0x18
	s_load_dword s17, s[0:1], 0x88
	s_load_dwordx4 s[8:11], s[0:1], 0x58
	v_mov_b32_e32 v14, s15
	s_mul_i32 s12, s12, s14
	v_lshrrev_b32_e32 v12, 4, v0
	s_xor_b64 exec, exec, s[30:31]
	s_cbranch_execz .LBB251_236
; %bb.7:
	s_load_dwordx2 s[0:1], s[0:1], 0x10
	s_ashr_i32 s2, s12, 31
	v_bfe_u32 v8, v0, 2, 4
	v_lshlrev_b32_e32 v2, 4, v8
	v_mov_b32_e32 v3, 0
	s_waitcnt lgkmcnt(0)
	s_add_u32 s0, s0, s12
	s_addc_u32 s1, s1, s2
	v_lshl_add_u64 v[4:5], s[0:1], 0, v[2:3]
	s_sub_i32 s41, 1, s33
	v_lshlrev_b32_e32 v2, 2, v8
	s_lshl_b64 s[0:1], s[24:25], 2
	v_lshl_or_b32 v2, v1, 6, v2
	s_add_u32 s0, s22, s0
	v_add_u32_e32 v17, 0xf0, v2
	v_and_b32_e32 v2, 60, v12
	s_addc_u32 s1, s23, s1
	s_mov_b32 s40, s13
	v_lshlrev_b32_e32 v6, 1, v7
	v_mul_u32_u24_e32 v15, 56, v7
	v_cmp_eq_u32_e32 vcc, 0, v7
	v_cmp_neq_f32_e64 s[2:3], s28, 0
	v_mov_b32_e32 v7, v3
	v_lshl_or_b32 v16, v1, 4, v8
	v_lshl_add_u64 v[8:9], s[0:1], 0, v[2:3]
	s_mov_b64 s[14:15], 0
	v_mov_b32_e32 v14, 0xff7fffff
	s_movk_i32 s42, 0x7f
	s_movk_i32 s43, 0x80
	s_mov_b32 s44, 0x8000
	v_mbcnt_hi_u32_b32 v13, -1, v10
	v_mov_b32_e32 v18, 0x1c00
	v_mov_b32_e32 v19, v1
	s_branch .LBB251_9
.LBB251_8:                              ;   in Loop: Header=BB251_9 Depth=1
	s_or_b64 exec, exec, s[34:35]
	v_add_u32_e32 v19, 2, v19
	v_cmp_le_i32_e64 s[0:1], s19, v19
	v_add_u32_e32 v16, 32, v16
	v_add_u32_e32 v17, 0x80, v17
	s_or_b64 s[14:15], s[0:1], s[14:15]
	v_lshl_add_u64 v[8:9], v[8:9], 0, 8
	s_andn2_b64 exec, exec, s[14:15]
	s_cbranch_execz .LBB251_235
.LBB251_9:                              ; =>This Inner Loop Header: Depth=1
	global_load_dword v2, v[8:9], off
                                        ; implicit-def: $sgpr38
	s_waitcnt vmcnt(0) lgkmcnt(0)
	v_mad_i64_i32 v[10:11], s[0:1], v2, s40, v[4:5]
	v_lshl_add_u64 v[10:11], v[10:11], 0, v[6:7]
	global_load_ushort v2, v[10:11], off
	global_load_dword v20, v3, s[8:9]
	s_mov_b64 s[0:1], 0
	s_waitcnt vmcnt(1)
	v_cmp_gt_i16_sdwa s[34:35], v2, s42 src0_sel:BYTE_0 src1_sel:DWORD
	s_and_saveexec_b64 s[36:37], s[34:35]
	s_xor_b64 s[34:35], exec, s[36:37]
	s_cbranch_execnz .LBB251_123
; %bb.10:                               ;   in Loop: Header=BB251_9 Depth=1
	s_or_saveexec_b64 s[34:35], s[34:35]
	v_mov_b32_e32 v21, s38
	s_xor_b64 exec, exec, s[34:35]
	s_cbranch_execnz .LBB251_126
.LBB251_11:                             ;   in Loop: Header=BB251_9 Depth=1
	s_or_b64 exec, exec, s[34:35]
	v_and_b32_e32 v2, 0xffff, v2
	s_and_saveexec_b64 s[34:35], s[0:1]
	s_cbranch_execz .LBB251_13
.LBB251_12:                             ;   in Loop: Header=BB251_9 Depth=1
	v_and_b32_e32 v21, 7, v2
	v_ffbh_u32_e32 v22, v21
	v_min_u32_e32 v25, 32, v22
	v_subrev_u32_e32 v22, 28, v25
	v_bfe_u32 v24, v2, 3, 4
	v_lshlrev_b64 v[22:23], v22, v[2:3]
	v_sub_u32_e32 v23, 29, v25
	v_cmp_eq_u32_e64 s[0:1], 0, v24
	v_and_b32_e32 v22, 7, v22
	s_nop 0
	v_cndmask_b32_e64 v23, v24, v23, s[0:1]
	v_cndmask_b32_e64 v21, v21, v22, s[0:1]
	v_lshlrev_b32_e32 v22, 8, v2
	v_lshl_add_u32 v23, v23, 10, v18
	v_and_or_b32 v22, v22, s44, v23
	v_lshl_or_b32 v21, v21, 7, v22
	v_cvt_f32_f16_e32 v21, v21
.LBB251_13:                             ;   in Loop: Header=BB251_9 Depth=1
	s_or_b64 exec, exec, s[34:35]
	v_lshrrev_b16_e32 v2, 8, v2
	v_cmp_lt_i16_e64 s[0:1], s42, v2
	s_mov_b64 s[34:35], 0
                                        ; implicit-def: $sgpr45
	s_and_saveexec_b64 s[36:37], s[0:1]
	s_xor_b64 s[36:37], exec, s[36:37]
	s_cbranch_execnz .LBB251_127
; %bb.14:                               ;   in Loop: Header=BB251_9 Depth=1
	s_or_saveexec_b64 s[36:37], s[36:37]
	v_mov_b32_e32 v22, s45
	s_xor_b64 exec, exec, s[36:37]
	s_cbranch_execnz .LBB251_130
.LBB251_15:                             ;   in Loop: Header=BB251_9 Depth=1
	s_or_b64 exec, exec, s[36:37]
	s_and_saveexec_b64 s[36:37], s[34:35]
	s_cbranch_execz .LBB251_17
.LBB251_16:                             ;   in Loop: Header=BB251_9 Depth=1
	v_and_b32_e32 v24, 7, v2
	v_ffbh_u32_e32 v22, v24
	v_min_u32_e32 v26, 32, v22
	v_subrev_u32_e32 v22, 28, v26
	v_bfe_u32 v25, v2, 3, 4
	v_lshlrev_b64 v[22:23], v22, v[2:3]
	v_sub_u32_e32 v23, 29, v26
	v_cmp_eq_u32_e64 s[0:1], 0, v25
	v_and_b32_e32 v22, 7, v22
	v_lshlrev_b32_e32 v2, 8, v2
	v_cndmask_b32_e64 v23, v25, v23, s[0:1]
	v_lshl_add_u32 v23, v23, 10, v18
	v_cndmask_b32_e64 v22, v24, v22, s[0:1]
	v_and_or_b32 v2, v2, s44, v23
	v_lshl_or_b32 v2, v22, 7, v2
	v_cvt_f32_f16_e32 v22, v2
.LBB251_17:                             ;   in Loop: Header=BB251_9 Depth=1
	s_or_b64 exec, exec, s[36:37]
	global_load_ushort v2, v[10:11], off offset:8
	s_mov_b64 s[0:1], 0
                                        ; implicit-def: $sgpr38
	s_waitcnt vmcnt(0)
	v_cmp_gt_i16_sdwa s[34:35], v2, s42 src0_sel:BYTE_0 src1_sel:DWORD
	s_and_saveexec_b64 s[36:37], s[34:35]
	s_xor_b64 s[34:35], exec, s[36:37]
	s_cbranch_execnz .LBB251_131
; %bb.18:                               ;   in Loop: Header=BB251_9 Depth=1
	s_or_saveexec_b64 s[34:35], s[34:35]
	v_mov_b32_e32 v23, s38
	s_xor_b64 exec, exec, s[34:35]
	s_cbranch_execnz .LBB251_134
.LBB251_19:                             ;   in Loop: Header=BB251_9 Depth=1
	s_or_b64 exec, exec, s[34:35]
	v_and_b32_e32 v2, 0xffff, v2
	s_and_saveexec_b64 s[34:35], s[0:1]
	s_cbranch_execz .LBB251_21
.LBB251_20:                             ;   in Loop: Header=BB251_9 Depth=1
	v_and_b32_e32 v23, 7, v2
	v_ffbh_u32_e32 v24, v23
	v_min_u32_e32 v27, 32, v24
	v_subrev_u32_e32 v24, 28, v27
	v_bfe_u32 v26, v2, 3, 4
	v_lshlrev_b64 v[24:25], v24, v[2:3]
	v_sub_u32_e32 v25, 29, v27
	v_cmp_eq_u32_e64 s[0:1], 0, v26
	v_and_b32_e32 v24, 7, v24
	s_nop 0
	v_cndmask_b32_e64 v25, v26, v25, s[0:1]
	v_cndmask_b32_e64 v23, v23, v24, s[0:1]
	v_lshlrev_b32_e32 v24, 8, v2
	v_lshl_add_u32 v25, v25, 10, v18
	v_and_or_b32 v24, v24, s44, v25
	v_lshl_or_b32 v23, v23, 7, v24
	v_cvt_f32_f16_e32 v23, v23
.LBB251_21:                             ;   in Loop: Header=BB251_9 Depth=1
	s_or_b64 exec, exec, s[34:35]
	v_lshrrev_b16_e32 v2, 8, v2
	v_cmp_lt_i16_e64 s[0:1], s42, v2
	s_mov_b64 s[34:35], 0
                                        ; implicit-def: $sgpr45
	s_and_saveexec_b64 s[36:37], s[0:1]
	s_xor_b64 s[36:37], exec, s[36:37]
	s_cbranch_execnz .LBB251_135
; %bb.22:                               ;   in Loop: Header=BB251_9 Depth=1
	s_or_saveexec_b64 s[36:37], s[36:37]
	v_mov_b32_e32 v24, s45
	s_xor_b64 exec, exec, s[36:37]
	s_cbranch_execnz .LBB251_138
.LBB251_23:                             ;   in Loop: Header=BB251_9 Depth=1
	s_or_b64 exec, exec, s[36:37]
	s_and_saveexec_b64 s[36:37], s[34:35]
	s_cbranch_execz .LBB251_25
.LBB251_24:                             ;   in Loop: Header=BB251_9 Depth=1
	v_and_b32_e32 v26, 7, v2
	v_ffbh_u32_e32 v24, v26
	v_min_u32_e32 v28, 32, v24
	v_subrev_u32_e32 v24, 28, v28
	v_bfe_u32 v27, v2, 3, 4
	v_lshlrev_b64 v[24:25], v24, v[2:3]
	v_sub_u32_e32 v25, 29, v28
	v_cmp_eq_u32_e64 s[0:1], 0, v27
	v_and_b32_e32 v24, 7, v24
	v_lshlrev_b32_e32 v2, 8, v2
	v_cndmask_b32_e64 v25, v27, v25, s[0:1]
	v_lshl_add_u32 v25, v25, 10, v18
	v_cndmask_b32_e64 v24, v26, v24, s[0:1]
	v_and_or_b32 v2, v2, s44, v25
	v_lshl_or_b32 v2, v24, 7, v2
	v_cvt_f32_f16_e32 v24, v2
.LBB251_25:                             ;   in Loop: Header=BB251_9 Depth=1
	s_or_b64 exec, exec, s[36:37]
	global_load_ushort v2, v[10:11], off offset:256
	s_mov_b64 s[0:1], 0
                                        ; implicit-def: $sgpr38
	s_waitcnt vmcnt(0)
	v_cmp_gt_i16_sdwa s[34:35], v2, s42 src0_sel:BYTE_0 src1_sel:DWORD
	s_and_saveexec_b64 s[36:37], s[34:35]
	s_xor_b64 s[34:35], exec, s[36:37]
	s_cbranch_execnz .LBB251_139
; %bb.26:                               ;   in Loop: Header=BB251_9 Depth=1
	s_or_saveexec_b64 s[34:35], s[34:35]
	v_mov_b32_e32 v25, s38
	s_xor_b64 exec, exec, s[34:35]
	s_cbranch_execnz .LBB251_142
.LBB251_27:                             ;   in Loop: Header=BB251_9 Depth=1
	s_or_b64 exec, exec, s[34:35]
	v_and_b32_e32 v2, 0xffff, v2
	s_and_saveexec_b64 s[34:35], s[0:1]
	s_cbranch_execz .LBB251_29
.LBB251_28:                             ;   in Loop: Header=BB251_9 Depth=1
	v_and_b32_e32 v25, 7, v2
	v_ffbh_u32_e32 v26, v25
	v_min_u32_e32 v29, 32, v26
	v_subrev_u32_e32 v26, 28, v29
	v_bfe_u32 v28, v2, 3, 4
	v_lshlrev_b64 v[26:27], v26, v[2:3]
	v_sub_u32_e32 v27, 29, v29
	v_cmp_eq_u32_e64 s[0:1], 0, v28
	v_and_b32_e32 v26, 7, v26
	s_nop 0
	v_cndmask_b32_e64 v27, v28, v27, s[0:1]
	v_cndmask_b32_e64 v25, v25, v26, s[0:1]
	v_lshlrev_b32_e32 v26, 8, v2
	v_lshl_add_u32 v27, v27, 10, v18
	v_and_or_b32 v26, v26, s44, v27
	v_lshl_or_b32 v25, v25, 7, v26
	v_cvt_f32_f16_e32 v25, v25
.LBB251_29:                             ;   in Loop: Header=BB251_9 Depth=1
	s_or_b64 exec, exec, s[34:35]
	v_lshrrev_b16_e32 v2, 8, v2
	v_cmp_lt_i16_e64 s[0:1], s42, v2
	s_mov_b64 s[34:35], 0
                                        ; implicit-def: $sgpr45
	s_and_saveexec_b64 s[36:37], s[0:1]
	s_xor_b64 s[36:37], exec, s[36:37]
	s_cbranch_execnz .LBB251_143
; %bb.30:                               ;   in Loop: Header=BB251_9 Depth=1
	s_or_saveexec_b64 s[36:37], s[36:37]
	v_mov_b32_e32 v26, s45
	s_xor_b64 exec, exec, s[36:37]
	s_cbranch_execnz .LBB251_146
.LBB251_31:                             ;   in Loop: Header=BB251_9 Depth=1
	s_or_b64 exec, exec, s[36:37]
	s_and_saveexec_b64 s[36:37], s[34:35]
	s_cbranch_execz .LBB251_33
.LBB251_32:                             ;   in Loop: Header=BB251_9 Depth=1
	v_and_b32_e32 v28, 7, v2
	v_ffbh_u32_e32 v26, v28
	v_min_u32_e32 v30, 32, v26
	v_subrev_u32_e32 v26, 28, v30
	v_bfe_u32 v29, v2, 3, 4
	v_lshlrev_b64 v[26:27], v26, v[2:3]
	v_sub_u32_e32 v27, 29, v30
	v_cmp_eq_u32_e64 s[0:1], 0, v29
	v_and_b32_e32 v26, 7, v26
	v_lshlrev_b32_e32 v2, 8, v2
	v_cndmask_b32_e64 v27, v29, v27, s[0:1]
	v_lshl_add_u32 v27, v27, 10, v18
	v_cndmask_b32_e64 v26, v28, v26, s[0:1]
	v_and_or_b32 v2, v2, s44, v27
	v_lshl_or_b32 v2, v26, 7, v2
	v_cvt_f32_f16_e32 v26, v2
.LBB251_33:                             ;   in Loop: Header=BB251_9 Depth=1
	s_or_b64 exec, exec, s[36:37]
	global_load_ushort v2, v[10:11], off offset:264
	s_mov_b64 s[0:1], 0
                                        ; implicit-def: $sgpr38
	s_waitcnt vmcnt(0)
	v_cmp_gt_i16_sdwa s[34:35], v2, s42 src0_sel:BYTE_0 src1_sel:DWORD
	s_and_saveexec_b64 s[36:37], s[34:35]
	s_xor_b64 s[34:35], exec, s[36:37]
	s_cbranch_execnz .LBB251_147
; %bb.34:                               ;   in Loop: Header=BB251_9 Depth=1
	s_or_saveexec_b64 s[34:35], s[34:35]
	v_mov_b32_e32 v27, s38
	s_xor_b64 exec, exec, s[34:35]
	s_cbranch_execnz .LBB251_150
.LBB251_35:                             ;   in Loop: Header=BB251_9 Depth=1
	s_or_b64 exec, exec, s[34:35]
	v_and_b32_e32 v2, 0xffff, v2
	s_and_saveexec_b64 s[34:35], s[0:1]
	s_cbranch_execz .LBB251_37
.LBB251_36:                             ;   in Loop: Header=BB251_9 Depth=1
	v_and_b32_e32 v27, 7, v2
	v_ffbh_u32_e32 v28, v27
	v_min_u32_e32 v31, 32, v28
	v_subrev_u32_e32 v28, 28, v31
	v_bfe_u32 v30, v2, 3, 4
	v_lshlrev_b64 v[28:29], v28, v[2:3]
	v_sub_u32_e32 v29, 29, v31
	v_cmp_eq_u32_e64 s[0:1], 0, v30
	v_and_b32_e32 v28, 7, v28
	s_nop 0
	v_cndmask_b32_e64 v29, v30, v29, s[0:1]
	v_cndmask_b32_e64 v27, v27, v28, s[0:1]
	v_lshlrev_b32_e32 v28, 8, v2
	v_lshl_add_u32 v29, v29, 10, v18
	v_and_or_b32 v28, v28, s44, v29
	v_lshl_or_b32 v27, v27, 7, v28
	v_cvt_f32_f16_e32 v27, v27
.LBB251_37:                             ;   in Loop: Header=BB251_9 Depth=1
	s_or_b64 exec, exec, s[34:35]
	v_lshrrev_b16_e32 v2, 8, v2
	v_cmp_lt_i16_e64 s[0:1], s42, v2
	s_mov_b64 s[34:35], 0
                                        ; implicit-def: $sgpr45
	s_and_saveexec_b64 s[36:37], s[0:1]
	s_xor_b64 s[36:37], exec, s[36:37]
	s_cbranch_execnz .LBB251_151
; %bb.38:                               ;   in Loop: Header=BB251_9 Depth=1
	s_or_saveexec_b64 s[36:37], s[36:37]
	v_mov_b32_e32 v28, s45
	s_xor_b64 exec, exec, s[36:37]
	s_cbranch_execnz .LBB251_154
.LBB251_39:                             ;   in Loop: Header=BB251_9 Depth=1
	s_or_b64 exec, exec, s[36:37]
	s_and_saveexec_b64 s[36:37], s[34:35]
	s_cbranch_execz .LBB251_41
.LBB251_40:                             ;   in Loop: Header=BB251_9 Depth=1
	v_and_b32_e32 v30, 7, v2
	v_ffbh_u32_e32 v28, v30
	v_min_u32_e32 v32, 32, v28
	v_subrev_u32_e32 v28, 28, v32
	v_bfe_u32 v31, v2, 3, 4
	v_lshlrev_b64 v[28:29], v28, v[2:3]
	v_sub_u32_e32 v29, 29, v32
	v_cmp_eq_u32_e64 s[0:1], 0, v31
	v_and_b32_e32 v28, 7, v28
	v_lshlrev_b32_e32 v2, 8, v2
	v_cndmask_b32_e64 v29, v31, v29, s[0:1]
	v_lshl_add_u32 v29, v29, 10, v18
	v_cndmask_b32_e64 v28, v30, v28, s[0:1]
	v_and_or_b32 v2, v2, s44, v29
	v_lshl_or_b32 v2, v28, 7, v2
	v_cvt_f32_f16_e32 v28, v2
.LBB251_41:                             ;   in Loop: Header=BB251_9 Depth=1
	s_or_b64 exec, exec, s[36:37]
	global_load_ushort v2, v[10:11], off offset:512
	s_mov_b64 s[0:1], 0
                                        ; implicit-def: $sgpr38
	s_waitcnt vmcnt(0)
	v_cmp_gt_i16_sdwa s[34:35], v2, s42 src0_sel:BYTE_0 src1_sel:DWORD
	s_and_saveexec_b64 s[36:37], s[34:35]
	s_xor_b64 s[34:35], exec, s[36:37]
	s_cbranch_execnz .LBB251_155
; %bb.42:                               ;   in Loop: Header=BB251_9 Depth=1
	s_or_saveexec_b64 s[34:35], s[34:35]
	v_mov_b32_e32 v29, s38
	s_xor_b64 exec, exec, s[34:35]
	s_cbranch_execnz .LBB251_158
.LBB251_43:                             ;   in Loop: Header=BB251_9 Depth=1
	s_or_b64 exec, exec, s[34:35]
	v_and_b32_e32 v2, 0xffff, v2
	s_and_saveexec_b64 s[34:35], s[0:1]
	s_cbranch_execz .LBB251_45
.LBB251_44:                             ;   in Loop: Header=BB251_9 Depth=1
	v_and_b32_e32 v29, 7, v2
	v_ffbh_u32_e32 v30, v29
	v_min_u32_e32 v33, 32, v30
	v_subrev_u32_e32 v30, 28, v33
	v_bfe_u32 v32, v2, 3, 4
	v_lshlrev_b64 v[30:31], v30, v[2:3]
	v_sub_u32_e32 v31, 29, v33
	v_cmp_eq_u32_e64 s[0:1], 0, v32
	v_and_b32_e32 v30, 7, v30
	s_nop 0
	v_cndmask_b32_e64 v31, v32, v31, s[0:1]
	v_cndmask_b32_e64 v29, v29, v30, s[0:1]
	v_lshlrev_b32_e32 v30, 8, v2
	v_lshl_add_u32 v31, v31, 10, v18
	v_and_or_b32 v30, v30, s44, v31
	v_lshl_or_b32 v29, v29, 7, v30
	v_cvt_f32_f16_e32 v29, v29
.LBB251_45:                             ;   in Loop: Header=BB251_9 Depth=1
	s_or_b64 exec, exec, s[34:35]
	v_lshrrev_b16_e32 v2, 8, v2
	v_cmp_lt_i16_e64 s[0:1], s42, v2
	s_mov_b64 s[34:35], 0
                                        ; implicit-def: $sgpr45
	s_and_saveexec_b64 s[36:37], s[0:1]
	s_xor_b64 s[36:37], exec, s[36:37]
	s_cbranch_execnz .LBB251_159
; %bb.46:                               ;   in Loop: Header=BB251_9 Depth=1
	s_or_saveexec_b64 s[36:37], s[36:37]
	v_mov_b32_e32 v30, s45
	s_xor_b64 exec, exec, s[36:37]
	s_cbranch_execnz .LBB251_162
.LBB251_47:                             ;   in Loop: Header=BB251_9 Depth=1
	s_or_b64 exec, exec, s[36:37]
	s_and_saveexec_b64 s[36:37], s[34:35]
	s_cbranch_execz .LBB251_49
.LBB251_48:                             ;   in Loop: Header=BB251_9 Depth=1
	v_and_b32_e32 v32, 7, v2
	v_ffbh_u32_e32 v30, v32
	v_min_u32_e32 v34, 32, v30
	v_subrev_u32_e32 v30, 28, v34
	v_bfe_u32 v33, v2, 3, 4
	v_lshlrev_b64 v[30:31], v30, v[2:3]
	v_sub_u32_e32 v31, 29, v34
	v_cmp_eq_u32_e64 s[0:1], 0, v33
	v_and_b32_e32 v30, 7, v30
	v_lshlrev_b32_e32 v2, 8, v2
	v_cndmask_b32_e64 v31, v33, v31, s[0:1]
	v_lshl_add_u32 v31, v31, 10, v18
	v_cndmask_b32_e64 v30, v32, v30, s[0:1]
	v_and_or_b32 v2, v2, s44, v31
	v_lshl_or_b32 v2, v30, 7, v2
	v_cvt_f32_f16_e32 v30, v2
.LBB251_49:                             ;   in Loop: Header=BB251_9 Depth=1
	s_or_b64 exec, exec, s[36:37]
	global_load_ushort v2, v[10:11], off offset:520
	s_mov_b64 s[0:1], 0
                                        ; implicit-def: $sgpr38
	s_waitcnt vmcnt(0)
	v_cmp_gt_i16_sdwa s[34:35], v2, s42 src0_sel:BYTE_0 src1_sel:DWORD
	s_and_saveexec_b64 s[36:37], s[34:35]
	s_xor_b64 s[34:35], exec, s[36:37]
	s_cbranch_execnz .LBB251_163
; %bb.50:                               ;   in Loop: Header=BB251_9 Depth=1
	s_or_saveexec_b64 s[34:35], s[34:35]
	v_mov_b32_e32 v31, s38
	s_xor_b64 exec, exec, s[34:35]
	s_cbranch_execnz .LBB251_166
.LBB251_51:                             ;   in Loop: Header=BB251_9 Depth=1
	s_or_b64 exec, exec, s[34:35]
	v_and_b32_e32 v2, 0xffff, v2
	s_and_saveexec_b64 s[34:35], s[0:1]
	s_cbranch_execz .LBB251_53
.LBB251_52:                             ;   in Loop: Header=BB251_9 Depth=1
	v_and_b32_e32 v31, 7, v2
	v_ffbh_u32_e32 v32, v31
	v_min_u32_e32 v35, 32, v32
	v_subrev_u32_e32 v32, 28, v35
	v_bfe_u32 v34, v2, 3, 4
	v_lshlrev_b64 v[32:33], v32, v[2:3]
	v_sub_u32_e32 v33, 29, v35
	v_cmp_eq_u32_e64 s[0:1], 0, v34
	v_and_b32_e32 v32, 7, v32
	s_nop 0
	v_cndmask_b32_e64 v33, v34, v33, s[0:1]
	v_cndmask_b32_e64 v31, v31, v32, s[0:1]
	v_lshlrev_b32_e32 v32, 8, v2
	v_lshl_add_u32 v33, v33, 10, v18
	v_and_or_b32 v32, v32, s44, v33
	v_lshl_or_b32 v31, v31, 7, v32
	v_cvt_f32_f16_e32 v31, v31
.LBB251_53:                             ;   in Loop: Header=BB251_9 Depth=1
	s_or_b64 exec, exec, s[34:35]
	v_lshrrev_b16_e32 v2, 8, v2
	v_cmp_lt_i16_e64 s[0:1], s42, v2
	s_mov_b64 s[34:35], 0
                                        ; implicit-def: $sgpr45
	s_and_saveexec_b64 s[36:37], s[0:1]
	s_xor_b64 s[36:37], exec, s[36:37]
	s_cbranch_execnz .LBB251_167
; %bb.54:                               ;   in Loop: Header=BB251_9 Depth=1
	s_or_saveexec_b64 s[36:37], s[36:37]
	v_mov_b32_e32 v32, s45
	s_xor_b64 exec, exec, s[36:37]
	s_cbranch_execnz .LBB251_170
.LBB251_55:                             ;   in Loop: Header=BB251_9 Depth=1
	s_or_b64 exec, exec, s[36:37]
	s_and_saveexec_b64 s[36:37], s[34:35]
	s_cbranch_execz .LBB251_57
.LBB251_56:                             ;   in Loop: Header=BB251_9 Depth=1
	v_and_b32_e32 v34, 7, v2
	v_ffbh_u32_e32 v32, v34
	v_min_u32_e32 v36, 32, v32
	v_subrev_u32_e32 v32, 28, v36
	v_bfe_u32 v35, v2, 3, 4
	v_lshlrev_b64 v[32:33], v32, v[2:3]
	v_sub_u32_e32 v33, 29, v36
	v_cmp_eq_u32_e64 s[0:1], 0, v35
	v_and_b32_e32 v32, 7, v32
	v_lshlrev_b32_e32 v2, 8, v2
	v_cndmask_b32_e64 v33, v35, v33, s[0:1]
	v_lshl_add_u32 v33, v33, 10, v18
	v_cndmask_b32_e64 v32, v34, v32, s[0:1]
	v_and_or_b32 v2, v2, s44, v33
	v_lshl_or_b32 v2, v32, 7, v2
	v_cvt_f32_f16_e32 v32, v2
.LBB251_57:                             ;   in Loop: Header=BB251_9 Depth=1
	s_or_b64 exec, exec, s[36:37]
	global_load_ushort v2, v[10:11], off offset:768
	s_mov_b64 s[0:1], 0
                                        ; implicit-def: $sgpr38
	s_waitcnt vmcnt(0)
	v_cmp_gt_i16_sdwa s[34:35], v2, s42 src0_sel:BYTE_0 src1_sel:DWORD
	s_and_saveexec_b64 s[36:37], s[34:35]
	s_xor_b64 s[34:35], exec, s[36:37]
	s_cbranch_execnz .LBB251_171
; %bb.58:                               ;   in Loop: Header=BB251_9 Depth=1
	s_or_saveexec_b64 s[34:35], s[34:35]
	v_mov_b32_e32 v33, s38
	s_xor_b64 exec, exec, s[34:35]
	s_cbranch_execnz .LBB251_174
.LBB251_59:                             ;   in Loop: Header=BB251_9 Depth=1
	s_or_b64 exec, exec, s[34:35]
	v_and_b32_e32 v2, 0xffff, v2
	s_and_saveexec_b64 s[34:35], s[0:1]
	s_cbranch_execz .LBB251_61
.LBB251_60:                             ;   in Loop: Header=BB251_9 Depth=1
	v_and_b32_e32 v33, 7, v2
	v_ffbh_u32_e32 v34, v33
	v_min_u32_e32 v37, 32, v34
	v_subrev_u32_e32 v34, 28, v37
	v_bfe_u32 v36, v2, 3, 4
	v_lshlrev_b64 v[34:35], v34, v[2:3]
	v_sub_u32_e32 v35, 29, v37
	v_cmp_eq_u32_e64 s[0:1], 0, v36
	v_and_b32_e32 v34, 7, v34
	s_nop 0
	v_cndmask_b32_e64 v35, v36, v35, s[0:1]
	v_cndmask_b32_e64 v33, v33, v34, s[0:1]
	v_lshlrev_b32_e32 v34, 8, v2
	v_lshl_add_u32 v35, v35, 10, v18
	v_and_or_b32 v34, v34, s44, v35
	v_lshl_or_b32 v33, v33, 7, v34
	v_cvt_f32_f16_e32 v33, v33
.LBB251_61:                             ;   in Loop: Header=BB251_9 Depth=1
	s_or_b64 exec, exec, s[34:35]
	v_lshrrev_b16_e32 v2, 8, v2
	v_cmp_lt_i16_e64 s[0:1], s42, v2
	s_mov_b64 s[34:35], 0
                                        ; implicit-def: $sgpr45
	s_and_saveexec_b64 s[36:37], s[0:1]
	s_xor_b64 s[36:37], exec, s[36:37]
	s_cbranch_execnz .LBB251_175
; %bb.62:                               ;   in Loop: Header=BB251_9 Depth=1
	s_or_saveexec_b64 s[36:37], s[36:37]
	v_mov_b32_e32 v34, s45
	s_xor_b64 exec, exec, s[36:37]
	s_cbranch_execnz .LBB251_178
.LBB251_63:                             ;   in Loop: Header=BB251_9 Depth=1
	s_or_b64 exec, exec, s[36:37]
	s_and_saveexec_b64 s[36:37], s[34:35]
	s_cbranch_execz .LBB251_65
.LBB251_64:                             ;   in Loop: Header=BB251_9 Depth=1
	v_and_b32_e32 v36, 7, v2
	v_ffbh_u32_e32 v34, v36
	v_min_u32_e32 v38, 32, v34
	v_subrev_u32_e32 v34, 28, v38
	v_bfe_u32 v37, v2, 3, 4
	v_lshlrev_b64 v[34:35], v34, v[2:3]
	v_sub_u32_e32 v35, 29, v38
	v_cmp_eq_u32_e64 s[0:1], 0, v37
	v_and_b32_e32 v34, 7, v34
	v_lshlrev_b32_e32 v2, 8, v2
	v_cndmask_b32_e64 v35, v37, v35, s[0:1]
	v_lshl_add_u32 v35, v35, 10, v18
	v_cndmask_b32_e64 v34, v36, v34, s[0:1]
	v_and_or_b32 v2, v2, s44, v35
	v_lshl_or_b32 v2, v34, 7, v2
	v_cvt_f32_f16_e32 v34, v2
.LBB251_65:                             ;   in Loop: Header=BB251_9 Depth=1
	s_or_b64 exec, exec, s[36:37]
	global_load_ushort v2, v[10:11], off offset:776
	s_mov_b64 s[0:1], 0
                                        ; implicit-def: $sgpr38
	s_waitcnt vmcnt(0)
	v_cmp_gt_i16_sdwa s[34:35], v2, s42 src0_sel:BYTE_0 src1_sel:DWORD
	s_and_saveexec_b64 s[36:37], s[34:35]
	s_xor_b64 s[34:35], exec, s[36:37]
	s_cbranch_execnz .LBB251_179
; %bb.66:                               ;   in Loop: Header=BB251_9 Depth=1
	s_or_saveexec_b64 s[34:35], s[34:35]
	v_mov_b32_e32 v35, s38
	s_xor_b64 exec, exec, s[34:35]
	s_cbranch_execnz .LBB251_182
.LBB251_67:                             ;   in Loop: Header=BB251_9 Depth=1
	s_or_b64 exec, exec, s[34:35]
	v_and_b32_e32 v2, 0xffff, v2
	s_and_saveexec_b64 s[34:35], s[0:1]
	s_cbranch_execz .LBB251_69
.LBB251_68:                             ;   in Loop: Header=BB251_9 Depth=1
	v_and_b32_e32 v35, 7, v2
	v_ffbh_u32_e32 v36, v35
	v_min_u32_e32 v39, 32, v36
	v_subrev_u32_e32 v36, 28, v39
	v_bfe_u32 v38, v2, 3, 4
	v_lshlrev_b64 v[36:37], v36, v[2:3]
	v_sub_u32_e32 v37, 29, v39
	v_cmp_eq_u32_e64 s[0:1], 0, v38
	v_and_b32_e32 v36, 7, v36
	s_nop 0
	v_cndmask_b32_e64 v37, v38, v37, s[0:1]
	v_cndmask_b32_e64 v35, v35, v36, s[0:1]
	v_lshlrev_b32_e32 v36, 8, v2
	v_lshl_add_u32 v37, v37, 10, v18
	v_and_or_b32 v36, v36, s44, v37
	v_lshl_or_b32 v35, v35, 7, v36
	v_cvt_f32_f16_e32 v35, v35
.LBB251_69:                             ;   in Loop: Header=BB251_9 Depth=1
	s_or_b64 exec, exec, s[34:35]
	v_lshrrev_b16_e32 v2, 8, v2
	v_cmp_lt_i16_e64 s[0:1], s42, v2
	s_mov_b64 s[34:35], 0
                                        ; implicit-def: $sgpr45
	s_and_saveexec_b64 s[36:37], s[0:1]
	s_xor_b64 s[36:37], exec, s[36:37]
	s_cbranch_execnz .LBB251_183
; %bb.70:                               ;   in Loop: Header=BB251_9 Depth=1
	s_or_saveexec_b64 s[36:37], s[36:37]
	v_mov_b32_e32 v36, s45
	s_xor_b64 exec, exec, s[36:37]
	s_cbranch_execnz .LBB251_186
.LBB251_71:                             ;   in Loop: Header=BB251_9 Depth=1
	s_or_b64 exec, exec, s[36:37]
	s_and_saveexec_b64 s[36:37], s[34:35]
	s_cbranch_execz .LBB251_73
.LBB251_72:                             ;   in Loop: Header=BB251_9 Depth=1
	v_and_b32_e32 v38, 7, v2
	v_ffbh_u32_e32 v36, v38
	v_min_u32_e32 v40, 32, v36
	v_subrev_u32_e32 v36, 28, v40
	v_bfe_u32 v39, v2, 3, 4
	v_lshlrev_b64 v[36:37], v36, v[2:3]
	v_sub_u32_e32 v37, 29, v40
	v_cmp_eq_u32_e64 s[0:1], 0, v39
	v_and_b32_e32 v36, 7, v36
	v_lshlrev_b32_e32 v2, 8, v2
	v_cndmask_b32_e64 v37, v39, v37, s[0:1]
	v_lshl_add_u32 v37, v37, 10, v18
	v_cndmask_b32_e64 v36, v38, v36, s[0:1]
	v_and_or_b32 v2, v2, s44, v37
	v_lshl_or_b32 v2, v36, 7, v2
	v_cvt_f32_f16_e32 v36, v2
.LBB251_73:                             ;   in Loop: Header=BB251_9 Depth=1
	s_or_b64 exec, exec, s[36:37]
	global_load_ushort v2, v[10:11], off offset:1024
	s_mov_b64 s[0:1], 0
                                        ; implicit-def: $sgpr38
	s_waitcnt vmcnt(0)
	v_cmp_gt_i16_sdwa s[34:35], v2, s42 src0_sel:BYTE_0 src1_sel:DWORD
	s_and_saveexec_b64 s[36:37], s[34:35]
	s_xor_b64 s[34:35], exec, s[36:37]
	s_cbranch_execnz .LBB251_187
; %bb.74:                               ;   in Loop: Header=BB251_9 Depth=1
	s_or_saveexec_b64 s[34:35], s[34:35]
	v_mov_b32_e32 v37, s38
	s_xor_b64 exec, exec, s[34:35]
	s_cbranch_execnz .LBB251_190
.LBB251_75:                             ;   in Loop: Header=BB251_9 Depth=1
	s_or_b64 exec, exec, s[34:35]
	v_and_b32_e32 v2, 0xffff, v2
	s_and_saveexec_b64 s[34:35], s[0:1]
	s_cbranch_execz .LBB251_77
.LBB251_76:                             ;   in Loop: Header=BB251_9 Depth=1
	v_and_b32_e32 v37, 7, v2
	v_ffbh_u32_e32 v38, v37
	v_min_u32_e32 v41, 32, v38
	v_subrev_u32_e32 v38, 28, v41
	v_bfe_u32 v40, v2, 3, 4
	v_lshlrev_b64 v[38:39], v38, v[2:3]
	v_sub_u32_e32 v39, 29, v41
	v_cmp_eq_u32_e64 s[0:1], 0, v40
	v_and_b32_e32 v38, 7, v38
	s_nop 0
	v_cndmask_b32_e64 v39, v40, v39, s[0:1]
	v_cndmask_b32_e64 v37, v37, v38, s[0:1]
	v_lshlrev_b32_e32 v38, 8, v2
	v_lshl_add_u32 v39, v39, 10, v18
	v_and_or_b32 v38, v38, s44, v39
	v_lshl_or_b32 v37, v37, 7, v38
	v_cvt_f32_f16_e32 v37, v37
.LBB251_77:                             ;   in Loop: Header=BB251_9 Depth=1
	s_or_b64 exec, exec, s[34:35]
	v_lshrrev_b16_e32 v2, 8, v2
	v_cmp_lt_i16_e64 s[0:1], s42, v2
	s_mov_b64 s[34:35], 0
                                        ; implicit-def: $sgpr45
	s_and_saveexec_b64 s[36:37], s[0:1]
	s_xor_b64 s[36:37], exec, s[36:37]
	s_cbranch_execnz .LBB251_191
; %bb.78:                               ;   in Loop: Header=BB251_9 Depth=1
	s_or_saveexec_b64 s[36:37], s[36:37]
	v_mov_b32_e32 v38, s45
	s_xor_b64 exec, exec, s[36:37]
	s_cbranch_execnz .LBB251_194
.LBB251_79:                             ;   in Loop: Header=BB251_9 Depth=1
	s_or_b64 exec, exec, s[36:37]
	s_and_saveexec_b64 s[36:37], s[34:35]
	s_cbranch_execz .LBB251_81
.LBB251_80:                             ;   in Loop: Header=BB251_9 Depth=1
	v_and_b32_e32 v40, 7, v2
	v_ffbh_u32_e32 v38, v40
	v_min_u32_e32 v42, 32, v38
	v_subrev_u32_e32 v38, 28, v42
	v_bfe_u32 v41, v2, 3, 4
	v_lshlrev_b64 v[38:39], v38, v[2:3]
	v_sub_u32_e32 v39, 29, v42
	v_cmp_eq_u32_e64 s[0:1], 0, v41
	v_and_b32_e32 v38, 7, v38
	v_lshlrev_b32_e32 v2, 8, v2
	v_cndmask_b32_e64 v39, v41, v39, s[0:1]
	v_lshl_add_u32 v39, v39, 10, v18
	v_cndmask_b32_e64 v38, v40, v38, s[0:1]
	v_and_or_b32 v2, v2, s44, v39
	v_lshl_or_b32 v2, v38, 7, v2
	v_cvt_f32_f16_e32 v38, v2
.LBB251_81:                             ;   in Loop: Header=BB251_9 Depth=1
	s_or_b64 exec, exec, s[36:37]
	global_load_ushort v2, v[10:11], off offset:1032
	s_mov_b64 s[0:1], 0
                                        ; implicit-def: $sgpr38
	s_waitcnt vmcnt(0)
	v_cmp_gt_i16_sdwa s[34:35], v2, s42 src0_sel:BYTE_0 src1_sel:DWORD
	s_and_saveexec_b64 s[36:37], s[34:35]
	s_xor_b64 s[34:35], exec, s[36:37]
	s_cbranch_execnz .LBB251_195
; %bb.82:                               ;   in Loop: Header=BB251_9 Depth=1
	s_or_saveexec_b64 s[34:35], s[34:35]
	v_mov_b32_e32 v39, s38
	s_xor_b64 exec, exec, s[34:35]
	s_cbranch_execnz .LBB251_198
.LBB251_83:                             ;   in Loop: Header=BB251_9 Depth=1
	s_or_b64 exec, exec, s[34:35]
	v_and_b32_e32 v2, 0xffff, v2
	s_and_saveexec_b64 s[34:35], s[0:1]
	s_cbranch_execz .LBB251_85
.LBB251_84:                             ;   in Loop: Header=BB251_9 Depth=1
	v_and_b32_e32 v39, 7, v2
	v_ffbh_u32_e32 v40, v39
	v_min_u32_e32 v43, 32, v40
	v_subrev_u32_e32 v40, 28, v43
	v_bfe_u32 v42, v2, 3, 4
	v_lshlrev_b64 v[40:41], v40, v[2:3]
	v_sub_u32_e32 v41, 29, v43
	v_cmp_eq_u32_e64 s[0:1], 0, v42
	v_and_b32_e32 v40, 7, v40
	s_nop 0
	v_cndmask_b32_e64 v41, v42, v41, s[0:1]
	v_cndmask_b32_e64 v39, v39, v40, s[0:1]
	v_lshlrev_b32_e32 v40, 8, v2
	v_lshl_add_u32 v41, v41, 10, v18
	v_and_or_b32 v40, v40, s44, v41
	v_lshl_or_b32 v39, v39, 7, v40
	v_cvt_f32_f16_e32 v39, v39
.LBB251_85:                             ;   in Loop: Header=BB251_9 Depth=1
	s_or_b64 exec, exec, s[34:35]
	v_lshrrev_b16_e32 v2, 8, v2
	v_cmp_lt_i16_e64 s[0:1], s42, v2
	s_mov_b64 s[34:35], 0
                                        ; implicit-def: $sgpr45
	s_and_saveexec_b64 s[36:37], s[0:1]
	s_xor_b64 s[36:37], exec, s[36:37]
	s_cbranch_execnz .LBB251_199
; %bb.86:                               ;   in Loop: Header=BB251_9 Depth=1
	s_or_saveexec_b64 s[36:37], s[36:37]
	v_mov_b32_e32 v40, s45
	s_xor_b64 exec, exec, s[36:37]
	s_cbranch_execnz .LBB251_202
.LBB251_87:                             ;   in Loop: Header=BB251_9 Depth=1
	s_or_b64 exec, exec, s[36:37]
	s_and_saveexec_b64 s[36:37], s[34:35]
	s_cbranch_execz .LBB251_89
.LBB251_88:                             ;   in Loop: Header=BB251_9 Depth=1
	v_and_b32_e32 v42, 7, v2
	v_ffbh_u32_e32 v40, v42
	v_min_u32_e32 v44, 32, v40
	v_subrev_u32_e32 v40, 28, v44
	v_bfe_u32 v43, v2, 3, 4
	v_lshlrev_b64 v[40:41], v40, v[2:3]
	v_sub_u32_e32 v41, 29, v44
	v_cmp_eq_u32_e64 s[0:1], 0, v43
	v_and_b32_e32 v40, 7, v40
	v_lshlrev_b32_e32 v2, 8, v2
	v_cndmask_b32_e64 v41, v43, v41, s[0:1]
	v_lshl_add_u32 v41, v41, 10, v18
	v_cndmask_b32_e64 v40, v42, v40, s[0:1]
	v_and_or_b32 v2, v2, s44, v41
	v_lshl_or_b32 v2, v40, 7, v2
	v_cvt_f32_f16_e32 v40, v2
.LBB251_89:                             ;   in Loop: Header=BB251_9 Depth=1
	s_or_b64 exec, exec, s[36:37]
	global_load_ushort v2, v[10:11], off offset:1280
	s_mov_b64 s[0:1], 0
                                        ; implicit-def: $sgpr38
	s_waitcnt vmcnt(0)
	v_cmp_gt_i16_sdwa s[34:35], v2, s42 src0_sel:BYTE_0 src1_sel:DWORD
	s_and_saveexec_b64 s[36:37], s[34:35]
	s_xor_b64 s[34:35], exec, s[36:37]
	s_cbranch_execnz .LBB251_203
; %bb.90:                               ;   in Loop: Header=BB251_9 Depth=1
	s_or_saveexec_b64 s[34:35], s[34:35]
	v_mov_b32_e32 v41, s38
	s_xor_b64 exec, exec, s[34:35]
	s_cbranch_execnz .LBB251_206
.LBB251_91:                             ;   in Loop: Header=BB251_9 Depth=1
	s_or_b64 exec, exec, s[34:35]
	v_and_b32_e32 v2, 0xffff, v2
	s_and_saveexec_b64 s[34:35], s[0:1]
	s_cbranch_execz .LBB251_93
.LBB251_92:                             ;   in Loop: Header=BB251_9 Depth=1
	v_and_b32_e32 v41, 7, v2
	v_ffbh_u32_e32 v42, v41
	v_min_u32_e32 v45, 32, v42
	v_subrev_u32_e32 v42, 28, v45
	v_bfe_u32 v44, v2, 3, 4
	v_lshlrev_b64 v[42:43], v42, v[2:3]
	v_sub_u32_e32 v43, 29, v45
	v_cmp_eq_u32_e64 s[0:1], 0, v44
	v_and_b32_e32 v42, 7, v42
	s_nop 0
	v_cndmask_b32_e64 v43, v44, v43, s[0:1]
	v_cndmask_b32_e64 v41, v41, v42, s[0:1]
	v_lshlrev_b32_e32 v42, 8, v2
	v_lshl_add_u32 v43, v43, 10, v18
	v_and_or_b32 v42, v42, s44, v43
	v_lshl_or_b32 v41, v41, 7, v42
	v_cvt_f32_f16_e32 v41, v41
.LBB251_93:                             ;   in Loop: Header=BB251_9 Depth=1
	s_or_b64 exec, exec, s[34:35]
	v_lshrrev_b16_e32 v2, 8, v2
	v_cmp_lt_i16_e64 s[0:1], s42, v2
	s_mov_b64 s[34:35], 0
                                        ; implicit-def: $sgpr45
	s_and_saveexec_b64 s[36:37], s[0:1]
	s_xor_b64 s[36:37], exec, s[36:37]
	s_cbranch_execnz .LBB251_207
; %bb.94:                               ;   in Loop: Header=BB251_9 Depth=1
	s_or_saveexec_b64 s[36:37], s[36:37]
	v_mov_b32_e32 v42, s45
	s_xor_b64 exec, exec, s[36:37]
	s_cbranch_execnz .LBB251_210
.LBB251_95:                             ;   in Loop: Header=BB251_9 Depth=1
	s_or_b64 exec, exec, s[36:37]
	s_and_saveexec_b64 s[36:37], s[34:35]
	s_cbranch_execz .LBB251_97
.LBB251_96:                             ;   in Loop: Header=BB251_9 Depth=1
	v_and_b32_e32 v44, 7, v2
	v_ffbh_u32_e32 v42, v44
	v_min_u32_e32 v46, 32, v42
	v_subrev_u32_e32 v42, 28, v46
	v_bfe_u32 v45, v2, 3, 4
	v_lshlrev_b64 v[42:43], v42, v[2:3]
	v_sub_u32_e32 v43, 29, v46
	v_cmp_eq_u32_e64 s[0:1], 0, v45
	v_and_b32_e32 v42, 7, v42
	v_lshlrev_b32_e32 v2, 8, v2
	v_cndmask_b32_e64 v43, v45, v43, s[0:1]
	v_lshl_add_u32 v43, v43, 10, v18
	v_cndmask_b32_e64 v42, v44, v42, s[0:1]
	v_and_or_b32 v2, v2, s44, v43
	v_lshl_or_b32 v2, v42, 7, v2
	v_cvt_f32_f16_e32 v42, v2
.LBB251_97:                             ;   in Loop: Header=BB251_9 Depth=1
	s_or_b64 exec, exec, s[36:37]
	global_load_ushort v2, v[10:11], off offset:1288
	s_mov_b64 s[0:1], 0
                                        ; implicit-def: $sgpr38
	s_waitcnt vmcnt(0)
	v_cmp_gt_i16_sdwa s[34:35], v2, s42 src0_sel:BYTE_0 src1_sel:DWORD
	s_and_saveexec_b64 s[36:37], s[34:35]
	s_xor_b64 s[34:35], exec, s[36:37]
	s_cbranch_execnz .LBB251_211
; %bb.98:                               ;   in Loop: Header=BB251_9 Depth=1
	s_or_saveexec_b64 s[34:35], s[34:35]
	v_mov_b32_e32 v43, s38
	s_xor_b64 exec, exec, s[34:35]
	s_cbranch_execnz .LBB251_214
.LBB251_99:                             ;   in Loop: Header=BB251_9 Depth=1
	s_or_b64 exec, exec, s[34:35]
	v_and_b32_e32 v2, 0xffff, v2
	s_and_saveexec_b64 s[34:35], s[0:1]
	s_cbranch_execz .LBB251_101
.LBB251_100:                            ;   in Loop: Header=BB251_9 Depth=1
	v_and_b32_e32 v43, 7, v2
	v_ffbh_u32_e32 v44, v43
	v_min_u32_e32 v47, 32, v44
	v_subrev_u32_e32 v44, 28, v47
	v_bfe_u32 v46, v2, 3, 4
	v_lshlrev_b64 v[44:45], v44, v[2:3]
	v_sub_u32_e32 v45, 29, v47
	v_cmp_eq_u32_e64 s[0:1], 0, v46
	v_and_b32_e32 v44, 7, v44
	s_nop 0
	v_cndmask_b32_e64 v45, v46, v45, s[0:1]
	v_cndmask_b32_e64 v43, v43, v44, s[0:1]
	v_lshlrev_b32_e32 v44, 8, v2
	v_lshl_add_u32 v45, v45, 10, v18
	v_and_or_b32 v44, v44, s44, v45
	v_lshl_or_b32 v43, v43, 7, v44
	v_cvt_f32_f16_e32 v43, v43
.LBB251_101:                            ;   in Loop: Header=BB251_9 Depth=1
	s_or_b64 exec, exec, s[34:35]
	v_lshrrev_b16_e32 v2, 8, v2
	v_cmp_lt_i16_e64 s[0:1], s42, v2
	s_mov_b64 s[34:35], 0
                                        ; implicit-def: $sgpr45
	s_and_saveexec_b64 s[36:37], s[0:1]
	s_xor_b64 s[36:37], exec, s[36:37]
	s_cbranch_execnz .LBB251_215
; %bb.102:                              ;   in Loop: Header=BB251_9 Depth=1
	s_or_saveexec_b64 s[36:37], s[36:37]
	v_mov_b32_e32 v44, s45
	s_xor_b64 exec, exec, s[36:37]
	s_cbranch_execnz .LBB251_218
.LBB251_103:                            ;   in Loop: Header=BB251_9 Depth=1
	s_or_b64 exec, exec, s[36:37]
	s_and_saveexec_b64 s[36:37], s[34:35]
	s_cbranch_execz .LBB251_105
.LBB251_104:                            ;   in Loop: Header=BB251_9 Depth=1
	v_and_b32_e32 v46, 7, v2
	v_ffbh_u32_e32 v44, v46
	v_min_u32_e32 v48, 32, v44
	v_subrev_u32_e32 v44, 28, v48
	v_bfe_u32 v47, v2, 3, 4
	v_lshlrev_b64 v[44:45], v44, v[2:3]
	v_sub_u32_e32 v45, 29, v48
	v_cmp_eq_u32_e64 s[0:1], 0, v47
	v_and_b32_e32 v44, 7, v44
	v_lshlrev_b32_e32 v2, 8, v2
	v_cndmask_b32_e64 v45, v47, v45, s[0:1]
	v_lshl_add_u32 v45, v45, 10, v18
	v_cndmask_b32_e64 v44, v46, v44, s[0:1]
	v_and_or_b32 v2, v2, s44, v45
	v_lshl_or_b32 v2, v44, 7, v2
	v_cvt_f32_f16_e32 v44, v2
.LBB251_105:                            ;   in Loop: Header=BB251_9 Depth=1
	s_or_b64 exec, exec, s[36:37]
	global_load_ushort v2, v[10:11], off offset:1536
	s_mov_b64 s[0:1], 0
                                        ; implicit-def: $sgpr38
	s_waitcnt vmcnt(0)
	v_cmp_gt_i16_sdwa s[34:35], v2, s42 src0_sel:BYTE_0 src1_sel:DWORD
	s_and_saveexec_b64 s[36:37], s[34:35]
	s_xor_b64 s[34:35], exec, s[36:37]
	s_cbranch_execnz .LBB251_219
; %bb.106:                              ;   in Loop: Header=BB251_9 Depth=1
	s_or_saveexec_b64 s[34:35], s[34:35]
	v_mov_b32_e32 v45, s38
	s_xor_b64 exec, exec, s[34:35]
	s_cbranch_execnz .LBB251_222
.LBB251_107:                            ;   in Loop: Header=BB251_9 Depth=1
	s_or_b64 exec, exec, s[34:35]
	v_and_b32_e32 v2, 0xffff, v2
	s_and_saveexec_b64 s[34:35], s[0:1]
	s_cbranch_execz .LBB251_109
.LBB251_108:                            ;   in Loop: Header=BB251_9 Depth=1
	v_and_b32_e32 v45, 7, v2
	v_ffbh_u32_e32 v46, v45
	v_min_u32_e32 v49, 32, v46
	v_subrev_u32_e32 v46, 28, v49
	v_bfe_u32 v48, v2, 3, 4
	v_lshlrev_b64 v[46:47], v46, v[2:3]
	v_sub_u32_e32 v47, 29, v49
	v_cmp_eq_u32_e64 s[0:1], 0, v48
	v_and_b32_e32 v46, 7, v46
	s_nop 0
	v_cndmask_b32_e64 v47, v48, v47, s[0:1]
	v_cndmask_b32_e64 v45, v45, v46, s[0:1]
	v_lshlrev_b32_e32 v46, 8, v2
	v_lshl_add_u32 v47, v47, 10, v18
	v_and_or_b32 v46, v46, s44, v47
	v_lshl_or_b32 v45, v45, 7, v46
	v_cvt_f32_f16_e32 v45, v45
.LBB251_109:                            ;   in Loop: Header=BB251_9 Depth=1
	s_or_b64 exec, exec, s[34:35]
	v_lshrrev_b16_e32 v2, 8, v2
	v_cmp_lt_i16_e64 s[0:1], s42, v2
	s_mov_b64 s[34:35], 0
                                        ; implicit-def: $sgpr45
	s_and_saveexec_b64 s[36:37], s[0:1]
	s_xor_b64 s[36:37], exec, s[36:37]
	s_cbranch_execnz .LBB251_223
; %bb.110:                              ;   in Loop: Header=BB251_9 Depth=1
	s_or_saveexec_b64 s[36:37], s[36:37]
	v_mov_b32_e32 v46, s45
	s_xor_b64 exec, exec, s[36:37]
	s_cbranch_execnz .LBB251_226
.LBB251_111:                            ;   in Loop: Header=BB251_9 Depth=1
	s_or_b64 exec, exec, s[36:37]
	s_and_saveexec_b64 s[36:37], s[34:35]
	s_cbranch_execz .LBB251_113
.LBB251_112:                            ;   in Loop: Header=BB251_9 Depth=1
	v_and_b32_e32 v48, 7, v2
	v_ffbh_u32_e32 v46, v48
	v_min_u32_e32 v50, 32, v46
	v_subrev_u32_e32 v46, 28, v50
	v_bfe_u32 v49, v2, 3, 4
	v_lshlrev_b64 v[46:47], v46, v[2:3]
	v_sub_u32_e32 v47, 29, v50
	v_cmp_eq_u32_e64 s[0:1], 0, v49
	v_and_b32_e32 v46, 7, v46
	v_lshlrev_b32_e32 v2, 8, v2
	v_cndmask_b32_e64 v47, v49, v47, s[0:1]
	v_lshl_add_u32 v47, v47, 10, v18
	v_cndmask_b32_e64 v46, v48, v46, s[0:1]
	v_and_or_b32 v2, v2, s44, v47
	v_lshl_or_b32 v2, v46, 7, v2
	v_cvt_f32_f16_e32 v46, v2
.LBB251_113:                            ;   in Loop: Header=BB251_9 Depth=1
	s_or_b64 exec, exec, s[36:37]
	global_load_ushort v2, v[10:11], off offset:1544
	s_mov_b64 s[0:1], 0
                                        ; implicit-def: $sgpr38
	s_waitcnt vmcnt(0)
	v_cmp_gt_i16_sdwa s[34:35], v2, s42 src0_sel:BYTE_0 src1_sel:DWORD
	s_and_saveexec_b64 s[36:37], s[34:35]
	s_xor_b64 s[34:35], exec, s[36:37]
	s_cbranch_execnz .LBB251_227
; %bb.114:                              ;   in Loop: Header=BB251_9 Depth=1
	s_or_saveexec_b64 s[34:35], s[34:35]
	v_mov_b32_e32 v10, s38
	s_xor_b64 exec, exec, s[34:35]
	s_cbranch_execnz .LBB251_230
.LBB251_115:                            ;   in Loop: Header=BB251_9 Depth=1
	s_or_b64 exec, exec, s[34:35]
	v_and_b32_e32 v2, 0xffff, v2
	s_and_saveexec_b64 s[34:35], s[0:1]
	s_cbranch_execz .LBB251_117
.LBB251_116:                            ;   in Loop: Header=BB251_9 Depth=1
	v_and_b32_e32 v47, 7, v2
	v_ffbh_u32_e32 v10, v47
	v_min_u32_e32 v49, 32, v10
	v_subrev_u32_e32 v10, 28, v49
	v_bfe_u32 v48, v2, 3, 4
	v_lshlrev_b64 v[10:11], v10, v[2:3]
	v_sub_u32_e32 v11, 29, v49
	v_cmp_eq_u32_e64 s[0:1], 0, v48
	v_and_b32_e32 v10, 7, v10
	s_nop 0
	v_cndmask_b32_e64 v11, v48, v11, s[0:1]
	v_cndmask_b32_e64 v10, v47, v10, s[0:1]
	v_lshlrev_b32_e32 v47, 8, v2
	v_lshl_add_u32 v11, v11, 10, v18
	v_and_or_b32 v11, v47, s44, v11
	v_lshl_or_b32 v10, v10, 7, v11
	v_cvt_f32_f16_e32 v10, v10
.LBB251_117:                            ;   in Loop: Header=BB251_9 Depth=1
	s_or_b64 exec, exec, s[34:35]
	v_lshrrev_b16_e32 v2, 8, v2
	v_cmp_lt_i16_e64 s[0:1], s42, v2
	s_mov_b64 s[34:35], 0
                                        ; implicit-def: $sgpr45
	s_and_saveexec_b64 s[36:37], s[0:1]
	s_xor_b64 s[36:37], exec, s[36:37]
	s_cbranch_execnz .LBB251_231
; %bb.118:                              ;   in Loop: Header=BB251_9 Depth=1
	s_or_saveexec_b64 s[36:37], s[36:37]
	v_mov_b32_e32 v11, s45
	s_xor_b64 exec, exec, s[36:37]
	s_cbranch_execnz .LBB251_234
.LBB251_119:                            ;   in Loop: Header=BB251_9 Depth=1
	s_or_b64 exec, exec, s[36:37]
	s_and_saveexec_b64 s[36:37], s[34:35]
	s_cbranch_execz .LBB251_121
.LBB251_120:                            ;   in Loop: Header=BB251_9 Depth=1
	v_and_b32_e32 v11, 7, v2
	v_ffbh_u32_e32 v48, v11
	v_min_u32_e32 v50, 32, v48
	v_subrev_u32_e32 v48, 28, v50
	v_bfe_u32 v47, v2, 3, 4
	v_lshlrev_b64 v[48:49], v48, v[2:3]
	v_sub_u32_e32 v49, 29, v50
	v_cmp_eq_u32_e64 s[0:1], 0, v47
	v_and_b32_e32 v48, 7, v48
	v_lshlrev_b32_e32 v2, 8, v2
	v_cndmask_b32_e64 v47, v47, v49, s[0:1]
	v_lshl_add_u32 v47, v47, 10, v18
	v_cndmask_b32_e64 v11, v11, v48, s[0:1]
	v_and_or_b32 v2, v2, s44, v47
	v_lshl_or_b32 v2, v11, 7, v2
	v_cvt_f32_f16_e32 v11, v2
.LBB251_121:                            ;   in Loop: Header=BB251_9 Depth=1
	s_or_b64 exec, exec, s[36:37]
	ds_read_b32 v2, v15
	v_fma_mixlo_f16 v21, v20, v21, 0
	v_fma_mixlo_f16 v22, v20, v22, 0
	v_and_b32_e32 v21, 0xffff, v21
	v_and_b32_e32 v22, 0xffff, v22
	s_waitcnt lgkmcnt(0)
	v_lshrrev_b32_e32 v47, 16, v2
	v_and_b32_e32 v2, 0xffff, v2
	;;#ASMSTART
	v_cvt_f32_f16 v2, v2;
	;;#ASMEND
	;;#ASMSTART
	v_cvt_f32_f16 v47, v47;
	;;#ASMEND
	;;#ASMSTART
	v_cvt_f32_f16 v21, v21;
	;;#ASMEND
	;;#ASMSTART
	v_cvt_f32_f16 v22, v22;
	;;#ASMEND
	ds_read_b32 v48, v15 offset:4
	v_fma_mixlo_f16 v23, v20, v23, 0
	v_fma_mixlo_f16 v24, v20, v24, 0
	v_and_b32_e32 v23, 0xffff, v23
	v_and_b32_e32 v24, 0xffff, v24
	s_waitcnt lgkmcnt(0)
	v_lshrrev_b32_e32 v49, 16, v48
	v_and_b32_e32 v48, 0xffff, v48
	;;#ASMSTART
	v_cvt_f32_f16 v48, v48;
	;;#ASMEND
	;;#ASMSTART
	v_cvt_f32_f16 v49, v49;
	;;#ASMEND
	;;#ASMSTART
	v_cvt_f32_f16 v23, v23;
	;;#ASMEND
	;;#ASMSTART
	v_cvt_f32_f16 v24, v24;
	;;#ASMEND
	ds_read_b32 v50, v15 offset:8
	;; [unrolled: 20-line block ×7, first 2 shown]
	v_fma_mixlo_f16 v45, v20, v45, 0
	v_fma_mixlo_f16 v46, v20, v46, 0
	v_fma_mixlo_f16 v43, v20, v43, 0
	v_fma_mixlo_f16 v44, v20, v44, 0
	v_fma_mixlo_f16 v41, v20, v41, 0
	v_fma_mixlo_f16 v42, v20, v42, 0
	v_fma_mixlo_f16 v39, v20, v39, 0
	v_fma_mixlo_f16 v40, v20, v40, 0
	v_fma_mixlo_f16 v37, v20, v37, 0
	v_fma_mixlo_f16 v38, v20, v38, 0
	v_fma_mixlo_f16 v35, v20, v35, 0
	v_fma_mixlo_f16 v36, v20, v36, 0
	v_fma_mixlo_f16 v10, v20, v10, 0
	v_fma_mixlo_f16 v11, v20, v11, 0
	v_mul_f32_e32 v20, v48, v23
	v_fmac_f32_e32 v20, v2, v21
	s_waitcnt lgkmcnt(0)
	v_lshrrev_b32_e32 v2, 16, v60
	v_and_b32_e32 v21, 0xffff, v60
	v_and_b32_e32 v23, 0xffff, v35
	;; [unrolled: 1-line block ×3, first 2 shown]
	;;#ASMSTART
	v_cvt_f32_f16 v21, v21;
	;;#ASMEND
	;;#ASMSTART
	v_cvt_f32_f16 v2, v2;
	;;#ASMEND
	;; [unrolled: 3-line block ×4, first 2 shown]
	ds_read_b32 v36, v15 offset:32
	v_mul_f32_e32 v24, v49, v24
	v_fmac_f32_e32 v24, v47, v22
	v_fmac_f32_e32 v20, v50, v25
	v_fmac_f32_e32 v24, v51, v26
	s_waitcnt lgkmcnt(0)
	v_lshrrev_b32_e32 v22, 16, v36
	v_and_b32_e32 v25, 0xffff, v36
	v_and_b32_e32 v26, 0xffff, v37
	v_and_b32_e32 v36, 0xffff, v38
	;;#ASMSTART
	v_cvt_f32_f16 v25, v25;
	;;#ASMEND
	;;#ASMSTART
	v_cvt_f32_f16 v22, v22;
	;;#ASMEND
	;;#ASMSTART
	v_cvt_f32_f16 v26, v26;
	;;#ASMEND
	;;#ASMSTART
	v_cvt_f32_f16 v36, v36;
	;;#ASMEND
	ds_read_b32 v37, v15 offset:36
	v_fmac_f32_e32 v20, v52, v27
	v_fmac_f32_e32 v24, v53, v28
	v_fmac_f32_e32 v20, v54, v29
	v_fmac_f32_e32 v24, v55, v30
	s_waitcnt lgkmcnt(0)
	v_lshrrev_b32_e32 v27, 16, v37
	v_and_b32_e32 v28, 0xffff, v37
	v_and_b32_e32 v29, 0xffff, v39
	v_and_b32_e32 v30, 0xffff, v40
	;;#ASMSTART
	v_cvt_f32_f16 v28, v28;
	;;#ASMEND
	;;#ASMSTART
	v_cvt_f32_f16 v27, v27;
	;;#ASMEND
	;;#ASMSTART
	v_cvt_f32_f16 v29, v29;
	;;#ASMEND
	;;#ASMSTART
	v_cvt_f32_f16 v30, v30;
	;;#ASMEND
	ds_read_b32 v37, v15 offset:40
	v_fmac_f32_e32 v20, v56, v31
	;; [unrolled: 22-line block ×3, first 2 shown]
	v_fmac_f32_e32 v20, v21, v23
	v_fmac_f32_e32 v24, v22, v36
	v_and_b32_e32 v22, 0xffff, v43
	s_waitcnt lgkmcnt(0)
	v_lshrrev_b32_e32 v2, 16, v37
	v_and_b32_e32 v21, 0xffff, v37
	v_and_b32_e32 v23, 0xffff, v44
	v_fmac_f32_e32 v20, v25, v26
	;;#ASMSTART
	v_cvt_f32_f16 v21, v21;
	;;#ASMEND
	;;#ASMSTART
	v_cvt_f32_f16 v2, v2;
	;;#ASMEND
	;; [unrolled: 3-line block ×4, first 2 shown]
	ds_read_b32 v25, v15 offset:48
	v_fmac_f32_e32 v20, v28, v29
	v_fmac_f32_e32 v24, v27, v30
	v_and_b32_e32 v27, 0xffff, v45
	v_and_b32_e32 v28, 0xffff, v46
	s_waitcnt lgkmcnt(0)
	v_lshrrev_b32_e32 v26, 16, v25
	v_and_b32_e32 v25, 0xffff, v25
	;;#ASMSTART
	v_cvt_f32_f16 v25, v25;
	;;#ASMEND
	;;#ASMSTART
	v_cvt_f32_f16 v26, v26;
	;;#ASMEND
	;; [unrolled: 3-line block ×4, first 2 shown]
	ds_read_b32 v29, v15 offset:52
	v_fmac_f32_e32 v20, v32, v33
	v_fmac_f32_e32 v24, v31, v34
	v_fmac_f32_e32 v20, v21, v22
	v_fmac_f32_e32 v24, v2, v23
	s_waitcnt lgkmcnt(0)
	v_lshrrev_b32_e32 v2, 16, v29
	v_and_b32_e32 v21, 0xffff, v29
	v_fmac_f32_e32 v24, v26, v28
	;;#ASMSTART
	v_cvt_f32_f16 v21, v21;
	;;#ASMEND
	;;#ASMSTART
	v_cvt_f32_f16 v2, v2;
	;;#ASMEND
	v_and_b32_e32 v10, 0xffff, v10
	v_and_b32_e32 v11, 0xffff, v11
	;;#ASMSTART
	v_cvt_f32_f16 v10, v10;
	;;#ASMEND
	;;#ASMSTART
	v_cvt_f32_f16 v11, v11;
	;;#ASMEND
	v_fmac_f32_e32 v20, v25, v27
	v_fmac_f32_e32 v24, v2, v11
	v_and_b32_e32 v2, 64, v13
	v_add_u32_e32 v2, 64, v2
	v_xor_b32_e32 v11, 2, v13
	v_cmp_lt_i32_e64 s[0:1], v11, v2
	v_fmac_f32_e32 v20, v21, v10
	v_add_f32_e32 v10, v20, v24
	v_cndmask_b32_e64 v11, v13, v11, s[0:1]
	v_lshlrev_b32_e32 v11, 2, v11
	ds_bpermute_b32 v11, v11, v10
	s_waitcnt lgkmcnt(0)
	v_add_f32_e32 v10, v10, v11
	v_xor_b32_e32 v11, 1, v13
	v_cmp_lt_i32_e64 s[0:1], v11, v2
	s_nop 1
	v_cndmask_b32_e64 v11, v13, v11, s[0:1]
	v_lshlrev_b32_e32 v11, 2, v11
	ds_bpermute_b32 v11, v11, v10
	s_and_saveexec_b64 s[34:35], vcc
	s_cbranch_execz .LBB251_8
; %bb.122:                              ;   in Loop: Header=BB251_9 Depth=1
	v_add_u32_e32 v20, s41, v16
	v_cvt_f32_i32_e32 v20, v20
	s_waitcnt lgkmcnt(0)
	v_add_f32_e32 v10, v10, v11
	v_cmp_gt_i32_e64 s[0:1], s33, v16
	v_max_f32_e32 v11, v14, v14
	v_mul_f32_e32 v20, s28, v20
	v_cndmask_b32_e64 v20, 0, v20, s[2:3]
	v_fmac_f32_e32 v20, s29, v10
	v_cndmask_b32_e64 v10, 0, v20, s[0:1]
	ds_write_b32 v17, v10
	v_max_f32_e32 v10, v11, v20
	v_cndmask_b32_e64 v14, v14, v10, s[0:1]
	s_branch .LBB251_8
.LBB251_123:                            ;   in Loop: Header=BB251_9 Depth=1
	v_cmp_eq_u16_sdwa s[46:47], v2, s43 src0_sel:BYTE_0 src1_sel:DWORD
	s_mov_b64 s[0:1], -1
                                        ; implicit-def: $sgpr38
	s_and_saveexec_b64 s[36:37], s[46:47]
; %bb.124:                              ;   in Loop: Header=BB251_9 Depth=1
	s_mov_b32 s38, 0x7fc02000
	s_xor_b64 s[0:1], exec, -1
; %bb.125:                              ;   in Loop: Header=BB251_9 Depth=1
	s_or_b64 exec, exec, s[36:37]
	s_and_b64 s[0:1], s[0:1], exec
	s_or_saveexec_b64 s[34:35], s[34:35]
	v_mov_b32_e32 v21, s38
	s_xor_b64 exec, exec, s[34:35]
	s_cbranch_execz .LBB251_11
.LBB251_126:                            ;   in Loop: Header=BB251_9 Depth=1
	v_cmp_ne_u16_sdwa s[36:37], v2, v3 src0_sel:BYTE_0 src1_sel:DWORD
	s_andn2_b64 s[0:1], s[0:1], exec
	s_and_b64 s[36:37], s[36:37], exec
	v_mov_b32_e32 v21, 0
	s_or_b64 s[0:1], s[0:1], s[36:37]
	s_or_b64 exec, exec, s[34:35]
	v_and_b32_e32 v2, 0xffff, v2
	s_and_saveexec_b64 s[34:35], s[0:1]
	s_cbranch_execnz .LBB251_12
	s_branch .LBB251_13
.LBB251_127:                            ;   in Loop: Header=BB251_9 Depth=1
	v_cmp_eq_u16_e64 s[0:1], s43, v2
	s_mov_b64 s[34:35], -1
                                        ; implicit-def: $sgpr45
	s_and_saveexec_b64 s[38:39], s[0:1]
; %bb.128:                              ;   in Loop: Header=BB251_9 Depth=1
	s_mov_b32 s45, 0x7fc02000
	s_xor_b64 s[34:35], exec, -1
; %bb.129:                              ;   in Loop: Header=BB251_9 Depth=1
	s_or_b64 exec, exec, s[38:39]
	s_and_b64 s[34:35], s[34:35], exec
	s_or_saveexec_b64 s[36:37], s[36:37]
	v_mov_b32_e32 v22, s45
	s_xor_b64 exec, exec, s[36:37]
	s_cbranch_execz .LBB251_15
.LBB251_130:                            ;   in Loop: Header=BB251_9 Depth=1
	v_cmp_ne_u16_e64 s[0:1], 0, v2
	s_andn2_b64 s[34:35], s[34:35], exec
	s_and_b64 s[0:1], s[0:1], exec
	v_mov_b32_e32 v22, 0
	s_or_b64 s[34:35], s[34:35], s[0:1]
	s_or_b64 exec, exec, s[36:37]
	s_and_saveexec_b64 s[36:37], s[34:35]
	s_cbranch_execnz .LBB251_16
	s_branch .LBB251_17
.LBB251_131:                            ;   in Loop: Header=BB251_9 Depth=1
	v_cmp_eq_u16_sdwa s[46:47], v2, s43 src0_sel:BYTE_0 src1_sel:DWORD
	s_mov_b64 s[0:1], -1
                                        ; implicit-def: $sgpr38
	s_and_saveexec_b64 s[36:37], s[46:47]
; %bb.132:                              ;   in Loop: Header=BB251_9 Depth=1
	s_mov_b32 s38, 0x7fc02000
	s_xor_b64 s[0:1], exec, -1
; %bb.133:                              ;   in Loop: Header=BB251_9 Depth=1
	s_or_b64 exec, exec, s[36:37]
	s_and_b64 s[0:1], s[0:1], exec
	s_or_saveexec_b64 s[34:35], s[34:35]
	v_mov_b32_e32 v23, s38
	s_xor_b64 exec, exec, s[34:35]
	s_cbranch_execz .LBB251_19
.LBB251_134:                            ;   in Loop: Header=BB251_9 Depth=1
	v_cmp_ne_u16_sdwa s[36:37], v2, v3 src0_sel:BYTE_0 src1_sel:DWORD
	s_andn2_b64 s[0:1], s[0:1], exec
	s_and_b64 s[36:37], s[36:37], exec
	v_mov_b32_e32 v23, 0
	s_or_b64 s[0:1], s[0:1], s[36:37]
	s_or_b64 exec, exec, s[34:35]
	v_and_b32_e32 v2, 0xffff, v2
	s_and_saveexec_b64 s[34:35], s[0:1]
	s_cbranch_execnz .LBB251_20
	s_branch .LBB251_21
.LBB251_135:                            ;   in Loop: Header=BB251_9 Depth=1
	v_cmp_eq_u16_e64 s[0:1], s43, v2
	s_mov_b64 s[34:35], -1
                                        ; implicit-def: $sgpr45
	s_and_saveexec_b64 s[38:39], s[0:1]
; %bb.136:                              ;   in Loop: Header=BB251_9 Depth=1
	s_mov_b32 s45, 0x7fc02000
	s_xor_b64 s[34:35], exec, -1
; %bb.137:                              ;   in Loop: Header=BB251_9 Depth=1
	s_or_b64 exec, exec, s[38:39]
	s_and_b64 s[34:35], s[34:35], exec
	s_or_saveexec_b64 s[36:37], s[36:37]
	v_mov_b32_e32 v24, s45
	s_xor_b64 exec, exec, s[36:37]
	s_cbranch_execz .LBB251_23
.LBB251_138:                            ;   in Loop: Header=BB251_9 Depth=1
	v_cmp_ne_u16_e64 s[0:1], 0, v2
	s_andn2_b64 s[34:35], s[34:35], exec
	s_and_b64 s[0:1], s[0:1], exec
	v_mov_b32_e32 v24, 0
	s_or_b64 s[34:35], s[34:35], s[0:1]
	s_or_b64 exec, exec, s[36:37]
	s_and_saveexec_b64 s[36:37], s[34:35]
	s_cbranch_execnz .LBB251_24
	s_branch .LBB251_25
.LBB251_139:                            ;   in Loop: Header=BB251_9 Depth=1
	v_cmp_eq_u16_sdwa s[46:47], v2, s43 src0_sel:BYTE_0 src1_sel:DWORD
	s_mov_b64 s[0:1], -1
                                        ; implicit-def: $sgpr38
	s_and_saveexec_b64 s[36:37], s[46:47]
; %bb.140:                              ;   in Loop: Header=BB251_9 Depth=1
	s_mov_b32 s38, 0x7fc02000
	s_xor_b64 s[0:1], exec, -1
; %bb.141:                              ;   in Loop: Header=BB251_9 Depth=1
	s_or_b64 exec, exec, s[36:37]
	s_and_b64 s[0:1], s[0:1], exec
	s_or_saveexec_b64 s[34:35], s[34:35]
	v_mov_b32_e32 v25, s38
	s_xor_b64 exec, exec, s[34:35]
	s_cbranch_execz .LBB251_27
.LBB251_142:                            ;   in Loop: Header=BB251_9 Depth=1
	v_cmp_ne_u16_sdwa s[36:37], v2, v3 src0_sel:BYTE_0 src1_sel:DWORD
	s_andn2_b64 s[0:1], s[0:1], exec
	s_and_b64 s[36:37], s[36:37], exec
	v_mov_b32_e32 v25, 0
	s_or_b64 s[0:1], s[0:1], s[36:37]
	s_or_b64 exec, exec, s[34:35]
	v_and_b32_e32 v2, 0xffff, v2
	s_and_saveexec_b64 s[34:35], s[0:1]
	s_cbranch_execnz .LBB251_28
	s_branch .LBB251_29
.LBB251_143:                            ;   in Loop: Header=BB251_9 Depth=1
	v_cmp_eq_u16_e64 s[0:1], s43, v2
	s_mov_b64 s[34:35], -1
                                        ; implicit-def: $sgpr45
	s_and_saveexec_b64 s[38:39], s[0:1]
; %bb.144:                              ;   in Loop: Header=BB251_9 Depth=1
	s_mov_b32 s45, 0x7fc02000
	s_xor_b64 s[34:35], exec, -1
; %bb.145:                              ;   in Loop: Header=BB251_9 Depth=1
	s_or_b64 exec, exec, s[38:39]
	s_and_b64 s[34:35], s[34:35], exec
	s_or_saveexec_b64 s[36:37], s[36:37]
	v_mov_b32_e32 v26, s45
	s_xor_b64 exec, exec, s[36:37]
	s_cbranch_execz .LBB251_31
.LBB251_146:                            ;   in Loop: Header=BB251_9 Depth=1
	v_cmp_ne_u16_e64 s[0:1], 0, v2
	s_andn2_b64 s[34:35], s[34:35], exec
	s_and_b64 s[0:1], s[0:1], exec
	v_mov_b32_e32 v26, 0
	s_or_b64 s[34:35], s[34:35], s[0:1]
	s_or_b64 exec, exec, s[36:37]
	s_and_saveexec_b64 s[36:37], s[34:35]
	s_cbranch_execnz .LBB251_32
	s_branch .LBB251_33
.LBB251_147:                            ;   in Loop: Header=BB251_9 Depth=1
	v_cmp_eq_u16_sdwa s[46:47], v2, s43 src0_sel:BYTE_0 src1_sel:DWORD
	s_mov_b64 s[0:1], -1
                                        ; implicit-def: $sgpr38
	s_and_saveexec_b64 s[36:37], s[46:47]
; %bb.148:                              ;   in Loop: Header=BB251_9 Depth=1
	s_mov_b32 s38, 0x7fc02000
	s_xor_b64 s[0:1], exec, -1
; %bb.149:                              ;   in Loop: Header=BB251_9 Depth=1
	s_or_b64 exec, exec, s[36:37]
	s_and_b64 s[0:1], s[0:1], exec
	s_or_saveexec_b64 s[34:35], s[34:35]
	v_mov_b32_e32 v27, s38
	s_xor_b64 exec, exec, s[34:35]
	s_cbranch_execz .LBB251_35
.LBB251_150:                            ;   in Loop: Header=BB251_9 Depth=1
	v_cmp_ne_u16_sdwa s[36:37], v2, v3 src0_sel:BYTE_0 src1_sel:DWORD
	s_andn2_b64 s[0:1], s[0:1], exec
	s_and_b64 s[36:37], s[36:37], exec
	v_mov_b32_e32 v27, 0
	s_or_b64 s[0:1], s[0:1], s[36:37]
	s_or_b64 exec, exec, s[34:35]
	v_and_b32_e32 v2, 0xffff, v2
	s_and_saveexec_b64 s[34:35], s[0:1]
	s_cbranch_execnz .LBB251_36
	s_branch .LBB251_37
.LBB251_151:                            ;   in Loop: Header=BB251_9 Depth=1
	v_cmp_eq_u16_e64 s[0:1], s43, v2
	s_mov_b64 s[34:35], -1
                                        ; implicit-def: $sgpr45
	s_and_saveexec_b64 s[38:39], s[0:1]
; %bb.152:                              ;   in Loop: Header=BB251_9 Depth=1
	s_mov_b32 s45, 0x7fc02000
	s_xor_b64 s[34:35], exec, -1
; %bb.153:                              ;   in Loop: Header=BB251_9 Depth=1
	s_or_b64 exec, exec, s[38:39]
	s_and_b64 s[34:35], s[34:35], exec
	s_or_saveexec_b64 s[36:37], s[36:37]
	v_mov_b32_e32 v28, s45
	s_xor_b64 exec, exec, s[36:37]
	s_cbranch_execz .LBB251_39
.LBB251_154:                            ;   in Loop: Header=BB251_9 Depth=1
	v_cmp_ne_u16_e64 s[0:1], 0, v2
	s_andn2_b64 s[34:35], s[34:35], exec
	s_and_b64 s[0:1], s[0:1], exec
	v_mov_b32_e32 v28, 0
	s_or_b64 s[34:35], s[34:35], s[0:1]
	s_or_b64 exec, exec, s[36:37]
	s_and_saveexec_b64 s[36:37], s[34:35]
	s_cbranch_execnz .LBB251_40
	s_branch .LBB251_41
.LBB251_155:                            ;   in Loop: Header=BB251_9 Depth=1
	v_cmp_eq_u16_sdwa s[46:47], v2, s43 src0_sel:BYTE_0 src1_sel:DWORD
	s_mov_b64 s[0:1], -1
                                        ; implicit-def: $sgpr38
	s_and_saveexec_b64 s[36:37], s[46:47]
; %bb.156:                              ;   in Loop: Header=BB251_9 Depth=1
	s_mov_b32 s38, 0x7fc02000
	s_xor_b64 s[0:1], exec, -1
; %bb.157:                              ;   in Loop: Header=BB251_9 Depth=1
	s_or_b64 exec, exec, s[36:37]
	s_and_b64 s[0:1], s[0:1], exec
	s_or_saveexec_b64 s[34:35], s[34:35]
	v_mov_b32_e32 v29, s38
	s_xor_b64 exec, exec, s[34:35]
	s_cbranch_execz .LBB251_43
.LBB251_158:                            ;   in Loop: Header=BB251_9 Depth=1
	v_cmp_ne_u16_sdwa s[36:37], v2, v3 src0_sel:BYTE_0 src1_sel:DWORD
	s_andn2_b64 s[0:1], s[0:1], exec
	s_and_b64 s[36:37], s[36:37], exec
	v_mov_b32_e32 v29, 0
	s_or_b64 s[0:1], s[0:1], s[36:37]
	s_or_b64 exec, exec, s[34:35]
	v_and_b32_e32 v2, 0xffff, v2
	s_and_saveexec_b64 s[34:35], s[0:1]
	s_cbranch_execnz .LBB251_44
	s_branch .LBB251_45
.LBB251_159:                            ;   in Loop: Header=BB251_9 Depth=1
	v_cmp_eq_u16_e64 s[0:1], s43, v2
	s_mov_b64 s[34:35], -1
                                        ; implicit-def: $sgpr45
	s_and_saveexec_b64 s[38:39], s[0:1]
; %bb.160:                              ;   in Loop: Header=BB251_9 Depth=1
	s_mov_b32 s45, 0x7fc02000
	s_xor_b64 s[34:35], exec, -1
; %bb.161:                              ;   in Loop: Header=BB251_9 Depth=1
	s_or_b64 exec, exec, s[38:39]
	s_and_b64 s[34:35], s[34:35], exec
	s_or_saveexec_b64 s[36:37], s[36:37]
	v_mov_b32_e32 v30, s45
	s_xor_b64 exec, exec, s[36:37]
	s_cbranch_execz .LBB251_47
.LBB251_162:                            ;   in Loop: Header=BB251_9 Depth=1
	v_cmp_ne_u16_e64 s[0:1], 0, v2
	s_andn2_b64 s[34:35], s[34:35], exec
	s_and_b64 s[0:1], s[0:1], exec
	v_mov_b32_e32 v30, 0
	s_or_b64 s[34:35], s[34:35], s[0:1]
	s_or_b64 exec, exec, s[36:37]
	s_and_saveexec_b64 s[36:37], s[34:35]
	s_cbranch_execnz .LBB251_48
	s_branch .LBB251_49
.LBB251_163:                            ;   in Loop: Header=BB251_9 Depth=1
	v_cmp_eq_u16_sdwa s[46:47], v2, s43 src0_sel:BYTE_0 src1_sel:DWORD
	s_mov_b64 s[0:1], -1
                                        ; implicit-def: $sgpr38
	s_and_saveexec_b64 s[36:37], s[46:47]
; %bb.164:                              ;   in Loop: Header=BB251_9 Depth=1
	s_mov_b32 s38, 0x7fc02000
	s_xor_b64 s[0:1], exec, -1
; %bb.165:                              ;   in Loop: Header=BB251_9 Depth=1
	s_or_b64 exec, exec, s[36:37]
	s_and_b64 s[0:1], s[0:1], exec
	s_or_saveexec_b64 s[34:35], s[34:35]
	v_mov_b32_e32 v31, s38
	s_xor_b64 exec, exec, s[34:35]
	s_cbranch_execz .LBB251_51
.LBB251_166:                            ;   in Loop: Header=BB251_9 Depth=1
	v_cmp_ne_u16_sdwa s[36:37], v2, v3 src0_sel:BYTE_0 src1_sel:DWORD
	s_andn2_b64 s[0:1], s[0:1], exec
	s_and_b64 s[36:37], s[36:37], exec
	v_mov_b32_e32 v31, 0
	s_or_b64 s[0:1], s[0:1], s[36:37]
	s_or_b64 exec, exec, s[34:35]
	v_and_b32_e32 v2, 0xffff, v2
	s_and_saveexec_b64 s[34:35], s[0:1]
	s_cbranch_execnz .LBB251_52
	s_branch .LBB251_53
.LBB251_167:                            ;   in Loop: Header=BB251_9 Depth=1
	v_cmp_eq_u16_e64 s[0:1], s43, v2
	s_mov_b64 s[34:35], -1
                                        ; implicit-def: $sgpr45
	s_and_saveexec_b64 s[38:39], s[0:1]
; %bb.168:                              ;   in Loop: Header=BB251_9 Depth=1
	s_mov_b32 s45, 0x7fc02000
	s_xor_b64 s[34:35], exec, -1
; %bb.169:                              ;   in Loop: Header=BB251_9 Depth=1
	s_or_b64 exec, exec, s[38:39]
	s_and_b64 s[34:35], s[34:35], exec
	s_or_saveexec_b64 s[36:37], s[36:37]
	v_mov_b32_e32 v32, s45
	s_xor_b64 exec, exec, s[36:37]
	s_cbranch_execz .LBB251_55
.LBB251_170:                            ;   in Loop: Header=BB251_9 Depth=1
	v_cmp_ne_u16_e64 s[0:1], 0, v2
	s_andn2_b64 s[34:35], s[34:35], exec
	s_and_b64 s[0:1], s[0:1], exec
	v_mov_b32_e32 v32, 0
	s_or_b64 s[34:35], s[34:35], s[0:1]
	s_or_b64 exec, exec, s[36:37]
	s_and_saveexec_b64 s[36:37], s[34:35]
	s_cbranch_execnz .LBB251_56
	s_branch .LBB251_57
.LBB251_171:                            ;   in Loop: Header=BB251_9 Depth=1
	v_cmp_eq_u16_sdwa s[46:47], v2, s43 src0_sel:BYTE_0 src1_sel:DWORD
	s_mov_b64 s[0:1], -1
                                        ; implicit-def: $sgpr38
	s_and_saveexec_b64 s[36:37], s[46:47]
; %bb.172:                              ;   in Loop: Header=BB251_9 Depth=1
	s_mov_b32 s38, 0x7fc02000
	s_xor_b64 s[0:1], exec, -1
; %bb.173:                              ;   in Loop: Header=BB251_9 Depth=1
	s_or_b64 exec, exec, s[36:37]
	s_and_b64 s[0:1], s[0:1], exec
	s_or_saveexec_b64 s[34:35], s[34:35]
	v_mov_b32_e32 v33, s38
	s_xor_b64 exec, exec, s[34:35]
	s_cbranch_execz .LBB251_59
.LBB251_174:                            ;   in Loop: Header=BB251_9 Depth=1
	v_cmp_ne_u16_sdwa s[36:37], v2, v3 src0_sel:BYTE_0 src1_sel:DWORD
	s_andn2_b64 s[0:1], s[0:1], exec
	s_and_b64 s[36:37], s[36:37], exec
	v_mov_b32_e32 v33, 0
	s_or_b64 s[0:1], s[0:1], s[36:37]
	s_or_b64 exec, exec, s[34:35]
	v_and_b32_e32 v2, 0xffff, v2
	s_and_saveexec_b64 s[34:35], s[0:1]
	s_cbranch_execnz .LBB251_60
	s_branch .LBB251_61
.LBB251_175:                            ;   in Loop: Header=BB251_9 Depth=1
	v_cmp_eq_u16_e64 s[0:1], s43, v2
	s_mov_b64 s[34:35], -1
                                        ; implicit-def: $sgpr45
	s_and_saveexec_b64 s[38:39], s[0:1]
; %bb.176:                              ;   in Loop: Header=BB251_9 Depth=1
	s_mov_b32 s45, 0x7fc02000
	s_xor_b64 s[34:35], exec, -1
; %bb.177:                              ;   in Loop: Header=BB251_9 Depth=1
	s_or_b64 exec, exec, s[38:39]
	s_and_b64 s[34:35], s[34:35], exec
	s_or_saveexec_b64 s[36:37], s[36:37]
	v_mov_b32_e32 v34, s45
	s_xor_b64 exec, exec, s[36:37]
	s_cbranch_execz .LBB251_63
.LBB251_178:                            ;   in Loop: Header=BB251_9 Depth=1
	v_cmp_ne_u16_e64 s[0:1], 0, v2
	s_andn2_b64 s[34:35], s[34:35], exec
	s_and_b64 s[0:1], s[0:1], exec
	v_mov_b32_e32 v34, 0
	s_or_b64 s[34:35], s[34:35], s[0:1]
	s_or_b64 exec, exec, s[36:37]
	s_and_saveexec_b64 s[36:37], s[34:35]
	s_cbranch_execnz .LBB251_64
	s_branch .LBB251_65
.LBB251_179:                            ;   in Loop: Header=BB251_9 Depth=1
	v_cmp_eq_u16_sdwa s[46:47], v2, s43 src0_sel:BYTE_0 src1_sel:DWORD
	s_mov_b64 s[0:1], -1
                                        ; implicit-def: $sgpr38
	s_and_saveexec_b64 s[36:37], s[46:47]
; %bb.180:                              ;   in Loop: Header=BB251_9 Depth=1
	s_mov_b32 s38, 0x7fc02000
	s_xor_b64 s[0:1], exec, -1
; %bb.181:                              ;   in Loop: Header=BB251_9 Depth=1
	s_or_b64 exec, exec, s[36:37]
	s_and_b64 s[0:1], s[0:1], exec
	s_or_saveexec_b64 s[34:35], s[34:35]
	v_mov_b32_e32 v35, s38
	s_xor_b64 exec, exec, s[34:35]
	s_cbranch_execz .LBB251_67
.LBB251_182:                            ;   in Loop: Header=BB251_9 Depth=1
	v_cmp_ne_u16_sdwa s[36:37], v2, v3 src0_sel:BYTE_0 src1_sel:DWORD
	s_andn2_b64 s[0:1], s[0:1], exec
	s_and_b64 s[36:37], s[36:37], exec
	v_mov_b32_e32 v35, 0
	s_or_b64 s[0:1], s[0:1], s[36:37]
	s_or_b64 exec, exec, s[34:35]
	v_and_b32_e32 v2, 0xffff, v2
	s_and_saveexec_b64 s[34:35], s[0:1]
	s_cbranch_execnz .LBB251_68
	s_branch .LBB251_69
.LBB251_183:                            ;   in Loop: Header=BB251_9 Depth=1
	v_cmp_eq_u16_e64 s[0:1], s43, v2
	s_mov_b64 s[34:35], -1
                                        ; implicit-def: $sgpr45
	s_and_saveexec_b64 s[38:39], s[0:1]
; %bb.184:                              ;   in Loop: Header=BB251_9 Depth=1
	s_mov_b32 s45, 0x7fc02000
	s_xor_b64 s[34:35], exec, -1
; %bb.185:                              ;   in Loop: Header=BB251_9 Depth=1
	s_or_b64 exec, exec, s[38:39]
	s_and_b64 s[34:35], s[34:35], exec
	s_or_saveexec_b64 s[36:37], s[36:37]
	v_mov_b32_e32 v36, s45
	s_xor_b64 exec, exec, s[36:37]
	s_cbranch_execz .LBB251_71
.LBB251_186:                            ;   in Loop: Header=BB251_9 Depth=1
	v_cmp_ne_u16_e64 s[0:1], 0, v2
	s_andn2_b64 s[34:35], s[34:35], exec
	s_and_b64 s[0:1], s[0:1], exec
	v_mov_b32_e32 v36, 0
	s_or_b64 s[34:35], s[34:35], s[0:1]
	s_or_b64 exec, exec, s[36:37]
	s_and_saveexec_b64 s[36:37], s[34:35]
	s_cbranch_execnz .LBB251_72
	s_branch .LBB251_73
.LBB251_187:                            ;   in Loop: Header=BB251_9 Depth=1
	v_cmp_eq_u16_sdwa s[46:47], v2, s43 src0_sel:BYTE_0 src1_sel:DWORD
	s_mov_b64 s[0:1], -1
                                        ; implicit-def: $sgpr38
	s_and_saveexec_b64 s[36:37], s[46:47]
; %bb.188:                              ;   in Loop: Header=BB251_9 Depth=1
	s_mov_b32 s38, 0x7fc02000
	s_xor_b64 s[0:1], exec, -1
; %bb.189:                              ;   in Loop: Header=BB251_9 Depth=1
	s_or_b64 exec, exec, s[36:37]
	s_and_b64 s[0:1], s[0:1], exec
	s_or_saveexec_b64 s[34:35], s[34:35]
	v_mov_b32_e32 v37, s38
	s_xor_b64 exec, exec, s[34:35]
	s_cbranch_execz .LBB251_75
.LBB251_190:                            ;   in Loop: Header=BB251_9 Depth=1
	v_cmp_ne_u16_sdwa s[36:37], v2, v3 src0_sel:BYTE_0 src1_sel:DWORD
	s_andn2_b64 s[0:1], s[0:1], exec
	s_and_b64 s[36:37], s[36:37], exec
	v_mov_b32_e32 v37, 0
	s_or_b64 s[0:1], s[0:1], s[36:37]
	s_or_b64 exec, exec, s[34:35]
	v_and_b32_e32 v2, 0xffff, v2
	s_and_saveexec_b64 s[34:35], s[0:1]
	s_cbranch_execnz .LBB251_76
	s_branch .LBB251_77
.LBB251_191:                            ;   in Loop: Header=BB251_9 Depth=1
	v_cmp_eq_u16_e64 s[0:1], s43, v2
	s_mov_b64 s[34:35], -1
                                        ; implicit-def: $sgpr45
	s_and_saveexec_b64 s[38:39], s[0:1]
; %bb.192:                              ;   in Loop: Header=BB251_9 Depth=1
	s_mov_b32 s45, 0x7fc02000
	s_xor_b64 s[34:35], exec, -1
; %bb.193:                              ;   in Loop: Header=BB251_9 Depth=1
	s_or_b64 exec, exec, s[38:39]
	s_and_b64 s[34:35], s[34:35], exec
	s_or_saveexec_b64 s[36:37], s[36:37]
	v_mov_b32_e32 v38, s45
	s_xor_b64 exec, exec, s[36:37]
	s_cbranch_execz .LBB251_79
.LBB251_194:                            ;   in Loop: Header=BB251_9 Depth=1
	v_cmp_ne_u16_e64 s[0:1], 0, v2
	s_andn2_b64 s[34:35], s[34:35], exec
	s_and_b64 s[0:1], s[0:1], exec
	v_mov_b32_e32 v38, 0
	s_or_b64 s[34:35], s[34:35], s[0:1]
	s_or_b64 exec, exec, s[36:37]
	s_and_saveexec_b64 s[36:37], s[34:35]
	s_cbranch_execnz .LBB251_80
	s_branch .LBB251_81
.LBB251_195:                            ;   in Loop: Header=BB251_9 Depth=1
	v_cmp_eq_u16_sdwa s[46:47], v2, s43 src0_sel:BYTE_0 src1_sel:DWORD
	s_mov_b64 s[0:1], -1
                                        ; implicit-def: $sgpr38
	s_and_saveexec_b64 s[36:37], s[46:47]
; %bb.196:                              ;   in Loop: Header=BB251_9 Depth=1
	s_mov_b32 s38, 0x7fc02000
	s_xor_b64 s[0:1], exec, -1
; %bb.197:                              ;   in Loop: Header=BB251_9 Depth=1
	s_or_b64 exec, exec, s[36:37]
	s_and_b64 s[0:1], s[0:1], exec
	s_or_saveexec_b64 s[34:35], s[34:35]
	v_mov_b32_e32 v39, s38
	s_xor_b64 exec, exec, s[34:35]
	s_cbranch_execz .LBB251_83
.LBB251_198:                            ;   in Loop: Header=BB251_9 Depth=1
	v_cmp_ne_u16_sdwa s[36:37], v2, v3 src0_sel:BYTE_0 src1_sel:DWORD
	s_andn2_b64 s[0:1], s[0:1], exec
	s_and_b64 s[36:37], s[36:37], exec
	v_mov_b32_e32 v39, 0
	s_or_b64 s[0:1], s[0:1], s[36:37]
	s_or_b64 exec, exec, s[34:35]
	v_and_b32_e32 v2, 0xffff, v2
	s_and_saveexec_b64 s[34:35], s[0:1]
	s_cbranch_execnz .LBB251_84
	s_branch .LBB251_85
.LBB251_199:                            ;   in Loop: Header=BB251_9 Depth=1
	v_cmp_eq_u16_e64 s[0:1], s43, v2
	s_mov_b64 s[34:35], -1
                                        ; implicit-def: $sgpr45
	s_and_saveexec_b64 s[38:39], s[0:1]
; %bb.200:                              ;   in Loop: Header=BB251_9 Depth=1
	s_mov_b32 s45, 0x7fc02000
	s_xor_b64 s[34:35], exec, -1
; %bb.201:                              ;   in Loop: Header=BB251_9 Depth=1
	s_or_b64 exec, exec, s[38:39]
	s_and_b64 s[34:35], s[34:35], exec
	s_or_saveexec_b64 s[36:37], s[36:37]
	v_mov_b32_e32 v40, s45
	s_xor_b64 exec, exec, s[36:37]
	s_cbranch_execz .LBB251_87
.LBB251_202:                            ;   in Loop: Header=BB251_9 Depth=1
	v_cmp_ne_u16_e64 s[0:1], 0, v2
	s_andn2_b64 s[34:35], s[34:35], exec
	s_and_b64 s[0:1], s[0:1], exec
	v_mov_b32_e32 v40, 0
	s_or_b64 s[34:35], s[34:35], s[0:1]
	s_or_b64 exec, exec, s[36:37]
	s_and_saveexec_b64 s[36:37], s[34:35]
	s_cbranch_execnz .LBB251_88
	s_branch .LBB251_89
.LBB251_203:                            ;   in Loop: Header=BB251_9 Depth=1
	v_cmp_eq_u16_sdwa s[46:47], v2, s43 src0_sel:BYTE_0 src1_sel:DWORD
	s_mov_b64 s[0:1], -1
                                        ; implicit-def: $sgpr38
	s_and_saveexec_b64 s[36:37], s[46:47]
; %bb.204:                              ;   in Loop: Header=BB251_9 Depth=1
	s_mov_b32 s38, 0x7fc02000
	s_xor_b64 s[0:1], exec, -1
; %bb.205:                              ;   in Loop: Header=BB251_9 Depth=1
	s_or_b64 exec, exec, s[36:37]
	s_and_b64 s[0:1], s[0:1], exec
	s_or_saveexec_b64 s[34:35], s[34:35]
	v_mov_b32_e32 v41, s38
	s_xor_b64 exec, exec, s[34:35]
	s_cbranch_execz .LBB251_91
.LBB251_206:                            ;   in Loop: Header=BB251_9 Depth=1
	v_cmp_ne_u16_sdwa s[36:37], v2, v3 src0_sel:BYTE_0 src1_sel:DWORD
	s_andn2_b64 s[0:1], s[0:1], exec
	s_and_b64 s[36:37], s[36:37], exec
	v_mov_b32_e32 v41, 0
	s_or_b64 s[0:1], s[0:1], s[36:37]
	s_or_b64 exec, exec, s[34:35]
	v_and_b32_e32 v2, 0xffff, v2
	s_and_saveexec_b64 s[34:35], s[0:1]
	s_cbranch_execnz .LBB251_92
	s_branch .LBB251_93
.LBB251_207:                            ;   in Loop: Header=BB251_9 Depth=1
	v_cmp_eq_u16_e64 s[0:1], s43, v2
	s_mov_b64 s[34:35], -1
                                        ; implicit-def: $sgpr45
	s_and_saveexec_b64 s[38:39], s[0:1]
; %bb.208:                              ;   in Loop: Header=BB251_9 Depth=1
	s_mov_b32 s45, 0x7fc02000
	s_xor_b64 s[34:35], exec, -1
; %bb.209:                              ;   in Loop: Header=BB251_9 Depth=1
	s_or_b64 exec, exec, s[38:39]
	s_and_b64 s[34:35], s[34:35], exec
	s_or_saveexec_b64 s[36:37], s[36:37]
	v_mov_b32_e32 v42, s45
	s_xor_b64 exec, exec, s[36:37]
	s_cbranch_execz .LBB251_95
.LBB251_210:                            ;   in Loop: Header=BB251_9 Depth=1
	v_cmp_ne_u16_e64 s[0:1], 0, v2
	s_andn2_b64 s[34:35], s[34:35], exec
	s_and_b64 s[0:1], s[0:1], exec
	v_mov_b32_e32 v42, 0
	s_or_b64 s[34:35], s[34:35], s[0:1]
	s_or_b64 exec, exec, s[36:37]
	s_and_saveexec_b64 s[36:37], s[34:35]
	s_cbranch_execnz .LBB251_96
	s_branch .LBB251_97
.LBB251_211:                            ;   in Loop: Header=BB251_9 Depth=1
	v_cmp_eq_u16_sdwa s[46:47], v2, s43 src0_sel:BYTE_0 src1_sel:DWORD
	s_mov_b64 s[0:1], -1
                                        ; implicit-def: $sgpr38
	s_and_saveexec_b64 s[36:37], s[46:47]
; %bb.212:                              ;   in Loop: Header=BB251_9 Depth=1
	s_mov_b32 s38, 0x7fc02000
	s_xor_b64 s[0:1], exec, -1
; %bb.213:                              ;   in Loop: Header=BB251_9 Depth=1
	s_or_b64 exec, exec, s[36:37]
	s_and_b64 s[0:1], s[0:1], exec
	s_or_saveexec_b64 s[34:35], s[34:35]
	v_mov_b32_e32 v43, s38
	s_xor_b64 exec, exec, s[34:35]
	s_cbranch_execz .LBB251_99
.LBB251_214:                            ;   in Loop: Header=BB251_9 Depth=1
	v_cmp_ne_u16_sdwa s[36:37], v2, v3 src0_sel:BYTE_0 src1_sel:DWORD
	s_andn2_b64 s[0:1], s[0:1], exec
	s_and_b64 s[36:37], s[36:37], exec
	v_mov_b32_e32 v43, 0
	s_or_b64 s[0:1], s[0:1], s[36:37]
	s_or_b64 exec, exec, s[34:35]
	v_and_b32_e32 v2, 0xffff, v2
	s_and_saveexec_b64 s[34:35], s[0:1]
	s_cbranch_execnz .LBB251_100
	s_branch .LBB251_101
.LBB251_215:                            ;   in Loop: Header=BB251_9 Depth=1
	v_cmp_eq_u16_e64 s[0:1], s43, v2
	s_mov_b64 s[34:35], -1
                                        ; implicit-def: $sgpr45
	s_and_saveexec_b64 s[38:39], s[0:1]
; %bb.216:                              ;   in Loop: Header=BB251_9 Depth=1
	s_mov_b32 s45, 0x7fc02000
	s_xor_b64 s[34:35], exec, -1
; %bb.217:                              ;   in Loop: Header=BB251_9 Depth=1
	s_or_b64 exec, exec, s[38:39]
	s_and_b64 s[34:35], s[34:35], exec
	s_or_saveexec_b64 s[36:37], s[36:37]
	v_mov_b32_e32 v44, s45
	s_xor_b64 exec, exec, s[36:37]
	s_cbranch_execz .LBB251_103
.LBB251_218:                            ;   in Loop: Header=BB251_9 Depth=1
	v_cmp_ne_u16_e64 s[0:1], 0, v2
	s_andn2_b64 s[34:35], s[34:35], exec
	s_and_b64 s[0:1], s[0:1], exec
	v_mov_b32_e32 v44, 0
	s_or_b64 s[34:35], s[34:35], s[0:1]
	s_or_b64 exec, exec, s[36:37]
	s_and_saveexec_b64 s[36:37], s[34:35]
	s_cbranch_execnz .LBB251_104
	s_branch .LBB251_105
.LBB251_219:                            ;   in Loop: Header=BB251_9 Depth=1
	v_cmp_eq_u16_sdwa s[46:47], v2, s43 src0_sel:BYTE_0 src1_sel:DWORD
	s_mov_b64 s[0:1], -1
                                        ; implicit-def: $sgpr38
	s_and_saveexec_b64 s[36:37], s[46:47]
; %bb.220:                              ;   in Loop: Header=BB251_9 Depth=1
	s_mov_b32 s38, 0x7fc02000
	s_xor_b64 s[0:1], exec, -1
; %bb.221:                              ;   in Loop: Header=BB251_9 Depth=1
	s_or_b64 exec, exec, s[36:37]
	s_and_b64 s[0:1], s[0:1], exec
	s_or_saveexec_b64 s[34:35], s[34:35]
	v_mov_b32_e32 v45, s38
	s_xor_b64 exec, exec, s[34:35]
	s_cbranch_execz .LBB251_107
.LBB251_222:                            ;   in Loop: Header=BB251_9 Depth=1
	v_cmp_ne_u16_sdwa s[36:37], v2, v3 src0_sel:BYTE_0 src1_sel:DWORD
	s_andn2_b64 s[0:1], s[0:1], exec
	s_and_b64 s[36:37], s[36:37], exec
	v_mov_b32_e32 v45, 0
	s_or_b64 s[0:1], s[0:1], s[36:37]
	s_or_b64 exec, exec, s[34:35]
	v_and_b32_e32 v2, 0xffff, v2
	s_and_saveexec_b64 s[34:35], s[0:1]
	s_cbranch_execnz .LBB251_108
	s_branch .LBB251_109
.LBB251_223:                            ;   in Loop: Header=BB251_9 Depth=1
	v_cmp_eq_u16_e64 s[0:1], s43, v2
	s_mov_b64 s[34:35], -1
                                        ; implicit-def: $sgpr45
	s_and_saveexec_b64 s[38:39], s[0:1]
; %bb.224:                              ;   in Loop: Header=BB251_9 Depth=1
	s_mov_b32 s45, 0x7fc02000
	s_xor_b64 s[34:35], exec, -1
; %bb.225:                              ;   in Loop: Header=BB251_9 Depth=1
	s_or_b64 exec, exec, s[38:39]
	s_and_b64 s[34:35], s[34:35], exec
	s_or_saveexec_b64 s[36:37], s[36:37]
	v_mov_b32_e32 v46, s45
	s_xor_b64 exec, exec, s[36:37]
	s_cbranch_execz .LBB251_111
.LBB251_226:                            ;   in Loop: Header=BB251_9 Depth=1
	v_cmp_ne_u16_e64 s[0:1], 0, v2
	s_andn2_b64 s[34:35], s[34:35], exec
	s_and_b64 s[0:1], s[0:1], exec
	v_mov_b32_e32 v46, 0
	s_or_b64 s[34:35], s[34:35], s[0:1]
	s_or_b64 exec, exec, s[36:37]
	s_and_saveexec_b64 s[36:37], s[34:35]
	s_cbranch_execnz .LBB251_112
	s_branch .LBB251_113
.LBB251_227:                            ;   in Loop: Header=BB251_9 Depth=1
	v_cmp_eq_u16_sdwa s[46:47], v2, s43 src0_sel:BYTE_0 src1_sel:DWORD
	s_mov_b64 s[0:1], -1
                                        ; implicit-def: $sgpr38
	s_and_saveexec_b64 s[36:37], s[46:47]
; %bb.228:                              ;   in Loop: Header=BB251_9 Depth=1
	s_mov_b32 s38, 0x7fc02000
	s_xor_b64 s[0:1], exec, -1
; %bb.229:                              ;   in Loop: Header=BB251_9 Depth=1
	s_or_b64 exec, exec, s[36:37]
	s_and_b64 s[0:1], s[0:1], exec
	s_or_saveexec_b64 s[34:35], s[34:35]
	v_mov_b32_e32 v10, s38
	s_xor_b64 exec, exec, s[34:35]
	s_cbranch_execz .LBB251_115
.LBB251_230:                            ;   in Loop: Header=BB251_9 Depth=1
	v_cmp_ne_u16_sdwa s[36:37], v2, v3 src0_sel:BYTE_0 src1_sel:DWORD
	s_andn2_b64 s[0:1], s[0:1], exec
	s_and_b64 s[36:37], s[36:37], exec
	v_mov_b32_e32 v10, 0
	s_or_b64 s[0:1], s[0:1], s[36:37]
	s_or_b64 exec, exec, s[34:35]
	v_and_b32_e32 v2, 0xffff, v2
	s_and_saveexec_b64 s[34:35], s[0:1]
	s_cbranch_execnz .LBB251_116
	s_branch .LBB251_117
.LBB251_231:                            ;   in Loop: Header=BB251_9 Depth=1
	v_cmp_eq_u16_e64 s[0:1], s43, v2
	s_mov_b64 s[34:35], -1
                                        ; implicit-def: $sgpr45
	s_and_saveexec_b64 s[38:39], s[0:1]
; %bb.232:                              ;   in Loop: Header=BB251_9 Depth=1
	s_mov_b32 s45, 0x7fc02000
	s_xor_b64 s[34:35], exec, -1
; %bb.233:                              ;   in Loop: Header=BB251_9 Depth=1
	s_or_b64 exec, exec, s[38:39]
	s_and_b64 s[34:35], s[34:35], exec
	s_or_saveexec_b64 s[36:37], s[36:37]
	v_mov_b32_e32 v11, s45
	s_xor_b64 exec, exec, s[36:37]
	s_cbranch_execz .LBB251_119
.LBB251_234:                            ;   in Loop: Header=BB251_9 Depth=1
	v_cmp_ne_u16_e64 s[0:1], 0, v2
	s_andn2_b64 s[34:35], s[34:35], exec
	s_and_b64 s[0:1], s[0:1], exec
	v_mov_b32_e32 v11, 0
	s_or_b64 s[34:35], s[34:35], s[0:1]
	s_or_b64 exec, exec, s[36:37]
	s_and_saveexec_b64 s[36:37], s[34:35]
	s_cbranch_execnz .LBB251_120
	s_branch .LBB251_121
.LBB251_235:
	s_or_b64 exec, exec, s[14:15]
.LBB251_236:
	s_or_b64 exec, exec, s[30:31]
	v_xor_b32_e32 v3, 32, v13
	v_cmp_lt_i32_e32 vcc, v3, v2
	v_xor_b32_e32 v6, 16, v13
	v_max_f32_e32 v5, v14, v14
	v_cndmask_b32_e32 v3, v13, v3, vcc
	v_lshlrev_b32_e32 v3, 2, v3
	ds_bpermute_b32 v4, v3, v14
	v_cmp_lt_i32_e32 vcc, v6, v2
	v_xor_b32_e32 v7, 8, v13
	v_xor_b32_e32 v9, 4, v13
	s_waitcnt lgkmcnt(0)
	v_max_f32_e32 v4, v4, v4
	v_max_f32_e32 v4, v5, v4
	v_cndmask_b32_e32 v5, v13, v6, vcc
	v_lshlrev_b32_e32 v5, 2, v5
	ds_bpermute_b32 v6, v5, v4
	v_cmp_lt_i32_e32 vcc, v7, v2
	s_waitcnt lgkmcnt(0)
	v_max_f32_e32 v6, v6, v6
	v_max_f32_e32 v4, v4, v6
	v_cndmask_b32_e32 v6, v13, v7, vcc
	v_lshlrev_b32_e32 v8, 2, v6
	ds_bpermute_b32 v6, v8, v4
	v_cmp_lt_i32_e32 vcc, v9, v2
	s_waitcnt lgkmcnt(0)
	v_max_f32_e32 v6, v6, v6
	v_max_f32_e32 v7, v4, v6
	v_cndmask_b32_e32 v4, v13, v9, vcc
	v_lshlrev_b32_e32 v9, 2, v4
	ds_bpermute_b32 v10, v9, v7
	v_and_b32_e32 v4, 63, v0
	v_cmp_eq_u32_e32 vcc, 0, v4
	v_lshlrev_b32_e32 v6, 2, v1
	s_and_saveexec_b64 s[0:1], vcc
	s_cbranch_execz .LBB251_238
; %bb.237:
	s_waitcnt lgkmcnt(0)
	v_max_f32_e32 v10, v10, v10
	v_max_f32_e32 v7, v7, v7
	;; [unrolled: 1-line block ×3, first 2 shown]
	ds_write_b32 v6, v7 offset:224
.LBB251_238:
	s_or_b64 exec, exec, s[0:1]
	v_cmp_gt_u32_e64 s[0:1], 2, v4
	s_waitcnt lgkmcnt(0)
	v_mov_b32_e32 v10, 0xff7fffff
	v_lshlrev_b32_e32 v7, 2, v4
	s_barrier
	s_and_saveexec_b64 s[2:3], s[0:1]
	s_cbranch_execz .LBB251_240
; %bb.239:
	ds_read_b32 v10, v7 offset:224
.LBB251_240:
	s_or_b64 exec, exec, s[2:3]
	v_xor_b32_e32 v11, 1, v13
	v_cmp_lt_i32_e64 s[2:3], v11, v2
	v_lshlrev_b32_e32 v14, 2, v13
	s_nop 0
	v_cndmask_b32_e64 v11, v13, v11, s[2:3]
	v_lshlrev_b32_e32 v28, 2, v11
	s_waitcnt lgkmcnt(0)
	ds_bpermute_b32 v11, v28, v10
	v_max_f32_e32 v10, v10, v10
	s_lshl_b32 s2, s19, 4
	s_min_i32 s30, s2, s33
	v_cmp_gt_i32_e64 s[2:3], s30, v0
	s_waitcnt lgkmcnt(0)
	v_max_f32_e32 v11, v11, v11
	v_max_f32_e32 v11, v10, v11
	v_and_b32_e32 v10, 0xffffff00, v14
	ds_bpermute_b32 v14, v10, v11
	v_mov_b32_e32 v11, 0
	s_and_saveexec_b64 s[14:15], s[2:3]
	s_cbranch_execz .LBB251_244
; %bb.241:
	v_mov_b32_e32 v11, 0xf0
	v_lshl_add_u32 v15, v0, 2, v11
	s_mov_b64 s[28:29], 0
	v_mov_b32_e32 v11, 0
	v_mov_b32_e32 v16, v0
.LBB251_242:                            ; =>This Inner Loop Header: Depth=1
	ds_read_b32 v17, v15
	v_add_u32_e32 v16, 0x80, v16
	v_cmp_le_i32_e64 s[8:9], s30, v16
	s_or_b64 s[28:29], s[8:9], s[28:29]
	s_waitcnt lgkmcnt(0)
	v_sub_f32_e32 v17, v17, v14
	v_mul_f32_e32 v17, 0x3fb8aa3b, v17
	v_exp_f32_e32 v17, v17
	ds_write_b32 v15, v17
	v_add_f32_e32 v11, v11, v17
	v_add_u32_e32 v15, 0x200, v15
	s_andn2_b64 exec, exec, s[28:29]
	s_cbranch_execnz .LBB251_242
; %bb.243:
	s_or_b64 exec, exec, s[28:29]
.LBB251_244:
	s_or_b64 exec, exec, s[14:15]
	ds_bpermute_b32 v3, v3, v11
	s_waitcnt lgkmcnt(0)
	v_add_f32_e32 v3, v11, v3
	ds_bpermute_b32 v5, v5, v3
	s_waitcnt lgkmcnt(0)
	v_add_f32_e32 v3, v3, v5
	ds_bpermute_b32 v5, v8, v3
	v_xor_b32_e32 v8, 2, v13
	v_cmp_lt_i32_e64 s[8:9], v8, v2
	s_waitcnt lgkmcnt(0)
	v_add_f32_e32 v3, v3, v5
	ds_bpermute_b32 v5, v9, v3
	v_cndmask_b32_e64 v2, v13, v8, s[8:9]
	v_lshlrev_b32_e32 v2, 2, v2
	s_waitcnt lgkmcnt(0)
	v_add_f32_e32 v3, v3, v5
	ds_bpermute_b32 v2, v2, v3
	s_waitcnt lgkmcnt(0)
	v_add_f32_e32 v2, v3, v2
	ds_bpermute_b32 v3, v28, v2
	s_waitcnt lgkmcnt(0)
	v_add_f32_e32 v2, v2, v3
	s_and_saveexec_b64 s[8:9], vcc
	s_cbranch_execz .LBB251_246
; %bb.245:
	ds_write_b32 v6, v2 offset:232
.LBB251_246:
	s_or_b64 exec, exec, s[8:9]
	s_waitcnt lgkmcnt(0)
	s_barrier
	s_and_saveexec_b64 s[8:9], s[0:1]
	s_cbranch_execz .LBB251_248
; %bb.247:
	ds_read_b32 v2, v7 offset:232
.LBB251_248:
	s_or_b64 exec, exec, s[8:9]
	s_waitcnt lgkmcnt(0)
	ds_bpermute_b32 v3, v28, v2
	s_waitcnt lgkmcnt(0)
	v_add_f32_e32 v2, v2, v3
	ds_bpermute_b32 v2, v10, v2
	s_and_saveexec_b64 s[0:1], s[2:3]
	s_cbranch_execz .LBB251_261
; %bb.249:
	s_waitcnt lgkmcnt(0)
	v_add_f32_e32 v2, 0x358637bd, v2
	v_div_scale_f32 v3, s[2:3], v2, v2, 1.0
	v_rcp_f32_e32 v5, v3
	v_div_scale_f32 v6, vcc, 1.0, v2, 1.0
	s_movk_i32 s2, 0x7f
	v_fma_f32 v7, -v3, v5, 1.0
	v_fmac_f32_e32 v5, v7, v5
	v_mul_f32_e32 v7, v6, v5
	v_fma_f32 v8, -v3, v7, v6
	v_fmac_f32_e32 v7, v8, v5
	v_fma_f32 v3, -v3, v7, v6
	v_div_fmas_f32 v3, v3, v5, v7
	v_xad_u32 v5, v0, -1, s30
	v_div_fixup_f32 v2, v3, v2, 1.0
	v_cmp_lt_u32_e32 vcc, s2, v5
	s_mov_b64 s[8:9], -1
	v_mov_b32_e32 v3, v0
	s_and_saveexec_b64 s[2:3], vcc
	s_cbranch_execz .LBB251_258
; %bb.250:
	v_lshrrev_b32_e32 v5, 7, v5
	v_add_u32_e32 v7, -1, v5
	v_lshrrev_b32_e32 v6, 1, v7
	v_mov_b32_e32 v3, v2
	v_add_u32_e32 v6, 1, v6
	v_cmp_lt_u32_e32 vcc, 13, v7
	v_mov_b32_e32 v9, 0
	s_and_saveexec_b64 s[8:9], vcc
	s_cbranch_execz .LBB251_254
; %bb.251:
	v_mov_b32_e32 v8, 0xf0
	v_and_b32_e32 v7, -8, v6
	v_lshl_add_u32 v8, v0, 2, v8
	s_mov_b32 s28, 0
	s_mov_b64 s[14:15], 0
.LBB251_252:                            ; =>This Inner Loop Header: Depth=1
	ds_read2st64_b32 v[10:11], v8 offset1:2
	ds_read2st64_b32 v[14:15], v8 offset0:4 offset1:6
	ds_read2st64_b32 v[16:17], v8 offset0:8 offset1:10
	;; [unrolled: 1-line block ×3, first 2 shown]
	v_add_u32_e32 v7, -8, v7
	s_waitcnt lgkmcnt(3)
	v_pk_mul_f32 v[10:11], v[2:3], v[10:11]
	s_waitcnt lgkmcnt(2)
	v_pk_mul_f32 v[14:15], v[2:3], v[14:15]
	ds_write2st64_b32 v8, v10, v11 offset1:2
	ds_write2st64_b32 v8, v14, v15 offset0:4 offset1:6
	ds_read2st64_b32 v[14:15], v8 offset0:16 offset1:18
	s_waitcnt lgkmcnt(4)
	v_pk_mul_f32 v[10:11], v[2:3], v[16:17]
	ds_write2st64_b32 v8, v10, v11 offset0:8 offset1:10
	s_waitcnt lgkmcnt(4)
	v_pk_mul_f32 v[10:11], v[2:3], v[18:19]
	ds_write2st64_b32 v8, v10, v11 offset0:12 offset1:14
	ds_read2st64_b32 v[10:11], v8 offset0:20 offset1:22
	s_waitcnt lgkmcnt(3)
	v_pk_mul_f32 v[14:15], v[2:3], v[14:15]
	ds_read2st64_b32 v[16:17], v8 offset0:24 offset1:26
	ds_write2st64_b32 v8, v14, v15 offset0:16 offset1:18
	ds_read2st64_b32 v[14:15], v8 offset0:28 offset1:30
	s_waitcnt lgkmcnt(3)
	v_pk_mul_f32 v[10:11], v[2:3], v[10:11]
	ds_write2st64_b32 v8, v10, v11 offset0:20 offset1:22
	s_waitcnt lgkmcnt(3)
	v_pk_mul_f32 v[10:11], v[2:3], v[16:17]
	ds_write2st64_b32 v8, v10, v11 offset0:24 offset1:26
	s_waitcnt lgkmcnt(2)
	v_pk_mul_f32 v[10:11], v[2:3], v[14:15]
	s_add_i32 s28, s28, 16
	v_cmp_eq_u32_e32 vcc, 0, v7
	ds_write2st64_b32 v8, v10, v11 offset0:28 offset1:30
	v_add_u32_e32 v8, 0x2000, v8
	s_or_b64 s[14:15], vcc, s[14:15]
	v_mov_b32_e32 v9, s28
	s_andn2_b64 exec, exec, s[14:15]
	s_cbranch_execnz .LBB251_252
; %bb.253:
	s_or_b64 exec, exec, s[14:15]
.LBB251_254:
	s_or_b64 exec, exec, s[8:9]
	v_and_b32_e32 v6, 7, v6
	v_cmp_ne_u32_e32 vcc, 0, v6
	s_and_saveexec_b64 s[8:9], vcc
	s_cbranch_execz .LBB251_257
; %bb.255:
	v_lshlrev_b32_e32 v7, 9, v9
	v_lshlrev_b32_e32 v8, 2, v0
	s_movk_i32 s14, 0xf0
	v_add3_u32 v7, v7, v8, s14
	s_mov_b64 s[14:15], 0
.LBB251_256:                            ; =>This Inner Loop Header: Depth=1
	ds_read2st64_b32 v[8:9], v7 offset1:2
	v_add_u32_e32 v6, -1, v6
	v_cmp_eq_u32_e32 vcc, 0, v6
	s_or_b64 s[14:15], vcc, s[14:15]
	s_waitcnt lgkmcnt(0)
	v_pk_mul_f32 v[8:9], v[2:3], v[8:9]
	ds_write2st64_b32 v7, v8, v9 offset1:2
	v_add_u32_e32 v7, 0x400, v7
	s_andn2_b64 exec, exec, s[14:15]
	s_cbranch_execnz .LBB251_256
.LBB251_257:
	s_or_b64 exec, exec, s[8:9]
	v_add_u32_e32 v5, 1, v5
	v_and_b32_e32 v6, 0x3fffffe, v5
	v_cmp_ne_u32_e32 vcc, v5, v6
	v_lshl_add_u32 v3, v6, 7, v0
	s_orn2_b64 s[8:9], vcc, exec
.LBB251_258:
	s_or_b64 exec, exec, s[2:3]
	s_and_b64 exec, exec, s[8:9]
	s_cbranch_execz .LBB251_261
; %bb.259:
	v_mov_b32_e32 v5, 0xf0
	v_lshl_add_u32 v5, v3, 2, v5
	s_mov_b64 s[2:3], 0
.LBB251_260:                            ; =>This Inner Loop Header: Depth=1
	ds_read_b32 v6, v5
	v_add_u32_e32 v3, 0x80, v3
	v_cmp_le_i32_e32 vcc, s30, v3
	s_or_b64 s[2:3], vcc, s[2:3]
	s_waitcnt lgkmcnt(0)
	v_mul_f32_e32 v6, v2, v6
	ds_write_b32 v5, v6
	v_add_u32_e32 v5, 0x200, v5
	s_andn2_b64 exec, exec, s[2:3]
	s_cbranch_execnz .LBB251_260
.LBB251_261:
	s_or_b64 exec, exec, s[0:1]
	v_mov_b32_e32 v7, 0
	v_lshrrev_b32_e32 v30, 1, v4
	v_and_b32_e32 v29, 1, v0
	v_mov_b32_e32 v6, v7
	v_mov_b32_e32 v11, v7
	;; [unrolled: 1-line block ×3, first 2 shown]
	s_waitcnt lgkmcnt(0)
	s_barrier
	s_and_saveexec_b64 s[8:9], s[6:7]
	s_cbranch_execz .LBB251_531
; %bb.262:
	v_lshlrev_b32_e32 v2, 3, v0
	s_ashr_i32 s1, s12, 31
	v_and_b32_e32 v4, 8, v2
	s_add_u32 s0, s26, s12
	v_or_b32_e32 v6, 0x60, v30
	s_movk_i32 s2, 0x70
	s_addc_u32 s1, s27, s1
	s_add_i32 s26, s19, -1
	v_lshl_or_b32 v2, v30, 4, v4
	v_cmp_gt_u32_e32 vcc, s2, v6
	v_lshl_or_b32 v8, v6, 4, v4
	v_lshl_or_b32 v31, v1, 4, v4
	v_lshlrev_b32_e32 v4, 5, v29
	s_lshl_b64 s[2:3], s[24:25], 2
	v_lshl_or_b32 v4, v1, 6, v4
	s_add_u32 s2, s22, s2
	v_mov_b32_e32 v5, 0
	v_add_u32_e32 v32, 0xf0, v4
	v_and_b32_e32 v4, 60, v12
	s_addc_u32 s3, s23, s3
	s_mov_b32 s28, s13
	v_mov_b32_e32 v3, v5
	v_mov_b32_e32 v9, v5
	s_mov_b32 s27, s33
	v_lshl_add_u64 v[12:13], s[2:3], 0, v[4:5]
	s_mov_b64 s[6:7], 0
	v_mov_b64_e32 v[14:15], s[0:1]
	s_movk_i32 s29, 0x7f
	s_movk_i32 s30, 0x80
	s_mov_b32 s31, 0x8000
	s_movk_i32 s34, 0x380
	s_mov_b32 s35, 0x3020706
	s_mov_b32 s36, 0x1000504
	;; [unrolled: 1-line block ×3, first 2 shown]
	v_mov_b32_e32 v33, 0x1c00
	v_mov_b32_e32 v10, v5
	;; [unrolled: 1-line block ×5, first 2 shown]
	s_branch .LBB251_265
.LBB251_263:                            ;   in Loop: Header=BB251_265 Depth=1
	s_or_b64 exec, exec, s[2:3]
	;;#ASMSTART
	v_pk_mul_f16 v18, v37, v19;

	;;#ASMEND
	;;#ASMSTART
	v_pk_mul_f16 v4, v36, v4;

	;;#ASMEND
	;; [unrolled: 4-line block ×4, first 2 shown]
	s_nop 0
	;;#ASMSTART
	v_pk_add_f16 v4, v18, v4;

	;;#ASMEND
	s_nop 0
	;;#ASMSTART
	v_pk_add_f16 v4, v4, v17;

	;;#ASMEND
	;; [unrolled: 5-line block ×3, first 2 shown]
	s_nop 0
	v_lshrrev_b32_e32 v16, 16, v4
	v_and_b32_e32 v4, 0xffff, v4
	;;#ASMSTART
	v_cvt_f32_f16 v4, v4;
	;;#ASMEND
	;;#ASMSTART
	v_cvt_f32_f16 v16, v16;
	;;#ASMEND
	s_nop 0
	v_add_f32_e32 v4, v4, v16
	v_add_f32_e32 v7, v7, v4
.LBB251_264:                            ;   in Loop: Header=BB251_265 Depth=1
	s_or_b64 exec, exec, s[12:13]
	v_add_u32_e32 v1, 2, v1
	v_cmp_le_i32_e64 s[0:1], s19, v1
	v_add_u32_e32 v31, 32, v31
	v_add_u32_e32 v32, 0x80, v32
	s_or_b64 s[6:7], s[0:1], s[6:7]
	v_lshl_add_u64 v[12:13], v[12:13], 0, 8
	s_andn2_b64 exec, exec, s[6:7]
	s_cbranch_execz .LBB251_530
.LBB251_265:                            ; =>This Inner Loop Header: Depth=1
	ds_read2_b64 v[16:19], v32 offset1:1
	ds_read2_b64 v[22:25], v32 offset0:2 offset1:3
                                        ; implicit-def: $sgpr14
	s_waitcnt lgkmcnt(1)
	;;#ASMSTART
	v_cvt_f16_f32 v21, v16;

	;;#ASMEND
	;;#ASMSTART
	v_cvt_f16_f32 v34, v17;

	;;#ASMEND
	;; [unrolled: 4-line block ×4, first 2 shown]
	s_waitcnt lgkmcnt(0)
	;;#ASMSTART
	v_cvt_f16_f32 v38, v22;

	;;#ASMEND
	;;#ASMSTART
	v_cvt_f16_f32 v39, v23;

	;;#ASMEND
	;; [unrolled: 4-line block ×4, first 2 shown]
	global_load_dword v4, v[12:13], off
	s_waitcnt vmcnt(0)
	v_mad_i64_i32 v[16:17], s[0:1], v4, s28, v[14:15]
	v_lshl_add_u64 v[18:19], v[16:17], 0, v[2:3]
	global_load_dwordx2 v[22:23], v[18:19], off
	global_load_dword v20, v5, s[10:11]
	s_mov_b64 s[0:1], 0
	s_waitcnt vmcnt(1)
	v_cmp_gt_i16_sdwa s[2:3], v22, s29 src0_sel:BYTE_0 src1_sel:DWORD
	s_and_saveexec_b64 s[12:13], s[2:3]
	s_xor_b64 s[2:3], exec, s[12:13]
	s_cbranch_execnz .LBB251_402
; %bb.266:                              ;   in Loop: Header=BB251_265 Depth=1
	s_or_saveexec_b64 s[2:3], s[2:3]
	v_mov_b32_e32 v24, s14
	s_xor_b64 exec, exec, s[2:3]
	s_cbranch_execnz .LBB251_405
.LBB251_267:                            ;   in Loop: Header=BB251_265 Depth=1
	s_or_b64 exec, exec, s[2:3]
	s_and_saveexec_b64 s[2:3], s[0:1]
	s_cbranch_execz .LBB251_269
.LBB251_268:                            ;   in Loop: Header=BB251_265 Depth=1
	v_and_b32_e32 v4, 7, v22
	v_ffbh_u32_e32 v4, v4
	v_bfe_u32 v24, v22, 3, 4
	v_min_u32_e32 v4, 32, v4
	v_subrev_u32_e32 v25, 28, v4
	v_sub_u32_e32 v4, 29, v4
	v_cmp_eq_u32_e64 s[0:1], 0, v24
	s_nop 1
	v_cndmask_b32_e64 v4, v24, v4, s[0:1]
	v_cndmask_b32_e64 v24, 0, v25, s[0:1]
	v_lshlrev_b64 v[24:25], v24, v[22:23]
	v_lshlrev_b32_e32 v25, 8, v22
	v_lshl_add_u32 v4, v4, 10, v33
	v_lshlrev_b32_e32 v24, 7, v24
	v_and_or_b32 v4, v25, s31, v4
	v_and_or_b32 v4, v24, s34, v4
	v_cvt_f32_f16_e32 v24, v4
.LBB251_269:                            ;   in Loop: Header=BB251_265 Depth=1
	s_or_b64 exec, exec, s[2:3]
	v_lshrrev_b16_e32 v4, 8, v22
	v_cmp_lt_i16_e64 s[0:1], s29, v4
	s_mov_b64 s[2:3], 0
                                        ; implicit-def: $sgpr22
	s_and_saveexec_b64 s[12:13], s[0:1]
	s_xor_b64 s[12:13], exec, s[12:13]
	s_cbranch_execnz .LBB251_406
; %bb.270:                              ;   in Loop: Header=BB251_265 Depth=1
	s_or_saveexec_b64 s[12:13], s[12:13]
	v_mov_b32_e32 v26, s22
	s_xor_b64 exec, exec, s[12:13]
	s_cbranch_execnz .LBB251_409
.LBB251_271:                            ;   in Loop: Header=BB251_265 Depth=1
	s_or_b64 exec, exec, s[12:13]
	s_and_saveexec_b64 s[12:13], s[2:3]
	s_cbranch_execz .LBB251_273
.LBB251_272:                            ;   in Loop: Header=BB251_265 Depth=1
	v_and_b32_e32 v25, 7, v4
	v_ffbh_u32_e32 v26, v25
	v_min_u32_e32 v42, 32, v26
	v_subrev_u32_e32 v26, 28, v42
	v_bfe_u32 v37, v4, 3, 4
	v_lshlrev_b64 v[26:27], v26, v[4:5]
	v_sub_u32_e32 v27, 29, v42
	v_cmp_eq_u32_e64 s[0:1], 0, v37
	v_and_b32_e32 v26, 7, v26
	v_lshlrev_b32_e32 v4, 8, v4
	v_cndmask_b32_e64 v27, v37, v27, s[0:1]
	v_cndmask_b32_e64 v25, v25, v26, s[0:1]
	v_lshl_add_u32 v26, v27, 10, v33
	v_and_or_b32 v4, v4, s31, v26
	v_lshl_or_b32 v4, v25, 7, v4
	v_cvt_f32_f16_e32 v26, v4
.LBB251_273:                            ;   in Loop: Header=BB251_265 Depth=1
	s_or_b64 exec, exec, s[12:13]
	v_lshrrev_b32_e32 v4, 16, v22
	v_cmp_gt_i16_sdwa s[2:3], v4, s29 src0_sel:BYTE_0 src1_sel:DWORD
	s_mov_b64 s[0:1], 0
                                        ; implicit-def: $sgpr14
	s_and_saveexec_b64 s[12:13], s[2:3]
	s_xor_b64 s[2:3], exec, s[12:13]
	s_cbranch_execnz .LBB251_410
; %bb.274:                              ;   in Loop: Header=BB251_265 Depth=1
	s_or_saveexec_b64 s[2:3], s[2:3]
	v_mov_b32_e32 v25, s14
	s_xor_b64 exec, exec, s[2:3]
	s_cbranch_execnz .LBB251_413
.LBB251_275:                            ;   in Loop: Header=BB251_265 Depth=1
	s_or_b64 exec, exec, s[2:3]
	s_and_saveexec_b64 s[2:3], s[0:1]
	s_cbranch_execz .LBB251_277
.LBB251_276:                            ;   in Loop: Header=BB251_265 Depth=1
	v_bfe_u32 v25, v22, 16, 3
	v_ffbh_u32_e32 v37, v25
	v_bfe_u32 v27, v22, 19, 4
	v_min_u32_e32 v37, 32, v37
	v_subrev_u32_e32 v42, 28, v37
	v_sub_u32_e32 v37, 29, v37
	v_cmp_eq_u32_e64 s[0:1], 0, v27
	v_lshlrev_b64 v[42:43], v42, v[4:5]
	v_and_b32_e32 v42, 7, v42
	v_cndmask_b32_e64 v27, v27, v37, s[0:1]
	v_lshlrev_b32_e32 v4, 8, v4
	v_lshl_add_u32 v27, v27, 10, v33
	v_cndmask_b32_e64 v25, v25, v42, s[0:1]
	v_and_or_b32 v4, v4, s31, v27
	v_lshl_or_b32 v4, v25, 7, v4
	v_cvt_f32_f16_e32 v25, v4
.LBB251_277:                            ;   in Loop: Header=BB251_265 Depth=1
	s_or_b64 exec, exec, s[2:3]
	v_lshrrev_b32_e32 v4, 24, v22
	v_cmp_lt_i16_e64 s[0:1], s29, v4
	s_mov_b64 s[2:3], 0
                                        ; implicit-def: $sgpr22
	s_and_saveexec_b64 s[12:13], s[0:1]
	s_xor_b64 s[12:13], exec, s[12:13]
	s_cbranch_execnz .LBB251_414
; %bb.278:                              ;   in Loop: Header=BB251_265 Depth=1
	s_or_saveexec_b64 s[12:13], s[12:13]
	v_mov_b32_e32 v27, s22
	s_xor_b64 exec, exec, s[12:13]
	s_cbranch_execnz .LBB251_417
.LBB251_279:                            ;   in Loop: Header=BB251_265 Depth=1
	s_or_b64 exec, exec, s[12:13]
	s_and_saveexec_b64 s[12:13], s[2:3]
	s_cbranch_execz .LBB251_281
.LBB251_280:                            ;   in Loop: Header=BB251_265 Depth=1
	v_bfe_u32 v27, v22, 24, 3
	v_ffbh_u32_e32 v37, v27
	v_bfe_u32 v22, v22, 27, 4
	v_min_u32_e32 v37, 32, v37
	v_subrev_u32_e32 v42, 28, v37
	v_sub_u32_e32 v37, 29, v37
	v_cmp_eq_u32_e64 s[0:1], 0, v22
	v_lshlrev_b64 v[42:43], v42, v[4:5]
	v_and_b32_e32 v42, 7, v42
	v_cndmask_b32_e64 v22, v22, v37, s[0:1]
	v_lshlrev_b32_e32 v4, 8, v4
	v_lshl_add_u32 v22, v22, 10, v33
	v_cndmask_b32_e64 v27, v27, v42, s[0:1]
	v_and_or_b32 v4, v4, s31, v22
	v_lshl_or_b32 v4, v27, 7, v4
	v_cvt_f32_f16_e32 v27, v4
.LBB251_281:                            ;   in Loop: Header=BB251_265 Depth=1
	s_or_b64 exec, exec, s[12:13]
	v_cmp_gt_i16_sdwa s[2:3], v23, s29 src0_sel:BYTE_0 src1_sel:DWORD
	s_mov_b64 s[0:1], 0
                                        ; implicit-def: $sgpr14
	s_and_saveexec_b64 s[12:13], s[2:3]
	s_xor_b64 s[2:3], exec, s[12:13]
	s_cbranch_execnz .LBB251_418
; %bb.282:                              ;   in Loop: Header=BB251_265 Depth=1
	s_or_saveexec_b64 s[2:3], s[2:3]
	v_mov_b32_e32 v22, s14
	s_xor_b64 exec, exec, s[2:3]
	s_cbranch_execnz .LBB251_421
.LBB251_283:                            ;   in Loop: Header=BB251_265 Depth=1
	s_or_b64 exec, exec, s[2:3]
	v_mov_b32_e32 v4, v23
	s_and_saveexec_b64 s[2:3], s[0:1]
	s_cbranch_execz .LBB251_285
.LBB251_284:                            ;   in Loop: Header=BB251_265 Depth=1
	v_and_b32_e32 v22, 7, v23
	v_ffbh_u32_e32 v22, v22
	v_bfe_u32 v37, v23, 3, 4
	v_min_u32_e32 v22, 32, v22
	v_subrev_u32_e32 v42, 28, v22
	v_sub_u32_e32 v22, 29, v22
	v_cmp_eq_u32_e64 s[0:1], 0, v37
	s_nop 1
	v_cndmask_b32_e64 v22, v37, v22, s[0:1]
	v_cndmask_b32_e64 v37, 0, v42, s[0:1]
	v_lshlrev_b64 v[42:43], v37, v[4:5]
	v_lshlrev_b32_e32 v37, 7, v42
	v_lshlrev_b32_e32 v42, 8, v23
	v_lshl_add_u32 v22, v22, 10, v33
	v_and_or_b32 v22, v42, s31, v22
	v_and_or_b32 v22, v37, s34, v22
	v_cvt_f32_f16_e32 v22, v22
.LBB251_285:                            ;   in Loop: Header=BB251_265 Depth=1
	s_or_b64 exec, exec, s[2:3]
	v_lshrrev_b16_e32 v4, 8, v4
	v_cmp_lt_i16_e64 s[0:1], s29, v4
	s_mov_b64 s[2:3], 0
                                        ; implicit-def: $sgpr22
	s_and_saveexec_b64 s[12:13], s[0:1]
	s_xor_b64 s[12:13], exec, s[12:13]
	s_cbranch_execnz .LBB251_422
; %bb.286:                              ;   in Loop: Header=BB251_265 Depth=1
	s_or_saveexec_b64 s[12:13], s[12:13]
	v_mov_b32_e32 v37, s22
	s_xor_b64 exec, exec, s[12:13]
	s_cbranch_execnz .LBB251_425
.LBB251_287:                            ;   in Loop: Header=BB251_265 Depth=1
	s_or_b64 exec, exec, s[12:13]
	s_and_saveexec_b64 s[12:13], s[2:3]
	s_cbranch_execz .LBB251_289
.LBB251_288:                            ;   in Loop: Header=BB251_265 Depth=1
	v_and_b32_e32 v37, 7, v4
	v_ffbh_u32_e32 v42, v37
	v_min_u32_e32 v45, 32, v42
	v_subrev_u32_e32 v42, 28, v45
	v_bfe_u32 v44, v4, 3, 4
	v_lshlrev_b64 v[42:43], v42, v[4:5]
	v_sub_u32_e32 v43, 29, v45
	v_cmp_eq_u32_e64 s[0:1], 0, v44
	v_and_b32_e32 v42, 7, v42
	v_lshlrev_b32_e32 v4, 8, v4
	v_cndmask_b32_e64 v43, v44, v43, s[0:1]
	v_cndmask_b32_e64 v37, v37, v42, s[0:1]
	v_lshl_add_u32 v42, v43, 10, v33
	v_and_or_b32 v4, v4, s31, v42
	v_lshl_or_b32 v4, v37, 7, v4
	v_cvt_f32_f16_e32 v37, v4
.LBB251_289:                            ;   in Loop: Header=BB251_265 Depth=1
	s_or_b64 exec, exec, s[12:13]
	v_lshrrev_b32_e32 v4, 16, v23
	v_cmp_gt_i16_sdwa s[2:3], v4, s29 src0_sel:BYTE_0 src1_sel:DWORD
	s_mov_b64 s[0:1], 0
                                        ; implicit-def: $sgpr14
	s_and_saveexec_b64 s[12:13], s[2:3]
	s_xor_b64 s[2:3], exec, s[12:13]
	s_cbranch_execnz .LBB251_426
; %bb.290:                              ;   in Loop: Header=BB251_265 Depth=1
	s_or_saveexec_b64 s[2:3], s[2:3]
	v_mov_b32_e32 v42, s14
	s_xor_b64 exec, exec, s[2:3]
	s_cbranch_execnz .LBB251_429
.LBB251_291:                            ;   in Loop: Header=BB251_265 Depth=1
	s_or_b64 exec, exec, s[2:3]
	s_and_saveexec_b64 s[2:3], s[0:1]
	s_cbranch_execz .LBB251_293
.LBB251_292:                            ;   in Loop: Header=BB251_265 Depth=1
	v_bfe_u32 v44, v23, 16, 3
	v_ffbh_u32_e32 v42, v44
	v_min_u32_e32 v46, 32, v42
	v_subrev_u32_e32 v42, 28, v46
	v_bfe_u32 v45, v23, 19, 4
	v_lshlrev_b64 v[42:43], v42, v[4:5]
	v_sub_u32_e32 v43, 29, v46
	v_cmp_eq_u32_e64 s[0:1], 0, v45
	v_and_b32_e32 v42, 7, v42
	v_lshlrev_b32_e32 v4, 8, v4
	v_cndmask_b32_e64 v43, v45, v43, s[0:1]
	v_lshl_add_u32 v43, v43, 10, v33
	v_cndmask_b32_e64 v42, v44, v42, s[0:1]
	v_and_or_b32 v4, v4, s31, v43
	v_lshl_or_b32 v4, v42, 7, v4
	v_cvt_f32_f16_e32 v42, v4
.LBB251_293:                            ;   in Loop: Header=BB251_265 Depth=1
	s_or_b64 exec, exec, s[2:3]
	v_lshrrev_b32_e32 v4, 24, v23
	v_cmp_lt_i16_e64 s[0:1], s29, v4
	s_mov_b64 s[2:3], 0
                                        ; implicit-def: $sgpr22
	s_and_saveexec_b64 s[12:13], s[0:1]
	s_xor_b64 s[12:13], exec, s[12:13]
	s_cbranch_execnz .LBB251_430
; %bb.294:                              ;   in Loop: Header=BB251_265 Depth=1
	s_or_saveexec_b64 s[12:13], s[12:13]
	v_mov_b32_e32 v43, s22
	s_xor_b64 exec, exec, s[12:13]
	s_cbranch_execnz .LBB251_433
.LBB251_295:                            ;   in Loop: Header=BB251_265 Depth=1
	s_or_b64 exec, exec, s[12:13]
	s_and_saveexec_b64 s[12:13], s[2:3]
	s_cbranch_execz .LBB251_297
.LBB251_296:                            ;   in Loop: Header=BB251_265 Depth=1
	v_bfe_u32 v43, v23, 24, 3
	v_ffbh_u32_e32 v44, v43
	v_min_u32_e32 v46, 32, v44
	v_subrev_u32_e32 v44, 28, v46
	v_bfe_u32 v23, v23, 27, 4
	v_lshlrev_b64 v[44:45], v44, v[4:5]
	v_sub_u32_e32 v45, 29, v46
	v_cmp_eq_u32_e64 s[0:1], 0, v23
	v_and_b32_e32 v44, 7, v44
	v_lshlrev_b32_e32 v4, 8, v4
	v_cndmask_b32_e64 v23, v23, v45, s[0:1]
	v_lshl_add_u32 v23, v23, 10, v33
	v_cndmask_b32_e64 v43, v43, v44, s[0:1]
	v_and_or_b32 v4, v4, s31, v23
	v_lshl_or_b32 v4, v43, 7, v4
	v_cvt_f32_f16_e32 v43, v4
.LBB251_297:                            ;   in Loop: Header=BB251_265 Depth=1
	s_or_b64 exec, exec, s[12:13]
	s_waitcnt vmcnt(0)
	v_pk_mul_f32 v[26:27], v[20:21], v[26:27] op_sel_hi:[0,1]
	v_pk_mul_f32 v[24:25], v[20:21], v[24:25] op_sel_hi:[0,1]
	v_cvt_f16_f32_e32 v4, v27
	v_cvt_f16_f32_e32 v23, v26
	;; [unrolled: 1-line block ×4, first 2 shown]
	v_fma_mixlo_f16 v22, v20, v22, 0
	v_pack_b32_f16 v23, v23, v4
	v_cmp_eq_u32_e64 s[0:1], s26, v1
	v_pack_b32_f16 v24, v24, v25
	v_perm_b32 v4, v24, v23, s35
	v_perm_b32 v23, v24, v23, s36
	v_fma_mixlo_f16 v24, v20, v37, 0
	v_lshlrev_b32_e32 v24, 16, v24
	v_or_b32_sdwa v22, v24, v22 dst_sel:DWORD dst_unused:UNUSED_PAD src0_sel:DWORD src1_sel:WORD_0
	v_fma_mixlo_f16 v24, v20, v42, 0
	v_fma_mixlo_f16 v20, v20, v43, 0
	v_lshlrev_b32_e32 v20, 16, v20
	v_or_b32_sdwa v20, v20, v24 dst_sel:DWORD dst_unused:UNUSED_PAD src0_sel:DWORD src1_sel:WORD_0
	s_and_saveexec_b64 s[12:13], s[0:1]
	s_cbranch_execz .LBB251_299
; %bb.298:                              ;   in Loop: Header=BB251_265 Depth=1
	v_add_u32_e32 v25, 1, v31
	v_lshrrev_b32_e32 v26, 16, v23
	v_cmp_gt_i32_e64 s[2:3], s27, v25
	v_lshrrev_b32_e32 v27, 16, v4
	v_lshrrev_b32_e32 v20, 16, v20
	v_cndmask_b32_e64 v25, 0, v26, s[2:3]
	v_cmp_gt_i32_e64 s[2:3], s33, v31
	v_or_b32_e32 v26, 2, v31
	s_nop 0
	v_cndmask_b32_e64 v23, 0, v23, s[2:3]
	v_perm_b32 v23, v25, v23, s37
	v_or_b32_e32 v25, 3, v31
	v_cmp_gt_i32_e64 s[2:3], s27, v25
	s_nop 1
	v_cndmask_b32_e64 v25, 0, v27, s[2:3]
	v_cmp_gt_i32_e64 s[2:3], s33, v26
	v_or_b32_e32 v26, 4, v31
	v_lshrrev_b32_e32 v27, 16, v22
	v_cndmask_b32_e64 v4, 0, v4, s[2:3]
	v_perm_b32 v4, v25, v4, s37
	v_or_b32_e32 v25, 5, v31
	v_cmp_gt_i32_e64 s[2:3], s27, v25
	s_nop 1
	v_cndmask_b32_e64 v25, 0, v27, s[2:3]
	v_cmp_gt_i32_e64 s[2:3], s33, v26
	v_or_b32_e32 v26, 6, v31
	s_nop 0
	v_cndmask_b32_e64 v22, 0, v22, s[2:3]
	v_perm_b32 v22, v25, v22, s37
	v_or_b32_e32 v25, 7, v31
	v_cmp_gt_i32_e64 s[2:3], s27, v25
	s_nop 1
	v_cndmask_b32_e64 v20, 0, v20, s[2:3]
	v_cmp_gt_i32_e64 s[2:3], s33, v26
	s_nop 1
	v_cndmask_b32_e64 v24, 0, v24, s[2:3]
	v_perm_b32 v20, v20, v24, s37
.LBB251_299:                            ;   in Loop: Header=BB251_265 Depth=1
	s_or_b64 exec, exec, s[12:13]
	v_and_b32_e32 v21, 0xffff, v21
	v_lshl_or_b32 v37, v34, 16, v21
	v_and_b32_e32 v21, 0xffff, v35
	v_lshl_or_b32 v36, v36, 16, v21
	;; [unrolled: 2-line block ×4, first 2 shown]
	;;#ASMSTART
	v_pk_mul_f16 v21, v37, v23;

	;;#ASMEND
	;;#ASMSTART
	v_pk_mul_f16 v4, v36, v4;

	;;#ASMEND
	;; [unrolled: 4-line block ×4, first 2 shown]
	s_mov_b64 s[2:3], 0
	;;#ASMSTART
	v_pk_add_f16 v4, v21, v4;

	;;#ASMEND
                                        ; implicit-def: $sgpr22
	s_nop 0
	;;#ASMSTART
	v_pk_add_f16 v4, v4, v22;

	;;#ASMEND
	s_nop 0
	;;#ASMSTART
	v_pk_add_f16 v4, v4, v20;

	;;#ASMEND
	s_nop 0
	v_lshrrev_b32_e32 v20, 16, v4
	v_and_b32_e32 v4, 0xffff, v4
	;;#ASMSTART
	v_cvt_f32_f16 v21, v4;
	;;#ASMEND
	;;#ASMSTART
	v_cvt_f32_f16 v38, v20;
	;;#ASMEND
	global_load_dwordx2 v[22:23], v[18:19], off offset:512
	global_load_dword v20, v5, s[10:11]
	s_waitcnt vmcnt(1)
	v_cmp_gt_i16_sdwa s[12:13], v22, s29 src0_sel:BYTE_0 src1_sel:DWORD
	s_and_saveexec_b64 s[14:15], s[12:13]
	s_xor_b64 s[12:13], exec, s[14:15]
	s_cbranch_execnz .LBB251_434
; %bb.300:                              ;   in Loop: Header=BB251_265 Depth=1
	s_or_saveexec_b64 s[12:13], s[12:13]
	v_mov_b32_e32 v24, s22
	s_xor_b64 exec, exec, s[12:13]
	s_cbranch_execnz .LBB251_437
.LBB251_301:                            ;   in Loop: Header=BB251_265 Depth=1
	s_or_b64 exec, exec, s[12:13]
	s_and_saveexec_b64 s[12:13], s[2:3]
	s_cbranch_execz .LBB251_303
.LBB251_302:                            ;   in Loop: Header=BB251_265 Depth=1
	v_and_b32_e32 v4, 7, v22
	v_ffbh_u32_e32 v4, v4
	v_bfe_u32 v24, v22, 3, 4
	v_min_u32_e32 v4, 32, v4
	v_subrev_u32_e32 v25, 28, v4
	v_sub_u32_e32 v4, 29, v4
	v_cmp_eq_u32_e64 s[2:3], 0, v24
	s_nop 1
	v_cndmask_b32_e64 v4, v24, v4, s[2:3]
	v_cndmask_b32_e64 v24, 0, v25, s[2:3]
	v_lshlrev_b64 v[24:25], v24, v[22:23]
	v_lshlrev_b32_e32 v25, 8, v22
	v_lshl_add_u32 v4, v4, 10, v33
	v_lshlrev_b32_e32 v24, 7, v24
	v_and_or_b32 v4, v25, s31, v4
	v_and_or_b32 v4, v24, s34, v4
	v_cvt_f32_f16_e32 v24, v4
.LBB251_303:                            ;   in Loop: Header=BB251_265 Depth=1
	s_or_b64 exec, exec, s[12:13]
	v_lshrrev_b16_e32 v4, 8, v22
	v_cmp_lt_i16_e64 s[2:3], s29, v4
	s_mov_b64 s[12:13], 0
                                        ; implicit-def: $sgpr24
	s_and_saveexec_b64 s[14:15], s[2:3]
	s_xor_b64 s[14:15], exec, s[14:15]
	s_cbranch_execnz .LBB251_438
; %bb.304:                              ;   in Loop: Header=BB251_265 Depth=1
	s_or_saveexec_b64 s[14:15], s[14:15]
	v_mov_b32_e32 v26, s24
	s_xor_b64 exec, exec, s[14:15]
	s_cbranch_execnz .LBB251_441
.LBB251_305:                            ;   in Loop: Header=BB251_265 Depth=1
	s_or_b64 exec, exec, s[14:15]
	s_and_saveexec_b64 s[14:15], s[12:13]
	s_cbranch_execz .LBB251_307
.LBB251_306:                            ;   in Loop: Header=BB251_265 Depth=1
	v_and_b32_e32 v25, 7, v4
	v_ffbh_u32_e32 v26, v25
	v_min_u32_e32 v40, 32, v26
	v_subrev_u32_e32 v26, 28, v40
	v_bfe_u32 v39, v4, 3, 4
	v_lshlrev_b64 v[26:27], v26, v[4:5]
	v_sub_u32_e32 v27, 29, v40
	v_cmp_eq_u32_e64 s[2:3], 0, v39
	v_and_b32_e32 v26, 7, v26
	v_lshlrev_b32_e32 v4, 8, v4
	v_cndmask_b32_e64 v27, v39, v27, s[2:3]
	v_cndmask_b32_e64 v25, v25, v26, s[2:3]
	v_lshl_add_u32 v26, v27, 10, v33
	v_and_or_b32 v4, v4, s31, v26
	v_lshl_or_b32 v4, v25, 7, v4
	v_cvt_f32_f16_e32 v26, v4
.LBB251_307:                            ;   in Loop: Header=BB251_265 Depth=1
	s_or_b64 exec, exec, s[14:15]
	v_lshrrev_b32_e32 v4, 16, v22
	v_cmp_gt_i16_sdwa s[12:13], v4, s29 src0_sel:BYTE_0 src1_sel:DWORD
	s_mov_b64 s[2:3], 0
                                        ; implicit-def: $sgpr22
	s_and_saveexec_b64 s[14:15], s[12:13]
	s_xor_b64 s[12:13], exec, s[14:15]
	s_cbranch_execnz .LBB251_442
; %bb.308:                              ;   in Loop: Header=BB251_265 Depth=1
	s_or_saveexec_b64 s[12:13], s[12:13]
	v_mov_b32_e32 v25, s22
	s_xor_b64 exec, exec, s[12:13]
	s_cbranch_execnz .LBB251_445
.LBB251_309:                            ;   in Loop: Header=BB251_265 Depth=1
	s_or_b64 exec, exec, s[12:13]
	s_and_saveexec_b64 s[12:13], s[2:3]
	s_cbranch_execz .LBB251_311
.LBB251_310:                            ;   in Loop: Header=BB251_265 Depth=1
	v_bfe_u32 v25, v22, 16, 3
	v_ffbh_u32_e32 v39, v25
	v_bfe_u32 v27, v22, 19, 4
	v_min_u32_e32 v39, 32, v39
	v_subrev_u32_e32 v40, 28, v39
	v_sub_u32_e32 v39, 29, v39
	v_cmp_eq_u32_e64 s[2:3], 0, v27
	v_lshlrev_b64 v[40:41], v40, v[4:5]
	v_and_b32_e32 v40, 7, v40
	v_cndmask_b32_e64 v27, v27, v39, s[2:3]
	v_lshlrev_b32_e32 v4, 8, v4
	v_lshl_add_u32 v27, v27, 10, v33
	v_cndmask_b32_e64 v25, v25, v40, s[2:3]
	v_and_or_b32 v4, v4, s31, v27
	v_lshl_or_b32 v4, v25, 7, v4
	v_cvt_f32_f16_e32 v25, v4
.LBB251_311:                            ;   in Loop: Header=BB251_265 Depth=1
	s_or_b64 exec, exec, s[12:13]
	v_lshrrev_b32_e32 v4, 24, v22
	v_cmp_lt_i16_e64 s[2:3], s29, v4
	s_mov_b64 s[12:13], 0
                                        ; implicit-def: $sgpr24
	s_and_saveexec_b64 s[14:15], s[2:3]
	s_xor_b64 s[14:15], exec, s[14:15]
	s_cbranch_execnz .LBB251_446
; %bb.312:                              ;   in Loop: Header=BB251_265 Depth=1
	s_or_saveexec_b64 s[14:15], s[14:15]
	v_mov_b32_e32 v27, s24
	s_xor_b64 exec, exec, s[14:15]
	s_cbranch_execnz .LBB251_449
.LBB251_313:                            ;   in Loop: Header=BB251_265 Depth=1
	s_or_b64 exec, exec, s[14:15]
	s_and_saveexec_b64 s[14:15], s[12:13]
	s_cbranch_execz .LBB251_315
.LBB251_314:                            ;   in Loop: Header=BB251_265 Depth=1
	v_bfe_u32 v27, v22, 24, 3
	v_ffbh_u32_e32 v39, v27
	v_bfe_u32 v22, v22, 27, 4
	v_min_u32_e32 v39, 32, v39
	v_subrev_u32_e32 v40, 28, v39
	v_sub_u32_e32 v39, 29, v39
	v_cmp_eq_u32_e64 s[2:3], 0, v22
	v_lshlrev_b64 v[40:41], v40, v[4:5]
	v_and_b32_e32 v40, 7, v40
	v_cndmask_b32_e64 v22, v22, v39, s[2:3]
	v_lshlrev_b32_e32 v4, 8, v4
	v_lshl_add_u32 v22, v22, 10, v33
	v_cndmask_b32_e64 v27, v27, v40, s[2:3]
	v_and_or_b32 v4, v4, s31, v22
	v_lshl_or_b32 v4, v27, 7, v4
	v_cvt_f32_f16_e32 v27, v4
.LBB251_315:                            ;   in Loop: Header=BB251_265 Depth=1
	s_or_b64 exec, exec, s[14:15]
	v_cmp_gt_i16_sdwa s[12:13], v23, s29 src0_sel:BYTE_0 src1_sel:DWORD
	s_mov_b64 s[2:3], 0
                                        ; implicit-def: $sgpr22
	s_and_saveexec_b64 s[14:15], s[12:13]
	s_xor_b64 s[12:13], exec, s[14:15]
	s_cbranch_execnz .LBB251_450
; %bb.316:                              ;   in Loop: Header=BB251_265 Depth=1
	s_or_saveexec_b64 s[12:13], s[12:13]
	v_mov_b32_e32 v22, s22
	s_xor_b64 exec, exec, s[12:13]
	s_cbranch_execnz .LBB251_453
.LBB251_317:                            ;   in Loop: Header=BB251_265 Depth=1
	s_or_b64 exec, exec, s[12:13]
	v_mov_b32_e32 v4, v23
	s_and_saveexec_b64 s[12:13], s[2:3]
	s_cbranch_execz .LBB251_319
.LBB251_318:                            ;   in Loop: Header=BB251_265 Depth=1
	v_and_b32_e32 v22, 7, v23
	v_ffbh_u32_e32 v22, v22
	v_bfe_u32 v39, v23, 3, 4
	v_min_u32_e32 v22, 32, v22
	v_subrev_u32_e32 v40, 28, v22
	v_sub_u32_e32 v22, 29, v22
	v_cmp_eq_u32_e64 s[2:3], 0, v39
	s_nop 1
	v_cndmask_b32_e64 v22, v39, v22, s[2:3]
	v_cndmask_b32_e64 v39, 0, v40, s[2:3]
	v_lshlrev_b64 v[40:41], v39, v[4:5]
	v_lshlrev_b32_e32 v39, 7, v40
	v_lshlrev_b32_e32 v40, 8, v23
	v_lshl_add_u32 v22, v22, 10, v33
	v_and_or_b32 v22, v40, s31, v22
	v_and_or_b32 v22, v39, s34, v22
	v_cvt_f32_f16_e32 v22, v22
.LBB251_319:                            ;   in Loop: Header=BB251_265 Depth=1
	s_or_b64 exec, exec, s[12:13]
	v_lshrrev_b16_e32 v4, 8, v4
	v_cmp_lt_i16_e64 s[2:3], s29, v4
	s_mov_b64 s[12:13], 0
                                        ; implicit-def: $sgpr24
	s_and_saveexec_b64 s[14:15], s[2:3]
	s_xor_b64 s[14:15], exec, s[14:15]
	s_cbranch_execnz .LBB251_454
; %bb.320:                              ;   in Loop: Header=BB251_265 Depth=1
	s_or_saveexec_b64 s[14:15], s[14:15]
	v_mov_b32_e32 v39, s24
	s_xor_b64 exec, exec, s[14:15]
	s_cbranch_execnz .LBB251_457
.LBB251_321:                            ;   in Loop: Header=BB251_265 Depth=1
	s_or_b64 exec, exec, s[14:15]
	s_and_saveexec_b64 s[14:15], s[12:13]
	s_cbranch_execz .LBB251_323
.LBB251_322:                            ;   in Loop: Header=BB251_265 Depth=1
	v_and_b32_e32 v39, 7, v4
	v_ffbh_u32_e32 v40, v39
	v_min_u32_e32 v43, 32, v40
	v_subrev_u32_e32 v40, 28, v43
	v_bfe_u32 v42, v4, 3, 4
	v_lshlrev_b64 v[40:41], v40, v[4:5]
	v_sub_u32_e32 v41, 29, v43
	v_cmp_eq_u32_e64 s[2:3], 0, v42
	v_and_b32_e32 v40, 7, v40
	v_lshlrev_b32_e32 v4, 8, v4
	v_cndmask_b32_e64 v41, v42, v41, s[2:3]
	v_cndmask_b32_e64 v39, v39, v40, s[2:3]
	v_lshl_add_u32 v40, v41, 10, v33
	v_and_or_b32 v4, v4, s31, v40
	v_lshl_or_b32 v4, v39, 7, v4
	v_cvt_f32_f16_e32 v39, v4
.LBB251_323:                            ;   in Loop: Header=BB251_265 Depth=1
	s_or_b64 exec, exec, s[14:15]
	v_lshrrev_b32_e32 v4, 16, v23
	v_cmp_gt_i16_sdwa s[12:13], v4, s29 src0_sel:BYTE_0 src1_sel:DWORD
	s_mov_b64 s[2:3], 0
                                        ; implicit-def: $sgpr22
	s_and_saveexec_b64 s[14:15], s[12:13]
	s_xor_b64 s[12:13], exec, s[14:15]
	s_cbranch_execnz .LBB251_458
; %bb.324:                              ;   in Loop: Header=BB251_265 Depth=1
	s_or_saveexec_b64 s[12:13], s[12:13]
	v_mov_b32_e32 v40, s22
	s_xor_b64 exec, exec, s[12:13]
	s_cbranch_execnz .LBB251_461
.LBB251_325:                            ;   in Loop: Header=BB251_265 Depth=1
	s_or_b64 exec, exec, s[12:13]
	s_and_saveexec_b64 s[12:13], s[2:3]
	s_cbranch_execz .LBB251_327
.LBB251_326:                            ;   in Loop: Header=BB251_265 Depth=1
	v_bfe_u32 v42, v23, 16, 3
	v_ffbh_u32_e32 v40, v42
	v_min_u32_e32 v44, 32, v40
	v_subrev_u32_e32 v40, 28, v44
	v_bfe_u32 v43, v23, 19, 4
	v_lshlrev_b64 v[40:41], v40, v[4:5]
	v_sub_u32_e32 v41, 29, v44
	v_cmp_eq_u32_e64 s[2:3], 0, v43
	v_and_b32_e32 v40, 7, v40
	v_lshlrev_b32_e32 v4, 8, v4
	v_cndmask_b32_e64 v41, v43, v41, s[2:3]
	v_lshl_add_u32 v41, v41, 10, v33
	v_cndmask_b32_e64 v40, v42, v40, s[2:3]
	v_and_or_b32 v4, v4, s31, v41
	v_lshl_or_b32 v4, v40, 7, v4
	v_cvt_f32_f16_e32 v40, v4
.LBB251_327:                            ;   in Loop: Header=BB251_265 Depth=1
	s_or_b64 exec, exec, s[12:13]
	v_lshrrev_b32_e32 v4, 24, v23
	v_cmp_lt_i16_e64 s[2:3], s29, v4
	s_mov_b64 s[12:13], 0
                                        ; implicit-def: $sgpr24
	s_and_saveexec_b64 s[14:15], s[2:3]
	s_xor_b64 s[14:15], exec, s[14:15]
	s_cbranch_execnz .LBB251_462
; %bb.328:                              ;   in Loop: Header=BB251_265 Depth=1
	s_or_saveexec_b64 s[14:15], s[14:15]
	v_mov_b32_e32 v41, s24
	s_xor_b64 exec, exec, s[14:15]
	s_cbranch_execnz .LBB251_465
.LBB251_329:                            ;   in Loop: Header=BB251_265 Depth=1
	s_or_b64 exec, exec, s[14:15]
	s_and_saveexec_b64 s[14:15], s[12:13]
	s_cbranch_execz .LBB251_331
.LBB251_330:                            ;   in Loop: Header=BB251_265 Depth=1
	v_bfe_u32 v41, v23, 24, 3
	v_ffbh_u32_e32 v42, v41
	v_min_u32_e32 v44, 32, v42
	v_subrev_u32_e32 v42, 28, v44
	v_bfe_u32 v23, v23, 27, 4
	v_lshlrev_b64 v[42:43], v42, v[4:5]
	v_sub_u32_e32 v43, 29, v44
	v_cmp_eq_u32_e64 s[2:3], 0, v23
	v_and_b32_e32 v42, 7, v42
	v_lshlrev_b32_e32 v4, 8, v4
	v_cndmask_b32_e64 v23, v23, v43, s[2:3]
	v_lshl_add_u32 v23, v23, 10, v33
	v_cndmask_b32_e64 v41, v41, v42, s[2:3]
	v_and_or_b32 v4, v4, s31, v23
	v_lshl_or_b32 v4, v41, 7, v4
	v_cvt_f32_f16_e32 v41, v4
.LBB251_331:                            ;   in Loop: Header=BB251_265 Depth=1
	s_or_b64 exec, exec, s[14:15]
	s_waitcnt vmcnt(0)
	v_pk_mul_f32 v[26:27], v[20:21], v[26:27] op_sel_hi:[0,1]
	v_pk_mul_f32 v[24:25], v[20:21], v[24:25] op_sel_hi:[0,1]
	v_cvt_f16_f32_e32 v4, v27
	v_cvt_f16_f32_e32 v23, v26
	;; [unrolled: 1-line block ×4, first 2 shown]
	v_fma_mixlo_f16 v22, v20, v22, 0
	v_pack_b32_f16 v23, v23, v4
	v_pack_b32_f16 v24, v24, v25
	v_perm_b32 v4, v24, v23, s35
	v_perm_b32 v23, v24, v23, s36
	v_fma_mixlo_f16 v24, v20, v39, 0
	v_lshlrev_b32_e32 v24, 16, v24
	v_or_b32_sdwa v22, v24, v22 dst_sel:DWORD dst_unused:UNUSED_PAD src0_sel:DWORD src1_sel:WORD_0
	v_fma_mixlo_f16 v24, v20, v40, 0
	v_fma_mixlo_f16 v20, v20, v41, 0
	v_lshlrev_b32_e32 v20, 16, v20
	v_or_b32_sdwa v20, v20, v24 dst_sel:DWORD dst_unused:UNUSED_PAD src0_sel:DWORD src1_sel:WORD_0
	s_and_saveexec_b64 s[12:13], s[0:1]
	s_cbranch_execz .LBB251_333
; %bb.332:                              ;   in Loop: Header=BB251_265 Depth=1
	v_add_u32_e32 v25, 1, v31
	v_lshrrev_b32_e32 v26, 16, v23
	v_cmp_gt_i32_e64 s[2:3], s27, v25
	v_lshrrev_b32_e32 v27, 16, v4
	v_lshrrev_b32_e32 v20, 16, v20
	v_cndmask_b32_e64 v25, 0, v26, s[2:3]
	v_cmp_gt_i32_e64 s[2:3], s33, v31
	v_or_b32_e32 v26, 2, v31
	s_nop 0
	v_cndmask_b32_e64 v23, 0, v23, s[2:3]
	v_perm_b32 v23, v25, v23, s37
	v_or_b32_e32 v25, 3, v31
	v_cmp_gt_i32_e64 s[2:3], s27, v25
	s_nop 1
	v_cndmask_b32_e64 v25, 0, v27, s[2:3]
	v_cmp_gt_i32_e64 s[2:3], s33, v26
	v_or_b32_e32 v26, 4, v31
	v_lshrrev_b32_e32 v27, 16, v22
	v_cndmask_b32_e64 v4, 0, v4, s[2:3]
	v_perm_b32 v4, v25, v4, s37
	v_or_b32_e32 v25, 5, v31
	v_cmp_gt_i32_e64 s[2:3], s27, v25
	s_nop 1
	v_cndmask_b32_e64 v25, 0, v27, s[2:3]
	v_cmp_gt_i32_e64 s[2:3], s33, v26
	v_or_b32_e32 v26, 6, v31
	s_nop 0
	v_cndmask_b32_e64 v22, 0, v22, s[2:3]
	v_perm_b32 v22, v25, v22, s37
	v_or_b32_e32 v25, 7, v31
	v_cmp_gt_i32_e64 s[2:3], s27, v25
	s_nop 1
	v_cndmask_b32_e64 v20, 0, v20, s[2:3]
	v_cmp_gt_i32_e64 s[2:3], s33, v26
	s_nop 1
	v_cndmask_b32_e64 v24, 0, v24, s[2:3]
	v_perm_b32 v20, v20, v24, s37
.LBB251_333:                            ;   in Loop: Header=BB251_265 Depth=1
	s_or_b64 exec, exec, s[12:13]
	;;#ASMSTART
	v_pk_mul_f16 v23, v37, v23;

	;;#ASMEND
	;;#ASMSTART
	v_pk_mul_f16 v4, v36, v4;

	;;#ASMEND
	;; [unrolled: 4-line block ×4, first 2 shown]
	s_mov_b64 s[2:3], 0
	;;#ASMSTART
	v_pk_add_f16 v4, v23, v4;

	;;#ASMEND
                                        ; implicit-def: $sgpr22
	s_nop 0
	;;#ASMSTART
	v_pk_add_f16 v4, v4, v22;

	;;#ASMEND
	s_nop 0
	;;#ASMSTART
	v_pk_add_f16 v4, v4, v20;

	;;#ASMEND
	s_nop 0
	v_lshrrev_b32_e32 v20, 16, v4
	v_and_b32_e32 v4, 0xffff, v4
	;;#ASMSTART
	v_cvt_f32_f16 v26, v4;
	;;#ASMEND
	;;#ASMSTART
	v_cvt_f32_f16 v27, v20;
	;;#ASMEND
	global_load_dwordx2 v[22:23], v[18:19], off offset:1024
	global_load_dword v20, v5, s[10:11]
	s_waitcnt vmcnt(1)
	v_cmp_gt_i16_sdwa s[12:13], v22, s29 src0_sel:BYTE_0 src1_sel:DWORD
	s_and_saveexec_b64 s[14:15], s[12:13]
	s_xor_b64 s[12:13], exec, s[14:15]
	s_cbranch_execnz .LBB251_466
; %bb.334:                              ;   in Loop: Header=BB251_265 Depth=1
	s_or_saveexec_b64 s[12:13], s[12:13]
	v_mov_b32_e32 v18, s22
	s_xor_b64 exec, exec, s[12:13]
	s_cbranch_execnz .LBB251_469
.LBB251_335:                            ;   in Loop: Header=BB251_265 Depth=1
	s_or_b64 exec, exec, s[12:13]
	s_and_saveexec_b64 s[12:13], s[2:3]
	s_cbranch_execz .LBB251_337
.LBB251_336:                            ;   in Loop: Header=BB251_265 Depth=1
	v_and_b32_e32 v4, 7, v22
	v_ffbh_u32_e32 v4, v4
	v_bfe_u32 v18, v22, 3, 4
	v_min_u32_e32 v4, 32, v4
	v_subrev_u32_e32 v19, 28, v4
	v_sub_u32_e32 v4, 29, v4
	v_cmp_eq_u32_e64 s[2:3], 0, v18
	s_nop 1
	v_cndmask_b32_e64 v4, v18, v4, s[2:3]
	v_cndmask_b32_e64 v18, 0, v19, s[2:3]
	v_lshlrev_b64 v[18:19], v18, v[22:23]
	v_lshlrev_b32_e32 v19, 8, v22
	v_lshl_add_u32 v4, v4, 10, v33
	v_lshlrev_b32_e32 v18, 7, v18
	v_and_or_b32 v4, v19, s31, v4
	v_and_or_b32 v4, v18, s34, v4
	v_cvt_f32_f16_e32 v18, v4
.LBB251_337:                            ;   in Loop: Header=BB251_265 Depth=1
	s_or_b64 exec, exec, s[12:13]
	v_lshrrev_b16_e32 v4, 8, v22
	v_cmp_lt_i16_e64 s[2:3], s29, v4
	s_mov_b64 s[12:13], 0
                                        ; implicit-def: $sgpr24
	s_and_saveexec_b64 s[14:15], s[2:3]
	s_xor_b64 s[14:15], exec, s[14:15]
	s_cbranch_execnz .LBB251_470
; %bb.338:                              ;   in Loop: Header=BB251_265 Depth=1
	s_or_saveexec_b64 s[14:15], s[14:15]
	v_mov_b32_e32 v24, s24
	s_xor_b64 exec, exec, s[14:15]
	s_cbranch_execnz .LBB251_473
.LBB251_339:                            ;   in Loop: Header=BB251_265 Depth=1
	s_or_b64 exec, exec, s[14:15]
	s_and_saveexec_b64 s[14:15], s[12:13]
	s_cbranch_execz .LBB251_341
.LBB251_340:                            ;   in Loop: Header=BB251_265 Depth=1
	v_and_b32_e32 v19, 7, v4
	v_ffbh_u32_e32 v24, v19
	v_min_u32_e32 v40, 32, v24
	v_subrev_u32_e32 v24, 28, v40
	v_bfe_u32 v39, v4, 3, 4
	v_lshlrev_b64 v[24:25], v24, v[4:5]
	v_sub_u32_e32 v25, 29, v40
	v_cmp_eq_u32_e64 s[2:3], 0, v39
	v_and_b32_e32 v24, 7, v24
	v_lshlrev_b32_e32 v4, 8, v4
	v_cndmask_b32_e64 v25, v39, v25, s[2:3]
	v_cndmask_b32_e64 v19, v19, v24, s[2:3]
	v_lshl_add_u32 v24, v25, 10, v33
	v_and_or_b32 v4, v4, s31, v24
	v_lshl_or_b32 v4, v19, 7, v4
	v_cvt_f32_f16_e32 v24, v4
.LBB251_341:                            ;   in Loop: Header=BB251_265 Depth=1
	s_or_b64 exec, exec, s[14:15]
	v_lshrrev_b32_e32 v4, 16, v22
	v_cmp_gt_i16_sdwa s[12:13], v4, s29 src0_sel:BYTE_0 src1_sel:DWORD
	s_mov_b64 s[2:3], 0
                                        ; implicit-def: $sgpr22
	s_and_saveexec_b64 s[14:15], s[12:13]
	s_xor_b64 s[12:13], exec, s[14:15]
	s_cbranch_execnz .LBB251_474
; %bb.342:                              ;   in Loop: Header=BB251_265 Depth=1
	s_or_saveexec_b64 s[12:13], s[12:13]
	v_mov_b32_e32 v19, s22
	s_xor_b64 exec, exec, s[12:13]
	s_cbranch_execnz .LBB251_477
.LBB251_343:                            ;   in Loop: Header=BB251_265 Depth=1
	s_or_b64 exec, exec, s[12:13]
	s_and_saveexec_b64 s[12:13], s[2:3]
	s_cbranch_execz .LBB251_345
.LBB251_344:                            ;   in Loop: Header=BB251_265 Depth=1
	v_bfe_u32 v19, v22, 16, 3
	v_ffbh_u32_e32 v39, v19
	v_bfe_u32 v25, v22, 19, 4
	v_min_u32_e32 v39, 32, v39
	v_subrev_u32_e32 v40, 28, v39
	v_sub_u32_e32 v39, 29, v39
	v_cmp_eq_u32_e64 s[2:3], 0, v25
	v_lshlrev_b64 v[40:41], v40, v[4:5]
	v_and_b32_e32 v40, 7, v40
	v_cndmask_b32_e64 v25, v25, v39, s[2:3]
	v_lshlrev_b32_e32 v4, 8, v4
	v_lshl_add_u32 v25, v25, 10, v33
	v_cndmask_b32_e64 v19, v19, v40, s[2:3]
	v_and_or_b32 v4, v4, s31, v25
	v_lshl_or_b32 v4, v19, 7, v4
	v_cvt_f32_f16_e32 v19, v4
.LBB251_345:                            ;   in Loop: Header=BB251_265 Depth=1
	s_or_b64 exec, exec, s[12:13]
	v_lshrrev_b32_e32 v4, 24, v22
	v_cmp_lt_i16_e64 s[2:3], s29, v4
	s_mov_b64 s[12:13], 0
                                        ; implicit-def: $sgpr24
	s_and_saveexec_b64 s[14:15], s[2:3]
	s_xor_b64 s[14:15], exec, s[14:15]
	s_cbranch_execnz .LBB251_478
; %bb.346:                              ;   in Loop: Header=BB251_265 Depth=1
	s_or_saveexec_b64 s[14:15], s[14:15]
	v_mov_b32_e32 v25, s24
	s_xor_b64 exec, exec, s[14:15]
	s_cbranch_execnz .LBB251_481
.LBB251_347:                            ;   in Loop: Header=BB251_265 Depth=1
	s_or_b64 exec, exec, s[14:15]
	s_and_saveexec_b64 s[14:15], s[12:13]
	s_cbranch_execz .LBB251_349
.LBB251_348:                            ;   in Loop: Header=BB251_265 Depth=1
	v_bfe_u32 v25, v22, 24, 3
	v_ffbh_u32_e32 v39, v25
	v_bfe_u32 v22, v22, 27, 4
	v_min_u32_e32 v39, 32, v39
	v_subrev_u32_e32 v40, 28, v39
	v_sub_u32_e32 v39, 29, v39
	v_cmp_eq_u32_e64 s[2:3], 0, v22
	v_lshlrev_b64 v[40:41], v40, v[4:5]
	v_and_b32_e32 v40, 7, v40
	v_cndmask_b32_e64 v22, v22, v39, s[2:3]
	v_lshlrev_b32_e32 v4, 8, v4
	v_lshl_add_u32 v22, v22, 10, v33
	v_cndmask_b32_e64 v25, v25, v40, s[2:3]
	v_and_or_b32 v4, v4, s31, v22
	v_lshl_or_b32 v4, v25, 7, v4
	v_cvt_f32_f16_e32 v25, v4
.LBB251_349:                            ;   in Loop: Header=BB251_265 Depth=1
	s_or_b64 exec, exec, s[14:15]
	v_cmp_gt_i16_sdwa s[12:13], v23, s29 src0_sel:BYTE_0 src1_sel:DWORD
	s_mov_b64 s[2:3], 0
                                        ; implicit-def: $sgpr22
	s_and_saveexec_b64 s[14:15], s[12:13]
	s_xor_b64 s[12:13], exec, s[14:15]
	s_cbranch_execnz .LBB251_482
; %bb.350:                              ;   in Loop: Header=BB251_265 Depth=1
	s_or_saveexec_b64 s[12:13], s[12:13]
	v_mov_b32_e32 v22, s22
	s_xor_b64 exec, exec, s[12:13]
	s_cbranch_execnz .LBB251_485
.LBB251_351:                            ;   in Loop: Header=BB251_265 Depth=1
	s_or_b64 exec, exec, s[12:13]
	v_mov_b32_e32 v4, v23
	s_and_saveexec_b64 s[12:13], s[2:3]
	s_cbranch_execz .LBB251_353
.LBB251_352:                            ;   in Loop: Header=BB251_265 Depth=1
	v_and_b32_e32 v22, 7, v23
	v_ffbh_u32_e32 v22, v22
	v_bfe_u32 v39, v23, 3, 4
	v_min_u32_e32 v22, 32, v22
	v_subrev_u32_e32 v40, 28, v22
	v_sub_u32_e32 v22, 29, v22
	v_cmp_eq_u32_e64 s[2:3], 0, v39
	s_nop 1
	v_cndmask_b32_e64 v22, v39, v22, s[2:3]
	v_cndmask_b32_e64 v39, 0, v40, s[2:3]
	v_lshlrev_b64 v[40:41], v39, v[4:5]
	v_lshlrev_b32_e32 v39, 7, v40
	v_lshlrev_b32_e32 v40, 8, v23
	v_lshl_add_u32 v22, v22, 10, v33
	v_and_or_b32 v22, v40, s31, v22
	v_and_or_b32 v22, v39, s34, v22
	v_cvt_f32_f16_e32 v22, v22
.LBB251_353:                            ;   in Loop: Header=BB251_265 Depth=1
	s_or_b64 exec, exec, s[12:13]
	v_lshrrev_b16_e32 v4, 8, v4
	v_cmp_lt_i16_e64 s[2:3], s29, v4
	s_mov_b64 s[12:13], 0
                                        ; implicit-def: $sgpr24
	s_and_saveexec_b64 s[14:15], s[2:3]
	s_xor_b64 s[14:15], exec, s[14:15]
	s_cbranch_execnz .LBB251_486
; %bb.354:                              ;   in Loop: Header=BB251_265 Depth=1
	s_or_saveexec_b64 s[14:15], s[14:15]
	v_mov_b32_e32 v39, s24
	s_xor_b64 exec, exec, s[14:15]
	s_cbranch_execnz .LBB251_489
.LBB251_355:                            ;   in Loop: Header=BB251_265 Depth=1
	s_or_b64 exec, exec, s[14:15]
	s_and_saveexec_b64 s[14:15], s[12:13]
	s_cbranch_execz .LBB251_357
.LBB251_356:                            ;   in Loop: Header=BB251_265 Depth=1
	v_and_b32_e32 v39, 7, v4
	v_ffbh_u32_e32 v40, v39
	v_min_u32_e32 v43, 32, v40
	v_subrev_u32_e32 v40, 28, v43
	v_bfe_u32 v42, v4, 3, 4
	v_lshlrev_b64 v[40:41], v40, v[4:5]
	v_sub_u32_e32 v41, 29, v43
	v_cmp_eq_u32_e64 s[2:3], 0, v42
	v_and_b32_e32 v40, 7, v40
	v_lshlrev_b32_e32 v4, 8, v4
	v_cndmask_b32_e64 v41, v42, v41, s[2:3]
	v_cndmask_b32_e64 v39, v39, v40, s[2:3]
	v_lshl_add_u32 v40, v41, 10, v33
	v_and_or_b32 v4, v4, s31, v40
	v_lshl_or_b32 v4, v39, 7, v4
	v_cvt_f32_f16_e32 v39, v4
.LBB251_357:                            ;   in Loop: Header=BB251_265 Depth=1
	s_or_b64 exec, exec, s[14:15]
	v_lshrrev_b32_e32 v4, 16, v23
	v_cmp_gt_i16_sdwa s[12:13], v4, s29 src0_sel:BYTE_0 src1_sel:DWORD
	s_mov_b64 s[2:3], 0
                                        ; implicit-def: $sgpr22
	s_and_saveexec_b64 s[14:15], s[12:13]
	s_xor_b64 s[12:13], exec, s[14:15]
	s_cbranch_execnz .LBB251_490
; %bb.358:                              ;   in Loop: Header=BB251_265 Depth=1
	s_or_saveexec_b64 s[12:13], s[12:13]
	v_mov_b32_e32 v40, s22
	s_xor_b64 exec, exec, s[12:13]
	s_cbranch_execnz .LBB251_493
.LBB251_359:                            ;   in Loop: Header=BB251_265 Depth=1
	s_or_b64 exec, exec, s[12:13]
	s_and_saveexec_b64 s[12:13], s[2:3]
	s_cbranch_execz .LBB251_361
.LBB251_360:                            ;   in Loop: Header=BB251_265 Depth=1
	v_bfe_u32 v42, v23, 16, 3
	v_ffbh_u32_e32 v40, v42
	v_min_u32_e32 v44, 32, v40
	v_subrev_u32_e32 v40, 28, v44
	v_bfe_u32 v43, v23, 19, 4
	v_lshlrev_b64 v[40:41], v40, v[4:5]
	v_sub_u32_e32 v41, 29, v44
	v_cmp_eq_u32_e64 s[2:3], 0, v43
	v_and_b32_e32 v40, 7, v40
	v_lshlrev_b32_e32 v4, 8, v4
	v_cndmask_b32_e64 v41, v43, v41, s[2:3]
	v_lshl_add_u32 v41, v41, 10, v33
	v_cndmask_b32_e64 v40, v42, v40, s[2:3]
	v_and_or_b32 v4, v4, s31, v41
	v_lshl_or_b32 v4, v40, 7, v4
	v_cvt_f32_f16_e32 v40, v4
.LBB251_361:                            ;   in Loop: Header=BB251_265 Depth=1
	s_or_b64 exec, exec, s[12:13]
	v_lshrrev_b32_e32 v4, 24, v23
	v_cmp_lt_i16_e64 s[2:3], s29, v4
	s_mov_b64 s[12:13], 0
                                        ; implicit-def: $sgpr24
	s_and_saveexec_b64 s[14:15], s[2:3]
	s_xor_b64 s[14:15], exec, s[14:15]
	s_cbranch_execnz .LBB251_494
; %bb.362:                              ;   in Loop: Header=BB251_265 Depth=1
	s_or_saveexec_b64 s[14:15], s[14:15]
	v_mov_b32_e32 v41, s24
	s_xor_b64 exec, exec, s[14:15]
	s_cbranch_execnz .LBB251_497
.LBB251_363:                            ;   in Loop: Header=BB251_265 Depth=1
	s_or_b64 exec, exec, s[14:15]
	s_and_saveexec_b64 s[14:15], s[12:13]
	s_cbranch_execz .LBB251_365
.LBB251_364:                            ;   in Loop: Header=BB251_265 Depth=1
	v_bfe_u32 v41, v23, 24, 3
	v_ffbh_u32_e32 v42, v41
	v_min_u32_e32 v44, 32, v42
	v_subrev_u32_e32 v42, 28, v44
	v_bfe_u32 v23, v23, 27, 4
	v_lshlrev_b64 v[42:43], v42, v[4:5]
	v_sub_u32_e32 v43, 29, v44
	v_cmp_eq_u32_e64 s[2:3], 0, v23
	v_and_b32_e32 v42, 7, v42
	v_lshlrev_b32_e32 v4, 8, v4
	v_cndmask_b32_e64 v23, v23, v43, s[2:3]
	v_lshl_add_u32 v23, v23, 10, v33
	v_cndmask_b32_e64 v41, v41, v42, s[2:3]
	v_and_or_b32 v4, v4, s31, v23
	v_lshl_or_b32 v4, v41, 7, v4
	v_cvt_f32_f16_e32 v41, v4
.LBB251_365:                            ;   in Loop: Header=BB251_265 Depth=1
	s_or_b64 exec, exec, s[14:15]
	s_waitcnt vmcnt(0)
	v_pk_mul_f32 v[18:19], v[20:21], v[18:19] op_sel_hi:[0,1]
	v_cvt_f16_f32_e32 v19, v19
	v_cvt_f16_f32_e32 v18, v18
	v_pk_mul_f32 v[24:25], v[20:21], v[24:25] op_sel_hi:[0,1]
	v_cvt_f16_f32_e32 v4, v25
	v_cvt_f16_f32_e32 v23, v24
	v_pack_b32_f16 v18, v18, v19
	v_fma_mixlo_f16 v19, v20, v39, 0
	v_lshlrev_b32_e32 v19, 16, v19
	v_fma_mixlo_f16 v22, v20, v22, 0
	v_or_b32_sdwa v19, v19, v22 dst_sel:DWORD dst_unused:UNUSED_PAD src0_sel:DWORD src1_sel:WORD_0
	v_fma_mixlo_f16 v22, v20, v40, 0
	v_fma_mixlo_f16 v20, v20, v41, 0
	v_pack_b32_f16 v23, v23, v4
	v_lshlrev_b32_e32 v20, 16, v20
	v_perm_b32 v4, v18, v23, s35
	v_perm_b32 v18, v18, v23, s36
	v_or_b32_sdwa v20, v20, v22 dst_sel:DWORD dst_unused:UNUSED_PAD src0_sel:DWORD src1_sel:WORD_0
	s_and_saveexec_b64 s[12:13], s[0:1]
	s_cbranch_execz .LBB251_367
; %bb.366:                              ;   in Loop: Header=BB251_265 Depth=1
	v_add_u32_e32 v23, 1, v31
	v_lshrrev_b32_e32 v24, 16, v18
	v_cmp_gt_i32_e64 s[2:3], s27, v23
	v_lshrrev_b32_e32 v25, 16, v4
	v_lshrrev_b32_e32 v20, 16, v20
	v_cndmask_b32_e64 v23, 0, v24, s[2:3]
	v_cmp_gt_i32_e64 s[2:3], s33, v31
	v_or_b32_e32 v24, 2, v31
	s_nop 0
	v_cndmask_b32_e64 v18, 0, v18, s[2:3]
	v_perm_b32 v18, v23, v18, s37
	v_or_b32_e32 v23, 3, v31
	v_cmp_gt_i32_e64 s[2:3], s27, v23
	s_nop 1
	v_cndmask_b32_e64 v23, 0, v25, s[2:3]
	v_cmp_gt_i32_e64 s[2:3], s33, v24
	v_or_b32_e32 v24, 4, v31
	v_lshrrev_b32_e32 v25, 16, v19
	v_cndmask_b32_e64 v4, 0, v4, s[2:3]
	v_perm_b32 v4, v23, v4, s37
	v_or_b32_e32 v23, 5, v31
	v_cmp_gt_i32_e64 s[2:3], s27, v23
	s_nop 1
	v_cndmask_b32_e64 v23, 0, v25, s[2:3]
	v_cmp_gt_i32_e64 s[2:3], s33, v24
	v_or_b32_e32 v24, 6, v31
	s_nop 0
	v_cndmask_b32_e64 v19, 0, v19, s[2:3]
	v_perm_b32 v19, v23, v19, s37
	v_or_b32_e32 v23, 7, v31
	v_cmp_gt_i32_e64 s[2:3], s27, v23
	s_nop 1
	v_cndmask_b32_e64 v20, 0, v20, s[2:3]
	v_cmp_gt_i32_e64 s[2:3], s33, v24
	s_nop 1
	v_cndmask_b32_e64 v22, 0, v22, s[2:3]
	v_perm_b32 v20, v20, v22, s37
.LBB251_367:                            ;   in Loop: Header=BB251_265 Depth=1
	s_or_b64 exec, exec, s[12:13]
	;;#ASMSTART
	v_pk_mul_f16 v18, v37, v18;

	;;#ASMEND
	;;#ASMSTART
	v_pk_mul_f16 v4, v36, v4;

	;;#ASMEND
	;; [unrolled: 4-line block ×4, first 2 shown]
	v_add_f32_e32 v21, v21, v38
	;;#ASMSTART
	v_pk_add_f16 v4, v18, v4;

	;;#ASMEND
	v_add_f32_e32 v10, v10, v21
	;;#ASMSTART
	v_pk_add_f16 v4, v4, v19;

	;;#ASMEND
	v_add_f32_e32 v21, v26, v27
	;;#ASMSTART
	v_pk_add_f16 v4, v4, v20;

	;;#ASMEND
	v_add_f32_e32 v11, v11, v21
	v_lshrrev_b32_e32 v18, 16, v4
	v_and_b32_e32 v4, 0xffff, v4
	;;#ASMSTART
	v_cvt_f32_f16 v4, v4;
	;;#ASMEND
	;;#ASMSTART
	v_cvt_f32_f16 v18, v18;
	;;#ASMEND
	s_nop 0
	v_add_f32_e32 v4, v4, v18
	v_add_f32_e32 v6, v6, v4
	s_and_saveexec_b64 s[12:13], vcc
	s_cbranch_execz .LBB251_264
; %bb.368:                              ;   in Loop: Header=BB251_265 Depth=1
	v_lshl_add_u64 v[20:21], v[16:17], 0, v[8:9]
	global_load_dwordx2 v[18:19], v[20:21], off
	global_load_dword v16, v5, s[10:11]
	s_mov_b64 s[2:3], 0
                                        ; implicit-def: $sgpr24
	s_waitcnt vmcnt(1)
	v_cmp_gt_i16_sdwa s[14:15], v18, s29 src0_sel:BYTE_0 src1_sel:DWORD
	s_and_saveexec_b64 s[22:23], s[14:15]
	s_xor_b64 s[14:15], exec, s[22:23]
	s_cbranch_execnz .LBB251_498
; %bb.369:                              ;   in Loop: Header=BB251_265 Depth=1
	s_or_saveexec_b64 s[14:15], s[14:15]
	v_mov_b32_e32 v20, s24
	s_xor_b64 exec, exec, s[14:15]
	s_cbranch_execnz .LBB251_501
.LBB251_370:                            ;   in Loop: Header=BB251_265 Depth=1
	s_or_b64 exec, exec, s[14:15]
	s_and_saveexec_b64 s[14:15], s[2:3]
	s_cbranch_execz .LBB251_372
.LBB251_371:                            ;   in Loop: Header=BB251_265 Depth=1
	v_and_b32_e32 v4, 7, v18
	v_ffbh_u32_e32 v4, v4
	v_bfe_u32 v17, v18, 3, 4
	v_min_u32_e32 v4, 32, v4
	v_subrev_u32_e32 v20, 28, v4
	v_sub_u32_e32 v4, 29, v4
	v_cmp_eq_u32_e64 s[2:3], 0, v17
	s_nop 1
	v_cndmask_b32_e64 v4, v17, v4, s[2:3]
	v_cndmask_b32_e64 v17, 0, v20, s[2:3]
	v_lshlrev_b64 v[20:21], v17, v[18:19]
	v_lshlrev_b32_e32 v17, 7, v20
	v_lshlrev_b32_e32 v20, 8, v18
	v_lshl_add_u32 v4, v4, 10, v33
	v_and_or_b32 v4, v20, s31, v4
	v_and_or_b32 v4, v17, s34, v4
	v_cvt_f32_f16_e32 v20, v4
.LBB251_372:                            ;   in Loop: Header=BB251_265 Depth=1
	s_or_b64 exec, exec, s[14:15]
	v_lshrrev_b16_e32 v4, 8, v18
	v_cmp_lt_i16_e64 s[2:3], s29, v4
	s_mov_b64 s[14:15], 0
                                        ; implicit-def: $sgpr38
	s_and_saveexec_b64 s[22:23], s[2:3]
	s_xor_b64 s[22:23], exec, s[22:23]
	s_cbranch_execnz .LBB251_502
; %bb.373:                              ;   in Loop: Header=BB251_265 Depth=1
	s_or_saveexec_b64 s[22:23], s[22:23]
	v_mov_b32_e32 v22, s38
	s_xor_b64 exec, exec, s[22:23]
	s_cbranch_execnz .LBB251_505
.LBB251_374:                            ;   in Loop: Header=BB251_265 Depth=1
	s_or_b64 exec, exec, s[22:23]
	s_and_saveexec_b64 s[22:23], s[14:15]
	s_cbranch_execz .LBB251_376
.LBB251_375:                            ;   in Loop: Header=BB251_265 Depth=1
	v_and_b32_e32 v17, 7, v4
	v_ffbh_u32_e32 v22, v17
	v_min_u32_e32 v24, 32, v22
	v_subrev_u32_e32 v22, 28, v24
	v_bfe_u32 v21, v4, 3, 4
	v_lshlrev_b64 v[22:23], v22, v[4:5]
	v_sub_u32_e32 v23, 29, v24
	v_cmp_eq_u32_e64 s[2:3], 0, v21
	v_and_b32_e32 v22, 7, v22
	v_lshlrev_b32_e32 v4, 8, v4
	v_cndmask_b32_e64 v21, v21, v23, s[2:3]
	v_lshl_add_u32 v21, v21, 10, v33
	v_cndmask_b32_e64 v17, v17, v22, s[2:3]
	v_and_or_b32 v4, v4, s31, v21
	v_lshl_or_b32 v4, v17, 7, v4
	v_cvt_f32_f16_e32 v22, v4
.LBB251_376:                            ;   in Loop: Header=BB251_265 Depth=1
	s_or_b64 exec, exec, s[22:23]
	v_lshrrev_b32_e32 v4, 16, v18
	v_cmp_gt_i16_sdwa s[14:15], v4, s29 src0_sel:BYTE_0 src1_sel:DWORD
	s_mov_b64 s[2:3], 0
                                        ; implicit-def: $sgpr24
	s_and_saveexec_b64 s[22:23], s[14:15]
	s_xor_b64 s[14:15], exec, s[22:23]
	s_cbranch_execnz .LBB251_506
; %bb.377:                              ;   in Loop: Header=BB251_265 Depth=1
	s_or_saveexec_b64 s[14:15], s[14:15]
	v_mov_b32_e32 v21, s24
	s_xor_b64 exec, exec, s[14:15]
	s_cbranch_execnz .LBB251_509
.LBB251_378:                            ;   in Loop: Header=BB251_265 Depth=1
	s_or_b64 exec, exec, s[14:15]
	s_and_saveexec_b64 s[14:15], s[2:3]
	s_cbranch_execz .LBB251_380
.LBB251_379:                            ;   in Loop: Header=BB251_265 Depth=1
	v_bfe_u32 v17, v18, 16, 3
	v_ffbh_u32_e32 v23, v17
	v_bfe_u32 v21, v18, 19, 4
	v_min_u32_e32 v23, 32, v23
	v_subrev_u32_e32 v24, 28, v23
	v_sub_u32_e32 v23, 29, v23
	v_cmp_eq_u32_e64 s[2:3], 0, v21
	v_lshlrev_b64 v[24:25], v24, v[4:5]
	v_and_b32_e32 v24, 7, v24
	v_cndmask_b32_e64 v21, v21, v23, s[2:3]
	v_lshlrev_b32_e32 v4, 8, v4
	v_lshl_add_u32 v21, v21, 10, v33
	v_cndmask_b32_e64 v17, v17, v24, s[2:3]
	v_and_or_b32 v4, v4, s31, v21
	v_lshl_or_b32 v4, v17, 7, v4
	v_cvt_f32_f16_e32 v21, v4
.LBB251_380:                            ;   in Loop: Header=BB251_265 Depth=1
	s_or_b64 exec, exec, s[14:15]
	v_lshrrev_b32_e32 v4, 24, v18
	v_cmp_lt_i16_e64 s[2:3], s29, v4
	s_mov_b64 s[14:15], 0
                                        ; implicit-def: $sgpr38
	s_and_saveexec_b64 s[22:23], s[2:3]
	s_xor_b64 s[22:23], exec, s[22:23]
	s_cbranch_execnz .LBB251_510
; %bb.381:                              ;   in Loop: Header=BB251_265 Depth=1
	s_or_saveexec_b64 s[22:23], s[22:23]
	v_mov_b32_e32 v23, s38
	s_xor_b64 exec, exec, s[22:23]
	s_cbranch_execnz .LBB251_513
.LBB251_382:                            ;   in Loop: Header=BB251_265 Depth=1
	s_or_b64 exec, exec, s[22:23]
	s_and_saveexec_b64 s[22:23], s[14:15]
	s_cbranch_execz .LBB251_384
.LBB251_383:                            ;   in Loop: Header=BB251_265 Depth=1
	v_bfe_u32 v17, v18, 24, 3
	v_ffbh_u32_e32 v23, v17
	v_bfe_u32 v18, v18, 27, 4
	v_min_u32_e32 v23, 32, v23
	v_subrev_u32_e32 v24, 28, v23
	v_sub_u32_e32 v23, 29, v23
	v_cmp_eq_u32_e64 s[2:3], 0, v18
	v_lshlrev_b64 v[24:25], v24, v[4:5]
	v_and_b32_e32 v24, 7, v24
	v_cndmask_b32_e64 v18, v18, v23, s[2:3]
	v_lshlrev_b32_e32 v4, 8, v4
	v_lshl_add_u32 v18, v18, 10, v33
	v_cndmask_b32_e64 v17, v17, v24, s[2:3]
	v_and_or_b32 v4, v4, s31, v18
	v_lshl_or_b32 v4, v17, 7, v4
	v_cvt_f32_f16_e32 v23, v4
.LBB251_384:                            ;   in Loop: Header=BB251_265 Depth=1
	s_or_b64 exec, exec, s[22:23]
	v_cmp_gt_i16_sdwa s[14:15], v19, s29 src0_sel:BYTE_0 src1_sel:DWORD
	s_mov_b64 s[2:3], 0
                                        ; implicit-def: $sgpr24
	s_and_saveexec_b64 s[22:23], s[14:15]
	s_xor_b64 s[14:15], exec, s[22:23]
	s_cbranch_execnz .LBB251_514
; %bb.385:                              ;   in Loop: Header=BB251_265 Depth=1
	s_or_saveexec_b64 s[14:15], s[14:15]
	v_mov_b32_e32 v17, s24
	s_xor_b64 exec, exec, s[14:15]
	s_cbranch_execnz .LBB251_517
.LBB251_386:                            ;   in Loop: Header=BB251_265 Depth=1
	s_or_b64 exec, exec, s[14:15]
	v_mov_b32_e32 v4, v19
	s_and_saveexec_b64 s[14:15], s[2:3]
	s_cbranch_execz .LBB251_388
.LBB251_387:                            ;   in Loop: Header=BB251_265 Depth=1
	v_and_b32_e32 v17, 7, v19
	v_ffbh_u32_e32 v17, v17
	v_bfe_u32 v18, v19, 3, 4
	v_min_u32_e32 v17, 32, v17
	v_subrev_u32_e32 v24, 28, v17
	v_sub_u32_e32 v17, 29, v17
	v_cmp_eq_u32_e64 s[2:3], 0, v18
	s_nop 1
	v_cndmask_b32_e64 v17, v18, v17, s[2:3]
	v_cndmask_b32_e64 v18, 0, v24, s[2:3]
	v_lshlrev_b64 v[24:25], v18, v[4:5]
	v_lshlrev_b32_e32 v18, 7, v24
	v_lshlrev_b32_e32 v24, 8, v19
	v_lshl_add_u32 v17, v17, 10, v33
	v_and_or_b32 v17, v24, s31, v17
	v_and_or_b32 v17, v18, s34, v17
	v_cvt_f32_f16_e32 v17, v17
.LBB251_388:                            ;   in Loop: Header=BB251_265 Depth=1
	s_or_b64 exec, exec, s[14:15]
	v_lshrrev_b16_e32 v4, 8, v4
	v_cmp_lt_i16_e64 s[2:3], s29, v4
	s_mov_b64 s[14:15], 0
                                        ; implicit-def: $sgpr38
	s_and_saveexec_b64 s[22:23], s[2:3]
	s_xor_b64 s[22:23], exec, s[22:23]
	s_cbranch_execnz .LBB251_518
; %bb.389:                              ;   in Loop: Header=BB251_265 Depth=1
	s_or_saveexec_b64 s[22:23], s[22:23]
	v_mov_b32_e32 v18, s38
	s_xor_b64 exec, exec, s[22:23]
	s_cbranch_execnz .LBB251_521
.LBB251_390:                            ;   in Loop: Header=BB251_265 Depth=1
	s_or_b64 exec, exec, s[22:23]
	s_and_saveexec_b64 s[22:23], s[14:15]
	s_cbranch_execz .LBB251_392
.LBB251_391:                            ;   in Loop: Header=BB251_265 Depth=1
	v_and_b32_e32 v18, 7, v4
	v_ffbh_u32_e32 v24, v18
	v_min_u32_e32 v27, 32, v24
	v_subrev_u32_e32 v24, 28, v27
	v_bfe_u32 v26, v4, 3, 4
	v_lshlrev_b64 v[24:25], v24, v[4:5]
	v_sub_u32_e32 v25, 29, v27
	v_cmp_eq_u32_e64 s[2:3], 0, v26
	v_and_b32_e32 v24, 7, v24
	v_lshlrev_b32_e32 v4, 8, v4
	v_cndmask_b32_e64 v25, v26, v25, s[2:3]
	v_cndmask_b32_e64 v18, v18, v24, s[2:3]
	v_lshl_add_u32 v24, v25, 10, v33
	v_and_or_b32 v4, v4, s31, v24
	v_lshl_or_b32 v4, v18, 7, v4
	v_cvt_f32_f16_e32 v18, v4
.LBB251_392:                            ;   in Loop: Header=BB251_265 Depth=1
	s_or_b64 exec, exec, s[22:23]
	v_lshrrev_b32_e32 v4, 16, v19
	v_cmp_gt_i16_sdwa s[14:15], v4, s29 src0_sel:BYTE_0 src1_sel:DWORD
	s_mov_b64 s[2:3], 0
                                        ; implicit-def: $sgpr24
	s_and_saveexec_b64 s[22:23], s[14:15]
	s_xor_b64 s[14:15], exec, s[22:23]
	s_cbranch_execnz .LBB251_522
; %bb.393:                              ;   in Loop: Header=BB251_265 Depth=1
	s_or_saveexec_b64 s[14:15], s[14:15]
	v_mov_b32_e32 v24, s24
	s_xor_b64 exec, exec, s[14:15]
	s_cbranch_execnz .LBB251_525
.LBB251_394:                            ;   in Loop: Header=BB251_265 Depth=1
	s_or_b64 exec, exec, s[14:15]
	s_and_saveexec_b64 s[14:15], s[2:3]
	s_cbranch_execz .LBB251_396
.LBB251_395:                            ;   in Loop: Header=BB251_265 Depth=1
	v_bfe_u32 v26, v19, 16, 3
	v_ffbh_u32_e32 v24, v26
	v_min_u32_e32 v38, 32, v24
	v_subrev_u32_e32 v24, 28, v38
	v_bfe_u32 v27, v19, 19, 4
	v_lshlrev_b64 v[24:25], v24, v[4:5]
	v_sub_u32_e32 v25, 29, v38
	v_cmp_eq_u32_e64 s[2:3], 0, v27
	v_and_b32_e32 v24, 7, v24
	v_lshlrev_b32_e32 v4, 8, v4
	v_cndmask_b32_e64 v25, v27, v25, s[2:3]
	v_lshl_add_u32 v25, v25, 10, v33
	v_cndmask_b32_e64 v24, v26, v24, s[2:3]
	v_and_or_b32 v4, v4, s31, v25
	v_lshl_or_b32 v4, v24, 7, v4
	v_cvt_f32_f16_e32 v24, v4
.LBB251_396:                            ;   in Loop: Header=BB251_265 Depth=1
	s_or_b64 exec, exec, s[14:15]
	v_lshrrev_b32_e32 v4, 24, v19
	v_cmp_lt_i16_e64 s[2:3], s29, v4
	s_mov_b64 s[14:15], 0
                                        ; implicit-def: $sgpr38
	s_and_saveexec_b64 s[22:23], s[2:3]
	s_xor_b64 s[22:23], exec, s[22:23]
	s_cbranch_execnz .LBB251_526
; %bb.397:                              ;   in Loop: Header=BB251_265 Depth=1
	s_or_saveexec_b64 s[22:23], s[22:23]
	v_mov_b32_e32 v25, s38
	s_xor_b64 exec, exec, s[22:23]
	s_cbranch_execnz .LBB251_529
.LBB251_398:                            ;   in Loop: Header=BB251_265 Depth=1
	s_or_b64 exec, exec, s[22:23]
	s_and_saveexec_b64 s[22:23], s[14:15]
	s_cbranch_execz .LBB251_400
.LBB251_399:                            ;   in Loop: Header=BB251_265 Depth=1
	v_bfe_u32 v25, v19, 24, 3
	v_ffbh_u32_e32 v26, v25
	v_min_u32_e32 v38, 32, v26
	v_subrev_u32_e32 v26, 28, v38
	v_bfe_u32 v19, v19, 27, 4
	v_lshlrev_b64 v[26:27], v26, v[4:5]
	v_sub_u32_e32 v27, 29, v38
	v_cmp_eq_u32_e64 s[2:3], 0, v19
	v_and_b32_e32 v26, 7, v26
	v_lshlrev_b32_e32 v4, 8, v4
	v_cndmask_b32_e64 v19, v19, v27, s[2:3]
	v_lshl_add_u32 v19, v19, 10, v33
	v_cndmask_b32_e64 v25, v25, v26, s[2:3]
	v_and_or_b32 v4, v4, s31, v19
	v_lshl_or_b32 v4, v25, 7, v4
	v_cvt_f32_f16_e32 v25, v4
.LBB251_400:                            ;   in Loop: Header=BB251_265 Depth=1
	s_or_b64 exec, exec, s[22:23]
	s_waitcnt vmcnt(0)
	v_pk_mul_f32 v[22:23], v[16:17], v[22:23] op_sel_hi:[0,1]
	v_pk_mul_f32 v[20:21], v[16:17], v[20:21] op_sel_hi:[0,1]
	v_cvt_f16_f32_e32 v4, v23
	v_cvt_f16_f32_e32 v19, v22
	v_cvt_f16_f32_e32 v21, v21
	v_cvt_f16_f32_e32 v20, v20
	v_fma_mixlo_f16 v18, v16, v18, 0
	v_lshlrev_b32_e32 v18, 16, v18
	v_fma_mixlo_f16 v17, v16, v17, 0
	v_or_b32_sdwa v17, v18, v17 dst_sel:DWORD dst_unused:UNUSED_PAD src0_sel:DWORD src1_sel:WORD_0
	v_fma_mixlo_f16 v18, v16, v24, 0
	v_fma_mixlo_f16 v16, v16, v25, 0
	v_pack_b32_f16 v19, v19, v4
	v_pack_b32_f16 v20, v20, v21
	v_lshlrev_b32_e32 v16, 16, v16
	v_perm_b32 v4, v20, v19, s35
	v_perm_b32 v19, v20, v19, s36
	v_or_b32_sdwa v16, v16, v18 dst_sel:DWORD dst_unused:UNUSED_PAD src0_sel:DWORD src1_sel:WORD_0
	s_and_saveexec_b64 s[2:3], s[0:1]
	s_cbranch_execz .LBB251_263
; %bb.401:                              ;   in Loop: Header=BB251_265 Depth=1
	v_add_u32_e32 v20, 1, v31
	v_lshrrev_b32_e32 v21, 16, v19
	v_cmp_gt_i32_e64 s[0:1], s27, v20
	v_lshrrev_b32_e32 v22, 16, v4
	v_lshrrev_b32_e32 v16, 16, v16
	v_cndmask_b32_e64 v20, 0, v21, s[0:1]
	v_cmp_gt_i32_e64 s[0:1], s33, v31
	v_or_b32_e32 v21, 2, v31
	s_nop 0
	v_cndmask_b32_e64 v19, 0, v19, s[0:1]
	v_perm_b32 v19, v20, v19, s37
	v_or_b32_e32 v20, 3, v31
	v_cmp_gt_i32_e64 s[0:1], s27, v20
	s_nop 1
	v_cndmask_b32_e64 v20, 0, v22, s[0:1]
	v_cmp_gt_i32_e64 s[0:1], s33, v21
	v_or_b32_e32 v21, 4, v31
	v_lshrrev_b32_e32 v22, 16, v17
	v_cndmask_b32_e64 v4, 0, v4, s[0:1]
	v_perm_b32 v4, v20, v4, s37
	v_or_b32_e32 v20, 5, v31
	v_cmp_gt_i32_e64 s[0:1], s27, v20
	s_nop 1
	v_cndmask_b32_e64 v20, 0, v22, s[0:1]
	v_cmp_gt_i32_e64 s[0:1], s33, v21
	v_or_b32_e32 v21, 6, v31
	s_nop 0
	v_cndmask_b32_e64 v17, 0, v17, s[0:1]
	v_perm_b32 v17, v20, v17, s37
	v_or_b32_e32 v20, 7, v31
	v_cmp_gt_i32_e64 s[0:1], s27, v20
	s_nop 1
	v_cndmask_b32_e64 v16, 0, v16, s[0:1]
	v_cmp_gt_i32_e64 s[0:1], s33, v21
	s_nop 1
	v_cndmask_b32_e64 v18, 0, v18, s[0:1]
	v_perm_b32 v16, v16, v18, s37
	s_branch .LBB251_263
.LBB251_402:                            ;   in Loop: Header=BB251_265 Depth=1
	v_cmp_eq_u16_sdwa s[22:23], v22, s30 src0_sel:BYTE_0 src1_sel:DWORD
	s_mov_b64 s[0:1], -1
                                        ; implicit-def: $sgpr14
	s_and_saveexec_b64 s[12:13], s[22:23]
; %bb.403:                              ;   in Loop: Header=BB251_265 Depth=1
	s_mov_b32 s14, 0x7fc02000
	s_xor_b64 s[0:1], exec, -1
; %bb.404:                              ;   in Loop: Header=BB251_265 Depth=1
	s_or_b64 exec, exec, s[12:13]
	s_and_b64 s[0:1], s[0:1], exec
	s_or_saveexec_b64 s[2:3], s[2:3]
	v_mov_b32_e32 v24, s14
	s_xor_b64 exec, exec, s[2:3]
	s_cbranch_execz .LBB251_267
.LBB251_405:                            ;   in Loop: Header=BB251_265 Depth=1
	v_cmp_ne_u16_sdwa s[12:13], v22, v5 src0_sel:BYTE_0 src1_sel:DWORD
	s_andn2_b64 s[0:1], s[0:1], exec
	s_and_b64 s[12:13], s[12:13], exec
	v_mov_b32_e32 v24, 0
	s_or_b64 s[0:1], s[0:1], s[12:13]
	s_or_b64 exec, exec, s[2:3]
	s_and_saveexec_b64 s[2:3], s[0:1]
	s_cbranch_execnz .LBB251_268
	s_branch .LBB251_269
.LBB251_406:                            ;   in Loop: Header=BB251_265 Depth=1
	v_cmp_eq_u16_e64 s[0:1], s30, v4
	s_mov_b64 s[2:3], -1
                                        ; implicit-def: $sgpr22
	s_and_saveexec_b64 s[14:15], s[0:1]
; %bb.407:                              ;   in Loop: Header=BB251_265 Depth=1
	s_mov_b32 s22, 0x7fc02000
	s_xor_b64 s[2:3], exec, -1
; %bb.408:                              ;   in Loop: Header=BB251_265 Depth=1
	s_or_b64 exec, exec, s[14:15]
	s_and_b64 s[2:3], s[2:3], exec
	s_or_saveexec_b64 s[12:13], s[12:13]
	v_mov_b32_e32 v26, s22
	s_xor_b64 exec, exec, s[12:13]
	s_cbranch_execz .LBB251_271
.LBB251_409:                            ;   in Loop: Header=BB251_265 Depth=1
	v_cmp_ne_u16_e64 s[0:1], 0, v4
	s_andn2_b64 s[2:3], s[2:3], exec
	s_and_b64 s[0:1], s[0:1], exec
	v_mov_b32_e32 v26, 0
	s_or_b64 s[2:3], s[2:3], s[0:1]
	s_or_b64 exec, exec, s[12:13]
	s_and_saveexec_b64 s[12:13], s[2:3]
	s_cbranch_execnz .LBB251_272
	s_branch .LBB251_273
.LBB251_410:                            ;   in Loop: Header=BB251_265 Depth=1
	v_cmp_eq_u16_sdwa s[22:23], v4, s30 src0_sel:BYTE_0 src1_sel:DWORD
	s_mov_b64 s[0:1], -1
                                        ; implicit-def: $sgpr14
	s_and_saveexec_b64 s[12:13], s[22:23]
; %bb.411:                              ;   in Loop: Header=BB251_265 Depth=1
	s_mov_b32 s14, 0x7fc02000
	s_xor_b64 s[0:1], exec, -1
; %bb.412:                              ;   in Loop: Header=BB251_265 Depth=1
	s_or_b64 exec, exec, s[12:13]
	s_and_b64 s[0:1], s[0:1], exec
	s_or_saveexec_b64 s[2:3], s[2:3]
	v_mov_b32_e32 v25, s14
	s_xor_b64 exec, exec, s[2:3]
	s_cbranch_execz .LBB251_275
.LBB251_413:                            ;   in Loop: Header=BB251_265 Depth=1
	v_cmp_ne_u16_sdwa s[12:13], v4, v5 src0_sel:BYTE_0 src1_sel:DWORD
	s_andn2_b64 s[0:1], s[0:1], exec
	s_and_b64 s[12:13], s[12:13], exec
	v_mov_b32_e32 v25, 0
	s_or_b64 s[0:1], s[0:1], s[12:13]
	s_or_b64 exec, exec, s[2:3]
	s_and_saveexec_b64 s[2:3], s[0:1]
	s_cbranch_execnz .LBB251_276
	s_branch .LBB251_277
.LBB251_414:                            ;   in Loop: Header=BB251_265 Depth=1
	v_cmp_eq_u16_e64 s[0:1], s30, v4
	s_mov_b64 s[2:3], -1
                                        ; implicit-def: $sgpr22
	s_and_saveexec_b64 s[14:15], s[0:1]
; %bb.415:                              ;   in Loop: Header=BB251_265 Depth=1
	s_mov_b32 s22, 0x7fc02000
	s_xor_b64 s[2:3], exec, -1
; %bb.416:                              ;   in Loop: Header=BB251_265 Depth=1
	s_or_b64 exec, exec, s[14:15]
	s_and_b64 s[2:3], s[2:3], exec
	s_or_saveexec_b64 s[12:13], s[12:13]
	v_mov_b32_e32 v27, s22
	s_xor_b64 exec, exec, s[12:13]
	s_cbranch_execz .LBB251_279
.LBB251_417:                            ;   in Loop: Header=BB251_265 Depth=1
	v_cmp_ne_u16_e64 s[0:1], 0, v4
	s_andn2_b64 s[2:3], s[2:3], exec
	s_and_b64 s[0:1], s[0:1], exec
	v_mov_b32_e32 v27, 0
	s_or_b64 s[2:3], s[2:3], s[0:1]
	s_or_b64 exec, exec, s[12:13]
	s_and_saveexec_b64 s[12:13], s[2:3]
	s_cbranch_execnz .LBB251_280
	s_branch .LBB251_281
.LBB251_418:                            ;   in Loop: Header=BB251_265 Depth=1
	v_cmp_eq_u16_sdwa s[22:23], v23, s30 src0_sel:BYTE_0 src1_sel:DWORD
	s_mov_b64 s[0:1], -1
                                        ; implicit-def: $sgpr14
	s_and_saveexec_b64 s[12:13], s[22:23]
; %bb.419:                              ;   in Loop: Header=BB251_265 Depth=1
	s_mov_b32 s14, 0x7fc02000
	s_xor_b64 s[0:1], exec, -1
; %bb.420:                              ;   in Loop: Header=BB251_265 Depth=1
	s_or_b64 exec, exec, s[12:13]
	s_and_b64 s[0:1], s[0:1], exec
	s_or_saveexec_b64 s[2:3], s[2:3]
	v_mov_b32_e32 v22, s14
	s_xor_b64 exec, exec, s[2:3]
	s_cbranch_execz .LBB251_283
.LBB251_421:                            ;   in Loop: Header=BB251_265 Depth=1
	v_cmp_ne_u16_sdwa s[12:13], v23, v5 src0_sel:BYTE_0 src1_sel:DWORD
	s_andn2_b64 s[0:1], s[0:1], exec
	s_and_b64 s[12:13], s[12:13], exec
	v_mov_b32_e32 v22, 0
	s_or_b64 s[0:1], s[0:1], s[12:13]
	s_or_b64 exec, exec, s[2:3]
	v_mov_b32_e32 v4, v23
	s_and_saveexec_b64 s[2:3], s[0:1]
	s_cbranch_execnz .LBB251_284
	s_branch .LBB251_285
.LBB251_422:                            ;   in Loop: Header=BB251_265 Depth=1
	v_cmp_eq_u16_e64 s[0:1], s30, v4
	s_mov_b64 s[2:3], -1
                                        ; implicit-def: $sgpr22
	s_and_saveexec_b64 s[14:15], s[0:1]
; %bb.423:                              ;   in Loop: Header=BB251_265 Depth=1
	s_mov_b32 s22, 0x7fc02000
	s_xor_b64 s[2:3], exec, -1
; %bb.424:                              ;   in Loop: Header=BB251_265 Depth=1
	s_or_b64 exec, exec, s[14:15]
	s_and_b64 s[2:3], s[2:3], exec
	s_or_saveexec_b64 s[12:13], s[12:13]
	v_mov_b32_e32 v37, s22
	s_xor_b64 exec, exec, s[12:13]
	s_cbranch_execz .LBB251_287
.LBB251_425:                            ;   in Loop: Header=BB251_265 Depth=1
	v_cmp_ne_u16_e64 s[0:1], 0, v4
	s_andn2_b64 s[2:3], s[2:3], exec
	s_and_b64 s[0:1], s[0:1], exec
	v_mov_b32_e32 v37, 0
	s_or_b64 s[2:3], s[2:3], s[0:1]
	s_or_b64 exec, exec, s[12:13]
	s_and_saveexec_b64 s[12:13], s[2:3]
	s_cbranch_execnz .LBB251_288
	s_branch .LBB251_289
.LBB251_426:                            ;   in Loop: Header=BB251_265 Depth=1
	v_cmp_eq_u16_sdwa s[22:23], v4, s30 src0_sel:BYTE_0 src1_sel:DWORD
	s_mov_b64 s[0:1], -1
                                        ; implicit-def: $sgpr14
	s_and_saveexec_b64 s[12:13], s[22:23]
; %bb.427:                              ;   in Loop: Header=BB251_265 Depth=1
	s_mov_b32 s14, 0x7fc02000
	s_xor_b64 s[0:1], exec, -1
; %bb.428:                              ;   in Loop: Header=BB251_265 Depth=1
	s_or_b64 exec, exec, s[12:13]
	s_and_b64 s[0:1], s[0:1], exec
	s_or_saveexec_b64 s[2:3], s[2:3]
	v_mov_b32_e32 v42, s14
	s_xor_b64 exec, exec, s[2:3]
	s_cbranch_execz .LBB251_291
.LBB251_429:                            ;   in Loop: Header=BB251_265 Depth=1
	v_cmp_ne_u16_sdwa s[12:13], v4, v5 src0_sel:BYTE_0 src1_sel:DWORD
	s_andn2_b64 s[0:1], s[0:1], exec
	s_and_b64 s[12:13], s[12:13], exec
	v_mov_b32_e32 v42, 0
	s_or_b64 s[0:1], s[0:1], s[12:13]
	s_or_b64 exec, exec, s[2:3]
	s_and_saveexec_b64 s[2:3], s[0:1]
	s_cbranch_execnz .LBB251_292
	s_branch .LBB251_293
.LBB251_430:                            ;   in Loop: Header=BB251_265 Depth=1
	v_cmp_eq_u16_e64 s[0:1], s30, v4
	s_mov_b64 s[2:3], -1
                                        ; implicit-def: $sgpr22
	s_and_saveexec_b64 s[14:15], s[0:1]
; %bb.431:                              ;   in Loop: Header=BB251_265 Depth=1
	s_mov_b32 s22, 0x7fc02000
	s_xor_b64 s[2:3], exec, -1
; %bb.432:                              ;   in Loop: Header=BB251_265 Depth=1
	s_or_b64 exec, exec, s[14:15]
	s_and_b64 s[2:3], s[2:3], exec
	s_or_saveexec_b64 s[12:13], s[12:13]
	v_mov_b32_e32 v43, s22
	s_xor_b64 exec, exec, s[12:13]
	s_cbranch_execz .LBB251_295
.LBB251_433:                            ;   in Loop: Header=BB251_265 Depth=1
	v_cmp_ne_u16_e64 s[0:1], 0, v4
	s_andn2_b64 s[2:3], s[2:3], exec
	s_and_b64 s[0:1], s[0:1], exec
	v_mov_b32_e32 v43, 0
	s_or_b64 s[2:3], s[2:3], s[0:1]
	s_or_b64 exec, exec, s[12:13]
	s_and_saveexec_b64 s[12:13], s[2:3]
	s_cbranch_execnz .LBB251_296
	s_branch .LBB251_297
.LBB251_434:                            ;   in Loop: Header=BB251_265 Depth=1
	v_cmp_eq_u16_sdwa s[24:25], v22, s30 src0_sel:BYTE_0 src1_sel:DWORD
	s_mov_b64 s[2:3], -1
                                        ; implicit-def: $sgpr22
	s_and_saveexec_b64 s[14:15], s[24:25]
; %bb.435:                              ;   in Loop: Header=BB251_265 Depth=1
	s_mov_b32 s22, 0x7fc02000
	s_xor_b64 s[2:3], exec, -1
; %bb.436:                              ;   in Loop: Header=BB251_265 Depth=1
	s_or_b64 exec, exec, s[14:15]
	s_and_b64 s[2:3], s[2:3], exec
	s_or_saveexec_b64 s[12:13], s[12:13]
	v_mov_b32_e32 v24, s22
	s_xor_b64 exec, exec, s[12:13]
	s_cbranch_execz .LBB251_301
.LBB251_437:                            ;   in Loop: Header=BB251_265 Depth=1
	v_cmp_ne_u16_sdwa s[14:15], v22, v5 src0_sel:BYTE_0 src1_sel:DWORD
	s_andn2_b64 s[2:3], s[2:3], exec
	s_and_b64 s[14:15], s[14:15], exec
	v_mov_b32_e32 v24, 0
	s_or_b64 s[2:3], s[2:3], s[14:15]
	s_or_b64 exec, exec, s[12:13]
	s_and_saveexec_b64 s[12:13], s[2:3]
	s_cbranch_execnz .LBB251_302
	s_branch .LBB251_303
.LBB251_438:                            ;   in Loop: Header=BB251_265 Depth=1
	v_cmp_eq_u16_e64 s[2:3], s30, v4
	s_mov_b64 s[12:13], -1
                                        ; implicit-def: $sgpr24
	s_and_saveexec_b64 s[22:23], s[2:3]
; %bb.439:                              ;   in Loop: Header=BB251_265 Depth=1
	s_mov_b32 s24, 0x7fc02000
	s_xor_b64 s[12:13], exec, -1
; %bb.440:                              ;   in Loop: Header=BB251_265 Depth=1
	s_or_b64 exec, exec, s[22:23]
	s_and_b64 s[12:13], s[12:13], exec
	s_or_saveexec_b64 s[14:15], s[14:15]
	v_mov_b32_e32 v26, s24
	s_xor_b64 exec, exec, s[14:15]
	s_cbranch_execz .LBB251_305
.LBB251_441:                            ;   in Loop: Header=BB251_265 Depth=1
	v_cmp_ne_u16_e64 s[2:3], 0, v4
	s_andn2_b64 s[12:13], s[12:13], exec
	s_and_b64 s[2:3], s[2:3], exec
	v_mov_b32_e32 v26, 0
	s_or_b64 s[12:13], s[12:13], s[2:3]
	s_or_b64 exec, exec, s[14:15]
	s_and_saveexec_b64 s[14:15], s[12:13]
	s_cbranch_execnz .LBB251_306
	s_branch .LBB251_307
.LBB251_442:                            ;   in Loop: Header=BB251_265 Depth=1
	v_cmp_eq_u16_sdwa s[24:25], v4, s30 src0_sel:BYTE_0 src1_sel:DWORD
	s_mov_b64 s[2:3], -1
                                        ; implicit-def: $sgpr22
	s_and_saveexec_b64 s[14:15], s[24:25]
; %bb.443:                              ;   in Loop: Header=BB251_265 Depth=1
	s_mov_b32 s22, 0x7fc02000
	s_xor_b64 s[2:3], exec, -1
; %bb.444:                              ;   in Loop: Header=BB251_265 Depth=1
	s_or_b64 exec, exec, s[14:15]
	s_and_b64 s[2:3], s[2:3], exec
	s_or_saveexec_b64 s[12:13], s[12:13]
	v_mov_b32_e32 v25, s22
	s_xor_b64 exec, exec, s[12:13]
	s_cbranch_execz .LBB251_309
.LBB251_445:                            ;   in Loop: Header=BB251_265 Depth=1
	v_cmp_ne_u16_sdwa s[14:15], v4, v5 src0_sel:BYTE_0 src1_sel:DWORD
	s_andn2_b64 s[2:3], s[2:3], exec
	s_and_b64 s[14:15], s[14:15], exec
	v_mov_b32_e32 v25, 0
	s_or_b64 s[2:3], s[2:3], s[14:15]
	s_or_b64 exec, exec, s[12:13]
	s_and_saveexec_b64 s[12:13], s[2:3]
	s_cbranch_execnz .LBB251_310
	s_branch .LBB251_311
.LBB251_446:                            ;   in Loop: Header=BB251_265 Depth=1
	v_cmp_eq_u16_e64 s[2:3], s30, v4
	s_mov_b64 s[12:13], -1
                                        ; implicit-def: $sgpr24
	s_and_saveexec_b64 s[22:23], s[2:3]
; %bb.447:                              ;   in Loop: Header=BB251_265 Depth=1
	s_mov_b32 s24, 0x7fc02000
	s_xor_b64 s[12:13], exec, -1
; %bb.448:                              ;   in Loop: Header=BB251_265 Depth=1
	s_or_b64 exec, exec, s[22:23]
	s_and_b64 s[12:13], s[12:13], exec
	s_or_saveexec_b64 s[14:15], s[14:15]
	v_mov_b32_e32 v27, s24
	s_xor_b64 exec, exec, s[14:15]
	s_cbranch_execz .LBB251_313
.LBB251_449:                            ;   in Loop: Header=BB251_265 Depth=1
	v_cmp_ne_u16_e64 s[2:3], 0, v4
	s_andn2_b64 s[12:13], s[12:13], exec
	s_and_b64 s[2:3], s[2:3], exec
	v_mov_b32_e32 v27, 0
	s_or_b64 s[12:13], s[12:13], s[2:3]
	s_or_b64 exec, exec, s[14:15]
	s_and_saveexec_b64 s[14:15], s[12:13]
	s_cbranch_execnz .LBB251_314
	s_branch .LBB251_315
.LBB251_450:                            ;   in Loop: Header=BB251_265 Depth=1
	v_cmp_eq_u16_sdwa s[24:25], v23, s30 src0_sel:BYTE_0 src1_sel:DWORD
	s_mov_b64 s[2:3], -1
                                        ; implicit-def: $sgpr22
	s_and_saveexec_b64 s[14:15], s[24:25]
; %bb.451:                              ;   in Loop: Header=BB251_265 Depth=1
	s_mov_b32 s22, 0x7fc02000
	s_xor_b64 s[2:3], exec, -1
; %bb.452:                              ;   in Loop: Header=BB251_265 Depth=1
	s_or_b64 exec, exec, s[14:15]
	s_and_b64 s[2:3], s[2:3], exec
	s_or_saveexec_b64 s[12:13], s[12:13]
	v_mov_b32_e32 v22, s22
	s_xor_b64 exec, exec, s[12:13]
	s_cbranch_execz .LBB251_317
.LBB251_453:                            ;   in Loop: Header=BB251_265 Depth=1
	v_cmp_ne_u16_sdwa s[14:15], v23, v5 src0_sel:BYTE_0 src1_sel:DWORD
	s_andn2_b64 s[2:3], s[2:3], exec
	s_and_b64 s[14:15], s[14:15], exec
	v_mov_b32_e32 v22, 0
	s_or_b64 s[2:3], s[2:3], s[14:15]
	s_or_b64 exec, exec, s[12:13]
	v_mov_b32_e32 v4, v23
	s_and_saveexec_b64 s[12:13], s[2:3]
	s_cbranch_execnz .LBB251_318
	s_branch .LBB251_319
.LBB251_454:                            ;   in Loop: Header=BB251_265 Depth=1
	v_cmp_eq_u16_e64 s[2:3], s30, v4
	s_mov_b64 s[12:13], -1
                                        ; implicit-def: $sgpr24
	s_and_saveexec_b64 s[22:23], s[2:3]
; %bb.455:                              ;   in Loop: Header=BB251_265 Depth=1
	s_mov_b32 s24, 0x7fc02000
	s_xor_b64 s[12:13], exec, -1
; %bb.456:                              ;   in Loop: Header=BB251_265 Depth=1
	s_or_b64 exec, exec, s[22:23]
	s_and_b64 s[12:13], s[12:13], exec
	s_or_saveexec_b64 s[14:15], s[14:15]
	v_mov_b32_e32 v39, s24
	s_xor_b64 exec, exec, s[14:15]
	s_cbranch_execz .LBB251_321
.LBB251_457:                            ;   in Loop: Header=BB251_265 Depth=1
	v_cmp_ne_u16_e64 s[2:3], 0, v4
	s_andn2_b64 s[12:13], s[12:13], exec
	s_and_b64 s[2:3], s[2:3], exec
	v_mov_b32_e32 v39, 0
	s_or_b64 s[12:13], s[12:13], s[2:3]
	s_or_b64 exec, exec, s[14:15]
	s_and_saveexec_b64 s[14:15], s[12:13]
	s_cbranch_execnz .LBB251_322
	s_branch .LBB251_323
.LBB251_458:                            ;   in Loop: Header=BB251_265 Depth=1
	v_cmp_eq_u16_sdwa s[24:25], v4, s30 src0_sel:BYTE_0 src1_sel:DWORD
	s_mov_b64 s[2:3], -1
                                        ; implicit-def: $sgpr22
	s_and_saveexec_b64 s[14:15], s[24:25]
; %bb.459:                              ;   in Loop: Header=BB251_265 Depth=1
	s_mov_b32 s22, 0x7fc02000
	s_xor_b64 s[2:3], exec, -1
; %bb.460:                              ;   in Loop: Header=BB251_265 Depth=1
	s_or_b64 exec, exec, s[14:15]
	s_and_b64 s[2:3], s[2:3], exec
	s_or_saveexec_b64 s[12:13], s[12:13]
	v_mov_b32_e32 v40, s22
	s_xor_b64 exec, exec, s[12:13]
	s_cbranch_execz .LBB251_325
.LBB251_461:                            ;   in Loop: Header=BB251_265 Depth=1
	v_cmp_ne_u16_sdwa s[14:15], v4, v5 src0_sel:BYTE_0 src1_sel:DWORD
	s_andn2_b64 s[2:3], s[2:3], exec
	s_and_b64 s[14:15], s[14:15], exec
	v_mov_b32_e32 v40, 0
	s_or_b64 s[2:3], s[2:3], s[14:15]
	s_or_b64 exec, exec, s[12:13]
	s_and_saveexec_b64 s[12:13], s[2:3]
	s_cbranch_execnz .LBB251_326
	s_branch .LBB251_327
.LBB251_462:                            ;   in Loop: Header=BB251_265 Depth=1
	v_cmp_eq_u16_e64 s[2:3], s30, v4
	s_mov_b64 s[12:13], -1
                                        ; implicit-def: $sgpr24
	s_and_saveexec_b64 s[22:23], s[2:3]
; %bb.463:                              ;   in Loop: Header=BB251_265 Depth=1
	s_mov_b32 s24, 0x7fc02000
	s_xor_b64 s[12:13], exec, -1
; %bb.464:                              ;   in Loop: Header=BB251_265 Depth=1
	s_or_b64 exec, exec, s[22:23]
	s_and_b64 s[12:13], s[12:13], exec
	s_or_saveexec_b64 s[14:15], s[14:15]
	v_mov_b32_e32 v41, s24
	s_xor_b64 exec, exec, s[14:15]
	s_cbranch_execz .LBB251_329
.LBB251_465:                            ;   in Loop: Header=BB251_265 Depth=1
	v_cmp_ne_u16_e64 s[2:3], 0, v4
	s_andn2_b64 s[12:13], s[12:13], exec
	s_and_b64 s[2:3], s[2:3], exec
	v_mov_b32_e32 v41, 0
	s_or_b64 s[12:13], s[12:13], s[2:3]
	s_or_b64 exec, exec, s[14:15]
	s_and_saveexec_b64 s[14:15], s[12:13]
	s_cbranch_execnz .LBB251_330
	s_branch .LBB251_331
.LBB251_466:                            ;   in Loop: Header=BB251_265 Depth=1
	v_cmp_eq_u16_sdwa s[24:25], v22, s30 src0_sel:BYTE_0 src1_sel:DWORD
	s_mov_b64 s[2:3], -1
                                        ; implicit-def: $sgpr22
	s_and_saveexec_b64 s[14:15], s[24:25]
; %bb.467:                              ;   in Loop: Header=BB251_265 Depth=1
	s_mov_b32 s22, 0x7fc02000
	s_xor_b64 s[2:3], exec, -1
; %bb.468:                              ;   in Loop: Header=BB251_265 Depth=1
	s_or_b64 exec, exec, s[14:15]
	s_and_b64 s[2:3], s[2:3], exec
	s_or_saveexec_b64 s[12:13], s[12:13]
	v_mov_b32_e32 v18, s22
	s_xor_b64 exec, exec, s[12:13]
	s_cbranch_execz .LBB251_335
.LBB251_469:                            ;   in Loop: Header=BB251_265 Depth=1
	v_cmp_ne_u16_sdwa s[14:15], v22, v5 src0_sel:BYTE_0 src1_sel:DWORD
	s_andn2_b64 s[2:3], s[2:3], exec
	s_and_b64 s[14:15], s[14:15], exec
	v_mov_b32_e32 v18, 0
	s_or_b64 s[2:3], s[2:3], s[14:15]
	s_or_b64 exec, exec, s[12:13]
	s_and_saveexec_b64 s[12:13], s[2:3]
	s_cbranch_execnz .LBB251_336
	s_branch .LBB251_337
.LBB251_470:                            ;   in Loop: Header=BB251_265 Depth=1
	v_cmp_eq_u16_e64 s[2:3], s30, v4
	s_mov_b64 s[12:13], -1
                                        ; implicit-def: $sgpr24
	s_and_saveexec_b64 s[22:23], s[2:3]
; %bb.471:                              ;   in Loop: Header=BB251_265 Depth=1
	s_mov_b32 s24, 0x7fc02000
	s_xor_b64 s[12:13], exec, -1
; %bb.472:                              ;   in Loop: Header=BB251_265 Depth=1
	s_or_b64 exec, exec, s[22:23]
	s_and_b64 s[12:13], s[12:13], exec
	s_or_saveexec_b64 s[14:15], s[14:15]
	v_mov_b32_e32 v24, s24
	s_xor_b64 exec, exec, s[14:15]
	s_cbranch_execz .LBB251_339
.LBB251_473:                            ;   in Loop: Header=BB251_265 Depth=1
	v_cmp_ne_u16_e64 s[2:3], 0, v4
	s_andn2_b64 s[12:13], s[12:13], exec
	s_and_b64 s[2:3], s[2:3], exec
	v_mov_b32_e32 v24, 0
	s_or_b64 s[12:13], s[12:13], s[2:3]
	s_or_b64 exec, exec, s[14:15]
	s_and_saveexec_b64 s[14:15], s[12:13]
	s_cbranch_execnz .LBB251_340
	s_branch .LBB251_341
.LBB251_474:                            ;   in Loop: Header=BB251_265 Depth=1
	v_cmp_eq_u16_sdwa s[24:25], v4, s30 src0_sel:BYTE_0 src1_sel:DWORD
	s_mov_b64 s[2:3], -1
                                        ; implicit-def: $sgpr22
	s_and_saveexec_b64 s[14:15], s[24:25]
; %bb.475:                              ;   in Loop: Header=BB251_265 Depth=1
	s_mov_b32 s22, 0x7fc02000
	s_xor_b64 s[2:3], exec, -1
; %bb.476:                              ;   in Loop: Header=BB251_265 Depth=1
	s_or_b64 exec, exec, s[14:15]
	s_and_b64 s[2:3], s[2:3], exec
	s_or_saveexec_b64 s[12:13], s[12:13]
	v_mov_b32_e32 v19, s22
	s_xor_b64 exec, exec, s[12:13]
	s_cbranch_execz .LBB251_343
.LBB251_477:                            ;   in Loop: Header=BB251_265 Depth=1
	v_cmp_ne_u16_sdwa s[14:15], v4, v5 src0_sel:BYTE_0 src1_sel:DWORD
	s_andn2_b64 s[2:3], s[2:3], exec
	s_and_b64 s[14:15], s[14:15], exec
	v_mov_b32_e32 v19, 0
	s_or_b64 s[2:3], s[2:3], s[14:15]
	s_or_b64 exec, exec, s[12:13]
	s_and_saveexec_b64 s[12:13], s[2:3]
	s_cbranch_execnz .LBB251_344
	s_branch .LBB251_345
.LBB251_478:                            ;   in Loop: Header=BB251_265 Depth=1
	v_cmp_eq_u16_e64 s[2:3], s30, v4
	s_mov_b64 s[12:13], -1
                                        ; implicit-def: $sgpr24
	s_and_saveexec_b64 s[22:23], s[2:3]
; %bb.479:                              ;   in Loop: Header=BB251_265 Depth=1
	s_mov_b32 s24, 0x7fc02000
	s_xor_b64 s[12:13], exec, -1
; %bb.480:                              ;   in Loop: Header=BB251_265 Depth=1
	s_or_b64 exec, exec, s[22:23]
	s_and_b64 s[12:13], s[12:13], exec
	s_or_saveexec_b64 s[14:15], s[14:15]
	v_mov_b32_e32 v25, s24
	s_xor_b64 exec, exec, s[14:15]
	s_cbranch_execz .LBB251_347
.LBB251_481:                            ;   in Loop: Header=BB251_265 Depth=1
	v_cmp_ne_u16_e64 s[2:3], 0, v4
	s_andn2_b64 s[12:13], s[12:13], exec
	s_and_b64 s[2:3], s[2:3], exec
	v_mov_b32_e32 v25, 0
	s_or_b64 s[12:13], s[12:13], s[2:3]
	s_or_b64 exec, exec, s[14:15]
	s_and_saveexec_b64 s[14:15], s[12:13]
	s_cbranch_execnz .LBB251_348
	s_branch .LBB251_349
.LBB251_482:                            ;   in Loop: Header=BB251_265 Depth=1
	v_cmp_eq_u16_sdwa s[24:25], v23, s30 src0_sel:BYTE_0 src1_sel:DWORD
	s_mov_b64 s[2:3], -1
                                        ; implicit-def: $sgpr22
	s_and_saveexec_b64 s[14:15], s[24:25]
; %bb.483:                              ;   in Loop: Header=BB251_265 Depth=1
	s_mov_b32 s22, 0x7fc02000
	s_xor_b64 s[2:3], exec, -1
; %bb.484:                              ;   in Loop: Header=BB251_265 Depth=1
	s_or_b64 exec, exec, s[14:15]
	s_and_b64 s[2:3], s[2:3], exec
	s_or_saveexec_b64 s[12:13], s[12:13]
	v_mov_b32_e32 v22, s22
	s_xor_b64 exec, exec, s[12:13]
	s_cbranch_execz .LBB251_351
.LBB251_485:                            ;   in Loop: Header=BB251_265 Depth=1
	v_cmp_ne_u16_sdwa s[14:15], v23, v5 src0_sel:BYTE_0 src1_sel:DWORD
	s_andn2_b64 s[2:3], s[2:3], exec
	s_and_b64 s[14:15], s[14:15], exec
	v_mov_b32_e32 v22, 0
	s_or_b64 s[2:3], s[2:3], s[14:15]
	s_or_b64 exec, exec, s[12:13]
	v_mov_b32_e32 v4, v23
	s_and_saveexec_b64 s[12:13], s[2:3]
	s_cbranch_execnz .LBB251_352
	s_branch .LBB251_353
.LBB251_486:                            ;   in Loop: Header=BB251_265 Depth=1
	v_cmp_eq_u16_e64 s[2:3], s30, v4
	s_mov_b64 s[12:13], -1
                                        ; implicit-def: $sgpr24
	s_and_saveexec_b64 s[22:23], s[2:3]
; %bb.487:                              ;   in Loop: Header=BB251_265 Depth=1
	s_mov_b32 s24, 0x7fc02000
	s_xor_b64 s[12:13], exec, -1
; %bb.488:                              ;   in Loop: Header=BB251_265 Depth=1
	s_or_b64 exec, exec, s[22:23]
	s_and_b64 s[12:13], s[12:13], exec
	s_or_saveexec_b64 s[14:15], s[14:15]
	v_mov_b32_e32 v39, s24
	s_xor_b64 exec, exec, s[14:15]
	s_cbranch_execz .LBB251_355
.LBB251_489:                            ;   in Loop: Header=BB251_265 Depth=1
	v_cmp_ne_u16_e64 s[2:3], 0, v4
	s_andn2_b64 s[12:13], s[12:13], exec
	s_and_b64 s[2:3], s[2:3], exec
	v_mov_b32_e32 v39, 0
	s_or_b64 s[12:13], s[12:13], s[2:3]
	s_or_b64 exec, exec, s[14:15]
	s_and_saveexec_b64 s[14:15], s[12:13]
	s_cbranch_execnz .LBB251_356
	s_branch .LBB251_357
.LBB251_490:                            ;   in Loop: Header=BB251_265 Depth=1
	v_cmp_eq_u16_sdwa s[24:25], v4, s30 src0_sel:BYTE_0 src1_sel:DWORD
	s_mov_b64 s[2:3], -1
                                        ; implicit-def: $sgpr22
	s_and_saveexec_b64 s[14:15], s[24:25]
; %bb.491:                              ;   in Loop: Header=BB251_265 Depth=1
	s_mov_b32 s22, 0x7fc02000
	s_xor_b64 s[2:3], exec, -1
; %bb.492:                              ;   in Loop: Header=BB251_265 Depth=1
	s_or_b64 exec, exec, s[14:15]
	s_and_b64 s[2:3], s[2:3], exec
	s_or_saveexec_b64 s[12:13], s[12:13]
	v_mov_b32_e32 v40, s22
	s_xor_b64 exec, exec, s[12:13]
	s_cbranch_execz .LBB251_359
.LBB251_493:                            ;   in Loop: Header=BB251_265 Depth=1
	v_cmp_ne_u16_sdwa s[14:15], v4, v5 src0_sel:BYTE_0 src1_sel:DWORD
	s_andn2_b64 s[2:3], s[2:3], exec
	s_and_b64 s[14:15], s[14:15], exec
	v_mov_b32_e32 v40, 0
	s_or_b64 s[2:3], s[2:3], s[14:15]
	s_or_b64 exec, exec, s[12:13]
	s_and_saveexec_b64 s[12:13], s[2:3]
	s_cbranch_execnz .LBB251_360
	s_branch .LBB251_361
.LBB251_494:                            ;   in Loop: Header=BB251_265 Depth=1
	v_cmp_eq_u16_e64 s[2:3], s30, v4
	s_mov_b64 s[12:13], -1
                                        ; implicit-def: $sgpr24
	s_and_saveexec_b64 s[22:23], s[2:3]
; %bb.495:                              ;   in Loop: Header=BB251_265 Depth=1
	s_mov_b32 s24, 0x7fc02000
	s_xor_b64 s[12:13], exec, -1
; %bb.496:                              ;   in Loop: Header=BB251_265 Depth=1
	s_or_b64 exec, exec, s[22:23]
	s_and_b64 s[12:13], s[12:13], exec
	s_or_saveexec_b64 s[14:15], s[14:15]
	v_mov_b32_e32 v41, s24
	s_xor_b64 exec, exec, s[14:15]
	s_cbranch_execz .LBB251_363
.LBB251_497:                            ;   in Loop: Header=BB251_265 Depth=1
	v_cmp_ne_u16_e64 s[2:3], 0, v4
	s_andn2_b64 s[12:13], s[12:13], exec
	s_and_b64 s[2:3], s[2:3], exec
	v_mov_b32_e32 v41, 0
	s_or_b64 s[12:13], s[12:13], s[2:3]
	s_or_b64 exec, exec, s[14:15]
	s_and_saveexec_b64 s[14:15], s[12:13]
	s_cbranch_execnz .LBB251_364
	s_branch .LBB251_365
.LBB251_498:                            ;   in Loop: Header=BB251_265 Depth=1
	v_cmp_eq_u16_sdwa s[38:39], v18, s30 src0_sel:BYTE_0 src1_sel:DWORD
	s_mov_b64 s[2:3], -1
                                        ; implicit-def: $sgpr24
	s_and_saveexec_b64 s[22:23], s[38:39]
; %bb.499:                              ;   in Loop: Header=BB251_265 Depth=1
	s_mov_b32 s24, 0x7fc02000
	s_xor_b64 s[2:3], exec, -1
; %bb.500:                              ;   in Loop: Header=BB251_265 Depth=1
	s_or_b64 exec, exec, s[22:23]
	s_and_b64 s[2:3], s[2:3], exec
	s_or_saveexec_b64 s[14:15], s[14:15]
	v_mov_b32_e32 v20, s24
	s_xor_b64 exec, exec, s[14:15]
	s_cbranch_execz .LBB251_370
.LBB251_501:                            ;   in Loop: Header=BB251_265 Depth=1
	v_cmp_ne_u16_sdwa s[22:23], v18, v5 src0_sel:BYTE_0 src1_sel:DWORD
	s_andn2_b64 s[2:3], s[2:3], exec
	s_and_b64 s[22:23], s[22:23], exec
	v_mov_b32_e32 v20, 0
	s_or_b64 s[2:3], s[2:3], s[22:23]
	s_or_b64 exec, exec, s[14:15]
	s_and_saveexec_b64 s[14:15], s[2:3]
	s_cbranch_execnz .LBB251_371
	s_branch .LBB251_372
.LBB251_502:                            ;   in Loop: Header=BB251_265 Depth=1
	v_cmp_eq_u16_e64 s[2:3], s30, v4
	s_mov_b64 s[14:15], -1
                                        ; implicit-def: $sgpr38
	s_and_saveexec_b64 s[24:25], s[2:3]
; %bb.503:                              ;   in Loop: Header=BB251_265 Depth=1
	s_mov_b32 s38, 0x7fc02000
	s_xor_b64 s[14:15], exec, -1
; %bb.504:                              ;   in Loop: Header=BB251_265 Depth=1
	s_or_b64 exec, exec, s[24:25]
	s_and_b64 s[14:15], s[14:15], exec
	s_or_saveexec_b64 s[22:23], s[22:23]
	v_mov_b32_e32 v22, s38
	s_xor_b64 exec, exec, s[22:23]
	s_cbranch_execz .LBB251_374
.LBB251_505:                            ;   in Loop: Header=BB251_265 Depth=1
	v_cmp_ne_u16_e64 s[2:3], 0, v4
	s_andn2_b64 s[14:15], s[14:15], exec
	s_and_b64 s[2:3], s[2:3], exec
	v_mov_b32_e32 v22, 0
	s_or_b64 s[14:15], s[14:15], s[2:3]
	s_or_b64 exec, exec, s[22:23]
	s_and_saveexec_b64 s[22:23], s[14:15]
	s_cbranch_execnz .LBB251_375
	s_branch .LBB251_376
.LBB251_506:                            ;   in Loop: Header=BB251_265 Depth=1
	v_cmp_eq_u16_sdwa s[38:39], v4, s30 src0_sel:BYTE_0 src1_sel:DWORD
	s_mov_b64 s[2:3], -1
                                        ; implicit-def: $sgpr24
	s_and_saveexec_b64 s[22:23], s[38:39]
; %bb.507:                              ;   in Loop: Header=BB251_265 Depth=1
	s_mov_b32 s24, 0x7fc02000
	s_xor_b64 s[2:3], exec, -1
; %bb.508:                              ;   in Loop: Header=BB251_265 Depth=1
	s_or_b64 exec, exec, s[22:23]
	s_and_b64 s[2:3], s[2:3], exec
	s_or_saveexec_b64 s[14:15], s[14:15]
	v_mov_b32_e32 v21, s24
	s_xor_b64 exec, exec, s[14:15]
	s_cbranch_execz .LBB251_378
.LBB251_509:                            ;   in Loop: Header=BB251_265 Depth=1
	v_cmp_ne_u16_sdwa s[22:23], v4, v5 src0_sel:BYTE_0 src1_sel:DWORD
	s_andn2_b64 s[2:3], s[2:3], exec
	s_and_b64 s[22:23], s[22:23], exec
	v_mov_b32_e32 v21, 0
	s_or_b64 s[2:3], s[2:3], s[22:23]
	s_or_b64 exec, exec, s[14:15]
	s_and_saveexec_b64 s[14:15], s[2:3]
	s_cbranch_execnz .LBB251_379
	s_branch .LBB251_380
.LBB251_510:                            ;   in Loop: Header=BB251_265 Depth=1
	v_cmp_eq_u16_e64 s[2:3], s30, v4
	s_mov_b64 s[14:15], -1
                                        ; implicit-def: $sgpr38
	s_and_saveexec_b64 s[24:25], s[2:3]
; %bb.511:                              ;   in Loop: Header=BB251_265 Depth=1
	s_mov_b32 s38, 0x7fc02000
	s_xor_b64 s[14:15], exec, -1
; %bb.512:                              ;   in Loop: Header=BB251_265 Depth=1
	s_or_b64 exec, exec, s[24:25]
	s_and_b64 s[14:15], s[14:15], exec
	s_or_saveexec_b64 s[22:23], s[22:23]
	v_mov_b32_e32 v23, s38
	s_xor_b64 exec, exec, s[22:23]
	s_cbranch_execz .LBB251_382
.LBB251_513:                            ;   in Loop: Header=BB251_265 Depth=1
	v_cmp_ne_u16_e64 s[2:3], 0, v4
	s_andn2_b64 s[14:15], s[14:15], exec
	s_and_b64 s[2:3], s[2:3], exec
	v_mov_b32_e32 v23, 0
	s_or_b64 s[14:15], s[14:15], s[2:3]
	s_or_b64 exec, exec, s[22:23]
	s_and_saveexec_b64 s[22:23], s[14:15]
	s_cbranch_execnz .LBB251_383
	s_branch .LBB251_384
.LBB251_514:                            ;   in Loop: Header=BB251_265 Depth=1
	v_cmp_eq_u16_sdwa s[38:39], v19, s30 src0_sel:BYTE_0 src1_sel:DWORD
	s_mov_b64 s[2:3], -1
                                        ; implicit-def: $sgpr24
	s_and_saveexec_b64 s[22:23], s[38:39]
; %bb.515:                              ;   in Loop: Header=BB251_265 Depth=1
	s_mov_b32 s24, 0x7fc02000
	s_xor_b64 s[2:3], exec, -1
; %bb.516:                              ;   in Loop: Header=BB251_265 Depth=1
	s_or_b64 exec, exec, s[22:23]
	s_and_b64 s[2:3], s[2:3], exec
	s_or_saveexec_b64 s[14:15], s[14:15]
	v_mov_b32_e32 v17, s24
	s_xor_b64 exec, exec, s[14:15]
	s_cbranch_execz .LBB251_386
.LBB251_517:                            ;   in Loop: Header=BB251_265 Depth=1
	v_cmp_ne_u16_sdwa s[22:23], v19, v5 src0_sel:BYTE_0 src1_sel:DWORD
	s_andn2_b64 s[2:3], s[2:3], exec
	s_and_b64 s[22:23], s[22:23], exec
	v_mov_b32_e32 v17, 0
	s_or_b64 s[2:3], s[2:3], s[22:23]
	s_or_b64 exec, exec, s[14:15]
	v_mov_b32_e32 v4, v19
	s_and_saveexec_b64 s[14:15], s[2:3]
	s_cbranch_execnz .LBB251_387
	s_branch .LBB251_388
.LBB251_518:                            ;   in Loop: Header=BB251_265 Depth=1
	v_cmp_eq_u16_e64 s[2:3], s30, v4
	s_mov_b64 s[14:15], -1
                                        ; implicit-def: $sgpr38
	s_and_saveexec_b64 s[24:25], s[2:3]
; %bb.519:                              ;   in Loop: Header=BB251_265 Depth=1
	s_mov_b32 s38, 0x7fc02000
	s_xor_b64 s[14:15], exec, -1
; %bb.520:                              ;   in Loop: Header=BB251_265 Depth=1
	s_or_b64 exec, exec, s[24:25]
	s_and_b64 s[14:15], s[14:15], exec
	s_or_saveexec_b64 s[22:23], s[22:23]
	v_mov_b32_e32 v18, s38
	s_xor_b64 exec, exec, s[22:23]
	s_cbranch_execz .LBB251_390
.LBB251_521:                            ;   in Loop: Header=BB251_265 Depth=1
	v_cmp_ne_u16_e64 s[2:3], 0, v4
	s_andn2_b64 s[14:15], s[14:15], exec
	s_and_b64 s[2:3], s[2:3], exec
	v_mov_b32_e32 v18, 0
	s_or_b64 s[14:15], s[14:15], s[2:3]
	s_or_b64 exec, exec, s[22:23]
	s_and_saveexec_b64 s[22:23], s[14:15]
	s_cbranch_execnz .LBB251_391
	s_branch .LBB251_392
.LBB251_522:                            ;   in Loop: Header=BB251_265 Depth=1
	v_cmp_eq_u16_sdwa s[38:39], v4, s30 src0_sel:BYTE_0 src1_sel:DWORD
	s_mov_b64 s[2:3], -1
                                        ; implicit-def: $sgpr24
	s_and_saveexec_b64 s[22:23], s[38:39]
; %bb.523:                              ;   in Loop: Header=BB251_265 Depth=1
	s_mov_b32 s24, 0x7fc02000
	s_xor_b64 s[2:3], exec, -1
; %bb.524:                              ;   in Loop: Header=BB251_265 Depth=1
	s_or_b64 exec, exec, s[22:23]
	s_and_b64 s[2:3], s[2:3], exec
	s_or_saveexec_b64 s[14:15], s[14:15]
	v_mov_b32_e32 v24, s24
	s_xor_b64 exec, exec, s[14:15]
	s_cbranch_execz .LBB251_394
.LBB251_525:                            ;   in Loop: Header=BB251_265 Depth=1
	v_cmp_ne_u16_sdwa s[22:23], v4, v5 src0_sel:BYTE_0 src1_sel:DWORD
	s_andn2_b64 s[2:3], s[2:3], exec
	s_and_b64 s[22:23], s[22:23], exec
	v_mov_b32_e32 v24, 0
	s_or_b64 s[2:3], s[2:3], s[22:23]
	s_or_b64 exec, exec, s[14:15]
	s_and_saveexec_b64 s[14:15], s[2:3]
	s_cbranch_execnz .LBB251_395
	s_branch .LBB251_396
.LBB251_526:                            ;   in Loop: Header=BB251_265 Depth=1
	v_cmp_eq_u16_e64 s[2:3], s30, v4
	s_mov_b64 s[14:15], -1
                                        ; implicit-def: $sgpr38
	s_and_saveexec_b64 s[24:25], s[2:3]
; %bb.527:                              ;   in Loop: Header=BB251_265 Depth=1
	s_mov_b32 s38, 0x7fc02000
	s_xor_b64 s[14:15], exec, -1
; %bb.528:                              ;   in Loop: Header=BB251_265 Depth=1
	s_or_b64 exec, exec, s[24:25]
	s_and_b64 s[14:15], s[14:15], exec
	s_or_saveexec_b64 s[22:23], s[22:23]
	v_mov_b32_e32 v25, s38
	s_xor_b64 exec, exec, s[22:23]
	s_cbranch_execz .LBB251_398
.LBB251_529:                            ;   in Loop: Header=BB251_265 Depth=1
	v_cmp_ne_u16_e64 s[2:3], 0, v4
	s_andn2_b64 s[14:15], s[14:15], exec
	s_and_b64 s[2:3], s[2:3], exec
	v_mov_b32_e32 v25, 0
	s_or_b64 s[14:15], s[14:15], s[2:3]
	s_or_b64 exec, exec, s[22:23]
	s_and_saveexec_b64 s[22:23], s[14:15]
	s_cbranch_execnz .LBB251_399
	s_branch .LBB251_400
.LBB251_530:
	s_or_b64 exec, exec, s[6:7]
.LBB251_531:
	s_or_b64 exec, exec, s[8:9]
	ds_bpermute_b32 v2, v28, v10
	ds_bpermute_b32 v3, v28, v11
	;; [unrolled: 1-line block ×4, first 2 shown]
	v_and_b32_e32 v1, 0x3c0, v0
	v_cmp_eq_u32_e32 vcc, 64, v1
	s_waitcnt lgkmcnt(2)
	v_pk_add_f32 v[4:5], v[10:11], v[2:3]
	s_waitcnt lgkmcnt(0)
	v_pk_add_f32 v[2:3], v[6:7], v[8:9]
	s_barrier
	s_and_saveexec_b64 s[2:3], vcc
	s_cbranch_execz .LBB251_536
; %bb.532:
	v_cmp_eq_u32_e32 vcc, 0, v29
	s_and_saveexec_b64 s[0:1], vcc
	s_cbranch_execz .LBB251_534
; %bb.533:
	v_mov_b32_e32 v1, 0xf0
	v_lshl_add_u32 v1, v30, 2, v1
	ds_write2_b32 v1, v4, v5 offset1:32
	ds_write_b32 v1, v2 offset:256
.LBB251_534:
	s_or_b64 exec, exec, s[0:1]
	v_or_b32_e32 v1, 0x60, v30
	s_movk_i32 s0, 0x70
	v_cmp_gt_u32_e64 s[0:1], s0, v1
	s_and_b64 s[0:1], vcc, s[0:1]
	s_and_b64 exec, exec, s[0:1]
	s_cbranch_execz .LBB251_536
; %bb.535:
	v_mov_b32_e32 v1, 0xf0
	v_lshl_add_u32 v1, v30, 2, v1
	ds_write_b32 v1, v3 offset:384
.LBB251_536:
	s_or_b64 exec, exec, s[2:3]
	v_cmp_gt_u32_e32 vcc, 64, v0
	v_lshrrev_b32_e32 v0, 1, v0
	s_waitcnt lgkmcnt(0)
	s_barrier
	s_and_saveexec_b64 s[6:7], vcc
	s_cbranch_execz .LBB251_544
; %bb.537:
	v_cmp_eq_u32_e64 s[0:1], 0, v29
	s_and_saveexec_b64 s[2:3], s[0:1]
	s_cbranch_execnz .LBB251_550
; %bb.538:
	s_or_b64 exec, exec, s[2:3]
	s_and_saveexec_b64 s[2:3], s[0:1]
	s_cbranch_execnz .LBB251_551
.LBB251_539:
	s_or_b64 exec, exec, s[2:3]
	s_and_saveexec_b64 s[2:3], s[0:1]
	s_cbranch_execz .LBB251_541
.LBB251_540:
	v_mov_b32_e32 v1, 0xf0
	v_lshl_add_u32 v1, v0, 2, v1
	ds_read_b32 v1, v1 offset:256
	s_waitcnt lgkmcnt(0)
	v_add_f32_e32 v2, v2, v1
.LBB251_541:
	s_or_b64 exec, exec, s[2:3]
	v_or_b32_e32 v1, 0x60, v0
	s_movk_i32 s2, 0x70
	v_cmp_gt_u32_e64 s[2:3], s2, v1
	s_and_b64 s[2:3], s[0:1], s[2:3]
	s_and_saveexec_b64 s[0:1], s[2:3]
	s_cbranch_execz .LBB251_543
; %bb.542:
	v_mov_b32_e32 v1, 0xf0
	v_lshl_add_u32 v1, v0, 2, v1
	ds_read_b32 v1, v1 offset:384
	s_waitcnt lgkmcnt(0)
	v_add_f32_e32 v3, v3, v1
.LBB251_543:
	s_or_b64 exec, exec, s[0:1]
.LBB251_544:
	s_or_b64 exec, exec, s[6:7]
	s_barrier
	s_and_saveexec_b64 s[0:1], vcc
	s_cbranch_execz .LBB251_549
; %bb.545:
	s_mul_i32 s0, s16, s17
	s_mul_i32 s0, s0, s5
	s_mulk_i32 s0, 0x70
	s_ashr_i32 s1, s0, 31
	s_lshl_b64 s[0:1], s[0:1], 1
	s_add_u32 s2, s20, s0
	s_mul_i32 s0, s17, s18
	s_addc_u32 s3, s21, s1
	s_ashr_i32 s1, s0, 31
	s_lshl_b64 s[0:1], s[0:1], 1
	s_add_u32 s2, s2, s0
	s_mul_i32 s0, s4, 0x70
	s_addc_u32 s3, s3, s1
	s_ashr_i32 s1, s0, 31
	s_lshl_b64 s[0:1], s[0:1], 1
	s_add_u32 s2, s2, s0
	s_movk_i32 s5, 0x70
	s_addc_u32 s3, s3, s1
	v_cmp_eq_u32_e32 vcc, 0, v29
	v_lshlrev_b32_e32 v1, 1, v0
	s_and_saveexec_b64 s[0:1], vcc
	s_cbranch_execz .LBB251_547
; %bb.546:
	;;#ASMSTART
	v_cvt_f16_f32 v4, v4;

	;;#ASMEND
	global_store_short v1, v4, s[2:3]
	;;#ASMSTART
	v_cvt_f16_f32 v4, v5;

	;;#ASMEND
	global_store_short v1, v4, s[2:3] offset:64
	;;#ASMSTART
	v_cvt_f16_f32 v2, v2;

	;;#ASMEND
	global_store_short v1, v2, s[2:3] offset:128
.LBB251_547:
	s_or_b64 exec, exec, s[0:1]
	v_or_b32_e32 v0, 0x60, v0
	v_cmp_gt_u32_e64 s[0:1], s5, v0
	s_and_b64 s[0:1], vcc, s[0:1]
	s_and_b64 exec, exec, s[0:1]
	s_cbranch_execz .LBB251_549
; %bb.548:
	;;#ASMSTART
	v_cvt_f16_f32 v0, v3;

	;;#ASMEND
	global_store_short v1, v0, s[2:3] offset:192
.LBB251_549:
	s_endpgm
.LBB251_550:
	v_mov_b32_e32 v1, 0xf0
	v_lshl_add_u32 v1, v0, 2, v1
	ds_read_b32 v1, v1
	s_waitcnt lgkmcnt(0)
	v_add_f32_e32 v4, v4, v1
	s_or_b64 exec, exec, s[2:3]
	s_and_saveexec_b64 s[2:3], s[0:1]
	s_cbranch_execz .LBB251_539
.LBB251_551:
	v_mov_b32_e32 v1, 0xf0
	v_lshl_add_u32 v1, v0, 2, v1
	ds_read_b32 v1, v1 offset:128
	s_waitcnt lgkmcnt(0)
	v_add_f32_e32 v5, v5, v1
	s_or_b64 exec, exec, s[2:3]
	s_and_saveexec_b64 s[2:3], s[0:1]
	s_cbranch_execnz .LBB251_540
	s_branch .LBB251_541
	.section	.rodata,"a",@progbits
	.p2align	6, 0x0
	.amdhsa_kernel _ZN4vllm25paged_attention_v1_kernelIthLi112ELi16ELi128ELNS_18Fp8KVCacheDataTypeE1ELb0EEEvPT_PKS2_PKT0_S8_ifPKiSA_iPKfiiiSC_SC_iiiii
		.amdhsa_group_segment_fixed_size 240
		.amdhsa_private_segment_fixed_size 0
		.amdhsa_kernarg_size 384
		.amdhsa_user_sgpr_count 2
		.amdhsa_user_sgpr_dispatch_ptr 0
		.amdhsa_user_sgpr_queue_ptr 0
		.amdhsa_user_sgpr_kernarg_segment_ptr 1
		.amdhsa_user_sgpr_dispatch_id 0
		.amdhsa_user_sgpr_kernarg_preload_length 0
		.amdhsa_user_sgpr_kernarg_preload_offset 0
		.amdhsa_user_sgpr_private_segment_size 0
		.amdhsa_uses_dynamic_stack 0
		.amdhsa_enable_private_segment 0
		.amdhsa_system_sgpr_workgroup_id_x 1
		.amdhsa_system_sgpr_workgroup_id_y 1
		.amdhsa_system_sgpr_workgroup_id_z 1
		.amdhsa_system_sgpr_workgroup_info 0
		.amdhsa_system_vgpr_workitem_id 0
		.amdhsa_next_free_vgpr 61
		.amdhsa_next_free_sgpr 48
		.amdhsa_accum_offset 64
		.amdhsa_reserve_vcc 1
		.amdhsa_float_round_mode_32 0
		.amdhsa_float_round_mode_16_64 0
		.amdhsa_float_denorm_mode_32 3
		.amdhsa_float_denorm_mode_16_64 3
		.amdhsa_dx10_clamp 1
		.amdhsa_ieee_mode 1
		.amdhsa_fp16_overflow 0
		.amdhsa_tg_split 0
		.amdhsa_exception_fp_ieee_invalid_op 0
		.amdhsa_exception_fp_denorm_src 0
		.amdhsa_exception_fp_ieee_div_zero 0
		.amdhsa_exception_fp_ieee_overflow 0
		.amdhsa_exception_fp_ieee_underflow 0
		.amdhsa_exception_fp_ieee_inexact 0
		.amdhsa_exception_int_div_zero 0
	.end_amdhsa_kernel
	.section	.text._ZN4vllm25paged_attention_v1_kernelIthLi112ELi16ELi128ELNS_18Fp8KVCacheDataTypeE1ELb0EEEvPT_PKS2_PKT0_S8_ifPKiSA_iPKfiiiSC_SC_iiiii,"axG",@progbits,_ZN4vllm25paged_attention_v1_kernelIthLi112ELi16ELi128ELNS_18Fp8KVCacheDataTypeE1ELb0EEEvPT_PKS2_PKT0_S8_ifPKiSA_iPKfiiiSC_SC_iiiii,comdat
.Lfunc_end251:
	.size	_ZN4vllm25paged_attention_v1_kernelIthLi112ELi16ELi128ELNS_18Fp8KVCacheDataTypeE1ELb0EEEvPT_PKS2_PKT0_S8_ifPKiSA_iPKfiiiSC_SC_iiiii, .Lfunc_end251-_ZN4vllm25paged_attention_v1_kernelIthLi112ELi16ELi128ELNS_18Fp8KVCacheDataTypeE1ELb0EEEvPT_PKS2_PKT0_S8_ifPKiSA_iPKfiiiSC_SC_iiiii
                                        ; -- End function
	.section	.AMDGPU.csdata,"",@progbits
; Kernel info:
; codeLenInByte = 22232
; NumSgprs: 54
; NumVgprs: 61
; NumAgprs: 0
; TotalNumVgprs: 61
; ScratchSize: 0
; MemoryBound: 0
; FloatMode: 240
; IeeeMode: 1
; LDSByteSize: 240 bytes/workgroup (compile time only)
; SGPRBlocks: 6
; VGPRBlocks: 7
; NumSGPRsForWavesPerEU: 54
; NumVGPRsForWavesPerEU: 61
; AccumOffset: 64
; Occupancy: 8
; WaveLimiterHint : 1
; COMPUTE_PGM_RSRC2:SCRATCH_EN: 0
; COMPUTE_PGM_RSRC2:USER_SGPR: 2
; COMPUTE_PGM_RSRC2:TRAP_HANDLER: 0
; COMPUTE_PGM_RSRC2:TGID_X_EN: 1
; COMPUTE_PGM_RSRC2:TGID_Y_EN: 1
; COMPUTE_PGM_RSRC2:TGID_Z_EN: 1
; COMPUTE_PGM_RSRC2:TIDIG_COMP_CNT: 0
; COMPUTE_PGM_RSRC3_GFX90A:ACCUM_OFFSET: 15
; COMPUTE_PGM_RSRC3_GFX90A:TG_SPLIT: 0
	.section	.text._ZN4vllm25paged_attention_v1_kernelIthLi120ELi16ELi128ELNS_18Fp8KVCacheDataTypeE1ELb0EEEvPT_PKS2_PKT0_S8_ifPKiSA_iPKfiiiSC_SC_iiiii,"axG",@progbits,_ZN4vllm25paged_attention_v1_kernelIthLi120ELi16ELi128ELNS_18Fp8KVCacheDataTypeE1ELb0EEEvPT_PKS2_PKT0_S8_ifPKiSA_iPKfiiiSC_SC_iiiii,comdat
	.protected	_ZN4vllm25paged_attention_v1_kernelIthLi120ELi16ELi128ELNS_18Fp8KVCacheDataTypeE1ELb0EEEvPT_PKS2_PKT0_S8_ifPKiSA_iPKfiiiSC_SC_iiiii ; -- Begin function _ZN4vllm25paged_attention_v1_kernelIthLi120ELi16ELi128ELNS_18Fp8KVCacheDataTypeE1ELb0EEEvPT_PKS2_PKT0_S8_ifPKiSA_iPKfiiiSC_SC_iiiii
	.globl	_ZN4vllm25paged_attention_v1_kernelIthLi120ELi16ELi128ELNS_18Fp8KVCacheDataTypeE1ELb0EEEvPT_PKS2_PKT0_S8_ifPKiSA_iPKfiiiSC_SC_iiiii
	.p2align	8
	.type	_ZN4vllm25paged_attention_v1_kernelIthLi120ELi16ELi128ELNS_18Fp8KVCacheDataTypeE1ELb0EEEvPT_PKS2_PKT0_S8_ifPKiSA_iPKfiiiSC_SC_iiiii,@function
_ZN4vllm25paged_attention_v1_kernelIthLi120ELi16ELi128ELNS_18Fp8KVCacheDataTypeE1ELb0EEEvPT_PKS2_PKT0_S8_ifPKiSA_iPKfiiiSC_SC_iiiii: ; @_ZN4vllm25paged_attention_v1_kernelIthLi120ELi16ELi128ELNS_18Fp8KVCacheDataTypeE1ELb0EEEvPT_PKS2_PKT0_S8_ifPKiSA_iPKfiiiSC_SC_iiiii
; %bb.0:
	s_load_dword s5, s[0:1], 0x80
	s_load_dwordx2 s[6:7], s[0:1], 0x30
	s_load_dwordx2 s[28:29], s[0:1], 0x20
	s_mov_b32 s16, s3
	s_ashr_i32 s17, s3, 31
	s_lshl_b64 s[8:9], s[16:17], 2
	s_waitcnt lgkmcnt(0)
	s_add_u32 s6, s6, s8
	s_addc_u32 s7, s7, s9
	s_abs_i32 s3, s28
	v_cvt_f32_u32_e32 v1, s3
	s_sub_i32 s10, 0, s3
	s_abs_i32 s9, s5
	s_xor_b32 s8, s5, s28
	v_rcp_iflag_f32_e32 v1, v1
	s_ashr_i32 s8, s8, 31
	s_mov_b32 s28, 0
	v_mul_f32_e32 v1, 0x4f7ffffe, v1
	v_cvt_u32_f32_e32 v1, v1
	s_nop 0
	v_readfirstlane_b32 s11, v1
	s_mul_i32 s10, s10, s11
	s_mul_hi_u32 s10, s11, s10
	s_add_i32 s11, s11, s10
	s_mul_hi_u32 s10, s9, s11
	s_mul_i32 s11, s10, s3
	s_sub_i32 s9, s9, s11
	s_add_i32 s11, s10, 1
	s_sub_i32 s12, s9, s3
	s_cmp_ge_u32 s9, s3
	s_cselect_b32 s10, s11, s10
	s_cselect_b32 s9, s12, s9
	s_add_i32 s11, s10, 1
	s_cmp_ge_u32 s9, s3
	s_cselect_b32 s3, s11, s10
	s_xor_b32 s3, s3, s8
	s_sub_i32 s18, s3, s8
	s_abs_i32 s10, s18
	v_cvt_f32_u32_e32 v1, s10
	s_load_dwordx2 s[8:9], s[0:1], 0x40
	s_sub_i32 s3, 0, s10
	s_abs_i32 s11, s2
	v_rcp_iflag_f32_e32 v1, v1
	s_nop 0
	v_mul_f32_e32 v1, 0x4f7ffffe, v1
	v_cvt_u32_f32_e32 v1, v1
	s_nop 0
	v_readfirstlane_b32 s12, v1
	s_mul_i32 s3, s3, s12
	s_mul_hi_u32 s3, s12, s3
	s_add_i32 s12, s12, s3
	s_waitcnt lgkmcnt(0)
	s_cmp_eq_u64 s[8:9], 0
	s_mul_hi_u32 s17, s11, s12
	s_cbranch_scc1 .LBB252_2
; %bb.1:
	s_ashr_i32 s3, s2, 31
	s_lshl_b64 s[12:13], s[2:3], 2
	s_add_u32 s8, s8, s12
	s_addc_u32 s9, s9, s13
	s_load_dword s28, s[8:9], 0x0
.LBB252_2:
	s_load_dword s33, s[6:7], 0x0
	s_load_dwordx4 s[12:15], s[0:1], 0x48
	s_ashr_i32 s6, s2, 31
	s_ashr_i32 s7, s18, 31
	v_and_b32_e32 v7, 3, v0
	s_mul_i32 s18, s2, 0x78
	v_cmp_gt_u32_e32 vcc, 60, v0
	s_and_saveexec_b64 s[2:3], vcc
	s_cbranch_execz .LBB252_4
; %bb.3:
	s_load_dwordx2 s[8:9], s[0:1], 0x8
	s_waitcnt lgkmcnt(0)
	s_mul_i32 s20, s16, s12
	s_ashr_i32 s21, s20, 31
	s_lshl_b64 s[20:21], s[20:21], 1
	v_lshlrev_b32_e32 v1, 2, v0
	s_add_u32 s12, s8, s20
	s_addc_u32 s15, s9, s21
	s_ashr_i32 s19, s18, 31
	s_lshl_b64 s[8:9], s[18:19], 1
	s_add_u32 s8, s12, s8
	s_addc_u32 s9, s15, s9
	global_load_dword v1, v1, s[8:9]
	v_and_b32_e32 v2, 0x3fc, v0
	v_mad_u32_u24 v2, v7, 60, v2
	s_waitcnt vmcnt(0)
	ds_write_b32 v2, v1
.LBB252_4:
	s_or_b64 exec, exec, s[2:3]
	s_waitcnt lgkmcnt(0)
	s_add_i32 s3, s33, 15
	s_ashr_i32 s8, s3, 31
	s_lshr_b32 s8, s8, 28
	s_add_i32 s3, s3, s8
	s_ashr_i32 s19, s3, 4
	s_xor_b32 s3, s6, s7
	s_mul_i32 s6, s17, s10
	s_sub_i32 s6, s11, s6
	s_add_i32 s7, s17, 1
	s_sub_i32 s8, s6, s10
	s_load_dwordx2 s[22:23], s[0:1], 0x28
	s_load_dword s2, s[0:1], 0x38
	s_cmp_ge_u32 s6, s10
	s_cselect_b32 s7, s7, s17
	s_cselect_b32 s6, s8, s6
	s_add_i32 s8, s7, 1
	s_cmp_ge_u32 s6, s10
	s_cselect_b32 s6, s8, s7
	v_lshrrev_b32_e32 v1, 6, v0
	s_xor_b32 s6, s6, s3
	s_waitcnt lgkmcnt(0)
	s_mul_i32 s24, s16, s2
	s_sub_i32 s12, s6, s3
	s_ashr_i32 s25, s24, 31
	v_cmp_gt_i32_e64 s[6:7], s19, v1
	v_cmp_le_i32_e32 vcc, s19, v1
	v_mbcnt_lo_u32_b32 v10, -1, 0
	s_barrier
	s_waitcnt lgkmcnt(0)
                                        ; implicit-def: $sgpr15
                                        ; implicit-def: $vgpr13
                                        ; implicit-def: $vgpr2
	s_and_saveexec_b64 s[2:3], vcc
	s_xor_b64 s[2:3], exec, s[2:3]
; %bb.5:
	v_mbcnt_hi_u32_b32 v13, -1, v10
	v_and_b32_e32 v2, 64, v13
	v_add_u32_e32 v2, 64, v2
	s_mov_b32 s15, 0xff7fffff
                                        ; implicit-def: $vgpr7
                                        ; implicit-def: $vgpr10
; %bb.6:
	s_or_saveexec_b64 s[30:31], s[2:3]
	s_load_dwordx2 s[20:21], s[0:1], 0x0
	s_load_dwordx2 s[26:27], s[0:1], 0x18
	s_load_dword s17, s[0:1], 0x88
	s_load_dwordx4 s[8:11], s[0:1], 0x58
	v_mov_b32_e32 v14, s15
	s_mul_i32 s12, s12, s14
	v_lshrrev_b32_e32 v12, 4, v0
	s_xor_b64 exec, exec, s[30:31]
	s_cbranch_execz .LBB252_252
; %bb.7:
	s_load_dwordx2 s[0:1], s[0:1], 0x10
	s_ashr_i32 s2, s12, 31
	v_bfe_u32 v8, v0, 2, 4
	v_lshlrev_b32_e32 v2, 4, v8
	v_mov_b32_e32 v3, 0
	s_waitcnt lgkmcnt(0)
	s_add_u32 s0, s0, s12
	s_addc_u32 s1, s1, s2
	v_lshl_add_u64 v[4:5], s[0:1], 0, v[2:3]
	s_sub_i32 s41, 1, s33
	v_lshlrev_b32_e32 v2, 2, v8
	s_lshl_b64 s[0:1], s[24:25], 2
	v_lshl_or_b32 v2, v1, 6, v2
	s_add_u32 s0, s22, s0
	v_add_u32_e32 v17, 0x100, v2
	v_and_b32_e32 v2, 60, v12
	s_addc_u32 s1, s23, s1
	s_mov_b32 s40, s13
	v_lshlrev_b32_e32 v6, 1, v7
	v_mul_u32_u24_e32 v15, 60, v7
	v_cmp_eq_u32_e32 vcc, 0, v7
	v_cmp_neq_f32_e64 s[2:3], s28, 0
	v_mov_b32_e32 v7, v3
	v_lshl_or_b32 v16, v1, 4, v8
	v_lshl_add_u64 v[8:9], s[0:1], 0, v[2:3]
	s_mov_b64 s[14:15], 0
	v_mov_b32_e32 v14, 0xff7fffff
	s_movk_i32 s42, 0x7f
	s_movk_i32 s43, 0x80
	s_mov_b32 s44, 0x8000
	v_mbcnt_hi_u32_b32 v13, -1, v10
	v_mov_b32_e32 v18, 0x1c00
	v_mov_b32_e32 v19, v1
	s_branch .LBB252_9
.LBB252_8:                              ;   in Loop: Header=BB252_9 Depth=1
	s_or_b64 exec, exec, s[34:35]
	v_add_u32_e32 v19, 2, v19
	v_cmp_le_i32_e64 s[0:1], s19, v19
	v_add_u32_e32 v16, 32, v16
	v_add_u32_e32 v17, 0x80, v17
	s_or_b64 s[14:15], s[0:1], s[14:15]
	v_lshl_add_u64 v[8:9], v[8:9], 0, 8
	s_andn2_b64 exec, exec, s[14:15]
	s_cbranch_execz .LBB252_251
.LBB252_9:                              ; =>This Inner Loop Header: Depth=1
	global_load_dword v2, v[8:9], off
                                        ; implicit-def: $sgpr38
	s_waitcnt vmcnt(0) lgkmcnt(0)
	v_mad_i64_i32 v[10:11], s[0:1], v2, s40, v[4:5]
	v_lshl_add_u64 v[10:11], v[10:11], 0, v[6:7]
	global_load_ushort v2, v[10:11], off
	global_load_dword v20, v3, s[8:9]
	s_mov_b64 s[0:1], 0
	s_waitcnt vmcnt(1)
	v_cmp_gt_i16_sdwa s[34:35], v2, s42 src0_sel:BYTE_0 src1_sel:DWORD
	s_and_saveexec_b64 s[36:37], s[34:35]
	s_xor_b64 s[34:35], exec, s[36:37]
	s_cbranch_execnz .LBB252_131
; %bb.10:                               ;   in Loop: Header=BB252_9 Depth=1
	s_or_saveexec_b64 s[34:35], s[34:35]
	v_mov_b32_e32 v21, s38
	s_xor_b64 exec, exec, s[34:35]
	s_cbranch_execnz .LBB252_134
.LBB252_11:                             ;   in Loop: Header=BB252_9 Depth=1
	s_or_b64 exec, exec, s[34:35]
	v_and_b32_e32 v2, 0xffff, v2
	s_and_saveexec_b64 s[34:35], s[0:1]
	s_cbranch_execz .LBB252_13
.LBB252_12:                             ;   in Loop: Header=BB252_9 Depth=1
	v_and_b32_e32 v21, 7, v2
	v_ffbh_u32_e32 v22, v21
	v_min_u32_e32 v25, 32, v22
	v_subrev_u32_e32 v22, 28, v25
	v_bfe_u32 v24, v2, 3, 4
	v_lshlrev_b64 v[22:23], v22, v[2:3]
	v_sub_u32_e32 v23, 29, v25
	v_cmp_eq_u32_e64 s[0:1], 0, v24
	v_and_b32_e32 v22, 7, v22
	s_nop 0
	v_cndmask_b32_e64 v23, v24, v23, s[0:1]
	v_cndmask_b32_e64 v21, v21, v22, s[0:1]
	v_lshlrev_b32_e32 v22, 8, v2
	v_lshl_add_u32 v23, v23, 10, v18
	v_and_or_b32 v22, v22, s44, v23
	v_lshl_or_b32 v21, v21, 7, v22
	v_cvt_f32_f16_e32 v21, v21
.LBB252_13:                             ;   in Loop: Header=BB252_9 Depth=1
	s_or_b64 exec, exec, s[34:35]
	v_lshrrev_b16_e32 v2, 8, v2
	v_cmp_lt_i16_e64 s[0:1], s42, v2
	s_mov_b64 s[34:35], 0
                                        ; implicit-def: $sgpr45
	s_and_saveexec_b64 s[36:37], s[0:1]
	s_xor_b64 s[36:37], exec, s[36:37]
	s_cbranch_execnz .LBB252_135
; %bb.14:                               ;   in Loop: Header=BB252_9 Depth=1
	s_or_saveexec_b64 s[36:37], s[36:37]
	v_mov_b32_e32 v22, s45
	s_xor_b64 exec, exec, s[36:37]
	s_cbranch_execnz .LBB252_138
.LBB252_15:                             ;   in Loop: Header=BB252_9 Depth=1
	s_or_b64 exec, exec, s[36:37]
	s_and_saveexec_b64 s[36:37], s[34:35]
	s_cbranch_execz .LBB252_17
.LBB252_16:                             ;   in Loop: Header=BB252_9 Depth=1
	v_and_b32_e32 v24, 7, v2
	v_ffbh_u32_e32 v22, v24
	v_min_u32_e32 v26, 32, v22
	v_subrev_u32_e32 v22, 28, v26
	v_bfe_u32 v25, v2, 3, 4
	v_lshlrev_b64 v[22:23], v22, v[2:3]
	v_sub_u32_e32 v23, 29, v26
	v_cmp_eq_u32_e64 s[0:1], 0, v25
	v_and_b32_e32 v22, 7, v22
	v_lshlrev_b32_e32 v2, 8, v2
	v_cndmask_b32_e64 v23, v25, v23, s[0:1]
	v_lshl_add_u32 v23, v23, 10, v18
	v_cndmask_b32_e64 v22, v24, v22, s[0:1]
	v_and_or_b32 v2, v2, s44, v23
	v_lshl_or_b32 v2, v22, 7, v2
	v_cvt_f32_f16_e32 v22, v2
.LBB252_17:                             ;   in Loop: Header=BB252_9 Depth=1
	s_or_b64 exec, exec, s[36:37]
	global_load_ushort v2, v[10:11], off offset:8
	s_mov_b64 s[0:1], 0
                                        ; implicit-def: $sgpr38
	s_waitcnt vmcnt(0)
	v_cmp_gt_i16_sdwa s[34:35], v2, s42 src0_sel:BYTE_0 src1_sel:DWORD
	s_and_saveexec_b64 s[36:37], s[34:35]
	s_xor_b64 s[34:35], exec, s[36:37]
	s_cbranch_execnz .LBB252_139
; %bb.18:                               ;   in Loop: Header=BB252_9 Depth=1
	s_or_saveexec_b64 s[34:35], s[34:35]
	v_mov_b32_e32 v23, s38
	s_xor_b64 exec, exec, s[34:35]
	s_cbranch_execnz .LBB252_142
.LBB252_19:                             ;   in Loop: Header=BB252_9 Depth=1
	s_or_b64 exec, exec, s[34:35]
	v_and_b32_e32 v2, 0xffff, v2
	s_and_saveexec_b64 s[34:35], s[0:1]
	s_cbranch_execz .LBB252_21
.LBB252_20:                             ;   in Loop: Header=BB252_9 Depth=1
	v_and_b32_e32 v23, 7, v2
	v_ffbh_u32_e32 v24, v23
	v_min_u32_e32 v27, 32, v24
	v_subrev_u32_e32 v24, 28, v27
	v_bfe_u32 v26, v2, 3, 4
	v_lshlrev_b64 v[24:25], v24, v[2:3]
	v_sub_u32_e32 v25, 29, v27
	v_cmp_eq_u32_e64 s[0:1], 0, v26
	v_and_b32_e32 v24, 7, v24
	s_nop 0
	v_cndmask_b32_e64 v25, v26, v25, s[0:1]
	v_cndmask_b32_e64 v23, v23, v24, s[0:1]
	v_lshlrev_b32_e32 v24, 8, v2
	v_lshl_add_u32 v25, v25, 10, v18
	v_and_or_b32 v24, v24, s44, v25
	v_lshl_or_b32 v23, v23, 7, v24
	v_cvt_f32_f16_e32 v23, v23
.LBB252_21:                             ;   in Loop: Header=BB252_9 Depth=1
	s_or_b64 exec, exec, s[34:35]
	v_lshrrev_b16_e32 v2, 8, v2
	v_cmp_lt_i16_e64 s[0:1], s42, v2
	s_mov_b64 s[34:35], 0
                                        ; implicit-def: $sgpr45
	s_and_saveexec_b64 s[36:37], s[0:1]
	s_xor_b64 s[36:37], exec, s[36:37]
	s_cbranch_execnz .LBB252_143
; %bb.22:                               ;   in Loop: Header=BB252_9 Depth=1
	s_or_saveexec_b64 s[36:37], s[36:37]
	v_mov_b32_e32 v24, s45
	s_xor_b64 exec, exec, s[36:37]
	s_cbranch_execnz .LBB252_146
.LBB252_23:                             ;   in Loop: Header=BB252_9 Depth=1
	s_or_b64 exec, exec, s[36:37]
	s_and_saveexec_b64 s[36:37], s[34:35]
	s_cbranch_execz .LBB252_25
.LBB252_24:                             ;   in Loop: Header=BB252_9 Depth=1
	v_and_b32_e32 v26, 7, v2
	v_ffbh_u32_e32 v24, v26
	v_min_u32_e32 v28, 32, v24
	v_subrev_u32_e32 v24, 28, v28
	v_bfe_u32 v27, v2, 3, 4
	v_lshlrev_b64 v[24:25], v24, v[2:3]
	v_sub_u32_e32 v25, 29, v28
	v_cmp_eq_u32_e64 s[0:1], 0, v27
	v_and_b32_e32 v24, 7, v24
	v_lshlrev_b32_e32 v2, 8, v2
	v_cndmask_b32_e64 v25, v27, v25, s[0:1]
	v_lshl_add_u32 v25, v25, 10, v18
	v_cndmask_b32_e64 v24, v26, v24, s[0:1]
	v_and_or_b32 v2, v2, s44, v25
	v_lshl_or_b32 v2, v24, 7, v2
	v_cvt_f32_f16_e32 v24, v2
.LBB252_25:                             ;   in Loop: Header=BB252_9 Depth=1
	s_or_b64 exec, exec, s[36:37]
	global_load_ushort v2, v[10:11], off offset:256
	s_mov_b64 s[0:1], 0
                                        ; implicit-def: $sgpr38
	s_waitcnt vmcnt(0)
	v_cmp_gt_i16_sdwa s[34:35], v2, s42 src0_sel:BYTE_0 src1_sel:DWORD
	s_and_saveexec_b64 s[36:37], s[34:35]
	s_xor_b64 s[34:35], exec, s[36:37]
	s_cbranch_execnz .LBB252_147
; %bb.26:                               ;   in Loop: Header=BB252_9 Depth=1
	s_or_saveexec_b64 s[34:35], s[34:35]
	v_mov_b32_e32 v25, s38
	s_xor_b64 exec, exec, s[34:35]
	s_cbranch_execnz .LBB252_150
.LBB252_27:                             ;   in Loop: Header=BB252_9 Depth=1
	s_or_b64 exec, exec, s[34:35]
	v_and_b32_e32 v2, 0xffff, v2
	s_and_saveexec_b64 s[34:35], s[0:1]
	s_cbranch_execz .LBB252_29
.LBB252_28:                             ;   in Loop: Header=BB252_9 Depth=1
	v_and_b32_e32 v25, 7, v2
	v_ffbh_u32_e32 v26, v25
	v_min_u32_e32 v29, 32, v26
	v_subrev_u32_e32 v26, 28, v29
	v_bfe_u32 v28, v2, 3, 4
	v_lshlrev_b64 v[26:27], v26, v[2:3]
	v_sub_u32_e32 v27, 29, v29
	v_cmp_eq_u32_e64 s[0:1], 0, v28
	v_and_b32_e32 v26, 7, v26
	s_nop 0
	v_cndmask_b32_e64 v27, v28, v27, s[0:1]
	v_cndmask_b32_e64 v25, v25, v26, s[0:1]
	v_lshlrev_b32_e32 v26, 8, v2
	v_lshl_add_u32 v27, v27, 10, v18
	v_and_or_b32 v26, v26, s44, v27
	v_lshl_or_b32 v25, v25, 7, v26
	v_cvt_f32_f16_e32 v25, v25
.LBB252_29:                             ;   in Loop: Header=BB252_9 Depth=1
	s_or_b64 exec, exec, s[34:35]
	v_lshrrev_b16_e32 v2, 8, v2
	v_cmp_lt_i16_e64 s[0:1], s42, v2
	s_mov_b64 s[34:35], 0
                                        ; implicit-def: $sgpr45
	s_and_saveexec_b64 s[36:37], s[0:1]
	s_xor_b64 s[36:37], exec, s[36:37]
	s_cbranch_execnz .LBB252_151
; %bb.30:                               ;   in Loop: Header=BB252_9 Depth=1
	s_or_saveexec_b64 s[36:37], s[36:37]
	v_mov_b32_e32 v26, s45
	s_xor_b64 exec, exec, s[36:37]
	s_cbranch_execnz .LBB252_154
.LBB252_31:                             ;   in Loop: Header=BB252_9 Depth=1
	s_or_b64 exec, exec, s[36:37]
	s_and_saveexec_b64 s[36:37], s[34:35]
	s_cbranch_execz .LBB252_33
.LBB252_32:                             ;   in Loop: Header=BB252_9 Depth=1
	v_and_b32_e32 v28, 7, v2
	v_ffbh_u32_e32 v26, v28
	v_min_u32_e32 v30, 32, v26
	v_subrev_u32_e32 v26, 28, v30
	v_bfe_u32 v29, v2, 3, 4
	v_lshlrev_b64 v[26:27], v26, v[2:3]
	v_sub_u32_e32 v27, 29, v30
	v_cmp_eq_u32_e64 s[0:1], 0, v29
	v_and_b32_e32 v26, 7, v26
	v_lshlrev_b32_e32 v2, 8, v2
	v_cndmask_b32_e64 v27, v29, v27, s[0:1]
	v_lshl_add_u32 v27, v27, 10, v18
	v_cndmask_b32_e64 v26, v28, v26, s[0:1]
	v_and_or_b32 v2, v2, s44, v27
	v_lshl_or_b32 v2, v26, 7, v2
	v_cvt_f32_f16_e32 v26, v2
.LBB252_33:                             ;   in Loop: Header=BB252_9 Depth=1
	s_or_b64 exec, exec, s[36:37]
	global_load_ushort v2, v[10:11], off offset:264
	s_mov_b64 s[0:1], 0
                                        ; implicit-def: $sgpr38
	s_waitcnt vmcnt(0)
	v_cmp_gt_i16_sdwa s[34:35], v2, s42 src0_sel:BYTE_0 src1_sel:DWORD
	s_and_saveexec_b64 s[36:37], s[34:35]
	s_xor_b64 s[34:35], exec, s[36:37]
	s_cbranch_execnz .LBB252_155
; %bb.34:                               ;   in Loop: Header=BB252_9 Depth=1
	s_or_saveexec_b64 s[34:35], s[34:35]
	v_mov_b32_e32 v27, s38
	s_xor_b64 exec, exec, s[34:35]
	s_cbranch_execnz .LBB252_158
.LBB252_35:                             ;   in Loop: Header=BB252_9 Depth=1
	s_or_b64 exec, exec, s[34:35]
	v_and_b32_e32 v2, 0xffff, v2
	s_and_saveexec_b64 s[34:35], s[0:1]
	s_cbranch_execz .LBB252_37
.LBB252_36:                             ;   in Loop: Header=BB252_9 Depth=1
	v_and_b32_e32 v27, 7, v2
	v_ffbh_u32_e32 v28, v27
	v_min_u32_e32 v31, 32, v28
	v_subrev_u32_e32 v28, 28, v31
	v_bfe_u32 v30, v2, 3, 4
	v_lshlrev_b64 v[28:29], v28, v[2:3]
	v_sub_u32_e32 v29, 29, v31
	v_cmp_eq_u32_e64 s[0:1], 0, v30
	v_and_b32_e32 v28, 7, v28
	s_nop 0
	v_cndmask_b32_e64 v29, v30, v29, s[0:1]
	v_cndmask_b32_e64 v27, v27, v28, s[0:1]
	v_lshlrev_b32_e32 v28, 8, v2
	v_lshl_add_u32 v29, v29, 10, v18
	v_and_or_b32 v28, v28, s44, v29
	v_lshl_or_b32 v27, v27, 7, v28
	v_cvt_f32_f16_e32 v27, v27
.LBB252_37:                             ;   in Loop: Header=BB252_9 Depth=1
	s_or_b64 exec, exec, s[34:35]
	v_lshrrev_b16_e32 v2, 8, v2
	v_cmp_lt_i16_e64 s[0:1], s42, v2
	s_mov_b64 s[34:35], 0
                                        ; implicit-def: $sgpr45
	s_and_saveexec_b64 s[36:37], s[0:1]
	s_xor_b64 s[36:37], exec, s[36:37]
	s_cbranch_execnz .LBB252_159
; %bb.38:                               ;   in Loop: Header=BB252_9 Depth=1
	s_or_saveexec_b64 s[36:37], s[36:37]
	v_mov_b32_e32 v28, s45
	s_xor_b64 exec, exec, s[36:37]
	s_cbranch_execnz .LBB252_162
.LBB252_39:                             ;   in Loop: Header=BB252_9 Depth=1
	s_or_b64 exec, exec, s[36:37]
	s_and_saveexec_b64 s[36:37], s[34:35]
	s_cbranch_execz .LBB252_41
.LBB252_40:                             ;   in Loop: Header=BB252_9 Depth=1
	v_and_b32_e32 v30, 7, v2
	v_ffbh_u32_e32 v28, v30
	v_min_u32_e32 v32, 32, v28
	v_subrev_u32_e32 v28, 28, v32
	v_bfe_u32 v31, v2, 3, 4
	v_lshlrev_b64 v[28:29], v28, v[2:3]
	v_sub_u32_e32 v29, 29, v32
	v_cmp_eq_u32_e64 s[0:1], 0, v31
	v_and_b32_e32 v28, 7, v28
	v_lshlrev_b32_e32 v2, 8, v2
	v_cndmask_b32_e64 v29, v31, v29, s[0:1]
	v_lshl_add_u32 v29, v29, 10, v18
	v_cndmask_b32_e64 v28, v30, v28, s[0:1]
	v_and_or_b32 v2, v2, s44, v29
	v_lshl_or_b32 v2, v28, 7, v2
	v_cvt_f32_f16_e32 v28, v2
.LBB252_41:                             ;   in Loop: Header=BB252_9 Depth=1
	s_or_b64 exec, exec, s[36:37]
	global_load_ushort v2, v[10:11], off offset:512
	s_mov_b64 s[0:1], 0
                                        ; implicit-def: $sgpr38
	s_waitcnt vmcnt(0)
	v_cmp_gt_i16_sdwa s[34:35], v2, s42 src0_sel:BYTE_0 src1_sel:DWORD
	s_and_saveexec_b64 s[36:37], s[34:35]
	s_xor_b64 s[34:35], exec, s[36:37]
	s_cbranch_execnz .LBB252_163
; %bb.42:                               ;   in Loop: Header=BB252_9 Depth=1
	s_or_saveexec_b64 s[34:35], s[34:35]
	v_mov_b32_e32 v29, s38
	s_xor_b64 exec, exec, s[34:35]
	s_cbranch_execnz .LBB252_166
.LBB252_43:                             ;   in Loop: Header=BB252_9 Depth=1
	s_or_b64 exec, exec, s[34:35]
	v_and_b32_e32 v2, 0xffff, v2
	s_and_saveexec_b64 s[34:35], s[0:1]
	s_cbranch_execz .LBB252_45
.LBB252_44:                             ;   in Loop: Header=BB252_9 Depth=1
	v_and_b32_e32 v29, 7, v2
	v_ffbh_u32_e32 v30, v29
	v_min_u32_e32 v33, 32, v30
	v_subrev_u32_e32 v30, 28, v33
	v_bfe_u32 v32, v2, 3, 4
	v_lshlrev_b64 v[30:31], v30, v[2:3]
	v_sub_u32_e32 v31, 29, v33
	v_cmp_eq_u32_e64 s[0:1], 0, v32
	v_and_b32_e32 v30, 7, v30
	s_nop 0
	v_cndmask_b32_e64 v31, v32, v31, s[0:1]
	v_cndmask_b32_e64 v29, v29, v30, s[0:1]
	v_lshlrev_b32_e32 v30, 8, v2
	v_lshl_add_u32 v31, v31, 10, v18
	v_and_or_b32 v30, v30, s44, v31
	v_lshl_or_b32 v29, v29, 7, v30
	v_cvt_f32_f16_e32 v29, v29
.LBB252_45:                             ;   in Loop: Header=BB252_9 Depth=1
	s_or_b64 exec, exec, s[34:35]
	v_lshrrev_b16_e32 v2, 8, v2
	v_cmp_lt_i16_e64 s[0:1], s42, v2
	s_mov_b64 s[34:35], 0
                                        ; implicit-def: $sgpr45
	s_and_saveexec_b64 s[36:37], s[0:1]
	s_xor_b64 s[36:37], exec, s[36:37]
	s_cbranch_execnz .LBB252_167
; %bb.46:                               ;   in Loop: Header=BB252_9 Depth=1
	s_or_saveexec_b64 s[36:37], s[36:37]
	v_mov_b32_e32 v30, s45
	s_xor_b64 exec, exec, s[36:37]
	s_cbranch_execnz .LBB252_170
.LBB252_47:                             ;   in Loop: Header=BB252_9 Depth=1
	s_or_b64 exec, exec, s[36:37]
	s_and_saveexec_b64 s[36:37], s[34:35]
	s_cbranch_execz .LBB252_49
.LBB252_48:                             ;   in Loop: Header=BB252_9 Depth=1
	v_and_b32_e32 v32, 7, v2
	v_ffbh_u32_e32 v30, v32
	v_min_u32_e32 v34, 32, v30
	v_subrev_u32_e32 v30, 28, v34
	v_bfe_u32 v33, v2, 3, 4
	v_lshlrev_b64 v[30:31], v30, v[2:3]
	v_sub_u32_e32 v31, 29, v34
	v_cmp_eq_u32_e64 s[0:1], 0, v33
	v_and_b32_e32 v30, 7, v30
	v_lshlrev_b32_e32 v2, 8, v2
	v_cndmask_b32_e64 v31, v33, v31, s[0:1]
	v_lshl_add_u32 v31, v31, 10, v18
	v_cndmask_b32_e64 v30, v32, v30, s[0:1]
	v_and_or_b32 v2, v2, s44, v31
	v_lshl_or_b32 v2, v30, 7, v2
	v_cvt_f32_f16_e32 v30, v2
.LBB252_49:                             ;   in Loop: Header=BB252_9 Depth=1
	s_or_b64 exec, exec, s[36:37]
	global_load_ushort v2, v[10:11], off offset:520
	s_mov_b64 s[0:1], 0
                                        ; implicit-def: $sgpr38
	s_waitcnt vmcnt(0)
	v_cmp_gt_i16_sdwa s[34:35], v2, s42 src0_sel:BYTE_0 src1_sel:DWORD
	s_and_saveexec_b64 s[36:37], s[34:35]
	s_xor_b64 s[34:35], exec, s[36:37]
	s_cbranch_execnz .LBB252_171
; %bb.50:                               ;   in Loop: Header=BB252_9 Depth=1
	s_or_saveexec_b64 s[34:35], s[34:35]
	v_mov_b32_e32 v31, s38
	s_xor_b64 exec, exec, s[34:35]
	s_cbranch_execnz .LBB252_174
.LBB252_51:                             ;   in Loop: Header=BB252_9 Depth=1
	s_or_b64 exec, exec, s[34:35]
	v_and_b32_e32 v2, 0xffff, v2
	s_and_saveexec_b64 s[34:35], s[0:1]
	s_cbranch_execz .LBB252_53
.LBB252_52:                             ;   in Loop: Header=BB252_9 Depth=1
	v_and_b32_e32 v31, 7, v2
	v_ffbh_u32_e32 v32, v31
	v_min_u32_e32 v35, 32, v32
	v_subrev_u32_e32 v32, 28, v35
	v_bfe_u32 v34, v2, 3, 4
	v_lshlrev_b64 v[32:33], v32, v[2:3]
	v_sub_u32_e32 v33, 29, v35
	v_cmp_eq_u32_e64 s[0:1], 0, v34
	v_and_b32_e32 v32, 7, v32
	s_nop 0
	v_cndmask_b32_e64 v33, v34, v33, s[0:1]
	v_cndmask_b32_e64 v31, v31, v32, s[0:1]
	v_lshlrev_b32_e32 v32, 8, v2
	v_lshl_add_u32 v33, v33, 10, v18
	v_and_or_b32 v32, v32, s44, v33
	v_lshl_or_b32 v31, v31, 7, v32
	v_cvt_f32_f16_e32 v31, v31
.LBB252_53:                             ;   in Loop: Header=BB252_9 Depth=1
	s_or_b64 exec, exec, s[34:35]
	v_lshrrev_b16_e32 v2, 8, v2
	v_cmp_lt_i16_e64 s[0:1], s42, v2
	s_mov_b64 s[34:35], 0
                                        ; implicit-def: $sgpr45
	s_and_saveexec_b64 s[36:37], s[0:1]
	s_xor_b64 s[36:37], exec, s[36:37]
	s_cbranch_execnz .LBB252_175
; %bb.54:                               ;   in Loop: Header=BB252_9 Depth=1
	s_or_saveexec_b64 s[36:37], s[36:37]
	v_mov_b32_e32 v32, s45
	s_xor_b64 exec, exec, s[36:37]
	s_cbranch_execnz .LBB252_178
.LBB252_55:                             ;   in Loop: Header=BB252_9 Depth=1
	s_or_b64 exec, exec, s[36:37]
	s_and_saveexec_b64 s[36:37], s[34:35]
	s_cbranch_execz .LBB252_57
.LBB252_56:                             ;   in Loop: Header=BB252_9 Depth=1
	v_and_b32_e32 v34, 7, v2
	v_ffbh_u32_e32 v32, v34
	v_min_u32_e32 v36, 32, v32
	v_subrev_u32_e32 v32, 28, v36
	v_bfe_u32 v35, v2, 3, 4
	v_lshlrev_b64 v[32:33], v32, v[2:3]
	v_sub_u32_e32 v33, 29, v36
	v_cmp_eq_u32_e64 s[0:1], 0, v35
	v_and_b32_e32 v32, 7, v32
	v_lshlrev_b32_e32 v2, 8, v2
	v_cndmask_b32_e64 v33, v35, v33, s[0:1]
	v_lshl_add_u32 v33, v33, 10, v18
	v_cndmask_b32_e64 v32, v34, v32, s[0:1]
	v_and_or_b32 v2, v2, s44, v33
	v_lshl_or_b32 v2, v32, 7, v2
	v_cvt_f32_f16_e32 v32, v2
.LBB252_57:                             ;   in Loop: Header=BB252_9 Depth=1
	s_or_b64 exec, exec, s[36:37]
	global_load_ushort v2, v[10:11], off offset:768
	s_mov_b64 s[0:1], 0
                                        ; implicit-def: $sgpr38
	s_waitcnt vmcnt(0)
	v_cmp_gt_i16_sdwa s[34:35], v2, s42 src0_sel:BYTE_0 src1_sel:DWORD
	s_and_saveexec_b64 s[36:37], s[34:35]
	s_xor_b64 s[34:35], exec, s[36:37]
	s_cbranch_execnz .LBB252_179
; %bb.58:                               ;   in Loop: Header=BB252_9 Depth=1
	s_or_saveexec_b64 s[34:35], s[34:35]
	v_mov_b32_e32 v33, s38
	s_xor_b64 exec, exec, s[34:35]
	s_cbranch_execnz .LBB252_182
.LBB252_59:                             ;   in Loop: Header=BB252_9 Depth=1
	s_or_b64 exec, exec, s[34:35]
	v_and_b32_e32 v2, 0xffff, v2
	s_and_saveexec_b64 s[34:35], s[0:1]
	s_cbranch_execz .LBB252_61
.LBB252_60:                             ;   in Loop: Header=BB252_9 Depth=1
	v_and_b32_e32 v33, 7, v2
	v_ffbh_u32_e32 v34, v33
	v_min_u32_e32 v37, 32, v34
	v_subrev_u32_e32 v34, 28, v37
	v_bfe_u32 v36, v2, 3, 4
	v_lshlrev_b64 v[34:35], v34, v[2:3]
	v_sub_u32_e32 v35, 29, v37
	v_cmp_eq_u32_e64 s[0:1], 0, v36
	v_and_b32_e32 v34, 7, v34
	s_nop 0
	v_cndmask_b32_e64 v35, v36, v35, s[0:1]
	v_cndmask_b32_e64 v33, v33, v34, s[0:1]
	v_lshlrev_b32_e32 v34, 8, v2
	v_lshl_add_u32 v35, v35, 10, v18
	v_and_or_b32 v34, v34, s44, v35
	v_lshl_or_b32 v33, v33, 7, v34
	v_cvt_f32_f16_e32 v33, v33
.LBB252_61:                             ;   in Loop: Header=BB252_9 Depth=1
	s_or_b64 exec, exec, s[34:35]
	v_lshrrev_b16_e32 v2, 8, v2
	v_cmp_lt_i16_e64 s[0:1], s42, v2
	s_mov_b64 s[34:35], 0
                                        ; implicit-def: $sgpr45
	s_and_saveexec_b64 s[36:37], s[0:1]
	s_xor_b64 s[36:37], exec, s[36:37]
	s_cbranch_execnz .LBB252_183
; %bb.62:                               ;   in Loop: Header=BB252_9 Depth=1
	s_or_saveexec_b64 s[36:37], s[36:37]
	v_mov_b32_e32 v34, s45
	s_xor_b64 exec, exec, s[36:37]
	s_cbranch_execnz .LBB252_186
.LBB252_63:                             ;   in Loop: Header=BB252_9 Depth=1
	s_or_b64 exec, exec, s[36:37]
	s_and_saveexec_b64 s[36:37], s[34:35]
	s_cbranch_execz .LBB252_65
.LBB252_64:                             ;   in Loop: Header=BB252_9 Depth=1
	v_and_b32_e32 v36, 7, v2
	v_ffbh_u32_e32 v34, v36
	v_min_u32_e32 v38, 32, v34
	v_subrev_u32_e32 v34, 28, v38
	v_bfe_u32 v37, v2, 3, 4
	v_lshlrev_b64 v[34:35], v34, v[2:3]
	v_sub_u32_e32 v35, 29, v38
	v_cmp_eq_u32_e64 s[0:1], 0, v37
	v_and_b32_e32 v34, 7, v34
	v_lshlrev_b32_e32 v2, 8, v2
	v_cndmask_b32_e64 v35, v37, v35, s[0:1]
	v_lshl_add_u32 v35, v35, 10, v18
	v_cndmask_b32_e64 v34, v36, v34, s[0:1]
	v_and_or_b32 v2, v2, s44, v35
	v_lshl_or_b32 v2, v34, 7, v2
	v_cvt_f32_f16_e32 v34, v2
.LBB252_65:                             ;   in Loop: Header=BB252_9 Depth=1
	s_or_b64 exec, exec, s[36:37]
	global_load_ushort v2, v[10:11], off offset:776
	s_mov_b64 s[0:1], 0
                                        ; implicit-def: $sgpr38
	s_waitcnt vmcnt(0)
	v_cmp_gt_i16_sdwa s[34:35], v2, s42 src0_sel:BYTE_0 src1_sel:DWORD
	s_and_saveexec_b64 s[36:37], s[34:35]
	s_xor_b64 s[34:35], exec, s[36:37]
	s_cbranch_execnz .LBB252_187
; %bb.66:                               ;   in Loop: Header=BB252_9 Depth=1
	s_or_saveexec_b64 s[34:35], s[34:35]
	v_mov_b32_e32 v35, s38
	s_xor_b64 exec, exec, s[34:35]
	s_cbranch_execnz .LBB252_190
.LBB252_67:                             ;   in Loop: Header=BB252_9 Depth=1
	s_or_b64 exec, exec, s[34:35]
	v_and_b32_e32 v2, 0xffff, v2
	s_and_saveexec_b64 s[34:35], s[0:1]
	s_cbranch_execz .LBB252_69
.LBB252_68:                             ;   in Loop: Header=BB252_9 Depth=1
	v_and_b32_e32 v35, 7, v2
	v_ffbh_u32_e32 v36, v35
	v_min_u32_e32 v39, 32, v36
	v_subrev_u32_e32 v36, 28, v39
	v_bfe_u32 v38, v2, 3, 4
	v_lshlrev_b64 v[36:37], v36, v[2:3]
	v_sub_u32_e32 v37, 29, v39
	v_cmp_eq_u32_e64 s[0:1], 0, v38
	v_and_b32_e32 v36, 7, v36
	s_nop 0
	v_cndmask_b32_e64 v37, v38, v37, s[0:1]
	v_cndmask_b32_e64 v35, v35, v36, s[0:1]
	v_lshlrev_b32_e32 v36, 8, v2
	v_lshl_add_u32 v37, v37, 10, v18
	v_and_or_b32 v36, v36, s44, v37
	v_lshl_or_b32 v35, v35, 7, v36
	v_cvt_f32_f16_e32 v35, v35
.LBB252_69:                             ;   in Loop: Header=BB252_9 Depth=1
	s_or_b64 exec, exec, s[34:35]
	v_lshrrev_b16_e32 v2, 8, v2
	v_cmp_lt_i16_e64 s[0:1], s42, v2
	s_mov_b64 s[34:35], 0
                                        ; implicit-def: $sgpr45
	s_and_saveexec_b64 s[36:37], s[0:1]
	s_xor_b64 s[36:37], exec, s[36:37]
	s_cbranch_execnz .LBB252_191
; %bb.70:                               ;   in Loop: Header=BB252_9 Depth=1
	s_or_saveexec_b64 s[36:37], s[36:37]
	v_mov_b32_e32 v36, s45
	s_xor_b64 exec, exec, s[36:37]
	s_cbranch_execnz .LBB252_194
.LBB252_71:                             ;   in Loop: Header=BB252_9 Depth=1
	s_or_b64 exec, exec, s[36:37]
	s_and_saveexec_b64 s[36:37], s[34:35]
	s_cbranch_execz .LBB252_73
.LBB252_72:                             ;   in Loop: Header=BB252_9 Depth=1
	v_and_b32_e32 v38, 7, v2
	v_ffbh_u32_e32 v36, v38
	v_min_u32_e32 v40, 32, v36
	v_subrev_u32_e32 v36, 28, v40
	v_bfe_u32 v39, v2, 3, 4
	v_lshlrev_b64 v[36:37], v36, v[2:3]
	v_sub_u32_e32 v37, 29, v40
	v_cmp_eq_u32_e64 s[0:1], 0, v39
	v_and_b32_e32 v36, 7, v36
	v_lshlrev_b32_e32 v2, 8, v2
	v_cndmask_b32_e64 v37, v39, v37, s[0:1]
	v_lshl_add_u32 v37, v37, 10, v18
	v_cndmask_b32_e64 v36, v38, v36, s[0:1]
	v_and_or_b32 v2, v2, s44, v37
	v_lshl_or_b32 v2, v36, 7, v2
	v_cvt_f32_f16_e32 v36, v2
.LBB252_73:                             ;   in Loop: Header=BB252_9 Depth=1
	s_or_b64 exec, exec, s[36:37]
	global_load_ushort v2, v[10:11], off offset:1024
	s_mov_b64 s[0:1], 0
                                        ; implicit-def: $sgpr38
	s_waitcnt vmcnt(0)
	v_cmp_gt_i16_sdwa s[34:35], v2, s42 src0_sel:BYTE_0 src1_sel:DWORD
	s_and_saveexec_b64 s[36:37], s[34:35]
	s_xor_b64 s[34:35], exec, s[36:37]
	s_cbranch_execnz .LBB252_195
; %bb.74:                               ;   in Loop: Header=BB252_9 Depth=1
	s_or_saveexec_b64 s[34:35], s[34:35]
	v_mov_b32_e32 v37, s38
	s_xor_b64 exec, exec, s[34:35]
	s_cbranch_execnz .LBB252_198
.LBB252_75:                             ;   in Loop: Header=BB252_9 Depth=1
	s_or_b64 exec, exec, s[34:35]
	v_and_b32_e32 v2, 0xffff, v2
	s_and_saveexec_b64 s[34:35], s[0:1]
	s_cbranch_execz .LBB252_77
.LBB252_76:                             ;   in Loop: Header=BB252_9 Depth=1
	v_and_b32_e32 v37, 7, v2
	v_ffbh_u32_e32 v38, v37
	v_min_u32_e32 v41, 32, v38
	v_subrev_u32_e32 v38, 28, v41
	v_bfe_u32 v40, v2, 3, 4
	v_lshlrev_b64 v[38:39], v38, v[2:3]
	v_sub_u32_e32 v39, 29, v41
	v_cmp_eq_u32_e64 s[0:1], 0, v40
	v_and_b32_e32 v38, 7, v38
	s_nop 0
	v_cndmask_b32_e64 v39, v40, v39, s[0:1]
	v_cndmask_b32_e64 v37, v37, v38, s[0:1]
	v_lshlrev_b32_e32 v38, 8, v2
	v_lshl_add_u32 v39, v39, 10, v18
	v_and_or_b32 v38, v38, s44, v39
	v_lshl_or_b32 v37, v37, 7, v38
	v_cvt_f32_f16_e32 v37, v37
.LBB252_77:                             ;   in Loop: Header=BB252_9 Depth=1
	s_or_b64 exec, exec, s[34:35]
	v_lshrrev_b16_e32 v2, 8, v2
	v_cmp_lt_i16_e64 s[0:1], s42, v2
	s_mov_b64 s[34:35], 0
                                        ; implicit-def: $sgpr45
	s_and_saveexec_b64 s[36:37], s[0:1]
	s_xor_b64 s[36:37], exec, s[36:37]
	s_cbranch_execnz .LBB252_199
; %bb.78:                               ;   in Loop: Header=BB252_9 Depth=1
	s_or_saveexec_b64 s[36:37], s[36:37]
	v_mov_b32_e32 v38, s45
	s_xor_b64 exec, exec, s[36:37]
	s_cbranch_execnz .LBB252_202
.LBB252_79:                             ;   in Loop: Header=BB252_9 Depth=1
	s_or_b64 exec, exec, s[36:37]
	s_and_saveexec_b64 s[36:37], s[34:35]
	s_cbranch_execz .LBB252_81
.LBB252_80:                             ;   in Loop: Header=BB252_9 Depth=1
	v_and_b32_e32 v40, 7, v2
	v_ffbh_u32_e32 v38, v40
	v_min_u32_e32 v42, 32, v38
	v_subrev_u32_e32 v38, 28, v42
	v_bfe_u32 v41, v2, 3, 4
	v_lshlrev_b64 v[38:39], v38, v[2:3]
	v_sub_u32_e32 v39, 29, v42
	v_cmp_eq_u32_e64 s[0:1], 0, v41
	v_and_b32_e32 v38, 7, v38
	v_lshlrev_b32_e32 v2, 8, v2
	v_cndmask_b32_e64 v39, v41, v39, s[0:1]
	v_lshl_add_u32 v39, v39, 10, v18
	v_cndmask_b32_e64 v38, v40, v38, s[0:1]
	v_and_or_b32 v2, v2, s44, v39
	v_lshl_or_b32 v2, v38, 7, v2
	v_cvt_f32_f16_e32 v38, v2
.LBB252_81:                             ;   in Loop: Header=BB252_9 Depth=1
	s_or_b64 exec, exec, s[36:37]
	global_load_ushort v2, v[10:11], off offset:1032
	s_mov_b64 s[0:1], 0
                                        ; implicit-def: $sgpr38
	s_waitcnt vmcnt(0)
	v_cmp_gt_i16_sdwa s[34:35], v2, s42 src0_sel:BYTE_0 src1_sel:DWORD
	s_and_saveexec_b64 s[36:37], s[34:35]
	s_xor_b64 s[34:35], exec, s[36:37]
	s_cbranch_execnz .LBB252_203
; %bb.82:                               ;   in Loop: Header=BB252_9 Depth=1
	s_or_saveexec_b64 s[34:35], s[34:35]
	v_mov_b32_e32 v39, s38
	s_xor_b64 exec, exec, s[34:35]
	s_cbranch_execnz .LBB252_206
.LBB252_83:                             ;   in Loop: Header=BB252_9 Depth=1
	s_or_b64 exec, exec, s[34:35]
	v_and_b32_e32 v2, 0xffff, v2
	s_and_saveexec_b64 s[34:35], s[0:1]
	s_cbranch_execz .LBB252_85
.LBB252_84:                             ;   in Loop: Header=BB252_9 Depth=1
	v_and_b32_e32 v39, 7, v2
	v_ffbh_u32_e32 v40, v39
	v_min_u32_e32 v43, 32, v40
	v_subrev_u32_e32 v40, 28, v43
	v_bfe_u32 v42, v2, 3, 4
	v_lshlrev_b64 v[40:41], v40, v[2:3]
	v_sub_u32_e32 v41, 29, v43
	v_cmp_eq_u32_e64 s[0:1], 0, v42
	v_and_b32_e32 v40, 7, v40
	s_nop 0
	v_cndmask_b32_e64 v41, v42, v41, s[0:1]
	v_cndmask_b32_e64 v39, v39, v40, s[0:1]
	v_lshlrev_b32_e32 v40, 8, v2
	v_lshl_add_u32 v41, v41, 10, v18
	v_and_or_b32 v40, v40, s44, v41
	v_lshl_or_b32 v39, v39, 7, v40
	v_cvt_f32_f16_e32 v39, v39
.LBB252_85:                             ;   in Loop: Header=BB252_9 Depth=1
	s_or_b64 exec, exec, s[34:35]
	v_lshrrev_b16_e32 v2, 8, v2
	v_cmp_lt_i16_e64 s[0:1], s42, v2
	s_mov_b64 s[34:35], 0
                                        ; implicit-def: $sgpr45
	s_and_saveexec_b64 s[36:37], s[0:1]
	s_xor_b64 s[36:37], exec, s[36:37]
	s_cbranch_execnz .LBB252_207
; %bb.86:                               ;   in Loop: Header=BB252_9 Depth=1
	s_or_saveexec_b64 s[36:37], s[36:37]
	v_mov_b32_e32 v40, s45
	s_xor_b64 exec, exec, s[36:37]
	s_cbranch_execnz .LBB252_210
.LBB252_87:                             ;   in Loop: Header=BB252_9 Depth=1
	s_or_b64 exec, exec, s[36:37]
	s_and_saveexec_b64 s[36:37], s[34:35]
	s_cbranch_execz .LBB252_89
.LBB252_88:                             ;   in Loop: Header=BB252_9 Depth=1
	v_and_b32_e32 v42, 7, v2
	v_ffbh_u32_e32 v40, v42
	v_min_u32_e32 v44, 32, v40
	v_subrev_u32_e32 v40, 28, v44
	v_bfe_u32 v43, v2, 3, 4
	v_lshlrev_b64 v[40:41], v40, v[2:3]
	v_sub_u32_e32 v41, 29, v44
	v_cmp_eq_u32_e64 s[0:1], 0, v43
	v_and_b32_e32 v40, 7, v40
	v_lshlrev_b32_e32 v2, 8, v2
	v_cndmask_b32_e64 v41, v43, v41, s[0:1]
	v_lshl_add_u32 v41, v41, 10, v18
	v_cndmask_b32_e64 v40, v42, v40, s[0:1]
	v_and_or_b32 v2, v2, s44, v41
	v_lshl_or_b32 v2, v40, 7, v2
	v_cvt_f32_f16_e32 v40, v2
.LBB252_89:                             ;   in Loop: Header=BB252_9 Depth=1
	s_or_b64 exec, exec, s[36:37]
	global_load_ushort v2, v[10:11], off offset:1280
	s_mov_b64 s[0:1], 0
                                        ; implicit-def: $sgpr38
	s_waitcnt vmcnt(0)
	v_cmp_gt_i16_sdwa s[34:35], v2, s42 src0_sel:BYTE_0 src1_sel:DWORD
	s_and_saveexec_b64 s[36:37], s[34:35]
	s_xor_b64 s[34:35], exec, s[36:37]
	s_cbranch_execnz .LBB252_211
; %bb.90:                               ;   in Loop: Header=BB252_9 Depth=1
	s_or_saveexec_b64 s[34:35], s[34:35]
	v_mov_b32_e32 v41, s38
	s_xor_b64 exec, exec, s[34:35]
	s_cbranch_execnz .LBB252_214
.LBB252_91:                             ;   in Loop: Header=BB252_9 Depth=1
	s_or_b64 exec, exec, s[34:35]
	v_and_b32_e32 v2, 0xffff, v2
	s_and_saveexec_b64 s[34:35], s[0:1]
	s_cbranch_execz .LBB252_93
.LBB252_92:                             ;   in Loop: Header=BB252_9 Depth=1
	v_and_b32_e32 v41, 7, v2
	v_ffbh_u32_e32 v42, v41
	v_min_u32_e32 v45, 32, v42
	v_subrev_u32_e32 v42, 28, v45
	v_bfe_u32 v44, v2, 3, 4
	v_lshlrev_b64 v[42:43], v42, v[2:3]
	v_sub_u32_e32 v43, 29, v45
	v_cmp_eq_u32_e64 s[0:1], 0, v44
	v_and_b32_e32 v42, 7, v42
	s_nop 0
	v_cndmask_b32_e64 v43, v44, v43, s[0:1]
	v_cndmask_b32_e64 v41, v41, v42, s[0:1]
	v_lshlrev_b32_e32 v42, 8, v2
	v_lshl_add_u32 v43, v43, 10, v18
	v_and_or_b32 v42, v42, s44, v43
	v_lshl_or_b32 v41, v41, 7, v42
	v_cvt_f32_f16_e32 v41, v41
.LBB252_93:                             ;   in Loop: Header=BB252_9 Depth=1
	s_or_b64 exec, exec, s[34:35]
	v_lshrrev_b16_e32 v2, 8, v2
	v_cmp_lt_i16_e64 s[0:1], s42, v2
	s_mov_b64 s[34:35], 0
                                        ; implicit-def: $sgpr45
	s_and_saveexec_b64 s[36:37], s[0:1]
	s_xor_b64 s[36:37], exec, s[36:37]
	s_cbranch_execnz .LBB252_215
; %bb.94:                               ;   in Loop: Header=BB252_9 Depth=1
	s_or_saveexec_b64 s[36:37], s[36:37]
	v_mov_b32_e32 v42, s45
	s_xor_b64 exec, exec, s[36:37]
	s_cbranch_execnz .LBB252_218
.LBB252_95:                             ;   in Loop: Header=BB252_9 Depth=1
	s_or_b64 exec, exec, s[36:37]
	s_and_saveexec_b64 s[36:37], s[34:35]
	s_cbranch_execz .LBB252_97
.LBB252_96:                             ;   in Loop: Header=BB252_9 Depth=1
	v_and_b32_e32 v44, 7, v2
	v_ffbh_u32_e32 v42, v44
	v_min_u32_e32 v46, 32, v42
	v_subrev_u32_e32 v42, 28, v46
	v_bfe_u32 v45, v2, 3, 4
	v_lshlrev_b64 v[42:43], v42, v[2:3]
	v_sub_u32_e32 v43, 29, v46
	v_cmp_eq_u32_e64 s[0:1], 0, v45
	v_and_b32_e32 v42, 7, v42
	v_lshlrev_b32_e32 v2, 8, v2
	v_cndmask_b32_e64 v43, v45, v43, s[0:1]
	v_lshl_add_u32 v43, v43, 10, v18
	v_cndmask_b32_e64 v42, v44, v42, s[0:1]
	v_and_or_b32 v2, v2, s44, v43
	v_lshl_or_b32 v2, v42, 7, v2
	v_cvt_f32_f16_e32 v42, v2
.LBB252_97:                             ;   in Loop: Header=BB252_9 Depth=1
	s_or_b64 exec, exec, s[36:37]
	global_load_ushort v2, v[10:11], off offset:1288
	s_mov_b64 s[0:1], 0
                                        ; implicit-def: $sgpr38
	s_waitcnt vmcnt(0)
	v_cmp_gt_i16_sdwa s[34:35], v2, s42 src0_sel:BYTE_0 src1_sel:DWORD
	s_and_saveexec_b64 s[36:37], s[34:35]
	s_xor_b64 s[34:35], exec, s[36:37]
	s_cbranch_execnz .LBB252_219
; %bb.98:                               ;   in Loop: Header=BB252_9 Depth=1
	s_or_saveexec_b64 s[34:35], s[34:35]
	v_mov_b32_e32 v43, s38
	s_xor_b64 exec, exec, s[34:35]
	s_cbranch_execnz .LBB252_222
.LBB252_99:                             ;   in Loop: Header=BB252_9 Depth=1
	s_or_b64 exec, exec, s[34:35]
	v_and_b32_e32 v2, 0xffff, v2
	s_and_saveexec_b64 s[34:35], s[0:1]
	s_cbranch_execz .LBB252_101
.LBB252_100:                            ;   in Loop: Header=BB252_9 Depth=1
	v_and_b32_e32 v43, 7, v2
	v_ffbh_u32_e32 v44, v43
	v_min_u32_e32 v47, 32, v44
	v_subrev_u32_e32 v44, 28, v47
	v_bfe_u32 v46, v2, 3, 4
	v_lshlrev_b64 v[44:45], v44, v[2:3]
	v_sub_u32_e32 v45, 29, v47
	v_cmp_eq_u32_e64 s[0:1], 0, v46
	v_and_b32_e32 v44, 7, v44
	s_nop 0
	v_cndmask_b32_e64 v45, v46, v45, s[0:1]
	v_cndmask_b32_e64 v43, v43, v44, s[0:1]
	v_lshlrev_b32_e32 v44, 8, v2
	v_lshl_add_u32 v45, v45, 10, v18
	v_and_or_b32 v44, v44, s44, v45
	v_lshl_or_b32 v43, v43, 7, v44
	v_cvt_f32_f16_e32 v43, v43
.LBB252_101:                            ;   in Loop: Header=BB252_9 Depth=1
	s_or_b64 exec, exec, s[34:35]
	v_lshrrev_b16_e32 v2, 8, v2
	v_cmp_lt_i16_e64 s[0:1], s42, v2
	s_mov_b64 s[34:35], 0
                                        ; implicit-def: $sgpr45
	s_and_saveexec_b64 s[36:37], s[0:1]
	s_xor_b64 s[36:37], exec, s[36:37]
	s_cbranch_execnz .LBB252_223
; %bb.102:                              ;   in Loop: Header=BB252_9 Depth=1
	s_or_saveexec_b64 s[36:37], s[36:37]
	v_mov_b32_e32 v44, s45
	s_xor_b64 exec, exec, s[36:37]
	s_cbranch_execnz .LBB252_226
.LBB252_103:                            ;   in Loop: Header=BB252_9 Depth=1
	s_or_b64 exec, exec, s[36:37]
	s_and_saveexec_b64 s[36:37], s[34:35]
	s_cbranch_execz .LBB252_105
.LBB252_104:                            ;   in Loop: Header=BB252_9 Depth=1
	v_and_b32_e32 v46, 7, v2
	v_ffbh_u32_e32 v44, v46
	v_min_u32_e32 v48, 32, v44
	v_subrev_u32_e32 v44, 28, v48
	v_bfe_u32 v47, v2, 3, 4
	v_lshlrev_b64 v[44:45], v44, v[2:3]
	v_sub_u32_e32 v45, 29, v48
	v_cmp_eq_u32_e64 s[0:1], 0, v47
	v_and_b32_e32 v44, 7, v44
	v_lshlrev_b32_e32 v2, 8, v2
	v_cndmask_b32_e64 v45, v47, v45, s[0:1]
	v_lshl_add_u32 v45, v45, 10, v18
	v_cndmask_b32_e64 v44, v46, v44, s[0:1]
	v_and_or_b32 v2, v2, s44, v45
	v_lshl_or_b32 v2, v44, 7, v2
	v_cvt_f32_f16_e32 v44, v2
.LBB252_105:                            ;   in Loop: Header=BB252_9 Depth=1
	s_or_b64 exec, exec, s[36:37]
	global_load_ushort v2, v[10:11], off offset:1536
	s_mov_b64 s[0:1], 0
                                        ; implicit-def: $sgpr38
	s_waitcnt vmcnt(0)
	v_cmp_gt_i16_sdwa s[34:35], v2, s42 src0_sel:BYTE_0 src1_sel:DWORD
	s_and_saveexec_b64 s[36:37], s[34:35]
	s_xor_b64 s[34:35], exec, s[36:37]
	s_cbranch_execnz .LBB252_227
; %bb.106:                              ;   in Loop: Header=BB252_9 Depth=1
	s_or_saveexec_b64 s[34:35], s[34:35]
	v_mov_b32_e32 v45, s38
	s_xor_b64 exec, exec, s[34:35]
	s_cbranch_execnz .LBB252_230
.LBB252_107:                            ;   in Loop: Header=BB252_9 Depth=1
	s_or_b64 exec, exec, s[34:35]
	v_and_b32_e32 v2, 0xffff, v2
	s_and_saveexec_b64 s[34:35], s[0:1]
	s_cbranch_execz .LBB252_109
.LBB252_108:                            ;   in Loop: Header=BB252_9 Depth=1
	v_and_b32_e32 v45, 7, v2
	v_ffbh_u32_e32 v46, v45
	v_min_u32_e32 v49, 32, v46
	v_subrev_u32_e32 v46, 28, v49
	v_bfe_u32 v48, v2, 3, 4
	v_lshlrev_b64 v[46:47], v46, v[2:3]
	v_sub_u32_e32 v47, 29, v49
	v_cmp_eq_u32_e64 s[0:1], 0, v48
	v_and_b32_e32 v46, 7, v46
	s_nop 0
	v_cndmask_b32_e64 v47, v48, v47, s[0:1]
	v_cndmask_b32_e64 v45, v45, v46, s[0:1]
	v_lshlrev_b32_e32 v46, 8, v2
	v_lshl_add_u32 v47, v47, 10, v18
	v_and_or_b32 v46, v46, s44, v47
	v_lshl_or_b32 v45, v45, 7, v46
	v_cvt_f32_f16_e32 v45, v45
.LBB252_109:                            ;   in Loop: Header=BB252_9 Depth=1
	s_or_b64 exec, exec, s[34:35]
	v_lshrrev_b16_e32 v2, 8, v2
	v_cmp_lt_i16_e64 s[0:1], s42, v2
	s_mov_b64 s[34:35], 0
                                        ; implicit-def: $sgpr45
	s_and_saveexec_b64 s[36:37], s[0:1]
	s_xor_b64 s[36:37], exec, s[36:37]
	s_cbranch_execnz .LBB252_231
; %bb.110:                              ;   in Loop: Header=BB252_9 Depth=1
	s_or_saveexec_b64 s[36:37], s[36:37]
	v_mov_b32_e32 v46, s45
	s_xor_b64 exec, exec, s[36:37]
	s_cbranch_execnz .LBB252_234
.LBB252_111:                            ;   in Loop: Header=BB252_9 Depth=1
	s_or_b64 exec, exec, s[36:37]
	s_and_saveexec_b64 s[36:37], s[34:35]
	s_cbranch_execz .LBB252_113
.LBB252_112:                            ;   in Loop: Header=BB252_9 Depth=1
	v_and_b32_e32 v48, 7, v2
	v_ffbh_u32_e32 v46, v48
	v_min_u32_e32 v50, 32, v46
	v_subrev_u32_e32 v46, 28, v50
	v_bfe_u32 v49, v2, 3, 4
	v_lshlrev_b64 v[46:47], v46, v[2:3]
	v_sub_u32_e32 v47, 29, v50
	v_cmp_eq_u32_e64 s[0:1], 0, v49
	v_and_b32_e32 v46, 7, v46
	v_lshlrev_b32_e32 v2, 8, v2
	v_cndmask_b32_e64 v47, v49, v47, s[0:1]
	v_lshl_add_u32 v47, v47, 10, v18
	v_cndmask_b32_e64 v46, v48, v46, s[0:1]
	v_and_or_b32 v2, v2, s44, v47
	v_lshl_or_b32 v2, v46, 7, v2
	v_cvt_f32_f16_e32 v46, v2
.LBB252_113:                            ;   in Loop: Header=BB252_9 Depth=1
	s_or_b64 exec, exec, s[36:37]
	global_load_ushort v2, v[10:11], off offset:1544
	s_mov_b64 s[0:1], 0
                                        ; implicit-def: $sgpr38
	s_waitcnt vmcnt(0)
	v_cmp_gt_i16_sdwa s[34:35], v2, s42 src0_sel:BYTE_0 src1_sel:DWORD
	s_and_saveexec_b64 s[36:37], s[34:35]
	s_xor_b64 s[34:35], exec, s[36:37]
	s_cbranch_execnz .LBB252_235
; %bb.114:                              ;   in Loop: Header=BB252_9 Depth=1
	s_or_saveexec_b64 s[34:35], s[34:35]
	v_mov_b32_e32 v47, s38
	s_xor_b64 exec, exec, s[34:35]
	s_cbranch_execnz .LBB252_238
.LBB252_115:                            ;   in Loop: Header=BB252_9 Depth=1
	s_or_b64 exec, exec, s[34:35]
	v_and_b32_e32 v2, 0xffff, v2
	s_and_saveexec_b64 s[34:35], s[0:1]
	s_cbranch_execz .LBB252_117
.LBB252_116:                            ;   in Loop: Header=BB252_9 Depth=1
	v_and_b32_e32 v47, 7, v2
	v_ffbh_u32_e32 v48, v47
	v_min_u32_e32 v51, 32, v48
	v_subrev_u32_e32 v48, 28, v51
	v_bfe_u32 v50, v2, 3, 4
	v_lshlrev_b64 v[48:49], v48, v[2:3]
	v_sub_u32_e32 v49, 29, v51
	v_cmp_eq_u32_e64 s[0:1], 0, v50
	v_and_b32_e32 v48, 7, v48
	s_nop 0
	v_cndmask_b32_e64 v49, v50, v49, s[0:1]
	v_cndmask_b32_e64 v47, v47, v48, s[0:1]
	v_lshlrev_b32_e32 v48, 8, v2
	v_lshl_add_u32 v49, v49, 10, v18
	v_and_or_b32 v48, v48, s44, v49
	v_lshl_or_b32 v47, v47, 7, v48
	v_cvt_f32_f16_e32 v47, v47
.LBB252_117:                            ;   in Loop: Header=BB252_9 Depth=1
	s_or_b64 exec, exec, s[34:35]
	v_lshrrev_b16_e32 v2, 8, v2
	v_cmp_lt_i16_e64 s[0:1], s42, v2
	s_mov_b64 s[34:35], 0
                                        ; implicit-def: $sgpr45
	s_and_saveexec_b64 s[36:37], s[0:1]
	s_xor_b64 s[36:37], exec, s[36:37]
	s_cbranch_execnz .LBB252_239
; %bb.118:                              ;   in Loop: Header=BB252_9 Depth=1
	s_or_saveexec_b64 s[36:37], s[36:37]
	v_mov_b32_e32 v48, s45
	s_xor_b64 exec, exec, s[36:37]
	s_cbranch_execnz .LBB252_242
.LBB252_119:                            ;   in Loop: Header=BB252_9 Depth=1
	s_or_b64 exec, exec, s[36:37]
	s_and_saveexec_b64 s[36:37], s[34:35]
	s_cbranch_execz .LBB252_121
.LBB252_120:                            ;   in Loop: Header=BB252_9 Depth=1
	v_and_b32_e32 v50, 7, v2
	v_ffbh_u32_e32 v48, v50
	v_min_u32_e32 v52, 32, v48
	v_subrev_u32_e32 v48, 28, v52
	v_bfe_u32 v51, v2, 3, 4
	v_lshlrev_b64 v[48:49], v48, v[2:3]
	v_sub_u32_e32 v49, 29, v52
	v_cmp_eq_u32_e64 s[0:1], 0, v51
	v_and_b32_e32 v48, 7, v48
	v_lshlrev_b32_e32 v2, 8, v2
	v_cndmask_b32_e64 v49, v51, v49, s[0:1]
	v_lshl_add_u32 v49, v49, 10, v18
	v_cndmask_b32_e64 v48, v50, v48, s[0:1]
	v_and_or_b32 v2, v2, s44, v49
	v_lshl_or_b32 v2, v48, 7, v2
	v_cvt_f32_f16_e32 v48, v2
.LBB252_121:                            ;   in Loop: Header=BB252_9 Depth=1
	s_or_b64 exec, exec, s[36:37]
	global_load_ushort v2, v[10:11], off offset:1792
	s_mov_b64 s[0:1], 0
                                        ; implicit-def: $sgpr38
	s_waitcnt vmcnt(0)
	v_cmp_gt_i16_sdwa s[34:35], v2, s42 src0_sel:BYTE_0 src1_sel:DWORD
	s_and_saveexec_b64 s[36:37], s[34:35]
	s_xor_b64 s[34:35], exec, s[36:37]
	s_cbranch_execnz .LBB252_243
; %bb.122:                              ;   in Loop: Header=BB252_9 Depth=1
	s_or_saveexec_b64 s[34:35], s[34:35]
	v_mov_b32_e32 v10, s38
	s_xor_b64 exec, exec, s[34:35]
	s_cbranch_execnz .LBB252_246
.LBB252_123:                            ;   in Loop: Header=BB252_9 Depth=1
	s_or_b64 exec, exec, s[34:35]
	v_and_b32_e32 v2, 0xffff, v2
	s_and_saveexec_b64 s[34:35], s[0:1]
	s_cbranch_execz .LBB252_125
.LBB252_124:                            ;   in Loop: Header=BB252_9 Depth=1
	v_and_b32_e32 v49, 7, v2
	v_ffbh_u32_e32 v10, v49
	v_min_u32_e32 v51, 32, v10
	v_subrev_u32_e32 v10, 28, v51
	v_bfe_u32 v50, v2, 3, 4
	v_lshlrev_b64 v[10:11], v10, v[2:3]
	v_sub_u32_e32 v11, 29, v51
	v_cmp_eq_u32_e64 s[0:1], 0, v50
	v_and_b32_e32 v10, 7, v10
	s_nop 0
	v_cndmask_b32_e64 v11, v50, v11, s[0:1]
	v_cndmask_b32_e64 v10, v49, v10, s[0:1]
	v_lshlrev_b32_e32 v49, 8, v2
	v_lshl_add_u32 v11, v11, 10, v18
	v_and_or_b32 v11, v49, s44, v11
	v_lshl_or_b32 v10, v10, 7, v11
	v_cvt_f32_f16_e32 v10, v10
.LBB252_125:                            ;   in Loop: Header=BB252_9 Depth=1
	s_or_b64 exec, exec, s[34:35]
	v_lshrrev_b16_e32 v2, 8, v2
	v_cmp_lt_i16_e64 s[0:1], s42, v2
	s_mov_b64 s[34:35], 0
                                        ; implicit-def: $sgpr45
	s_and_saveexec_b64 s[36:37], s[0:1]
	s_xor_b64 s[36:37], exec, s[36:37]
	s_cbranch_execnz .LBB252_247
; %bb.126:                              ;   in Loop: Header=BB252_9 Depth=1
	s_or_saveexec_b64 s[36:37], s[36:37]
	v_mov_b32_e32 v11, s45
	s_xor_b64 exec, exec, s[36:37]
	s_cbranch_execnz .LBB252_250
.LBB252_127:                            ;   in Loop: Header=BB252_9 Depth=1
	s_or_b64 exec, exec, s[36:37]
	s_and_saveexec_b64 s[36:37], s[34:35]
	s_cbranch_execz .LBB252_129
.LBB252_128:                            ;   in Loop: Header=BB252_9 Depth=1
	v_and_b32_e32 v11, 7, v2
	v_ffbh_u32_e32 v50, v11
	v_min_u32_e32 v52, 32, v50
	v_subrev_u32_e32 v50, 28, v52
	v_bfe_u32 v49, v2, 3, 4
	v_lshlrev_b64 v[50:51], v50, v[2:3]
	v_sub_u32_e32 v51, 29, v52
	v_cmp_eq_u32_e64 s[0:1], 0, v49
	v_and_b32_e32 v50, 7, v50
	v_lshlrev_b32_e32 v2, 8, v2
	v_cndmask_b32_e64 v49, v49, v51, s[0:1]
	v_lshl_add_u32 v49, v49, 10, v18
	v_cndmask_b32_e64 v11, v11, v50, s[0:1]
	v_and_or_b32 v2, v2, s44, v49
	v_lshl_or_b32 v2, v11, 7, v2
	v_cvt_f32_f16_e32 v11, v2
.LBB252_129:                            ;   in Loop: Header=BB252_9 Depth=1
	s_or_b64 exec, exec, s[36:37]
	ds_read_b32 v2, v15
	v_fma_mixlo_f16 v21, v20, v21, 0
	v_fma_mixlo_f16 v22, v20, v22, 0
	v_and_b32_e32 v21, 0xffff, v21
	v_and_b32_e32 v22, 0xffff, v22
	s_waitcnt lgkmcnt(0)
	v_lshrrev_b32_e32 v49, 16, v2
	v_and_b32_e32 v2, 0xffff, v2
	;;#ASMSTART
	v_cvt_f32_f16 v2, v2;
	;;#ASMEND
	;;#ASMSTART
	v_cvt_f32_f16 v49, v49;
	;;#ASMEND
	;;#ASMSTART
	v_cvt_f32_f16 v21, v21;
	;;#ASMEND
	;;#ASMSTART
	v_cvt_f32_f16 v22, v22;
	;;#ASMEND
	ds_read_b32 v50, v15 offset:4
	v_fma_mixlo_f16 v23, v20, v23, 0
	v_fma_mixlo_f16 v24, v20, v24, 0
	v_and_b32_e32 v23, 0xffff, v23
	v_and_b32_e32 v24, 0xffff, v24
	s_waitcnt lgkmcnt(0)
	v_lshrrev_b32_e32 v51, 16, v50
	v_and_b32_e32 v50, 0xffff, v50
	;;#ASMSTART
	v_cvt_f32_f16 v50, v50;
	;;#ASMEND
	;;#ASMSTART
	v_cvt_f32_f16 v51, v51;
	;;#ASMEND
	;;#ASMSTART
	v_cvt_f32_f16 v23, v23;
	;;#ASMEND
	;;#ASMSTART
	v_cvt_f32_f16 v24, v24;
	;;#ASMEND
	ds_read_b32 v52, v15 offset:8
	v_fma_mixlo_f16 v25, v20, v25, 0
	v_fma_mixlo_f16 v26, v20, v26, 0
	v_and_b32_e32 v25, 0xffff, v25
	v_and_b32_e32 v26, 0xffff, v26
	s_waitcnt lgkmcnt(0)
	v_lshrrev_b32_e32 v53, 16, v52
	v_and_b32_e32 v52, 0xffff, v52
	;;#ASMSTART
	v_cvt_f32_f16 v52, v52;
	;;#ASMEND
	;;#ASMSTART
	v_cvt_f32_f16 v53, v53;
	;;#ASMEND
	;;#ASMSTART
	v_cvt_f32_f16 v25, v25;
	;;#ASMEND
	;;#ASMSTART
	v_cvt_f32_f16 v26, v26;
	;;#ASMEND
	ds_read_b32 v54, v15 offset:12
	v_fma_mixlo_f16 v27, v20, v27, 0
	v_fma_mixlo_f16 v28, v20, v28, 0
	v_and_b32_e32 v27, 0xffff, v27
	v_and_b32_e32 v28, 0xffff, v28
	s_waitcnt lgkmcnt(0)
	v_lshrrev_b32_e32 v55, 16, v54
	v_and_b32_e32 v54, 0xffff, v54
	;;#ASMSTART
	v_cvt_f32_f16 v54, v54;
	;;#ASMEND
	;;#ASMSTART
	v_cvt_f32_f16 v55, v55;
	;;#ASMEND
	;;#ASMSTART
	v_cvt_f32_f16 v27, v27;
	;;#ASMEND
	;;#ASMSTART
	v_cvt_f32_f16 v28, v28;
	;;#ASMEND
	ds_read_b32 v56, v15 offset:16
	v_fma_mixlo_f16 v29, v20, v29, 0
	v_fma_mixlo_f16 v30, v20, v30, 0
	v_and_b32_e32 v29, 0xffff, v29
	v_and_b32_e32 v30, 0xffff, v30
	s_waitcnt lgkmcnt(0)
	v_lshrrev_b32_e32 v57, 16, v56
	v_and_b32_e32 v56, 0xffff, v56
	;;#ASMSTART
	v_cvt_f32_f16 v56, v56;
	;;#ASMEND
	;;#ASMSTART
	v_cvt_f32_f16 v57, v57;
	;;#ASMEND
	;;#ASMSTART
	v_cvt_f32_f16 v29, v29;
	;;#ASMEND
	;;#ASMSTART
	v_cvt_f32_f16 v30, v30;
	;;#ASMEND
	ds_read_b32 v58, v15 offset:20
	v_fma_mixlo_f16 v31, v20, v31, 0
	v_fma_mixlo_f16 v32, v20, v32, 0
	v_and_b32_e32 v31, 0xffff, v31
	v_and_b32_e32 v32, 0xffff, v32
	s_waitcnt lgkmcnt(0)
	v_lshrrev_b32_e32 v59, 16, v58
	v_and_b32_e32 v58, 0xffff, v58
	;;#ASMSTART
	v_cvt_f32_f16 v58, v58;
	;;#ASMEND
	;;#ASMSTART
	v_cvt_f32_f16 v59, v59;
	;;#ASMEND
	;;#ASMSTART
	v_cvt_f32_f16 v31, v31;
	;;#ASMEND
	;;#ASMSTART
	v_cvt_f32_f16 v32, v32;
	;;#ASMEND
	ds_read_b32 v60, v15 offset:24
	v_fma_mixlo_f16 v33, v20, v33, 0
	v_fma_mixlo_f16 v34, v20, v34, 0
	v_and_b32_e32 v33, 0xffff, v33
	v_and_b32_e32 v34, 0xffff, v34
	s_waitcnt lgkmcnt(0)
	v_lshrrev_b32_e32 v61, 16, v60
	v_and_b32_e32 v60, 0xffff, v60
	;;#ASMSTART
	v_cvt_f32_f16 v60, v60;
	;;#ASMEND
	;;#ASMSTART
	v_cvt_f32_f16 v61, v61;
	;;#ASMEND
	;;#ASMSTART
	v_cvt_f32_f16 v33, v33;
	;;#ASMEND
	;;#ASMSTART
	v_cvt_f32_f16 v34, v34;
	;;#ASMEND
	ds_read_b32 v62, v15 offset:28
	v_fma_mixlo_f16 v35, v20, v35, 0
	v_fma_mixlo_f16 v36, v20, v36, 0
	;; [unrolled: 1-line block ×16, first 2 shown]
	s_waitcnt lgkmcnt(0)
	v_lshrrev_b32_e32 v20, 16, v62
	v_and_b32_e32 v62, 0xffff, v62
	v_and_b32_e32 v35, 0xffff, v35
	;; [unrolled: 1-line block ×3, first 2 shown]
	;;#ASMSTART
	v_cvt_f32_f16 v62, v62;
	;;#ASMEND
	;;#ASMSTART
	v_cvt_f32_f16 v20, v20;
	;;#ASMEND
	;; [unrolled: 3-line block ×4, first 2 shown]
	ds_read_b32 v63, v15 offset:32
	v_mul_f32_e32 v23, v50, v23
	v_fmac_f32_e32 v23, v2, v21
	v_mul_f32_e32 v2, v51, v24
	v_fmac_f32_e32 v2, v49, v22
	s_waitcnt lgkmcnt(0)
	v_lshrrev_b32_e32 v21, 16, v63
	v_and_b32_e32 v22, 0xffff, v63
	v_and_b32_e32 v24, 0xffff, v37
	v_and_b32_e32 v37, 0xffff, v38
	;;#ASMSTART
	v_cvt_f32_f16 v22, v22;
	;;#ASMEND
	;;#ASMSTART
	v_cvt_f32_f16 v21, v21;
	;;#ASMEND
	;;#ASMSTART
	v_cvt_f32_f16 v24, v24;
	;;#ASMEND
	;;#ASMSTART
	v_cvt_f32_f16 v37, v37;
	;;#ASMEND
	ds_read_b32 v38, v15 offset:36
	v_fmac_f32_e32 v23, v52, v25
	v_fmac_f32_e32 v2, v53, v26
	v_fmac_f32_e32 v23, v54, v27
	v_fmac_f32_e32 v2, v55, v28
	s_waitcnt lgkmcnt(0)
	v_lshrrev_b32_e32 v25, 16, v38
	v_and_b32_e32 v26, 0xffff, v38
	v_and_b32_e32 v27, 0xffff, v39
	v_and_b32_e32 v28, 0xffff, v40
	;;#ASMSTART
	v_cvt_f32_f16 v26, v26;
	;;#ASMEND
	;;#ASMSTART
	v_cvt_f32_f16 v25, v25;
	;;#ASMEND
	;;#ASMSTART
	v_cvt_f32_f16 v27, v27;
	;;#ASMEND
	;;#ASMSTART
	v_cvt_f32_f16 v28, v28;
	;;#ASMEND
	ds_read_b32 v38, v15 offset:40
	v_fmac_f32_e32 v23, v56, v29
	v_fmac_f32_e32 v2, v57, v30
	v_fmac_f32_e32 v23, v58, v31
	;; [unrolled: 22-line block ×4, first 2 shown]
	v_and_b32_e32 v24, 0xffff, v45
	s_waitcnt lgkmcnt(0)
	v_lshrrev_b32_e32 v21, 16, v36
	v_and_b32_e32 v22, 0xffff, v36
	v_and_b32_e32 v25, 0xffff, v46
	v_fmac_f32_e32 v23, v26, v27
	;;#ASMSTART
	v_cvt_f32_f16 v22, v22;
	;;#ASMEND
	;;#ASMSTART
	v_cvt_f32_f16 v21, v21;
	;;#ASMEND
	;; [unrolled: 3-line block ×4, first 2 shown]
	ds_read_b32 v26, v15 offset:52
	v_fmac_f32_e32 v2, v29, v32
	v_fmac_f32_e32 v2, v20, v35
	v_and_b32_e32 v27, 0xffff, v47
	v_and_b32_e32 v28, 0xffff, v48
	s_waitcnt lgkmcnt(0)
	v_lshrrev_b32_e32 v20, 16, v26
	v_and_b32_e32 v26, 0xffff, v26
	;;#ASMSTART
	v_cvt_f32_f16 v26, v26;
	;;#ASMEND
	;;#ASMSTART
	v_cvt_f32_f16 v20, v20;
	;;#ASMEND
	;; [unrolled: 3-line block ×4, first 2 shown]
	ds_read_b32 v29, v15 offset:56
	v_fmac_f32_e32 v23, v30, v31
	v_fmac_f32_e32 v23, v33, v34
	;; [unrolled: 1-line block ×6, first 2 shown]
	s_waitcnt lgkmcnt(0)
	v_lshrrev_b32_e32 v20, 16, v29
	v_and_b32_e32 v21, 0xffff, v29
	v_and_b32_e32 v10, 0xffff, v10
	;; [unrolled: 1-line block ×3, first 2 shown]
	;;#ASMSTART
	v_cvt_f32_f16 v21, v21;
	;;#ASMEND
	;;#ASMSTART
	v_cvt_f32_f16 v20, v20;
	;;#ASMEND
	;; [unrolled: 3-line block ×4, first 2 shown]
	s_nop 0
	v_fmac_f32_e32 v23, v21, v10
	v_fmac_f32_e32 v2, v20, v11
	v_add_f32_e32 v10, v23, v2
	v_and_b32_e32 v2, 64, v13
	v_add_u32_e32 v2, 64, v2
	v_xor_b32_e32 v11, 2, v13
	v_cmp_lt_i32_e64 s[0:1], v11, v2
	s_nop 1
	v_cndmask_b32_e64 v11, v13, v11, s[0:1]
	v_lshlrev_b32_e32 v11, 2, v11
	ds_bpermute_b32 v11, v11, v10
	s_waitcnt lgkmcnt(0)
	v_add_f32_e32 v10, v10, v11
	v_xor_b32_e32 v11, 1, v13
	v_cmp_lt_i32_e64 s[0:1], v11, v2
	s_nop 1
	v_cndmask_b32_e64 v11, v13, v11, s[0:1]
	v_lshlrev_b32_e32 v11, 2, v11
	ds_bpermute_b32 v11, v11, v10
	s_and_saveexec_b64 s[34:35], vcc
	s_cbranch_execz .LBB252_8
; %bb.130:                              ;   in Loop: Header=BB252_9 Depth=1
	v_add_u32_e32 v20, s41, v16
	v_cvt_f32_i32_e32 v20, v20
	s_waitcnt lgkmcnt(0)
	v_add_f32_e32 v10, v10, v11
	v_cmp_gt_i32_e64 s[0:1], s33, v16
	v_max_f32_e32 v11, v14, v14
	v_mul_f32_e32 v20, s28, v20
	v_cndmask_b32_e64 v20, 0, v20, s[2:3]
	v_fmac_f32_e32 v20, s29, v10
	v_cndmask_b32_e64 v10, 0, v20, s[0:1]
	ds_write_b32 v17, v10
	v_max_f32_e32 v10, v11, v20
	v_cndmask_b32_e64 v14, v14, v10, s[0:1]
	s_branch .LBB252_8
.LBB252_131:                            ;   in Loop: Header=BB252_9 Depth=1
	v_cmp_eq_u16_sdwa s[46:47], v2, s43 src0_sel:BYTE_0 src1_sel:DWORD
	s_mov_b64 s[0:1], -1
                                        ; implicit-def: $sgpr38
	s_and_saveexec_b64 s[36:37], s[46:47]
; %bb.132:                              ;   in Loop: Header=BB252_9 Depth=1
	s_mov_b32 s38, 0x7fc02000
	s_xor_b64 s[0:1], exec, -1
; %bb.133:                              ;   in Loop: Header=BB252_9 Depth=1
	s_or_b64 exec, exec, s[36:37]
	s_and_b64 s[0:1], s[0:1], exec
	s_or_saveexec_b64 s[34:35], s[34:35]
	v_mov_b32_e32 v21, s38
	s_xor_b64 exec, exec, s[34:35]
	s_cbranch_execz .LBB252_11
.LBB252_134:                            ;   in Loop: Header=BB252_9 Depth=1
	v_cmp_ne_u16_sdwa s[36:37], v2, v3 src0_sel:BYTE_0 src1_sel:DWORD
	s_andn2_b64 s[0:1], s[0:1], exec
	s_and_b64 s[36:37], s[36:37], exec
	v_mov_b32_e32 v21, 0
	s_or_b64 s[0:1], s[0:1], s[36:37]
	s_or_b64 exec, exec, s[34:35]
	v_and_b32_e32 v2, 0xffff, v2
	s_and_saveexec_b64 s[34:35], s[0:1]
	s_cbranch_execnz .LBB252_12
	s_branch .LBB252_13
.LBB252_135:                            ;   in Loop: Header=BB252_9 Depth=1
	v_cmp_eq_u16_e64 s[0:1], s43, v2
	s_mov_b64 s[34:35], -1
                                        ; implicit-def: $sgpr45
	s_and_saveexec_b64 s[38:39], s[0:1]
; %bb.136:                              ;   in Loop: Header=BB252_9 Depth=1
	s_mov_b32 s45, 0x7fc02000
	s_xor_b64 s[34:35], exec, -1
; %bb.137:                              ;   in Loop: Header=BB252_9 Depth=1
	s_or_b64 exec, exec, s[38:39]
	s_and_b64 s[34:35], s[34:35], exec
	s_or_saveexec_b64 s[36:37], s[36:37]
	v_mov_b32_e32 v22, s45
	s_xor_b64 exec, exec, s[36:37]
	s_cbranch_execz .LBB252_15
.LBB252_138:                            ;   in Loop: Header=BB252_9 Depth=1
	v_cmp_ne_u16_e64 s[0:1], 0, v2
	s_andn2_b64 s[34:35], s[34:35], exec
	s_and_b64 s[0:1], s[0:1], exec
	v_mov_b32_e32 v22, 0
	s_or_b64 s[34:35], s[34:35], s[0:1]
	s_or_b64 exec, exec, s[36:37]
	s_and_saveexec_b64 s[36:37], s[34:35]
	s_cbranch_execnz .LBB252_16
	s_branch .LBB252_17
.LBB252_139:                            ;   in Loop: Header=BB252_9 Depth=1
	v_cmp_eq_u16_sdwa s[46:47], v2, s43 src0_sel:BYTE_0 src1_sel:DWORD
	s_mov_b64 s[0:1], -1
                                        ; implicit-def: $sgpr38
	s_and_saveexec_b64 s[36:37], s[46:47]
; %bb.140:                              ;   in Loop: Header=BB252_9 Depth=1
	s_mov_b32 s38, 0x7fc02000
	s_xor_b64 s[0:1], exec, -1
; %bb.141:                              ;   in Loop: Header=BB252_9 Depth=1
	s_or_b64 exec, exec, s[36:37]
	s_and_b64 s[0:1], s[0:1], exec
	s_or_saveexec_b64 s[34:35], s[34:35]
	v_mov_b32_e32 v23, s38
	s_xor_b64 exec, exec, s[34:35]
	s_cbranch_execz .LBB252_19
.LBB252_142:                            ;   in Loop: Header=BB252_9 Depth=1
	v_cmp_ne_u16_sdwa s[36:37], v2, v3 src0_sel:BYTE_0 src1_sel:DWORD
	s_andn2_b64 s[0:1], s[0:1], exec
	s_and_b64 s[36:37], s[36:37], exec
	v_mov_b32_e32 v23, 0
	s_or_b64 s[0:1], s[0:1], s[36:37]
	s_or_b64 exec, exec, s[34:35]
	v_and_b32_e32 v2, 0xffff, v2
	s_and_saveexec_b64 s[34:35], s[0:1]
	s_cbranch_execnz .LBB252_20
	s_branch .LBB252_21
.LBB252_143:                            ;   in Loop: Header=BB252_9 Depth=1
	v_cmp_eq_u16_e64 s[0:1], s43, v2
	s_mov_b64 s[34:35], -1
                                        ; implicit-def: $sgpr45
	s_and_saveexec_b64 s[38:39], s[0:1]
; %bb.144:                              ;   in Loop: Header=BB252_9 Depth=1
	s_mov_b32 s45, 0x7fc02000
	s_xor_b64 s[34:35], exec, -1
; %bb.145:                              ;   in Loop: Header=BB252_9 Depth=1
	s_or_b64 exec, exec, s[38:39]
	s_and_b64 s[34:35], s[34:35], exec
	s_or_saveexec_b64 s[36:37], s[36:37]
	v_mov_b32_e32 v24, s45
	s_xor_b64 exec, exec, s[36:37]
	s_cbranch_execz .LBB252_23
.LBB252_146:                            ;   in Loop: Header=BB252_9 Depth=1
	v_cmp_ne_u16_e64 s[0:1], 0, v2
	s_andn2_b64 s[34:35], s[34:35], exec
	s_and_b64 s[0:1], s[0:1], exec
	v_mov_b32_e32 v24, 0
	s_or_b64 s[34:35], s[34:35], s[0:1]
	s_or_b64 exec, exec, s[36:37]
	s_and_saveexec_b64 s[36:37], s[34:35]
	s_cbranch_execnz .LBB252_24
	s_branch .LBB252_25
.LBB252_147:                            ;   in Loop: Header=BB252_9 Depth=1
	v_cmp_eq_u16_sdwa s[46:47], v2, s43 src0_sel:BYTE_0 src1_sel:DWORD
	s_mov_b64 s[0:1], -1
                                        ; implicit-def: $sgpr38
	s_and_saveexec_b64 s[36:37], s[46:47]
; %bb.148:                              ;   in Loop: Header=BB252_9 Depth=1
	s_mov_b32 s38, 0x7fc02000
	s_xor_b64 s[0:1], exec, -1
; %bb.149:                              ;   in Loop: Header=BB252_9 Depth=1
	s_or_b64 exec, exec, s[36:37]
	s_and_b64 s[0:1], s[0:1], exec
	s_or_saveexec_b64 s[34:35], s[34:35]
	v_mov_b32_e32 v25, s38
	s_xor_b64 exec, exec, s[34:35]
	s_cbranch_execz .LBB252_27
.LBB252_150:                            ;   in Loop: Header=BB252_9 Depth=1
	v_cmp_ne_u16_sdwa s[36:37], v2, v3 src0_sel:BYTE_0 src1_sel:DWORD
	s_andn2_b64 s[0:1], s[0:1], exec
	s_and_b64 s[36:37], s[36:37], exec
	v_mov_b32_e32 v25, 0
	s_or_b64 s[0:1], s[0:1], s[36:37]
	s_or_b64 exec, exec, s[34:35]
	v_and_b32_e32 v2, 0xffff, v2
	s_and_saveexec_b64 s[34:35], s[0:1]
	s_cbranch_execnz .LBB252_28
	s_branch .LBB252_29
.LBB252_151:                            ;   in Loop: Header=BB252_9 Depth=1
	v_cmp_eq_u16_e64 s[0:1], s43, v2
	s_mov_b64 s[34:35], -1
                                        ; implicit-def: $sgpr45
	s_and_saveexec_b64 s[38:39], s[0:1]
; %bb.152:                              ;   in Loop: Header=BB252_9 Depth=1
	s_mov_b32 s45, 0x7fc02000
	s_xor_b64 s[34:35], exec, -1
; %bb.153:                              ;   in Loop: Header=BB252_9 Depth=1
	s_or_b64 exec, exec, s[38:39]
	s_and_b64 s[34:35], s[34:35], exec
	s_or_saveexec_b64 s[36:37], s[36:37]
	v_mov_b32_e32 v26, s45
	s_xor_b64 exec, exec, s[36:37]
	s_cbranch_execz .LBB252_31
.LBB252_154:                            ;   in Loop: Header=BB252_9 Depth=1
	v_cmp_ne_u16_e64 s[0:1], 0, v2
	s_andn2_b64 s[34:35], s[34:35], exec
	s_and_b64 s[0:1], s[0:1], exec
	v_mov_b32_e32 v26, 0
	s_or_b64 s[34:35], s[34:35], s[0:1]
	s_or_b64 exec, exec, s[36:37]
	s_and_saveexec_b64 s[36:37], s[34:35]
	s_cbranch_execnz .LBB252_32
	s_branch .LBB252_33
.LBB252_155:                            ;   in Loop: Header=BB252_9 Depth=1
	v_cmp_eq_u16_sdwa s[46:47], v2, s43 src0_sel:BYTE_0 src1_sel:DWORD
	s_mov_b64 s[0:1], -1
                                        ; implicit-def: $sgpr38
	s_and_saveexec_b64 s[36:37], s[46:47]
; %bb.156:                              ;   in Loop: Header=BB252_9 Depth=1
	s_mov_b32 s38, 0x7fc02000
	s_xor_b64 s[0:1], exec, -1
; %bb.157:                              ;   in Loop: Header=BB252_9 Depth=1
	s_or_b64 exec, exec, s[36:37]
	s_and_b64 s[0:1], s[0:1], exec
	s_or_saveexec_b64 s[34:35], s[34:35]
	v_mov_b32_e32 v27, s38
	s_xor_b64 exec, exec, s[34:35]
	s_cbranch_execz .LBB252_35
.LBB252_158:                            ;   in Loop: Header=BB252_9 Depth=1
	v_cmp_ne_u16_sdwa s[36:37], v2, v3 src0_sel:BYTE_0 src1_sel:DWORD
	s_andn2_b64 s[0:1], s[0:1], exec
	s_and_b64 s[36:37], s[36:37], exec
	v_mov_b32_e32 v27, 0
	s_or_b64 s[0:1], s[0:1], s[36:37]
	s_or_b64 exec, exec, s[34:35]
	v_and_b32_e32 v2, 0xffff, v2
	s_and_saveexec_b64 s[34:35], s[0:1]
	s_cbranch_execnz .LBB252_36
	s_branch .LBB252_37
.LBB252_159:                            ;   in Loop: Header=BB252_9 Depth=1
	v_cmp_eq_u16_e64 s[0:1], s43, v2
	s_mov_b64 s[34:35], -1
                                        ; implicit-def: $sgpr45
	s_and_saveexec_b64 s[38:39], s[0:1]
; %bb.160:                              ;   in Loop: Header=BB252_9 Depth=1
	s_mov_b32 s45, 0x7fc02000
	s_xor_b64 s[34:35], exec, -1
; %bb.161:                              ;   in Loop: Header=BB252_9 Depth=1
	s_or_b64 exec, exec, s[38:39]
	s_and_b64 s[34:35], s[34:35], exec
	s_or_saveexec_b64 s[36:37], s[36:37]
	v_mov_b32_e32 v28, s45
	s_xor_b64 exec, exec, s[36:37]
	s_cbranch_execz .LBB252_39
.LBB252_162:                            ;   in Loop: Header=BB252_9 Depth=1
	v_cmp_ne_u16_e64 s[0:1], 0, v2
	s_andn2_b64 s[34:35], s[34:35], exec
	s_and_b64 s[0:1], s[0:1], exec
	v_mov_b32_e32 v28, 0
	s_or_b64 s[34:35], s[34:35], s[0:1]
	s_or_b64 exec, exec, s[36:37]
	s_and_saveexec_b64 s[36:37], s[34:35]
	s_cbranch_execnz .LBB252_40
	s_branch .LBB252_41
.LBB252_163:                            ;   in Loop: Header=BB252_9 Depth=1
	v_cmp_eq_u16_sdwa s[46:47], v2, s43 src0_sel:BYTE_0 src1_sel:DWORD
	s_mov_b64 s[0:1], -1
                                        ; implicit-def: $sgpr38
	s_and_saveexec_b64 s[36:37], s[46:47]
; %bb.164:                              ;   in Loop: Header=BB252_9 Depth=1
	s_mov_b32 s38, 0x7fc02000
	s_xor_b64 s[0:1], exec, -1
; %bb.165:                              ;   in Loop: Header=BB252_9 Depth=1
	s_or_b64 exec, exec, s[36:37]
	s_and_b64 s[0:1], s[0:1], exec
	s_or_saveexec_b64 s[34:35], s[34:35]
	v_mov_b32_e32 v29, s38
	s_xor_b64 exec, exec, s[34:35]
	s_cbranch_execz .LBB252_43
.LBB252_166:                            ;   in Loop: Header=BB252_9 Depth=1
	v_cmp_ne_u16_sdwa s[36:37], v2, v3 src0_sel:BYTE_0 src1_sel:DWORD
	s_andn2_b64 s[0:1], s[0:1], exec
	s_and_b64 s[36:37], s[36:37], exec
	v_mov_b32_e32 v29, 0
	s_or_b64 s[0:1], s[0:1], s[36:37]
	s_or_b64 exec, exec, s[34:35]
	v_and_b32_e32 v2, 0xffff, v2
	s_and_saveexec_b64 s[34:35], s[0:1]
	s_cbranch_execnz .LBB252_44
	s_branch .LBB252_45
.LBB252_167:                            ;   in Loop: Header=BB252_9 Depth=1
	v_cmp_eq_u16_e64 s[0:1], s43, v2
	s_mov_b64 s[34:35], -1
                                        ; implicit-def: $sgpr45
	s_and_saveexec_b64 s[38:39], s[0:1]
; %bb.168:                              ;   in Loop: Header=BB252_9 Depth=1
	s_mov_b32 s45, 0x7fc02000
	s_xor_b64 s[34:35], exec, -1
; %bb.169:                              ;   in Loop: Header=BB252_9 Depth=1
	s_or_b64 exec, exec, s[38:39]
	s_and_b64 s[34:35], s[34:35], exec
	s_or_saveexec_b64 s[36:37], s[36:37]
	v_mov_b32_e32 v30, s45
	s_xor_b64 exec, exec, s[36:37]
	s_cbranch_execz .LBB252_47
.LBB252_170:                            ;   in Loop: Header=BB252_9 Depth=1
	v_cmp_ne_u16_e64 s[0:1], 0, v2
	s_andn2_b64 s[34:35], s[34:35], exec
	s_and_b64 s[0:1], s[0:1], exec
	v_mov_b32_e32 v30, 0
	s_or_b64 s[34:35], s[34:35], s[0:1]
	s_or_b64 exec, exec, s[36:37]
	s_and_saveexec_b64 s[36:37], s[34:35]
	s_cbranch_execnz .LBB252_48
	s_branch .LBB252_49
.LBB252_171:                            ;   in Loop: Header=BB252_9 Depth=1
	v_cmp_eq_u16_sdwa s[46:47], v2, s43 src0_sel:BYTE_0 src1_sel:DWORD
	s_mov_b64 s[0:1], -1
                                        ; implicit-def: $sgpr38
	s_and_saveexec_b64 s[36:37], s[46:47]
; %bb.172:                              ;   in Loop: Header=BB252_9 Depth=1
	s_mov_b32 s38, 0x7fc02000
	s_xor_b64 s[0:1], exec, -1
; %bb.173:                              ;   in Loop: Header=BB252_9 Depth=1
	s_or_b64 exec, exec, s[36:37]
	s_and_b64 s[0:1], s[0:1], exec
	s_or_saveexec_b64 s[34:35], s[34:35]
	v_mov_b32_e32 v31, s38
	s_xor_b64 exec, exec, s[34:35]
	s_cbranch_execz .LBB252_51
.LBB252_174:                            ;   in Loop: Header=BB252_9 Depth=1
	v_cmp_ne_u16_sdwa s[36:37], v2, v3 src0_sel:BYTE_0 src1_sel:DWORD
	s_andn2_b64 s[0:1], s[0:1], exec
	s_and_b64 s[36:37], s[36:37], exec
	v_mov_b32_e32 v31, 0
	s_or_b64 s[0:1], s[0:1], s[36:37]
	s_or_b64 exec, exec, s[34:35]
	v_and_b32_e32 v2, 0xffff, v2
	s_and_saveexec_b64 s[34:35], s[0:1]
	s_cbranch_execnz .LBB252_52
	s_branch .LBB252_53
.LBB252_175:                            ;   in Loop: Header=BB252_9 Depth=1
	v_cmp_eq_u16_e64 s[0:1], s43, v2
	s_mov_b64 s[34:35], -1
                                        ; implicit-def: $sgpr45
	s_and_saveexec_b64 s[38:39], s[0:1]
; %bb.176:                              ;   in Loop: Header=BB252_9 Depth=1
	s_mov_b32 s45, 0x7fc02000
	s_xor_b64 s[34:35], exec, -1
; %bb.177:                              ;   in Loop: Header=BB252_9 Depth=1
	s_or_b64 exec, exec, s[38:39]
	s_and_b64 s[34:35], s[34:35], exec
	s_or_saveexec_b64 s[36:37], s[36:37]
	v_mov_b32_e32 v32, s45
	s_xor_b64 exec, exec, s[36:37]
	s_cbranch_execz .LBB252_55
.LBB252_178:                            ;   in Loop: Header=BB252_9 Depth=1
	v_cmp_ne_u16_e64 s[0:1], 0, v2
	s_andn2_b64 s[34:35], s[34:35], exec
	s_and_b64 s[0:1], s[0:1], exec
	v_mov_b32_e32 v32, 0
	s_or_b64 s[34:35], s[34:35], s[0:1]
	s_or_b64 exec, exec, s[36:37]
	s_and_saveexec_b64 s[36:37], s[34:35]
	s_cbranch_execnz .LBB252_56
	s_branch .LBB252_57
.LBB252_179:                            ;   in Loop: Header=BB252_9 Depth=1
	v_cmp_eq_u16_sdwa s[46:47], v2, s43 src0_sel:BYTE_0 src1_sel:DWORD
	s_mov_b64 s[0:1], -1
                                        ; implicit-def: $sgpr38
	s_and_saveexec_b64 s[36:37], s[46:47]
; %bb.180:                              ;   in Loop: Header=BB252_9 Depth=1
	s_mov_b32 s38, 0x7fc02000
	s_xor_b64 s[0:1], exec, -1
; %bb.181:                              ;   in Loop: Header=BB252_9 Depth=1
	s_or_b64 exec, exec, s[36:37]
	s_and_b64 s[0:1], s[0:1], exec
	s_or_saveexec_b64 s[34:35], s[34:35]
	v_mov_b32_e32 v33, s38
	s_xor_b64 exec, exec, s[34:35]
	s_cbranch_execz .LBB252_59
.LBB252_182:                            ;   in Loop: Header=BB252_9 Depth=1
	v_cmp_ne_u16_sdwa s[36:37], v2, v3 src0_sel:BYTE_0 src1_sel:DWORD
	s_andn2_b64 s[0:1], s[0:1], exec
	s_and_b64 s[36:37], s[36:37], exec
	v_mov_b32_e32 v33, 0
	s_or_b64 s[0:1], s[0:1], s[36:37]
	s_or_b64 exec, exec, s[34:35]
	v_and_b32_e32 v2, 0xffff, v2
	s_and_saveexec_b64 s[34:35], s[0:1]
	s_cbranch_execnz .LBB252_60
	s_branch .LBB252_61
.LBB252_183:                            ;   in Loop: Header=BB252_9 Depth=1
	v_cmp_eq_u16_e64 s[0:1], s43, v2
	s_mov_b64 s[34:35], -1
                                        ; implicit-def: $sgpr45
	s_and_saveexec_b64 s[38:39], s[0:1]
; %bb.184:                              ;   in Loop: Header=BB252_9 Depth=1
	s_mov_b32 s45, 0x7fc02000
	s_xor_b64 s[34:35], exec, -1
; %bb.185:                              ;   in Loop: Header=BB252_9 Depth=1
	s_or_b64 exec, exec, s[38:39]
	s_and_b64 s[34:35], s[34:35], exec
	s_or_saveexec_b64 s[36:37], s[36:37]
	v_mov_b32_e32 v34, s45
	s_xor_b64 exec, exec, s[36:37]
	s_cbranch_execz .LBB252_63
.LBB252_186:                            ;   in Loop: Header=BB252_9 Depth=1
	v_cmp_ne_u16_e64 s[0:1], 0, v2
	s_andn2_b64 s[34:35], s[34:35], exec
	s_and_b64 s[0:1], s[0:1], exec
	v_mov_b32_e32 v34, 0
	s_or_b64 s[34:35], s[34:35], s[0:1]
	s_or_b64 exec, exec, s[36:37]
	s_and_saveexec_b64 s[36:37], s[34:35]
	s_cbranch_execnz .LBB252_64
	s_branch .LBB252_65
.LBB252_187:                            ;   in Loop: Header=BB252_9 Depth=1
	v_cmp_eq_u16_sdwa s[46:47], v2, s43 src0_sel:BYTE_0 src1_sel:DWORD
	s_mov_b64 s[0:1], -1
                                        ; implicit-def: $sgpr38
	s_and_saveexec_b64 s[36:37], s[46:47]
; %bb.188:                              ;   in Loop: Header=BB252_9 Depth=1
	s_mov_b32 s38, 0x7fc02000
	s_xor_b64 s[0:1], exec, -1
; %bb.189:                              ;   in Loop: Header=BB252_9 Depth=1
	s_or_b64 exec, exec, s[36:37]
	s_and_b64 s[0:1], s[0:1], exec
	s_or_saveexec_b64 s[34:35], s[34:35]
	v_mov_b32_e32 v35, s38
	s_xor_b64 exec, exec, s[34:35]
	s_cbranch_execz .LBB252_67
.LBB252_190:                            ;   in Loop: Header=BB252_9 Depth=1
	v_cmp_ne_u16_sdwa s[36:37], v2, v3 src0_sel:BYTE_0 src1_sel:DWORD
	s_andn2_b64 s[0:1], s[0:1], exec
	s_and_b64 s[36:37], s[36:37], exec
	v_mov_b32_e32 v35, 0
	s_or_b64 s[0:1], s[0:1], s[36:37]
	s_or_b64 exec, exec, s[34:35]
	v_and_b32_e32 v2, 0xffff, v2
	s_and_saveexec_b64 s[34:35], s[0:1]
	s_cbranch_execnz .LBB252_68
	s_branch .LBB252_69
.LBB252_191:                            ;   in Loop: Header=BB252_9 Depth=1
	v_cmp_eq_u16_e64 s[0:1], s43, v2
	s_mov_b64 s[34:35], -1
                                        ; implicit-def: $sgpr45
	s_and_saveexec_b64 s[38:39], s[0:1]
; %bb.192:                              ;   in Loop: Header=BB252_9 Depth=1
	s_mov_b32 s45, 0x7fc02000
	s_xor_b64 s[34:35], exec, -1
; %bb.193:                              ;   in Loop: Header=BB252_9 Depth=1
	s_or_b64 exec, exec, s[38:39]
	s_and_b64 s[34:35], s[34:35], exec
	s_or_saveexec_b64 s[36:37], s[36:37]
	v_mov_b32_e32 v36, s45
	s_xor_b64 exec, exec, s[36:37]
	s_cbranch_execz .LBB252_71
.LBB252_194:                            ;   in Loop: Header=BB252_9 Depth=1
	v_cmp_ne_u16_e64 s[0:1], 0, v2
	s_andn2_b64 s[34:35], s[34:35], exec
	s_and_b64 s[0:1], s[0:1], exec
	v_mov_b32_e32 v36, 0
	s_or_b64 s[34:35], s[34:35], s[0:1]
	s_or_b64 exec, exec, s[36:37]
	s_and_saveexec_b64 s[36:37], s[34:35]
	s_cbranch_execnz .LBB252_72
	s_branch .LBB252_73
.LBB252_195:                            ;   in Loop: Header=BB252_9 Depth=1
	v_cmp_eq_u16_sdwa s[46:47], v2, s43 src0_sel:BYTE_0 src1_sel:DWORD
	s_mov_b64 s[0:1], -1
                                        ; implicit-def: $sgpr38
	s_and_saveexec_b64 s[36:37], s[46:47]
; %bb.196:                              ;   in Loop: Header=BB252_9 Depth=1
	s_mov_b32 s38, 0x7fc02000
	s_xor_b64 s[0:1], exec, -1
; %bb.197:                              ;   in Loop: Header=BB252_9 Depth=1
	s_or_b64 exec, exec, s[36:37]
	s_and_b64 s[0:1], s[0:1], exec
	s_or_saveexec_b64 s[34:35], s[34:35]
	v_mov_b32_e32 v37, s38
	s_xor_b64 exec, exec, s[34:35]
	s_cbranch_execz .LBB252_75
.LBB252_198:                            ;   in Loop: Header=BB252_9 Depth=1
	v_cmp_ne_u16_sdwa s[36:37], v2, v3 src0_sel:BYTE_0 src1_sel:DWORD
	s_andn2_b64 s[0:1], s[0:1], exec
	s_and_b64 s[36:37], s[36:37], exec
	v_mov_b32_e32 v37, 0
	s_or_b64 s[0:1], s[0:1], s[36:37]
	s_or_b64 exec, exec, s[34:35]
	v_and_b32_e32 v2, 0xffff, v2
	s_and_saveexec_b64 s[34:35], s[0:1]
	s_cbranch_execnz .LBB252_76
	s_branch .LBB252_77
.LBB252_199:                            ;   in Loop: Header=BB252_9 Depth=1
	v_cmp_eq_u16_e64 s[0:1], s43, v2
	s_mov_b64 s[34:35], -1
                                        ; implicit-def: $sgpr45
	s_and_saveexec_b64 s[38:39], s[0:1]
; %bb.200:                              ;   in Loop: Header=BB252_9 Depth=1
	s_mov_b32 s45, 0x7fc02000
	s_xor_b64 s[34:35], exec, -1
; %bb.201:                              ;   in Loop: Header=BB252_9 Depth=1
	s_or_b64 exec, exec, s[38:39]
	s_and_b64 s[34:35], s[34:35], exec
	s_or_saveexec_b64 s[36:37], s[36:37]
	v_mov_b32_e32 v38, s45
	s_xor_b64 exec, exec, s[36:37]
	s_cbranch_execz .LBB252_79
.LBB252_202:                            ;   in Loop: Header=BB252_9 Depth=1
	v_cmp_ne_u16_e64 s[0:1], 0, v2
	s_andn2_b64 s[34:35], s[34:35], exec
	s_and_b64 s[0:1], s[0:1], exec
	v_mov_b32_e32 v38, 0
	s_or_b64 s[34:35], s[34:35], s[0:1]
	s_or_b64 exec, exec, s[36:37]
	s_and_saveexec_b64 s[36:37], s[34:35]
	s_cbranch_execnz .LBB252_80
	s_branch .LBB252_81
.LBB252_203:                            ;   in Loop: Header=BB252_9 Depth=1
	v_cmp_eq_u16_sdwa s[46:47], v2, s43 src0_sel:BYTE_0 src1_sel:DWORD
	s_mov_b64 s[0:1], -1
                                        ; implicit-def: $sgpr38
	s_and_saveexec_b64 s[36:37], s[46:47]
; %bb.204:                              ;   in Loop: Header=BB252_9 Depth=1
	s_mov_b32 s38, 0x7fc02000
	s_xor_b64 s[0:1], exec, -1
; %bb.205:                              ;   in Loop: Header=BB252_9 Depth=1
	s_or_b64 exec, exec, s[36:37]
	s_and_b64 s[0:1], s[0:1], exec
	s_or_saveexec_b64 s[34:35], s[34:35]
	v_mov_b32_e32 v39, s38
	s_xor_b64 exec, exec, s[34:35]
	s_cbranch_execz .LBB252_83
.LBB252_206:                            ;   in Loop: Header=BB252_9 Depth=1
	v_cmp_ne_u16_sdwa s[36:37], v2, v3 src0_sel:BYTE_0 src1_sel:DWORD
	s_andn2_b64 s[0:1], s[0:1], exec
	s_and_b64 s[36:37], s[36:37], exec
	v_mov_b32_e32 v39, 0
	s_or_b64 s[0:1], s[0:1], s[36:37]
	s_or_b64 exec, exec, s[34:35]
	v_and_b32_e32 v2, 0xffff, v2
	s_and_saveexec_b64 s[34:35], s[0:1]
	s_cbranch_execnz .LBB252_84
	s_branch .LBB252_85
.LBB252_207:                            ;   in Loop: Header=BB252_9 Depth=1
	v_cmp_eq_u16_e64 s[0:1], s43, v2
	s_mov_b64 s[34:35], -1
                                        ; implicit-def: $sgpr45
	s_and_saveexec_b64 s[38:39], s[0:1]
; %bb.208:                              ;   in Loop: Header=BB252_9 Depth=1
	s_mov_b32 s45, 0x7fc02000
	s_xor_b64 s[34:35], exec, -1
; %bb.209:                              ;   in Loop: Header=BB252_9 Depth=1
	s_or_b64 exec, exec, s[38:39]
	s_and_b64 s[34:35], s[34:35], exec
	s_or_saveexec_b64 s[36:37], s[36:37]
	v_mov_b32_e32 v40, s45
	s_xor_b64 exec, exec, s[36:37]
	s_cbranch_execz .LBB252_87
.LBB252_210:                            ;   in Loop: Header=BB252_9 Depth=1
	v_cmp_ne_u16_e64 s[0:1], 0, v2
	s_andn2_b64 s[34:35], s[34:35], exec
	s_and_b64 s[0:1], s[0:1], exec
	v_mov_b32_e32 v40, 0
	s_or_b64 s[34:35], s[34:35], s[0:1]
	s_or_b64 exec, exec, s[36:37]
	s_and_saveexec_b64 s[36:37], s[34:35]
	s_cbranch_execnz .LBB252_88
	s_branch .LBB252_89
.LBB252_211:                            ;   in Loop: Header=BB252_9 Depth=1
	v_cmp_eq_u16_sdwa s[46:47], v2, s43 src0_sel:BYTE_0 src1_sel:DWORD
	s_mov_b64 s[0:1], -1
                                        ; implicit-def: $sgpr38
	s_and_saveexec_b64 s[36:37], s[46:47]
; %bb.212:                              ;   in Loop: Header=BB252_9 Depth=1
	s_mov_b32 s38, 0x7fc02000
	s_xor_b64 s[0:1], exec, -1
; %bb.213:                              ;   in Loop: Header=BB252_9 Depth=1
	s_or_b64 exec, exec, s[36:37]
	s_and_b64 s[0:1], s[0:1], exec
	s_or_saveexec_b64 s[34:35], s[34:35]
	v_mov_b32_e32 v41, s38
	s_xor_b64 exec, exec, s[34:35]
	s_cbranch_execz .LBB252_91
.LBB252_214:                            ;   in Loop: Header=BB252_9 Depth=1
	v_cmp_ne_u16_sdwa s[36:37], v2, v3 src0_sel:BYTE_0 src1_sel:DWORD
	s_andn2_b64 s[0:1], s[0:1], exec
	s_and_b64 s[36:37], s[36:37], exec
	v_mov_b32_e32 v41, 0
	s_or_b64 s[0:1], s[0:1], s[36:37]
	s_or_b64 exec, exec, s[34:35]
	v_and_b32_e32 v2, 0xffff, v2
	s_and_saveexec_b64 s[34:35], s[0:1]
	s_cbranch_execnz .LBB252_92
	s_branch .LBB252_93
.LBB252_215:                            ;   in Loop: Header=BB252_9 Depth=1
	v_cmp_eq_u16_e64 s[0:1], s43, v2
	s_mov_b64 s[34:35], -1
                                        ; implicit-def: $sgpr45
	s_and_saveexec_b64 s[38:39], s[0:1]
; %bb.216:                              ;   in Loop: Header=BB252_9 Depth=1
	s_mov_b32 s45, 0x7fc02000
	s_xor_b64 s[34:35], exec, -1
; %bb.217:                              ;   in Loop: Header=BB252_9 Depth=1
	s_or_b64 exec, exec, s[38:39]
	s_and_b64 s[34:35], s[34:35], exec
	s_or_saveexec_b64 s[36:37], s[36:37]
	v_mov_b32_e32 v42, s45
	s_xor_b64 exec, exec, s[36:37]
	s_cbranch_execz .LBB252_95
.LBB252_218:                            ;   in Loop: Header=BB252_9 Depth=1
	v_cmp_ne_u16_e64 s[0:1], 0, v2
	s_andn2_b64 s[34:35], s[34:35], exec
	s_and_b64 s[0:1], s[0:1], exec
	v_mov_b32_e32 v42, 0
	s_or_b64 s[34:35], s[34:35], s[0:1]
	s_or_b64 exec, exec, s[36:37]
	s_and_saveexec_b64 s[36:37], s[34:35]
	s_cbranch_execnz .LBB252_96
	s_branch .LBB252_97
.LBB252_219:                            ;   in Loop: Header=BB252_9 Depth=1
	v_cmp_eq_u16_sdwa s[46:47], v2, s43 src0_sel:BYTE_0 src1_sel:DWORD
	s_mov_b64 s[0:1], -1
                                        ; implicit-def: $sgpr38
	s_and_saveexec_b64 s[36:37], s[46:47]
; %bb.220:                              ;   in Loop: Header=BB252_9 Depth=1
	s_mov_b32 s38, 0x7fc02000
	s_xor_b64 s[0:1], exec, -1
; %bb.221:                              ;   in Loop: Header=BB252_9 Depth=1
	s_or_b64 exec, exec, s[36:37]
	s_and_b64 s[0:1], s[0:1], exec
	s_or_saveexec_b64 s[34:35], s[34:35]
	v_mov_b32_e32 v43, s38
	s_xor_b64 exec, exec, s[34:35]
	s_cbranch_execz .LBB252_99
.LBB252_222:                            ;   in Loop: Header=BB252_9 Depth=1
	v_cmp_ne_u16_sdwa s[36:37], v2, v3 src0_sel:BYTE_0 src1_sel:DWORD
	s_andn2_b64 s[0:1], s[0:1], exec
	s_and_b64 s[36:37], s[36:37], exec
	v_mov_b32_e32 v43, 0
	s_or_b64 s[0:1], s[0:1], s[36:37]
	s_or_b64 exec, exec, s[34:35]
	v_and_b32_e32 v2, 0xffff, v2
	s_and_saveexec_b64 s[34:35], s[0:1]
	s_cbranch_execnz .LBB252_100
	s_branch .LBB252_101
.LBB252_223:                            ;   in Loop: Header=BB252_9 Depth=1
	v_cmp_eq_u16_e64 s[0:1], s43, v2
	s_mov_b64 s[34:35], -1
                                        ; implicit-def: $sgpr45
	s_and_saveexec_b64 s[38:39], s[0:1]
; %bb.224:                              ;   in Loop: Header=BB252_9 Depth=1
	s_mov_b32 s45, 0x7fc02000
	s_xor_b64 s[34:35], exec, -1
; %bb.225:                              ;   in Loop: Header=BB252_9 Depth=1
	s_or_b64 exec, exec, s[38:39]
	s_and_b64 s[34:35], s[34:35], exec
	s_or_saveexec_b64 s[36:37], s[36:37]
	v_mov_b32_e32 v44, s45
	s_xor_b64 exec, exec, s[36:37]
	s_cbranch_execz .LBB252_103
.LBB252_226:                            ;   in Loop: Header=BB252_9 Depth=1
	v_cmp_ne_u16_e64 s[0:1], 0, v2
	s_andn2_b64 s[34:35], s[34:35], exec
	s_and_b64 s[0:1], s[0:1], exec
	v_mov_b32_e32 v44, 0
	s_or_b64 s[34:35], s[34:35], s[0:1]
	s_or_b64 exec, exec, s[36:37]
	s_and_saveexec_b64 s[36:37], s[34:35]
	s_cbranch_execnz .LBB252_104
	s_branch .LBB252_105
.LBB252_227:                            ;   in Loop: Header=BB252_9 Depth=1
	v_cmp_eq_u16_sdwa s[46:47], v2, s43 src0_sel:BYTE_0 src1_sel:DWORD
	s_mov_b64 s[0:1], -1
                                        ; implicit-def: $sgpr38
	s_and_saveexec_b64 s[36:37], s[46:47]
; %bb.228:                              ;   in Loop: Header=BB252_9 Depth=1
	s_mov_b32 s38, 0x7fc02000
	s_xor_b64 s[0:1], exec, -1
; %bb.229:                              ;   in Loop: Header=BB252_9 Depth=1
	s_or_b64 exec, exec, s[36:37]
	s_and_b64 s[0:1], s[0:1], exec
	s_or_saveexec_b64 s[34:35], s[34:35]
	v_mov_b32_e32 v45, s38
	s_xor_b64 exec, exec, s[34:35]
	s_cbranch_execz .LBB252_107
.LBB252_230:                            ;   in Loop: Header=BB252_9 Depth=1
	v_cmp_ne_u16_sdwa s[36:37], v2, v3 src0_sel:BYTE_0 src1_sel:DWORD
	s_andn2_b64 s[0:1], s[0:1], exec
	s_and_b64 s[36:37], s[36:37], exec
	v_mov_b32_e32 v45, 0
	s_or_b64 s[0:1], s[0:1], s[36:37]
	s_or_b64 exec, exec, s[34:35]
	v_and_b32_e32 v2, 0xffff, v2
	s_and_saveexec_b64 s[34:35], s[0:1]
	s_cbranch_execnz .LBB252_108
	s_branch .LBB252_109
.LBB252_231:                            ;   in Loop: Header=BB252_9 Depth=1
	v_cmp_eq_u16_e64 s[0:1], s43, v2
	s_mov_b64 s[34:35], -1
                                        ; implicit-def: $sgpr45
	s_and_saveexec_b64 s[38:39], s[0:1]
; %bb.232:                              ;   in Loop: Header=BB252_9 Depth=1
	s_mov_b32 s45, 0x7fc02000
	s_xor_b64 s[34:35], exec, -1
; %bb.233:                              ;   in Loop: Header=BB252_9 Depth=1
	s_or_b64 exec, exec, s[38:39]
	s_and_b64 s[34:35], s[34:35], exec
	s_or_saveexec_b64 s[36:37], s[36:37]
	v_mov_b32_e32 v46, s45
	s_xor_b64 exec, exec, s[36:37]
	s_cbranch_execz .LBB252_111
.LBB252_234:                            ;   in Loop: Header=BB252_9 Depth=1
	v_cmp_ne_u16_e64 s[0:1], 0, v2
	s_andn2_b64 s[34:35], s[34:35], exec
	s_and_b64 s[0:1], s[0:1], exec
	v_mov_b32_e32 v46, 0
	s_or_b64 s[34:35], s[34:35], s[0:1]
	s_or_b64 exec, exec, s[36:37]
	s_and_saveexec_b64 s[36:37], s[34:35]
	s_cbranch_execnz .LBB252_112
	s_branch .LBB252_113
.LBB252_235:                            ;   in Loop: Header=BB252_9 Depth=1
	v_cmp_eq_u16_sdwa s[46:47], v2, s43 src0_sel:BYTE_0 src1_sel:DWORD
	s_mov_b64 s[0:1], -1
                                        ; implicit-def: $sgpr38
	s_and_saveexec_b64 s[36:37], s[46:47]
; %bb.236:                              ;   in Loop: Header=BB252_9 Depth=1
	s_mov_b32 s38, 0x7fc02000
	s_xor_b64 s[0:1], exec, -1
; %bb.237:                              ;   in Loop: Header=BB252_9 Depth=1
	s_or_b64 exec, exec, s[36:37]
	s_and_b64 s[0:1], s[0:1], exec
	s_or_saveexec_b64 s[34:35], s[34:35]
	v_mov_b32_e32 v47, s38
	s_xor_b64 exec, exec, s[34:35]
	s_cbranch_execz .LBB252_115
.LBB252_238:                            ;   in Loop: Header=BB252_9 Depth=1
	v_cmp_ne_u16_sdwa s[36:37], v2, v3 src0_sel:BYTE_0 src1_sel:DWORD
	s_andn2_b64 s[0:1], s[0:1], exec
	s_and_b64 s[36:37], s[36:37], exec
	v_mov_b32_e32 v47, 0
	s_or_b64 s[0:1], s[0:1], s[36:37]
	s_or_b64 exec, exec, s[34:35]
	v_and_b32_e32 v2, 0xffff, v2
	s_and_saveexec_b64 s[34:35], s[0:1]
	s_cbranch_execnz .LBB252_116
	s_branch .LBB252_117
.LBB252_239:                            ;   in Loop: Header=BB252_9 Depth=1
	v_cmp_eq_u16_e64 s[0:1], s43, v2
	s_mov_b64 s[34:35], -1
                                        ; implicit-def: $sgpr45
	s_and_saveexec_b64 s[38:39], s[0:1]
; %bb.240:                              ;   in Loop: Header=BB252_9 Depth=1
	s_mov_b32 s45, 0x7fc02000
	s_xor_b64 s[34:35], exec, -1
; %bb.241:                              ;   in Loop: Header=BB252_9 Depth=1
	s_or_b64 exec, exec, s[38:39]
	s_and_b64 s[34:35], s[34:35], exec
	s_or_saveexec_b64 s[36:37], s[36:37]
	v_mov_b32_e32 v48, s45
	s_xor_b64 exec, exec, s[36:37]
	s_cbranch_execz .LBB252_119
.LBB252_242:                            ;   in Loop: Header=BB252_9 Depth=1
	v_cmp_ne_u16_e64 s[0:1], 0, v2
	s_andn2_b64 s[34:35], s[34:35], exec
	s_and_b64 s[0:1], s[0:1], exec
	v_mov_b32_e32 v48, 0
	s_or_b64 s[34:35], s[34:35], s[0:1]
	s_or_b64 exec, exec, s[36:37]
	s_and_saveexec_b64 s[36:37], s[34:35]
	s_cbranch_execnz .LBB252_120
	s_branch .LBB252_121
.LBB252_243:                            ;   in Loop: Header=BB252_9 Depth=1
	v_cmp_eq_u16_sdwa s[46:47], v2, s43 src0_sel:BYTE_0 src1_sel:DWORD
	s_mov_b64 s[0:1], -1
                                        ; implicit-def: $sgpr38
	s_and_saveexec_b64 s[36:37], s[46:47]
; %bb.244:                              ;   in Loop: Header=BB252_9 Depth=1
	s_mov_b32 s38, 0x7fc02000
	s_xor_b64 s[0:1], exec, -1
; %bb.245:                              ;   in Loop: Header=BB252_9 Depth=1
	s_or_b64 exec, exec, s[36:37]
	s_and_b64 s[0:1], s[0:1], exec
	s_or_saveexec_b64 s[34:35], s[34:35]
	v_mov_b32_e32 v10, s38
	s_xor_b64 exec, exec, s[34:35]
	s_cbranch_execz .LBB252_123
.LBB252_246:                            ;   in Loop: Header=BB252_9 Depth=1
	v_cmp_ne_u16_sdwa s[36:37], v2, v3 src0_sel:BYTE_0 src1_sel:DWORD
	s_andn2_b64 s[0:1], s[0:1], exec
	s_and_b64 s[36:37], s[36:37], exec
	v_mov_b32_e32 v10, 0
	s_or_b64 s[0:1], s[0:1], s[36:37]
	s_or_b64 exec, exec, s[34:35]
	v_and_b32_e32 v2, 0xffff, v2
	s_and_saveexec_b64 s[34:35], s[0:1]
	s_cbranch_execnz .LBB252_124
	s_branch .LBB252_125
.LBB252_247:                            ;   in Loop: Header=BB252_9 Depth=1
	v_cmp_eq_u16_e64 s[0:1], s43, v2
	s_mov_b64 s[34:35], -1
                                        ; implicit-def: $sgpr45
	s_and_saveexec_b64 s[38:39], s[0:1]
; %bb.248:                              ;   in Loop: Header=BB252_9 Depth=1
	s_mov_b32 s45, 0x7fc02000
	s_xor_b64 s[34:35], exec, -1
; %bb.249:                              ;   in Loop: Header=BB252_9 Depth=1
	s_or_b64 exec, exec, s[38:39]
	s_and_b64 s[34:35], s[34:35], exec
	s_or_saveexec_b64 s[36:37], s[36:37]
	v_mov_b32_e32 v11, s45
	s_xor_b64 exec, exec, s[36:37]
	s_cbranch_execz .LBB252_127
.LBB252_250:                            ;   in Loop: Header=BB252_9 Depth=1
	v_cmp_ne_u16_e64 s[0:1], 0, v2
	s_andn2_b64 s[34:35], s[34:35], exec
	s_and_b64 s[0:1], s[0:1], exec
	v_mov_b32_e32 v11, 0
	s_or_b64 s[34:35], s[34:35], s[0:1]
	s_or_b64 exec, exec, s[36:37]
	s_and_saveexec_b64 s[36:37], s[34:35]
	s_cbranch_execnz .LBB252_128
	s_branch .LBB252_129
.LBB252_251:
	s_or_b64 exec, exec, s[14:15]
.LBB252_252:
	s_or_b64 exec, exec, s[30:31]
	v_xor_b32_e32 v3, 32, v13
	v_cmp_lt_i32_e32 vcc, v3, v2
	v_xor_b32_e32 v6, 16, v13
	v_max_f32_e32 v5, v14, v14
	v_cndmask_b32_e32 v3, v13, v3, vcc
	v_lshlrev_b32_e32 v3, 2, v3
	ds_bpermute_b32 v4, v3, v14
	v_cmp_lt_i32_e32 vcc, v6, v2
	v_xor_b32_e32 v7, 8, v13
	v_xor_b32_e32 v9, 4, v13
	s_waitcnt lgkmcnt(0)
	v_max_f32_e32 v4, v4, v4
	v_max_f32_e32 v4, v5, v4
	v_cndmask_b32_e32 v5, v13, v6, vcc
	v_lshlrev_b32_e32 v5, 2, v5
	ds_bpermute_b32 v6, v5, v4
	v_cmp_lt_i32_e32 vcc, v7, v2
	s_waitcnt lgkmcnt(0)
	v_max_f32_e32 v6, v6, v6
	v_max_f32_e32 v4, v4, v6
	v_cndmask_b32_e32 v6, v13, v7, vcc
	v_lshlrev_b32_e32 v8, 2, v6
	ds_bpermute_b32 v6, v8, v4
	v_cmp_lt_i32_e32 vcc, v9, v2
	s_waitcnt lgkmcnt(0)
	v_max_f32_e32 v6, v6, v6
	v_max_f32_e32 v7, v4, v6
	v_cndmask_b32_e32 v4, v13, v9, vcc
	v_lshlrev_b32_e32 v9, 2, v4
	ds_bpermute_b32 v10, v9, v7
	v_and_b32_e32 v4, 63, v0
	v_cmp_eq_u32_e32 vcc, 0, v4
	v_lshlrev_b32_e32 v6, 2, v1
	s_and_saveexec_b64 s[0:1], vcc
	s_cbranch_execz .LBB252_254
; %bb.253:
	s_waitcnt lgkmcnt(0)
	v_max_f32_e32 v10, v10, v10
	v_max_f32_e32 v7, v7, v7
	;; [unrolled: 1-line block ×3, first 2 shown]
	ds_write_b32 v6, v7 offset:240
.LBB252_254:
	s_or_b64 exec, exec, s[0:1]
	v_cmp_gt_u32_e64 s[0:1], 2, v4
	s_waitcnt lgkmcnt(0)
	v_mov_b32_e32 v10, 0xff7fffff
	v_lshlrev_b32_e32 v7, 2, v4
	s_barrier
	s_and_saveexec_b64 s[2:3], s[0:1]
	s_cbranch_execz .LBB252_256
; %bb.255:
	ds_read_b32 v10, v7 offset:240
.LBB252_256:
	s_or_b64 exec, exec, s[2:3]
	v_xor_b32_e32 v11, 1, v13
	v_cmp_lt_i32_e64 s[2:3], v11, v2
	v_lshlrev_b32_e32 v14, 2, v13
	s_nop 0
	v_cndmask_b32_e64 v11, v13, v11, s[2:3]
	v_lshlrev_b32_e32 v28, 2, v11
	s_waitcnt lgkmcnt(0)
	ds_bpermute_b32 v11, v28, v10
	v_max_f32_e32 v10, v10, v10
	s_lshl_b32 s2, s19, 4
	s_min_i32 s30, s2, s33
	v_cmp_gt_i32_e64 s[2:3], s30, v0
	s_waitcnt lgkmcnt(0)
	v_max_f32_e32 v11, v11, v11
	v_max_f32_e32 v11, v10, v11
	v_and_b32_e32 v10, 0xffffff00, v14
	ds_bpermute_b32 v14, v10, v11
	v_mov_b32_e32 v11, 0
	s_and_saveexec_b64 s[14:15], s[2:3]
	s_cbranch_execz .LBB252_260
; %bb.257:
	v_mov_b32_e32 v11, 0x100
	v_lshl_add_u32 v15, v0, 2, v11
	s_mov_b64 s[28:29], 0
	v_mov_b32_e32 v11, 0
	v_mov_b32_e32 v16, v0
.LBB252_258:                            ; =>This Inner Loop Header: Depth=1
	ds_read_b32 v17, v15
	v_add_u32_e32 v16, 0x80, v16
	v_cmp_le_i32_e64 s[8:9], s30, v16
	s_or_b64 s[28:29], s[8:9], s[28:29]
	s_waitcnt lgkmcnt(0)
	v_sub_f32_e32 v17, v17, v14
	v_mul_f32_e32 v17, 0x3fb8aa3b, v17
	v_exp_f32_e32 v17, v17
	ds_write_b32 v15, v17
	v_add_f32_e32 v11, v11, v17
	v_add_u32_e32 v15, 0x200, v15
	s_andn2_b64 exec, exec, s[28:29]
	s_cbranch_execnz .LBB252_258
; %bb.259:
	s_or_b64 exec, exec, s[28:29]
.LBB252_260:
	s_or_b64 exec, exec, s[14:15]
	ds_bpermute_b32 v3, v3, v11
	s_waitcnt lgkmcnt(0)
	v_add_f32_e32 v3, v11, v3
	ds_bpermute_b32 v5, v5, v3
	s_waitcnt lgkmcnt(0)
	v_add_f32_e32 v3, v3, v5
	ds_bpermute_b32 v5, v8, v3
	v_xor_b32_e32 v8, 2, v13
	v_cmp_lt_i32_e64 s[8:9], v8, v2
	s_waitcnt lgkmcnt(0)
	v_add_f32_e32 v3, v3, v5
	ds_bpermute_b32 v5, v9, v3
	v_cndmask_b32_e64 v2, v13, v8, s[8:9]
	v_lshlrev_b32_e32 v2, 2, v2
	s_waitcnt lgkmcnt(0)
	v_add_f32_e32 v3, v3, v5
	ds_bpermute_b32 v2, v2, v3
	s_waitcnt lgkmcnt(0)
	v_add_f32_e32 v2, v3, v2
	ds_bpermute_b32 v3, v28, v2
	s_waitcnt lgkmcnt(0)
	v_add_f32_e32 v2, v2, v3
	s_and_saveexec_b64 s[8:9], vcc
	s_cbranch_execz .LBB252_262
; %bb.261:
	ds_write_b32 v6, v2 offset:248
.LBB252_262:
	s_or_b64 exec, exec, s[8:9]
	s_waitcnt lgkmcnt(0)
	s_barrier
	s_and_saveexec_b64 s[8:9], s[0:1]
	s_cbranch_execz .LBB252_264
; %bb.263:
	ds_read_b32 v2, v7 offset:248
.LBB252_264:
	s_or_b64 exec, exec, s[8:9]
	s_waitcnt lgkmcnt(0)
	ds_bpermute_b32 v3, v28, v2
	s_waitcnt lgkmcnt(0)
	v_add_f32_e32 v2, v2, v3
	ds_bpermute_b32 v2, v10, v2
	s_and_saveexec_b64 s[0:1], s[2:3]
	s_cbranch_execz .LBB252_277
; %bb.265:
	s_waitcnt lgkmcnt(0)
	v_add_f32_e32 v2, 0x358637bd, v2
	v_div_scale_f32 v3, s[2:3], v2, v2, 1.0
	v_rcp_f32_e32 v5, v3
	v_div_scale_f32 v6, vcc, 1.0, v2, 1.0
	s_movk_i32 s2, 0x7f
	v_fma_f32 v7, -v3, v5, 1.0
	v_fmac_f32_e32 v5, v7, v5
	v_mul_f32_e32 v7, v6, v5
	v_fma_f32 v8, -v3, v7, v6
	v_fmac_f32_e32 v7, v8, v5
	v_fma_f32 v3, -v3, v7, v6
	v_div_fmas_f32 v3, v3, v5, v7
	v_xad_u32 v5, v0, -1, s30
	v_div_fixup_f32 v2, v3, v2, 1.0
	v_cmp_lt_u32_e32 vcc, s2, v5
	s_mov_b64 s[8:9], -1
	v_mov_b32_e32 v3, v0
	s_and_saveexec_b64 s[2:3], vcc
	s_cbranch_execz .LBB252_274
; %bb.266:
	v_lshrrev_b32_e32 v5, 7, v5
	v_add_u32_e32 v7, -1, v5
	v_lshrrev_b32_e32 v6, 1, v7
	v_mov_b32_e32 v3, v2
	v_add_u32_e32 v6, 1, v6
	v_cmp_lt_u32_e32 vcc, 13, v7
	v_mov_b32_e32 v9, 0
	s_and_saveexec_b64 s[8:9], vcc
	s_cbranch_execz .LBB252_270
; %bb.267:
	v_mov_b32_e32 v8, 0x100
	v_and_b32_e32 v7, -8, v6
	v_lshl_add_u32 v8, v0, 2, v8
	s_mov_b32 s28, 0
	s_mov_b64 s[14:15], 0
.LBB252_268:                            ; =>This Inner Loop Header: Depth=1
	ds_read2st64_b32 v[10:11], v8 offset1:2
	ds_read2st64_b32 v[14:15], v8 offset0:4 offset1:6
	ds_read2st64_b32 v[16:17], v8 offset0:8 offset1:10
	;; [unrolled: 1-line block ×3, first 2 shown]
	v_add_u32_e32 v7, -8, v7
	s_waitcnt lgkmcnt(3)
	v_pk_mul_f32 v[10:11], v[2:3], v[10:11]
	s_waitcnt lgkmcnt(2)
	v_pk_mul_f32 v[14:15], v[2:3], v[14:15]
	ds_write2st64_b32 v8, v10, v11 offset1:2
	ds_write2st64_b32 v8, v14, v15 offset0:4 offset1:6
	ds_read2st64_b32 v[14:15], v8 offset0:16 offset1:18
	s_waitcnt lgkmcnt(4)
	v_pk_mul_f32 v[10:11], v[2:3], v[16:17]
	ds_write2st64_b32 v8, v10, v11 offset0:8 offset1:10
	s_waitcnt lgkmcnt(4)
	v_pk_mul_f32 v[10:11], v[2:3], v[18:19]
	ds_write2st64_b32 v8, v10, v11 offset0:12 offset1:14
	ds_read2st64_b32 v[10:11], v8 offset0:20 offset1:22
	s_waitcnt lgkmcnt(3)
	v_pk_mul_f32 v[14:15], v[2:3], v[14:15]
	ds_read2st64_b32 v[16:17], v8 offset0:24 offset1:26
	ds_write2st64_b32 v8, v14, v15 offset0:16 offset1:18
	ds_read2st64_b32 v[14:15], v8 offset0:28 offset1:30
	s_waitcnt lgkmcnt(3)
	v_pk_mul_f32 v[10:11], v[2:3], v[10:11]
	ds_write2st64_b32 v8, v10, v11 offset0:20 offset1:22
	s_waitcnt lgkmcnt(3)
	v_pk_mul_f32 v[10:11], v[2:3], v[16:17]
	ds_write2st64_b32 v8, v10, v11 offset0:24 offset1:26
	s_waitcnt lgkmcnt(2)
	v_pk_mul_f32 v[10:11], v[2:3], v[14:15]
	s_add_i32 s28, s28, 16
	v_cmp_eq_u32_e32 vcc, 0, v7
	ds_write2st64_b32 v8, v10, v11 offset0:28 offset1:30
	v_add_u32_e32 v8, 0x2000, v8
	s_or_b64 s[14:15], vcc, s[14:15]
	v_mov_b32_e32 v9, s28
	s_andn2_b64 exec, exec, s[14:15]
	s_cbranch_execnz .LBB252_268
; %bb.269:
	s_or_b64 exec, exec, s[14:15]
.LBB252_270:
	s_or_b64 exec, exec, s[8:9]
	v_and_b32_e32 v6, 7, v6
	v_cmp_ne_u32_e32 vcc, 0, v6
	s_and_saveexec_b64 s[8:9], vcc
	s_cbranch_execz .LBB252_273
; %bb.271:
	v_lshlrev_b32_e32 v7, 9, v9
	v_lshlrev_b32_e32 v8, 2, v0
	s_movk_i32 s14, 0x100
	v_add3_u32 v7, v7, v8, s14
	s_mov_b64 s[14:15], 0
.LBB252_272:                            ; =>This Inner Loop Header: Depth=1
	ds_read2st64_b32 v[8:9], v7 offset1:2
	v_add_u32_e32 v6, -1, v6
	v_cmp_eq_u32_e32 vcc, 0, v6
	s_or_b64 s[14:15], vcc, s[14:15]
	s_waitcnt lgkmcnt(0)
	v_pk_mul_f32 v[8:9], v[2:3], v[8:9]
	ds_write2st64_b32 v7, v8, v9 offset1:2
	v_add_u32_e32 v7, 0x400, v7
	s_andn2_b64 exec, exec, s[14:15]
	s_cbranch_execnz .LBB252_272
.LBB252_273:
	s_or_b64 exec, exec, s[8:9]
	v_add_u32_e32 v5, 1, v5
	v_and_b32_e32 v6, 0x3fffffe, v5
	v_cmp_ne_u32_e32 vcc, v5, v6
	v_lshl_add_u32 v3, v6, 7, v0
	s_orn2_b64 s[8:9], vcc, exec
.LBB252_274:
	s_or_b64 exec, exec, s[2:3]
	s_and_b64 exec, exec, s[8:9]
	s_cbranch_execz .LBB252_277
; %bb.275:
	v_mov_b32_e32 v5, 0x100
	v_lshl_add_u32 v5, v3, 2, v5
	s_mov_b64 s[2:3], 0
.LBB252_276:                            ; =>This Inner Loop Header: Depth=1
	ds_read_b32 v6, v5
	v_add_u32_e32 v3, 0x80, v3
	v_cmp_le_i32_e32 vcc, s30, v3
	s_or_b64 s[2:3], vcc, s[2:3]
	s_waitcnt lgkmcnt(0)
	v_mul_f32_e32 v6, v2, v6
	ds_write_b32 v5, v6
	v_add_u32_e32 v5, 0x200, v5
	s_andn2_b64 exec, exec, s[2:3]
	s_cbranch_execnz .LBB252_276
.LBB252_277:
	s_or_b64 exec, exec, s[0:1]
	v_mov_b32_e32 v7, 0
	v_lshrrev_b32_e32 v30, 1, v4
	v_and_b32_e32 v29, 1, v0
	v_mov_b32_e32 v6, v7
	v_mov_b32_e32 v11, v7
	;; [unrolled: 1-line block ×3, first 2 shown]
	s_waitcnt lgkmcnt(0)
	s_barrier
	s_and_saveexec_b64 s[8:9], s[6:7]
	s_cbranch_execz .LBB252_547
; %bb.278:
	v_lshlrev_b32_e32 v2, 3, v0
	s_ashr_i32 s1, s12, 31
	v_and_b32_e32 v4, 8, v2
	s_add_u32 s0, s26, s12
	v_or_b32_e32 v6, 0x60, v30
	s_movk_i32 s2, 0x78
	s_addc_u32 s1, s27, s1
	s_add_i32 s26, s19, -1
	v_lshl_or_b32 v2, v30, 4, v4
	v_cmp_gt_u32_e32 vcc, s2, v6
	v_lshl_or_b32 v8, v6, 4, v4
	v_lshl_or_b32 v31, v1, 4, v4
	v_lshlrev_b32_e32 v4, 5, v29
	s_lshl_b64 s[2:3], s[24:25], 2
	v_lshl_or_b32 v4, v1, 6, v4
	s_add_u32 s2, s22, s2
	v_mov_b32_e32 v5, 0
	v_add_u32_e32 v32, 0x100, v4
	v_and_b32_e32 v4, 60, v12
	s_addc_u32 s3, s23, s3
	s_mov_b32 s28, s13
	v_mov_b32_e32 v3, v5
	v_mov_b32_e32 v9, v5
	s_mov_b32 s27, s33
	v_lshl_add_u64 v[12:13], s[2:3], 0, v[4:5]
	s_mov_b64 s[6:7], 0
	v_mov_b64_e32 v[14:15], s[0:1]
	s_movk_i32 s29, 0x7f
	s_movk_i32 s30, 0x80
	s_mov_b32 s31, 0x8000
	s_movk_i32 s34, 0x380
	s_mov_b32 s35, 0x3020706
	s_mov_b32 s36, 0x1000504
	;; [unrolled: 1-line block ×3, first 2 shown]
	v_mov_b32_e32 v33, 0x1c00
	v_mov_b32_e32 v10, v5
	;; [unrolled: 1-line block ×5, first 2 shown]
	s_branch .LBB252_281
.LBB252_279:                            ;   in Loop: Header=BB252_281 Depth=1
	s_or_b64 exec, exec, s[2:3]
	;;#ASMSTART
	v_pk_mul_f16 v18, v37, v19;

	;;#ASMEND
	;;#ASMSTART
	v_pk_mul_f16 v4, v36, v4;

	;;#ASMEND
	;; [unrolled: 4-line block ×4, first 2 shown]
	s_nop 0
	;;#ASMSTART
	v_pk_add_f16 v4, v18, v4;

	;;#ASMEND
	s_nop 0
	;;#ASMSTART
	v_pk_add_f16 v4, v4, v17;

	;;#ASMEND
	s_nop 0
	;;#ASMSTART
	v_pk_add_f16 v4, v4, v16;

	;;#ASMEND
	s_nop 0
	v_lshrrev_b32_e32 v16, 16, v4
	v_and_b32_e32 v4, 0xffff, v4
	;;#ASMSTART
	v_cvt_f32_f16 v4, v4;
	;;#ASMEND
	;;#ASMSTART
	v_cvt_f32_f16 v16, v16;
	;;#ASMEND
	s_nop 0
	v_add_f32_e32 v4, v4, v16
	v_add_f32_e32 v7, v7, v4
.LBB252_280:                            ;   in Loop: Header=BB252_281 Depth=1
	s_or_b64 exec, exec, s[12:13]
	v_add_u32_e32 v1, 2, v1
	v_cmp_le_i32_e64 s[0:1], s19, v1
	v_add_u32_e32 v31, 32, v31
	v_add_u32_e32 v32, 0x80, v32
	s_or_b64 s[6:7], s[0:1], s[6:7]
	v_lshl_add_u64 v[12:13], v[12:13], 0, 8
	s_andn2_b64 exec, exec, s[6:7]
	s_cbranch_execz .LBB252_546
.LBB252_281:                            ; =>This Inner Loop Header: Depth=1
	ds_read2_b64 v[16:19], v32 offset1:1
	ds_read2_b64 v[22:25], v32 offset0:2 offset1:3
                                        ; implicit-def: $sgpr14
	s_waitcnt lgkmcnt(1)
	;;#ASMSTART
	v_cvt_f16_f32 v21, v16;

	;;#ASMEND
	;;#ASMSTART
	v_cvt_f16_f32 v34, v17;

	;;#ASMEND
	;; [unrolled: 4-line block ×4, first 2 shown]
	s_waitcnt lgkmcnt(0)
	;;#ASMSTART
	v_cvt_f16_f32 v38, v22;

	;;#ASMEND
	;;#ASMSTART
	v_cvt_f16_f32 v39, v23;

	;;#ASMEND
	;;#ASMSTART
	v_cvt_f16_f32 v40, v24;

	;;#ASMEND
	;;#ASMSTART
	v_cvt_f16_f32 v41, v25;

	;;#ASMEND
	global_load_dword v4, v[12:13], off
	s_waitcnt vmcnt(0)
	v_mad_i64_i32 v[16:17], s[0:1], v4, s28, v[14:15]
	v_lshl_add_u64 v[18:19], v[16:17], 0, v[2:3]
	global_load_dwordx2 v[22:23], v[18:19], off
	global_load_dword v20, v5, s[10:11]
	s_mov_b64 s[0:1], 0
	s_waitcnt vmcnt(1)
	v_cmp_gt_i16_sdwa s[2:3], v22, s29 src0_sel:BYTE_0 src1_sel:DWORD
	s_and_saveexec_b64 s[12:13], s[2:3]
	s_xor_b64 s[2:3], exec, s[12:13]
	s_cbranch_execnz .LBB252_418
; %bb.282:                              ;   in Loop: Header=BB252_281 Depth=1
	s_or_saveexec_b64 s[2:3], s[2:3]
	v_mov_b32_e32 v24, s14
	s_xor_b64 exec, exec, s[2:3]
	s_cbranch_execnz .LBB252_421
.LBB252_283:                            ;   in Loop: Header=BB252_281 Depth=1
	s_or_b64 exec, exec, s[2:3]
	s_and_saveexec_b64 s[2:3], s[0:1]
	s_cbranch_execz .LBB252_285
.LBB252_284:                            ;   in Loop: Header=BB252_281 Depth=1
	v_and_b32_e32 v4, 7, v22
	v_ffbh_u32_e32 v4, v4
	v_bfe_u32 v24, v22, 3, 4
	v_min_u32_e32 v4, 32, v4
	v_subrev_u32_e32 v25, 28, v4
	v_sub_u32_e32 v4, 29, v4
	v_cmp_eq_u32_e64 s[0:1], 0, v24
	s_nop 1
	v_cndmask_b32_e64 v4, v24, v4, s[0:1]
	v_cndmask_b32_e64 v24, 0, v25, s[0:1]
	v_lshlrev_b64 v[24:25], v24, v[22:23]
	v_lshlrev_b32_e32 v25, 8, v22
	v_lshl_add_u32 v4, v4, 10, v33
	v_lshlrev_b32_e32 v24, 7, v24
	v_and_or_b32 v4, v25, s31, v4
	v_and_or_b32 v4, v24, s34, v4
	v_cvt_f32_f16_e32 v24, v4
.LBB252_285:                            ;   in Loop: Header=BB252_281 Depth=1
	s_or_b64 exec, exec, s[2:3]
	v_lshrrev_b16_e32 v4, 8, v22
	v_cmp_lt_i16_e64 s[0:1], s29, v4
	s_mov_b64 s[2:3], 0
                                        ; implicit-def: $sgpr22
	s_and_saveexec_b64 s[12:13], s[0:1]
	s_xor_b64 s[12:13], exec, s[12:13]
	s_cbranch_execnz .LBB252_422
; %bb.286:                              ;   in Loop: Header=BB252_281 Depth=1
	s_or_saveexec_b64 s[12:13], s[12:13]
	v_mov_b32_e32 v26, s22
	s_xor_b64 exec, exec, s[12:13]
	s_cbranch_execnz .LBB252_425
.LBB252_287:                            ;   in Loop: Header=BB252_281 Depth=1
	s_or_b64 exec, exec, s[12:13]
	s_and_saveexec_b64 s[12:13], s[2:3]
	s_cbranch_execz .LBB252_289
.LBB252_288:                            ;   in Loop: Header=BB252_281 Depth=1
	v_and_b32_e32 v25, 7, v4
	v_ffbh_u32_e32 v26, v25
	v_min_u32_e32 v42, 32, v26
	v_subrev_u32_e32 v26, 28, v42
	v_bfe_u32 v37, v4, 3, 4
	v_lshlrev_b64 v[26:27], v26, v[4:5]
	v_sub_u32_e32 v27, 29, v42
	v_cmp_eq_u32_e64 s[0:1], 0, v37
	v_and_b32_e32 v26, 7, v26
	v_lshlrev_b32_e32 v4, 8, v4
	v_cndmask_b32_e64 v27, v37, v27, s[0:1]
	v_cndmask_b32_e64 v25, v25, v26, s[0:1]
	v_lshl_add_u32 v26, v27, 10, v33
	v_and_or_b32 v4, v4, s31, v26
	v_lshl_or_b32 v4, v25, 7, v4
	v_cvt_f32_f16_e32 v26, v4
.LBB252_289:                            ;   in Loop: Header=BB252_281 Depth=1
	s_or_b64 exec, exec, s[12:13]
	v_lshrrev_b32_e32 v4, 16, v22
	v_cmp_gt_i16_sdwa s[2:3], v4, s29 src0_sel:BYTE_0 src1_sel:DWORD
	s_mov_b64 s[0:1], 0
                                        ; implicit-def: $sgpr14
	s_and_saveexec_b64 s[12:13], s[2:3]
	s_xor_b64 s[2:3], exec, s[12:13]
	s_cbranch_execnz .LBB252_426
; %bb.290:                              ;   in Loop: Header=BB252_281 Depth=1
	s_or_saveexec_b64 s[2:3], s[2:3]
	v_mov_b32_e32 v25, s14
	s_xor_b64 exec, exec, s[2:3]
	s_cbranch_execnz .LBB252_429
.LBB252_291:                            ;   in Loop: Header=BB252_281 Depth=1
	s_or_b64 exec, exec, s[2:3]
	s_and_saveexec_b64 s[2:3], s[0:1]
	s_cbranch_execz .LBB252_293
.LBB252_292:                            ;   in Loop: Header=BB252_281 Depth=1
	v_bfe_u32 v25, v22, 16, 3
	v_ffbh_u32_e32 v37, v25
	v_bfe_u32 v27, v22, 19, 4
	v_min_u32_e32 v37, 32, v37
	v_subrev_u32_e32 v42, 28, v37
	v_sub_u32_e32 v37, 29, v37
	v_cmp_eq_u32_e64 s[0:1], 0, v27
	v_lshlrev_b64 v[42:43], v42, v[4:5]
	v_and_b32_e32 v42, 7, v42
	v_cndmask_b32_e64 v27, v27, v37, s[0:1]
	v_lshlrev_b32_e32 v4, 8, v4
	v_lshl_add_u32 v27, v27, 10, v33
	v_cndmask_b32_e64 v25, v25, v42, s[0:1]
	v_and_or_b32 v4, v4, s31, v27
	v_lshl_or_b32 v4, v25, 7, v4
	v_cvt_f32_f16_e32 v25, v4
.LBB252_293:                            ;   in Loop: Header=BB252_281 Depth=1
	s_or_b64 exec, exec, s[2:3]
	v_lshrrev_b32_e32 v4, 24, v22
	v_cmp_lt_i16_e64 s[0:1], s29, v4
	s_mov_b64 s[2:3], 0
                                        ; implicit-def: $sgpr22
	s_and_saveexec_b64 s[12:13], s[0:1]
	s_xor_b64 s[12:13], exec, s[12:13]
	s_cbranch_execnz .LBB252_430
; %bb.294:                              ;   in Loop: Header=BB252_281 Depth=1
	s_or_saveexec_b64 s[12:13], s[12:13]
	v_mov_b32_e32 v27, s22
	s_xor_b64 exec, exec, s[12:13]
	s_cbranch_execnz .LBB252_433
.LBB252_295:                            ;   in Loop: Header=BB252_281 Depth=1
	s_or_b64 exec, exec, s[12:13]
	s_and_saveexec_b64 s[12:13], s[2:3]
	s_cbranch_execz .LBB252_297
.LBB252_296:                            ;   in Loop: Header=BB252_281 Depth=1
	v_bfe_u32 v27, v22, 24, 3
	v_ffbh_u32_e32 v37, v27
	v_bfe_u32 v22, v22, 27, 4
	v_min_u32_e32 v37, 32, v37
	v_subrev_u32_e32 v42, 28, v37
	v_sub_u32_e32 v37, 29, v37
	v_cmp_eq_u32_e64 s[0:1], 0, v22
	v_lshlrev_b64 v[42:43], v42, v[4:5]
	v_and_b32_e32 v42, 7, v42
	v_cndmask_b32_e64 v22, v22, v37, s[0:1]
	v_lshlrev_b32_e32 v4, 8, v4
	v_lshl_add_u32 v22, v22, 10, v33
	v_cndmask_b32_e64 v27, v27, v42, s[0:1]
	v_and_or_b32 v4, v4, s31, v22
	v_lshl_or_b32 v4, v27, 7, v4
	v_cvt_f32_f16_e32 v27, v4
.LBB252_297:                            ;   in Loop: Header=BB252_281 Depth=1
	s_or_b64 exec, exec, s[12:13]
	v_cmp_gt_i16_sdwa s[2:3], v23, s29 src0_sel:BYTE_0 src1_sel:DWORD
	s_mov_b64 s[0:1], 0
                                        ; implicit-def: $sgpr14
	s_and_saveexec_b64 s[12:13], s[2:3]
	s_xor_b64 s[2:3], exec, s[12:13]
	s_cbranch_execnz .LBB252_434
; %bb.298:                              ;   in Loop: Header=BB252_281 Depth=1
	s_or_saveexec_b64 s[2:3], s[2:3]
	v_mov_b32_e32 v22, s14
	s_xor_b64 exec, exec, s[2:3]
	s_cbranch_execnz .LBB252_437
.LBB252_299:                            ;   in Loop: Header=BB252_281 Depth=1
	s_or_b64 exec, exec, s[2:3]
	v_mov_b32_e32 v4, v23
	s_and_saveexec_b64 s[2:3], s[0:1]
	s_cbranch_execz .LBB252_301
.LBB252_300:                            ;   in Loop: Header=BB252_281 Depth=1
	v_and_b32_e32 v22, 7, v23
	v_ffbh_u32_e32 v22, v22
	v_bfe_u32 v37, v23, 3, 4
	v_min_u32_e32 v22, 32, v22
	v_subrev_u32_e32 v42, 28, v22
	v_sub_u32_e32 v22, 29, v22
	v_cmp_eq_u32_e64 s[0:1], 0, v37
	s_nop 1
	v_cndmask_b32_e64 v22, v37, v22, s[0:1]
	v_cndmask_b32_e64 v37, 0, v42, s[0:1]
	v_lshlrev_b64 v[42:43], v37, v[4:5]
	v_lshlrev_b32_e32 v37, 7, v42
	v_lshlrev_b32_e32 v42, 8, v23
	v_lshl_add_u32 v22, v22, 10, v33
	v_and_or_b32 v22, v42, s31, v22
	v_and_or_b32 v22, v37, s34, v22
	v_cvt_f32_f16_e32 v22, v22
.LBB252_301:                            ;   in Loop: Header=BB252_281 Depth=1
	s_or_b64 exec, exec, s[2:3]
	v_lshrrev_b16_e32 v4, 8, v4
	v_cmp_lt_i16_e64 s[0:1], s29, v4
	s_mov_b64 s[2:3], 0
                                        ; implicit-def: $sgpr22
	s_and_saveexec_b64 s[12:13], s[0:1]
	s_xor_b64 s[12:13], exec, s[12:13]
	s_cbranch_execnz .LBB252_438
; %bb.302:                              ;   in Loop: Header=BB252_281 Depth=1
	s_or_saveexec_b64 s[12:13], s[12:13]
	v_mov_b32_e32 v37, s22
	s_xor_b64 exec, exec, s[12:13]
	s_cbranch_execnz .LBB252_441
.LBB252_303:                            ;   in Loop: Header=BB252_281 Depth=1
	s_or_b64 exec, exec, s[12:13]
	s_and_saveexec_b64 s[12:13], s[2:3]
	s_cbranch_execz .LBB252_305
.LBB252_304:                            ;   in Loop: Header=BB252_281 Depth=1
	v_and_b32_e32 v37, 7, v4
	v_ffbh_u32_e32 v42, v37
	v_min_u32_e32 v45, 32, v42
	v_subrev_u32_e32 v42, 28, v45
	v_bfe_u32 v44, v4, 3, 4
	v_lshlrev_b64 v[42:43], v42, v[4:5]
	v_sub_u32_e32 v43, 29, v45
	v_cmp_eq_u32_e64 s[0:1], 0, v44
	v_and_b32_e32 v42, 7, v42
	v_lshlrev_b32_e32 v4, 8, v4
	v_cndmask_b32_e64 v43, v44, v43, s[0:1]
	v_cndmask_b32_e64 v37, v37, v42, s[0:1]
	v_lshl_add_u32 v42, v43, 10, v33
	v_and_or_b32 v4, v4, s31, v42
	v_lshl_or_b32 v4, v37, 7, v4
	v_cvt_f32_f16_e32 v37, v4
.LBB252_305:                            ;   in Loop: Header=BB252_281 Depth=1
	s_or_b64 exec, exec, s[12:13]
	v_lshrrev_b32_e32 v4, 16, v23
	v_cmp_gt_i16_sdwa s[2:3], v4, s29 src0_sel:BYTE_0 src1_sel:DWORD
	s_mov_b64 s[0:1], 0
                                        ; implicit-def: $sgpr14
	s_and_saveexec_b64 s[12:13], s[2:3]
	s_xor_b64 s[2:3], exec, s[12:13]
	s_cbranch_execnz .LBB252_442
; %bb.306:                              ;   in Loop: Header=BB252_281 Depth=1
	s_or_saveexec_b64 s[2:3], s[2:3]
	v_mov_b32_e32 v42, s14
	s_xor_b64 exec, exec, s[2:3]
	s_cbranch_execnz .LBB252_445
.LBB252_307:                            ;   in Loop: Header=BB252_281 Depth=1
	s_or_b64 exec, exec, s[2:3]
	s_and_saveexec_b64 s[2:3], s[0:1]
	s_cbranch_execz .LBB252_309
.LBB252_308:                            ;   in Loop: Header=BB252_281 Depth=1
	v_bfe_u32 v44, v23, 16, 3
	v_ffbh_u32_e32 v42, v44
	v_min_u32_e32 v46, 32, v42
	v_subrev_u32_e32 v42, 28, v46
	v_bfe_u32 v45, v23, 19, 4
	v_lshlrev_b64 v[42:43], v42, v[4:5]
	v_sub_u32_e32 v43, 29, v46
	v_cmp_eq_u32_e64 s[0:1], 0, v45
	v_and_b32_e32 v42, 7, v42
	v_lshlrev_b32_e32 v4, 8, v4
	v_cndmask_b32_e64 v43, v45, v43, s[0:1]
	v_lshl_add_u32 v43, v43, 10, v33
	v_cndmask_b32_e64 v42, v44, v42, s[0:1]
	v_and_or_b32 v4, v4, s31, v43
	v_lshl_or_b32 v4, v42, 7, v4
	v_cvt_f32_f16_e32 v42, v4
.LBB252_309:                            ;   in Loop: Header=BB252_281 Depth=1
	s_or_b64 exec, exec, s[2:3]
	v_lshrrev_b32_e32 v4, 24, v23
	v_cmp_lt_i16_e64 s[0:1], s29, v4
	s_mov_b64 s[2:3], 0
                                        ; implicit-def: $sgpr22
	s_and_saveexec_b64 s[12:13], s[0:1]
	s_xor_b64 s[12:13], exec, s[12:13]
	s_cbranch_execnz .LBB252_446
; %bb.310:                              ;   in Loop: Header=BB252_281 Depth=1
	s_or_saveexec_b64 s[12:13], s[12:13]
	v_mov_b32_e32 v43, s22
	s_xor_b64 exec, exec, s[12:13]
	s_cbranch_execnz .LBB252_449
.LBB252_311:                            ;   in Loop: Header=BB252_281 Depth=1
	s_or_b64 exec, exec, s[12:13]
	s_and_saveexec_b64 s[12:13], s[2:3]
	s_cbranch_execz .LBB252_313
.LBB252_312:                            ;   in Loop: Header=BB252_281 Depth=1
	v_bfe_u32 v43, v23, 24, 3
	v_ffbh_u32_e32 v44, v43
	v_min_u32_e32 v46, 32, v44
	v_subrev_u32_e32 v44, 28, v46
	v_bfe_u32 v23, v23, 27, 4
	v_lshlrev_b64 v[44:45], v44, v[4:5]
	v_sub_u32_e32 v45, 29, v46
	v_cmp_eq_u32_e64 s[0:1], 0, v23
	v_and_b32_e32 v44, 7, v44
	v_lshlrev_b32_e32 v4, 8, v4
	v_cndmask_b32_e64 v23, v23, v45, s[0:1]
	v_lshl_add_u32 v23, v23, 10, v33
	v_cndmask_b32_e64 v43, v43, v44, s[0:1]
	v_and_or_b32 v4, v4, s31, v23
	v_lshl_or_b32 v4, v43, 7, v4
	v_cvt_f32_f16_e32 v43, v4
.LBB252_313:                            ;   in Loop: Header=BB252_281 Depth=1
	s_or_b64 exec, exec, s[12:13]
	s_waitcnt vmcnt(0)
	v_pk_mul_f32 v[26:27], v[20:21], v[26:27] op_sel_hi:[0,1]
	v_pk_mul_f32 v[24:25], v[20:21], v[24:25] op_sel_hi:[0,1]
	v_cvt_f16_f32_e32 v4, v27
	v_cvt_f16_f32_e32 v23, v26
	;; [unrolled: 1-line block ×4, first 2 shown]
	v_fma_mixlo_f16 v22, v20, v22, 0
	v_pack_b32_f16 v23, v23, v4
	v_cmp_eq_u32_e64 s[0:1], s26, v1
	v_pack_b32_f16 v24, v24, v25
	v_perm_b32 v4, v24, v23, s35
	v_perm_b32 v23, v24, v23, s36
	v_fma_mixlo_f16 v24, v20, v37, 0
	v_lshlrev_b32_e32 v24, 16, v24
	v_or_b32_sdwa v22, v24, v22 dst_sel:DWORD dst_unused:UNUSED_PAD src0_sel:DWORD src1_sel:WORD_0
	v_fma_mixlo_f16 v24, v20, v42, 0
	v_fma_mixlo_f16 v20, v20, v43, 0
	v_lshlrev_b32_e32 v20, 16, v20
	v_or_b32_sdwa v20, v20, v24 dst_sel:DWORD dst_unused:UNUSED_PAD src0_sel:DWORD src1_sel:WORD_0
	s_and_saveexec_b64 s[12:13], s[0:1]
	s_cbranch_execz .LBB252_315
; %bb.314:                              ;   in Loop: Header=BB252_281 Depth=1
	v_add_u32_e32 v25, 1, v31
	v_lshrrev_b32_e32 v26, 16, v23
	v_cmp_gt_i32_e64 s[2:3], s27, v25
	v_lshrrev_b32_e32 v27, 16, v4
	v_lshrrev_b32_e32 v20, 16, v20
	v_cndmask_b32_e64 v25, 0, v26, s[2:3]
	v_cmp_gt_i32_e64 s[2:3], s33, v31
	v_or_b32_e32 v26, 2, v31
	s_nop 0
	v_cndmask_b32_e64 v23, 0, v23, s[2:3]
	v_perm_b32 v23, v25, v23, s37
	v_or_b32_e32 v25, 3, v31
	v_cmp_gt_i32_e64 s[2:3], s27, v25
	s_nop 1
	v_cndmask_b32_e64 v25, 0, v27, s[2:3]
	v_cmp_gt_i32_e64 s[2:3], s33, v26
	v_or_b32_e32 v26, 4, v31
	v_lshrrev_b32_e32 v27, 16, v22
	v_cndmask_b32_e64 v4, 0, v4, s[2:3]
	v_perm_b32 v4, v25, v4, s37
	v_or_b32_e32 v25, 5, v31
	v_cmp_gt_i32_e64 s[2:3], s27, v25
	s_nop 1
	v_cndmask_b32_e64 v25, 0, v27, s[2:3]
	v_cmp_gt_i32_e64 s[2:3], s33, v26
	v_or_b32_e32 v26, 6, v31
	s_nop 0
	v_cndmask_b32_e64 v22, 0, v22, s[2:3]
	v_perm_b32 v22, v25, v22, s37
	v_or_b32_e32 v25, 7, v31
	v_cmp_gt_i32_e64 s[2:3], s27, v25
	s_nop 1
	v_cndmask_b32_e64 v20, 0, v20, s[2:3]
	v_cmp_gt_i32_e64 s[2:3], s33, v26
	s_nop 1
	v_cndmask_b32_e64 v24, 0, v24, s[2:3]
	v_perm_b32 v20, v20, v24, s37
.LBB252_315:                            ;   in Loop: Header=BB252_281 Depth=1
	s_or_b64 exec, exec, s[12:13]
	v_and_b32_e32 v21, 0xffff, v21
	v_lshl_or_b32 v37, v34, 16, v21
	v_and_b32_e32 v21, 0xffff, v35
	v_lshl_or_b32 v36, v36, 16, v21
	;; [unrolled: 2-line block ×4, first 2 shown]
	;;#ASMSTART
	v_pk_mul_f16 v21, v37, v23;

	;;#ASMEND
	;;#ASMSTART
	v_pk_mul_f16 v4, v36, v4;

	;;#ASMEND
	;; [unrolled: 4-line block ×4, first 2 shown]
	s_mov_b64 s[2:3], 0
	;;#ASMSTART
	v_pk_add_f16 v4, v21, v4;

	;;#ASMEND
                                        ; implicit-def: $sgpr22
	s_nop 0
	;;#ASMSTART
	v_pk_add_f16 v4, v4, v22;

	;;#ASMEND
	s_nop 0
	;;#ASMSTART
	v_pk_add_f16 v4, v4, v20;

	;;#ASMEND
	s_nop 0
	v_lshrrev_b32_e32 v20, 16, v4
	v_and_b32_e32 v4, 0xffff, v4
	;;#ASMSTART
	v_cvt_f32_f16 v21, v4;
	;;#ASMEND
	;;#ASMSTART
	v_cvt_f32_f16 v38, v20;
	;;#ASMEND
	global_load_dwordx2 v[22:23], v[18:19], off offset:512
	global_load_dword v20, v5, s[10:11]
	s_waitcnt vmcnt(1)
	v_cmp_gt_i16_sdwa s[12:13], v22, s29 src0_sel:BYTE_0 src1_sel:DWORD
	s_and_saveexec_b64 s[14:15], s[12:13]
	s_xor_b64 s[12:13], exec, s[14:15]
	s_cbranch_execnz .LBB252_450
; %bb.316:                              ;   in Loop: Header=BB252_281 Depth=1
	s_or_saveexec_b64 s[12:13], s[12:13]
	v_mov_b32_e32 v24, s22
	s_xor_b64 exec, exec, s[12:13]
	s_cbranch_execnz .LBB252_453
.LBB252_317:                            ;   in Loop: Header=BB252_281 Depth=1
	s_or_b64 exec, exec, s[12:13]
	s_and_saveexec_b64 s[12:13], s[2:3]
	s_cbranch_execz .LBB252_319
.LBB252_318:                            ;   in Loop: Header=BB252_281 Depth=1
	v_and_b32_e32 v4, 7, v22
	v_ffbh_u32_e32 v4, v4
	v_bfe_u32 v24, v22, 3, 4
	v_min_u32_e32 v4, 32, v4
	v_subrev_u32_e32 v25, 28, v4
	v_sub_u32_e32 v4, 29, v4
	v_cmp_eq_u32_e64 s[2:3], 0, v24
	s_nop 1
	v_cndmask_b32_e64 v4, v24, v4, s[2:3]
	v_cndmask_b32_e64 v24, 0, v25, s[2:3]
	v_lshlrev_b64 v[24:25], v24, v[22:23]
	v_lshlrev_b32_e32 v25, 8, v22
	v_lshl_add_u32 v4, v4, 10, v33
	v_lshlrev_b32_e32 v24, 7, v24
	v_and_or_b32 v4, v25, s31, v4
	v_and_or_b32 v4, v24, s34, v4
	v_cvt_f32_f16_e32 v24, v4
.LBB252_319:                            ;   in Loop: Header=BB252_281 Depth=1
	s_or_b64 exec, exec, s[12:13]
	v_lshrrev_b16_e32 v4, 8, v22
	v_cmp_lt_i16_e64 s[2:3], s29, v4
	s_mov_b64 s[12:13], 0
                                        ; implicit-def: $sgpr24
	s_and_saveexec_b64 s[14:15], s[2:3]
	s_xor_b64 s[14:15], exec, s[14:15]
	s_cbranch_execnz .LBB252_454
; %bb.320:                              ;   in Loop: Header=BB252_281 Depth=1
	s_or_saveexec_b64 s[14:15], s[14:15]
	v_mov_b32_e32 v26, s24
	s_xor_b64 exec, exec, s[14:15]
	s_cbranch_execnz .LBB252_457
.LBB252_321:                            ;   in Loop: Header=BB252_281 Depth=1
	s_or_b64 exec, exec, s[14:15]
	s_and_saveexec_b64 s[14:15], s[12:13]
	s_cbranch_execz .LBB252_323
.LBB252_322:                            ;   in Loop: Header=BB252_281 Depth=1
	v_and_b32_e32 v25, 7, v4
	v_ffbh_u32_e32 v26, v25
	v_min_u32_e32 v40, 32, v26
	v_subrev_u32_e32 v26, 28, v40
	v_bfe_u32 v39, v4, 3, 4
	v_lshlrev_b64 v[26:27], v26, v[4:5]
	v_sub_u32_e32 v27, 29, v40
	v_cmp_eq_u32_e64 s[2:3], 0, v39
	v_and_b32_e32 v26, 7, v26
	v_lshlrev_b32_e32 v4, 8, v4
	v_cndmask_b32_e64 v27, v39, v27, s[2:3]
	v_cndmask_b32_e64 v25, v25, v26, s[2:3]
	v_lshl_add_u32 v26, v27, 10, v33
	v_and_or_b32 v4, v4, s31, v26
	v_lshl_or_b32 v4, v25, 7, v4
	v_cvt_f32_f16_e32 v26, v4
.LBB252_323:                            ;   in Loop: Header=BB252_281 Depth=1
	s_or_b64 exec, exec, s[14:15]
	v_lshrrev_b32_e32 v4, 16, v22
	v_cmp_gt_i16_sdwa s[12:13], v4, s29 src0_sel:BYTE_0 src1_sel:DWORD
	s_mov_b64 s[2:3], 0
                                        ; implicit-def: $sgpr22
	s_and_saveexec_b64 s[14:15], s[12:13]
	s_xor_b64 s[12:13], exec, s[14:15]
	s_cbranch_execnz .LBB252_458
; %bb.324:                              ;   in Loop: Header=BB252_281 Depth=1
	s_or_saveexec_b64 s[12:13], s[12:13]
	v_mov_b32_e32 v25, s22
	s_xor_b64 exec, exec, s[12:13]
	s_cbranch_execnz .LBB252_461
.LBB252_325:                            ;   in Loop: Header=BB252_281 Depth=1
	s_or_b64 exec, exec, s[12:13]
	s_and_saveexec_b64 s[12:13], s[2:3]
	s_cbranch_execz .LBB252_327
.LBB252_326:                            ;   in Loop: Header=BB252_281 Depth=1
	v_bfe_u32 v25, v22, 16, 3
	v_ffbh_u32_e32 v39, v25
	v_bfe_u32 v27, v22, 19, 4
	v_min_u32_e32 v39, 32, v39
	v_subrev_u32_e32 v40, 28, v39
	v_sub_u32_e32 v39, 29, v39
	v_cmp_eq_u32_e64 s[2:3], 0, v27
	v_lshlrev_b64 v[40:41], v40, v[4:5]
	v_and_b32_e32 v40, 7, v40
	v_cndmask_b32_e64 v27, v27, v39, s[2:3]
	v_lshlrev_b32_e32 v4, 8, v4
	v_lshl_add_u32 v27, v27, 10, v33
	v_cndmask_b32_e64 v25, v25, v40, s[2:3]
	v_and_or_b32 v4, v4, s31, v27
	v_lshl_or_b32 v4, v25, 7, v4
	v_cvt_f32_f16_e32 v25, v4
.LBB252_327:                            ;   in Loop: Header=BB252_281 Depth=1
	s_or_b64 exec, exec, s[12:13]
	v_lshrrev_b32_e32 v4, 24, v22
	v_cmp_lt_i16_e64 s[2:3], s29, v4
	s_mov_b64 s[12:13], 0
                                        ; implicit-def: $sgpr24
	s_and_saveexec_b64 s[14:15], s[2:3]
	s_xor_b64 s[14:15], exec, s[14:15]
	s_cbranch_execnz .LBB252_462
; %bb.328:                              ;   in Loop: Header=BB252_281 Depth=1
	s_or_saveexec_b64 s[14:15], s[14:15]
	v_mov_b32_e32 v27, s24
	s_xor_b64 exec, exec, s[14:15]
	s_cbranch_execnz .LBB252_465
.LBB252_329:                            ;   in Loop: Header=BB252_281 Depth=1
	s_or_b64 exec, exec, s[14:15]
	s_and_saveexec_b64 s[14:15], s[12:13]
	s_cbranch_execz .LBB252_331
.LBB252_330:                            ;   in Loop: Header=BB252_281 Depth=1
	v_bfe_u32 v27, v22, 24, 3
	v_ffbh_u32_e32 v39, v27
	v_bfe_u32 v22, v22, 27, 4
	v_min_u32_e32 v39, 32, v39
	v_subrev_u32_e32 v40, 28, v39
	v_sub_u32_e32 v39, 29, v39
	v_cmp_eq_u32_e64 s[2:3], 0, v22
	v_lshlrev_b64 v[40:41], v40, v[4:5]
	v_and_b32_e32 v40, 7, v40
	v_cndmask_b32_e64 v22, v22, v39, s[2:3]
	v_lshlrev_b32_e32 v4, 8, v4
	v_lshl_add_u32 v22, v22, 10, v33
	v_cndmask_b32_e64 v27, v27, v40, s[2:3]
	v_and_or_b32 v4, v4, s31, v22
	v_lshl_or_b32 v4, v27, 7, v4
	v_cvt_f32_f16_e32 v27, v4
.LBB252_331:                            ;   in Loop: Header=BB252_281 Depth=1
	s_or_b64 exec, exec, s[14:15]
	v_cmp_gt_i16_sdwa s[12:13], v23, s29 src0_sel:BYTE_0 src1_sel:DWORD
	s_mov_b64 s[2:3], 0
                                        ; implicit-def: $sgpr22
	s_and_saveexec_b64 s[14:15], s[12:13]
	s_xor_b64 s[12:13], exec, s[14:15]
	s_cbranch_execnz .LBB252_466
; %bb.332:                              ;   in Loop: Header=BB252_281 Depth=1
	s_or_saveexec_b64 s[12:13], s[12:13]
	v_mov_b32_e32 v22, s22
	s_xor_b64 exec, exec, s[12:13]
	s_cbranch_execnz .LBB252_469
.LBB252_333:                            ;   in Loop: Header=BB252_281 Depth=1
	s_or_b64 exec, exec, s[12:13]
	v_mov_b32_e32 v4, v23
	s_and_saveexec_b64 s[12:13], s[2:3]
	s_cbranch_execz .LBB252_335
.LBB252_334:                            ;   in Loop: Header=BB252_281 Depth=1
	v_and_b32_e32 v22, 7, v23
	v_ffbh_u32_e32 v22, v22
	v_bfe_u32 v39, v23, 3, 4
	v_min_u32_e32 v22, 32, v22
	v_subrev_u32_e32 v40, 28, v22
	v_sub_u32_e32 v22, 29, v22
	v_cmp_eq_u32_e64 s[2:3], 0, v39
	s_nop 1
	v_cndmask_b32_e64 v22, v39, v22, s[2:3]
	v_cndmask_b32_e64 v39, 0, v40, s[2:3]
	v_lshlrev_b64 v[40:41], v39, v[4:5]
	v_lshlrev_b32_e32 v39, 7, v40
	v_lshlrev_b32_e32 v40, 8, v23
	v_lshl_add_u32 v22, v22, 10, v33
	v_and_or_b32 v22, v40, s31, v22
	v_and_or_b32 v22, v39, s34, v22
	v_cvt_f32_f16_e32 v22, v22
.LBB252_335:                            ;   in Loop: Header=BB252_281 Depth=1
	s_or_b64 exec, exec, s[12:13]
	v_lshrrev_b16_e32 v4, 8, v4
	v_cmp_lt_i16_e64 s[2:3], s29, v4
	s_mov_b64 s[12:13], 0
                                        ; implicit-def: $sgpr24
	s_and_saveexec_b64 s[14:15], s[2:3]
	s_xor_b64 s[14:15], exec, s[14:15]
	s_cbranch_execnz .LBB252_470
; %bb.336:                              ;   in Loop: Header=BB252_281 Depth=1
	s_or_saveexec_b64 s[14:15], s[14:15]
	v_mov_b32_e32 v39, s24
	s_xor_b64 exec, exec, s[14:15]
	s_cbranch_execnz .LBB252_473
.LBB252_337:                            ;   in Loop: Header=BB252_281 Depth=1
	s_or_b64 exec, exec, s[14:15]
	s_and_saveexec_b64 s[14:15], s[12:13]
	s_cbranch_execz .LBB252_339
.LBB252_338:                            ;   in Loop: Header=BB252_281 Depth=1
	v_and_b32_e32 v39, 7, v4
	v_ffbh_u32_e32 v40, v39
	v_min_u32_e32 v43, 32, v40
	v_subrev_u32_e32 v40, 28, v43
	v_bfe_u32 v42, v4, 3, 4
	v_lshlrev_b64 v[40:41], v40, v[4:5]
	v_sub_u32_e32 v41, 29, v43
	v_cmp_eq_u32_e64 s[2:3], 0, v42
	v_and_b32_e32 v40, 7, v40
	v_lshlrev_b32_e32 v4, 8, v4
	v_cndmask_b32_e64 v41, v42, v41, s[2:3]
	v_cndmask_b32_e64 v39, v39, v40, s[2:3]
	v_lshl_add_u32 v40, v41, 10, v33
	v_and_or_b32 v4, v4, s31, v40
	v_lshl_or_b32 v4, v39, 7, v4
	v_cvt_f32_f16_e32 v39, v4
.LBB252_339:                            ;   in Loop: Header=BB252_281 Depth=1
	s_or_b64 exec, exec, s[14:15]
	v_lshrrev_b32_e32 v4, 16, v23
	v_cmp_gt_i16_sdwa s[12:13], v4, s29 src0_sel:BYTE_0 src1_sel:DWORD
	s_mov_b64 s[2:3], 0
                                        ; implicit-def: $sgpr22
	s_and_saveexec_b64 s[14:15], s[12:13]
	s_xor_b64 s[12:13], exec, s[14:15]
	s_cbranch_execnz .LBB252_474
; %bb.340:                              ;   in Loop: Header=BB252_281 Depth=1
	s_or_saveexec_b64 s[12:13], s[12:13]
	v_mov_b32_e32 v40, s22
	s_xor_b64 exec, exec, s[12:13]
	s_cbranch_execnz .LBB252_477
.LBB252_341:                            ;   in Loop: Header=BB252_281 Depth=1
	s_or_b64 exec, exec, s[12:13]
	s_and_saveexec_b64 s[12:13], s[2:3]
	s_cbranch_execz .LBB252_343
.LBB252_342:                            ;   in Loop: Header=BB252_281 Depth=1
	v_bfe_u32 v42, v23, 16, 3
	v_ffbh_u32_e32 v40, v42
	v_min_u32_e32 v44, 32, v40
	v_subrev_u32_e32 v40, 28, v44
	v_bfe_u32 v43, v23, 19, 4
	v_lshlrev_b64 v[40:41], v40, v[4:5]
	v_sub_u32_e32 v41, 29, v44
	v_cmp_eq_u32_e64 s[2:3], 0, v43
	v_and_b32_e32 v40, 7, v40
	v_lshlrev_b32_e32 v4, 8, v4
	v_cndmask_b32_e64 v41, v43, v41, s[2:3]
	v_lshl_add_u32 v41, v41, 10, v33
	v_cndmask_b32_e64 v40, v42, v40, s[2:3]
	v_and_or_b32 v4, v4, s31, v41
	v_lshl_or_b32 v4, v40, 7, v4
	v_cvt_f32_f16_e32 v40, v4
.LBB252_343:                            ;   in Loop: Header=BB252_281 Depth=1
	s_or_b64 exec, exec, s[12:13]
	v_lshrrev_b32_e32 v4, 24, v23
	v_cmp_lt_i16_e64 s[2:3], s29, v4
	s_mov_b64 s[12:13], 0
                                        ; implicit-def: $sgpr24
	s_and_saveexec_b64 s[14:15], s[2:3]
	s_xor_b64 s[14:15], exec, s[14:15]
	s_cbranch_execnz .LBB252_478
; %bb.344:                              ;   in Loop: Header=BB252_281 Depth=1
	s_or_saveexec_b64 s[14:15], s[14:15]
	v_mov_b32_e32 v41, s24
	s_xor_b64 exec, exec, s[14:15]
	s_cbranch_execnz .LBB252_481
.LBB252_345:                            ;   in Loop: Header=BB252_281 Depth=1
	s_or_b64 exec, exec, s[14:15]
	s_and_saveexec_b64 s[14:15], s[12:13]
	s_cbranch_execz .LBB252_347
.LBB252_346:                            ;   in Loop: Header=BB252_281 Depth=1
	v_bfe_u32 v41, v23, 24, 3
	v_ffbh_u32_e32 v42, v41
	v_min_u32_e32 v44, 32, v42
	v_subrev_u32_e32 v42, 28, v44
	v_bfe_u32 v23, v23, 27, 4
	v_lshlrev_b64 v[42:43], v42, v[4:5]
	v_sub_u32_e32 v43, 29, v44
	v_cmp_eq_u32_e64 s[2:3], 0, v23
	v_and_b32_e32 v42, 7, v42
	v_lshlrev_b32_e32 v4, 8, v4
	v_cndmask_b32_e64 v23, v23, v43, s[2:3]
	v_lshl_add_u32 v23, v23, 10, v33
	v_cndmask_b32_e64 v41, v41, v42, s[2:3]
	v_and_or_b32 v4, v4, s31, v23
	v_lshl_or_b32 v4, v41, 7, v4
	v_cvt_f32_f16_e32 v41, v4
.LBB252_347:                            ;   in Loop: Header=BB252_281 Depth=1
	s_or_b64 exec, exec, s[14:15]
	s_waitcnt vmcnt(0)
	v_pk_mul_f32 v[26:27], v[20:21], v[26:27] op_sel_hi:[0,1]
	v_pk_mul_f32 v[24:25], v[20:21], v[24:25] op_sel_hi:[0,1]
	v_cvt_f16_f32_e32 v4, v27
	v_cvt_f16_f32_e32 v23, v26
	;; [unrolled: 1-line block ×4, first 2 shown]
	v_fma_mixlo_f16 v22, v20, v22, 0
	v_pack_b32_f16 v23, v23, v4
	v_pack_b32_f16 v24, v24, v25
	v_perm_b32 v4, v24, v23, s35
	v_perm_b32 v23, v24, v23, s36
	v_fma_mixlo_f16 v24, v20, v39, 0
	v_lshlrev_b32_e32 v24, 16, v24
	v_or_b32_sdwa v22, v24, v22 dst_sel:DWORD dst_unused:UNUSED_PAD src0_sel:DWORD src1_sel:WORD_0
	v_fma_mixlo_f16 v24, v20, v40, 0
	v_fma_mixlo_f16 v20, v20, v41, 0
	v_lshlrev_b32_e32 v20, 16, v20
	v_or_b32_sdwa v20, v20, v24 dst_sel:DWORD dst_unused:UNUSED_PAD src0_sel:DWORD src1_sel:WORD_0
	s_and_saveexec_b64 s[12:13], s[0:1]
	s_cbranch_execz .LBB252_349
; %bb.348:                              ;   in Loop: Header=BB252_281 Depth=1
	v_add_u32_e32 v25, 1, v31
	v_lshrrev_b32_e32 v26, 16, v23
	v_cmp_gt_i32_e64 s[2:3], s27, v25
	v_lshrrev_b32_e32 v27, 16, v4
	v_lshrrev_b32_e32 v20, 16, v20
	v_cndmask_b32_e64 v25, 0, v26, s[2:3]
	v_cmp_gt_i32_e64 s[2:3], s33, v31
	v_or_b32_e32 v26, 2, v31
	s_nop 0
	v_cndmask_b32_e64 v23, 0, v23, s[2:3]
	v_perm_b32 v23, v25, v23, s37
	v_or_b32_e32 v25, 3, v31
	v_cmp_gt_i32_e64 s[2:3], s27, v25
	s_nop 1
	v_cndmask_b32_e64 v25, 0, v27, s[2:3]
	v_cmp_gt_i32_e64 s[2:3], s33, v26
	v_or_b32_e32 v26, 4, v31
	v_lshrrev_b32_e32 v27, 16, v22
	v_cndmask_b32_e64 v4, 0, v4, s[2:3]
	v_perm_b32 v4, v25, v4, s37
	v_or_b32_e32 v25, 5, v31
	v_cmp_gt_i32_e64 s[2:3], s27, v25
	s_nop 1
	v_cndmask_b32_e64 v25, 0, v27, s[2:3]
	v_cmp_gt_i32_e64 s[2:3], s33, v26
	v_or_b32_e32 v26, 6, v31
	s_nop 0
	v_cndmask_b32_e64 v22, 0, v22, s[2:3]
	v_perm_b32 v22, v25, v22, s37
	v_or_b32_e32 v25, 7, v31
	v_cmp_gt_i32_e64 s[2:3], s27, v25
	s_nop 1
	v_cndmask_b32_e64 v20, 0, v20, s[2:3]
	v_cmp_gt_i32_e64 s[2:3], s33, v26
	s_nop 1
	v_cndmask_b32_e64 v24, 0, v24, s[2:3]
	v_perm_b32 v20, v20, v24, s37
.LBB252_349:                            ;   in Loop: Header=BB252_281 Depth=1
	s_or_b64 exec, exec, s[12:13]
	;;#ASMSTART
	v_pk_mul_f16 v23, v37, v23;

	;;#ASMEND
	;;#ASMSTART
	v_pk_mul_f16 v4, v36, v4;

	;;#ASMEND
	;; [unrolled: 4-line block ×4, first 2 shown]
	s_mov_b64 s[2:3], 0
	;;#ASMSTART
	v_pk_add_f16 v4, v23, v4;

	;;#ASMEND
                                        ; implicit-def: $sgpr22
	s_nop 0
	;;#ASMSTART
	v_pk_add_f16 v4, v4, v22;

	;;#ASMEND
	s_nop 0
	;;#ASMSTART
	v_pk_add_f16 v4, v4, v20;

	;;#ASMEND
	s_nop 0
	v_lshrrev_b32_e32 v20, 16, v4
	v_and_b32_e32 v4, 0xffff, v4
	;;#ASMSTART
	v_cvt_f32_f16 v26, v4;
	;;#ASMEND
	;;#ASMSTART
	v_cvt_f32_f16 v27, v20;
	;;#ASMEND
	global_load_dwordx2 v[22:23], v[18:19], off offset:1024
	global_load_dword v20, v5, s[10:11]
	s_waitcnt vmcnt(1)
	v_cmp_gt_i16_sdwa s[12:13], v22, s29 src0_sel:BYTE_0 src1_sel:DWORD
	s_and_saveexec_b64 s[14:15], s[12:13]
	s_xor_b64 s[12:13], exec, s[14:15]
	s_cbranch_execnz .LBB252_482
; %bb.350:                              ;   in Loop: Header=BB252_281 Depth=1
	s_or_saveexec_b64 s[12:13], s[12:13]
	v_mov_b32_e32 v18, s22
	s_xor_b64 exec, exec, s[12:13]
	s_cbranch_execnz .LBB252_485
.LBB252_351:                            ;   in Loop: Header=BB252_281 Depth=1
	s_or_b64 exec, exec, s[12:13]
	s_and_saveexec_b64 s[12:13], s[2:3]
	s_cbranch_execz .LBB252_353
.LBB252_352:                            ;   in Loop: Header=BB252_281 Depth=1
	v_and_b32_e32 v4, 7, v22
	v_ffbh_u32_e32 v4, v4
	v_bfe_u32 v18, v22, 3, 4
	v_min_u32_e32 v4, 32, v4
	v_subrev_u32_e32 v19, 28, v4
	v_sub_u32_e32 v4, 29, v4
	v_cmp_eq_u32_e64 s[2:3], 0, v18
	s_nop 1
	v_cndmask_b32_e64 v4, v18, v4, s[2:3]
	v_cndmask_b32_e64 v18, 0, v19, s[2:3]
	v_lshlrev_b64 v[18:19], v18, v[22:23]
	v_lshlrev_b32_e32 v19, 8, v22
	v_lshl_add_u32 v4, v4, 10, v33
	v_lshlrev_b32_e32 v18, 7, v18
	v_and_or_b32 v4, v19, s31, v4
	v_and_or_b32 v4, v18, s34, v4
	v_cvt_f32_f16_e32 v18, v4
.LBB252_353:                            ;   in Loop: Header=BB252_281 Depth=1
	s_or_b64 exec, exec, s[12:13]
	v_lshrrev_b16_e32 v4, 8, v22
	v_cmp_lt_i16_e64 s[2:3], s29, v4
	s_mov_b64 s[12:13], 0
                                        ; implicit-def: $sgpr24
	s_and_saveexec_b64 s[14:15], s[2:3]
	s_xor_b64 s[14:15], exec, s[14:15]
	s_cbranch_execnz .LBB252_486
; %bb.354:                              ;   in Loop: Header=BB252_281 Depth=1
	s_or_saveexec_b64 s[14:15], s[14:15]
	v_mov_b32_e32 v24, s24
	s_xor_b64 exec, exec, s[14:15]
	s_cbranch_execnz .LBB252_489
.LBB252_355:                            ;   in Loop: Header=BB252_281 Depth=1
	s_or_b64 exec, exec, s[14:15]
	s_and_saveexec_b64 s[14:15], s[12:13]
	s_cbranch_execz .LBB252_357
.LBB252_356:                            ;   in Loop: Header=BB252_281 Depth=1
	v_and_b32_e32 v19, 7, v4
	v_ffbh_u32_e32 v24, v19
	v_min_u32_e32 v40, 32, v24
	v_subrev_u32_e32 v24, 28, v40
	v_bfe_u32 v39, v4, 3, 4
	v_lshlrev_b64 v[24:25], v24, v[4:5]
	v_sub_u32_e32 v25, 29, v40
	v_cmp_eq_u32_e64 s[2:3], 0, v39
	v_and_b32_e32 v24, 7, v24
	v_lshlrev_b32_e32 v4, 8, v4
	v_cndmask_b32_e64 v25, v39, v25, s[2:3]
	v_cndmask_b32_e64 v19, v19, v24, s[2:3]
	v_lshl_add_u32 v24, v25, 10, v33
	v_and_or_b32 v4, v4, s31, v24
	v_lshl_or_b32 v4, v19, 7, v4
	v_cvt_f32_f16_e32 v24, v4
.LBB252_357:                            ;   in Loop: Header=BB252_281 Depth=1
	s_or_b64 exec, exec, s[14:15]
	v_lshrrev_b32_e32 v4, 16, v22
	v_cmp_gt_i16_sdwa s[12:13], v4, s29 src0_sel:BYTE_0 src1_sel:DWORD
	s_mov_b64 s[2:3], 0
                                        ; implicit-def: $sgpr22
	s_and_saveexec_b64 s[14:15], s[12:13]
	s_xor_b64 s[12:13], exec, s[14:15]
	s_cbranch_execnz .LBB252_490
; %bb.358:                              ;   in Loop: Header=BB252_281 Depth=1
	s_or_saveexec_b64 s[12:13], s[12:13]
	v_mov_b32_e32 v19, s22
	s_xor_b64 exec, exec, s[12:13]
	s_cbranch_execnz .LBB252_493
.LBB252_359:                            ;   in Loop: Header=BB252_281 Depth=1
	s_or_b64 exec, exec, s[12:13]
	s_and_saveexec_b64 s[12:13], s[2:3]
	s_cbranch_execz .LBB252_361
.LBB252_360:                            ;   in Loop: Header=BB252_281 Depth=1
	v_bfe_u32 v19, v22, 16, 3
	v_ffbh_u32_e32 v39, v19
	v_bfe_u32 v25, v22, 19, 4
	v_min_u32_e32 v39, 32, v39
	v_subrev_u32_e32 v40, 28, v39
	v_sub_u32_e32 v39, 29, v39
	v_cmp_eq_u32_e64 s[2:3], 0, v25
	v_lshlrev_b64 v[40:41], v40, v[4:5]
	v_and_b32_e32 v40, 7, v40
	v_cndmask_b32_e64 v25, v25, v39, s[2:3]
	v_lshlrev_b32_e32 v4, 8, v4
	v_lshl_add_u32 v25, v25, 10, v33
	v_cndmask_b32_e64 v19, v19, v40, s[2:3]
	v_and_or_b32 v4, v4, s31, v25
	v_lshl_or_b32 v4, v19, 7, v4
	v_cvt_f32_f16_e32 v19, v4
.LBB252_361:                            ;   in Loop: Header=BB252_281 Depth=1
	s_or_b64 exec, exec, s[12:13]
	v_lshrrev_b32_e32 v4, 24, v22
	v_cmp_lt_i16_e64 s[2:3], s29, v4
	s_mov_b64 s[12:13], 0
                                        ; implicit-def: $sgpr24
	s_and_saveexec_b64 s[14:15], s[2:3]
	s_xor_b64 s[14:15], exec, s[14:15]
	s_cbranch_execnz .LBB252_494
; %bb.362:                              ;   in Loop: Header=BB252_281 Depth=1
	s_or_saveexec_b64 s[14:15], s[14:15]
	v_mov_b32_e32 v25, s24
	s_xor_b64 exec, exec, s[14:15]
	s_cbranch_execnz .LBB252_497
.LBB252_363:                            ;   in Loop: Header=BB252_281 Depth=1
	s_or_b64 exec, exec, s[14:15]
	s_and_saveexec_b64 s[14:15], s[12:13]
	s_cbranch_execz .LBB252_365
.LBB252_364:                            ;   in Loop: Header=BB252_281 Depth=1
	v_bfe_u32 v25, v22, 24, 3
	v_ffbh_u32_e32 v39, v25
	v_bfe_u32 v22, v22, 27, 4
	v_min_u32_e32 v39, 32, v39
	v_subrev_u32_e32 v40, 28, v39
	v_sub_u32_e32 v39, 29, v39
	v_cmp_eq_u32_e64 s[2:3], 0, v22
	v_lshlrev_b64 v[40:41], v40, v[4:5]
	v_and_b32_e32 v40, 7, v40
	v_cndmask_b32_e64 v22, v22, v39, s[2:3]
	v_lshlrev_b32_e32 v4, 8, v4
	v_lshl_add_u32 v22, v22, 10, v33
	v_cndmask_b32_e64 v25, v25, v40, s[2:3]
	v_and_or_b32 v4, v4, s31, v22
	v_lshl_or_b32 v4, v25, 7, v4
	v_cvt_f32_f16_e32 v25, v4
.LBB252_365:                            ;   in Loop: Header=BB252_281 Depth=1
	s_or_b64 exec, exec, s[14:15]
	v_cmp_gt_i16_sdwa s[12:13], v23, s29 src0_sel:BYTE_0 src1_sel:DWORD
	s_mov_b64 s[2:3], 0
                                        ; implicit-def: $sgpr22
	s_and_saveexec_b64 s[14:15], s[12:13]
	s_xor_b64 s[12:13], exec, s[14:15]
	s_cbranch_execnz .LBB252_498
; %bb.366:                              ;   in Loop: Header=BB252_281 Depth=1
	s_or_saveexec_b64 s[12:13], s[12:13]
	v_mov_b32_e32 v22, s22
	s_xor_b64 exec, exec, s[12:13]
	s_cbranch_execnz .LBB252_501
.LBB252_367:                            ;   in Loop: Header=BB252_281 Depth=1
	s_or_b64 exec, exec, s[12:13]
	v_mov_b32_e32 v4, v23
	s_and_saveexec_b64 s[12:13], s[2:3]
	s_cbranch_execz .LBB252_369
.LBB252_368:                            ;   in Loop: Header=BB252_281 Depth=1
	v_and_b32_e32 v22, 7, v23
	v_ffbh_u32_e32 v22, v22
	v_bfe_u32 v39, v23, 3, 4
	v_min_u32_e32 v22, 32, v22
	v_subrev_u32_e32 v40, 28, v22
	v_sub_u32_e32 v22, 29, v22
	v_cmp_eq_u32_e64 s[2:3], 0, v39
	s_nop 1
	v_cndmask_b32_e64 v22, v39, v22, s[2:3]
	v_cndmask_b32_e64 v39, 0, v40, s[2:3]
	v_lshlrev_b64 v[40:41], v39, v[4:5]
	v_lshlrev_b32_e32 v39, 7, v40
	v_lshlrev_b32_e32 v40, 8, v23
	v_lshl_add_u32 v22, v22, 10, v33
	v_and_or_b32 v22, v40, s31, v22
	v_and_or_b32 v22, v39, s34, v22
	v_cvt_f32_f16_e32 v22, v22
.LBB252_369:                            ;   in Loop: Header=BB252_281 Depth=1
	s_or_b64 exec, exec, s[12:13]
	v_lshrrev_b16_e32 v4, 8, v4
	v_cmp_lt_i16_e64 s[2:3], s29, v4
	s_mov_b64 s[12:13], 0
                                        ; implicit-def: $sgpr24
	s_and_saveexec_b64 s[14:15], s[2:3]
	s_xor_b64 s[14:15], exec, s[14:15]
	s_cbranch_execnz .LBB252_502
; %bb.370:                              ;   in Loop: Header=BB252_281 Depth=1
	s_or_saveexec_b64 s[14:15], s[14:15]
	v_mov_b32_e32 v39, s24
	s_xor_b64 exec, exec, s[14:15]
	s_cbranch_execnz .LBB252_505
.LBB252_371:                            ;   in Loop: Header=BB252_281 Depth=1
	s_or_b64 exec, exec, s[14:15]
	s_and_saveexec_b64 s[14:15], s[12:13]
	s_cbranch_execz .LBB252_373
.LBB252_372:                            ;   in Loop: Header=BB252_281 Depth=1
	v_and_b32_e32 v39, 7, v4
	v_ffbh_u32_e32 v40, v39
	v_min_u32_e32 v43, 32, v40
	v_subrev_u32_e32 v40, 28, v43
	v_bfe_u32 v42, v4, 3, 4
	v_lshlrev_b64 v[40:41], v40, v[4:5]
	v_sub_u32_e32 v41, 29, v43
	v_cmp_eq_u32_e64 s[2:3], 0, v42
	v_and_b32_e32 v40, 7, v40
	v_lshlrev_b32_e32 v4, 8, v4
	v_cndmask_b32_e64 v41, v42, v41, s[2:3]
	v_cndmask_b32_e64 v39, v39, v40, s[2:3]
	v_lshl_add_u32 v40, v41, 10, v33
	v_and_or_b32 v4, v4, s31, v40
	v_lshl_or_b32 v4, v39, 7, v4
	v_cvt_f32_f16_e32 v39, v4
.LBB252_373:                            ;   in Loop: Header=BB252_281 Depth=1
	s_or_b64 exec, exec, s[14:15]
	v_lshrrev_b32_e32 v4, 16, v23
	v_cmp_gt_i16_sdwa s[12:13], v4, s29 src0_sel:BYTE_0 src1_sel:DWORD
	s_mov_b64 s[2:3], 0
                                        ; implicit-def: $sgpr22
	s_and_saveexec_b64 s[14:15], s[12:13]
	s_xor_b64 s[12:13], exec, s[14:15]
	s_cbranch_execnz .LBB252_506
; %bb.374:                              ;   in Loop: Header=BB252_281 Depth=1
	s_or_saveexec_b64 s[12:13], s[12:13]
	v_mov_b32_e32 v40, s22
	s_xor_b64 exec, exec, s[12:13]
	s_cbranch_execnz .LBB252_509
.LBB252_375:                            ;   in Loop: Header=BB252_281 Depth=1
	s_or_b64 exec, exec, s[12:13]
	s_and_saveexec_b64 s[12:13], s[2:3]
	s_cbranch_execz .LBB252_377
.LBB252_376:                            ;   in Loop: Header=BB252_281 Depth=1
	v_bfe_u32 v42, v23, 16, 3
	v_ffbh_u32_e32 v40, v42
	v_min_u32_e32 v44, 32, v40
	v_subrev_u32_e32 v40, 28, v44
	v_bfe_u32 v43, v23, 19, 4
	v_lshlrev_b64 v[40:41], v40, v[4:5]
	v_sub_u32_e32 v41, 29, v44
	v_cmp_eq_u32_e64 s[2:3], 0, v43
	v_and_b32_e32 v40, 7, v40
	v_lshlrev_b32_e32 v4, 8, v4
	v_cndmask_b32_e64 v41, v43, v41, s[2:3]
	v_lshl_add_u32 v41, v41, 10, v33
	v_cndmask_b32_e64 v40, v42, v40, s[2:3]
	v_and_or_b32 v4, v4, s31, v41
	v_lshl_or_b32 v4, v40, 7, v4
	v_cvt_f32_f16_e32 v40, v4
.LBB252_377:                            ;   in Loop: Header=BB252_281 Depth=1
	s_or_b64 exec, exec, s[12:13]
	v_lshrrev_b32_e32 v4, 24, v23
	v_cmp_lt_i16_e64 s[2:3], s29, v4
	s_mov_b64 s[12:13], 0
                                        ; implicit-def: $sgpr24
	s_and_saveexec_b64 s[14:15], s[2:3]
	s_xor_b64 s[14:15], exec, s[14:15]
	s_cbranch_execnz .LBB252_510
; %bb.378:                              ;   in Loop: Header=BB252_281 Depth=1
	s_or_saveexec_b64 s[14:15], s[14:15]
	v_mov_b32_e32 v41, s24
	s_xor_b64 exec, exec, s[14:15]
	s_cbranch_execnz .LBB252_513
.LBB252_379:                            ;   in Loop: Header=BB252_281 Depth=1
	s_or_b64 exec, exec, s[14:15]
	s_and_saveexec_b64 s[14:15], s[12:13]
	s_cbranch_execz .LBB252_381
.LBB252_380:                            ;   in Loop: Header=BB252_281 Depth=1
	v_bfe_u32 v41, v23, 24, 3
	v_ffbh_u32_e32 v42, v41
	v_min_u32_e32 v44, 32, v42
	v_subrev_u32_e32 v42, 28, v44
	v_bfe_u32 v23, v23, 27, 4
	v_lshlrev_b64 v[42:43], v42, v[4:5]
	v_sub_u32_e32 v43, 29, v44
	v_cmp_eq_u32_e64 s[2:3], 0, v23
	v_and_b32_e32 v42, 7, v42
	v_lshlrev_b32_e32 v4, 8, v4
	v_cndmask_b32_e64 v23, v23, v43, s[2:3]
	v_lshl_add_u32 v23, v23, 10, v33
	v_cndmask_b32_e64 v41, v41, v42, s[2:3]
	v_and_or_b32 v4, v4, s31, v23
	v_lshl_or_b32 v4, v41, 7, v4
	v_cvt_f32_f16_e32 v41, v4
.LBB252_381:                            ;   in Loop: Header=BB252_281 Depth=1
	s_or_b64 exec, exec, s[14:15]
	s_waitcnt vmcnt(0)
	v_pk_mul_f32 v[18:19], v[20:21], v[18:19] op_sel_hi:[0,1]
	v_cvt_f16_f32_e32 v19, v19
	v_cvt_f16_f32_e32 v18, v18
	v_pk_mul_f32 v[24:25], v[20:21], v[24:25] op_sel_hi:[0,1]
	v_cvt_f16_f32_e32 v4, v25
	v_cvt_f16_f32_e32 v23, v24
	v_pack_b32_f16 v18, v18, v19
	v_fma_mixlo_f16 v19, v20, v39, 0
	v_lshlrev_b32_e32 v19, 16, v19
	v_fma_mixlo_f16 v22, v20, v22, 0
	v_or_b32_sdwa v19, v19, v22 dst_sel:DWORD dst_unused:UNUSED_PAD src0_sel:DWORD src1_sel:WORD_0
	v_fma_mixlo_f16 v22, v20, v40, 0
	v_fma_mixlo_f16 v20, v20, v41, 0
	v_pack_b32_f16 v23, v23, v4
	v_lshlrev_b32_e32 v20, 16, v20
	v_perm_b32 v4, v18, v23, s35
	v_perm_b32 v18, v18, v23, s36
	v_or_b32_sdwa v20, v20, v22 dst_sel:DWORD dst_unused:UNUSED_PAD src0_sel:DWORD src1_sel:WORD_0
	s_and_saveexec_b64 s[12:13], s[0:1]
	s_cbranch_execz .LBB252_383
; %bb.382:                              ;   in Loop: Header=BB252_281 Depth=1
	v_add_u32_e32 v23, 1, v31
	v_lshrrev_b32_e32 v24, 16, v18
	v_cmp_gt_i32_e64 s[2:3], s27, v23
	v_lshrrev_b32_e32 v25, 16, v4
	v_lshrrev_b32_e32 v20, 16, v20
	v_cndmask_b32_e64 v23, 0, v24, s[2:3]
	v_cmp_gt_i32_e64 s[2:3], s33, v31
	v_or_b32_e32 v24, 2, v31
	s_nop 0
	v_cndmask_b32_e64 v18, 0, v18, s[2:3]
	v_perm_b32 v18, v23, v18, s37
	v_or_b32_e32 v23, 3, v31
	v_cmp_gt_i32_e64 s[2:3], s27, v23
	s_nop 1
	v_cndmask_b32_e64 v23, 0, v25, s[2:3]
	v_cmp_gt_i32_e64 s[2:3], s33, v24
	v_or_b32_e32 v24, 4, v31
	v_lshrrev_b32_e32 v25, 16, v19
	v_cndmask_b32_e64 v4, 0, v4, s[2:3]
	v_perm_b32 v4, v23, v4, s37
	v_or_b32_e32 v23, 5, v31
	v_cmp_gt_i32_e64 s[2:3], s27, v23
	s_nop 1
	v_cndmask_b32_e64 v23, 0, v25, s[2:3]
	v_cmp_gt_i32_e64 s[2:3], s33, v24
	v_or_b32_e32 v24, 6, v31
	s_nop 0
	v_cndmask_b32_e64 v19, 0, v19, s[2:3]
	v_perm_b32 v19, v23, v19, s37
	v_or_b32_e32 v23, 7, v31
	v_cmp_gt_i32_e64 s[2:3], s27, v23
	s_nop 1
	v_cndmask_b32_e64 v20, 0, v20, s[2:3]
	v_cmp_gt_i32_e64 s[2:3], s33, v24
	s_nop 1
	v_cndmask_b32_e64 v22, 0, v22, s[2:3]
	v_perm_b32 v20, v20, v22, s37
.LBB252_383:                            ;   in Loop: Header=BB252_281 Depth=1
	s_or_b64 exec, exec, s[12:13]
	;;#ASMSTART
	v_pk_mul_f16 v18, v37, v18;

	;;#ASMEND
	;;#ASMSTART
	v_pk_mul_f16 v4, v36, v4;

	;;#ASMEND
	;; [unrolled: 4-line block ×4, first 2 shown]
	v_add_f32_e32 v21, v21, v38
	;;#ASMSTART
	v_pk_add_f16 v4, v18, v4;

	;;#ASMEND
	v_add_f32_e32 v10, v10, v21
	;;#ASMSTART
	v_pk_add_f16 v4, v4, v19;

	;;#ASMEND
	;; [unrolled: 5-line block ×3, first 2 shown]
	v_add_f32_e32 v11, v11, v21
	v_lshrrev_b32_e32 v18, 16, v4
	v_and_b32_e32 v4, 0xffff, v4
	;;#ASMSTART
	v_cvt_f32_f16 v4, v4;
	;;#ASMEND
	;;#ASMSTART
	v_cvt_f32_f16 v18, v18;
	;;#ASMEND
	s_nop 0
	v_add_f32_e32 v4, v4, v18
	v_add_f32_e32 v6, v6, v4
	s_and_saveexec_b64 s[12:13], vcc
	s_cbranch_execz .LBB252_280
; %bb.384:                              ;   in Loop: Header=BB252_281 Depth=1
	v_lshl_add_u64 v[20:21], v[16:17], 0, v[8:9]
	global_load_dwordx2 v[18:19], v[20:21], off
	global_load_dword v16, v5, s[10:11]
	s_mov_b64 s[2:3], 0
                                        ; implicit-def: $sgpr24
	s_waitcnt vmcnt(1)
	v_cmp_gt_i16_sdwa s[14:15], v18, s29 src0_sel:BYTE_0 src1_sel:DWORD
	s_and_saveexec_b64 s[22:23], s[14:15]
	s_xor_b64 s[14:15], exec, s[22:23]
	s_cbranch_execnz .LBB252_514
; %bb.385:                              ;   in Loop: Header=BB252_281 Depth=1
	s_or_saveexec_b64 s[14:15], s[14:15]
	v_mov_b32_e32 v20, s24
	s_xor_b64 exec, exec, s[14:15]
	s_cbranch_execnz .LBB252_517
.LBB252_386:                            ;   in Loop: Header=BB252_281 Depth=1
	s_or_b64 exec, exec, s[14:15]
	s_and_saveexec_b64 s[14:15], s[2:3]
	s_cbranch_execz .LBB252_388
.LBB252_387:                            ;   in Loop: Header=BB252_281 Depth=1
	v_and_b32_e32 v4, 7, v18
	v_ffbh_u32_e32 v4, v4
	v_bfe_u32 v17, v18, 3, 4
	v_min_u32_e32 v4, 32, v4
	v_subrev_u32_e32 v20, 28, v4
	v_sub_u32_e32 v4, 29, v4
	v_cmp_eq_u32_e64 s[2:3], 0, v17
	s_nop 1
	v_cndmask_b32_e64 v4, v17, v4, s[2:3]
	v_cndmask_b32_e64 v17, 0, v20, s[2:3]
	v_lshlrev_b64 v[20:21], v17, v[18:19]
	v_lshlrev_b32_e32 v17, 7, v20
	v_lshlrev_b32_e32 v20, 8, v18
	v_lshl_add_u32 v4, v4, 10, v33
	v_and_or_b32 v4, v20, s31, v4
	v_and_or_b32 v4, v17, s34, v4
	v_cvt_f32_f16_e32 v20, v4
.LBB252_388:                            ;   in Loop: Header=BB252_281 Depth=1
	s_or_b64 exec, exec, s[14:15]
	v_lshrrev_b16_e32 v4, 8, v18
	v_cmp_lt_i16_e64 s[2:3], s29, v4
	s_mov_b64 s[14:15], 0
                                        ; implicit-def: $sgpr38
	s_and_saveexec_b64 s[22:23], s[2:3]
	s_xor_b64 s[22:23], exec, s[22:23]
	s_cbranch_execnz .LBB252_518
; %bb.389:                              ;   in Loop: Header=BB252_281 Depth=1
	s_or_saveexec_b64 s[22:23], s[22:23]
	v_mov_b32_e32 v22, s38
	s_xor_b64 exec, exec, s[22:23]
	s_cbranch_execnz .LBB252_521
.LBB252_390:                            ;   in Loop: Header=BB252_281 Depth=1
	s_or_b64 exec, exec, s[22:23]
	s_and_saveexec_b64 s[22:23], s[14:15]
	s_cbranch_execz .LBB252_392
.LBB252_391:                            ;   in Loop: Header=BB252_281 Depth=1
	v_and_b32_e32 v17, 7, v4
	v_ffbh_u32_e32 v22, v17
	v_min_u32_e32 v24, 32, v22
	v_subrev_u32_e32 v22, 28, v24
	v_bfe_u32 v21, v4, 3, 4
	v_lshlrev_b64 v[22:23], v22, v[4:5]
	v_sub_u32_e32 v23, 29, v24
	v_cmp_eq_u32_e64 s[2:3], 0, v21
	v_and_b32_e32 v22, 7, v22
	v_lshlrev_b32_e32 v4, 8, v4
	v_cndmask_b32_e64 v21, v21, v23, s[2:3]
	v_lshl_add_u32 v21, v21, 10, v33
	v_cndmask_b32_e64 v17, v17, v22, s[2:3]
	v_and_or_b32 v4, v4, s31, v21
	v_lshl_or_b32 v4, v17, 7, v4
	v_cvt_f32_f16_e32 v22, v4
.LBB252_392:                            ;   in Loop: Header=BB252_281 Depth=1
	s_or_b64 exec, exec, s[22:23]
	v_lshrrev_b32_e32 v4, 16, v18
	v_cmp_gt_i16_sdwa s[14:15], v4, s29 src0_sel:BYTE_0 src1_sel:DWORD
	s_mov_b64 s[2:3], 0
                                        ; implicit-def: $sgpr24
	s_and_saveexec_b64 s[22:23], s[14:15]
	s_xor_b64 s[14:15], exec, s[22:23]
	s_cbranch_execnz .LBB252_522
; %bb.393:                              ;   in Loop: Header=BB252_281 Depth=1
	s_or_saveexec_b64 s[14:15], s[14:15]
	v_mov_b32_e32 v21, s24
	s_xor_b64 exec, exec, s[14:15]
	s_cbranch_execnz .LBB252_525
.LBB252_394:                            ;   in Loop: Header=BB252_281 Depth=1
	s_or_b64 exec, exec, s[14:15]
	s_and_saveexec_b64 s[14:15], s[2:3]
	s_cbranch_execz .LBB252_396
.LBB252_395:                            ;   in Loop: Header=BB252_281 Depth=1
	v_bfe_u32 v17, v18, 16, 3
	v_ffbh_u32_e32 v23, v17
	v_bfe_u32 v21, v18, 19, 4
	v_min_u32_e32 v23, 32, v23
	v_subrev_u32_e32 v24, 28, v23
	v_sub_u32_e32 v23, 29, v23
	v_cmp_eq_u32_e64 s[2:3], 0, v21
	v_lshlrev_b64 v[24:25], v24, v[4:5]
	v_and_b32_e32 v24, 7, v24
	v_cndmask_b32_e64 v21, v21, v23, s[2:3]
	v_lshlrev_b32_e32 v4, 8, v4
	v_lshl_add_u32 v21, v21, 10, v33
	v_cndmask_b32_e64 v17, v17, v24, s[2:3]
	v_and_or_b32 v4, v4, s31, v21
	v_lshl_or_b32 v4, v17, 7, v4
	v_cvt_f32_f16_e32 v21, v4
.LBB252_396:                            ;   in Loop: Header=BB252_281 Depth=1
	s_or_b64 exec, exec, s[14:15]
	v_lshrrev_b32_e32 v4, 24, v18
	v_cmp_lt_i16_e64 s[2:3], s29, v4
	s_mov_b64 s[14:15], 0
                                        ; implicit-def: $sgpr38
	s_and_saveexec_b64 s[22:23], s[2:3]
	s_xor_b64 s[22:23], exec, s[22:23]
	s_cbranch_execnz .LBB252_526
; %bb.397:                              ;   in Loop: Header=BB252_281 Depth=1
	s_or_saveexec_b64 s[22:23], s[22:23]
	v_mov_b32_e32 v23, s38
	s_xor_b64 exec, exec, s[22:23]
	s_cbranch_execnz .LBB252_529
.LBB252_398:                            ;   in Loop: Header=BB252_281 Depth=1
	s_or_b64 exec, exec, s[22:23]
	s_and_saveexec_b64 s[22:23], s[14:15]
	s_cbranch_execz .LBB252_400
.LBB252_399:                            ;   in Loop: Header=BB252_281 Depth=1
	v_bfe_u32 v17, v18, 24, 3
	v_ffbh_u32_e32 v23, v17
	v_bfe_u32 v18, v18, 27, 4
	v_min_u32_e32 v23, 32, v23
	v_subrev_u32_e32 v24, 28, v23
	v_sub_u32_e32 v23, 29, v23
	v_cmp_eq_u32_e64 s[2:3], 0, v18
	v_lshlrev_b64 v[24:25], v24, v[4:5]
	v_and_b32_e32 v24, 7, v24
	v_cndmask_b32_e64 v18, v18, v23, s[2:3]
	v_lshlrev_b32_e32 v4, 8, v4
	v_lshl_add_u32 v18, v18, 10, v33
	v_cndmask_b32_e64 v17, v17, v24, s[2:3]
	v_and_or_b32 v4, v4, s31, v18
	v_lshl_or_b32 v4, v17, 7, v4
	v_cvt_f32_f16_e32 v23, v4
.LBB252_400:                            ;   in Loop: Header=BB252_281 Depth=1
	s_or_b64 exec, exec, s[22:23]
	v_cmp_gt_i16_sdwa s[14:15], v19, s29 src0_sel:BYTE_0 src1_sel:DWORD
	s_mov_b64 s[2:3], 0
                                        ; implicit-def: $sgpr24
	s_and_saveexec_b64 s[22:23], s[14:15]
	s_xor_b64 s[14:15], exec, s[22:23]
	s_cbranch_execnz .LBB252_530
; %bb.401:                              ;   in Loop: Header=BB252_281 Depth=1
	s_or_saveexec_b64 s[14:15], s[14:15]
	v_mov_b32_e32 v17, s24
	s_xor_b64 exec, exec, s[14:15]
	s_cbranch_execnz .LBB252_533
.LBB252_402:                            ;   in Loop: Header=BB252_281 Depth=1
	s_or_b64 exec, exec, s[14:15]
	v_mov_b32_e32 v4, v19
	s_and_saveexec_b64 s[14:15], s[2:3]
	s_cbranch_execz .LBB252_404
.LBB252_403:                            ;   in Loop: Header=BB252_281 Depth=1
	v_and_b32_e32 v17, 7, v19
	v_ffbh_u32_e32 v17, v17
	v_bfe_u32 v18, v19, 3, 4
	v_min_u32_e32 v17, 32, v17
	v_subrev_u32_e32 v24, 28, v17
	v_sub_u32_e32 v17, 29, v17
	v_cmp_eq_u32_e64 s[2:3], 0, v18
	s_nop 1
	v_cndmask_b32_e64 v17, v18, v17, s[2:3]
	v_cndmask_b32_e64 v18, 0, v24, s[2:3]
	v_lshlrev_b64 v[24:25], v18, v[4:5]
	v_lshlrev_b32_e32 v18, 7, v24
	v_lshlrev_b32_e32 v24, 8, v19
	v_lshl_add_u32 v17, v17, 10, v33
	v_and_or_b32 v17, v24, s31, v17
	v_and_or_b32 v17, v18, s34, v17
	v_cvt_f32_f16_e32 v17, v17
.LBB252_404:                            ;   in Loop: Header=BB252_281 Depth=1
	s_or_b64 exec, exec, s[14:15]
	v_lshrrev_b16_e32 v4, 8, v4
	v_cmp_lt_i16_e64 s[2:3], s29, v4
	s_mov_b64 s[14:15], 0
                                        ; implicit-def: $sgpr38
	s_and_saveexec_b64 s[22:23], s[2:3]
	s_xor_b64 s[22:23], exec, s[22:23]
	s_cbranch_execnz .LBB252_534
; %bb.405:                              ;   in Loop: Header=BB252_281 Depth=1
	s_or_saveexec_b64 s[22:23], s[22:23]
	v_mov_b32_e32 v18, s38
	s_xor_b64 exec, exec, s[22:23]
	s_cbranch_execnz .LBB252_537
.LBB252_406:                            ;   in Loop: Header=BB252_281 Depth=1
	s_or_b64 exec, exec, s[22:23]
	s_and_saveexec_b64 s[22:23], s[14:15]
	s_cbranch_execz .LBB252_408
.LBB252_407:                            ;   in Loop: Header=BB252_281 Depth=1
	v_and_b32_e32 v18, 7, v4
	v_ffbh_u32_e32 v24, v18
	v_min_u32_e32 v27, 32, v24
	v_subrev_u32_e32 v24, 28, v27
	v_bfe_u32 v26, v4, 3, 4
	v_lshlrev_b64 v[24:25], v24, v[4:5]
	v_sub_u32_e32 v25, 29, v27
	v_cmp_eq_u32_e64 s[2:3], 0, v26
	v_and_b32_e32 v24, 7, v24
	v_lshlrev_b32_e32 v4, 8, v4
	v_cndmask_b32_e64 v25, v26, v25, s[2:3]
	v_cndmask_b32_e64 v18, v18, v24, s[2:3]
	v_lshl_add_u32 v24, v25, 10, v33
	v_and_or_b32 v4, v4, s31, v24
	v_lshl_or_b32 v4, v18, 7, v4
	v_cvt_f32_f16_e32 v18, v4
.LBB252_408:                            ;   in Loop: Header=BB252_281 Depth=1
	s_or_b64 exec, exec, s[22:23]
	v_lshrrev_b32_e32 v4, 16, v19
	v_cmp_gt_i16_sdwa s[14:15], v4, s29 src0_sel:BYTE_0 src1_sel:DWORD
	s_mov_b64 s[2:3], 0
                                        ; implicit-def: $sgpr24
	s_and_saveexec_b64 s[22:23], s[14:15]
	s_xor_b64 s[14:15], exec, s[22:23]
	s_cbranch_execnz .LBB252_538
; %bb.409:                              ;   in Loop: Header=BB252_281 Depth=1
	s_or_saveexec_b64 s[14:15], s[14:15]
	v_mov_b32_e32 v24, s24
	s_xor_b64 exec, exec, s[14:15]
	s_cbranch_execnz .LBB252_541
.LBB252_410:                            ;   in Loop: Header=BB252_281 Depth=1
	s_or_b64 exec, exec, s[14:15]
	s_and_saveexec_b64 s[14:15], s[2:3]
	s_cbranch_execz .LBB252_412
.LBB252_411:                            ;   in Loop: Header=BB252_281 Depth=1
	v_bfe_u32 v26, v19, 16, 3
	v_ffbh_u32_e32 v24, v26
	v_min_u32_e32 v38, 32, v24
	v_subrev_u32_e32 v24, 28, v38
	v_bfe_u32 v27, v19, 19, 4
	v_lshlrev_b64 v[24:25], v24, v[4:5]
	v_sub_u32_e32 v25, 29, v38
	v_cmp_eq_u32_e64 s[2:3], 0, v27
	v_and_b32_e32 v24, 7, v24
	v_lshlrev_b32_e32 v4, 8, v4
	v_cndmask_b32_e64 v25, v27, v25, s[2:3]
	v_lshl_add_u32 v25, v25, 10, v33
	v_cndmask_b32_e64 v24, v26, v24, s[2:3]
	v_and_or_b32 v4, v4, s31, v25
	v_lshl_or_b32 v4, v24, 7, v4
	v_cvt_f32_f16_e32 v24, v4
.LBB252_412:                            ;   in Loop: Header=BB252_281 Depth=1
	s_or_b64 exec, exec, s[14:15]
	v_lshrrev_b32_e32 v4, 24, v19
	v_cmp_lt_i16_e64 s[2:3], s29, v4
	s_mov_b64 s[14:15], 0
                                        ; implicit-def: $sgpr38
	s_and_saveexec_b64 s[22:23], s[2:3]
	s_xor_b64 s[22:23], exec, s[22:23]
	s_cbranch_execnz .LBB252_542
; %bb.413:                              ;   in Loop: Header=BB252_281 Depth=1
	s_or_saveexec_b64 s[22:23], s[22:23]
	v_mov_b32_e32 v25, s38
	s_xor_b64 exec, exec, s[22:23]
	s_cbranch_execnz .LBB252_545
.LBB252_414:                            ;   in Loop: Header=BB252_281 Depth=1
	s_or_b64 exec, exec, s[22:23]
	s_and_saveexec_b64 s[22:23], s[14:15]
	s_cbranch_execz .LBB252_416
.LBB252_415:                            ;   in Loop: Header=BB252_281 Depth=1
	v_bfe_u32 v25, v19, 24, 3
	v_ffbh_u32_e32 v26, v25
	v_min_u32_e32 v38, 32, v26
	v_subrev_u32_e32 v26, 28, v38
	v_bfe_u32 v19, v19, 27, 4
	v_lshlrev_b64 v[26:27], v26, v[4:5]
	v_sub_u32_e32 v27, 29, v38
	v_cmp_eq_u32_e64 s[2:3], 0, v19
	v_and_b32_e32 v26, 7, v26
	v_lshlrev_b32_e32 v4, 8, v4
	v_cndmask_b32_e64 v19, v19, v27, s[2:3]
	v_lshl_add_u32 v19, v19, 10, v33
	v_cndmask_b32_e64 v25, v25, v26, s[2:3]
	v_and_or_b32 v4, v4, s31, v19
	v_lshl_or_b32 v4, v25, 7, v4
	v_cvt_f32_f16_e32 v25, v4
.LBB252_416:                            ;   in Loop: Header=BB252_281 Depth=1
	s_or_b64 exec, exec, s[22:23]
	s_waitcnt vmcnt(0)
	v_pk_mul_f32 v[22:23], v[16:17], v[22:23] op_sel_hi:[0,1]
	v_pk_mul_f32 v[20:21], v[16:17], v[20:21] op_sel_hi:[0,1]
	v_cvt_f16_f32_e32 v4, v23
	v_cvt_f16_f32_e32 v19, v22
	;; [unrolled: 1-line block ×4, first 2 shown]
	v_fma_mixlo_f16 v18, v16, v18, 0
	v_lshlrev_b32_e32 v18, 16, v18
	v_fma_mixlo_f16 v17, v16, v17, 0
	v_or_b32_sdwa v17, v18, v17 dst_sel:DWORD dst_unused:UNUSED_PAD src0_sel:DWORD src1_sel:WORD_0
	v_fma_mixlo_f16 v18, v16, v24, 0
	v_fma_mixlo_f16 v16, v16, v25, 0
	v_pack_b32_f16 v19, v19, v4
	v_pack_b32_f16 v20, v20, v21
	v_lshlrev_b32_e32 v16, 16, v16
	v_perm_b32 v4, v20, v19, s35
	v_perm_b32 v19, v20, v19, s36
	v_or_b32_sdwa v16, v16, v18 dst_sel:DWORD dst_unused:UNUSED_PAD src0_sel:DWORD src1_sel:WORD_0
	s_and_saveexec_b64 s[2:3], s[0:1]
	s_cbranch_execz .LBB252_279
; %bb.417:                              ;   in Loop: Header=BB252_281 Depth=1
	v_add_u32_e32 v20, 1, v31
	v_lshrrev_b32_e32 v21, 16, v19
	v_cmp_gt_i32_e64 s[0:1], s27, v20
	v_lshrrev_b32_e32 v22, 16, v4
	v_lshrrev_b32_e32 v16, 16, v16
	v_cndmask_b32_e64 v20, 0, v21, s[0:1]
	v_cmp_gt_i32_e64 s[0:1], s33, v31
	v_or_b32_e32 v21, 2, v31
	s_nop 0
	v_cndmask_b32_e64 v19, 0, v19, s[0:1]
	v_perm_b32 v19, v20, v19, s37
	v_or_b32_e32 v20, 3, v31
	v_cmp_gt_i32_e64 s[0:1], s27, v20
	s_nop 1
	v_cndmask_b32_e64 v20, 0, v22, s[0:1]
	v_cmp_gt_i32_e64 s[0:1], s33, v21
	v_or_b32_e32 v21, 4, v31
	v_lshrrev_b32_e32 v22, 16, v17
	v_cndmask_b32_e64 v4, 0, v4, s[0:1]
	v_perm_b32 v4, v20, v4, s37
	v_or_b32_e32 v20, 5, v31
	v_cmp_gt_i32_e64 s[0:1], s27, v20
	s_nop 1
	v_cndmask_b32_e64 v20, 0, v22, s[0:1]
	v_cmp_gt_i32_e64 s[0:1], s33, v21
	v_or_b32_e32 v21, 6, v31
	s_nop 0
	v_cndmask_b32_e64 v17, 0, v17, s[0:1]
	v_perm_b32 v17, v20, v17, s37
	v_or_b32_e32 v20, 7, v31
	v_cmp_gt_i32_e64 s[0:1], s27, v20
	s_nop 1
	v_cndmask_b32_e64 v16, 0, v16, s[0:1]
	v_cmp_gt_i32_e64 s[0:1], s33, v21
	s_nop 1
	v_cndmask_b32_e64 v18, 0, v18, s[0:1]
	v_perm_b32 v16, v16, v18, s37
	s_branch .LBB252_279
.LBB252_418:                            ;   in Loop: Header=BB252_281 Depth=1
	v_cmp_eq_u16_sdwa s[22:23], v22, s30 src0_sel:BYTE_0 src1_sel:DWORD
	s_mov_b64 s[0:1], -1
                                        ; implicit-def: $sgpr14
	s_and_saveexec_b64 s[12:13], s[22:23]
; %bb.419:                              ;   in Loop: Header=BB252_281 Depth=1
	s_mov_b32 s14, 0x7fc02000
	s_xor_b64 s[0:1], exec, -1
; %bb.420:                              ;   in Loop: Header=BB252_281 Depth=1
	s_or_b64 exec, exec, s[12:13]
	s_and_b64 s[0:1], s[0:1], exec
	s_or_saveexec_b64 s[2:3], s[2:3]
	v_mov_b32_e32 v24, s14
	s_xor_b64 exec, exec, s[2:3]
	s_cbranch_execz .LBB252_283
.LBB252_421:                            ;   in Loop: Header=BB252_281 Depth=1
	v_cmp_ne_u16_sdwa s[12:13], v22, v5 src0_sel:BYTE_0 src1_sel:DWORD
	s_andn2_b64 s[0:1], s[0:1], exec
	s_and_b64 s[12:13], s[12:13], exec
	v_mov_b32_e32 v24, 0
	s_or_b64 s[0:1], s[0:1], s[12:13]
	s_or_b64 exec, exec, s[2:3]
	s_and_saveexec_b64 s[2:3], s[0:1]
	s_cbranch_execnz .LBB252_284
	s_branch .LBB252_285
.LBB252_422:                            ;   in Loop: Header=BB252_281 Depth=1
	v_cmp_eq_u16_e64 s[0:1], s30, v4
	s_mov_b64 s[2:3], -1
                                        ; implicit-def: $sgpr22
	s_and_saveexec_b64 s[14:15], s[0:1]
; %bb.423:                              ;   in Loop: Header=BB252_281 Depth=1
	s_mov_b32 s22, 0x7fc02000
	s_xor_b64 s[2:3], exec, -1
; %bb.424:                              ;   in Loop: Header=BB252_281 Depth=1
	s_or_b64 exec, exec, s[14:15]
	s_and_b64 s[2:3], s[2:3], exec
	s_or_saveexec_b64 s[12:13], s[12:13]
	v_mov_b32_e32 v26, s22
	s_xor_b64 exec, exec, s[12:13]
	s_cbranch_execz .LBB252_287
.LBB252_425:                            ;   in Loop: Header=BB252_281 Depth=1
	v_cmp_ne_u16_e64 s[0:1], 0, v4
	s_andn2_b64 s[2:3], s[2:3], exec
	s_and_b64 s[0:1], s[0:1], exec
	v_mov_b32_e32 v26, 0
	s_or_b64 s[2:3], s[2:3], s[0:1]
	s_or_b64 exec, exec, s[12:13]
	s_and_saveexec_b64 s[12:13], s[2:3]
	s_cbranch_execnz .LBB252_288
	s_branch .LBB252_289
.LBB252_426:                            ;   in Loop: Header=BB252_281 Depth=1
	v_cmp_eq_u16_sdwa s[22:23], v4, s30 src0_sel:BYTE_0 src1_sel:DWORD
	s_mov_b64 s[0:1], -1
                                        ; implicit-def: $sgpr14
	s_and_saveexec_b64 s[12:13], s[22:23]
; %bb.427:                              ;   in Loop: Header=BB252_281 Depth=1
	s_mov_b32 s14, 0x7fc02000
	s_xor_b64 s[0:1], exec, -1
; %bb.428:                              ;   in Loop: Header=BB252_281 Depth=1
	s_or_b64 exec, exec, s[12:13]
	s_and_b64 s[0:1], s[0:1], exec
	s_or_saveexec_b64 s[2:3], s[2:3]
	v_mov_b32_e32 v25, s14
	s_xor_b64 exec, exec, s[2:3]
	s_cbranch_execz .LBB252_291
.LBB252_429:                            ;   in Loop: Header=BB252_281 Depth=1
	v_cmp_ne_u16_sdwa s[12:13], v4, v5 src0_sel:BYTE_0 src1_sel:DWORD
	s_andn2_b64 s[0:1], s[0:1], exec
	s_and_b64 s[12:13], s[12:13], exec
	v_mov_b32_e32 v25, 0
	s_or_b64 s[0:1], s[0:1], s[12:13]
	s_or_b64 exec, exec, s[2:3]
	s_and_saveexec_b64 s[2:3], s[0:1]
	s_cbranch_execnz .LBB252_292
	s_branch .LBB252_293
.LBB252_430:                            ;   in Loop: Header=BB252_281 Depth=1
	v_cmp_eq_u16_e64 s[0:1], s30, v4
	s_mov_b64 s[2:3], -1
                                        ; implicit-def: $sgpr22
	s_and_saveexec_b64 s[14:15], s[0:1]
; %bb.431:                              ;   in Loop: Header=BB252_281 Depth=1
	s_mov_b32 s22, 0x7fc02000
	s_xor_b64 s[2:3], exec, -1
; %bb.432:                              ;   in Loop: Header=BB252_281 Depth=1
	s_or_b64 exec, exec, s[14:15]
	s_and_b64 s[2:3], s[2:3], exec
	s_or_saveexec_b64 s[12:13], s[12:13]
	v_mov_b32_e32 v27, s22
	s_xor_b64 exec, exec, s[12:13]
	s_cbranch_execz .LBB252_295
.LBB252_433:                            ;   in Loop: Header=BB252_281 Depth=1
	v_cmp_ne_u16_e64 s[0:1], 0, v4
	s_andn2_b64 s[2:3], s[2:3], exec
	s_and_b64 s[0:1], s[0:1], exec
	v_mov_b32_e32 v27, 0
	s_or_b64 s[2:3], s[2:3], s[0:1]
	s_or_b64 exec, exec, s[12:13]
	s_and_saveexec_b64 s[12:13], s[2:3]
	s_cbranch_execnz .LBB252_296
	s_branch .LBB252_297
.LBB252_434:                            ;   in Loop: Header=BB252_281 Depth=1
	v_cmp_eq_u16_sdwa s[22:23], v23, s30 src0_sel:BYTE_0 src1_sel:DWORD
	s_mov_b64 s[0:1], -1
                                        ; implicit-def: $sgpr14
	s_and_saveexec_b64 s[12:13], s[22:23]
; %bb.435:                              ;   in Loop: Header=BB252_281 Depth=1
	s_mov_b32 s14, 0x7fc02000
	s_xor_b64 s[0:1], exec, -1
; %bb.436:                              ;   in Loop: Header=BB252_281 Depth=1
	s_or_b64 exec, exec, s[12:13]
	s_and_b64 s[0:1], s[0:1], exec
	s_or_saveexec_b64 s[2:3], s[2:3]
	v_mov_b32_e32 v22, s14
	s_xor_b64 exec, exec, s[2:3]
	s_cbranch_execz .LBB252_299
.LBB252_437:                            ;   in Loop: Header=BB252_281 Depth=1
	v_cmp_ne_u16_sdwa s[12:13], v23, v5 src0_sel:BYTE_0 src1_sel:DWORD
	s_andn2_b64 s[0:1], s[0:1], exec
	s_and_b64 s[12:13], s[12:13], exec
	v_mov_b32_e32 v22, 0
	s_or_b64 s[0:1], s[0:1], s[12:13]
	s_or_b64 exec, exec, s[2:3]
	v_mov_b32_e32 v4, v23
	s_and_saveexec_b64 s[2:3], s[0:1]
	s_cbranch_execnz .LBB252_300
	s_branch .LBB252_301
.LBB252_438:                            ;   in Loop: Header=BB252_281 Depth=1
	v_cmp_eq_u16_e64 s[0:1], s30, v4
	s_mov_b64 s[2:3], -1
                                        ; implicit-def: $sgpr22
	s_and_saveexec_b64 s[14:15], s[0:1]
; %bb.439:                              ;   in Loop: Header=BB252_281 Depth=1
	s_mov_b32 s22, 0x7fc02000
	s_xor_b64 s[2:3], exec, -1
; %bb.440:                              ;   in Loop: Header=BB252_281 Depth=1
	s_or_b64 exec, exec, s[14:15]
	s_and_b64 s[2:3], s[2:3], exec
	s_or_saveexec_b64 s[12:13], s[12:13]
	v_mov_b32_e32 v37, s22
	s_xor_b64 exec, exec, s[12:13]
	s_cbranch_execz .LBB252_303
.LBB252_441:                            ;   in Loop: Header=BB252_281 Depth=1
	v_cmp_ne_u16_e64 s[0:1], 0, v4
	s_andn2_b64 s[2:3], s[2:3], exec
	s_and_b64 s[0:1], s[0:1], exec
	v_mov_b32_e32 v37, 0
	s_or_b64 s[2:3], s[2:3], s[0:1]
	s_or_b64 exec, exec, s[12:13]
	s_and_saveexec_b64 s[12:13], s[2:3]
	s_cbranch_execnz .LBB252_304
	s_branch .LBB252_305
.LBB252_442:                            ;   in Loop: Header=BB252_281 Depth=1
	v_cmp_eq_u16_sdwa s[22:23], v4, s30 src0_sel:BYTE_0 src1_sel:DWORD
	s_mov_b64 s[0:1], -1
                                        ; implicit-def: $sgpr14
	s_and_saveexec_b64 s[12:13], s[22:23]
; %bb.443:                              ;   in Loop: Header=BB252_281 Depth=1
	s_mov_b32 s14, 0x7fc02000
	s_xor_b64 s[0:1], exec, -1
; %bb.444:                              ;   in Loop: Header=BB252_281 Depth=1
	s_or_b64 exec, exec, s[12:13]
	s_and_b64 s[0:1], s[0:1], exec
	s_or_saveexec_b64 s[2:3], s[2:3]
	v_mov_b32_e32 v42, s14
	s_xor_b64 exec, exec, s[2:3]
	s_cbranch_execz .LBB252_307
.LBB252_445:                            ;   in Loop: Header=BB252_281 Depth=1
	v_cmp_ne_u16_sdwa s[12:13], v4, v5 src0_sel:BYTE_0 src1_sel:DWORD
	s_andn2_b64 s[0:1], s[0:1], exec
	s_and_b64 s[12:13], s[12:13], exec
	v_mov_b32_e32 v42, 0
	s_or_b64 s[0:1], s[0:1], s[12:13]
	s_or_b64 exec, exec, s[2:3]
	s_and_saveexec_b64 s[2:3], s[0:1]
	s_cbranch_execnz .LBB252_308
	s_branch .LBB252_309
.LBB252_446:                            ;   in Loop: Header=BB252_281 Depth=1
	v_cmp_eq_u16_e64 s[0:1], s30, v4
	s_mov_b64 s[2:3], -1
                                        ; implicit-def: $sgpr22
	s_and_saveexec_b64 s[14:15], s[0:1]
; %bb.447:                              ;   in Loop: Header=BB252_281 Depth=1
	s_mov_b32 s22, 0x7fc02000
	s_xor_b64 s[2:3], exec, -1
; %bb.448:                              ;   in Loop: Header=BB252_281 Depth=1
	s_or_b64 exec, exec, s[14:15]
	s_and_b64 s[2:3], s[2:3], exec
	s_or_saveexec_b64 s[12:13], s[12:13]
	v_mov_b32_e32 v43, s22
	s_xor_b64 exec, exec, s[12:13]
	s_cbranch_execz .LBB252_311
.LBB252_449:                            ;   in Loop: Header=BB252_281 Depth=1
	v_cmp_ne_u16_e64 s[0:1], 0, v4
	s_andn2_b64 s[2:3], s[2:3], exec
	s_and_b64 s[0:1], s[0:1], exec
	v_mov_b32_e32 v43, 0
	s_or_b64 s[2:3], s[2:3], s[0:1]
	s_or_b64 exec, exec, s[12:13]
	s_and_saveexec_b64 s[12:13], s[2:3]
	s_cbranch_execnz .LBB252_312
	s_branch .LBB252_313
.LBB252_450:                            ;   in Loop: Header=BB252_281 Depth=1
	v_cmp_eq_u16_sdwa s[24:25], v22, s30 src0_sel:BYTE_0 src1_sel:DWORD
	s_mov_b64 s[2:3], -1
                                        ; implicit-def: $sgpr22
	s_and_saveexec_b64 s[14:15], s[24:25]
; %bb.451:                              ;   in Loop: Header=BB252_281 Depth=1
	s_mov_b32 s22, 0x7fc02000
	s_xor_b64 s[2:3], exec, -1
; %bb.452:                              ;   in Loop: Header=BB252_281 Depth=1
	s_or_b64 exec, exec, s[14:15]
	s_and_b64 s[2:3], s[2:3], exec
	s_or_saveexec_b64 s[12:13], s[12:13]
	v_mov_b32_e32 v24, s22
	s_xor_b64 exec, exec, s[12:13]
	s_cbranch_execz .LBB252_317
.LBB252_453:                            ;   in Loop: Header=BB252_281 Depth=1
	v_cmp_ne_u16_sdwa s[14:15], v22, v5 src0_sel:BYTE_0 src1_sel:DWORD
	s_andn2_b64 s[2:3], s[2:3], exec
	s_and_b64 s[14:15], s[14:15], exec
	v_mov_b32_e32 v24, 0
	s_or_b64 s[2:3], s[2:3], s[14:15]
	s_or_b64 exec, exec, s[12:13]
	s_and_saveexec_b64 s[12:13], s[2:3]
	s_cbranch_execnz .LBB252_318
	s_branch .LBB252_319
.LBB252_454:                            ;   in Loop: Header=BB252_281 Depth=1
	v_cmp_eq_u16_e64 s[2:3], s30, v4
	s_mov_b64 s[12:13], -1
                                        ; implicit-def: $sgpr24
	s_and_saveexec_b64 s[22:23], s[2:3]
; %bb.455:                              ;   in Loop: Header=BB252_281 Depth=1
	s_mov_b32 s24, 0x7fc02000
	s_xor_b64 s[12:13], exec, -1
; %bb.456:                              ;   in Loop: Header=BB252_281 Depth=1
	s_or_b64 exec, exec, s[22:23]
	s_and_b64 s[12:13], s[12:13], exec
	s_or_saveexec_b64 s[14:15], s[14:15]
	v_mov_b32_e32 v26, s24
	s_xor_b64 exec, exec, s[14:15]
	s_cbranch_execz .LBB252_321
.LBB252_457:                            ;   in Loop: Header=BB252_281 Depth=1
	v_cmp_ne_u16_e64 s[2:3], 0, v4
	s_andn2_b64 s[12:13], s[12:13], exec
	s_and_b64 s[2:3], s[2:3], exec
	v_mov_b32_e32 v26, 0
	s_or_b64 s[12:13], s[12:13], s[2:3]
	s_or_b64 exec, exec, s[14:15]
	s_and_saveexec_b64 s[14:15], s[12:13]
	s_cbranch_execnz .LBB252_322
	s_branch .LBB252_323
.LBB252_458:                            ;   in Loop: Header=BB252_281 Depth=1
	v_cmp_eq_u16_sdwa s[24:25], v4, s30 src0_sel:BYTE_0 src1_sel:DWORD
	s_mov_b64 s[2:3], -1
                                        ; implicit-def: $sgpr22
	s_and_saveexec_b64 s[14:15], s[24:25]
; %bb.459:                              ;   in Loop: Header=BB252_281 Depth=1
	s_mov_b32 s22, 0x7fc02000
	s_xor_b64 s[2:3], exec, -1
; %bb.460:                              ;   in Loop: Header=BB252_281 Depth=1
	s_or_b64 exec, exec, s[14:15]
	s_and_b64 s[2:3], s[2:3], exec
	s_or_saveexec_b64 s[12:13], s[12:13]
	v_mov_b32_e32 v25, s22
	s_xor_b64 exec, exec, s[12:13]
	s_cbranch_execz .LBB252_325
.LBB252_461:                            ;   in Loop: Header=BB252_281 Depth=1
	v_cmp_ne_u16_sdwa s[14:15], v4, v5 src0_sel:BYTE_0 src1_sel:DWORD
	s_andn2_b64 s[2:3], s[2:3], exec
	s_and_b64 s[14:15], s[14:15], exec
	v_mov_b32_e32 v25, 0
	s_or_b64 s[2:3], s[2:3], s[14:15]
	s_or_b64 exec, exec, s[12:13]
	s_and_saveexec_b64 s[12:13], s[2:3]
	s_cbranch_execnz .LBB252_326
	s_branch .LBB252_327
.LBB252_462:                            ;   in Loop: Header=BB252_281 Depth=1
	v_cmp_eq_u16_e64 s[2:3], s30, v4
	s_mov_b64 s[12:13], -1
                                        ; implicit-def: $sgpr24
	s_and_saveexec_b64 s[22:23], s[2:3]
; %bb.463:                              ;   in Loop: Header=BB252_281 Depth=1
	s_mov_b32 s24, 0x7fc02000
	s_xor_b64 s[12:13], exec, -1
; %bb.464:                              ;   in Loop: Header=BB252_281 Depth=1
	s_or_b64 exec, exec, s[22:23]
	s_and_b64 s[12:13], s[12:13], exec
	s_or_saveexec_b64 s[14:15], s[14:15]
	v_mov_b32_e32 v27, s24
	s_xor_b64 exec, exec, s[14:15]
	s_cbranch_execz .LBB252_329
.LBB252_465:                            ;   in Loop: Header=BB252_281 Depth=1
	v_cmp_ne_u16_e64 s[2:3], 0, v4
	s_andn2_b64 s[12:13], s[12:13], exec
	s_and_b64 s[2:3], s[2:3], exec
	v_mov_b32_e32 v27, 0
	s_or_b64 s[12:13], s[12:13], s[2:3]
	s_or_b64 exec, exec, s[14:15]
	s_and_saveexec_b64 s[14:15], s[12:13]
	s_cbranch_execnz .LBB252_330
	s_branch .LBB252_331
.LBB252_466:                            ;   in Loop: Header=BB252_281 Depth=1
	v_cmp_eq_u16_sdwa s[24:25], v23, s30 src0_sel:BYTE_0 src1_sel:DWORD
	s_mov_b64 s[2:3], -1
                                        ; implicit-def: $sgpr22
	s_and_saveexec_b64 s[14:15], s[24:25]
; %bb.467:                              ;   in Loop: Header=BB252_281 Depth=1
	s_mov_b32 s22, 0x7fc02000
	s_xor_b64 s[2:3], exec, -1
; %bb.468:                              ;   in Loop: Header=BB252_281 Depth=1
	s_or_b64 exec, exec, s[14:15]
	s_and_b64 s[2:3], s[2:3], exec
	s_or_saveexec_b64 s[12:13], s[12:13]
	v_mov_b32_e32 v22, s22
	s_xor_b64 exec, exec, s[12:13]
	s_cbranch_execz .LBB252_333
.LBB252_469:                            ;   in Loop: Header=BB252_281 Depth=1
	v_cmp_ne_u16_sdwa s[14:15], v23, v5 src0_sel:BYTE_0 src1_sel:DWORD
	s_andn2_b64 s[2:3], s[2:3], exec
	s_and_b64 s[14:15], s[14:15], exec
	v_mov_b32_e32 v22, 0
	s_or_b64 s[2:3], s[2:3], s[14:15]
	s_or_b64 exec, exec, s[12:13]
	v_mov_b32_e32 v4, v23
	s_and_saveexec_b64 s[12:13], s[2:3]
	s_cbranch_execnz .LBB252_334
	s_branch .LBB252_335
.LBB252_470:                            ;   in Loop: Header=BB252_281 Depth=1
	v_cmp_eq_u16_e64 s[2:3], s30, v4
	s_mov_b64 s[12:13], -1
                                        ; implicit-def: $sgpr24
	s_and_saveexec_b64 s[22:23], s[2:3]
; %bb.471:                              ;   in Loop: Header=BB252_281 Depth=1
	s_mov_b32 s24, 0x7fc02000
	s_xor_b64 s[12:13], exec, -1
; %bb.472:                              ;   in Loop: Header=BB252_281 Depth=1
	s_or_b64 exec, exec, s[22:23]
	s_and_b64 s[12:13], s[12:13], exec
	s_or_saveexec_b64 s[14:15], s[14:15]
	v_mov_b32_e32 v39, s24
	s_xor_b64 exec, exec, s[14:15]
	s_cbranch_execz .LBB252_337
.LBB252_473:                            ;   in Loop: Header=BB252_281 Depth=1
	v_cmp_ne_u16_e64 s[2:3], 0, v4
	s_andn2_b64 s[12:13], s[12:13], exec
	s_and_b64 s[2:3], s[2:3], exec
	v_mov_b32_e32 v39, 0
	s_or_b64 s[12:13], s[12:13], s[2:3]
	s_or_b64 exec, exec, s[14:15]
	s_and_saveexec_b64 s[14:15], s[12:13]
	s_cbranch_execnz .LBB252_338
	s_branch .LBB252_339
.LBB252_474:                            ;   in Loop: Header=BB252_281 Depth=1
	v_cmp_eq_u16_sdwa s[24:25], v4, s30 src0_sel:BYTE_0 src1_sel:DWORD
	s_mov_b64 s[2:3], -1
                                        ; implicit-def: $sgpr22
	s_and_saveexec_b64 s[14:15], s[24:25]
; %bb.475:                              ;   in Loop: Header=BB252_281 Depth=1
	s_mov_b32 s22, 0x7fc02000
	s_xor_b64 s[2:3], exec, -1
; %bb.476:                              ;   in Loop: Header=BB252_281 Depth=1
	s_or_b64 exec, exec, s[14:15]
	s_and_b64 s[2:3], s[2:3], exec
	s_or_saveexec_b64 s[12:13], s[12:13]
	v_mov_b32_e32 v40, s22
	s_xor_b64 exec, exec, s[12:13]
	s_cbranch_execz .LBB252_341
.LBB252_477:                            ;   in Loop: Header=BB252_281 Depth=1
	v_cmp_ne_u16_sdwa s[14:15], v4, v5 src0_sel:BYTE_0 src1_sel:DWORD
	s_andn2_b64 s[2:3], s[2:3], exec
	s_and_b64 s[14:15], s[14:15], exec
	v_mov_b32_e32 v40, 0
	s_or_b64 s[2:3], s[2:3], s[14:15]
	s_or_b64 exec, exec, s[12:13]
	s_and_saveexec_b64 s[12:13], s[2:3]
	s_cbranch_execnz .LBB252_342
	s_branch .LBB252_343
.LBB252_478:                            ;   in Loop: Header=BB252_281 Depth=1
	v_cmp_eq_u16_e64 s[2:3], s30, v4
	s_mov_b64 s[12:13], -1
                                        ; implicit-def: $sgpr24
	s_and_saveexec_b64 s[22:23], s[2:3]
; %bb.479:                              ;   in Loop: Header=BB252_281 Depth=1
	s_mov_b32 s24, 0x7fc02000
	s_xor_b64 s[12:13], exec, -1
; %bb.480:                              ;   in Loop: Header=BB252_281 Depth=1
	s_or_b64 exec, exec, s[22:23]
	s_and_b64 s[12:13], s[12:13], exec
	s_or_saveexec_b64 s[14:15], s[14:15]
	v_mov_b32_e32 v41, s24
	s_xor_b64 exec, exec, s[14:15]
	s_cbranch_execz .LBB252_345
.LBB252_481:                            ;   in Loop: Header=BB252_281 Depth=1
	v_cmp_ne_u16_e64 s[2:3], 0, v4
	s_andn2_b64 s[12:13], s[12:13], exec
	s_and_b64 s[2:3], s[2:3], exec
	v_mov_b32_e32 v41, 0
	s_or_b64 s[12:13], s[12:13], s[2:3]
	s_or_b64 exec, exec, s[14:15]
	s_and_saveexec_b64 s[14:15], s[12:13]
	s_cbranch_execnz .LBB252_346
	s_branch .LBB252_347
.LBB252_482:                            ;   in Loop: Header=BB252_281 Depth=1
	v_cmp_eq_u16_sdwa s[24:25], v22, s30 src0_sel:BYTE_0 src1_sel:DWORD
	s_mov_b64 s[2:3], -1
                                        ; implicit-def: $sgpr22
	s_and_saveexec_b64 s[14:15], s[24:25]
; %bb.483:                              ;   in Loop: Header=BB252_281 Depth=1
	s_mov_b32 s22, 0x7fc02000
	s_xor_b64 s[2:3], exec, -1
; %bb.484:                              ;   in Loop: Header=BB252_281 Depth=1
	s_or_b64 exec, exec, s[14:15]
	s_and_b64 s[2:3], s[2:3], exec
	s_or_saveexec_b64 s[12:13], s[12:13]
	v_mov_b32_e32 v18, s22
	s_xor_b64 exec, exec, s[12:13]
	s_cbranch_execz .LBB252_351
.LBB252_485:                            ;   in Loop: Header=BB252_281 Depth=1
	v_cmp_ne_u16_sdwa s[14:15], v22, v5 src0_sel:BYTE_0 src1_sel:DWORD
	s_andn2_b64 s[2:3], s[2:3], exec
	s_and_b64 s[14:15], s[14:15], exec
	v_mov_b32_e32 v18, 0
	s_or_b64 s[2:3], s[2:3], s[14:15]
	s_or_b64 exec, exec, s[12:13]
	s_and_saveexec_b64 s[12:13], s[2:3]
	s_cbranch_execnz .LBB252_352
	s_branch .LBB252_353
.LBB252_486:                            ;   in Loop: Header=BB252_281 Depth=1
	v_cmp_eq_u16_e64 s[2:3], s30, v4
	s_mov_b64 s[12:13], -1
                                        ; implicit-def: $sgpr24
	s_and_saveexec_b64 s[22:23], s[2:3]
; %bb.487:                              ;   in Loop: Header=BB252_281 Depth=1
	s_mov_b32 s24, 0x7fc02000
	s_xor_b64 s[12:13], exec, -1
; %bb.488:                              ;   in Loop: Header=BB252_281 Depth=1
	s_or_b64 exec, exec, s[22:23]
	s_and_b64 s[12:13], s[12:13], exec
	s_or_saveexec_b64 s[14:15], s[14:15]
	v_mov_b32_e32 v24, s24
	s_xor_b64 exec, exec, s[14:15]
	s_cbranch_execz .LBB252_355
.LBB252_489:                            ;   in Loop: Header=BB252_281 Depth=1
	v_cmp_ne_u16_e64 s[2:3], 0, v4
	s_andn2_b64 s[12:13], s[12:13], exec
	s_and_b64 s[2:3], s[2:3], exec
	v_mov_b32_e32 v24, 0
	s_or_b64 s[12:13], s[12:13], s[2:3]
	s_or_b64 exec, exec, s[14:15]
	s_and_saveexec_b64 s[14:15], s[12:13]
	s_cbranch_execnz .LBB252_356
	s_branch .LBB252_357
.LBB252_490:                            ;   in Loop: Header=BB252_281 Depth=1
	v_cmp_eq_u16_sdwa s[24:25], v4, s30 src0_sel:BYTE_0 src1_sel:DWORD
	s_mov_b64 s[2:3], -1
                                        ; implicit-def: $sgpr22
	s_and_saveexec_b64 s[14:15], s[24:25]
; %bb.491:                              ;   in Loop: Header=BB252_281 Depth=1
	s_mov_b32 s22, 0x7fc02000
	s_xor_b64 s[2:3], exec, -1
; %bb.492:                              ;   in Loop: Header=BB252_281 Depth=1
	s_or_b64 exec, exec, s[14:15]
	s_and_b64 s[2:3], s[2:3], exec
	s_or_saveexec_b64 s[12:13], s[12:13]
	v_mov_b32_e32 v19, s22
	s_xor_b64 exec, exec, s[12:13]
	s_cbranch_execz .LBB252_359
.LBB252_493:                            ;   in Loop: Header=BB252_281 Depth=1
	v_cmp_ne_u16_sdwa s[14:15], v4, v5 src0_sel:BYTE_0 src1_sel:DWORD
	s_andn2_b64 s[2:3], s[2:3], exec
	s_and_b64 s[14:15], s[14:15], exec
	v_mov_b32_e32 v19, 0
	s_or_b64 s[2:3], s[2:3], s[14:15]
	s_or_b64 exec, exec, s[12:13]
	s_and_saveexec_b64 s[12:13], s[2:3]
	s_cbranch_execnz .LBB252_360
	s_branch .LBB252_361
.LBB252_494:                            ;   in Loop: Header=BB252_281 Depth=1
	v_cmp_eq_u16_e64 s[2:3], s30, v4
	s_mov_b64 s[12:13], -1
                                        ; implicit-def: $sgpr24
	s_and_saveexec_b64 s[22:23], s[2:3]
; %bb.495:                              ;   in Loop: Header=BB252_281 Depth=1
	s_mov_b32 s24, 0x7fc02000
	s_xor_b64 s[12:13], exec, -1
; %bb.496:                              ;   in Loop: Header=BB252_281 Depth=1
	s_or_b64 exec, exec, s[22:23]
	s_and_b64 s[12:13], s[12:13], exec
	s_or_saveexec_b64 s[14:15], s[14:15]
	v_mov_b32_e32 v25, s24
	s_xor_b64 exec, exec, s[14:15]
	s_cbranch_execz .LBB252_363
.LBB252_497:                            ;   in Loop: Header=BB252_281 Depth=1
	v_cmp_ne_u16_e64 s[2:3], 0, v4
	s_andn2_b64 s[12:13], s[12:13], exec
	s_and_b64 s[2:3], s[2:3], exec
	v_mov_b32_e32 v25, 0
	s_or_b64 s[12:13], s[12:13], s[2:3]
	s_or_b64 exec, exec, s[14:15]
	s_and_saveexec_b64 s[14:15], s[12:13]
	s_cbranch_execnz .LBB252_364
	s_branch .LBB252_365
.LBB252_498:                            ;   in Loop: Header=BB252_281 Depth=1
	v_cmp_eq_u16_sdwa s[24:25], v23, s30 src0_sel:BYTE_0 src1_sel:DWORD
	s_mov_b64 s[2:3], -1
                                        ; implicit-def: $sgpr22
	s_and_saveexec_b64 s[14:15], s[24:25]
; %bb.499:                              ;   in Loop: Header=BB252_281 Depth=1
	s_mov_b32 s22, 0x7fc02000
	s_xor_b64 s[2:3], exec, -1
; %bb.500:                              ;   in Loop: Header=BB252_281 Depth=1
	s_or_b64 exec, exec, s[14:15]
	s_and_b64 s[2:3], s[2:3], exec
	s_or_saveexec_b64 s[12:13], s[12:13]
	v_mov_b32_e32 v22, s22
	s_xor_b64 exec, exec, s[12:13]
	s_cbranch_execz .LBB252_367
.LBB252_501:                            ;   in Loop: Header=BB252_281 Depth=1
	v_cmp_ne_u16_sdwa s[14:15], v23, v5 src0_sel:BYTE_0 src1_sel:DWORD
	s_andn2_b64 s[2:3], s[2:3], exec
	s_and_b64 s[14:15], s[14:15], exec
	v_mov_b32_e32 v22, 0
	s_or_b64 s[2:3], s[2:3], s[14:15]
	s_or_b64 exec, exec, s[12:13]
	v_mov_b32_e32 v4, v23
	s_and_saveexec_b64 s[12:13], s[2:3]
	s_cbranch_execnz .LBB252_368
	s_branch .LBB252_369
.LBB252_502:                            ;   in Loop: Header=BB252_281 Depth=1
	v_cmp_eq_u16_e64 s[2:3], s30, v4
	s_mov_b64 s[12:13], -1
                                        ; implicit-def: $sgpr24
	s_and_saveexec_b64 s[22:23], s[2:3]
; %bb.503:                              ;   in Loop: Header=BB252_281 Depth=1
	s_mov_b32 s24, 0x7fc02000
	s_xor_b64 s[12:13], exec, -1
; %bb.504:                              ;   in Loop: Header=BB252_281 Depth=1
	s_or_b64 exec, exec, s[22:23]
	s_and_b64 s[12:13], s[12:13], exec
	s_or_saveexec_b64 s[14:15], s[14:15]
	v_mov_b32_e32 v39, s24
	s_xor_b64 exec, exec, s[14:15]
	s_cbranch_execz .LBB252_371
.LBB252_505:                            ;   in Loop: Header=BB252_281 Depth=1
	v_cmp_ne_u16_e64 s[2:3], 0, v4
	s_andn2_b64 s[12:13], s[12:13], exec
	s_and_b64 s[2:3], s[2:3], exec
	v_mov_b32_e32 v39, 0
	s_or_b64 s[12:13], s[12:13], s[2:3]
	s_or_b64 exec, exec, s[14:15]
	s_and_saveexec_b64 s[14:15], s[12:13]
	s_cbranch_execnz .LBB252_372
	s_branch .LBB252_373
.LBB252_506:                            ;   in Loop: Header=BB252_281 Depth=1
	v_cmp_eq_u16_sdwa s[24:25], v4, s30 src0_sel:BYTE_0 src1_sel:DWORD
	s_mov_b64 s[2:3], -1
                                        ; implicit-def: $sgpr22
	s_and_saveexec_b64 s[14:15], s[24:25]
; %bb.507:                              ;   in Loop: Header=BB252_281 Depth=1
	s_mov_b32 s22, 0x7fc02000
	s_xor_b64 s[2:3], exec, -1
; %bb.508:                              ;   in Loop: Header=BB252_281 Depth=1
	s_or_b64 exec, exec, s[14:15]
	s_and_b64 s[2:3], s[2:3], exec
	s_or_saveexec_b64 s[12:13], s[12:13]
	v_mov_b32_e32 v40, s22
	s_xor_b64 exec, exec, s[12:13]
	s_cbranch_execz .LBB252_375
.LBB252_509:                            ;   in Loop: Header=BB252_281 Depth=1
	v_cmp_ne_u16_sdwa s[14:15], v4, v5 src0_sel:BYTE_0 src1_sel:DWORD
	s_andn2_b64 s[2:3], s[2:3], exec
	s_and_b64 s[14:15], s[14:15], exec
	v_mov_b32_e32 v40, 0
	s_or_b64 s[2:3], s[2:3], s[14:15]
	s_or_b64 exec, exec, s[12:13]
	s_and_saveexec_b64 s[12:13], s[2:3]
	s_cbranch_execnz .LBB252_376
	s_branch .LBB252_377
.LBB252_510:                            ;   in Loop: Header=BB252_281 Depth=1
	v_cmp_eq_u16_e64 s[2:3], s30, v4
	s_mov_b64 s[12:13], -1
                                        ; implicit-def: $sgpr24
	s_and_saveexec_b64 s[22:23], s[2:3]
; %bb.511:                              ;   in Loop: Header=BB252_281 Depth=1
	s_mov_b32 s24, 0x7fc02000
	s_xor_b64 s[12:13], exec, -1
; %bb.512:                              ;   in Loop: Header=BB252_281 Depth=1
	s_or_b64 exec, exec, s[22:23]
	s_and_b64 s[12:13], s[12:13], exec
	s_or_saveexec_b64 s[14:15], s[14:15]
	v_mov_b32_e32 v41, s24
	s_xor_b64 exec, exec, s[14:15]
	s_cbranch_execz .LBB252_379
.LBB252_513:                            ;   in Loop: Header=BB252_281 Depth=1
	v_cmp_ne_u16_e64 s[2:3], 0, v4
	s_andn2_b64 s[12:13], s[12:13], exec
	s_and_b64 s[2:3], s[2:3], exec
	v_mov_b32_e32 v41, 0
	s_or_b64 s[12:13], s[12:13], s[2:3]
	s_or_b64 exec, exec, s[14:15]
	s_and_saveexec_b64 s[14:15], s[12:13]
	s_cbranch_execnz .LBB252_380
	s_branch .LBB252_381
.LBB252_514:                            ;   in Loop: Header=BB252_281 Depth=1
	v_cmp_eq_u16_sdwa s[38:39], v18, s30 src0_sel:BYTE_0 src1_sel:DWORD
	s_mov_b64 s[2:3], -1
                                        ; implicit-def: $sgpr24
	s_and_saveexec_b64 s[22:23], s[38:39]
; %bb.515:                              ;   in Loop: Header=BB252_281 Depth=1
	s_mov_b32 s24, 0x7fc02000
	s_xor_b64 s[2:3], exec, -1
; %bb.516:                              ;   in Loop: Header=BB252_281 Depth=1
	s_or_b64 exec, exec, s[22:23]
	s_and_b64 s[2:3], s[2:3], exec
	s_or_saveexec_b64 s[14:15], s[14:15]
	v_mov_b32_e32 v20, s24
	s_xor_b64 exec, exec, s[14:15]
	s_cbranch_execz .LBB252_386
.LBB252_517:                            ;   in Loop: Header=BB252_281 Depth=1
	v_cmp_ne_u16_sdwa s[22:23], v18, v5 src0_sel:BYTE_0 src1_sel:DWORD
	s_andn2_b64 s[2:3], s[2:3], exec
	s_and_b64 s[22:23], s[22:23], exec
	v_mov_b32_e32 v20, 0
	s_or_b64 s[2:3], s[2:3], s[22:23]
	s_or_b64 exec, exec, s[14:15]
	s_and_saveexec_b64 s[14:15], s[2:3]
	s_cbranch_execnz .LBB252_387
	s_branch .LBB252_388
.LBB252_518:                            ;   in Loop: Header=BB252_281 Depth=1
	v_cmp_eq_u16_e64 s[2:3], s30, v4
	s_mov_b64 s[14:15], -1
                                        ; implicit-def: $sgpr38
	s_and_saveexec_b64 s[24:25], s[2:3]
; %bb.519:                              ;   in Loop: Header=BB252_281 Depth=1
	s_mov_b32 s38, 0x7fc02000
	s_xor_b64 s[14:15], exec, -1
; %bb.520:                              ;   in Loop: Header=BB252_281 Depth=1
	s_or_b64 exec, exec, s[24:25]
	s_and_b64 s[14:15], s[14:15], exec
	s_or_saveexec_b64 s[22:23], s[22:23]
	v_mov_b32_e32 v22, s38
	s_xor_b64 exec, exec, s[22:23]
	s_cbranch_execz .LBB252_390
.LBB252_521:                            ;   in Loop: Header=BB252_281 Depth=1
	v_cmp_ne_u16_e64 s[2:3], 0, v4
	s_andn2_b64 s[14:15], s[14:15], exec
	s_and_b64 s[2:3], s[2:3], exec
	v_mov_b32_e32 v22, 0
	s_or_b64 s[14:15], s[14:15], s[2:3]
	s_or_b64 exec, exec, s[22:23]
	s_and_saveexec_b64 s[22:23], s[14:15]
	s_cbranch_execnz .LBB252_391
	s_branch .LBB252_392
.LBB252_522:                            ;   in Loop: Header=BB252_281 Depth=1
	v_cmp_eq_u16_sdwa s[38:39], v4, s30 src0_sel:BYTE_0 src1_sel:DWORD
	s_mov_b64 s[2:3], -1
                                        ; implicit-def: $sgpr24
	s_and_saveexec_b64 s[22:23], s[38:39]
; %bb.523:                              ;   in Loop: Header=BB252_281 Depth=1
	s_mov_b32 s24, 0x7fc02000
	s_xor_b64 s[2:3], exec, -1
; %bb.524:                              ;   in Loop: Header=BB252_281 Depth=1
	s_or_b64 exec, exec, s[22:23]
	s_and_b64 s[2:3], s[2:3], exec
	s_or_saveexec_b64 s[14:15], s[14:15]
	v_mov_b32_e32 v21, s24
	s_xor_b64 exec, exec, s[14:15]
	s_cbranch_execz .LBB252_394
.LBB252_525:                            ;   in Loop: Header=BB252_281 Depth=1
	v_cmp_ne_u16_sdwa s[22:23], v4, v5 src0_sel:BYTE_0 src1_sel:DWORD
	s_andn2_b64 s[2:3], s[2:3], exec
	s_and_b64 s[22:23], s[22:23], exec
	v_mov_b32_e32 v21, 0
	s_or_b64 s[2:3], s[2:3], s[22:23]
	s_or_b64 exec, exec, s[14:15]
	s_and_saveexec_b64 s[14:15], s[2:3]
	s_cbranch_execnz .LBB252_395
	s_branch .LBB252_396
.LBB252_526:                            ;   in Loop: Header=BB252_281 Depth=1
	v_cmp_eq_u16_e64 s[2:3], s30, v4
	s_mov_b64 s[14:15], -1
                                        ; implicit-def: $sgpr38
	s_and_saveexec_b64 s[24:25], s[2:3]
; %bb.527:                              ;   in Loop: Header=BB252_281 Depth=1
	s_mov_b32 s38, 0x7fc02000
	s_xor_b64 s[14:15], exec, -1
; %bb.528:                              ;   in Loop: Header=BB252_281 Depth=1
	s_or_b64 exec, exec, s[24:25]
	s_and_b64 s[14:15], s[14:15], exec
	s_or_saveexec_b64 s[22:23], s[22:23]
	v_mov_b32_e32 v23, s38
	s_xor_b64 exec, exec, s[22:23]
	s_cbranch_execz .LBB252_398
.LBB252_529:                            ;   in Loop: Header=BB252_281 Depth=1
	v_cmp_ne_u16_e64 s[2:3], 0, v4
	s_andn2_b64 s[14:15], s[14:15], exec
	s_and_b64 s[2:3], s[2:3], exec
	v_mov_b32_e32 v23, 0
	s_or_b64 s[14:15], s[14:15], s[2:3]
	s_or_b64 exec, exec, s[22:23]
	s_and_saveexec_b64 s[22:23], s[14:15]
	s_cbranch_execnz .LBB252_399
	s_branch .LBB252_400
.LBB252_530:                            ;   in Loop: Header=BB252_281 Depth=1
	v_cmp_eq_u16_sdwa s[38:39], v19, s30 src0_sel:BYTE_0 src1_sel:DWORD
	s_mov_b64 s[2:3], -1
                                        ; implicit-def: $sgpr24
	s_and_saveexec_b64 s[22:23], s[38:39]
; %bb.531:                              ;   in Loop: Header=BB252_281 Depth=1
	s_mov_b32 s24, 0x7fc02000
	s_xor_b64 s[2:3], exec, -1
; %bb.532:                              ;   in Loop: Header=BB252_281 Depth=1
	s_or_b64 exec, exec, s[22:23]
	s_and_b64 s[2:3], s[2:3], exec
	s_or_saveexec_b64 s[14:15], s[14:15]
	v_mov_b32_e32 v17, s24
	s_xor_b64 exec, exec, s[14:15]
	s_cbranch_execz .LBB252_402
.LBB252_533:                            ;   in Loop: Header=BB252_281 Depth=1
	v_cmp_ne_u16_sdwa s[22:23], v19, v5 src0_sel:BYTE_0 src1_sel:DWORD
	s_andn2_b64 s[2:3], s[2:3], exec
	s_and_b64 s[22:23], s[22:23], exec
	v_mov_b32_e32 v17, 0
	s_or_b64 s[2:3], s[2:3], s[22:23]
	s_or_b64 exec, exec, s[14:15]
	v_mov_b32_e32 v4, v19
	s_and_saveexec_b64 s[14:15], s[2:3]
	s_cbranch_execnz .LBB252_403
	s_branch .LBB252_404
.LBB252_534:                            ;   in Loop: Header=BB252_281 Depth=1
	v_cmp_eq_u16_e64 s[2:3], s30, v4
	s_mov_b64 s[14:15], -1
                                        ; implicit-def: $sgpr38
	s_and_saveexec_b64 s[24:25], s[2:3]
; %bb.535:                              ;   in Loop: Header=BB252_281 Depth=1
	s_mov_b32 s38, 0x7fc02000
	s_xor_b64 s[14:15], exec, -1
; %bb.536:                              ;   in Loop: Header=BB252_281 Depth=1
	s_or_b64 exec, exec, s[24:25]
	s_and_b64 s[14:15], s[14:15], exec
	s_or_saveexec_b64 s[22:23], s[22:23]
	v_mov_b32_e32 v18, s38
	s_xor_b64 exec, exec, s[22:23]
	s_cbranch_execz .LBB252_406
.LBB252_537:                            ;   in Loop: Header=BB252_281 Depth=1
	v_cmp_ne_u16_e64 s[2:3], 0, v4
	s_andn2_b64 s[14:15], s[14:15], exec
	s_and_b64 s[2:3], s[2:3], exec
	v_mov_b32_e32 v18, 0
	s_or_b64 s[14:15], s[14:15], s[2:3]
	s_or_b64 exec, exec, s[22:23]
	s_and_saveexec_b64 s[22:23], s[14:15]
	s_cbranch_execnz .LBB252_407
	s_branch .LBB252_408
.LBB252_538:                            ;   in Loop: Header=BB252_281 Depth=1
	v_cmp_eq_u16_sdwa s[38:39], v4, s30 src0_sel:BYTE_0 src1_sel:DWORD
	s_mov_b64 s[2:3], -1
                                        ; implicit-def: $sgpr24
	s_and_saveexec_b64 s[22:23], s[38:39]
; %bb.539:                              ;   in Loop: Header=BB252_281 Depth=1
	s_mov_b32 s24, 0x7fc02000
	s_xor_b64 s[2:3], exec, -1
; %bb.540:                              ;   in Loop: Header=BB252_281 Depth=1
	s_or_b64 exec, exec, s[22:23]
	s_and_b64 s[2:3], s[2:3], exec
	s_or_saveexec_b64 s[14:15], s[14:15]
	v_mov_b32_e32 v24, s24
	s_xor_b64 exec, exec, s[14:15]
	s_cbranch_execz .LBB252_410
.LBB252_541:                            ;   in Loop: Header=BB252_281 Depth=1
	v_cmp_ne_u16_sdwa s[22:23], v4, v5 src0_sel:BYTE_0 src1_sel:DWORD
	s_andn2_b64 s[2:3], s[2:3], exec
	s_and_b64 s[22:23], s[22:23], exec
	v_mov_b32_e32 v24, 0
	s_or_b64 s[2:3], s[2:3], s[22:23]
	s_or_b64 exec, exec, s[14:15]
	s_and_saveexec_b64 s[14:15], s[2:3]
	s_cbranch_execnz .LBB252_411
	s_branch .LBB252_412
.LBB252_542:                            ;   in Loop: Header=BB252_281 Depth=1
	v_cmp_eq_u16_e64 s[2:3], s30, v4
	s_mov_b64 s[14:15], -1
                                        ; implicit-def: $sgpr38
	s_and_saveexec_b64 s[24:25], s[2:3]
; %bb.543:                              ;   in Loop: Header=BB252_281 Depth=1
	s_mov_b32 s38, 0x7fc02000
	s_xor_b64 s[14:15], exec, -1
; %bb.544:                              ;   in Loop: Header=BB252_281 Depth=1
	s_or_b64 exec, exec, s[24:25]
	s_and_b64 s[14:15], s[14:15], exec
	s_or_saveexec_b64 s[22:23], s[22:23]
	v_mov_b32_e32 v25, s38
	s_xor_b64 exec, exec, s[22:23]
	s_cbranch_execz .LBB252_414
.LBB252_545:                            ;   in Loop: Header=BB252_281 Depth=1
	v_cmp_ne_u16_e64 s[2:3], 0, v4
	s_andn2_b64 s[14:15], s[14:15], exec
	s_and_b64 s[2:3], s[2:3], exec
	v_mov_b32_e32 v25, 0
	s_or_b64 s[14:15], s[14:15], s[2:3]
	s_or_b64 exec, exec, s[22:23]
	s_and_saveexec_b64 s[22:23], s[14:15]
	s_cbranch_execnz .LBB252_415
	s_branch .LBB252_416
.LBB252_546:
	s_or_b64 exec, exec, s[6:7]
.LBB252_547:
	s_or_b64 exec, exec, s[8:9]
	ds_bpermute_b32 v2, v28, v10
	ds_bpermute_b32 v3, v28, v11
	;; [unrolled: 1-line block ×4, first 2 shown]
	v_and_b32_e32 v1, 0x3c0, v0
	v_cmp_eq_u32_e32 vcc, 64, v1
	s_waitcnt lgkmcnt(2)
	v_pk_add_f32 v[4:5], v[10:11], v[2:3]
	s_waitcnt lgkmcnt(0)
	v_pk_add_f32 v[2:3], v[6:7], v[8:9]
	s_barrier
	s_and_saveexec_b64 s[2:3], vcc
	s_cbranch_execz .LBB252_552
; %bb.548:
	v_cmp_eq_u32_e32 vcc, 0, v29
	s_and_saveexec_b64 s[0:1], vcc
	s_cbranch_execz .LBB252_550
; %bb.549:
	v_mov_b32_e32 v1, 0x100
	v_lshl_add_u32 v1, v30, 2, v1
	ds_write2_b32 v1, v4, v5 offset1:32
	ds_write_b32 v1, v2 offset:256
.LBB252_550:
	s_or_b64 exec, exec, s[0:1]
	v_or_b32_e32 v1, 0x60, v30
	s_movk_i32 s0, 0x78
	v_cmp_gt_u32_e64 s[0:1], s0, v1
	s_and_b64 s[0:1], vcc, s[0:1]
	s_and_b64 exec, exec, s[0:1]
	s_cbranch_execz .LBB252_552
; %bb.551:
	v_mov_b32_e32 v1, 0x100
	v_lshl_add_u32 v1, v30, 2, v1
	ds_write_b32 v1, v3 offset:384
.LBB252_552:
	s_or_b64 exec, exec, s[2:3]
	v_cmp_gt_u32_e32 vcc, 64, v0
	v_lshrrev_b32_e32 v0, 1, v0
	s_waitcnt lgkmcnt(0)
	s_barrier
	s_and_saveexec_b64 s[6:7], vcc
	s_cbranch_execz .LBB252_560
; %bb.553:
	v_cmp_eq_u32_e64 s[0:1], 0, v29
	s_and_saveexec_b64 s[2:3], s[0:1]
	s_cbranch_execnz .LBB252_566
; %bb.554:
	s_or_b64 exec, exec, s[2:3]
	s_and_saveexec_b64 s[2:3], s[0:1]
	s_cbranch_execnz .LBB252_567
.LBB252_555:
	s_or_b64 exec, exec, s[2:3]
	s_and_saveexec_b64 s[2:3], s[0:1]
	s_cbranch_execz .LBB252_557
.LBB252_556:
	v_mov_b32_e32 v1, 0x100
	v_lshl_add_u32 v1, v0, 2, v1
	ds_read_b32 v1, v1 offset:256
	s_waitcnt lgkmcnt(0)
	v_add_f32_e32 v2, v2, v1
.LBB252_557:
	s_or_b64 exec, exec, s[2:3]
	v_or_b32_e32 v1, 0x60, v0
	s_movk_i32 s2, 0x78
	v_cmp_gt_u32_e64 s[2:3], s2, v1
	s_and_b64 s[2:3], s[0:1], s[2:3]
	s_and_saveexec_b64 s[0:1], s[2:3]
	s_cbranch_execz .LBB252_559
; %bb.558:
	v_mov_b32_e32 v1, 0x100
	v_lshl_add_u32 v1, v0, 2, v1
	ds_read_b32 v1, v1 offset:384
	s_waitcnt lgkmcnt(0)
	v_add_f32_e32 v3, v3, v1
.LBB252_559:
	s_or_b64 exec, exec, s[0:1]
.LBB252_560:
	s_or_b64 exec, exec, s[6:7]
	s_barrier
	s_and_saveexec_b64 s[0:1], vcc
	s_cbranch_execz .LBB252_565
; %bb.561:
	s_mul_i32 s0, s16, s17
	s_mul_i32 s0, s0, s5
	s_mulk_i32 s0, 0x78
	s_ashr_i32 s1, s0, 31
	s_lshl_b64 s[0:1], s[0:1], 1
	s_add_u32 s2, s20, s0
	s_mul_i32 s0, s17, s18
	s_addc_u32 s3, s21, s1
	s_ashr_i32 s1, s0, 31
	s_lshl_b64 s[0:1], s[0:1], 1
	s_add_u32 s2, s2, s0
	s_mul_i32 s0, s4, 0x78
	s_addc_u32 s3, s3, s1
	s_ashr_i32 s1, s0, 31
	s_lshl_b64 s[0:1], s[0:1], 1
	s_add_u32 s2, s2, s0
	s_movk_i32 s5, 0x78
	s_addc_u32 s3, s3, s1
	v_cmp_eq_u32_e32 vcc, 0, v29
	v_lshlrev_b32_e32 v1, 1, v0
	s_and_saveexec_b64 s[0:1], vcc
	s_cbranch_execz .LBB252_563
; %bb.562:
	;;#ASMSTART
	v_cvt_f16_f32 v4, v4;

	;;#ASMEND
	global_store_short v1, v4, s[2:3]
	;;#ASMSTART
	v_cvt_f16_f32 v4, v5;

	;;#ASMEND
	global_store_short v1, v4, s[2:3] offset:64
	;;#ASMSTART
	v_cvt_f16_f32 v2, v2;

	;;#ASMEND
	global_store_short v1, v2, s[2:3] offset:128
.LBB252_563:
	s_or_b64 exec, exec, s[0:1]
	v_or_b32_e32 v0, 0x60, v0
	v_cmp_gt_u32_e64 s[0:1], s5, v0
	s_and_b64 s[0:1], vcc, s[0:1]
	s_and_b64 exec, exec, s[0:1]
	s_cbranch_execz .LBB252_565
; %bb.564:
	;;#ASMSTART
	v_cvt_f16_f32 v0, v3;

	;;#ASMEND
	global_store_short v1, v0, s[2:3] offset:192
.LBB252_565:
	s_endpgm
.LBB252_566:
	v_mov_b32_e32 v1, 0x100
	v_lshl_add_u32 v1, v0, 2, v1
	ds_read_b32 v1, v1
	s_waitcnt lgkmcnt(0)
	v_add_f32_e32 v4, v4, v1
	s_or_b64 exec, exec, s[2:3]
	s_and_saveexec_b64 s[2:3], s[0:1]
	s_cbranch_execz .LBB252_555
.LBB252_567:
	v_mov_b32_e32 v1, 0x100
	v_lshl_add_u32 v1, v0, 2, v1
	ds_read_b32 v1, v1 offset:128
	s_waitcnt lgkmcnt(0)
	v_add_f32_e32 v5, v5, v1
	s_or_b64 exec, exec, s[2:3]
	s_and_saveexec_b64 s[2:3], s[0:1]
	s_cbranch_execnz .LBB252_556
	s_branch .LBB252_557
	.section	.rodata,"a",@progbits
	.p2align	6, 0x0
	.amdhsa_kernel _ZN4vllm25paged_attention_v1_kernelIthLi120ELi16ELi128ELNS_18Fp8KVCacheDataTypeE1ELb0EEEvPT_PKS2_PKT0_S8_ifPKiSA_iPKfiiiSC_SC_iiiii
		.amdhsa_group_segment_fixed_size 256
		.amdhsa_private_segment_fixed_size 0
		.amdhsa_kernarg_size 384
		.amdhsa_user_sgpr_count 2
		.amdhsa_user_sgpr_dispatch_ptr 0
		.amdhsa_user_sgpr_queue_ptr 0
		.amdhsa_user_sgpr_kernarg_segment_ptr 1
		.amdhsa_user_sgpr_dispatch_id 0
		.amdhsa_user_sgpr_kernarg_preload_length 0
		.amdhsa_user_sgpr_kernarg_preload_offset 0
		.amdhsa_user_sgpr_private_segment_size 0
		.amdhsa_uses_dynamic_stack 0
		.amdhsa_enable_private_segment 0
		.amdhsa_system_sgpr_workgroup_id_x 1
		.amdhsa_system_sgpr_workgroup_id_y 1
		.amdhsa_system_sgpr_workgroup_id_z 1
		.amdhsa_system_sgpr_workgroup_info 0
		.amdhsa_system_vgpr_workitem_id 0
		.amdhsa_next_free_vgpr 64
		.amdhsa_next_free_sgpr 48
		.amdhsa_accum_offset 64
		.amdhsa_reserve_vcc 1
		.amdhsa_float_round_mode_32 0
		.amdhsa_float_round_mode_16_64 0
		.amdhsa_float_denorm_mode_32 3
		.amdhsa_float_denorm_mode_16_64 3
		.amdhsa_dx10_clamp 1
		.amdhsa_ieee_mode 1
		.amdhsa_fp16_overflow 0
		.amdhsa_tg_split 0
		.amdhsa_exception_fp_ieee_invalid_op 0
		.amdhsa_exception_fp_denorm_src 0
		.amdhsa_exception_fp_ieee_div_zero 0
		.amdhsa_exception_fp_ieee_overflow 0
		.amdhsa_exception_fp_ieee_underflow 0
		.amdhsa_exception_fp_ieee_inexact 0
		.amdhsa_exception_int_div_zero 0
	.end_amdhsa_kernel
	.section	.text._ZN4vllm25paged_attention_v1_kernelIthLi120ELi16ELi128ELNS_18Fp8KVCacheDataTypeE1ELb0EEEvPT_PKS2_PKT0_S8_ifPKiSA_iPKfiiiSC_SC_iiiii,"axG",@progbits,_ZN4vllm25paged_attention_v1_kernelIthLi120ELi16ELi128ELNS_18Fp8KVCacheDataTypeE1ELb0EEEvPT_PKS2_PKT0_S8_ifPKiSA_iPKfiiiSC_SC_iiiii,comdat
.Lfunc_end252:
	.size	_ZN4vllm25paged_attention_v1_kernelIthLi120ELi16ELi128ELNS_18Fp8KVCacheDataTypeE1ELb0EEEvPT_PKS2_PKT0_S8_ifPKiSA_iPKfiiiSC_SC_iiiii, .Lfunc_end252-_ZN4vllm25paged_attention_v1_kernelIthLi120ELi16ELi128ELNS_18Fp8KVCacheDataTypeE1ELb0EEEvPT_PKS2_PKT0_S8_ifPKiSA_iPKfiiiSC_SC_iiiii
                                        ; -- End function
	.section	.AMDGPU.csdata,"",@progbits
; Kernel info:
; codeLenInByte = 22860
; NumSgprs: 54
; NumVgprs: 64
; NumAgprs: 0
; TotalNumVgprs: 64
; ScratchSize: 0
; MemoryBound: 0
; FloatMode: 240
; IeeeMode: 1
; LDSByteSize: 256 bytes/workgroup (compile time only)
; SGPRBlocks: 6
; VGPRBlocks: 7
; NumSGPRsForWavesPerEU: 54
; NumVGPRsForWavesPerEU: 64
; AccumOffset: 64
; Occupancy: 8
; WaveLimiterHint : 1
; COMPUTE_PGM_RSRC2:SCRATCH_EN: 0
; COMPUTE_PGM_RSRC2:USER_SGPR: 2
; COMPUTE_PGM_RSRC2:TRAP_HANDLER: 0
; COMPUTE_PGM_RSRC2:TGID_X_EN: 1
; COMPUTE_PGM_RSRC2:TGID_Y_EN: 1
; COMPUTE_PGM_RSRC2:TGID_Z_EN: 1
; COMPUTE_PGM_RSRC2:TIDIG_COMP_CNT: 0
; COMPUTE_PGM_RSRC3_GFX90A:ACCUM_OFFSET: 15
; COMPUTE_PGM_RSRC3_GFX90A:TG_SPLIT: 0
	.section	.text._ZN4vllm25paged_attention_v1_kernelIthLi128ELi16ELi128ELNS_18Fp8KVCacheDataTypeE1ELb0EEEvPT_PKS2_PKT0_S8_ifPKiSA_iPKfiiiSC_SC_iiiii,"axG",@progbits,_ZN4vllm25paged_attention_v1_kernelIthLi128ELi16ELi128ELNS_18Fp8KVCacheDataTypeE1ELb0EEEvPT_PKS2_PKT0_S8_ifPKiSA_iPKfiiiSC_SC_iiiii,comdat
	.protected	_ZN4vllm25paged_attention_v1_kernelIthLi128ELi16ELi128ELNS_18Fp8KVCacheDataTypeE1ELb0EEEvPT_PKS2_PKT0_S8_ifPKiSA_iPKfiiiSC_SC_iiiii ; -- Begin function _ZN4vllm25paged_attention_v1_kernelIthLi128ELi16ELi128ELNS_18Fp8KVCacheDataTypeE1ELb0EEEvPT_PKS2_PKT0_S8_ifPKiSA_iPKfiiiSC_SC_iiiii
	.globl	_ZN4vllm25paged_attention_v1_kernelIthLi128ELi16ELi128ELNS_18Fp8KVCacheDataTypeE1ELb0EEEvPT_PKS2_PKT0_S8_ifPKiSA_iPKfiiiSC_SC_iiiii
	.p2align	8
	.type	_ZN4vllm25paged_attention_v1_kernelIthLi128ELi16ELi128ELNS_18Fp8KVCacheDataTypeE1ELb0EEEvPT_PKS2_PKT0_S8_ifPKiSA_iPKfiiiSC_SC_iiiii,@function
_ZN4vllm25paged_attention_v1_kernelIthLi128ELi16ELi128ELNS_18Fp8KVCacheDataTypeE1ELb0EEEvPT_PKS2_PKT0_S8_ifPKiSA_iPKfiiiSC_SC_iiiii: ; @_ZN4vllm25paged_attention_v1_kernelIthLi128ELi16ELi128ELNS_18Fp8KVCacheDataTypeE1ELb0EEEvPT_PKS2_PKT0_S8_ifPKiSA_iPKfiiiSC_SC_iiiii
; %bb.0:
	s_load_dword s5, s[0:1], 0x80
	s_load_dwordx2 s[6:7], s[0:1], 0x30
	s_load_dwordx2 s[10:11], s[0:1], 0x20
	s_mov_b32 s20, s3
	s_ashr_i32 s21, s3, 31
	s_lshl_b64 s[8:9], s[20:21], 2
	s_waitcnt lgkmcnt(0)
	s_add_u32 s6, s6, s8
	s_addc_u32 s7, s7, s9
	s_abs_i32 s3, s10
	v_cvt_f32_u32_e32 v1, s3
	s_xor_b32 s8, s5, s10
	s_sub_i32 s10, 0, s3
	s_abs_i32 s9, s5
	v_rcp_iflag_f32_e32 v1, v1
	s_ashr_i32 s8, s8, 31
	v_mul_f32_e32 v1, 0x4f7ffffe, v1
	v_cvt_u32_f32_e32 v1, v1
	s_nop 0
	v_readfirstlane_b32 s12, v1
	s_mul_i32 s10, s10, s12
	s_mul_hi_u32 s10, s12, s10
	s_add_i32 s12, s12, s10
	s_mul_hi_u32 s10, s9, s12
	s_mul_i32 s12, s10, s3
	s_sub_i32 s9, s9, s12
	s_add_i32 s12, s10, 1
	s_sub_i32 s13, s9, s3
	s_cmp_ge_u32 s9, s3
	s_cselect_b32 s10, s12, s10
	s_cselect_b32 s9, s13, s9
	s_add_i32 s12, s10, 1
	s_cmp_ge_u32 s9, s3
	s_cselect_b32 s3, s12, s10
	s_xor_b32 s3, s3, s8
	s_sub_i32 s15, s3, s8
	s_abs_i32 s12, s15
	v_cvt_f32_u32_e32 v1, s12
	s_load_dwordx2 s[8:9], s[0:1], 0x40
	s_sub_i32 s3, 0, s12
	s_abs_i32 s13, s2
	v_rcp_iflag_f32_e32 v1, v1
	s_mov_b32 s10, 0
	v_mul_f32_e32 v1, 0x4f7ffffe, v1
	v_cvt_u32_f32_e32 v1, v1
	s_nop 0
	v_readfirstlane_b32 s14, v1
	s_mul_i32 s3, s3, s14
	s_mul_hi_u32 s3, s14, s3
	s_add_i32 s14, s14, s3
	s_waitcnt lgkmcnt(0)
	s_cmp_eq_u64 s[8:9], 0
	s_mul_hi_u32 s14, s13, s14
	s_cbranch_scc1 .LBB253_2
; %bb.1:
	s_ashr_i32 s3, s2, 31
	s_lshl_b64 s[16:17], s[2:3], 2
	s_add_u32 s8, s8, s16
	s_addc_u32 s9, s9, s17
	s_load_dword s10, s[8:9], 0x0
.LBB253_2:
	s_load_dword s33, s[6:7], 0x0
	s_load_dwordx4 s[16:19], s[0:1], 0x48
	s_ashr_i32 s8, s2, 31
	s_ashr_i32 s9, s15, 31
	v_and_b32_e32 v7, 3, v0
	s_lshl_b32 s22, s2, 7
	v_cmp_gt_u32_e64 s[6:7], 64, v0
	s_and_saveexec_b64 s[2:3], s[6:7]
	s_cbranch_execz .LBB253_4
; %bb.3:
	s_load_dwordx2 s[24:25], s[0:1], 0x8
	s_waitcnt lgkmcnt(0)
	s_mul_i32 s26, s20, s16
	s_ashr_i32 s27, s26, 31
	s_lshl_b64 s[26:27], s[26:27], 1
	v_lshlrev_b32_e32 v1, 2, v0
	s_add_u32 s15, s24, s26
	s_addc_u32 s16, s25, s27
	s_ashr_i32 s23, s22, 31
	s_lshl_b64 s[24:25], s[22:23], 1
	s_add_u32 s24, s15, s24
	s_addc_u32 s25, s16, s25
	global_load_dword v1, v1, s[24:25]
	v_and_b32_e32 v2, 0x3fc, v0
	v_lshl_add_u32 v2, v7, 6, v2
	s_waitcnt vmcnt(0)
	ds_write_b32 v2, v1
.LBB253_4:
	s_or_b64 exec, exec, s[2:3]
	s_waitcnt lgkmcnt(0)
	s_add_i32 s3, s33, 15
	s_ashr_i32 s15, s3, 31
	s_lshr_b32 s15, s15, 28
	s_add_i32 s3, s3, s15
	s_ashr_i32 s23, s3, 4
	s_xor_b32 s3, s8, s9
	s_mul_i32 s8, s14, s12
	s_sub_i32 s8, s13, s8
	s_add_i32 s9, s14, 1
	s_sub_i32 s13, s8, s12
	s_load_dwordx2 s[26:27], s[0:1], 0x28
	s_load_dword s2, s[0:1], 0x38
	s_cmp_ge_u32 s8, s12
	s_cselect_b32 s9, s9, s14
	s_cselect_b32 s8, s13, s8
	s_add_i32 s13, s9, 1
	s_cmp_ge_u32 s8, s12
	s_cselect_b32 s8, s13, s9
	v_lshrrev_b32_e32 v1, 6, v0
	s_xor_b32 s8, s8, s3
	s_waitcnt lgkmcnt(0)
	s_mul_i32 s28, s20, s2
	s_sub_i32 s16, s8, s3
	s_ashr_i32 s29, s28, 31
	v_cmp_gt_i32_e64 s[2:3], s23, v1
	v_cmp_le_i32_e32 vcc, s23, v1
	v_mbcnt_lo_u32_b32 v10, -1, 0
	s_barrier
	s_waitcnt lgkmcnt(0)
                                        ; implicit-def: $sgpr19
                                        ; implicit-def: $vgpr13
                                        ; implicit-def: $vgpr2
	s_and_saveexec_b64 s[8:9], vcc
	s_xor_b64 s[8:9], exec, s[8:9]
; %bb.5:
	v_mbcnt_hi_u32_b32 v13, -1, v10
	v_and_b32_e32 v2, 64, v13
	v_add_u32_e32 v2, 64, v2
	s_mov_b32 s19, 0xff7fffff
                                        ; implicit-def: $vgpr7
                                        ; implicit-def: $vgpr10
; %bb.6:
	s_or_saveexec_b64 s[34:35], s[8:9]
	s_load_dwordx2 s[24:25], s[0:1], 0x0
	s_load_dwordx2 s[30:31], s[0:1], 0x18
	s_load_dword s21, s[0:1], 0x88
	s_load_dwordx4 s[12:15], s[0:1], 0x58
	v_mov_b32_e32 v14, s19
	s_mul_i32 s16, s16, s18
	v_lshrrev_b32_e32 v12, 4, v0
	s_xor_b64 exec, exec, s[34:35]
	s_cbranch_execz .LBB253_268
; %bb.7:
	s_load_dwordx2 s[0:1], s[0:1], 0x10
	s_ashr_i32 s8, s16, 31
	v_bfe_u32 v8, v0, 2, 4
	v_lshlrev_b32_e32 v2, 4, v8
	v_mov_b32_e32 v3, 0
	s_waitcnt lgkmcnt(0)
	s_add_u32 s0, s0, s16
	s_addc_u32 s1, s1, s8
	v_lshl_add_u64 v[4:5], s[0:1], 0, v[2:3]
	s_sub_i32 s43, 1, s33
	v_lshlrev_b32_e32 v2, 2, v8
	s_lshl_b64 s[8:9], s[28:29], 2
	v_lshl_or_b32 v2, v1, 6, v2
	s_add_u32 s8, s26, s8
	v_add_u32_e32 v17, 0x110, v2
	v_and_b32_e32 v2, 60, v12
	s_addc_u32 s9, s27, s9
	s_mov_b32 s42, s17
	v_lshlrev_b32_e32 v6, 1, v7
	v_lshlrev_b32_e32 v15, 6, v7
	v_cmp_eq_u32_e32 vcc, 0, v7
	v_cmp_neq_f32_e64 s[0:1], s10, 0
	v_mov_b32_e32 v7, v3
	v_lshl_or_b32 v16, v1, 4, v8
	v_lshl_add_u64 v[8:9], s[8:9], 0, v[2:3]
	s_mov_b64 s[18:19], 0
	v_mov_b32_e32 v14, 0xff7fffff
	s_movk_i32 s44, 0x7f
	s_movk_i32 s45, 0x80
	s_mov_b32 s46, 0x8000
	v_mbcnt_hi_u32_b32 v13, -1, v10
	v_mov_b32_e32 v18, 0x1c00
	v_mov_b32_e32 v19, v1
	s_branch .LBB253_9
.LBB253_8:                              ;   in Loop: Header=BB253_9 Depth=1
	s_or_b64 exec, exec, s[36:37]
	v_add_u32_e32 v19, 2, v19
	v_cmp_le_i32_e64 s[8:9], s23, v19
	v_add_u32_e32 v16, 32, v16
	v_add_u32_e32 v17, 0x80, v17
	s_or_b64 s[18:19], s[8:9], s[18:19]
	v_lshl_add_u64 v[8:9], v[8:9], 0, 8
	s_andn2_b64 exec, exec, s[18:19]
	s_cbranch_execz .LBB253_267
.LBB253_9:                              ; =>This Inner Loop Header: Depth=1
	global_load_dword v2, v[8:9], off
                                        ; implicit-def: $sgpr40
	s_waitcnt vmcnt(0) lgkmcnt(0)
	v_mad_i64_i32 v[10:11], s[8:9], v2, s42, v[4:5]
	v_lshl_add_u64 v[10:11], v[10:11], 0, v[6:7]
	global_load_ushort v2, v[10:11], off
	global_load_dword v20, v3, s[12:13]
	s_mov_b64 s[8:9], 0
	s_waitcnt vmcnt(1)
	v_cmp_gt_i16_sdwa s[36:37], v2, s44 src0_sel:BYTE_0 src1_sel:DWORD
	s_and_saveexec_b64 s[38:39], s[36:37]
	s_xor_b64 s[36:37], exec, s[38:39]
	s_cbranch_execnz .LBB253_139
; %bb.10:                               ;   in Loop: Header=BB253_9 Depth=1
	s_or_saveexec_b64 s[36:37], s[36:37]
	v_mov_b32_e32 v21, s40
	s_xor_b64 exec, exec, s[36:37]
	s_cbranch_execnz .LBB253_142
.LBB253_11:                             ;   in Loop: Header=BB253_9 Depth=1
	s_or_b64 exec, exec, s[36:37]
	v_and_b32_e32 v2, 0xffff, v2
	s_and_saveexec_b64 s[36:37], s[8:9]
	s_cbranch_execz .LBB253_13
.LBB253_12:                             ;   in Loop: Header=BB253_9 Depth=1
	v_and_b32_e32 v21, 7, v2
	v_ffbh_u32_e32 v22, v21
	v_min_u32_e32 v25, 32, v22
	v_subrev_u32_e32 v22, 28, v25
	v_bfe_u32 v24, v2, 3, 4
	v_lshlrev_b64 v[22:23], v22, v[2:3]
	v_sub_u32_e32 v23, 29, v25
	v_cmp_eq_u32_e64 s[8:9], 0, v24
	v_and_b32_e32 v22, 7, v22
	s_nop 0
	v_cndmask_b32_e64 v23, v24, v23, s[8:9]
	v_cndmask_b32_e64 v21, v21, v22, s[8:9]
	v_lshlrev_b32_e32 v22, 8, v2
	v_lshl_add_u32 v23, v23, 10, v18
	v_and_or_b32 v22, v22, s46, v23
	v_lshl_or_b32 v21, v21, 7, v22
	v_cvt_f32_f16_e32 v21, v21
.LBB253_13:                             ;   in Loop: Header=BB253_9 Depth=1
	s_or_b64 exec, exec, s[36:37]
	v_lshrrev_b16_e32 v2, 8, v2
	v_cmp_lt_i16_e64 s[8:9], s44, v2
	s_mov_b64 s[36:37], 0
                                        ; implicit-def: $sgpr47
	s_and_saveexec_b64 s[38:39], s[8:9]
	s_xor_b64 s[38:39], exec, s[38:39]
	s_cbranch_execnz .LBB253_143
; %bb.14:                               ;   in Loop: Header=BB253_9 Depth=1
	s_or_saveexec_b64 s[38:39], s[38:39]
	v_mov_b32_e32 v22, s47
	s_xor_b64 exec, exec, s[38:39]
	s_cbranch_execnz .LBB253_146
.LBB253_15:                             ;   in Loop: Header=BB253_9 Depth=1
	s_or_b64 exec, exec, s[38:39]
	s_and_saveexec_b64 s[38:39], s[36:37]
	s_cbranch_execz .LBB253_17
.LBB253_16:                             ;   in Loop: Header=BB253_9 Depth=1
	v_and_b32_e32 v24, 7, v2
	v_ffbh_u32_e32 v22, v24
	v_min_u32_e32 v26, 32, v22
	v_subrev_u32_e32 v22, 28, v26
	v_bfe_u32 v25, v2, 3, 4
	v_lshlrev_b64 v[22:23], v22, v[2:3]
	v_sub_u32_e32 v23, 29, v26
	v_cmp_eq_u32_e64 s[8:9], 0, v25
	v_and_b32_e32 v22, 7, v22
	v_lshlrev_b32_e32 v2, 8, v2
	v_cndmask_b32_e64 v23, v25, v23, s[8:9]
	v_lshl_add_u32 v23, v23, 10, v18
	v_cndmask_b32_e64 v22, v24, v22, s[8:9]
	v_and_or_b32 v2, v2, s46, v23
	v_lshl_or_b32 v2, v22, 7, v2
	v_cvt_f32_f16_e32 v22, v2
.LBB253_17:                             ;   in Loop: Header=BB253_9 Depth=1
	s_or_b64 exec, exec, s[38:39]
	global_load_ushort v2, v[10:11], off offset:8
	s_mov_b64 s[8:9], 0
                                        ; implicit-def: $sgpr40
	s_waitcnt vmcnt(0)
	v_cmp_gt_i16_sdwa s[36:37], v2, s44 src0_sel:BYTE_0 src1_sel:DWORD
	s_and_saveexec_b64 s[38:39], s[36:37]
	s_xor_b64 s[36:37], exec, s[38:39]
	s_cbranch_execnz .LBB253_147
; %bb.18:                               ;   in Loop: Header=BB253_9 Depth=1
	s_or_saveexec_b64 s[36:37], s[36:37]
	v_mov_b32_e32 v23, s40
	s_xor_b64 exec, exec, s[36:37]
	s_cbranch_execnz .LBB253_150
.LBB253_19:                             ;   in Loop: Header=BB253_9 Depth=1
	s_or_b64 exec, exec, s[36:37]
	v_and_b32_e32 v2, 0xffff, v2
	s_and_saveexec_b64 s[36:37], s[8:9]
	s_cbranch_execz .LBB253_21
.LBB253_20:                             ;   in Loop: Header=BB253_9 Depth=1
	v_and_b32_e32 v23, 7, v2
	v_ffbh_u32_e32 v24, v23
	v_min_u32_e32 v27, 32, v24
	v_subrev_u32_e32 v24, 28, v27
	v_bfe_u32 v26, v2, 3, 4
	v_lshlrev_b64 v[24:25], v24, v[2:3]
	v_sub_u32_e32 v25, 29, v27
	v_cmp_eq_u32_e64 s[8:9], 0, v26
	v_and_b32_e32 v24, 7, v24
	s_nop 0
	v_cndmask_b32_e64 v25, v26, v25, s[8:9]
	v_cndmask_b32_e64 v23, v23, v24, s[8:9]
	v_lshlrev_b32_e32 v24, 8, v2
	v_lshl_add_u32 v25, v25, 10, v18
	v_and_or_b32 v24, v24, s46, v25
	v_lshl_or_b32 v23, v23, 7, v24
	v_cvt_f32_f16_e32 v23, v23
.LBB253_21:                             ;   in Loop: Header=BB253_9 Depth=1
	s_or_b64 exec, exec, s[36:37]
	v_lshrrev_b16_e32 v2, 8, v2
	v_cmp_lt_i16_e64 s[8:9], s44, v2
	s_mov_b64 s[36:37], 0
                                        ; implicit-def: $sgpr47
	s_and_saveexec_b64 s[38:39], s[8:9]
	s_xor_b64 s[38:39], exec, s[38:39]
	s_cbranch_execnz .LBB253_151
; %bb.22:                               ;   in Loop: Header=BB253_9 Depth=1
	s_or_saveexec_b64 s[38:39], s[38:39]
	v_mov_b32_e32 v24, s47
	s_xor_b64 exec, exec, s[38:39]
	s_cbranch_execnz .LBB253_154
.LBB253_23:                             ;   in Loop: Header=BB253_9 Depth=1
	s_or_b64 exec, exec, s[38:39]
	s_and_saveexec_b64 s[38:39], s[36:37]
	s_cbranch_execz .LBB253_25
.LBB253_24:                             ;   in Loop: Header=BB253_9 Depth=1
	v_and_b32_e32 v26, 7, v2
	v_ffbh_u32_e32 v24, v26
	v_min_u32_e32 v28, 32, v24
	v_subrev_u32_e32 v24, 28, v28
	v_bfe_u32 v27, v2, 3, 4
	v_lshlrev_b64 v[24:25], v24, v[2:3]
	v_sub_u32_e32 v25, 29, v28
	v_cmp_eq_u32_e64 s[8:9], 0, v27
	v_and_b32_e32 v24, 7, v24
	v_lshlrev_b32_e32 v2, 8, v2
	v_cndmask_b32_e64 v25, v27, v25, s[8:9]
	v_lshl_add_u32 v25, v25, 10, v18
	v_cndmask_b32_e64 v24, v26, v24, s[8:9]
	v_and_or_b32 v2, v2, s46, v25
	v_lshl_or_b32 v2, v24, 7, v2
	v_cvt_f32_f16_e32 v24, v2
.LBB253_25:                             ;   in Loop: Header=BB253_9 Depth=1
	s_or_b64 exec, exec, s[38:39]
	global_load_ushort v2, v[10:11], off offset:256
	s_mov_b64 s[8:9], 0
                                        ; implicit-def: $sgpr40
	s_waitcnt vmcnt(0)
	v_cmp_gt_i16_sdwa s[36:37], v2, s44 src0_sel:BYTE_0 src1_sel:DWORD
	s_and_saveexec_b64 s[38:39], s[36:37]
	s_xor_b64 s[36:37], exec, s[38:39]
	s_cbranch_execnz .LBB253_155
; %bb.26:                               ;   in Loop: Header=BB253_9 Depth=1
	s_or_saveexec_b64 s[36:37], s[36:37]
	v_mov_b32_e32 v25, s40
	s_xor_b64 exec, exec, s[36:37]
	s_cbranch_execnz .LBB253_158
.LBB253_27:                             ;   in Loop: Header=BB253_9 Depth=1
	s_or_b64 exec, exec, s[36:37]
	v_and_b32_e32 v2, 0xffff, v2
	s_and_saveexec_b64 s[36:37], s[8:9]
	s_cbranch_execz .LBB253_29
.LBB253_28:                             ;   in Loop: Header=BB253_9 Depth=1
	v_and_b32_e32 v25, 7, v2
	v_ffbh_u32_e32 v26, v25
	v_min_u32_e32 v29, 32, v26
	v_subrev_u32_e32 v26, 28, v29
	v_bfe_u32 v28, v2, 3, 4
	v_lshlrev_b64 v[26:27], v26, v[2:3]
	v_sub_u32_e32 v27, 29, v29
	v_cmp_eq_u32_e64 s[8:9], 0, v28
	v_and_b32_e32 v26, 7, v26
	s_nop 0
	v_cndmask_b32_e64 v27, v28, v27, s[8:9]
	v_cndmask_b32_e64 v25, v25, v26, s[8:9]
	v_lshlrev_b32_e32 v26, 8, v2
	v_lshl_add_u32 v27, v27, 10, v18
	v_and_or_b32 v26, v26, s46, v27
	v_lshl_or_b32 v25, v25, 7, v26
	v_cvt_f32_f16_e32 v25, v25
.LBB253_29:                             ;   in Loop: Header=BB253_9 Depth=1
	s_or_b64 exec, exec, s[36:37]
	v_lshrrev_b16_e32 v2, 8, v2
	v_cmp_lt_i16_e64 s[8:9], s44, v2
	s_mov_b64 s[36:37], 0
                                        ; implicit-def: $sgpr47
	s_and_saveexec_b64 s[38:39], s[8:9]
	s_xor_b64 s[38:39], exec, s[38:39]
	s_cbranch_execnz .LBB253_159
; %bb.30:                               ;   in Loop: Header=BB253_9 Depth=1
	s_or_saveexec_b64 s[38:39], s[38:39]
	v_mov_b32_e32 v26, s47
	s_xor_b64 exec, exec, s[38:39]
	s_cbranch_execnz .LBB253_162
.LBB253_31:                             ;   in Loop: Header=BB253_9 Depth=1
	s_or_b64 exec, exec, s[38:39]
	s_and_saveexec_b64 s[38:39], s[36:37]
	s_cbranch_execz .LBB253_33
.LBB253_32:                             ;   in Loop: Header=BB253_9 Depth=1
	v_and_b32_e32 v28, 7, v2
	v_ffbh_u32_e32 v26, v28
	v_min_u32_e32 v30, 32, v26
	v_subrev_u32_e32 v26, 28, v30
	v_bfe_u32 v29, v2, 3, 4
	v_lshlrev_b64 v[26:27], v26, v[2:3]
	v_sub_u32_e32 v27, 29, v30
	v_cmp_eq_u32_e64 s[8:9], 0, v29
	v_and_b32_e32 v26, 7, v26
	v_lshlrev_b32_e32 v2, 8, v2
	v_cndmask_b32_e64 v27, v29, v27, s[8:9]
	v_lshl_add_u32 v27, v27, 10, v18
	v_cndmask_b32_e64 v26, v28, v26, s[8:9]
	v_and_or_b32 v2, v2, s46, v27
	v_lshl_or_b32 v2, v26, 7, v2
	v_cvt_f32_f16_e32 v26, v2
.LBB253_33:                             ;   in Loop: Header=BB253_9 Depth=1
	s_or_b64 exec, exec, s[38:39]
	global_load_ushort v2, v[10:11], off offset:264
	s_mov_b64 s[8:9], 0
                                        ; implicit-def: $sgpr40
	s_waitcnt vmcnt(0)
	v_cmp_gt_i16_sdwa s[36:37], v2, s44 src0_sel:BYTE_0 src1_sel:DWORD
	s_and_saveexec_b64 s[38:39], s[36:37]
	s_xor_b64 s[36:37], exec, s[38:39]
	s_cbranch_execnz .LBB253_163
; %bb.34:                               ;   in Loop: Header=BB253_9 Depth=1
	s_or_saveexec_b64 s[36:37], s[36:37]
	v_mov_b32_e32 v27, s40
	s_xor_b64 exec, exec, s[36:37]
	s_cbranch_execnz .LBB253_166
.LBB253_35:                             ;   in Loop: Header=BB253_9 Depth=1
	s_or_b64 exec, exec, s[36:37]
	v_and_b32_e32 v2, 0xffff, v2
	s_and_saveexec_b64 s[36:37], s[8:9]
	s_cbranch_execz .LBB253_37
.LBB253_36:                             ;   in Loop: Header=BB253_9 Depth=1
	v_and_b32_e32 v27, 7, v2
	v_ffbh_u32_e32 v28, v27
	v_min_u32_e32 v31, 32, v28
	v_subrev_u32_e32 v28, 28, v31
	v_bfe_u32 v30, v2, 3, 4
	v_lshlrev_b64 v[28:29], v28, v[2:3]
	v_sub_u32_e32 v29, 29, v31
	v_cmp_eq_u32_e64 s[8:9], 0, v30
	v_and_b32_e32 v28, 7, v28
	s_nop 0
	v_cndmask_b32_e64 v29, v30, v29, s[8:9]
	v_cndmask_b32_e64 v27, v27, v28, s[8:9]
	v_lshlrev_b32_e32 v28, 8, v2
	v_lshl_add_u32 v29, v29, 10, v18
	v_and_or_b32 v28, v28, s46, v29
	v_lshl_or_b32 v27, v27, 7, v28
	v_cvt_f32_f16_e32 v27, v27
.LBB253_37:                             ;   in Loop: Header=BB253_9 Depth=1
	s_or_b64 exec, exec, s[36:37]
	v_lshrrev_b16_e32 v2, 8, v2
	v_cmp_lt_i16_e64 s[8:9], s44, v2
	s_mov_b64 s[36:37], 0
                                        ; implicit-def: $sgpr47
	s_and_saveexec_b64 s[38:39], s[8:9]
	s_xor_b64 s[38:39], exec, s[38:39]
	s_cbranch_execnz .LBB253_167
; %bb.38:                               ;   in Loop: Header=BB253_9 Depth=1
	s_or_saveexec_b64 s[38:39], s[38:39]
	v_mov_b32_e32 v28, s47
	s_xor_b64 exec, exec, s[38:39]
	s_cbranch_execnz .LBB253_170
.LBB253_39:                             ;   in Loop: Header=BB253_9 Depth=1
	s_or_b64 exec, exec, s[38:39]
	s_and_saveexec_b64 s[38:39], s[36:37]
	s_cbranch_execz .LBB253_41
.LBB253_40:                             ;   in Loop: Header=BB253_9 Depth=1
	v_and_b32_e32 v30, 7, v2
	v_ffbh_u32_e32 v28, v30
	v_min_u32_e32 v32, 32, v28
	v_subrev_u32_e32 v28, 28, v32
	v_bfe_u32 v31, v2, 3, 4
	v_lshlrev_b64 v[28:29], v28, v[2:3]
	v_sub_u32_e32 v29, 29, v32
	v_cmp_eq_u32_e64 s[8:9], 0, v31
	v_and_b32_e32 v28, 7, v28
	v_lshlrev_b32_e32 v2, 8, v2
	v_cndmask_b32_e64 v29, v31, v29, s[8:9]
	v_lshl_add_u32 v29, v29, 10, v18
	v_cndmask_b32_e64 v28, v30, v28, s[8:9]
	v_and_or_b32 v2, v2, s46, v29
	v_lshl_or_b32 v2, v28, 7, v2
	v_cvt_f32_f16_e32 v28, v2
.LBB253_41:                             ;   in Loop: Header=BB253_9 Depth=1
	s_or_b64 exec, exec, s[38:39]
	global_load_ushort v2, v[10:11], off offset:512
	s_mov_b64 s[8:9], 0
                                        ; implicit-def: $sgpr40
	s_waitcnt vmcnt(0)
	v_cmp_gt_i16_sdwa s[36:37], v2, s44 src0_sel:BYTE_0 src1_sel:DWORD
	s_and_saveexec_b64 s[38:39], s[36:37]
	s_xor_b64 s[36:37], exec, s[38:39]
	s_cbranch_execnz .LBB253_171
; %bb.42:                               ;   in Loop: Header=BB253_9 Depth=1
	s_or_saveexec_b64 s[36:37], s[36:37]
	v_mov_b32_e32 v29, s40
	s_xor_b64 exec, exec, s[36:37]
	s_cbranch_execnz .LBB253_174
.LBB253_43:                             ;   in Loop: Header=BB253_9 Depth=1
	s_or_b64 exec, exec, s[36:37]
	v_and_b32_e32 v2, 0xffff, v2
	s_and_saveexec_b64 s[36:37], s[8:9]
	s_cbranch_execz .LBB253_45
.LBB253_44:                             ;   in Loop: Header=BB253_9 Depth=1
	v_and_b32_e32 v29, 7, v2
	v_ffbh_u32_e32 v30, v29
	v_min_u32_e32 v33, 32, v30
	v_subrev_u32_e32 v30, 28, v33
	v_bfe_u32 v32, v2, 3, 4
	v_lshlrev_b64 v[30:31], v30, v[2:3]
	v_sub_u32_e32 v31, 29, v33
	v_cmp_eq_u32_e64 s[8:9], 0, v32
	v_and_b32_e32 v30, 7, v30
	s_nop 0
	v_cndmask_b32_e64 v31, v32, v31, s[8:9]
	v_cndmask_b32_e64 v29, v29, v30, s[8:9]
	v_lshlrev_b32_e32 v30, 8, v2
	v_lshl_add_u32 v31, v31, 10, v18
	v_and_or_b32 v30, v30, s46, v31
	v_lshl_or_b32 v29, v29, 7, v30
	v_cvt_f32_f16_e32 v29, v29
.LBB253_45:                             ;   in Loop: Header=BB253_9 Depth=1
	s_or_b64 exec, exec, s[36:37]
	v_lshrrev_b16_e32 v2, 8, v2
	v_cmp_lt_i16_e64 s[8:9], s44, v2
	s_mov_b64 s[36:37], 0
                                        ; implicit-def: $sgpr47
	s_and_saveexec_b64 s[38:39], s[8:9]
	s_xor_b64 s[38:39], exec, s[38:39]
	s_cbranch_execnz .LBB253_175
; %bb.46:                               ;   in Loop: Header=BB253_9 Depth=1
	s_or_saveexec_b64 s[38:39], s[38:39]
	v_mov_b32_e32 v30, s47
	s_xor_b64 exec, exec, s[38:39]
	s_cbranch_execnz .LBB253_178
.LBB253_47:                             ;   in Loop: Header=BB253_9 Depth=1
	s_or_b64 exec, exec, s[38:39]
	s_and_saveexec_b64 s[38:39], s[36:37]
	s_cbranch_execz .LBB253_49
.LBB253_48:                             ;   in Loop: Header=BB253_9 Depth=1
	v_and_b32_e32 v32, 7, v2
	v_ffbh_u32_e32 v30, v32
	v_min_u32_e32 v34, 32, v30
	v_subrev_u32_e32 v30, 28, v34
	v_bfe_u32 v33, v2, 3, 4
	v_lshlrev_b64 v[30:31], v30, v[2:3]
	v_sub_u32_e32 v31, 29, v34
	v_cmp_eq_u32_e64 s[8:9], 0, v33
	v_and_b32_e32 v30, 7, v30
	v_lshlrev_b32_e32 v2, 8, v2
	v_cndmask_b32_e64 v31, v33, v31, s[8:9]
	v_lshl_add_u32 v31, v31, 10, v18
	v_cndmask_b32_e64 v30, v32, v30, s[8:9]
	v_and_or_b32 v2, v2, s46, v31
	v_lshl_or_b32 v2, v30, 7, v2
	v_cvt_f32_f16_e32 v30, v2
.LBB253_49:                             ;   in Loop: Header=BB253_9 Depth=1
	s_or_b64 exec, exec, s[38:39]
	global_load_ushort v2, v[10:11], off offset:520
	s_mov_b64 s[8:9], 0
                                        ; implicit-def: $sgpr40
	s_waitcnt vmcnt(0)
	v_cmp_gt_i16_sdwa s[36:37], v2, s44 src0_sel:BYTE_0 src1_sel:DWORD
	s_and_saveexec_b64 s[38:39], s[36:37]
	s_xor_b64 s[36:37], exec, s[38:39]
	s_cbranch_execnz .LBB253_179
; %bb.50:                               ;   in Loop: Header=BB253_9 Depth=1
	s_or_saveexec_b64 s[36:37], s[36:37]
	v_mov_b32_e32 v31, s40
	s_xor_b64 exec, exec, s[36:37]
	s_cbranch_execnz .LBB253_182
.LBB253_51:                             ;   in Loop: Header=BB253_9 Depth=1
	s_or_b64 exec, exec, s[36:37]
	v_and_b32_e32 v2, 0xffff, v2
	s_and_saveexec_b64 s[36:37], s[8:9]
	s_cbranch_execz .LBB253_53
.LBB253_52:                             ;   in Loop: Header=BB253_9 Depth=1
	v_and_b32_e32 v31, 7, v2
	v_ffbh_u32_e32 v32, v31
	v_min_u32_e32 v35, 32, v32
	v_subrev_u32_e32 v32, 28, v35
	v_bfe_u32 v34, v2, 3, 4
	v_lshlrev_b64 v[32:33], v32, v[2:3]
	v_sub_u32_e32 v33, 29, v35
	v_cmp_eq_u32_e64 s[8:9], 0, v34
	v_and_b32_e32 v32, 7, v32
	s_nop 0
	v_cndmask_b32_e64 v33, v34, v33, s[8:9]
	v_cndmask_b32_e64 v31, v31, v32, s[8:9]
	v_lshlrev_b32_e32 v32, 8, v2
	v_lshl_add_u32 v33, v33, 10, v18
	v_and_or_b32 v32, v32, s46, v33
	v_lshl_or_b32 v31, v31, 7, v32
	v_cvt_f32_f16_e32 v31, v31
.LBB253_53:                             ;   in Loop: Header=BB253_9 Depth=1
	s_or_b64 exec, exec, s[36:37]
	v_lshrrev_b16_e32 v2, 8, v2
	v_cmp_lt_i16_e64 s[8:9], s44, v2
	s_mov_b64 s[36:37], 0
                                        ; implicit-def: $sgpr47
	s_and_saveexec_b64 s[38:39], s[8:9]
	s_xor_b64 s[38:39], exec, s[38:39]
	s_cbranch_execnz .LBB253_183
; %bb.54:                               ;   in Loop: Header=BB253_9 Depth=1
	s_or_saveexec_b64 s[38:39], s[38:39]
	v_mov_b32_e32 v32, s47
	s_xor_b64 exec, exec, s[38:39]
	s_cbranch_execnz .LBB253_186
.LBB253_55:                             ;   in Loop: Header=BB253_9 Depth=1
	s_or_b64 exec, exec, s[38:39]
	s_and_saveexec_b64 s[38:39], s[36:37]
	s_cbranch_execz .LBB253_57
.LBB253_56:                             ;   in Loop: Header=BB253_9 Depth=1
	v_and_b32_e32 v34, 7, v2
	v_ffbh_u32_e32 v32, v34
	v_min_u32_e32 v36, 32, v32
	v_subrev_u32_e32 v32, 28, v36
	v_bfe_u32 v35, v2, 3, 4
	v_lshlrev_b64 v[32:33], v32, v[2:3]
	v_sub_u32_e32 v33, 29, v36
	v_cmp_eq_u32_e64 s[8:9], 0, v35
	v_and_b32_e32 v32, 7, v32
	v_lshlrev_b32_e32 v2, 8, v2
	v_cndmask_b32_e64 v33, v35, v33, s[8:9]
	v_lshl_add_u32 v33, v33, 10, v18
	v_cndmask_b32_e64 v32, v34, v32, s[8:9]
	v_and_or_b32 v2, v2, s46, v33
	v_lshl_or_b32 v2, v32, 7, v2
	v_cvt_f32_f16_e32 v32, v2
.LBB253_57:                             ;   in Loop: Header=BB253_9 Depth=1
	s_or_b64 exec, exec, s[38:39]
	global_load_ushort v2, v[10:11], off offset:768
	s_mov_b64 s[8:9], 0
                                        ; implicit-def: $sgpr40
	s_waitcnt vmcnt(0)
	v_cmp_gt_i16_sdwa s[36:37], v2, s44 src0_sel:BYTE_0 src1_sel:DWORD
	s_and_saveexec_b64 s[38:39], s[36:37]
	s_xor_b64 s[36:37], exec, s[38:39]
	s_cbranch_execnz .LBB253_187
; %bb.58:                               ;   in Loop: Header=BB253_9 Depth=1
	s_or_saveexec_b64 s[36:37], s[36:37]
	v_mov_b32_e32 v33, s40
	s_xor_b64 exec, exec, s[36:37]
	s_cbranch_execnz .LBB253_190
.LBB253_59:                             ;   in Loop: Header=BB253_9 Depth=1
	s_or_b64 exec, exec, s[36:37]
	v_and_b32_e32 v2, 0xffff, v2
	s_and_saveexec_b64 s[36:37], s[8:9]
	s_cbranch_execz .LBB253_61
.LBB253_60:                             ;   in Loop: Header=BB253_9 Depth=1
	v_and_b32_e32 v33, 7, v2
	v_ffbh_u32_e32 v34, v33
	v_min_u32_e32 v37, 32, v34
	v_subrev_u32_e32 v34, 28, v37
	v_bfe_u32 v36, v2, 3, 4
	v_lshlrev_b64 v[34:35], v34, v[2:3]
	v_sub_u32_e32 v35, 29, v37
	v_cmp_eq_u32_e64 s[8:9], 0, v36
	v_and_b32_e32 v34, 7, v34
	s_nop 0
	v_cndmask_b32_e64 v35, v36, v35, s[8:9]
	v_cndmask_b32_e64 v33, v33, v34, s[8:9]
	v_lshlrev_b32_e32 v34, 8, v2
	v_lshl_add_u32 v35, v35, 10, v18
	v_and_or_b32 v34, v34, s46, v35
	v_lshl_or_b32 v33, v33, 7, v34
	v_cvt_f32_f16_e32 v33, v33
.LBB253_61:                             ;   in Loop: Header=BB253_9 Depth=1
	s_or_b64 exec, exec, s[36:37]
	v_lshrrev_b16_e32 v2, 8, v2
	v_cmp_lt_i16_e64 s[8:9], s44, v2
	s_mov_b64 s[36:37], 0
                                        ; implicit-def: $sgpr47
	s_and_saveexec_b64 s[38:39], s[8:9]
	s_xor_b64 s[38:39], exec, s[38:39]
	s_cbranch_execnz .LBB253_191
; %bb.62:                               ;   in Loop: Header=BB253_9 Depth=1
	s_or_saveexec_b64 s[38:39], s[38:39]
	v_mov_b32_e32 v34, s47
	s_xor_b64 exec, exec, s[38:39]
	s_cbranch_execnz .LBB253_194
.LBB253_63:                             ;   in Loop: Header=BB253_9 Depth=1
	s_or_b64 exec, exec, s[38:39]
	s_and_saveexec_b64 s[38:39], s[36:37]
	s_cbranch_execz .LBB253_65
.LBB253_64:                             ;   in Loop: Header=BB253_9 Depth=1
	v_and_b32_e32 v36, 7, v2
	v_ffbh_u32_e32 v34, v36
	v_min_u32_e32 v38, 32, v34
	v_subrev_u32_e32 v34, 28, v38
	v_bfe_u32 v37, v2, 3, 4
	v_lshlrev_b64 v[34:35], v34, v[2:3]
	v_sub_u32_e32 v35, 29, v38
	v_cmp_eq_u32_e64 s[8:9], 0, v37
	v_and_b32_e32 v34, 7, v34
	v_lshlrev_b32_e32 v2, 8, v2
	v_cndmask_b32_e64 v35, v37, v35, s[8:9]
	v_lshl_add_u32 v35, v35, 10, v18
	v_cndmask_b32_e64 v34, v36, v34, s[8:9]
	v_and_or_b32 v2, v2, s46, v35
	v_lshl_or_b32 v2, v34, 7, v2
	v_cvt_f32_f16_e32 v34, v2
.LBB253_65:                             ;   in Loop: Header=BB253_9 Depth=1
	s_or_b64 exec, exec, s[38:39]
	global_load_ushort v2, v[10:11], off offset:776
	s_mov_b64 s[8:9], 0
                                        ; implicit-def: $sgpr40
	s_waitcnt vmcnt(0)
	v_cmp_gt_i16_sdwa s[36:37], v2, s44 src0_sel:BYTE_0 src1_sel:DWORD
	s_and_saveexec_b64 s[38:39], s[36:37]
	s_xor_b64 s[36:37], exec, s[38:39]
	s_cbranch_execnz .LBB253_195
; %bb.66:                               ;   in Loop: Header=BB253_9 Depth=1
	s_or_saveexec_b64 s[36:37], s[36:37]
	v_mov_b32_e32 v35, s40
	s_xor_b64 exec, exec, s[36:37]
	s_cbranch_execnz .LBB253_198
.LBB253_67:                             ;   in Loop: Header=BB253_9 Depth=1
	s_or_b64 exec, exec, s[36:37]
	v_and_b32_e32 v2, 0xffff, v2
	s_and_saveexec_b64 s[36:37], s[8:9]
	s_cbranch_execz .LBB253_69
.LBB253_68:                             ;   in Loop: Header=BB253_9 Depth=1
	v_and_b32_e32 v35, 7, v2
	v_ffbh_u32_e32 v36, v35
	v_min_u32_e32 v39, 32, v36
	v_subrev_u32_e32 v36, 28, v39
	v_bfe_u32 v38, v2, 3, 4
	v_lshlrev_b64 v[36:37], v36, v[2:3]
	v_sub_u32_e32 v37, 29, v39
	v_cmp_eq_u32_e64 s[8:9], 0, v38
	v_and_b32_e32 v36, 7, v36
	s_nop 0
	v_cndmask_b32_e64 v37, v38, v37, s[8:9]
	v_cndmask_b32_e64 v35, v35, v36, s[8:9]
	v_lshlrev_b32_e32 v36, 8, v2
	v_lshl_add_u32 v37, v37, 10, v18
	v_and_or_b32 v36, v36, s46, v37
	v_lshl_or_b32 v35, v35, 7, v36
	v_cvt_f32_f16_e32 v35, v35
.LBB253_69:                             ;   in Loop: Header=BB253_9 Depth=1
	s_or_b64 exec, exec, s[36:37]
	v_lshrrev_b16_e32 v2, 8, v2
	v_cmp_lt_i16_e64 s[8:9], s44, v2
	s_mov_b64 s[36:37], 0
                                        ; implicit-def: $sgpr47
	s_and_saveexec_b64 s[38:39], s[8:9]
	s_xor_b64 s[38:39], exec, s[38:39]
	s_cbranch_execnz .LBB253_199
; %bb.70:                               ;   in Loop: Header=BB253_9 Depth=1
	s_or_saveexec_b64 s[38:39], s[38:39]
	v_mov_b32_e32 v36, s47
	s_xor_b64 exec, exec, s[38:39]
	s_cbranch_execnz .LBB253_202
.LBB253_71:                             ;   in Loop: Header=BB253_9 Depth=1
	s_or_b64 exec, exec, s[38:39]
	s_and_saveexec_b64 s[38:39], s[36:37]
	s_cbranch_execz .LBB253_73
.LBB253_72:                             ;   in Loop: Header=BB253_9 Depth=1
	v_and_b32_e32 v38, 7, v2
	v_ffbh_u32_e32 v36, v38
	v_min_u32_e32 v40, 32, v36
	v_subrev_u32_e32 v36, 28, v40
	v_bfe_u32 v39, v2, 3, 4
	v_lshlrev_b64 v[36:37], v36, v[2:3]
	v_sub_u32_e32 v37, 29, v40
	v_cmp_eq_u32_e64 s[8:9], 0, v39
	v_and_b32_e32 v36, 7, v36
	v_lshlrev_b32_e32 v2, 8, v2
	v_cndmask_b32_e64 v37, v39, v37, s[8:9]
	v_lshl_add_u32 v37, v37, 10, v18
	v_cndmask_b32_e64 v36, v38, v36, s[8:9]
	v_and_or_b32 v2, v2, s46, v37
	v_lshl_or_b32 v2, v36, 7, v2
	v_cvt_f32_f16_e32 v36, v2
.LBB253_73:                             ;   in Loop: Header=BB253_9 Depth=1
	s_or_b64 exec, exec, s[38:39]
	global_load_ushort v2, v[10:11], off offset:1024
	s_mov_b64 s[8:9], 0
                                        ; implicit-def: $sgpr40
	s_waitcnt vmcnt(0)
	v_cmp_gt_i16_sdwa s[36:37], v2, s44 src0_sel:BYTE_0 src1_sel:DWORD
	s_and_saveexec_b64 s[38:39], s[36:37]
	s_xor_b64 s[36:37], exec, s[38:39]
	s_cbranch_execnz .LBB253_203
; %bb.74:                               ;   in Loop: Header=BB253_9 Depth=1
	s_or_saveexec_b64 s[36:37], s[36:37]
	v_mov_b32_e32 v37, s40
	s_xor_b64 exec, exec, s[36:37]
	s_cbranch_execnz .LBB253_206
.LBB253_75:                             ;   in Loop: Header=BB253_9 Depth=1
	s_or_b64 exec, exec, s[36:37]
	v_and_b32_e32 v2, 0xffff, v2
	s_and_saveexec_b64 s[36:37], s[8:9]
	s_cbranch_execz .LBB253_77
.LBB253_76:                             ;   in Loop: Header=BB253_9 Depth=1
	v_and_b32_e32 v37, 7, v2
	v_ffbh_u32_e32 v38, v37
	v_min_u32_e32 v41, 32, v38
	v_subrev_u32_e32 v38, 28, v41
	v_bfe_u32 v40, v2, 3, 4
	v_lshlrev_b64 v[38:39], v38, v[2:3]
	v_sub_u32_e32 v39, 29, v41
	v_cmp_eq_u32_e64 s[8:9], 0, v40
	v_and_b32_e32 v38, 7, v38
	s_nop 0
	v_cndmask_b32_e64 v39, v40, v39, s[8:9]
	v_cndmask_b32_e64 v37, v37, v38, s[8:9]
	v_lshlrev_b32_e32 v38, 8, v2
	v_lshl_add_u32 v39, v39, 10, v18
	v_and_or_b32 v38, v38, s46, v39
	v_lshl_or_b32 v37, v37, 7, v38
	v_cvt_f32_f16_e32 v37, v37
.LBB253_77:                             ;   in Loop: Header=BB253_9 Depth=1
	s_or_b64 exec, exec, s[36:37]
	v_lshrrev_b16_e32 v2, 8, v2
	v_cmp_lt_i16_e64 s[8:9], s44, v2
	s_mov_b64 s[36:37], 0
                                        ; implicit-def: $sgpr47
	s_and_saveexec_b64 s[38:39], s[8:9]
	s_xor_b64 s[38:39], exec, s[38:39]
	s_cbranch_execnz .LBB253_207
; %bb.78:                               ;   in Loop: Header=BB253_9 Depth=1
	s_or_saveexec_b64 s[38:39], s[38:39]
	v_mov_b32_e32 v38, s47
	s_xor_b64 exec, exec, s[38:39]
	s_cbranch_execnz .LBB253_210
.LBB253_79:                             ;   in Loop: Header=BB253_9 Depth=1
	s_or_b64 exec, exec, s[38:39]
	s_and_saveexec_b64 s[38:39], s[36:37]
	s_cbranch_execz .LBB253_81
.LBB253_80:                             ;   in Loop: Header=BB253_9 Depth=1
	v_and_b32_e32 v40, 7, v2
	v_ffbh_u32_e32 v38, v40
	v_min_u32_e32 v42, 32, v38
	v_subrev_u32_e32 v38, 28, v42
	v_bfe_u32 v41, v2, 3, 4
	v_lshlrev_b64 v[38:39], v38, v[2:3]
	v_sub_u32_e32 v39, 29, v42
	v_cmp_eq_u32_e64 s[8:9], 0, v41
	v_and_b32_e32 v38, 7, v38
	v_lshlrev_b32_e32 v2, 8, v2
	v_cndmask_b32_e64 v39, v41, v39, s[8:9]
	v_lshl_add_u32 v39, v39, 10, v18
	v_cndmask_b32_e64 v38, v40, v38, s[8:9]
	v_and_or_b32 v2, v2, s46, v39
	v_lshl_or_b32 v2, v38, 7, v2
	v_cvt_f32_f16_e32 v38, v2
.LBB253_81:                             ;   in Loop: Header=BB253_9 Depth=1
	s_or_b64 exec, exec, s[38:39]
	global_load_ushort v2, v[10:11], off offset:1032
	s_mov_b64 s[8:9], 0
                                        ; implicit-def: $sgpr40
	s_waitcnt vmcnt(0)
	v_cmp_gt_i16_sdwa s[36:37], v2, s44 src0_sel:BYTE_0 src1_sel:DWORD
	s_and_saveexec_b64 s[38:39], s[36:37]
	s_xor_b64 s[36:37], exec, s[38:39]
	s_cbranch_execnz .LBB253_211
; %bb.82:                               ;   in Loop: Header=BB253_9 Depth=1
	s_or_saveexec_b64 s[36:37], s[36:37]
	v_mov_b32_e32 v39, s40
	s_xor_b64 exec, exec, s[36:37]
	s_cbranch_execnz .LBB253_214
.LBB253_83:                             ;   in Loop: Header=BB253_9 Depth=1
	s_or_b64 exec, exec, s[36:37]
	v_and_b32_e32 v2, 0xffff, v2
	s_and_saveexec_b64 s[36:37], s[8:9]
	s_cbranch_execz .LBB253_85
.LBB253_84:                             ;   in Loop: Header=BB253_9 Depth=1
	v_and_b32_e32 v39, 7, v2
	v_ffbh_u32_e32 v40, v39
	v_min_u32_e32 v43, 32, v40
	v_subrev_u32_e32 v40, 28, v43
	v_bfe_u32 v42, v2, 3, 4
	v_lshlrev_b64 v[40:41], v40, v[2:3]
	v_sub_u32_e32 v41, 29, v43
	v_cmp_eq_u32_e64 s[8:9], 0, v42
	v_and_b32_e32 v40, 7, v40
	s_nop 0
	v_cndmask_b32_e64 v41, v42, v41, s[8:9]
	v_cndmask_b32_e64 v39, v39, v40, s[8:9]
	v_lshlrev_b32_e32 v40, 8, v2
	v_lshl_add_u32 v41, v41, 10, v18
	v_and_or_b32 v40, v40, s46, v41
	v_lshl_or_b32 v39, v39, 7, v40
	v_cvt_f32_f16_e32 v39, v39
.LBB253_85:                             ;   in Loop: Header=BB253_9 Depth=1
	s_or_b64 exec, exec, s[36:37]
	v_lshrrev_b16_e32 v2, 8, v2
	v_cmp_lt_i16_e64 s[8:9], s44, v2
	s_mov_b64 s[36:37], 0
                                        ; implicit-def: $sgpr47
	s_and_saveexec_b64 s[38:39], s[8:9]
	s_xor_b64 s[38:39], exec, s[38:39]
	s_cbranch_execnz .LBB253_215
; %bb.86:                               ;   in Loop: Header=BB253_9 Depth=1
	s_or_saveexec_b64 s[38:39], s[38:39]
	v_mov_b32_e32 v40, s47
	s_xor_b64 exec, exec, s[38:39]
	s_cbranch_execnz .LBB253_218
.LBB253_87:                             ;   in Loop: Header=BB253_9 Depth=1
	s_or_b64 exec, exec, s[38:39]
	s_and_saveexec_b64 s[38:39], s[36:37]
	s_cbranch_execz .LBB253_89
.LBB253_88:                             ;   in Loop: Header=BB253_9 Depth=1
	v_and_b32_e32 v42, 7, v2
	v_ffbh_u32_e32 v40, v42
	v_min_u32_e32 v44, 32, v40
	v_subrev_u32_e32 v40, 28, v44
	v_bfe_u32 v43, v2, 3, 4
	v_lshlrev_b64 v[40:41], v40, v[2:3]
	v_sub_u32_e32 v41, 29, v44
	v_cmp_eq_u32_e64 s[8:9], 0, v43
	v_and_b32_e32 v40, 7, v40
	v_lshlrev_b32_e32 v2, 8, v2
	v_cndmask_b32_e64 v41, v43, v41, s[8:9]
	v_lshl_add_u32 v41, v41, 10, v18
	v_cndmask_b32_e64 v40, v42, v40, s[8:9]
	v_and_or_b32 v2, v2, s46, v41
	v_lshl_or_b32 v2, v40, 7, v2
	v_cvt_f32_f16_e32 v40, v2
.LBB253_89:                             ;   in Loop: Header=BB253_9 Depth=1
	s_or_b64 exec, exec, s[38:39]
	global_load_ushort v2, v[10:11], off offset:1280
	s_mov_b64 s[8:9], 0
                                        ; implicit-def: $sgpr40
	s_waitcnt vmcnt(0)
	v_cmp_gt_i16_sdwa s[36:37], v2, s44 src0_sel:BYTE_0 src1_sel:DWORD
	s_and_saveexec_b64 s[38:39], s[36:37]
	s_xor_b64 s[36:37], exec, s[38:39]
	s_cbranch_execnz .LBB253_219
; %bb.90:                               ;   in Loop: Header=BB253_9 Depth=1
	s_or_saveexec_b64 s[36:37], s[36:37]
	v_mov_b32_e32 v41, s40
	s_xor_b64 exec, exec, s[36:37]
	s_cbranch_execnz .LBB253_222
.LBB253_91:                             ;   in Loop: Header=BB253_9 Depth=1
	s_or_b64 exec, exec, s[36:37]
	v_and_b32_e32 v2, 0xffff, v2
	s_and_saveexec_b64 s[36:37], s[8:9]
	s_cbranch_execz .LBB253_93
.LBB253_92:                             ;   in Loop: Header=BB253_9 Depth=1
	v_and_b32_e32 v41, 7, v2
	v_ffbh_u32_e32 v42, v41
	v_min_u32_e32 v45, 32, v42
	v_subrev_u32_e32 v42, 28, v45
	v_bfe_u32 v44, v2, 3, 4
	v_lshlrev_b64 v[42:43], v42, v[2:3]
	v_sub_u32_e32 v43, 29, v45
	v_cmp_eq_u32_e64 s[8:9], 0, v44
	v_and_b32_e32 v42, 7, v42
	s_nop 0
	v_cndmask_b32_e64 v43, v44, v43, s[8:9]
	v_cndmask_b32_e64 v41, v41, v42, s[8:9]
	v_lshlrev_b32_e32 v42, 8, v2
	v_lshl_add_u32 v43, v43, 10, v18
	v_and_or_b32 v42, v42, s46, v43
	v_lshl_or_b32 v41, v41, 7, v42
	v_cvt_f32_f16_e32 v41, v41
.LBB253_93:                             ;   in Loop: Header=BB253_9 Depth=1
	s_or_b64 exec, exec, s[36:37]
	v_lshrrev_b16_e32 v2, 8, v2
	v_cmp_lt_i16_e64 s[8:9], s44, v2
	s_mov_b64 s[36:37], 0
                                        ; implicit-def: $sgpr47
	s_and_saveexec_b64 s[38:39], s[8:9]
	s_xor_b64 s[38:39], exec, s[38:39]
	s_cbranch_execnz .LBB253_223
; %bb.94:                               ;   in Loop: Header=BB253_9 Depth=1
	s_or_saveexec_b64 s[38:39], s[38:39]
	v_mov_b32_e32 v42, s47
	s_xor_b64 exec, exec, s[38:39]
	s_cbranch_execnz .LBB253_226
.LBB253_95:                             ;   in Loop: Header=BB253_9 Depth=1
	s_or_b64 exec, exec, s[38:39]
	s_and_saveexec_b64 s[38:39], s[36:37]
	s_cbranch_execz .LBB253_97
.LBB253_96:                             ;   in Loop: Header=BB253_9 Depth=1
	v_and_b32_e32 v44, 7, v2
	v_ffbh_u32_e32 v42, v44
	v_min_u32_e32 v46, 32, v42
	v_subrev_u32_e32 v42, 28, v46
	v_bfe_u32 v45, v2, 3, 4
	v_lshlrev_b64 v[42:43], v42, v[2:3]
	v_sub_u32_e32 v43, 29, v46
	v_cmp_eq_u32_e64 s[8:9], 0, v45
	v_and_b32_e32 v42, 7, v42
	v_lshlrev_b32_e32 v2, 8, v2
	v_cndmask_b32_e64 v43, v45, v43, s[8:9]
	v_lshl_add_u32 v43, v43, 10, v18
	v_cndmask_b32_e64 v42, v44, v42, s[8:9]
	v_and_or_b32 v2, v2, s46, v43
	v_lshl_or_b32 v2, v42, 7, v2
	v_cvt_f32_f16_e32 v42, v2
.LBB253_97:                             ;   in Loop: Header=BB253_9 Depth=1
	s_or_b64 exec, exec, s[38:39]
	global_load_ushort v2, v[10:11], off offset:1288
	s_mov_b64 s[8:9], 0
                                        ; implicit-def: $sgpr40
	s_waitcnt vmcnt(0)
	v_cmp_gt_i16_sdwa s[36:37], v2, s44 src0_sel:BYTE_0 src1_sel:DWORD
	s_and_saveexec_b64 s[38:39], s[36:37]
	s_xor_b64 s[36:37], exec, s[38:39]
	s_cbranch_execnz .LBB253_227
; %bb.98:                               ;   in Loop: Header=BB253_9 Depth=1
	s_or_saveexec_b64 s[36:37], s[36:37]
	v_mov_b32_e32 v43, s40
	s_xor_b64 exec, exec, s[36:37]
	s_cbranch_execnz .LBB253_230
.LBB253_99:                             ;   in Loop: Header=BB253_9 Depth=1
	s_or_b64 exec, exec, s[36:37]
	v_and_b32_e32 v2, 0xffff, v2
	s_and_saveexec_b64 s[36:37], s[8:9]
	s_cbranch_execz .LBB253_101
.LBB253_100:                            ;   in Loop: Header=BB253_9 Depth=1
	v_and_b32_e32 v43, 7, v2
	v_ffbh_u32_e32 v44, v43
	v_min_u32_e32 v47, 32, v44
	v_subrev_u32_e32 v44, 28, v47
	v_bfe_u32 v46, v2, 3, 4
	v_lshlrev_b64 v[44:45], v44, v[2:3]
	v_sub_u32_e32 v45, 29, v47
	v_cmp_eq_u32_e64 s[8:9], 0, v46
	v_and_b32_e32 v44, 7, v44
	s_nop 0
	v_cndmask_b32_e64 v45, v46, v45, s[8:9]
	v_cndmask_b32_e64 v43, v43, v44, s[8:9]
	v_lshlrev_b32_e32 v44, 8, v2
	v_lshl_add_u32 v45, v45, 10, v18
	v_and_or_b32 v44, v44, s46, v45
	v_lshl_or_b32 v43, v43, 7, v44
	v_cvt_f32_f16_e32 v43, v43
.LBB253_101:                            ;   in Loop: Header=BB253_9 Depth=1
	s_or_b64 exec, exec, s[36:37]
	v_lshrrev_b16_e32 v2, 8, v2
	v_cmp_lt_i16_e64 s[8:9], s44, v2
	s_mov_b64 s[36:37], 0
                                        ; implicit-def: $sgpr47
	s_and_saveexec_b64 s[38:39], s[8:9]
	s_xor_b64 s[38:39], exec, s[38:39]
	s_cbranch_execnz .LBB253_231
; %bb.102:                              ;   in Loop: Header=BB253_9 Depth=1
	s_or_saveexec_b64 s[38:39], s[38:39]
	v_mov_b32_e32 v44, s47
	s_xor_b64 exec, exec, s[38:39]
	s_cbranch_execnz .LBB253_234
.LBB253_103:                            ;   in Loop: Header=BB253_9 Depth=1
	s_or_b64 exec, exec, s[38:39]
	s_and_saveexec_b64 s[38:39], s[36:37]
	s_cbranch_execz .LBB253_105
.LBB253_104:                            ;   in Loop: Header=BB253_9 Depth=1
	v_and_b32_e32 v46, 7, v2
	v_ffbh_u32_e32 v44, v46
	v_min_u32_e32 v48, 32, v44
	v_subrev_u32_e32 v44, 28, v48
	v_bfe_u32 v47, v2, 3, 4
	v_lshlrev_b64 v[44:45], v44, v[2:3]
	v_sub_u32_e32 v45, 29, v48
	v_cmp_eq_u32_e64 s[8:9], 0, v47
	v_and_b32_e32 v44, 7, v44
	v_lshlrev_b32_e32 v2, 8, v2
	v_cndmask_b32_e64 v45, v47, v45, s[8:9]
	v_lshl_add_u32 v45, v45, 10, v18
	v_cndmask_b32_e64 v44, v46, v44, s[8:9]
	v_and_or_b32 v2, v2, s46, v45
	v_lshl_or_b32 v2, v44, 7, v2
	v_cvt_f32_f16_e32 v44, v2
.LBB253_105:                            ;   in Loop: Header=BB253_9 Depth=1
	s_or_b64 exec, exec, s[38:39]
	global_load_ushort v2, v[10:11], off offset:1536
	s_mov_b64 s[8:9], 0
                                        ; implicit-def: $sgpr40
	s_waitcnt vmcnt(0)
	v_cmp_gt_i16_sdwa s[36:37], v2, s44 src0_sel:BYTE_0 src1_sel:DWORD
	s_and_saveexec_b64 s[38:39], s[36:37]
	s_xor_b64 s[36:37], exec, s[38:39]
	s_cbranch_execnz .LBB253_235
; %bb.106:                              ;   in Loop: Header=BB253_9 Depth=1
	s_or_saveexec_b64 s[36:37], s[36:37]
	v_mov_b32_e32 v45, s40
	s_xor_b64 exec, exec, s[36:37]
	s_cbranch_execnz .LBB253_238
.LBB253_107:                            ;   in Loop: Header=BB253_9 Depth=1
	s_or_b64 exec, exec, s[36:37]
	v_and_b32_e32 v2, 0xffff, v2
	s_and_saveexec_b64 s[36:37], s[8:9]
	s_cbranch_execz .LBB253_109
.LBB253_108:                            ;   in Loop: Header=BB253_9 Depth=1
	v_and_b32_e32 v45, 7, v2
	v_ffbh_u32_e32 v46, v45
	v_min_u32_e32 v49, 32, v46
	v_subrev_u32_e32 v46, 28, v49
	v_bfe_u32 v48, v2, 3, 4
	v_lshlrev_b64 v[46:47], v46, v[2:3]
	v_sub_u32_e32 v47, 29, v49
	v_cmp_eq_u32_e64 s[8:9], 0, v48
	v_and_b32_e32 v46, 7, v46
	s_nop 0
	v_cndmask_b32_e64 v47, v48, v47, s[8:9]
	v_cndmask_b32_e64 v45, v45, v46, s[8:9]
	v_lshlrev_b32_e32 v46, 8, v2
	v_lshl_add_u32 v47, v47, 10, v18
	v_and_or_b32 v46, v46, s46, v47
	v_lshl_or_b32 v45, v45, 7, v46
	v_cvt_f32_f16_e32 v45, v45
.LBB253_109:                            ;   in Loop: Header=BB253_9 Depth=1
	s_or_b64 exec, exec, s[36:37]
	v_lshrrev_b16_e32 v2, 8, v2
	v_cmp_lt_i16_e64 s[8:9], s44, v2
	s_mov_b64 s[36:37], 0
                                        ; implicit-def: $sgpr47
	s_and_saveexec_b64 s[38:39], s[8:9]
	s_xor_b64 s[38:39], exec, s[38:39]
	s_cbranch_execnz .LBB253_239
; %bb.110:                              ;   in Loop: Header=BB253_9 Depth=1
	s_or_saveexec_b64 s[38:39], s[38:39]
	v_mov_b32_e32 v46, s47
	s_xor_b64 exec, exec, s[38:39]
	s_cbranch_execnz .LBB253_242
.LBB253_111:                            ;   in Loop: Header=BB253_9 Depth=1
	s_or_b64 exec, exec, s[38:39]
	s_and_saveexec_b64 s[38:39], s[36:37]
	s_cbranch_execz .LBB253_113
.LBB253_112:                            ;   in Loop: Header=BB253_9 Depth=1
	v_and_b32_e32 v48, 7, v2
	v_ffbh_u32_e32 v46, v48
	v_min_u32_e32 v50, 32, v46
	v_subrev_u32_e32 v46, 28, v50
	v_bfe_u32 v49, v2, 3, 4
	v_lshlrev_b64 v[46:47], v46, v[2:3]
	v_sub_u32_e32 v47, 29, v50
	v_cmp_eq_u32_e64 s[8:9], 0, v49
	v_and_b32_e32 v46, 7, v46
	v_lshlrev_b32_e32 v2, 8, v2
	v_cndmask_b32_e64 v47, v49, v47, s[8:9]
	v_lshl_add_u32 v47, v47, 10, v18
	v_cndmask_b32_e64 v46, v48, v46, s[8:9]
	v_and_or_b32 v2, v2, s46, v47
	v_lshl_or_b32 v2, v46, 7, v2
	v_cvt_f32_f16_e32 v46, v2
.LBB253_113:                            ;   in Loop: Header=BB253_9 Depth=1
	s_or_b64 exec, exec, s[38:39]
	global_load_ushort v2, v[10:11], off offset:1544
	s_mov_b64 s[8:9], 0
                                        ; implicit-def: $sgpr40
	s_waitcnt vmcnt(0)
	v_cmp_gt_i16_sdwa s[36:37], v2, s44 src0_sel:BYTE_0 src1_sel:DWORD
	s_and_saveexec_b64 s[38:39], s[36:37]
	s_xor_b64 s[36:37], exec, s[38:39]
	s_cbranch_execnz .LBB253_243
; %bb.114:                              ;   in Loop: Header=BB253_9 Depth=1
	s_or_saveexec_b64 s[36:37], s[36:37]
	v_mov_b32_e32 v47, s40
	s_xor_b64 exec, exec, s[36:37]
	s_cbranch_execnz .LBB253_246
.LBB253_115:                            ;   in Loop: Header=BB253_9 Depth=1
	s_or_b64 exec, exec, s[36:37]
	v_and_b32_e32 v2, 0xffff, v2
	s_and_saveexec_b64 s[36:37], s[8:9]
	s_cbranch_execz .LBB253_117
.LBB253_116:                            ;   in Loop: Header=BB253_9 Depth=1
	v_and_b32_e32 v47, 7, v2
	v_ffbh_u32_e32 v48, v47
	v_min_u32_e32 v51, 32, v48
	v_subrev_u32_e32 v48, 28, v51
	v_bfe_u32 v50, v2, 3, 4
	v_lshlrev_b64 v[48:49], v48, v[2:3]
	v_sub_u32_e32 v49, 29, v51
	v_cmp_eq_u32_e64 s[8:9], 0, v50
	v_and_b32_e32 v48, 7, v48
	s_nop 0
	v_cndmask_b32_e64 v49, v50, v49, s[8:9]
	v_cndmask_b32_e64 v47, v47, v48, s[8:9]
	v_lshlrev_b32_e32 v48, 8, v2
	v_lshl_add_u32 v49, v49, 10, v18
	v_and_or_b32 v48, v48, s46, v49
	v_lshl_or_b32 v47, v47, 7, v48
	v_cvt_f32_f16_e32 v47, v47
.LBB253_117:                            ;   in Loop: Header=BB253_9 Depth=1
	s_or_b64 exec, exec, s[36:37]
	v_lshrrev_b16_e32 v2, 8, v2
	v_cmp_lt_i16_e64 s[8:9], s44, v2
	s_mov_b64 s[36:37], 0
                                        ; implicit-def: $sgpr47
	s_and_saveexec_b64 s[38:39], s[8:9]
	s_xor_b64 s[38:39], exec, s[38:39]
	s_cbranch_execnz .LBB253_247
; %bb.118:                              ;   in Loop: Header=BB253_9 Depth=1
	s_or_saveexec_b64 s[38:39], s[38:39]
	v_mov_b32_e32 v48, s47
	s_xor_b64 exec, exec, s[38:39]
	s_cbranch_execnz .LBB253_250
.LBB253_119:                            ;   in Loop: Header=BB253_9 Depth=1
	s_or_b64 exec, exec, s[38:39]
	s_and_saveexec_b64 s[38:39], s[36:37]
	s_cbranch_execz .LBB253_121
.LBB253_120:                            ;   in Loop: Header=BB253_9 Depth=1
	v_and_b32_e32 v50, 7, v2
	v_ffbh_u32_e32 v48, v50
	v_min_u32_e32 v52, 32, v48
	v_subrev_u32_e32 v48, 28, v52
	v_bfe_u32 v51, v2, 3, 4
	v_lshlrev_b64 v[48:49], v48, v[2:3]
	v_sub_u32_e32 v49, 29, v52
	v_cmp_eq_u32_e64 s[8:9], 0, v51
	v_and_b32_e32 v48, 7, v48
	v_lshlrev_b32_e32 v2, 8, v2
	v_cndmask_b32_e64 v49, v51, v49, s[8:9]
	v_lshl_add_u32 v49, v49, 10, v18
	v_cndmask_b32_e64 v48, v50, v48, s[8:9]
	v_and_or_b32 v2, v2, s46, v49
	v_lshl_or_b32 v2, v48, 7, v2
	v_cvt_f32_f16_e32 v48, v2
.LBB253_121:                            ;   in Loop: Header=BB253_9 Depth=1
	s_or_b64 exec, exec, s[38:39]
	global_load_ushort v2, v[10:11], off offset:1792
	s_mov_b64 s[8:9], 0
                                        ; implicit-def: $sgpr40
	s_waitcnt vmcnt(0)
	v_cmp_gt_i16_sdwa s[36:37], v2, s44 src0_sel:BYTE_0 src1_sel:DWORD
	s_and_saveexec_b64 s[38:39], s[36:37]
	s_xor_b64 s[36:37], exec, s[38:39]
	s_cbranch_execnz .LBB253_251
; %bb.122:                              ;   in Loop: Header=BB253_9 Depth=1
	s_or_saveexec_b64 s[36:37], s[36:37]
	v_mov_b32_e32 v49, s40
	s_xor_b64 exec, exec, s[36:37]
	s_cbranch_execnz .LBB253_254
.LBB253_123:                            ;   in Loop: Header=BB253_9 Depth=1
	s_or_b64 exec, exec, s[36:37]
	v_and_b32_e32 v2, 0xffff, v2
	s_and_saveexec_b64 s[36:37], s[8:9]
	s_cbranch_execz .LBB253_125
.LBB253_124:                            ;   in Loop: Header=BB253_9 Depth=1
	v_and_b32_e32 v49, 7, v2
	v_ffbh_u32_e32 v50, v49
	v_min_u32_e32 v53, 32, v50
	v_subrev_u32_e32 v50, 28, v53
	v_bfe_u32 v52, v2, 3, 4
	v_lshlrev_b64 v[50:51], v50, v[2:3]
	v_sub_u32_e32 v51, 29, v53
	v_cmp_eq_u32_e64 s[8:9], 0, v52
	v_and_b32_e32 v50, 7, v50
	s_nop 0
	v_cndmask_b32_e64 v51, v52, v51, s[8:9]
	v_cndmask_b32_e64 v49, v49, v50, s[8:9]
	v_lshlrev_b32_e32 v50, 8, v2
	v_lshl_add_u32 v51, v51, 10, v18
	v_and_or_b32 v50, v50, s46, v51
	v_lshl_or_b32 v49, v49, 7, v50
	v_cvt_f32_f16_e32 v49, v49
.LBB253_125:                            ;   in Loop: Header=BB253_9 Depth=1
	s_or_b64 exec, exec, s[36:37]
	v_lshrrev_b16_e32 v2, 8, v2
	v_cmp_lt_i16_e64 s[8:9], s44, v2
	s_mov_b64 s[36:37], 0
                                        ; implicit-def: $sgpr47
	s_and_saveexec_b64 s[38:39], s[8:9]
	s_xor_b64 s[38:39], exec, s[38:39]
	s_cbranch_execnz .LBB253_255
; %bb.126:                              ;   in Loop: Header=BB253_9 Depth=1
	s_or_saveexec_b64 s[38:39], s[38:39]
	v_mov_b32_e32 v50, s47
	s_xor_b64 exec, exec, s[38:39]
	s_cbranch_execnz .LBB253_258
.LBB253_127:                            ;   in Loop: Header=BB253_9 Depth=1
	s_or_b64 exec, exec, s[38:39]
	s_and_saveexec_b64 s[38:39], s[36:37]
	s_cbranch_execz .LBB253_129
.LBB253_128:                            ;   in Loop: Header=BB253_9 Depth=1
	v_and_b32_e32 v52, 7, v2
	v_ffbh_u32_e32 v50, v52
	v_min_u32_e32 v54, 32, v50
	v_subrev_u32_e32 v50, 28, v54
	v_bfe_u32 v53, v2, 3, 4
	v_lshlrev_b64 v[50:51], v50, v[2:3]
	v_sub_u32_e32 v51, 29, v54
	v_cmp_eq_u32_e64 s[8:9], 0, v53
	v_and_b32_e32 v50, 7, v50
	v_lshlrev_b32_e32 v2, 8, v2
	v_cndmask_b32_e64 v51, v53, v51, s[8:9]
	v_lshl_add_u32 v51, v51, 10, v18
	v_cndmask_b32_e64 v50, v52, v50, s[8:9]
	v_and_or_b32 v2, v2, s46, v51
	v_lshl_or_b32 v2, v50, 7, v2
	v_cvt_f32_f16_e32 v50, v2
.LBB253_129:                            ;   in Loop: Header=BB253_9 Depth=1
	s_or_b64 exec, exec, s[38:39]
	global_load_ushort v2, v[10:11], off offset:1800
	s_mov_b64 s[8:9], 0
                                        ; implicit-def: $sgpr40
	s_waitcnt vmcnt(0)
	v_cmp_gt_i16_sdwa s[36:37], v2, s44 src0_sel:BYTE_0 src1_sel:DWORD
	s_and_saveexec_b64 s[38:39], s[36:37]
	s_xor_b64 s[36:37], exec, s[38:39]
	s_cbranch_execnz .LBB253_259
; %bb.130:                              ;   in Loop: Header=BB253_9 Depth=1
	s_or_saveexec_b64 s[36:37], s[36:37]
	v_mov_b32_e32 v10, s40
	s_xor_b64 exec, exec, s[36:37]
	s_cbranch_execnz .LBB253_262
.LBB253_131:                            ;   in Loop: Header=BB253_9 Depth=1
	s_or_b64 exec, exec, s[36:37]
	v_and_b32_e32 v2, 0xffff, v2
	s_and_saveexec_b64 s[36:37], s[8:9]
	s_cbranch_execz .LBB253_133
.LBB253_132:                            ;   in Loop: Header=BB253_9 Depth=1
	v_and_b32_e32 v51, 7, v2
	v_ffbh_u32_e32 v10, v51
	v_min_u32_e32 v53, 32, v10
	v_subrev_u32_e32 v10, 28, v53
	v_bfe_u32 v52, v2, 3, 4
	v_lshlrev_b64 v[10:11], v10, v[2:3]
	v_sub_u32_e32 v11, 29, v53
	v_cmp_eq_u32_e64 s[8:9], 0, v52
	v_and_b32_e32 v10, 7, v10
	s_nop 0
	v_cndmask_b32_e64 v11, v52, v11, s[8:9]
	v_cndmask_b32_e64 v10, v51, v10, s[8:9]
	v_lshlrev_b32_e32 v51, 8, v2
	v_lshl_add_u32 v11, v11, 10, v18
	v_and_or_b32 v11, v51, s46, v11
	v_lshl_or_b32 v10, v10, 7, v11
	v_cvt_f32_f16_e32 v10, v10
.LBB253_133:                            ;   in Loop: Header=BB253_9 Depth=1
	s_or_b64 exec, exec, s[36:37]
	v_lshrrev_b16_e32 v2, 8, v2
	v_cmp_lt_i16_e64 s[8:9], s44, v2
	s_mov_b64 s[36:37], 0
                                        ; implicit-def: $sgpr47
	s_and_saveexec_b64 s[38:39], s[8:9]
	s_xor_b64 s[38:39], exec, s[38:39]
	s_cbranch_execnz .LBB253_263
; %bb.134:                              ;   in Loop: Header=BB253_9 Depth=1
	s_or_saveexec_b64 s[38:39], s[38:39]
	v_mov_b32_e32 v11, s47
	s_xor_b64 exec, exec, s[38:39]
	s_cbranch_execnz .LBB253_266
.LBB253_135:                            ;   in Loop: Header=BB253_9 Depth=1
	s_or_b64 exec, exec, s[38:39]
	s_and_saveexec_b64 s[38:39], s[36:37]
	s_cbranch_execz .LBB253_137
.LBB253_136:                            ;   in Loop: Header=BB253_9 Depth=1
	v_and_b32_e32 v11, 7, v2
	v_ffbh_u32_e32 v52, v11
	v_min_u32_e32 v54, 32, v52
	v_subrev_u32_e32 v52, 28, v54
	v_bfe_u32 v51, v2, 3, 4
	v_lshlrev_b64 v[52:53], v52, v[2:3]
	v_sub_u32_e32 v53, 29, v54
	v_cmp_eq_u32_e64 s[8:9], 0, v51
	v_and_b32_e32 v52, 7, v52
	v_lshlrev_b32_e32 v2, 8, v2
	v_cndmask_b32_e64 v51, v51, v53, s[8:9]
	v_lshl_add_u32 v51, v51, 10, v18
	v_cndmask_b32_e64 v11, v11, v52, s[8:9]
	v_and_or_b32 v2, v2, s46, v51
	v_lshl_or_b32 v2, v11, 7, v2
	v_cvt_f32_f16_e32 v11, v2
.LBB253_137:                            ;   in Loop: Header=BB253_9 Depth=1
	s_or_b64 exec, exec, s[38:39]
	ds_read_b32 v2, v15
	v_fma_mixlo_f16 v21, v20, v21, 0
	v_fma_mixlo_f16 v22, v20, v22, 0
	v_and_b32_e32 v21, 0xffff, v21
	v_and_b32_e32 v22, 0xffff, v22
	s_waitcnt lgkmcnt(0)
	v_lshrrev_b32_e32 v51, 16, v2
	v_and_b32_e32 v2, 0xffff, v2
	;;#ASMSTART
	v_cvt_f32_f16 v2, v2;
	;;#ASMEND
	;;#ASMSTART
	v_cvt_f32_f16 v51, v51;
	;;#ASMEND
	;;#ASMSTART
	v_cvt_f32_f16 v21, v21;
	;;#ASMEND
	;;#ASMSTART
	v_cvt_f32_f16 v22, v22;
	;;#ASMEND
	ds_read_b32 v52, v15 offset:4
	v_fma_mixlo_f16 v23, v20, v23, 0
	v_fma_mixlo_f16 v24, v20, v24, 0
	v_and_b32_e32 v23, 0xffff, v23
	v_and_b32_e32 v24, 0xffff, v24
	s_waitcnt lgkmcnt(0)
	v_lshrrev_b32_e32 v53, 16, v52
	v_and_b32_e32 v52, 0xffff, v52
	;;#ASMSTART
	v_cvt_f32_f16 v52, v52;
	;;#ASMEND
	;;#ASMSTART
	v_cvt_f32_f16 v53, v53;
	;;#ASMEND
	;;#ASMSTART
	v_cvt_f32_f16 v23, v23;
	;;#ASMEND
	;;#ASMSTART
	v_cvt_f32_f16 v24, v24;
	;;#ASMEND
	ds_read_b32 v54, v15 offset:8
	;; [unrolled: 20-line block ×8, first 2 shown]
	v_fma_mixlo_f16 v49, v20, v49, 0
	v_fma_mixlo_f16 v50, v20, v50, 0
	;; [unrolled: 1-line block ×16, first 2 shown]
	v_mul_f32_e32 v20, v52, v23
	v_fmac_f32_e32 v20, v2, v21
	s_waitcnt lgkmcnt(0)
	v_lshrrev_b32_e32 v2, 16, v66
	v_and_b32_e32 v21, 0xffff, v66
	v_and_b32_e32 v23, 0xffff, v37
	;; [unrolled: 1-line block ×3, first 2 shown]
	;;#ASMSTART
	v_cvt_f32_f16 v21, v21;
	;;#ASMEND
	;;#ASMSTART
	v_cvt_f32_f16 v2, v2;
	;;#ASMEND
	;; [unrolled: 3-line block ×4, first 2 shown]
	ds_read_b32 v38, v15 offset:36
	v_mul_f32_e32 v24, v53, v24
	v_fmac_f32_e32 v24, v51, v22
	v_fmac_f32_e32 v20, v54, v25
	v_fmac_f32_e32 v24, v55, v26
	s_waitcnt lgkmcnt(0)
	v_lshrrev_b32_e32 v22, 16, v38
	v_and_b32_e32 v25, 0xffff, v38
	v_and_b32_e32 v26, 0xffff, v39
	v_and_b32_e32 v38, 0xffff, v40
	;;#ASMSTART
	v_cvt_f32_f16 v25, v25;
	;;#ASMEND
	;;#ASMSTART
	v_cvt_f32_f16 v22, v22;
	;;#ASMEND
	;;#ASMSTART
	v_cvt_f32_f16 v26, v26;
	;;#ASMEND
	;;#ASMSTART
	v_cvt_f32_f16 v38, v38;
	;;#ASMEND
	ds_read_b32 v39, v15 offset:40
	v_fmac_f32_e32 v20, v56, v27
	v_fmac_f32_e32 v24, v57, v28
	v_fmac_f32_e32 v20, v58, v29
	v_fmac_f32_e32 v24, v59, v30
	s_waitcnt lgkmcnt(0)
	v_lshrrev_b32_e32 v27, 16, v39
	v_and_b32_e32 v28, 0xffff, v39
	v_and_b32_e32 v29, 0xffff, v41
	v_and_b32_e32 v30, 0xffff, v42
	;;#ASMSTART
	v_cvt_f32_f16 v28, v28;
	;;#ASMEND
	;;#ASMSTART
	v_cvt_f32_f16 v27, v27;
	;;#ASMEND
	;;#ASMSTART
	v_cvt_f32_f16 v29, v29;
	;;#ASMEND
	;;#ASMSTART
	v_cvt_f32_f16 v30, v30;
	;;#ASMEND
	ds_read_b32 v39, v15 offset:44
	v_fmac_f32_e32 v20, v60, v31
	;; [unrolled: 22-line block ×4, first 2 shown]
	v_fmac_f32_e32 v20, v25, v26
	v_fmac_f32_e32 v24, v27, v30
	v_and_b32_e32 v26, 0xffff, v47
	s_waitcnt lgkmcnt(0)
	v_lshrrev_b32_e32 v22, 16, v36
	v_and_b32_e32 v25, 0xffff, v36
	v_and_b32_e32 v27, 0xffff, v48
	v_fmac_f32_e32 v20, v28, v29
	;;#ASMSTART
	v_cvt_f32_f16 v25, v25;
	;;#ASMEND
	;;#ASMSTART
	v_cvt_f32_f16 v22, v22;
	;;#ASMEND
	;; [unrolled: 3-line block ×4, first 2 shown]
	ds_read_b32 v28, v15 offset:56
	v_fmac_f32_e32 v20, v32, v33
	v_fmac_f32_e32 v24, v31, v34
	;; [unrolled: 1-line block ×4, first 2 shown]
	s_waitcnt lgkmcnt(0)
	v_lshrrev_b32_e32 v2, 16, v28
	v_and_b32_e32 v21, 0xffff, v28
	v_and_b32_e32 v23, 0xffff, v49
	;; [unrolled: 1-line block ×3, first 2 shown]
	;;#ASMSTART
	v_cvt_f32_f16 v21, v21;
	;;#ASMEND
	;;#ASMSTART
	v_cvt_f32_f16 v2, v2;
	;;#ASMEND
	;; [unrolled: 3-line block ×4, first 2 shown]
	ds_read_b32 v29, v15 offset:60
	v_fmac_f32_e32 v20, v25, v26
	v_fmac_f32_e32 v24, v22, v27
	;; [unrolled: 1-line block ×4, first 2 shown]
	s_waitcnt lgkmcnt(0)
	v_lshrrev_b32_e32 v2, 16, v29
	v_and_b32_e32 v21, 0xffff, v29
	;;#ASMSTART
	v_cvt_f32_f16 v21, v21;
	;;#ASMEND
	;;#ASMSTART
	v_cvt_f32_f16 v2, v2;
	;;#ASMEND
	v_and_b32_e32 v10, 0xffff, v10
	v_and_b32_e32 v11, 0xffff, v11
	;;#ASMSTART
	v_cvt_f32_f16 v10, v10;
	;;#ASMEND
	;;#ASMSTART
	v_cvt_f32_f16 v11, v11;
	;;#ASMEND
	s_nop 0
	v_fmac_f32_e32 v24, v2, v11
	v_and_b32_e32 v2, 64, v13
	v_add_u32_e32 v2, 64, v2
	v_xor_b32_e32 v11, 2, v13
	v_cmp_lt_i32_e64 s[8:9], v11, v2
	v_fmac_f32_e32 v20, v21, v10
	v_add_f32_e32 v10, v20, v24
	v_cndmask_b32_e64 v11, v13, v11, s[8:9]
	v_lshlrev_b32_e32 v11, 2, v11
	ds_bpermute_b32 v11, v11, v10
	s_waitcnt lgkmcnt(0)
	v_add_f32_e32 v10, v10, v11
	v_xor_b32_e32 v11, 1, v13
	v_cmp_lt_i32_e64 s[8:9], v11, v2
	s_nop 1
	v_cndmask_b32_e64 v11, v13, v11, s[8:9]
	v_lshlrev_b32_e32 v11, 2, v11
	ds_bpermute_b32 v11, v11, v10
	s_and_saveexec_b64 s[36:37], vcc
	s_cbranch_execz .LBB253_8
; %bb.138:                              ;   in Loop: Header=BB253_9 Depth=1
	v_add_u32_e32 v20, s43, v16
	v_cvt_f32_i32_e32 v20, v20
	s_waitcnt lgkmcnt(0)
	v_add_f32_e32 v10, v10, v11
	v_cmp_gt_i32_e64 s[8:9], s33, v16
	v_max_f32_e32 v11, v14, v14
	v_mul_f32_e32 v20, s10, v20
	v_cndmask_b32_e64 v20, 0, v20, s[0:1]
	v_fmac_f32_e32 v20, s11, v10
	v_cndmask_b32_e64 v10, 0, v20, s[8:9]
	ds_write_b32 v17, v10
	v_max_f32_e32 v10, v11, v20
	v_cndmask_b32_e64 v14, v14, v10, s[8:9]
	s_branch .LBB253_8
.LBB253_139:                            ;   in Loop: Header=BB253_9 Depth=1
	v_cmp_eq_u16_sdwa s[48:49], v2, s45 src0_sel:BYTE_0 src1_sel:DWORD
	s_mov_b64 s[8:9], -1
                                        ; implicit-def: $sgpr40
	s_and_saveexec_b64 s[38:39], s[48:49]
; %bb.140:                              ;   in Loop: Header=BB253_9 Depth=1
	s_mov_b32 s40, 0x7fc02000
	s_xor_b64 s[8:9], exec, -1
; %bb.141:                              ;   in Loop: Header=BB253_9 Depth=1
	s_or_b64 exec, exec, s[38:39]
	s_and_b64 s[8:9], s[8:9], exec
	s_or_saveexec_b64 s[36:37], s[36:37]
	v_mov_b32_e32 v21, s40
	s_xor_b64 exec, exec, s[36:37]
	s_cbranch_execz .LBB253_11
.LBB253_142:                            ;   in Loop: Header=BB253_9 Depth=1
	v_cmp_ne_u16_sdwa s[38:39], v2, v3 src0_sel:BYTE_0 src1_sel:DWORD
	s_andn2_b64 s[8:9], s[8:9], exec
	s_and_b64 s[38:39], s[38:39], exec
	v_mov_b32_e32 v21, 0
	s_or_b64 s[8:9], s[8:9], s[38:39]
	s_or_b64 exec, exec, s[36:37]
	v_and_b32_e32 v2, 0xffff, v2
	s_and_saveexec_b64 s[36:37], s[8:9]
	s_cbranch_execnz .LBB253_12
	s_branch .LBB253_13
.LBB253_143:                            ;   in Loop: Header=BB253_9 Depth=1
	v_cmp_eq_u16_e64 s[8:9], s45, v2
	s_mov_b64 s[36:37], -1
                                        ; implicit-def: $sgpr47
	s_and_saveexec_b64 s[40:41], s[8:9]
; %bb.144:                              ;   in Loop: Header=BB253_9 Depth=1
	s_mov_b32 s47, 0x7fc02000
	s_xor_b64 s[36:37], exec, -1
; %bb.145:                              ;   in Loop: Header=BB253_9 Depth=1
	s_or_b64 exec, exec, s[40:41]
	s_and_b64 s[36:37], s[36:37], exec
	s_or_saveexec_b64 s[38:39], s[38:39]
	v_mov_b32_e32 v22, s47
	s_xor_b64 exec, exec, s[38:39]
	s_cbranch_execz .LBB253_15
.LBB253_146:                            ;   in Loop: Header=BB253_9 Depth=1
	v_cmp_ne_u16_e64 s[8:9], 0, v2
	s_andn2_b64 s[36:37], s[36:37], exec
	s_and_b64 s[8:9], s[8:9], exec
	v_mov_b32_e32 v22, 0
	s_or_b64 s[36:37], s[36:37], s[8:9]
	s_or_b64 exec, exec, s[38:39]
	s_and_saveexec_b64 s[38:39], s[36:37]
	s_cbranch_execnz .LBB253_16
	s_branch .LBB253_17
.LBB253_147:                            ;   in Loop: Header=BB253_9 Depth=1
	v_cmp_eq_u16_sdwa s[48:49], v2, s45 src0_sel:BYTE_0 src1_sel:DWORD
	s_mov_b64 s[8:9], -1
                                        ; implicit-def: $sgpr40
	s_and_saveexec_b64 s[38:39], s[48:49]
; %bb.148:                              ;   in Loop: Header=BB253_9 Depth=1
	s_mov_b32 s40, 0x7fc02000
	s_xor_b64 s[8:9], exec, -1
; %bb.149:                              ;   in Loop: Header=BB253_9 Depth=1
	s_or_b64 exec, exec, s[38:39]
	s_and_b64 s[8:9], s[8:9], exec
	s_or_saveexec_b64 s[36:37], s[36:37]
	v_mov_b32_e32 v23, s40
	s_xor_b64 exec, exec, s[36:37]
	s_cbranch_execz .LBB253_19
.LBB253_150:                            ;   in Loop: Header=BB253_9 Depth=1
	v_cmp_ne_u16_sdwa s[38:39], v2, v3 src0_sel:BYTE_0 src1_sel:DWORD
	s_andn2_b64 s[8:9], s[8:9], exec
	s_and_b64 s[38:39], s[38:39], exec
	v_mov_b32_e32 v23, 0
	s_or_b64 s[8:9], s[8:9], s[38:39]
	s_or_b64 exec, exec, s[36:37]
	v_and_b32_e32 v2, 0xffff, v2
	s_and_saveexec_b64 s[36:37], s[8:9]
	s_cbranch_execnz .LBB253_20
	s_branch .LBB253_21
.LBB253_151:                            ;   in Loop: Header=BB253_9 Depth=1
	v_cmp_eq_u16_e64 s[8:9], s45, v2
	s_mov_b64 s[36:37], -1
                                        ; implicit-def: $sgpr47
	s_and_saveexec_b64 s[40:41], s[8:9]
; %bb.152:                              ;   in Loop: Header=BB253_9 Depth=1
	s_mov_b32 s47, 0x7fc02000
	s_xor_b64 s[36:37], exec, -1
; %bb.153:                              ;   in Loop: Header=BB253_9 Depth=1
	s_or_b64 exec, exec, s[40:41]
	s_and_b64 s[36:37], s[36:37], exec
	s_or_saveexec_b64 s[38:39], s[38:39]
	v_mov_b32_e32 v24, s47
	s_xor_b64 exec, exec, s[38:39]
	s_cbranch_execz .LBB253_23
.LBB253_154:                            ;   in Loop: Header=BB253_9 Depth=1
	v_cmp_ne_u16_e64 s[8:9], 0, v2
	s_andn2_b64 s[36:37], s[36:37], exec
	s_and_b64 s[8:9], s[8:9], exec
	v_mov_b32_e32 v24, 0
	s_or_b64 s[36:37], s[36:37], s[8:9]
	s_or_b64 exec, exec, s[38:39]
	s_and_saveexec_b64 s[38:39], s[36:37]
	s_cbranch_execnz .LBB253_24
	s_branch .LBB253_25
.LBB253_155:                            ;   in Loop: Header=BB253_9 Depth=1
	v_cmp_eq_u16_sdwa s[48:49], v2, s45 src0_sel:BYTE_0 src1_sel:DWORD
	s_mov_b64 s[8:9], -1
                                        ; implicit-def: $sgpr40
	s_and_saveexec_b64 s[38:39], s[48:49]
; %bb.156:                              ;   in Loop: Header=BB253_9 Depth=1
	s_mov_b32 s40, 0x7fc02000
	s_xor_b64 s[8:9], exec, -1
; %bb.157:                              ;   in Loop: Header=BB253_9 Depth=1
	s_or_b64 exec, exec, s[38:39]
	s_and_b64 s[8:9], s[8:9], exec
	s_or_saveexec_b64 s[36:37], s[36:37]
	v_mov_b32_e32 v25, s40
	s_xor_b64 exec, exec, s[36:37]
	s_cbranch_execz .LBB253_27
.LBB253_158:                            ;   in Loop: Header=BB253_9 Depth=1
	v_cmp_ne_u16_sdwa s[38:39], v2, v3 src0_sel:BYTE_0 src1_sel:DWORD
	s_andn2_b64 s[8:9], s[8:9], exec
	s_and_b64 s[38:39], s[38:39], exec
	v_mov_b32_e32 v25, 0
	s_or_b64 s[8:9], s[8:9], s[38:39]
	s_or_b64 exec, exec, s[36:37]
	v_and_b32_e32 v2, 0xffff, v2
	s_and_saveexec_b64 s[36:37], s[8:9]
	s_cbranch_execnz .LBB253_28
	s_branch .LBB253_29
.LBB253_159:                            ;   in Loop: Header=BB253_9 Depth=1
	v_cmp_eq_u16_e64 s[8:9], s45, v2
	s_mov_b64 s[36:37], -1
                                        ; implicit-def: $sgpr47
	s_and_saveexec_b64 s[40:41], s[8:9]
; %bb.160:                              ;   in Loop: Header=BB253_9 Depth=1
	s_mov_b32 s47, 0x7fc02000
	s_xor_b64 s[36:37], exec, -1
; %bb.161:                              ;   in Loop: Header=BB253_9 Depth=1
	s_or_b64 exec, exec, s[40:41]
	s_and_b64 s[36:37], s[36:37], exec
	s_or_saveexec_b64 s[38:39], s[38:39]
	v_mov_b32_e32 v26, s47
	s_xor_b64 exec, exec, s[38:39]
	s_cbranch_execz .LBB253_31
.LBB253_162:                            ;   in Loop: Header=BB253_9 Depth=1
	v_cmp_ne_u16_e64 s[8:9], 0, v2
	s_andn2_b64 s[36:37], s[36:37], exec
	s_and_b64 s[8:9], s[8:9], exec
	v_mov_b32_e32 v26, 0
	s_or_b64 s[36:37], s[36:37], s[8:9]
	s_or_b64 exec, exec, s[38:39]
	s_and_saveexec_b64 s[38:39], s[36:37]
	s_cbranch_execnz .LBB253_32
	s_branch .LBB253_33
.LBB253_163:                            ;   in Loop: Header=BB253_9 Depth=1
	v_cmp_eq_u16_sdwa s[48:49], v2, s45 src0_sel:BYTE_0 src1_sel:DWORD
	s_mov_b64 s[8:9], -1
                                        ; implicit-def: $sgpr40
	s_and_saveexec_b64 s[38:39], s[48:49]
; %bb.164:                              ;   in Loop: Header=BB253_9 Depth=1
	s_mov_b32 s40, 0x7fc02000
	s_xor_b64 s[8:9], exec, -1
; %bb.165:                              ;   in Loop: Header=BB253_9 Depth=1
	s_or_b64 exec, exec, s[38:39]
	s_and_b64 s[8:9], s[8:9], exec
	s_or_saveexec_b64 s[36:37], s[36:37]
	v_mov_b32_e32 v27, s40
	s_xor_b64 exec, exec, s[36:37]
	s_cbranch_execz .LBB253_35
.LBB253_166:                            ;   in Loop: Header=BB253_9 Depth=1
	v_cmp_ne_u16_sdwa s[38:39], v2, v3 src0_sel:BYTE_0 src1_sel:DWORD
	s_andn2_b64 s[8:9], s[8:9], exec
	s_and_b64 s[38:39], s[38:39], exec
	v_mov_b32_e32 v27, 0
	s_or_b64 s[8:9], s[8:9], s[38:39]
	s_or_b64 exec, exec, s[36:37]
	v_and_b32_e32 v2, 0xffff, v2
	s_and_saveexec_b64 s[36:37], s[8:9]
	s_cbranch_execnz .LBB253_36
	s_branch .LBB253_37
.LBB253_167:                            ;   in Loop: Header=BB253_9 Depth=1
	v_cmp_eq_u16_e64 s[8:9], s45, v2
	s_mov_b64 s[36:37], -1
                                        ; implicit-def: $sgpr47
	s_and_saveexec_b64 s[40:41], s[8:9]
; %bb.168:                              ;   in Loop: Header=BB253_9 Depth=1
	s_mov_b32 s47, 0x7fc02000
	s_xor_b64 s[36:37], exec, -1
; %bb.169:                              ;   in Loop: Header=BB253_9 Depth=1
	s_or_b64 exec, exec, s[40:41]
	s_and_b64 s[36:37], s[36:37], exec
	s_or_saveexec_b64 s[38:39], s[38:39]
	v_mov_b32_e32 v28, s47
	s_xor_b64 exec, exec, s[38:39]
	s_cbranch_execz .LBB253_39
.LBB253_170:                            ;   in Loop: Header=BB253_9 Depth=1
	v_cmp_ne_u16_e64 s[8:9], 0, v2
	s_andn2_b64 s[36:37], s[36:37], exec
	s_and_b64 s[8:9], s[8:9], exec
	v_mov_b32_e32 v28, 0
	s_or_b64 s[36:37], s[36:37], s[8:9]
	s_or_b64 exec, exec, s[38:39]
	s_and_saveexec_b64 s[38:39], s[36:37]
	s_cbranch_execnz .LBB253_40
	s_branch .LBB253_41
.LBB253_171:                            ;   in Loop: Header=BB253_9 Depth=1
	v_cmp_eq_u16_sdwa s[48:49], v2, s45 src0_sel:BYTE_0 src1_sel:DWORD
	s_mov_b64 s[8:9], -1
                                        ; implicit-def: $sgpr40
	s_and_saveexec_b64 s[38:39], s[48:49]
; %bb.172:                              ;   in Loop: Header=BB253_9 Depth=1
	s_mov_b32 s40, 0x7fc02000
	s_xor_b64 s[8:9], exec, -1
; %bb.173:                              ;   in Loop: Header=BB253_9 Depth=1
	s_or_b64 exec, exec, s[38:39]
	s_and_b64 s[8:9], s[8:9], exec
	s_or_saveexec_b64 s[36:37], s[36:37]
	v_mov_b32_e32 v29, s40
	s_xor_b64 exec, exec, s[36:37]
	s_cbranch_execz .LBB253_43
.LBB253_174:                            ;   in Loop: Header=BB253_9 Depth=1
	v_cmp_ne_u16_sdwa s[38:39], v2, v3 src0_sel:BYTE_0 src1_sel:DWORD
	s_andn2_b64 s[8:9], s[8:9], exec
	s_and_b64 s[38:39], s[38:39], exec
	v_mov_b32_e32 v29, 0
	s_or_b64 s[8:9], s[8:9], s[38:39]
	s_or_b64 exec, exec, s[36:37]
	v_and_b32_e32 v2, 0xffff, v2
	s_and_saveexec_b64 s[36:37], s[8:9]
	s_cbranch_execnz .LBB253_44
	s_branch .LBB253_45
.LBB253_175:                            ;   in Loop: Header=BB253_9 Depth=1
	v_cmp_eq_u16_e64 s[8:9], s45, v2
	s_mov_b64 s[36:37], -1
                                        ; implicit-def: $sgpr47
	s_and_saveexec_b64 s[40:41], s[8:9]
; %bb.176:                              ;   in Loop: Header=BB253_9 Depth=1
	s_mov_b32 s47, 0x7fc02000
	s_xor_b64 s[36:37], exec, -1
; %bb.177:                              ;   in Loop: Header=BB253_9 Depth=1
	s_or_b64 exec, exec, s[40:41]
	s_and_b64 s[36:37], s[36:37], exec
	s_or_saveexec_b64 s[38:39], s[38:39]
	v_mov_b32_e32 v30, s47
	s_xor_b64 exec, exec, s[38:39]
	s_cbranch_execz .LBB253_47
.LBB253_178:                            ;   in Loop: Header=BB253_9 Depth=1
	v_cmp_ne_u16_e64 s[8:9], 0, v2
	s_andn2_b64 s[36:37], s[36:37], exec
	s_and_b64 s[8:9], s[8:9], exec
	v_mov_b32_e32 v30, 0
	s_or_b64 s[36:37], s[36:37], s[8:9]
	s_or_b64 exec, exec, s[38:39]
	s_and_saveexec_b64 s[38:39], s[36:37]
	s_cbranch_execnz .LBB253_48
	s_branch .LBB253_49
.LBB253_179:                            ;   in Loop: Header=BB253_9 Depth=1
	v_cmp_eq_u16_sdwa s[48:49], v2, s45 src0_sel:BYTE_0 src1_sel:DWORD
	s_mov_b64 s[8:9], -1
                                        ; implicit-def: $sgpr40
	s_and_saveexec_b64 s[38:39], s[48:49]
; %bb.180:                              ;   in Loop: Header=BB253_9 Depth=1
	s_mov_b32 s40, 0x7fc02000
	s_xor_b64 s[8:9], exec, -1
; %bb.181:                              ;   in Loop: Header=BB253_9 Depth=1
	s_or_b64 exec, exec, s[38:39]
	s_and_b64 s[8:9], s[8:9], exec
	s_or_saveexec_b64 s[36:37], s[36:37]
	v_mov_b32_e32 v31, s40
	s_xor_b64 exec, exec, s[36:37]
	s_cbranch_execz .LBB253_51
.LBB253_182:                            ;   in Loop: Header=BB253_9 Depth=1
	v_cmp_ne_u16_sdwa s[38:39], v2, v3 src0_sel:BYTE_0 src1_sel:DWORD
	s_andn2_b64 s[8:9], s[8:9], exec
	s_and_b64 s[38:39], s[38:39], exec
	v_mov_b32_e32 v31, 0
	s_or_b64 s[8:9], s[8:9], s[38:39]
	s_or_b64 exec, exec, s[36:37]
	v_and_b32_e32 v2, 0xffff, v2
	s_and_saveexec_b64 s[36:37], s[8:9]
	s_cbranch_execnz .LBB253_52
	s_branch .LBB253_53
.LBB253_183:                            ;   in Loop: Header=BB253_9 Depth=1
	v_cmp_eq_u16_e64 s[8:9], s45, v2
	s_mov_b64 s[36:37], -1
                                        ; implicit-def: $sgpr47
	s_and_saveexec_b64 s[40:41], s[8:9]
; %bb.184:                              ;   in Loop: Header=BB253_9 Depth=1
	s_mov_b32 s47, 0x7fc02000
	s_xor_b64 s[36:37], exec, -1
; %bb.185:                              ;   in Loop: Header=BB253_9 Depth=1
	s_or_b64 exec, exec, s[40:41]
	s_and_b64 s[36:37], s[36:37], exec
	s_or_saveexec_b64 s[38:39], s[38:39]
	v_mov_b32_e32 v32, s47
	s_xor_b64 exec, exec, s[38:39]
	s_cbranch_execz .LBB253_55
.LBB253_186:                            ;   in Loop: Header=BB253_9 Depth=1
	v_cmp_ne_u16_e64 s[8:9], 0, v2
	s_andn2_b64 s[36:37], s[36:37], exec
	s_and_b64 s[8:9], s[8:9], exec
	v_mov_b32_e32 v32, 0
	s_or_b64 s[36:37], s[36:37], s[8:9]
	s_or_b64 exec, exec, s[38:39]
	s_and_saveexec_b64 s[38:39], s[36:37]
	s_cbranch_execnz .LBB253_56
	s_branch .LBB253_57
.LBB253_187:                            ;   in Loop: Header=BB253_9 Depth=1
	v_cmp_eq_u16_sdwa s[48:49], v2, s45 src0_sel:BYTE_0 src1_sel:DWORD
	s_mov_b64 s[8:9], -1
                                        ; implicit-def: $sgpr40
	s_and_saveexec_b64 s[38:39], s[48:49]
; %bb.188:                              ;   in Loop: Header=BB253_9 Depth=1
	s_mov_b32 s40, 0x7fc02000
	s_xor_b64 s[8:9], exec, -1
; %bb.189:                              ;   in Loop: Header=BB253_9 Depth=1
	s_or_b64 exec, exec, s[38:39]
	s_and_b64 s[8:9], s[8:9], exec
	s_or_saveexec_b64 s[36:37], s[36:37]
	v_mov_b32_e32 v33, s40
	s_xor_b64 exec, exec, s[36:37]
	s_cbranch_execz .LBB253_59
.LBB253_190:                            ;   in Loop: Header=BB253_9 Depth=1
	v_cmp_ne_u16_sdwa s[38:39], v2, v3 src0_sel:BYTE_0 src1_sel:DWORD
	s_andn2_b64 s[8:9], s[8:9], exec
	s_and_b64 s[38:39], s[38:39], exec
	v_mov_b32_e32 v33, 0
	s_or_b64 s[8:9], s[8:9], s[38:39]
	s_or_b64 exec, exec, s[36:37]
	v_and_b32_e32 v2, 0xffff, v2
	s_and_saveexec_b64 s[36:37], s[8:9]
	s_cbranch_execnz .LBB253_60
	s_branch .LBB253_61
.LBB253_191:                            ;   in Loop: Header=BB253_9 Depth=1
	v_cmp_eq_u16_e64 s[8:9], s45, v2
	s_mov_b64 s[36:37], -1
                                        ; implicit-def: $sgpr47
	s_and_saveexec_b64 s[40:41], s[8:9]
; %bb.192:                              ;   in Loop: Header=BB253_9 Depth=1
	s_mov_b32 s47, 0x7fc02000
	s_xor_b64 s[36:37], exec, -1
; %bb.193:                              ;   in Loop: Header=BB253_9 Depth=1
	s_or_b64 exec, exec, s[40:41]
	s_and_b64 s[36:37], s[36:37], exec
	s_or_saveexec_b64 s[38:39], s[38:39]
	v_mov_b32_e32 v34, s47
	s_xor_b64 exec, exec, s[38:39]
	s_cbranch_execz .LBB253_63
.LBB253_194:                            ;   in Loop: Header=BB253_9 Depth=1
	v_cmp_ne_u16_e64 s[8:9], 0, v2
	s_andn2_b64 s[36:37], s[36:37], exec
	s_and_b64 s[8:9], s[8:9], exec
	v_mov_b32_e32 v34, 0
	s_or_b64 s[36:37], s[36:37], s[8:9]
	s_or_b64 exec, exec, s[38:39]
	s_and_saveexec_b64 s[38:39], s[36:37]
	s_cbranch_execnz .LBB253_64
	s_branch .LBB253_65
.LBB253_195:                            ;   in Loop: Header=BB253_9 Depth=1
	v_cmp_eq_u16_sdwa s[48:49], v2, s45 src0_sel:BYTE_0 src1_sel:DWORD
	s_mov_b64 s[8:9], -1
                                        ; implicit-def: $sgpr40
	s_and_saveexec_b64 s[38:39], s[48:49]
; %bb.196:                              ;   in Loop: Header=BB253_9 Depth=1
	s_mov_b32 s40, 0x7fc02000
	s_xor_b64 s[8:9], exec, -1
; %bb.197:                              ;   in Loop: Header=BB253_9 Depth=1
	s_or_b64 exec, exec, s[38:39]
	s_and_b64 s[8:9], s[8:9], exec
	s_or_saveexec_b64 s[36:37], s[36:37]
	v_mov_b32_e32 v35, s40
	s_xor_b64 exec, exec, s[36:37]
	s_cbranch_execz .LBB253_67
.LBB253_198:                            ;   in Loop: Header=BB253_9 Depth=1
	v_cmp_ne_u16_sdwa s[38:39], v2, v3 src0_sel:BYTE_0 src1_sel:DWORD
	s_andn2_b64 s[8:9], s[8:9], exec
	s_and_b64 s[38:39], s[38:39], exec
	v_mov_b32_e32 v35, 0
	s_or_b64 s[8:9], s[8:9], s[38:39]
	s_or_b64 exec, exec, s[36:37]
	v_and_b32_e32 v2, 0xffff, v2
	s_and_saveexec_b64 s[36:37], s[8:9]
	s_cbranch_execnz .LBB253_68
	s_branch .LBB253_69
.LBB253_199:                            ;   in Loop: Header=BB253_9 Depth=1
	v_cmp_eq_u16_e64 s[8:9], s45, v2
	s_mov_b64 s[36:37], -1
                                        ; implicit-def: $sgpr47
	s_and_saveexec_b64 s[40:41], s[8:9]
; %bb.200:                              ;   in Loop: Header=BB253_9 Depth=1
	s_mov_b32 s47, 0x7fc02000
	s_xor_b64 s[36:37], exec, -1
; %bb.201:                              ;   in Loop: Header=BB253_9 Depth=1
	s_or_b64 exec, exec, s[40:41]
	s_and_b64 s[36:37], s[36:37], exec
	s_or_saveexec_b64 s[38:39], s[38:39]
	v_mov_b32_e32 v36, s47
	s_xor_b64 exec, exec, s[38:39]
	s_cbranch_execz .LBB253_71
.LBB253_202:                            ;   in Loop: Header=BB253_9 Depth=1
	v_cmp_ne_u16_e64 s[8:9], 0, v2
	s_andn2_b64 s[36:37], s[36:37], exec
	s_and_b64 s[8:9], s[8:9], exec
	v_mov_b32_e32 v36, 0
	s_or_b64 s[36:37], s[36:37], s[8:9]
	s_or_b64 exec, exec, s[38:39]
	s_and_saveexec_b64 s[38:39], s[36:37]
	s_cbranch_execnz .LBB253_72
	s_branch .LBB253_73
.LBB253_203:                            ;   in Loop: Header=BB253_9 Depth=1
	v_cmp_eq_u16_sdwa s[48:49], v2, s45 src0_sel:BYTE_0 src1_sel:DWORD
	s_mov_b64 s[8:9], -1
                                        ; implicit-def: $sgpr40
	s_and_saveexec_b64 s[38:39], s[48:49]
; %bb.204:                              ;   in Loop: Header=BB253_9 Depth=1
	s_mov_b32 s40, 0x7fc02000
	s_xor_b64 s[8:9], exec, -1
; %bb.205:                              ;   in Loop: Header=BB253_9 Depth=1
	s_or_b64 exec, exec, s[38:39]
	s_and_b64 s[8:9], s[8:9], exec
	s_or_saveexec_b64 s[36:37], s[36:37]
	v_mov_b32_e32 v37, s40
	s_xor_b64 exec, exec, s[36:37]
	s_cbranch_execz .LBB253_75
.LBB253_206:                            ;   in Loop: Header=BB253_9 Depth=1
	v_cmp_ne_u16_sdwa s[38:39], v2, v3 src0_sel:BYTE_0 src1_sel:DWORD
	s_andn2_b64 s[8:9], s[8:9], exec
	s_and_b64 s[38:39], s[38:39], exec
	v_mov_b32_e32 v37, 0
	s_or_b64 s[8:9], s[8:9], s[38:39]
	s_or_b64 exec, exec, s[36:37]
	v_and_b32_e32 v2, 0xffff, v2
	s_and_saveexec_b64 s[36:37], s[8:9]
	s_cbranch_execnz .LBB253_76
	s_branch .LBB253_77
.LBB253_207:                            ;   in Loop: Header=BB253_9 Depth=1
	v_cmp_eq_u16_e64 s[8:9], s45, v2
	s_mov_b64 s[36:37], -1
                                        ; implicit-def: $sgpr47
	s_and_saveexec_b64 s[40:41], s[8:9]
; %bb.208:                              ;   in Loop: Header=BB253_9 Depth=1
	s_mov_b32 s47, 0x7fc02000
	s_xor_b64 s[36:37], exec, -1
; %bb.209:                              ;   in Loop: Header=BB253_9 Depth=1
	s_or_b64 exec, exec, s[40:41]
	s_and_b64 s[36:37], s[36:37], exec
	s_or_saveexec_b64 s[38:39], s[38:39]
	v_mov_b32_e32 v38, s47
	s_xor_b64 exec, exec, s[38:39]
	s_cbranch_execz .LBB253_79
.LBB253_210:                            ;   in Loop: Header=BB253_9 Depth=1
	v_cmp_ne_u16_e64 s[8:9], 0, v2
	s_andn2_b64 s[36:37], s[36:37], exec
	s_and_b64 s[8:9], s[8:9], exec
	v_mov_b32_e32 v38, 0
	s_or_b64 s[36:37], s[36:37], s[8:9]
	s_or_b64 exec, exec, s[38:39]
	s_and_saveexec_b64 s[38:39], s[36:37]
	s_cbranch_execnz .LBB253_80
	s_branch .LBB253_81
.LBB253_211:                            ;   in Loop: Header=BB253_9 Depth=1
	v_cmp_eq_u16_sdwa s[48:49], v2, s45 src0_sel:BYTE_0 src1_sel:DWORD
	s_mov_b64 s[8:9], -1
                                        ; implicit-def: $sgpr40
	s_and_saveexec_b64 s[38:39], s[48:49]
; %bb.212:                              ;   in Loop: Header=BB253_9 Depth=1
	s_mov_b32 s40, 0x7fc02000
	s_xor_b64 s[8:9], exec, -1
; %bb.213:                              ;   in Loop: Header=BB253_9 Depth=1
	s_or_b64 exec, exec, s[38:39]
	s_and_b64 s[8:9], s[8:9], exec
	s_or_saveexec_b64 s[36:37], s[36:37]
	v_mov_b32_e32 v39, s40
	s_xor_b64 exec, exec, s[36:37]
	s_cbranch_execz .LBB253_83
.LBB253_214:                            ;   in Loop: Header=BB253_9 Depth=1
	v_cmp_ne_u16_sdwa s[38:39], v2, v3 src0_sel:BYTE_0 src1_sel:DWORD
	s_andn2_b64 s[8:9], s[8:9], exec
	s_and_b64 s[38:39], s[38:39], exec
	v_mov_b32_e32 v39, 0
	s_or_b64 s[8:9], s[8:9], s[38:39]
	s_or_b64 exec, exec, s[36:37]
	v_and_b32_e32 v2, 0xffff, v2
	s_and_saveexec_b64 s[36:37], s[8:9]
	s_cbranch_execnz .LBB253_84
	s_branch .LBB253_85
.LBB253_215:                            ;   in Loop: Header=BB253_9 Depth=1
	v_cmp_eq_u16_e64 s[8:9], s45, v2
	s_mov_b64 s[36:37], -1
                                        ; implicit-def: $sgpr47
	s_and_saveexec_b64 s[40:41], s[8:9]
; %bb.216:                              ;   in Loop: Header=BB253_9 Depth=1
	s_mov_b32 s47, 0x7fc02000
	s_xor_b64 s[36:37], exec, -1
; %bb.217:                              ;   in Loop: Header=BB253_9 Depth=1
	s_or_b64 exec, exec, s[40:41]
	s_and_b64 s[36:37], s[36:37], exec
	s_or_saveexec_b64 s[38:39], s[38:39]
	v_mov_b32_e32 v40, s47
	s_xor_b64 exec, exec, s[38:39]
	s_cbranch_execz .LBB253_87
.LBB253_218:                            ;   in Loop: Header=BB253_9 Depth=1
	v_cmp_ne_u16_e64 s[8:9], 0, v2
	s_andn2_b64 s[36:37], s[36:37], exec
	s_and_b64 s[8:9], s[8:9], exec
	v_mov_b32_e32 v40, 0
	s_or_b64 s[36:37], s[36:37], s[8:9]
	s_or_b64 exec, exec, s[38:39]
	s_and_saveexec_b64 s[38:39], s[36:37]
	s_cbranch_execnz .LBB253_88
	s_branch .LBB253_89
.LBB253_219:                            ;   in Loop: Header=BB253_9 Depth=1
	v_cmp_eq_u16_sdwa s[48:49], v2, s45 src0_sel:BYTE_0 src1_sel:DWORD
	s_mov_b64 s[8:9], -1
                                        ; implicit-def: $sgpr40
	s_and_saveexec_b64 s[38:39], s[48:49]
; %bb.220:                              ;   in Loop: Header=BB253_9 Depth=1
	s_mov_b32 s40, 0x7fc02000
	s_xor_b64 s[8:9], exec, -1
; %bb.221:                              ;   in Loop: Header=BB253_9 Depth=1
	s_or_b64 exec, exec, s[38:39]
	s_and_b64 s[8:9], s[8:9], exec
	s_or_saveexec_b64 s[36:37], s[36:37]
	v_mov_b32_e32 v41, s40
	s_xor_b64 exec, exec, s[36:37]
	s_cbranch_execz .LBB253_91
.LBB253_222:                            ;   in Loop: Header=BB253_9 Depth=1
	v_cmp_ne_u16_sdwa s[38:39], v2, v3 src0_sel:BYTE_0 src1_sel:DWORD
	s_andn2_b64 s[8:9], s[8:9], exec
	s_and_b64 s[38:39], s[38:39], exec
	v_mov_b32_e32 v41, 0
	s_or_b64 s[8:9], s[8:9], s[38:39]
	s_or_b64 exec, exec, s[36:37]
	v_and_b32_e32 v2, 0xffff, v2
	s_and_saveexec_b64 s[36:37], s[8:9]
	s_cbranch_execnz .LBB253_92
	s_branch .LBB253_93
.LBB253_223:                            ;   in Loop: Header=BB253_9 Depth=1
	v_cmp_eq_u16_e64 s[8:9], s45, v2
	s_mov_b64 s[36:37], -1
                                        ; implicit-def: $sgpr47
	s_and_saveexec_b64 s[40:41], s[8:9]
; %bb.224:                              ;   in Loop: Header=BB253_9 Depth=1
	s_mov_b32 s47, 0x7fc02000
	s_xor_b64 s[36:37], exec, -1
; %bb.225:                              ;   in Loop: Header=BB253_9 Depth=1
	s_or_b64 exec, exec, s[40:41]
	s_and_b64 s[36:37], s[36:37], exec
	s_or_saveexec_b64 s[38:39], s[38:39]
	v_mov_b32_e32 v42, s47
	s_xor_b64 exec, exec, s[38:39]
	s_cbranch_execz .LBB253_95
.LBB253_226:                            ;   in Loop: Header=BB253_9 Depth=1
	v_cmp_ne_u16_e64 s[8:9], 0, v2
	s_andn2_b64 s[36:37], s[36:37], exec
	s_and_b64 s[8:9], s[8:9], exec
	v_mov_b32_e32 v42, 0
	s_or_b64 s[36:37], s[36:37], s[8:9]
	s_or_b64 exec, exec, s[38:39]
	s_and_saveexec_b64 s[38:39], s[36:37]
	s_cbranch_execnz .LBB253_96
	s_branch .LBB253_97
.LBB253_227:                            ;   in Loop: Header=BB253_9 Depth=1
	v_cmp_eq_u16_sdwa s[48:49], v2, s45 src0_sel:BYTE_0 src1_sel:DWORD
	s_mov_b64 s[8:9], -1
                                        ; implicit-def: $sgpr40
	s_and_saveexec_b64 s[38:39], s[48:49]
; %bb.228:                              ;   in Loop: Header=BB253_9 Depth=1
	s_mov_b32 s40, 0x7fc02000
	s_xor_b64 s[8:9], exec, -1
; %bb.229:                              ;   in Loop: Header=BB253_9 Depth=1
	s_or_b64 exec, exec, s[38:39]
	s_and_b64 s[8:9], s[8:9], exec
	s_or_saveexec_b64 s[36:37], s[36:37]
	v_mov_b32_e32 v43, s40
	s_xor_b64 exec, exec, s[36:37]
	s_cbranch_execz .LBB253_99
.LBB253_230:                            ;   in Loop: Header=BB253_9 Depth=1
	v_cmp_ne_u16_sdwa s[38:39], v2, v3 src0_sel:BYTE_0 src1_sel:DWORD
	s_andn2_b64 s[8:9], s[8:9], exec
	s_and_b64 s[38:39], s[38:39], exec
	v_mov_b32_e32 v43, 0
	s_or_b64 s[8:9], s[8:9], s[38:39]
	s_or_b64 exec, exec, s[36:37]
	v_and_b32_e32 v2, 0xffff, v2
	s_and_saveexec_b64 s[36:37], s[8:9]
	s_cbranch_execnz .LBB253_100
	s_branch .LBB253_101
.LBB253_231:                            ;   in Loop: Header=BB253_9 Depth=1
	v_cmp_eq_u16_e64 s[8:9], s45, v2
	s_mov_b64 s[36:37], -1
                                        ; implicit-def: $sgpr47
	s_and_saveexec_b64 s[40:41], s[8:9]
; %bb.232:                              ;   in Loop: Header=BB253_9 Depth=1
	s_mov_b32 s47, 0x7fc02000
	s_xor_b64 s[36:37], exec, -1
; %bb.233:                              ;   in Loop: Header=BB253_9 Depth=1
	s_or_b64 exec, exec, s[40:41]
	s_and_b64 s[36:37], s[36:37], exec
	s_or_saveexec_b64 s[38:39], s[38:39]
	v_mov_b32_e32 v44, s47
	s_xor_b64 exec, exec, s[38:39]
	s_cbranch_execz .LBB253_103
.LBB253_234:                            ;   in Loop: Header=BB253_9 Depth=1
	v_cmp_ne_u16_e64 s[8:9], 0, v2
	s_andn2_b64 s[36:37], s[36:37], exec
	s_and_b64 s[8:9], s[8:9], exec
	v_mov_b32_e32 v44, 0
	s_or_b64 s[36:37], s[36:37], s[8:9]
	s_or_b64 exec, exec, s[38:39]
	s_and_saveexec_b64 s[38:39], s[36:37]
	s_cbranch_execnz .LBB253_104
	s_branch .LBB253_105
.LBB253_235:                            ;   in Loop: Header=BB253_9 Depth=1
	v_cmp_eq_u16_sdwa s[48:49], v2, s45 src0_sel:BYTE_0 src1_sel:DWORD
	s_mov_b64 s[8:9], -1
                                        ; implicit-def: $sgpr40
	s_and_saveexec_b64 s[38:39], s[48:49]
; %bb.236:                              ;   in Loop: Header=BB253_9 Depth=1
	s_mov_b32 s40, 0x7fc02000
	s_xor_b64 s[8:9], exec, -1
; %bb.237:                              ;   in Loop: Header=BB253_9 Depth=1
	s_or_b64 exec, exec, s[38:39]
	s_and_b64 s[8:9], s[8:9], exec
	s_or_saveexec_b64 s[36:37], s[36:37]
	v_mov_b32_e32 v45, s40
	s_xor_b64 exec, exec, s[36:37]
	s_cbranch_execz .LBB253_107
.LBB253_238:                            ;   in Loop: Header=BB253_9 Depth=1
	v_cmp_ne_u16_sdwa s[38:39], v2, v3 src0_sel:BYTE_0 src1_sel:DWORD
	s_andn2_b64 s[8:9], s[8:9], exec
	s_and_b64 s[38:39], s[38:39], exec
	v_mov_b32_e32 v45, 0
	s_or_b64 s[8:9], s[8:9], s[38:39]
	s_or_b64 exec, exec, s[36:37]
	v_and_b32_e32 v2, 0xffff, v2
	s_and_saveexec_b64 s[36:37], s[8:9]
	s_cbranch_execnz .LBB253_108
	s_branch .LBB253_109
.LBB253_239:                            ;   in Loop: Header=BB253_9 Depth=1
	v_cmp_eq_u16_e64 s[8:9], s45, v2
	s_mov_b64 s[36:37], -1
                                        ; implicit-def: $sgpr47
	s_and_saveexec_b64 s[40:41], s[8:9]
; %bb.240:                              ;   in Loop: Header=BB253_9 Depth=1
	s_mov_b32 s47, 0x7fc02000
	s_xor_b64 s[36:37], exec, -1
; %bb.241:                              ;   in Loop: Header=BB253_9 Depth=1
	s_or_b64 exec, exec, s[40:41]
	s_and_b64 s[36:37], s[36:37], exec
	s_or_saveexec_b64 s[38:39], s[38:39]
	v_mov_b32_e32 v46, s47
	s_xor_b64 exec, exec, s[38:39]
	s_cbranch_execz .LBB253_111
.LBB253_242:                            ;   in Loop: Header=BB253_9 Depth=1
	v_cmp_ne_u16_e64 s[8:9], 0, v2
	s_andn2_b64 s[36:37], s[36:37], exec
	s_and_b64 s[8:9], s[8:9], exec
	v_mov_b32_e32 v46, 0
	s_or_b64 s[36:37], s[36:37], s[8:9]
	s_or_b64 exec, exec, s[38:39]
	s_and_saveexec_b64 s[38:39], s[36:37]
	s_cbranch_execnz .LBB253_112
	s_branch .LBB253_113
.LBB253_243:                            ;   in Loop: Header=BB253_9 Depth=1
	v_cmp_eq_u16_sdwa s[48:49], v2, s45 src0_sel:BYTE_0 src1_sel:DWORD
	s_mov_b64 s[8:9], -1
                                        ; implicit-def: $sgpr40
	s_and_saveexec_b64 s[38:39], s[48:49]
; %bb.244:                              ;   in Loop: Header=BB253_9 Depth=1
	s_mov_b32 s40, 0x7fc02000
	s_xor_b64 s[8:9], exec, -1
; %bb.245:                              ;   in Loop: Header=BB253_9 Depth=1
	s_or_b64 exec, exec, s[38:39]
	s_and_b64 s[8:9], s[8:9], exec
	s_or_saveexec_b64 s[36:37], s[36:37]
	v_mov_b32_e32 v47, s40
	s_xor_b64 exec, exec, s[36:37]
	s_cbranch_execz .LBB253_115
.LBB253_246:                            ;   in Loop: Header=BB253_9 Depth=1
	v_cmp_ne_u16_sdwa s[38:39], v2, v3 src0_sel:BYTE_0 src1_sel:DWORD
	s_andn2_b64 s[8:9], s[8:9], exec
	s_and_b64 s[38:39], s[38:39], exec
	v_mov_b32_e32 v47, 0
	s_or_b64 s[8:9], s[8:9], s[38:39]
	s_or_b64 exec, exec, s[36:37]
	v_and_b32_e32 v2, 0xffff, v2
	s_and_saveexec_b64 s[36:37], s[8:9]
	s_cbranch_execnz .LBB253_116
	s_branch .LBB253_117
.LBB253_247:                            ;   in Loop: Header=BB253_9 Depth=1
	v_cmp_eq_u16_e64 s[8:9], s45, v2
	s_mov_b64 s[36:37], -1
                                        ; implicit-def: $sgpr47
	s_and_saveexec_b64 s[40:41], s[8:9]
; %bb.248:                              ;   in Loop: Header=BB253_9 Depth=1
	s_mov_b32 s47, 0x7fc02000
	s_xor_b64 s[36:37], exec, -1
; %bb.249:                              ;   in Loop: Header=BB253_9 Depth=1
	s_or_b64 exec, exec, s[40:41]
	s_and_b64 s[36:37], s[36:37], exec
	s_or_saveexec_b64 s[38:39], s[38:39]
	v_mov_b32_e32 v48, s47
	s_xor_b64 exec, exec, s[38:39]
	s_cbranch_execz .LBB253_119
.LBB253_250:                            ;   in Loop: Header=BB253_9 Depth=1
	v_cmp_ne_u16_e64 s[8:9], 0, v2
	s_andn2_b64 s[36:37], s[36:37], exec
	s_and_b64 s[8:9], s[8:9], exec
	v_mov_b32_e32 v48, 0
	s_or_b64 s[36:37], s[36:37], s[8:9]
	s_or_b64 exec, exec, s[38:39]
	s_and_saveexec_b64 s[38:39], s[36:37]
	s_cbranch_execnz .LBB253_120
	s_branch .LBB253_121
.LBB253_251:                            ;   in Loop: Header=BB253_9 Depth=1
	v_cmp_eq_u16_sdwa s[48:49], v2, s45 src0_sel:BYTE_0 src1_sel:DWORD
	s_mov_b64 s[8:9], -1
                                        ; implicit-def: $sgpr40
	s_and_saveexec_b64 s[38:39], s[48:49]
; %bb.252:                              ;   in Loop: Header=BB253_9 Depth=1
	s_mov_b32 s40, 0x7fc02000
	s_xor_b64 s[8:9], exec, -1
; %bb.253:                              ;   in Loop: Header=BB253_9 Depth=1
	s_or_b64 exec, exec, s[38:39]
	s_and_b64 s[8:9], s[8:9], exec
	s_or_saveexec_b64 s[36:37], s[36:37]
	v_mov_b32_e32 v49, s40
	s_xor_b64 exec, exec, s[36:37]
	s_cbranch_execz .LBB253_123
.LBB253_254:                            ;   in Loop: Header=BB253_9 Depth=1
	v_cmp_ne_u16_sdwa s[38:39], v2, v3 src0_sel:BYTE_0 src1_sel:DWORD
	s_andn2_b64 s[8:9], s[8:9], exec
	s_and_b64 s[38:39], s[38:39], exec
	v_mov_b32_e32 v49, 0
	s_or_b64 s[8:9], s[8:9], s[38:39]
	s_or_b64 exec, exec, s[36:37]
	v_and_b32_e32 v2, 0xffff, v2
	s_and_saveexec_b64 s[36:37], s[8:9]
	s_cbranch_execnz .LBB253_124
	s_branch .LBB253_125
.LBB253_255:                            ;   in Loop: Header=BB253_9 Depth=1
	v_cmp_eq_u16_e64 s[8:9], s45, v2
	s_mov_b64 s[36:37], -1
                                        ; implicit-def: $sgpr47
	s_and_saveexec_b64 s[40:41], s[8:9]
; %bb.256:                              ;   in Loop: Header=BB253_9 Depth=1
	s_mov_b32 s47, 0x7fc02000
	s_xor_b64 s[36:37], exec, -1
; %bb.257:                              ;   in Loop: Header=BB253_9 Depth=1
	s_or_b64 exec, exec, s[40:41]
	s_and_b64 s[36:37], s[36:37], exec
	s_or_saveexec_b64 s[38:39], s[38:39]
	v_mov_b32_e32 v50, s47
	s_xor_b64 exec, exec, s[38:39]
	s_cbranch_execz .LBB253_127
.LBB253_258:                            ;   in Loop: Header=BB253_9 Depth=1
	v_cmp_ne_u16_e64 s[8:9], 0, v2
	s_andn2_b64 s[36:37], s[36:37], exec
	s_and_b64 s[8:9], s[8:9], exec
	v_mov_b32_e32 v50, 0
	s_or_b64 s[36:37], s[36:37], s[8:9]
	s_or_b64 exec, exec, s[38:39]
	s_and_saveexec_b64 s[38:39], s[36:37]
	s_cbranch_execnz .LBB253_128
	s_branch .LBB253_129
.LBB253_259:                            ;   in Loop: Header=BB253_9 Depth=1
	v_cmp_eq_u16_sdwa s[48:49], v2, s45 src0_sel:BYTE_0 src1_sel:DWORD
	s_mov_b64 s[8:9], -1
                                        ; implicit-def: $sgpr40
	s_and_saveexec_b64 s[38:39], s[48:49]
; %bb.260:                              ;   in Loop: Header=BB253_9 Depth=1
	s_mov_b32 s40, 0x7fc02000
	s_xor_b64 s[8:9], exec, -1
; %bb.261:                              ;   in Loop: Header=BB253_9 Depth=1
	s_or_b64 exec, exec, s[38:39]
	s_and_b64 s[8:9], s[8:9], exec
	s_or_saveexec_b64 s[36:37], s[36:37]
	v_mov_b32_e32 v10, s40
	s_xor_b64 exec, exec, s[36:37]
	s_cbranch_execz .LBB253_131
.LBB253_262:                            ;   in Loop: Header=BB253_9 Depth=1
	v_cmp_ne_u16_sdwa s[38:39], v2, v3 src0_sel:BYTE_0 src1_sel:DWORD
	s_andn2_b64 s[8:9], s[8:9], exec
	s_and_b64 s[38:39], s[38:39], exec
	v_mov_b32_e32 v10, 0
	s_or_b64 s[8:9], s[8:9], s[38:39]
	s_or_b64 exec, exec, s[36:37]
	v_and_b32_e32 v2, 0xffff, v2
	s_and_saveexec_b64 s[36:37], s[8:9]
	s_cbranch_execnz .LBB253_132
	s_branch .LBB253_133
.LBB253_263:                            ;   in Loop: Header=BB253_9 Depth=1
	v_cmp_eq_u16_e64 s[8:9], s45, v2
	s_mov_b64 s[36:37], -1
                                        ; implicit-def: $sgpr47
	s_and_saveexec_b64 s[40:41], s[8:9]
; %bb.264:                              ;   in Loop: Header=BB253_9 Depth=1
	s_mov_b32 s47, 0x7fc02000
	s_xor_b64 s[36:37], exec, -1
; %bb.265:                              ;   in Loop: Header=BB253_9 Depth=1
	s_or_b64 exec, exec, s[40:41]
	s_and_b64 s[36:37], s[36:37], exec
	s_or_saveexec_b64 s[38:39], s[38:39]
	v_mov_b32_e32 v11, s47
	s_xor_b64 exec, exec, s[38:39]
	s_cbranch_execz .LBB253_135
.LBB253_266:                            ;   in Loop: Header=BB253_9 Depth=1
	v_cmp_ne_u16_e64 s[8:9], 0, v2
	s_andn2_b64 s[36:37], s[36:37], exec
	s_and_b64 s[8:9], s[8:9], exec
	v_mov_b32_e32 v11, 0
	s_or_b64 s[36:37], s[36:37], s[8:9]
	s_or_b64 exec, exec, s[38:39]
	s_and_saveexec_b64 s[38:39], s[36:37]
	s_cbranch_execnz .LBB253_136
	s_branch .LBB253_137
.LBB253_267:
	s_or_b64 exec, exec, s[18:19]
.LBB253_268:
	s_or_b64 exec, exec, s[34:35]
	v_xor_b32_e32 v3, 32, v13
	v_cmp_lt_i32_e32 vcc, v3, v2
	v_xor_b32_e32 v6, 16, v13
	v_max_f32_e32 v5, v14, v14
	v_cndmask_b32_e32 v3, v13, v3, vcc
	v_lshlrev_b32_e32 v3, 2, v3
	ds_bpermute_b32 v4, v3, v14
	v_cmp_lt_i32_e32 vcc, v6, v2
	v_xor_b32_e32 v7, 8, v13
	v_xor_b32_e32 v8, 4, v13
	v_and_b32_e32 v15, 63, v0
	s_waitcnt lgkmcnt(0)
	v_max_f32_e32 v4, v4, v4
	v_max_f32_e32 v5, v5, v4
	v_cndmask_b32_e32 v4, v13, v6, vcc
	v_lshlrev_b32_e32 v4, 2, v4
	ds_bpermute_b32 v6, v4, v5
	v_cmp_lt_i32_e32 vcc, v7, v2
	s_waitcnt lgkmcnt(0)
	v_max_f32_e32 v6, v6, v6
	v_max_f32_e32 v5, v5, v6
	v_cndmask_b32_e32 v6, v13, v7, vcc
	v_lshlrev_b32_e32 v7, 2, v6
	ds_bpermute_b32 v6, v7, v5
	v_cmp_lt_i32_e32 vcc, v8, v2
	s_waitcnt lgkmcnt(0)
	v_max_f32_e32 v6, v6, v6
	v_max_f32_e32 v6, v5, v6
	v_cndmask_b32_e32 v5, v13, v8, vcc
	v_lshlrev_b32_e32 v8, 2, v5
	ds_bpermute_b32 v9, v8, v6
	v_cmp_eq_u32_e32 vcc, 0, v15
	v_lshlrev_b32_e32 v5, 2, v1
	s_and_saveexec_b64 s[0:1], vcc
	s_cbranch_execz .LBB253_270
; %bb.269:
	s_waitcnt lgkmcnt(0)
	v_max_f32_e32 v9, v9, v9
	v_max_f32_e32 v6, v6, v6
	;; [unrolled: 1-line block ×3, first 2 shown]
	ds_write_b32 v5, v6 offset:256
.LBB253_270:
	s_or_b64 exec, exec, s[0:1]
	v_cmp_gt_u32_e64 s[0:1], 2, v15
	s_waitcnt lgkmcnt(0)
	v_mov_b32_e32 v9, 0xff7fffff
	v_lshlrev_b32_e32 v6, 2, v15
	s_barrier
	s_and_saveexec_b64 s[8:9], s[0:1]
	s_cbranch_execz .LBB253_272
; %bb.271:
	ds_read_b32 v9, v6 offset:256
.LBB253_272:
	s_or_b64 exec, exec, s[8:9]
	v_xor_b32_e32 v10, 1, v13
	v_cmp_lt_i32_e64 s[8:9], v10, v2
	v_lshlrev_b32_e32 v11, 2, v13
	s_nop 0
	v_cndmask_b32_e64 v10, v13, v10, s[8:9]
	v_lshlrev_b32_e32 v22, 2, v10
	s_waitcnt lgkmcnt(0)
	ds_bpermute_b32 v10, v22, v9
	v_max_f32_e32 v9, v9, v9
	s_lshl_b32 s8, s23, 4
	s_min_i32 s34, s8, s33
	v_cmp_gt_i32_e64 s[8:9], s34, v0
	s_waitcnt lgkmcnt(0)
	v_max_f32_e32 v10, v10, v10
	v_max_f32_e32 v10, v9, v10
	v_and_b32_e32 v9, 0xffffff00, v11
	ds_bpermute_b32 v11, v9, v10
	v_mov_b32_e32 v10, 0
	s_and_saveexec_b64 s[12:13], s[8:9]
	s_cbranch_execz .LBB253_276
; %bb.273:
	v_mov_b32_e32 v10, 0x110
	v_lshl_add_u32 v14, v0, 2, v10
	s_mov_b64 s[18:19], 0
	v_mov_b32_e32 v10, 0
	v_mov_b32_e32 v16, v0
.LBB253_274:                            ; =>This Inner Loop Header: Depth=1
	ds_read_b32 v17, v14
	v_add_u32_e32 v16, 0x80, v16
	v_cmp_le_i32_e64 s[10:11], s34, v16
	s_or_b64 s[18:19], s[10:11], s[18:19]
	s_waitcnt lgkmcnt(0)
	v_sub_f32_e32 v17, v17, v11
	v_mul_f32_e32 v17, 0x3fb8aa3b, v17
	v_exp_f32_e32 v17, v17
	ds_write_b32 v14, v17
	v_add_f32_e32 v10, v10, v17
	v_add_u32_e32 v14, 0x200, v14
	s_andn2_b64 exec, exec, s[18:19]
	s_cbranch_execnz .LBB253_274
; %bb.275:
	s_or_b64 exec, exec, s[18:19]
.LBB253_276:
	s_or_b64 exec, exec, s[12:13]
	ds_bpermute_b32 v3, v3, v10
	s_waitcnt lgkmcnt(0)
	v_add_f32_e32 v3, v10, v3
	ds_bpermute_b32 v4, v4, v3
	s_waitcnt lgkmcnt(0)
	v_add_f32_e32 v3, v3, v4
	ds_bpermute_b32 v4, v7, v3
	v_xor_b32_e32 v7, 2, v13
	v_cmp_lt_i32_e64 s[10:11], v7, v2
	s_waitcnt lgkmcnt(0)
	v_add_f32_e32 v3, v3, v4
	ds_bpermute_b32 v4, v8, v3
	v_cndmask_b32_e64 v2, v13, v7, s[10:11]
	v_lshlrev_b32_e32 v2, 2, v2
	s_waitcnt lgkmcnt(0)
	v_add_f32_e32 v3, v3, v4
	ds_bpermute_b32 v2, v2, v3
	s_waitcnt lgkmcnt(0)
	v_add_f32_e32 v2, v3, v2
	ds_bpermute_b32 v3, v22, v2
	s_waitcnt lgkmcnt(0)
	v_add_f32_e32 v2, v2, v3
	s_and_saveexec_b64 s[10:11], vcc
	s_cbranch_execz .LBB253_278
; %bb.277:
	ds_write_b32 v5, v2 offset:264
.LBB253_278:
	s_or_b64 exec, exec, s[10:11]
	s_waitcnt lgkmcnt(0)
	s_barrier
	s_and_saveexec_b64 s[10:11], s[0:1]
	s_cbranch_execz .LBB253_280
; %bb.279:
	ds_read_b32 v2, v6 offset:264
.LBB253_280:
	s_or_b64 exec, exec, s[10:11]
	s_waitcnt lgkmcnt(0)
	ds_bpermute_b32 v3, v22, v2
	s_waitcnt lgkmcnt(0)
	v_add_f32_e32 v2, v2, v3
	ds_bpermute_b32 v2, v9, v2
	s_and_saveexec_b64 s[0:1], s[8:9]
	s_cbranch_execz .LBB253_293
; %bb.281:
	s_waitcnt lgkmcnt(0)
	v_add_f32_e32 v2, 0x358637bd, v2
	v_div_scale_f32 v3, s[8:9], v2, v2, 1.0
	v_rcp_f32_e32 v4, v3
	v_div_scale_f32 v5, vcc, 1.0, v2, 1.0
	s_movk_i32 s8, 0x7f
	v_fma_f32 v6, -v3, v4, 1.0
	v_fmac_f32_e32 v4, v6, v4
	v_mul_f32_e32 v6, v5, v4
	v_fma_f32 v7, -v3, v6, v5
	v_fmac_f32_e32 v6, v7, v4
	v_fma_f32 v3, -v3, v6, v5
	v_div_fmas_f32 v3, v3, v4, v6
	v_xad_u32 v4, v0, -1, s34
	v_div_fixup_f32 v2, v3, v2, 1.0
	v_cmp_lt_u32_e32 vcc, s8, v4
	s_mov_b64 s[10:11], -1
	v_mov_b32_e32 v3, v0
	s_and_saveexec_b64 s[8:9], vcc
	s_cbranch_execz .LBB253_290
; %bb.282:
	v_lshrrev_b32_e32 v4, 7, v4
	v_add_u32_e32 v6, -1, v4
	v_lshrrev_b32_e32 v5, 1, v6
	v_mov_b32_e32 v3, v2
	v_add_u32_e32 v5, 1, v5
	v_cmp_lt_u32_e32 vcc, 13, v6
	v_mov_b32_e32 v8, 0
	s_and_saveexec_b64 s[10:11], vcc
	s_cbranch_execz .LBB253_286
; %bb.283:
	v_mov_b32_e32 v7, 0x110
	v_and_b32_e32 v6, -8, v5
	v_lshl_add_u32 v7, v0, 2, v7
	s_mov_b32 s18, 0
	s_mov_b64 s[12:13], 0
.LBB253_284:                            ; =>This Inner Loop Header: Depth=1
	ds_read2st64_b32 v[8:9], v7 offset1:2
	ds_read2st64_b32 v[10:11], v7 offset0:4 offset1:6
	ds_read2st64_b32 v[16:17], v7 offset0:8 offset1:10
	ds_read2st64_b32 v[18:19], v7 offset0:12 offset1:14
	v_add_u32_e32 v6, -8, v6
	s_waitcnt lgkmcnt(3)
	v_pk_mul_f32 v[8:9], v[2:3], v[8:9]
	s_waitcnt lgkmcnt(2)
	v_pk_mul_f32 v[10:11], v[2:3], v[10:11]
	ds_write2st64_b32 v7, v8, v9 offset1:2
	ds_write2st64_b32 v7, v10, v11 offset0:4 offset1:6
	ds_read2st64_b32 v[10:11], v7 offset0:16 offset1:18
	s_waitcnt lgkmcnt(4)
	v_pk_mul_f32 v[8:9], v[2:3], v[16:17]
	ds_write2st64_b32 v7, v8, v9 offset0:8 offset1:10
	s_waitcnt lgkmcnt(4)
	v_pk_mul_f32 v[8:9], v[2:3], v[18:19]
	ds_write2st64_b32 v7, v8, v9 offset0:12 offset1:14
	ds_read2st64_b32 v[8:9], v7 offset0:20 offset1:22
	s_waitcnt lgkmcnt(3)
	v_pk_mul_f32 v[10:11], v[2:3], v[10:11]
	ds_read2st64_b32 v[16:17], v7 offset0:24 offset1:26
	ds_write2st64_b32 v7, v10, v11 offset0:16 offset1:18
	ds_read2st64_b32 v[10:11], v7 offset0:28 offset1:30
	s_waitcnt lgkmcnt(3)
	v_pk_mul_f32 v[8:9], v[2:3], v[8:9]
	ds_write2st64_b32 v7, v8, v9 offset0:20 offset1:22
	s_waitcnt lgkmcnt(3)
	v_pk_mul_f32 v[8:9], v[2:3], v[16:17]
	ds_write2st64_b32 v7, v8, v9 offset0:24 offset1:26
	s_waitcnt lgkmcnt(2)
	v_pk_mul_f32 v[8:9], v[2:3], v[10:11]
	s_add_i32 s18, s18, 16
	v_cmp_eq_u32_e32 vcc, 0, v6
	ds_write2st64_b32 v7, v8, v9 offset0:28 offset1:30
	v_add_u32_e32 v7, 0x2000, v7
	s_or_b64 s[12:13], vcc, s[12:13]
	v_mov_b32_e32 v8, s18
	s_andn2_b64 exec, exec, s[12:13]
	s_cbranch_execnz .LBB253_284
; %bb.285:
	s_or_b64 exec, exec, s[12:13]
.LBB253_286:
	s_or_b64 exec, exec, s[10:11]
	v_and_b32_e32 v5, 7, v5
	v_cmp_ne_u32_e32 vcc, 0, v5
	s_and_saveexec_b64 s[10:11], vcc
	s_cbranch_execz .LBB253_289
; %bb.287:
	v_lshlrev_b32_e32 v6, 9, v8
	v_lshlrev_b32_e32 v7, 2, v0
	s_movk_i32 s12, 0x110
	v_add3_u32 v6, v6, v7, s12
	s_mov_b64 s[12:13], 0
.LBB253_288:                            ; =>This Inner Loop Header: Depth=1
	ds_read2st64_b32 v[8:9], v6 offset1:2
	v_add_u32_e32 v5, -1, v5
	v_cmp_eq_u32_e32 vcc, 0, v5
	s_or_b64 s[12:13], vcc, s[12:13]
	s_waitcnt lgkmcnt(0)
	v_pk_mul_f32 v[8:9], v[2:3], v[8:9]
	ds_write2st64_b32 v6, v8, v9 offset1:2
	v_add_u32_e32 v6, 0x400, v6
	s_andn2_b64 exec, exec, s[12:13]
	s_cbranch_execnz .LBB253_288
.LBB253_289:
	s_or_b64 exec, exec, s[10:11]
	v_add_u32_e32 v4, 1, v4
	v_and_b32_e32 v5, 0x3fffffe, v4
	v_cmp_ne_u32_e32 vcc, v4, v5
	v_lshl_add_u32 v3, v5, 7, v0
	s_orn2_b64 s[10:11], vcc, exec
.LBB253_290:
	s_or_b64 exec, exec, s[8:9]
	s_and_b64 exec, exec, s[10:11]
	s_cbranch_execz .LBB253_293
; %bb.291:
	v_mov_b32_e32 v4, 0x110
	v_lshl_add_u32 v4, v3, 2, v4
	s_mov_b64 s[8:9], 0
.LBB253_292:                            ; =>This Inner Loop Header: Depth=1
	ds_read_b32 v5, v4
	v_add_u32_e32 v3, 0x80, v3
	v_cmp_le_i32_e32 vcc, s34, v3
	s_or_b64 s[8:9], vcc, s[8:9]
	s_waitcnt lgkmcnt(0)
	v_mul_f32_e32 v5, v2, v5
	ds_write_b32 v4, v5
	v_add_u32_e32 v4, 0x200, v4
	s_andn2_b64 exec, exec, s[8:9]
	s_cbranch_execnz .LBB253_292
.LBB253_293:
	s_or_b64 exec, exec, s[0:1]
	v_mov_b32_e32 v3, 0
	v_and_b32_e32 v23, 1, v0
	s_waitcnt lgkmcnt(0)
	v_mov_b32_e32 v2, 0
	v_mov_b32_e32 v7, 0
	;; [unrolled: 1-line block ×3, first 2 shown]
	s_barrier
	s_and_saveexec_b64 s[8:9], s[2:3]
	s_cbranch_execz .LBB253_561
; %bb.294:
	s_ashr_i32 s1, s16, 31
	v_lshlrev_b32_e32 v2, 3, v0
	s_add_u32 s0, s30, s16
	s_addc_u32 s1, s31, s1
	v_and_b32_e32 v4, 0x1f8, v2
	v_mov_b32_e32 v5, 0
	s_add_i32 s19, s23, -1
	v_lshl_add_u64 v[8:9], s[0:1], 0, v[4:5]
	s_lshl_b64 s[0:1], s[28:29], 2
	v_and_b32_e32 v3, 8, v2
	v_lshlrev_b32_e32 v2, 5, v23
	s_add_u32 s0, s26, s0
	v_lshl_or_b32 v2, v1, 6, v2
	v_and_b32_e32 v4, 60, v12
	s_addc_u32 s1, s27, s1
	s_mov_b32 s18, s17
	s_mov_b32 s30, s33
	v_lshl_or_b32 v24, v1, 4, v3
	v_add_u32_e32 v25, 0x110, v2
	v_lshl_add_u64 v[10:11], s[0:1], 0, v[4:5]
	s_mov_b64 s[2:3], 0
	s_movk_i32 s26, 0x7f
	s_movk_i32 s27, 0x80
	s_mov_b32 s28, 0x8000
	s_movk_i32 s29, 0x380
	s_mov_b32 s31, 0x3020706
	s_mov_b32 s34, 0x1000504
	;; [unrolled: 1-line block ×3, first 2 shown]
	v_mov_b32_e32 v26, 0x1c00
	v_mov_b32_e32 v6, 0
	;; [unrolled: 1-line block ×5, first 2 shown]
	s_branch .LBB253_296
.LBB253_295:                            ;   in Loop: Header=BB253_296 Depth=1
	s_or_b64 exec, exec, s[0:1]
	;;#ASMSTART
	v_pk_mul_f16 v12, v34, v12;

	;;#ASMEND
	;;#ASMSTART
	v_pk_mul_f16 v4, v35, v4;

	;;#ASMEND
	;; [unrolled: 4-line block ×4, first 2 shown]
	v_add_f32_e32 v16, v38, v39
	;;#ASMSTART
	v_pk_add_f16 v4, v12, v4;

	;;#ASMEND
	v_add_f32_e32 v6, v6, v16
	;;#ASMSTART
	v_pk_add_f16 v4, v4, v13;

	;;#ASMEND
	;; [unrolled: 5-line block ×3, first 2 shown]
	v_add_u32_e32 v1, 2, v1
	v_lshrrev_b32_e32 v12, 16, v4
	v_and_b32_e32 v4, 0xffff, v4
	;;#ASMSTART
	v_cvt_f32_f16 v4, v4;
	;;#ASMEND
	v_add_f32_e32 v7, v7, v16
	v_add_f32_e32 v16, v20, v21
	;;#ASMSTART
	v_cvt_f32_f16 v12, v12;
	;;#ASMEND
	v_cmp_le_i32_e32 vcc, s23, v1
	v_add_f32_e32 v4, v4, v12
	v_add_f32_e32 v2, v2, v16
	;; [unrolled: 1-line block ×3, first 2 shown]
	v_add_u32_e32 v24, 32, v24
	v_add_u32_e32 v25, 0x80, v25
	s_or_b64 s[2:3], vcc, s[2:3]
	v_lshl_add_u64 v[10:11], v[10:11], 0, 8
	s_andn2_b64 exec, exec, s[2:3]
	s_cbranch_execz .LBB253_560
.LBB253_296:                            ; =>This Inner Loop Header: Depth=1
	ds_read2_b64 v[16:19], v25 offset1:1
	ds_read2_b64 v[28:31], v25 offset0:2 offset1:3
                                        ; implicit-def: $sgpr16
	s_waitcnt lgkmcnt(1)
	;;#ASMSTART
	v_cvt_f16_f32 v34, v16;

	;;#ASMEND
	;;#ASMSTART
	v_cvt_f16_f32 v35, v17;

	;;#ASMEND
	;; [unrolled: 4-line block ×4, first 2 shown]
	s_waitcnt lgkmcnt(0)
	;;#ASMSTART
	v_cvt_f16_f32 v38, v28;

	;;#ASMEND
	;;#ASMSTART
	v_cvt_f16_f32 v39, v29;

	;;#ASMEND
	;; [unrolled: 4-line block ×4, first 2 shown]
	global_load_dword v4, v[10:11], off
	s_waitcnt vmcnt(0)
	v_mad_i64_i32 v[12:13], s[0:1], v4, s18, v[8:9]
	global_load_dwordx2 v[16:17], v[12:13], off
	global_load_dword v14, v5, s[14:15]
	s_mov_b64 s[0:1], 0
	s_waitcnt vmcnt(1)
	v_cmp_gt_i16_sdwa s[10:11], v16, s26 src0_sel:BYTE_0 src1_sel:DWORD
	s_and_saveexec_b64 s[12:13], s[10:11]
	s_xor_b64 s[10:11], exec, s[12:13]
	s_cbranch_execnz .LBB253_432
; %bb.297:                              ;   in Loop: Header=BB253_296 Depth=1
	s_or_saveexec_b64 s[10:11], s[10:11]
	v_mov_b32_e32 v18, s16
	s_xor_b64 exec, exec, s[10:11]
	s_cbranch_execnz .LBB253_435
.LBB253_298:                            ;   in Loop: Header=BB253_296 Depth=1
	s_or_b64 exec, exec, s[10:11]
	s_and_saveexec_b64 s[10:11], s[0:1]
	s_cbranch_execz .LBB253_300
.LBB253_299:                            ;   in Loop: Header=BB253_296 Depth=1
	v_and_b32_e32 v4, 7, v16
	v_ffbh_u32_e32 v4, v4
	v_bfe_u32 v18, v16, 3, 4
	v_min_u32_e32 v4, 32, v4
	v_subrev_u32_e32 v19, 28, v4
	v_sub_u32_e32 v4, 29, v4
	v_cmp_eq_u32_e32 vcc, 0, v18
	s_nop 1
	v_cndmask_b32_e32 v4, v18, v4, vcc
	v_cndmask_b32_e32 v18, 0, v19, vcc
	v_lshlrev_b64 v[18:19], v18, v[16:17]
	v_lshlrev_b32_e32 v19, 8, v16
	v_lshl_add_u32 v4, v4, 10, v26
	v_lshlrev_b32_e32 v18, 7, v18
	v_and_or_b32 v4, v19, s28, v4
	v_and_or_b32 v4, v18, s29, v4
	v_cvt_f32_f16_e32 v18, v4
.LBB253_300:                            ;   in Loop: Header=BB253_296 Depth=1
	s_or_b64 exec, exec, s[10:11]
	v_lshrrev_b16_e32 v4, 8, v16
	v_cmp_lt_i16_e32 vcc, s26, v4
	s_mov_b64 s[0:1], 0
                                        ; implicit-def: $sgpr16
	s_and_saveexec_b64 s[10:11], vcc
	s_xor_b64 s[10:11], exec, s[10:11]
	s_cbranch_execnz .LBB253_436
; %bb.301:                              ;   in Loop: Header=BB253_296 Depth=1
	s_or_saveexec_b64 s[10:11], s[10:11]
	v_mov_b32_e32 v20, s16
	s_xor_b64 exec, exec, s[10:11]
	s_cbranch_execnz .LBB253_439
.LBB253_302:                            ;   in Loop: Header=BB253_296 Depth=1
	s_or_b64 exec, exec, s[10:11]
	s_and_saveexec_b64 s[10:11], s[0:1]
	s_cbranch_execz .LBB253_304
.LBB253_303:                            ;   in Loop: Header=BB253_296 Depth=1
	v_and_b32_e32 v19, 7, v4
	v_ffbh_u32_e32 v20, v19
	v_min_u32_e32 v28, 32, v20
	v_subrev_u32_e32 v20, 28, v28
	v_bfe_u32 v27, v4, 3, 4
	v_lshlrev_b64 v[20:21], v20, v[4:5]
	v_sub_u32_e32 v21, 29, v28
	v_cmp_eq_u32_e32 vcc, 0, v27
	v_and_b32_e32 v20, 7, v20
	v_lshlrev_b32_e32 v4, 8, v4
	v_cndmask_b32_e32 v21, v27, v21, vcc
	v_cndmask_b32_e32 v19, v19, v20, vcc
	v_lshl_add_u32 v20, v21, 10, v26
	v_and_or_b32 v4, v4, s28, v20
	v_lshl_or_b32 v4, v19, 7, v4
	v_cvt_f32_f16_e32 v20, v4
.LBB253_304:                            ;   in Loop: Header=BB253_296 Depth=1
	s_or_b64 exec, exec, s[10:11]
	v_lshrrev_b32_e32 v4, 16, v16
	v_cmp_gt_i16_sdwa s[10:11], v4, s26 src0_sel:BYTE_0 src1_sel:DWORD
	s_mov_b64 s[0:1], 0
                                        ; implicit-def: $sgpr16
	s_and_saveexec_b64 s[12:13], s[10:11]
	s_xor_b64 s[10:11], exec, s[12:13]
	s_cbranch_execnz .LBB253_440
; %bb.305:                              ;   in Loop: Header=BB253_296 Depth=1
	s_or_saveexec_b64 s[10:11], s[10:11]
	v_mov_b32_e32 v19, s16
	s_xor_b64 exec, exec, s[10:11]
	s_cbranch_execnz .LBB253_443
.LBB253_306:                            ;   in Loop: Header=BB253_296 Depth=1
	s_or_b64 exec, exec, s[10:11]
	s_and_saveexec_b64 s[10:11], s[0:1]
	s_cbranch_execz .LBB253_308
.LBB253_307:                            ;   in Loop: Header=BB253_296 Depth=1
	v_bfe_u32 v19, v16, 16, 3
	v_ffbh_u32_e32 v27, v19
	v_bfe_u32 v21, v16, 19, 4
	v_min_u32_e32 v27, 32, v27
	v_subrev_u32_e32 v28, 28, v27
	v_sub_u32_e32 v27, 29, v27
	v_cmp_eq_u32_e32 vcc, 0, v21
	v_lshlrev_b64 v[28:29], v28, v[4:5]
	v_and_b32_e32 v28, 7, v28
	v_cndmask_b32_e32 v21, v21, v27, vcc
	v_lshlrev_b32_e32 v4, 8, v4
	v_lshl_add_u32 v21, v21, 10, v26
	v_cndmask_b32_e32 v19, v19, v28, vcc
	v_and_or_b32 v4, v4, s28, v21
	v_lshl_or_b32 v4, v19, 7, v4
	v_cvt_f32_f16_e32 v19, v4
.LBB253_308:                            ;   in Loop: Header=BB253_296 Depth=1
	s_or_b64 exec, exec, s[10:11]
	v_lshrrev_b32_e32 v4, 24, v16
	v_cmp_lt_i16_e32 vcc, s26, v4
	s_mov_b64 s[0:1], 0
                                        ; implicit-def: $sgpr16
	s_and_saveexec_b64 s[10:11], vcc
	s_xor_b64 s[10:11], exec, s[10:11]
	s_cbranch_execnz .LBB253_444
; %bb.309:                              ;   in Loop: Header=BB253_296 Depth=1
	s_or_saveexec_b64 s[10:11], s[10:11]
	v_mov_b32_e32 v21, s16
	s_xor_b64 exec, exec, s[10:11]
	s_cbranch_execnz .LBB253_447
.LBB253_310:                            ;   in Loop: Header=BB253_296 Depth=1
	s_or_b64 exec, exec, s[10:11]
	s_and_saveexec_b64 s[10:11], s[0:1]
	s_cbranch_execz .LBB253_312
.LBB253_311:                            ;   in Loop: Header=BB253_296 Depth=1
	v_bfe_u32 v21, v16, 24, 3
	v_ffbh_u32_e32 v27, v21
	v_bfe_u32 v16, v16, 27, 4
	v_min_u32_e32 v27, 32, v27
	v_subrev_u32_e32 v28, 28, v27
	v_sub_u32_e32 v27, 29, v27
	v_cmp_eq_u32_e32 vcc, 0, v16
	v_lshlrev_b64 v[28:29], v28, v[4:5]
	v_and_b32_e32 v28, 7, v28
	v_cndmask_b32_e32 v16, v16, v27, vcc
	v_lshlrev_b32_e32 v4, 8, v4
	v_lshl_add_u32 v16, v16, 10, v26
	v_cndmask_b32_e32 v21, v21, v28, vcc
	v_and_or_b32 v4, v4, s28, v16
	v_lshl_or_b32 v4, v21, 7, v4
	v_cvt_f32_f16_e32 v21, v4
.LBB253_312:                            ;   in Loop: Header=BB253_296 Depth=1
	s_or_b64 exec, exec, s[10:11]
	v_cmp_gt_i16_sdwa s[10:11], v17, s26 src0_sel:BYTE_0 src1_sel:DWORD
	s_mov_b64 s[0:1], 0
                                        ; implicit-def: $sgpr16
	s_and_saveexec_b64 s[12:13], s[10:11]
	s_xor_b64 s[10:11], exec, s[12:13]
	s_cbranch_execnz .LBB253_448
; %bb.313:                              ;   in Loop: Header=BB253_296 Depth=1
	s_or_saveexec_b64 s[10:11], s[10:11]
	v_mov_b32_e32 v16, s16
	s_xor_b64 exec, exec, s[10:11]
	s_cbranch_execnz .LBB253_451
.LBB253_314:                            ;   in Loop: Header=BB253_296 Depth=1
	s_or_b64 exec, exec, s[10:11]
	v_mov_b32_e32 v4, v17
	s_and_saveexec_b64 s[10:11], s[0:1]
	s_cbranch_execz .LBB253_316
.LBB253_315:                            ;   in Loop: Header=BB253_296 Depth=1
	v_and_b32_e32 v16, 7, v17
	v_ffbh_u32_e32 v16, v16
	v_bfe_u32 v27, v17, 3, 4
	v_min_u32_e32 v16, 32, v16
	v_subrev_u32_e32 v28, 28, v16
	v_sub_u32_e32 v16, 29, v16
	v_cmp_eq_u32_e32 vcc, 0, v27
	s_nop 1
	v_cndmask_b32_e32 v16, v27, v16, vcc
	v_cndmask_b32_e32 v27, 0, v28, vcc
	v_lshlrev_b64 v[28:29], v27, v[4:5]
	v_lshlrev_b32_e32 v27, 7, v28
	v_lshlrev_b32_e32 v28, 8, v17
	v_lshl_add_u32 v16, v16, 10, v26
	v_and_or_b32 v16, v28, s28, v16
	v_and_or_b32 v16, v27, s29, v16
	v_cvt_f32_f16_e32 v16, v16
.LBB253_316:                            ;   in Loop: Header=BB253_296 Depth=1
	s_or_b64 exec, exec, s[10:11]
	v_lshrrev_b16_e32 v4, 8, v4
	v_cmp_lt_i16_e32 vcc, s26, v4
	s_mov_b64 s[0:1], 0
                                        ; implicit-def: $sgpr16
	s_and_saveexec_b64 s[10:11], vcc
	s_xor_b64 s[10:11], exec, s[10:11]
	s_cbranch_execnz .LBB253_452
; %bb.317:                              ;   in Loop: Header=BB253_296 Depth=1
	s_or_saveexec_b64 s[10:11], s[10:11]
	v_mov_b32_e32 v27, s16
	s_xor_b64 exec, exec, s[10:11]
	s_cbranch_execnz .LBB253_455
.LBB253_318:                            ;   in Loop: Header=BB253_296 Depth=1
	s_or_b64 exec, exec, s[10:11]
	s_and_saveexec_b64 s[10:11], s[0:1]
	s_cbranch_execz .LBB253_320
.LBB253_319:                            ;   in Loop: Header=BB253_296 Depth=1
	v_and_b32_e32 v27, 7, v4
	v_ffbh_u32_e32 v28, v27
	v_min_u32_e32 v31, 32, v28
	v_subrev_u32_e32 v28, 28, v31
	v_bfe_u32 v30, v4, 3, 4
	v_lshlrev_b64 v[28:29], v28, v[4:5]
	v_sub_u32_e32 v29, 29, v31
	v_cmp_eq_u32_e32 vcc, 0, v30
	v_and_b32_e32 v28, 7, v28
	v_lshlrev_b32_e32 v4, 8, v4
	v_cndmask_b32_e32 v29, v30, v29, vcc
	v_cndmask_b32_e32 v27, v27, v28, vcc
	v_lshl_add_u32 v28, v29, 10, v26
	v_and_or_b32 v4, v4, s28, v28
	v_lshl_or_b32 v4, v27, 7, v4
	v_cvt_f32_f16_e32 v27, v4
.LBB253_320:                            ;   in Loop: Header=BB253_296 Depth=1
	s_or_b64 exec, exec, s[10:11]
	v_lshrrev_b32_e32 v4, 16, v17
	v_cmp_gt_i16_sdwa s[10:11], v4, s26 src0_sel:BYTE_0 src1_sel:DWORD
	s_mov_b64 s[0:1], 0
                                        ; implicit-def: $sgpr16
	s_and_saveexec_b64 s[12:13], s[10:11]
	s_xor_b64 s[10:11], exec, s[12:13]
	s_cbranch_execnz .LBB253_456
; %bb.321:                              ;   in Loop: Header=BB253_296 Depth=1
	s_or_saveexec_b64 s[10:11], s[10:11]
	v_mov_b32_e32 v28, s16
	s_xor_b64 exec, exec, s[10:11]
	s_cbranch_execnz .LBB253_459
.LBB253_322:                            ;   in Loop: Header=BB253_296 Depth=1
	s_or_b64 exec, exec, s[10:11]
	s_and_saveexec_b64 s[10:11], s[0:1]
	s_cbranch_execz .LBB253_324
.LBB253_323:                            ;   in Loop: Header=BB253_296 Depth=1
	v_bfe_u32 v30, v17, 16, 3
	v_ffbh_u32_e32 v28, v30
	v_min_u32_e32 v32, 32, v28
	v_subrev_u32_e32 v28, 28, v32
	v_bfe_u32 v31, v17, 19, 4
	v_lshlrev_b64 v[28:29], v28, v[4:5]
	v_sub_u32_e32 v29, 29, v32
	v_cmp_eq_u32_e32 vcc, 0, v31
	v_and_b32_e32 v28, 7, v28
	v_lshlrev_b32_e32 v4, 8, v4
	v_cndmask_b32_e32 v29, v31, v29, vcc
	v_lshl_add_u32 v29, v29, 10, v26
	v_cndmask_b32_e32 v28, v30, v28, vcc
	v_and_or_b32 v4, v4, s28, v29
	v_lshl_or_b32 v4, v28, 7, v4
	v_cvt_f32_f16_e32 v28, v4
.LBB253_324:                            ;   in Loop: Header=BB253_296 Depth=1
	s_or_b64 exec, exec, s[10:11]
	v_lshrrev_b32_e32 v4, 24, v17
	v_cmp_lt_i16_e32 vcc, s26, v4
	s_mov_b64 s[0:1], 0
                                        ; implicit-def: $sgpr16
	s_and_saveexec_b64 s[10:11], vcc
	s_xor_b64 s[10:11], exec, s[10:11]
	s_cbranch_execnz .LBB253_460
; %bb.325:                              ;   in Loop: Header=BB253_296 Depth=1
	s_or_saveexec_b64 s[10:11], s[10:11]
	v_mov_b32_e32 v29, s16
	s_xor_b64 exec, exec, s[10:11]
	s_cbranch_execnz .LBB253_463
.LBB253_326:                            ;   in Loop: Header=BB253_296 Depth=1
	s_or_b64 exec, exec, s[10:11]
	s_and_saveexec_b64 s[10:11], s[0:1]
	s_cbranch_execz .LBB253_328
.LBB253_327:                            ;   in Loop: Header=BB253_296 Depth=1
	v_bfe_u32 v29, v17, 24, 3
	v_ffbh_u32_e32 v30, v29
	v_min_u32_e32 v32, 32, v30
	v_subrev_u32_e32 v30, 28, v32
	v_bfe_u32 v17, v17, 27, 4
	v_lshlrev_b64 v[30:31], v30, v[4:5]
	v_sub_u32_e32 v31, 29, v32
	v_cmp_eq_u32_e32 vcc, 0, v17
	v_and_b32_e32 v30, 7, v30
	v_lshlrev_b32_e32 v4, 8, v4
	v_cndmask_b32_e32 v17, v17, v31, vcc
	v_lshl_add_u32 v17, v17, 10, v26
	v_cndmask_b32_e32 v29, v29, v30, vcc
	v_and_or_b32 v4, v4, s28, v17
	v_lshl_or_b32 v4, v29, 7, v4
	v_cvt_f32_f16_e32 v29, v4
.LBB253_328:                            ;   in Loop: Header=BB253_296 Depth=1
	s_or_b64 exec, exec, s[10:11]
	s_waitcnt vmcnt(0)
	v_pk_mul_f32 v[20:21], v[14:15], v[20:21] op_sel_hi:[0,1]
	v_pk_mul_f32 v[18:19], v[14:15], v[18:19] op_sel_hi:[0,1]
	v_cvt_f16_f32_e32 v4, v21
	v_cvt_f16_f32_e32 v17, v20
	;; [unrolled: 1-line block ×4, first 2 shown]
	v_fma_mixlo_f16 v16, v14, v16, 0
	v_pack_b32_f16 v17, v17, v4
	v_cmp_eq_u32_e32 vcc, s19, v1
	v_pack_b32_f16 v18, v18, v19
	v_perm_b32 v4, v18, v17, s31
	v_perm_b32 v17, v18, v17, s34
	v_fma_mixlo_f16 v18, v14, v27, 0
	v_lshlrev_b32_e32 v18, 16, v18
	v_or_b32_sdwa v16, v18, v16 dst_sel:DWORD dst_unused:UNUSED_PAD src0_sel:DWORD src1_sel:WORD_0
	v_fma_mixlo_f16 v18, v14, v28, 0
	v_fma_mixlo_f16 v14, v14, v29, 0
	v_lshlrev_b32_e32 v14, 16, v14
	v_or_b32_sdwa v14, v14, v18 dst_sel:DWORD dst_unused:UNUSED_PAD src0_sel:DWORD src1_sel:WORD_0
	v_add_u32_e32 v33, 1, v24
	v_or_b32_e32 v32, 3, v24
	v_or_b32_e32 v31, 2, v24
	v_or_b32_e32 v30, 5, v24
	v_or_b32_e32 v29, 4, v24
	v_or_b32_e32 v28, 7, v24
	v_or_b32_e32 v27, 6, v24
	s_and_saveexec_b64 s[10:11], vcc
	s_cbranch_execz .LBB253_330
; %bb.329:                              ;   in Loop: Header=BB253_296 Depth=1
	v_lshrrev_b32_e32 v19, 16, v17
	v_cmp_gt_i32_e64 s[0:1], s30, v33
	v_lshrrev_b32_e32 v14, 16, v14
	s_nop 0
	v_cndmask_b32_e64 v19, 0, v19, s[0:1]
	v_cmp_gt_i32_e64 s[0:1], s33, v24
	s_nop 1
	v_cndmask_b32_e64 v17, 0, v17, s[0:1]
	v_perm_b32 v17, v19, v17, s35
	v_lshrrev_b32_e32 v19, 16, v4
	v_cmp_gt_i32_e64 s[0:1], s30, v32
	s_nop 1
	v_cndmask_b32_e64 v19, 0, v19, s[0:1]
	v_cmp_gt_i32_e64 s[0:1], s33, v31
	s_nop 1
	v_cndmask_b32_e64 v4, 0, v4, s[0:1]
	v_perm_b32 v4, v19, v4, s35
	v_lshrrev_b32_e32 v19, 16, v16
	v_cmp_gt_i32_e64 s[0:1], s30, v30
	s_nop 1
	v_cndmask_b32_e64 v19, 0, v19, s[0:1]
	v_cmp_gt_i32_e64 s[0:1], s33, v29
	s_nop 1
	v_cndmask_b32_e64 v16, 0, v16, s[0:1]
	v_cmp_gt_i32_e64 s[0:1], s30, v28
	v_perm_b32 v16, v19, v16, s35
	s_nop 0
	v_cndmask_b32_e64 v14, 0, v14, s[0:1]
	v_cmp_gt_i32_e64 s[0:1], s33, v27
	s_nop 1
	v_cndmask_b32_e64 v18, 0, v18, s[0:1]
	v_perm_b32 v14, v14, v18, s35
.LBB253_330:                            ;   in Loop: Header=BB253_296 Depth=1
	s_or_b64 exec, exec, s[10:11]
	v_and_b32_e32 v18, 0xffff, v34
	v_lshl_or_b32 v34, v35, 16, v18
	v_and_b32_e32 v18, 0xffff, v36
	v_lshl_or_b32 v35, v37, 16, v18
	;; [unrolled: 2-line block ×3, first 2 shown]
	v_and_b32_e32 v18, 0xffff, v40
	;;#ASMSTART
	v_pk_mul_f16 v17, v34, v17;

	;;#ASMEND
	;;#ASMSTART
	v_pk_mul_f16 v4, v35, v4;

	;;#ASMEND
	v_lshl_or_b32 v37, v41, 16, v18
	;;#ASMSTART
	v_pk_mul_f16 v16, v36, v16;

	;;#ASMEND
	;;#ASMSTART
	v_pk_mul_f16 v14, v37, v14;

	;;#ASMEND
	;;#ASMSTART
	v_pk_add_f16 v4, v17, v4;

	;;#ASMEND
	s_mov_b64 s[0:1], 0
	;;#ASMSTART
	v_pk_add_f16 v4, v4, v16;

	;;#ASMEND
                                        ; implicit-def: $sgpr16
	s_nop 0
	;;#ASMSTART
	v_pk_add_f16 v4, v4, v14;

	;;#ASMEND
	s_nop 0
	v_lshrrev_b32_e32 v14, 16, v4
	v_and_b32_e32 v4, 0xffff, v4
	;;#ASMSTART
	v_cvt_f32_f16 v38, v4;
	;;#ASMEND
	;;#ASMSTART
	v_cvt_f32_f16 v39, v14;
	;;#ASMEND
	global_load_dwordx2 v[16:17], v[12:13], off offset:512
	global_load_dword v14, v5, s[14:15]
	s_waitcnt vmcnt(1)
	v_cmp_gt_i16_sdwa s[10:11], v16, s26 src0_sel:BYTE_0 src1_sel:DWORD
	s_and_saveexec_b64 s[12:13], s[10:11]
	s_xor_b64 s[10:11], exec, s[12:13]
	s_cbranch_execnz .LBB253_464
; %bb.331:                              ;   in Loop: Header=BB253_296 Depth=1
	s_or_saveexec_b64 s[10:11], s[10:11]
	v_mov_b32_e32 v18, s16
	s_xor_b64 exec, exec, s[10:11]
	s_cbranch_execnz .LBB253_467
.LBB253_332:                            ;   in Loop: Header=BB253_296 Depth=1
	s_or_b64 exec, exec, s[10:11]
	s_and_saveexec_b64 s[10:11], s[0:1]
	s_cbranch_execz .LBB253_334
.LBB253_333:                            ;   in Loop: Header=BB253_296 Depth=1
	v_and_b32_e32 v4, 7, v16
	v_ffbh_u32_e32 v4, v4
	v_bfe_u32 v18, v16, 3, 4
	v_min_u32_e32 v4, 32, v4
	v_subrev_u32_e32 v19, 28, v4
	v_sub_u32_e32 v4, 29, v4
	v_cmp_eq_u32_e64 s[0:1], 0, v18
	s_nop 1
	v_cndmask_b32_e64 v4, v18, v4, s[0:1]
	v_cndmask_b32_e64 v18, 0, v19, s[0:1]
	v_lshlrev_b64 v[18:19], v18, v[16:17]
	v_lshlrev_b32_e32 v19, 8, v16
	v_lshl_add_u32 v4, v4, 10, v26
	v_lshlrev_b32_e32 v18, 7, v18
	v_and_or_b32 v4, v19, s28, v4
	v_and_or_b32 v4, v18, s29, v4
	v_cvt_f32_f16_e32 v18, v4
.LBB253_334:                            ;   in Loop: Header=BB253_296 Depth=1
	s_or_b64 exec, exec, s[10:11]
	v_lshrrev_b16_e32 v4, 8, v16
	v_cmp_lt_i16_e64 s[0:1], s26, v4
	s_mov_b64 s[10:11], 0
                                        ; implicit-def: $sgpr36
	s_and_saveexec_b64 s[12:13], s[0:1]
	s_xor_b64 s[12:13], exec, s[12:13]
	s_cbranch_execnz .LBB253_468
; %bb.335:                              ;   in Loop: Header=BB253_296 Depth=1
	s_or_saveexec_b64 s[12:13], s[12:13]
	v_mov_b32_e32 v20, s36
	s_xor_b64 exec, exec, s[12:13]
	s_cbranch_execnz .LBB253_471
.LBB253_336:                            ;   in Loop: Header=BB253_296 Depth=1
	s_or_b64 exec, exec, s[12:13]
	s_and_saveexec_b64 s[12:13], s[10:11]
	s_cbranch_execz .LBB253_338
.LBB253_337:                            ;   in Loop: Header=BB253_296 Depth=1
	v_and_b32_e32 v19, 7, v4
	v_ffbh_u32_e32 v20, v19
	v_min_u32_e32 v41, 32, v20
	v_subrev_u32_e32 v20, 28, v41
	v_bfe_u32 v40, v4, 3, 4
	v_lshlrev_b64 v[20:21], v20, v[4:5]
	v_sub_u32_e32 v21, 29, v41
	v_cmp_eq_u32_e64 s[0:1], 0, v40
	v_and_b32_e32 v20, 7, v20
	v_lshlrev_b32_e32 v4, 8, v4
	v_cndmask_b32_e64 v21, v40, v21, s[0:1]
	v_cndmask_b32_e64 v19, v19, v20, s[0:1]
	v_lshl_add_u32 v20, v21, 10, v26
	v_and_or_b32 v4, v4, s28, v20
	v_lshl_or_b32 v4, v19, 7, v4
	v_cvt_f32_f16_e32 v20, v4
.LBB253_338:                            ;   in Loop: Header=BB253_296 Depth=1
	s_or_b64 exec, exec, s[12:13]
	v_lshrrev_b32_e32 v4, 16, v16
	v_cmp_gt_i16_sdwa s[10:11], v4, s26 src0_sel:BYTE_0 src1_sel:DWORD
	s_mov_b64 s[0:1], 0
                                        ; implicit-def: $sgpr16
	s_and_saveexec_b64 s[12:13], s[10:11]
	s_xor_b64 s[10:11], exec, s[12:13]
	s_cbranch_execnz .LBB253_472
; %bb.339:                              ;   in Loop: Header=BB253_296 Depth=1
	s_or_saveexec_b64 s[10:11], s[10:11]
	v_mov_b32_e32 v19, s16
	s_xor_b64 exec, exec, s[10:11]
	s_cbranch_execnz .LBB253_475
.LBB253_340:                            ;   in Loop: Header=BB253_296 Depth=1
	s_or_b64 exec, exec, s[10:11]
	s_and_saveexec_b64 s[10:11], s[0:1]
	s_cbranch_execz .LBB253_342
.LBB253_341:                            ;   in Loop: Header=BB253_296 Depth=1
	v_bfe_u32 v19, v16, 16, 3
	v_ffbh_u32_e32 v40, v19
	v_min_u32_e32 v42, 32, v40
	v_subrev_u32_e32 v40, 28, v42
	v_bfe_u32 v21, v16, 19, 4
	v_lshlrev_b64 v[40:41], v40, v[4:5]
	v_sub_u32_e32 v41, 29, v42
	v_cmp_eq_u32_e64 s[0:1], 0, v21
	v_and_b32_e32 v40, 7, v40
	v_lshlrev_b32_e32 v4, 8, v4
	v_cndmask_b32_e64 v21, v21, v41, s[0:1]
	v_lshl_add_u32 v21, v21, 10, v26
	v_cndmask_b32_e64 v19, v19, v40, s[0:1]
	v_and_or_b32 v4, v4, s28, v21
	v_lshl_or_b32 v4, v19, 7, v4
	v_cvt_f32_f16_e32 v19, v4
.LBB253_342:                            ;   in Loop: Header=BB253_296 Depth=1
	s_or_b64 exec, exec, s[10:11]
	v_lshrrev_b32_e32 v4, 24, v16
	v_cmp_lt_i16_e64 s[0:1], s26, v4
	s_mov_b64 s[10:11], 0
                                        ; implicit-def: $sgpr36
	s_and_saveexec_b64 s[12:13], s[0:1]
	s_xor_b64 s[12:13], exec, s[12:13]
	s_cbranch_execnz .LBB253_476
; %bb.343:                              ;   in Loop: Header=BB253_296 Depth=1
	s_or_saveexec_b64 s[12:13], s[12:13]
	v_mov_b32_e32 v21, s36
	s_xor_b64 exec, exec, s[12:13]
	s_cbranch_execnz .LBB253_479
.LBB253_344:                            ;   in Loop: Header=BB253_296 Depth=1
	s_or_b64 exec, exec, s[12:13]
	s_and_saveexec_b64 s[12:13], s[10:11]
	s_cbranch_execz .LBB253_346
.LBB253_345:                            ;   in Loop: Header=BB253_296 Depth=1
	v_bfe_u32 v21, v16, 24, 3
	v_ffbh_u32_e32 v40, v21
	v_min_u32_e32 v42, 32, v40
	v_subrev_u32_e32 v40, 28, v42
	v_bfe_u32 v16, v16, 27, 4
	v_lshlrev_b64 v[40:41], v40, v[4:5]
	v_sub_u32_e32 v41, 29, v42
	v_cmp_eq_u32_e64 s[0:1], 0, v16
	v_and_b32_e32 v40, 7, v40
	v_lshlrev_b32_e32 v4, 8, v4
	v_cndmask_b32_e64 v16, v16, v41, s[0:1]
	v_lshl_add_u32 v16, v16, 10, v26
	v_cndmask_b32_e64 v21, v21, v40, s[0:1]
	v_and_or_b32 v4, v4, s28, v16
	v_lshl_or_b32 v4, v21, 7, v4
	v_cvt_f32_f16_e32 v21, v4
.LBB253_346:                            ;   in Loop: Header=BB253_296 Depth=1
	s_or_b64 exec, exec, s[12:13]
	v_cmp_gt_i16_sdwa s[10:11], v17, s26 src0_sel:BYTE_0 src1_sel:DWORD
	s_mov_b64 s[0:1], 0
                                        ; implicit-def: $sgpr16
	s_and_saveexec_b64 s[12:13], s[10:11]
	s_xor_b64 s[10:11], exec, s[12:13]
	s_cbranch_execnz .LBB253_480
; %bb.347:                              ;   in Loop: Header=BB253_296 Depth=1
	s_or_saveexec_b64 s[10:11], s[10:11]
	v_mov_b32_e32 v16, s16
	s_xor_b64 exec, exec, s[10:11]
	s_cbranch_execnz .LBB253_483
.LBB253_348:                            ;   in Loop: Header=BB253_296 Depth=1
	s_or_b64 exec, exec, s[10:11]
	v_mov_b32_e32 v4, v17
	s_and_saveexec_b64 s[10:11], s[0:1]
	s_cbranch_execz .LBB253_350
.LBB253_349:                            ;   in Loop: Header=BB253_296 Depth=1
	v_and_b32_e32 v16, 7, v17
	v_ffbh_u32_e32 v16, v16
	v_bfe_u32 v40, v17, 3, 4
	v_min_u32_e32 v16, 32, v16
	v_subrev_u32_e32 v41, 28, v16
	v_sub_u32_e32 v16, 29, v16
	v_cmp_eq_u32_e64 s[0:1], 0, v40
	s_nop 1
	v_cndmask_b32_e64 v16, v40, v16, s[0:1]
	v_cndmask_b32_e64 v40, 0, v41, s[0:1]
	v_lshlrev_b64 v[40:41], v40, v[4:5]
	v_lshlrev_b32_e32 v41, 8, v17
	v_lshl_add_u32 v16, v16, 10, v26
	v_lshlrev_b32_e32 v40, 7, v40
	v_and_or_b32 v16, v41, s28, v16
	v_and_or_b32 v16, v40, s29, v16
	v_cvt_f32_f16_e32 v16, v16
.LBB253_350:                            ;   in Loop: Header=BB253_296 Depth=1
	s_or_b64 exec, exec, s[10:11]
	v_lshrrev_b16_e32 v4, 8, v4
	v_cmp_lt_i16_e64 s[0:1], s26, v4
	s_mov_b64 s[10:11], 0
                                        ; implicit-def: $sgpr36
	s_and_saveexec_b64 s[12:13], s[0:1]
	s_xor_b64 s[12:13], exec, s[12:13]
	s_cbranch_execnz .LBB253_484
; %bb.351:                              ;   in Loop: Header=BB253_296 Depth=1
	s_or_saveexec_b64 s[12:13], s[12:13]
	v_mov_b32_e32 v40, s36
	s_xor_b64 exec, exec, s[12:13]
	s_cbranch_execnz .LBB253_487
.LBB253_352:                            ;   in Loop: Header=BB253_296 Depth=1
	s_or_b64 exec, exec, s[12:13]
	s_and_saveexec_b64 s[12:13], s[10:11]
	s_cbranch_execz .LBB253_354
.LBB253_353:                            ;   in Loop: Header=BB253_296 Depth=1
	v_and_b32_e32 v42, 7, v4
	v_ffbh_u32_e32 v40, v42
	v_min_u32_e32 v44, 32, v40
	v_subrev_u32_e32 v40, 28, v44
	v_bfe_u32 v43, v4, 3, 4
	v_lshlrev_b64 v[40:41], v40, v[4:5]
	v_sub_u32_e32 v41, 29, v44
	v_cmp_eq_u32_e64 s[0:1], 0, v43
	v_and_b32_e32 v40, 7, v40
	v_lshlrev_b32_e32 v4, 8, v4
	v_cndmask_b32_e64 v41, v43, v41, s[0:1]
	v_lshl_add_u32 v41, v41, 10, v26
	v_cndmask_b32_e64 v40, v42, v40, s[0:1]
	v_and_or_b32 v4, v4, s28, v41
	v_lshl_or_b32 v4, v40, 7, v4
	v_cvt_f32_f16_e32 v40, v4
.LBB253_354:                            ;   in Loop: Header=BB253_296 Depth=1
	s_or_b64 exec, exec, s[12:13]
	v_lshrrev_b32_e32 v4, 16, v17
	v_cmp_gt_i16_sdwa s[10:11], v4, s26 src0_sel:BYTE_0 src1_sel:DWORD
	s_mov_b64 s[0:1], 0
                                        ; implicit-def: $sgpr16
	s_and_saveexec_b64 s[12:13], s[10:11]
	s_xor_b64 s[10:11], exec, s[12:13]
	s_cbranch_execnz .LBB253_488
; %bb.355:                              ;   in Loop: Header=BB253_296 Depth=1
	s_or_saveexec_b64 s[10:11], s[10:11]
	v_mov_b32_e32 v41, s16
	s_xor_b64 exec, exec, s[10:11]
	s_cbranch_execnz .LBB253_491
.LBB253_356:                            ;   in Loop: Header=BB253_296 Depth=1
	s_or_b64 exec, exec, s[10:11]
	s_and_saveexec_b64 s[10:11], s[0:1]
	s_cbranch_execz .LBB253_358
.LBB253_357:                            ;   in Loop: Header=BB253_296 Depth=1
	v_bfe_u32 v41, v17, 16, 3
	v_ffbh_u32_e32 v42, v41
	v_min_u32_e32 v45, 32, v42
	v_subrev_u32_e32 v42, 28, v45
	v_bfe_u32 v44, v17, 19, 4
	v_lshlrev_b64 v[42:43], v42, v[4:5]
	v_sub_u32_e32 v43, 29, v45
	v_cmp_eq_u32_e64 s[0:1], 0, v44
	v_and_b32_e32 v42, 7, v42
	v_lshlrev_b32_e32 v4, 8, v4
	v_cndmask_b32_e64 v43, v44, v43, s[0:1]
	v_cndmask_b32_e64 v41, v41, v42, s[0:1]
	v_lshl_add_u32 v42, v43, 10, v26
	v_and_or_b32 v4, v4, s28, v42
	v_lshl_or_b32 v4, v41, 7, v4
	v_cvt_f32_f16_e32 v41, v4
.LBB253_358:                            ;   in Loop: Header=BB253_296 Depth=1
	s_or_b64 exec, exec, s[10:11]
	v_lshrrev_b32_e32 v4, 24, v17
	v_cmp_lt_i16_e64 s[0:1], s26, v4
	s_mov_b64 s[10:11], 0
                                        ; implicit-def: $sgpr36
	s_and_saveexec_b64 s[12:13], s[0:1]
	s_xor_b64 s[12:13], exec, s[12:13]
	s_cbranch_execnz .LBB253_492
; %bb.359:                              ;   in Loop: Header=BB253_296 Depth=1
	s_or_saveexec_b64 s[12:13], s[12:13]
	v_mov_b32_e32 v42, s36
	s_xor_b64 exec, exec, s[12:13]
	s_cbranch_execnz .LBB253_495
.LBB253_360:                            ;   in Loop: Header=BB253_296 Depth=1
	s_or_b64 exec, exec, s[12:13]
	s_and_saveexec_b64 s[12:13], s[10:11]
	s_cbranch_execz .LBB253_362
.LBB253_361:                            ;   in Loop: Header=BB253_296 Depth=1
	v_bfe_u32 v44, v17, 24, 3
	v_ffbh_u32_e32 v42, v44
	v_min_u32_e32 v45, 32, v42
	v_subrev_u32_e32 v42, 28, v45
	v_bfe_u32 v17, v17, 27, 4
	v_lshlrev_b64 v[42:43], v42, v[4:5]
	v_sub_u32_e32 v43, 29, v45
	v_cmp_eq_u32_e64 s[0:1], 0, v17
	v_and_b32_e32 v42, 7, v42
	v_lshlrev_b32_e32 v4, 8, v4
	v_cndmask_b32_e64 v17, v17, v43, s[0:1]
	v_lshl_add_u32 v17, v17, 10, v26
	v_cndmask_b32_e64 v42, v44, v42, s[0:1]
	v_and_or_b32 v4, v4, s28, v17
	v_lshl_or_b32 v4, v42, 7, v4
	v_cvt_f32_f16_e32 v42, v4
.LBB253_362:                            ;   in Loop: Header=BB253_296 Depth=1
	s_or_b64 exec, exec, s[12:13]
	s_waitcnt vmcnt(0)
	v_pk_mul_f32 v[20:21], v[14:15], v[20:21] op_sel_hi:[0,1]
	v_pk_mul_f32 v[18:19], v[14:15], v[18:19] op_sel_hi:[0,1]
	v_cvt_f16_f32_e32 v4, v21
	v_cvt_f16_f32_e32 v17, v20
	;; [unrolled: 1-line block ×4, first 2 shown]
	v_fma_mixlo_f16 v16, v14, v16, 0
	v_pack_b32_f16 v17, v17, v4
	v_pack_b32_f16 v18, v18, v19
	v_perm_b32 v4, v18, v17, s31
	v_perm_b32 v17, v18, v17, s34
	v_fma_mixlo_f16 v18, v14, v40, 0
	v_lshlrev_b32_e32 v18, 16, v18
	v_or_b32_sdwa v16, v18, v16 dst_sel:DWORD dst_unused:UNUSED_PAD src0_sel:DWORD src1_sel:WORD_0
	v_fma_mixlo_f16 v18, v14, v41, 0
	v_fma_mixlo_f16 v14, v14, v42, 0
	v_lshlrev_b32_e32 v14, 16, v14
	v_or_b32_sdwa v14, v14, v18 dst_sel:DWORD dst_unused:UNUSED_PAD src0_sel:DWORD src1_sel:WORD_0
	s_and_saveexec_b64 s[10:11], vcc
	s_cbranch_execz .LBB253_364
; %bb.363:                              ;   in Loop: Header=BB253_296 Depth=1
	v_lshrrev_b32_e32 v19, 16, v17
	v_cmp_gt_i32_e64 s[0:1], s30, v33
	v_lshrrev_b32_e32 v14, 16, v14
	s_nop 0
	v_cndmask_b32_e64 v19, 0, v19, s[0:1]
	v_cmp_gt_i32_e64 s[0:1], s33, v24
	s_nop 1
	v_cndmask_b32_e64 v17, 0, v17, s[0:1]
	v_perm_b32 v17, v19, v17, s35
	v_lshrrev_b32_e32 v19, 16, v4
	v_cmp_gt_i32_e64 s[0:1], s30, v32
	s_nop 1
	v_cndmask_b32_e64 v19, 0, v19, s[0:1]
	v_cmp_gt_i32_e64 s[0:1], s33, v31
	s_nop 1
	v_cndmask_b32_e64 v4, 0, v4, s[0:1]
	v_perm_b32 v4, v19, v4, s35
	v_lshrrev_b32_e32 v19, 16, v16
	v_cmp_gt_i32_e64 s[0:1], s30, v30
	s_nop 1
	v_cndmask_b32_e64 v19, 0, v19, s[0:1]
	v_cmp_gt_i32_e64 s[0:1], s33, v29
	s_nop 1
	v_cndmask_b32_e64 v16, 0, v16, s[0:1]
	v_cmp_gt_i32_e64 s[0:1], s30, v28
	v_perm_b32 v16, v19, v16, s35
	s_nop 0
	v_cndmask_b32_e64 v14, 0, v14, s[0:1]
	v_cmp_gt_i32_e64 s[0:1], s33, v27
	s_nop 1
	v_cndmask_b32_e64 v18, 0, v18, s[0:1]
	v_perm_b32 v14, v14, v18, s35
.LBB253_364:                            ;   in Loop: Header=BB253_296 Depth=1
	s_or_b64 exec, exec, s[10:11]
	;;#ASMSTART
	v_pk_mul_f16 v17, v34, v17;

	;;#ASMEND
	;;#ASMSTART
	v_pk_mul_f16 v4, v35, v4;

	;;#ASMEND
	;; [unrolled: 4-line block ×4, first 2 shown]
	s_mov_b64 s[0:1], 0
	;;#ASMSTART
	v_pk_add_f16 v4, v17, v4;

	;;#ASMEND
                                        ; implicit-def: $sgpr16
	s_nop 0
	;;#ASMSTART
	v_pk_add_f16 v4, v4, v16;

	;;#ASMEND
	s_nop 0
	;;#ASMSTART
	v_pk_add_f16 v4, v4, v14;

	;;#ASMEND
	s_nop 0
	v_lshrrev_b32_e32 v14, 16, v4
	v_and_b32_e32 v4, 0xffff, v4
	;;#ASMSTART
	v_cvt_f32_f16 v40, v4;
	;;#ASMEND
	;;#ASMSTART
	v_cvt_f32_f16 v41, v14;
	;;#ASMEND
	global_load_dwordx2 v[16:17], v[12:13], off offset:1024
	global_load_dword v14, v5, s[14:15]
	s_waitcnt vmcnt(1)
	v_cmp_gt_i16_sdwa s[10:11], v16, s26 src0_sel:BYTE_0 src1_sel:DWORD
	s_and_saveexec_b64 s[12:13], s[10:11]
	s_xor_b64 s[10:11], exec, s[12:13]
	s_cbranch_execnz .LBB253_496
; %bb.365:                              ;   in Loop: Header=BB253_296 Depth=1
	s_or_saveexec_b64 s[10:11], s[10:11]
	v_mov_b32_e32 v18, s16
	s_xor_b64 exec, exec, s[10:11]
	s_cbranch_execnz .LBB253_499
.LBB253_366:                            ;   in Loop: Header=BB253_296 Depth=1
	s_or_b64 exec, exec, s[10:11]
	s_and_saveexec_b64 s[10:11], s[0:1]
	s_cbranch_execz .LBB253_368
.LBB253_367:                            ;   in Loop: Header=BB253_296 Depth=1
	v_and_b32_e32 v4, 7, v16
	v_ffbh_u32_e32 v4, v4
	v_bfe_u32 v18, v16, 3, 4
	v_min_u32_e32 v4, 32, v4
	v_subrev_u32_e32 v19, 28, v4
	v_sub_u32_e32 v4, 29, v4
	v_cmp_eq_u32_e64 s[0:1], 0, v18
	s_nop 1
	v_cndmask_b32_e64 v4, v18, v4, s[0:1]
	v_cndmask_b32_e64 v18, 0, v19, s[0:1]
	v_lshlrev_b64 v[18:19], v18, v[16:17]
	v_lshlrev_b32_e32 v19, 8, v16
	v_lshl_add_u32 v4, v4, 10, v26
	v_lshlrev_b32_e32 v18, 7, v18
	v_and_or_b32 v4, v19, s28, v4
	v_and_or_b32 v4, v18, s29, v4
	v_cvt_f32_f16_e32 v18, v4
.LBB253_368:                            ;   in Loop: Header=BB253_296 Depth=1
	s_or_b64 exec, exec, s[10:11]
	v_lshrrev_b16_e32 v4, 8, v16
	v_cmp_lt_i16_e64 s[0:1], s26, v4
	s_mov_b64 s[10:11], 0
                                        ; implicit-def: $sgpr36
	s_and_saveexec_b64 s[12:13], s[0:1]
	s_xor_b64 s[12:13], exec, s[12:13]
	s_cbranch_execnz .LBB253_500
; %bb.369:                              ;   in Loop: Header=BB253_296 Depth=1
	s_or_saveexec_b64 s[12:13], s[12:13]
	v_mov_b32_e32 v20, s36
	s_xor_b64 exec, exec, s[12:13]
	s_cbranch_execnz .LBB253_503
.LBB253_370:                            ;   in Loop: Header=BB253_296 Depth=1
	s_or_b64 exec, exec, s[12:13]
	s_and_saveexec_b64 s[12:13], s[10:11]
	s_cbranch_execz .LBB253_372
.LBB253_371:                            ;   in Loop: Header=BB253_296 Depth=1
	v_and_b32_e32 v19, 7, v4
	v_ffbh_u32_e32 v20, v19
	v_min_u32_e32 v43, 32, v20
	v_subrev_u32_e32 v20, 28, v43
	v_bfe_u32 v42, v4, 3, 4
	v_lshlrev_b64 v[20:21], v20, v[4:5]
	v_sub_u32_e32 v21, 29, v43
	v_cmp_eq_u32_e64 s[0:1], 0, v42
	v_and_b32_e32 v20, 7, v20
	v_lshlrev_b32_e32 v4, 8, v4
	v_cndmask_b32_e64 v21, v42, v21, s[0:1]
	v_cndmask_b32_e64 v19, v19, v20, s[0:1]
	v_lshl_add_u32 v20, v21, 10, v26
	v_and_or_b32 v4, v4, s28, v20
	v_lshl_or_b32 v4, v19, 7, v4
	v_cvt_f32_f16_e32 v20, v4
.LBB253_372:                            ;   in Loop: Header=BB253_296 Depth=1
	s_or_b64 exec, exec, s[12:13]
	v_lshrrev_b32_e32 v4, 16, v16
	v_cmp_gt_i16_sdwa s[10:11], v4, s26 src0_sel:BYTE_0 src1_sel:DWORD
	s_mov_b64 s[0:1], 0
                                        ; implicit-def: $sgpr16
	s_and_saveexec_b64 s[12:13], s[10:11]
	s_xor_b64 s[10:11], exec, s[12:13]
	s_cbranch_execnz .LBB253_504
; %bb.373:                              ;   in Loop: Header=BB253_296 Depth=1
	s_or_saveexec_b64 s[10:11], s[10:11]
	v_mov_b32_e32 v19, s16
	s_xor_b64 exec, exec, s[10:11]
	s_cbranch_execnz .LBB253_507
.LBB253_374:                            ;   in Loop: Header=BB253_296 Depth=1
	s_or_b64 exec, exec, s[10:11]
	s_and_saveexec_b64 s[10:11], s[0:1]
	s_cbranch_execz .LBB253_376
.LBB253_375:                            ;   in Loop: Header=BB253_296 Depth=1
	v_bfe_u32 v19, v16, 16, 3
	v_ffbh_u32_e32 v42, v19
	v_min_u32_e32 v44, 32, v42
	v_subrev_u32_e32 v42, 28, v44
	v_bfe_u32 v21, v16, 19, 4
	v_lshlrev_b64 v[42:43], v42, v[4:5]
	v_sub_u32_e32 v43, 29, v44
	v_cmp_eq_u32_e64 s[0:1], 0, v21
	v_and_b32_e32 v42, 7, v42
	v_lshlrev_b32_e32 v4, 8, v4
	v_cndmask_b32_e64 v21, v21, v43, s[0:1]
	v_lshl_add_u32 v21, v21, 10, v26
	v_cndmask_b32_e64 v19, v19, v42, s[0:1]
	v_and_or_b32 v4, v4, s28, v21
	v_lshl_or_b32 v4, v19, 7, v4
	v_cvt_f32_f16_e32 v19, v4
.LBB253_376:                            ;   in Loop: Header=BB253_296 Depth=1
	s_or_b64 exec, exec, s[10:11]
	v_lshrrev_b32_e32 v4, 24, v16
	v_cmp_lt_i16_e64 s[0:1], s26, v4
	s_mov_b64 s[10:11], 0
                                        ; implicit-def: $sgpr36
	s_and_saveexec_b64 s[12:13], s[0:1]
	s_xor_b64 s[12:13], exec, s[12:13]
	s_cbranch_execnz .LBB253_508
; %bb.377:                              ;   in Loop: Header=BB253_296 Depth=1
	s_or_saveexec_b64 s[12:13], s[12:13]
	v_mov_b32_e32 v21, s36
	s_xor_b64 exec, exec, s[12:13]
	s_cbranch_execnz .LBB253_511
.LBB253_378:                            ;   in Loop: Header=BB253_296 Depth=1
	s_or_b64 exec, exec, s[12:13]
	s_and_saveexec_b64 s[12:13], s[10:11]
	s_cbranch_execz .LBB253_380
.LBB253_379:                            ;   in Loop: Header=BB253_296 Depth=1
	v_bfe_u32 v21, v16, 24, 3
	v_ffbh_u32_e32 v42, v21
	v_min_u32_e32 v44, 32, v42
	v_subrev_u32_e32 v42, 28, v44
	v_bfe_u32 v16, v16, 27, 4
	v_lshlrev_b64 v[42:43], v42, v[4:5]
	v_sub_u32_e32 v43, 29, v44
	v_cmp_eq_u32_e64 s[0:1], 0, v16
	v_and_b32_e32 v42, 7, v42
	v_lshlrev_b32_e32 v4, 8, v4
	v_cndmask_b32_e64 v16, v16, v43, s[0:1]
	v_lshl_add_u32 v16, v16, 10, v26
	v_cndmask_b32_e64 v21, v21, v42, s[0:1]
	v_and_or_b32 v4, v4, s28, v16
	v_lshl_or_b32 v4, v21, 7, v4
	v_cvt_f32_f16_e32 v21, v4
.LBB253_380:                            ;   in Loop: Header=BB253_296 Depth=1
	s_or_b64 exec, exec, s[12:13]
	v_cmp_gt_i16_sdwa s[10:11], v17, s26 src0_sel:BYTE_0 src1_sel:DWORD
	s_mov_b64 s[0:1], 0
                                        ; implicit-def: $sgpr16
	s_and_saveexec_b64 s[12:13], s[10:11]
	s_xor_b64 s[10:11], exec, s[12:13]
	s_cbranch_execnz .LBB253_512
; %bb.381:                              ;   in Loop: Header=BB253_296 Depth=1
	s_or_saveexec_b64 s[10:11], s[10:11]
	v_mov_b32_e32 v16, s16
	s_xor_b64 exec, exec, s[10:11]
	s_cbranch_execnz .LBB253_515
.LBB253_382:                            ;   in Loop: Header=BB253_296 Depth=1
	s_or_b64 exec, exec, s[10:11]
	v_mov_b32_e32 v4, v17
	s_and_saveexec_b64 s[10:11], s[0:1]
	s_cbranch_execz .LBB253_384
.LBB253_383:                            ;   in Loop: Header=BB253_296 Depth=1
	v_and_b32_e32 v16, 7, v17
	v_ffbh_u32_e32 v16, v16
	v_bfe_u32 v42, v17, 3, 4
	v_min_u32_e32 v16, 32, v16
	v_subrev_u32_e32 v43, 28, v16
	v_sub_u32_e32 v16, 29, v16
	v_cmp_eq_u32_e64 s[0:1], 0, v42
	s_nop 1
	v_cndmask_b32_e64 v16, v42, v16, s[0:1]
	v_cndmask_b32_e64 v42, 0, v43, s[0:1]
	v_lshlrev_b64 v[42:43], v42, v[4:5]
	v_lshlrev_b32_e32 v43, 8, v17
	v_lshl_add_u32 v16, v16, 10, v26
	v_lshlrev_b32_e32 v42, 7, v42
	v_and_or_b32 v16, v43, s28, v16
	v_and_or_b32 v16, v42, s29, v16
	v_cvt_f32_f16_e32 v16, v16
.LBB253_384:                            ;   in Loop: Header=BB253_296 Depth=1
	s_or_b64 exec, exec, s[10:11]
	v_lshrrev_b16_e32 v4, 8, v4
	v_cmp_lt_i16_e64 s[0:1], s26, v4
	s_mov_b64 s[10:11], 0
                                        ; implicit-def: $sgpr36
	s_and_saveexec_b64 s[12:13], s[0:1]
	s_xor_b64 s[12:13], exec, s[12:13]
	s_cbranch_execnz .LBB253_516
; %bb.385:                              ;   in Loop: Header=BB253_296 Depth=1
	s_or_saveexec_b64 s[12:13], s[12:13]
	v_mov_b32_e32 v42, s36
	s_xor_b64 exec, exec, s[12:13]
	s_cbranch_execnz .LBB253_519
.LBB253_386:                            ;   in Loop: Header=BB253_296 Depth=1
	s_or_b64 exec, exec, s[12:13]
	s_and_saveexec_b64 s[12:13], s[10:11]
	s_cbranch_execz .LBB253_388
.LBB253_387:                            ;   in Loop: Header=BB253_296 Depth=1
	v_and_b32_e32 v44, 7, v4
	v_ffbh_u32_e32 v42, v44
	v_min_u32_e32 v46, 32, v42
	v_subrev_u32_e32 v42, 28, v46
	v_bfe_u32 v45, v4, 3, 4
	v_lshlrev_b64 v[42:43], v42, v[4:5]
	v_sub_u32_e32 v43, 29, v46
	v_cmp_eq_u32_e64 s[0:1], 0, v45
	v_and_b32_e32 v42, 7, v42
	v_lshlrev_b32_e32 v4, 8, v4
	v_cndmask_b32_e64 v43, v45, v43, s[0:1]
	v_lshl_add_u32 v43, v43, 10, v26
	v_cndmask_b32_e64 v42, v44, v42, s[0:1]
	v_and_or_b32 v4, v4, s28, v43
	v_lshl_or_b32 v4, v42, 7, v4
	v_cvt_f32_f16_e32 v42, v4
.LBB253_388:                            ;   in Loop: Header=BB253_296 Depth=1
	s_or_b64 exec, exec, s[12:13]
	v_lshrrev_b32_e32 v4, 16, v17
	v_cmp_gt_i16_sdwa s[10:11], v4, s26 src0_sel:BYTE_0 src1_sel:DWORD
	s_mov_b64 s[0:1], 0
                                        ; implicit-def: $sgpr16
	s_and_saveexec_b64 s[12:13], s[10:11]
	s_xor_b64 s[10:11], exec, s[12:13]
	s_cbranch_execnz .LBB253_520
; %bb.389:                              ;   in Loop: Header=BB253_296 Depth=1
	s_or_saveexec_b64 s[10:11], s[10:11]
	v_mov_b32_e32 v43, s16
	s_xor_b64 exec, exec, s[10:11]
	s_cbranch_execnz .LBB253_523
.LBB253_390:                            ;   in Loop: Header=BB253_296 Depth=1
	s_or_b64 exec, exec, s[10:11]
	s_and_saveexec_b64 s[10:11], s[0:1]
	s_cbranch_execz .LBB253_392
.LBB253_391:                            ;   in Loop: Header=BB253_296 Depth=1
	v_bfe_u32 v43, v17, 16, 3
	v_ffbh_u32_e32 v44, v43
	v_min_u32_e32 v47, 32, v44
	v_subrev_u32_e32 v44, 28, v47
	v_bfe_u32 v46, v17, 19, 4
	v_lshlrev_b64 v[44:45], v44, v[4:5]
	v_sub_u32_e32 v45, 29, v47
	v_cmp_eq_u32_e64 s[0:1], 0, v46
	v_and_b32_e32 v44, 7, v44
	v_lshlrev_b32_e32 v4, 8, v4
	v_cndmask_b32_e64 v45, v46, v45, s[0:1]
	v_cndmask_b32_e64 v43, v43, v44, s[0:1]
	v_lshl_add_u32 v44, v45, 10, v26
	v_and_or_b32 v4, v4, s28, v44
	v_lshl_or_b32 v4, v43, 7, v4
	v_cvt_f32_f16_e32 v43, v4
.LBB253_392:                            ;   in Loop: Header=BB253_296 Depth=1
	s_or_b64 exec, exec, s[10:11]
	v_lshrrev_b32_e32 v4, 24, v17
	v_cmp_lt_i16_e64 s[0:1], s26, v4
	s_mov_b64 s[10:11], 0
                                        ; implicit-def: $sgpr36
	s_and_saveexec_b64 s[12:13], s[0:1]
	s_xor_b64 s[12:13], exec, s[12:13]
	s_cbranch_execnz .LBB253_524
; %bb.393:                              ;   in Loop: Header=BB253_296 Depth=1
	s_or_saveexec_b64 s[12:13], s[12:13]
	v_mov_b32_e32 v44, s36
	s_xor_b64 exec, exec, s[12:13]
	s_cbranch_execnz .LBB253_527
.LBB253_394:                            ;   in Loop: Header=BB253_296 Depth=1
	s_or_b64 exec, exec, s[12:13]
	s_and_saveexec_b64 s[12:13], s[10:11]
	s_cbranch_execz .LBB253_396
.LBB253_395:                            ;   in Loop: Header=BB253_296 Depth=1
	v_bfe_u32 v46, v17, 24, 3
	v_ffbh_u32_e32 v44, v46
	v_min_u32_e32 v47, 32, v44
	v_subrev_u32_e32 v44, 28, v47
	v_bfe_u32 v17, v17, 27, 4
	v_lshlrev_b64 v[44:45], v44, v[4:5]
	v_sub_u32_e32 v45, 29, v47
	v_cmp_eq_u32_e64 s[0:1], 0, v17
	v_and_b32_e32 v44, 7, v44
	v_lshlrev_b32_e32 v4, 8, v4
	v_cndmask_b32_e64 v17, v17, v45, s[0:1]
	v_lshl_add_u32 v17, v17, 10, v26
	v_cndmask_b32_e64 v44, v46, v44, s[0:1]
	v_and_or_b32 v4, v4, s28, v17
	v_lshl_or_b32 v4, v44, 7, v4
	v_cvt_f32_f16_e32 v44, v4
.LBB253_396:                            ;   in Loop: Header=BB253_296 Depth=1
	s_or_b64 exec, exec, s[12:13]
	s_waitcnt vmcnt(0)
	v_pk_mul_f32 v[20:21], v[14:15], v[20:21] op_sel_hi:[0,1]
	v_pk_mul_f32 v[18:19], v[14:15], v[18:19] op_sel_hi:[0,1]
	v_cvt_f16_f32_e32 v4, v21
	v_cvt_f16_f32_e32 v17, v20
	;; [unrolled: 1-line block ×4, first 2 shown]
	v_fma_mixlo_f16 v16, v14, v16, 0
	v_pack_b32_f16 v17, v17, v4
	v_pack_b32_f16 v18, v18, v19
	v_perm_b32 v4, v18, v17, s31
	v_perm_b32 v17, v18, v17, s34
	v_fma_mixlo_f16 v18, v14, v42, 0
	v_lshlrev_b32_e32 v18, 16, v18
	v_or_b32_sdwa v16, v18, v16 dst_sel:DWORD dst_unused:UNUSED_PAD src0_sel:DWORD src1_sel:WORD_0
	v_fma_mixlo_f16 v18, v14, v43, 0
	v_fma_mixlo_f16 v14, v14, v44, 0
	v_lshlrev_b32_e32 v14, 16, v14
	v_or_b32_sdwa v14, v14, v18 dst_sel:DWORD dst_unused:UNUSED_PAD src0_sel:DWORD src1_sel:WORD_0
	s_and_saveexec_b64 s[10:11], vcc
	s_cbranch_execz .LBB253_398
; %bb.397:                              ;   in Loop: Header=BB253_296 Depth=1
	v_lshrrev_b32_e32 v19, 16, v17
	v_cmp_gt_i32_e64 s[0:1], s30, v33
	v_lshrrev_b32_e32 v14, 16, v14
	s_nop 0
	v_cndmask_b32_e64 v19, 0, v19, s[0:1]
	v_cmp_gt_i32_e64 s[0:1], s33, v24
	s_nop 1
	v_cndmask_b32_e64 v17, 0, v17, s[0:1]
	v_perm_b32 v17, v19, v17, s35
	v_lshrrev_b32_e32 v19, 16, v4
	v_cmp_gt_i32_e64 s[0:1], s30, v32
	s_nop 1
	v_cndmask_b32_e64 v19, 0, v19, s[0:1]
	v_cmp_gt_i32_e64 s[0:1], s33, v31
	s_nop 1
	v_cndmask_b32_e64 v4, 0, v4, s[0:1]
	v_perm_b32 v4, v19, v4, s35
	v_lshrrev_b32_e32 v19, 16, v16
	v_cmp_gt_i32_e64 s[0:1], s30, v30
	s_nop 1
	v_cndmask_b32_e64 v19, 0, v19, s[0:1]
	v_cmp_gt_i32_e64 s[0:1], s33, v29
	s_nop 1
	v_cndmask_b32_e64 v16, 0, v16, s[0:1]
	v_cmp_gt_i32_e64 s[0:1], s30, v28
	v_perm_b32 v16, v19, v16, s35
	s_nop 0
	v_cndmask_b32_e64 v14, 0, v14, s[0:1]
	v_cmp_gt_i32_e64 s[0:1], s33, v27
	s_nop 1
	v_cndmask_b32_e64 v18, 0, v18, s[0:1]
	v_perm_b32 v14, v14, v18, s35
.LBB253_398:                            ;   in Loop: Header=BB253_296 Depth=1
	s_or_b64 exec, exec, s[10:11]
	;;#ASMSTART
	v_pk_mul_f16 v17, v34, v17;

	;;#ASMEND
	;;#ASMSTART
	v_pk_mul_f16 v4, v35, v4;

	;;#ASMEND
	;; [unrolled: 4-line block ×4, first 2 shown]
	s_mov_b64 s[0:1], 0
	;;#ASMSTART
	v_pk_add_f16 v4, v17, v4;

	;;#ASMEND
                                        ; implicit-def: $sgpr16
	s_nop 0
	;;#ASMSTART
	v_pk_add_f16 v4, v4, v16;

	;;#ASMEND
	s_nop 0
	;;#ASMSTART
	v_pk_add_f16 v4, v4, v14;

	;;#ASMEND
	s_nop 0
	v_lshrrev_b32_e32 v14, 16, v4
	v_and_b32_e32 v4, 0xffff, v4
	;;#ASMSTART
	v_cvt_f32_f16 v20, v4;
	;;#ASMEND
	;;#ASMSTART
	v_cvt_f32_f16 v21, v14;
	;;#ASMEND
	global_load_dwordx2 v[16:17], v[12:13], off offset:1536
	global_load_dword v14, v5, s[14:15]
	s_waitcnt vmcnt(1)
	v_cmp_gt_i16_sdwa s[10:11], v16, s26 src0_sel:BYTE_0 src1_sel:DWORD
	s_and_saveexec_b64 s[12:13], s[10:11]
	s_xor_b64 s[10:11], exec, s[12:13]
	s_cbranch_execnz .LBB253_528
; %bb.399:                              ;   in Loop: Header=BB253_296 Depth=1
	s_or_saveexec_b64 s[10:11], s[10:11]
	v_mov_b32_e32 v12, s16
	s_xor_b64 exec, exec, s[10:11]
	s_cbranch_execnz .LBB253_531
.LBB253_400:                            ;   in Loop: Header=BB253_296 Depth=1
	s_or_b64 exec, exec, s[10:11]
	s_and_saveexec_b64 s[10:11], s[0:1]
	s_cbranch_execz .LBB253_402
.LBB253_401:                            ;   in Loop: Header=BB253_296 Depth=1
	v_and_b32_e32 v4, 7, v16
	v_ffbh_u32_e32 v4, v4
	v_bfe_u32 v12, v16, 3, 4
	v_min_u32_e32 v4, 32, v4
	v_subrev_u32_e32 v13, 28, v4
	v_sub_u32_e32 v4, 29, v4
	v_cmp_eq_u32_e64 s[0:1], 0, v12
	s_nop 1
	v_cndmask_b32_e64 v4, v12, v4, s[0:1]
	v_cndmask_b32_e64 v12, 0, v13, s[0:1]
	v_lshlrev_b64 v[12:13], v12, v[16:17]
	v_lshlrev_b32_e32 v13, 8, v16
	v_lshl_add_u32 v4, v4, 10, v26
	v_lshlrev_b32_e32 v12, 7, v12
	v_and_or_b32 v4, v13, s28, v4
	v_and_or_b32 v4, v12, s29, v4
	v_cvt_f32_f16_e32 v12, v4
.LBB253_402:                            ;   in Loop: Header=BB253_296 Depth=1
	s_or_b64 exec, exec, s[10:11]
	v_lshrrev_b16_e32 v4, 8, v16
	v_cmp_lt_i16_e64 s[0:1], s26, v4
	s_mov_b64 s[10:11], 0
                                        ; implicit-def: $sgpr36
	s_and_saveexec_b64 s[12:13], s[0:1]
	s_xor_b64 s[12:13], exec, s[12:13]
	s_cbranch_execnz .LBB253_532
; %bb.403:                              ;   in Loop: Header=BB253_296 Depth=1
	s_or_saveexec_b64 s[12:13], s[12:13]
	v_mov_b32_e32 v18, s36
	s_xor_b64 exec, exec, s[12:13]
	s_cbranch_execnz .LBB253_535
.LBB253_404:                            ;   in Loop: Header=BB253_296 Depth=1
	s_or_b64 exec, exec, s[12:13]
	s_and_saveexec_b64 s[12:13], s[10:11]
	s_cbranch_execz .LBB253_406
.LBB253_405:                            ;   in Loop: Header=BB253_296 Depth=1
	v_and_b32_e32 v13, 7, v4
	v_ffbh_u32_e32 v18, v13
	v_min_u32_e32 v43, 32, v18
	v_subrev_u32_e32 v18, 28, v43
	v_bfe_u32 v42, v4, 3, 4
	v_lshlrev_b64 v[18:19], v18, v[4:5]
	v_sub_u32_e32 v19, 29, v43
	v_cmp_eq_u32_e64 s[0:1], 0, v42
	v_and_b32_e32 v18, 7, v18
	v_lshlrev_b32_e32 v4, 8, v4
	v_cndmask_b32_e64 v19, v42, v19, s[0:1]
	v_cndmask_b32_e64 v13, v13, v18, s[0:1]
	v_lshl_add_u32 v18, v19, 10, v26
	v_and_or_b32 v4, v4, s28, v18
	v_lshl_or_b32 v4, v13, 7, v4
	v_cvt_f32_f16_e32 v18, v4
.LBB253_406:                            ;   in Loop: Header=BB253_296 Depth=1
	s_or_b64 exec, exec, s[12:13]
	v_lshrrev_b32_e32 v4, 16, v16
	v_cmp_gt_i16_sdwa s[10:11], v4, s26 src0_sel:BYTE_0 src1_sel:DWORD
	s_mov_b64 s[0:1], 0
                                        ; implicit-def: $sgpr16
	s_and_saveexec_b64 s[12:13], s[10:11]
	s_xor_b64 s[10:11], exec, s[12:13]
	s_cbranch_execnz .LBB253_536
; %bb.407:                              ;   in Loop: Header=BB253_296 Depth=1
	s_or_saveexec_b64 s[10:11], s[10:11]
	v_mov_b32_e32 v13, s16
	s_xor_b64 exec, exec, s[10:11]
	s_cbranch_execnz .LBB253_539
.LBB253_408:                            ;   in Loop: Header=BB253_296 Depth=1
	s_or_b64 exec, exec, s[10:11]
	s_and_saveexec_b64 s[10:11], s[0:1]
	s_cbranch_execz .LBB253_410
.LBB253_409:                            ;   in Loop: Header=BB253_296 Depth=1
	v_bfe_u32 v13, v16, 16, 3
	v_ffbh_u32_e32 v42, v13
	v_min_u32_e32 v44, 32, v42
	v_subrev_u32_e32 v42, 28, v44
	v_bfe_u32 v19, v16, 19, 4
	v_lshlrev_b64 v[42:43], v42, v[4:5]
	v_sub_u32_e32 v43, 29, v44
	v_cmp_eq_u32_e64 s[0:1], 0, v19
	v_and_b32_e32 v42, 7, v42
	v_lshlrev_b32_e32 v4, 8, v4
	v_cndmask_b32_e64 v19, v19, v43, s[0:1]
	v_lshl_add_u32 v19, v19, 10, v26
	v_cndmask_b32_e64 v13, v13, v42, s[0:1]
	v_and_or_b32 v4, v4, s28, v19
	v_lshl_or_b32 v4, v13, 7, v4
	v_cvt_f32_f16_e32 v13, v4
.LBB253_410:                            ;   in Loop: Header=BB253_296 Depth=1
	s_or_b64 exec, exec, s[10:11]
	v_lshrrev_b32_e32 v4, 24, v16
	v_cmp_lt_i16_e64 s[0:1], s26, v4
	s_mov_b64 s[10:11], 0
                                        ; implicit-def: $sgpr36
	s_and_saveexec_b64 s[12:13], s[0:1]
	s_xor_b64 s[12:13], exec, s[12:13]
	s_cbranch_execnz .LBB253_540
; %bb.411:                              ;   in Loop: Header=BB253_296 Depth=1
	s_or_saveexec_b64 s[12:13], s[12:13]
	v_mov_b32_e32 v19, s36
	s_xor_b64 exec, exec, s[12:13]
	s_cbranch_execnz .LBB253_543
.LBB253_412:                            ;   in Loop: Header=BB253_296 Depth=1
	s_or_b64 exec, exec, s[12:13]
	s_and_saveexec_b64 s[12:13], s[10:11]
	s_cbranch_execz .LBB253_414
.LBB253_413:                            ;   in Loop: Header=BB253_296 Depth=1
	v_bfe_u32 v19, v16, 24, 3
	v_ffbh_u32_e32 v42, v19
	v_min_u32_e32 v44, 32, v42
	v_subrev_u32_e32 v42, 28, v44
	v_bfe_u32 v16, v16, 27, 4
	v_lshlrev_b64 v[42:43], v42, v[4:5]
	v_sub_u32_e32 v43, 29, v44
	v_cmp_eq_u32_e64 s[0:1], 0, v16
	v_and_b32_e32 v42, 7, v42
	v_lshlrev_b32_e32 v4, 8, v4
	v_cndmask_b32_e64 v16, v16, v43, s[0:1]
	v_lshl_add_u32 v16, v16, 10, v26
	v_cndmask_b32_e64 v19, v19, v42, s[0:1]
	v_and_or_b32 v4, v4, s28, v16
	v_lshl_or_b32 v4, v19, 7, v4
	v_cvt_f32_f16_e32 v19, v4
.LBB253_414:                            ;   in Loop: Header=BB253_296 Depth=1
	s_or_b64 exec, exec, s[12:13]
	v_cmp_gt_i16_sdwa s[10:11], v17, s26 src0_sel:BYTE_0 src1_sel:DWORD
	s_mov_b64 s[0:1], 0
                                        ; implicit-def: $sgpr16
	s_and_saveexec_b64 s[12:13], s[10:11]
	s_xor_b64 s[10:11], exec, s[12:13]
	s_cbranch_execnz .LBB253_544
; %bb.415:                              ;   in Loop: Header=BB253_296 Depth=1
	s_or_saveexec_b64 s[10:11], s[10:11]
	v_mov_b32_e32 v16, s16
	s_xor_b64 exec, exec, s[10:11]
	s_cbranch_execnz .LBB253_547
.LBB253_416:                            ;   in Loop: Header=BB253_296 Depth=1
	s_or_b64 exec, exec, s[10:11]
	v_mov_b32_e32 v4, v17
	s_and_saveexec_b64 s[10:11], s[0:1]
	s_cbranch_execz .LBB253_418
.LBB253_417:                            ;   in Loop: Header=BB253_296 Depth=1
	v_and_b32_e32 v16, 7, v17
	v_ffbh_u32_e32 v16, v16
	v_bfe_u32 v42, v17, 3, 4
	v_min_u32_e32 v16, 32, v16
	v_subrev_u32_e32 v43, 28, v16
	v_sub_u32_e32 v16, 29, v16
	v_cmp_eq_u32_e64 s[0:1], 0, v42
	s_nop 1
	v_cndmask_b32_e64 v16, v42, v16, s[0:1]
	v_cndmask_b32_e64 v42, 0, v43, s[0:1]
	v_lshlrev_b64 v[42:43], v42, v[4:5]
	v_lshlrev_b32_e32 v43, 8, v17
	v_lshl_add_u32 v16, v16, 10, v26
	v_lshlrev_b32_e32 v42, 7, v42
	v_and_or_b32 v16, v43, s28, v16
	v_and_or_b32 v16, v42, s29, v16
	v_cvt_f32_f16_e32 v16, v16
.LBB253_418:                            ;   in Loop: Header=BB253_296 Depth=1
	s_or_b64 exec, exec, s[10:11]
	v_lshrrev_b16_e32 v4, 8, v4
	v_cmp_lt_i16_e64 s[0:1], s26, v4
	s_mov_b64 s[10:11], 0
                                        ; implicit-def: $sgpr36
	s_and_saveexec_b64 s[12:13], s[0:1]
	s_xor_b64 s[12:13], exec, s[12:13]
	s_cbranch_execnz .LBB253_548
; %bb.419:                              ;   in Loop: Header=BB253_296 Depth=1
	s_or_saveexec_b64 s[12:13], s[12:13]
	v_mov_b32_e32 v42, s36
	s_xor_b64 exec, exec, s[12:13]
	s_cbranch_execnz .LBB253_551
.LBB253_420:                            ;   in Loop: Header=BB253_296 Depth=1
	s_or_b64 exec, exec, s[12:13]
	s_and_saveexec_b64 s[12:13], s[10:11]
	s_cbranch_execz .LBB253_422
.LBB253_421:                            ;   in Loop: Header=BB253_296 Depth=1
	v_and_b32_e32 v44, 7, v4
	v_ffbh_u32_e32 v42, v44
	v_min_u32_e32 v46, 32, v42
	v_subrev_u32_e32 v42, 28, v46
	v_bfe_u32 v45, v4, 3, 4
	v_lshlrev_b64 v[42:43], v42, v[4:5]
	v_sub_u32_e32 v43, 29, v46
	v_cmp_eq_u32_e64 s[0:1], 0, v45
	v_and_b32_e32 v42, 7, v42
	v_lshlrev_b32_e32 v4, 8, v4
	v_cndmask_b32_e64 v43, v45, v43, s[0:1]
	v_lshl_add_u32 v43, v43, 10, v26
	v_cndmask_b32_e64 v42, v44, v42, s[0:1]
	v_and_or_b32 v4, v4, s28, v43
	v_lshl_or_b32 v4, v42, 7, v4
	v_cvt_f32_f16_e32 v42, v4
.LBB253_422:                            ;   in Loop: Header=BB253_296 Depth=1
	s_or_b64 exec, exec, s[12:13]
	v_lshrrev_b32_e32 v4, 16, v17
	v_cmp_gt_i16_sdwa s[10:11], v4, s26 src0_sel:BYTE_0 src1_sel:DWORD
	s_mov_b64 s[0:1], 0
                                        ; implicit-def: $sgpr16
	s_and_saveexec_b64 s[12:13], s[10:11]
	s_xor_b64 s[10:11], exec, s[12:13]
	s_cbranch_execnz .LBB253_552
; %bb.423:                              ;   in Loop: Header=BB253_296 Depth=1
	s_or_saveexec_b64 s[10:11], s[10:11]
	v_mov_b32_e32 v43, s16
	s_xor_b64 exec, exec, s[10:11]
	s_cbranch_execnz .LBB253_555
.LBB253_424:                            ;   in Loop: Header=BB253_296 Depth=1
	s_or_b64 exec, exec, s[10:11]
	s_and_saveexec_b64 s[10:11], s[0:1]
	s_cbranch_execz .LBB253_426
.LBB253_425:                            ;   in Loop: Header=BB253_296 Depth=1
	v_bfe_u32 v43, v17, 16, 3
	v_ffbh_u32_e32 v44, v43
	v_min_u32_e32 v47, 32, v44
	v_subrev_u32_e32 v44, 28, v47
	v_bfe_u32 v46, v17, 19, 4
	v_lshlrev_b64 v[44:45], v44, v[4:5]
	v_sub_u32_e32 v45, 29, v47
	v_cmp_eq_u32_e64 s[0:1], 0, v46
	v_and_b32_e32 v44, 7, v44
	v_lshlrev_b32_e32 v4, 8, v4
	v_cndmask_b32_e64 v45, v46, v45, s[0:1]
	v_cndmask_b32_e64 v43, v43, v44, s[0:1]
	v_lshl_add_u32 v44, v45, 10, v26
	v_and_or_b32 v4, v4, s28, v44
	v_lshl_or_b32 v4, v43, 7, v4
	v_cvt_f32_f16_e32 v43, v4
.LBB253_426:                            ;   in Loop: Header=BB253_296 Depth=1
	s_or_b64 exec, exec, s[10:11]
	v_lshrrev_b32_e32 v4, 24, v17
	v_cmp_lt_i16_e64 s[0:1], s26, v4
	s_mov_b64 s[10:11], 0
                                        ; implicit-def: $sgpr36
	s_and_saveexec_b64 s[12:13], s[0:1]
	s_xor_b64 s[12:13], exec, s[12:13]
	s_cbranch_execnz .LBB253_556
; %bb.427:                              ;   in Loop: Header=BB253_296 Depth=1
	s_or_saveexec_b64 s[12:13], s[12:13]
	v_mov_b32_e32 v44, s36
	s_xor_b64 exec, exec, s[12:13]
	s_cbranch_execnz .LBB253_559
.LBB253_428:                            ;   in Loop: Header=BB253_296 Depth=1
	s_or_b64 exec, exec, s[12:13]
	s_and_saveexec_b64 s[12:13], s[10:11]
	s_cbranch_execz .LBB253_430
.LBB253_429:                            ;   in Loop: Header=BB253_296 Depth=1
	v_bfe_u32 v46, v17, 24, 3
	v_ffbh_u32_e32 v44, v46
	v_min_u32_e32 v47, 32, v44
	v_subrev_u32_e32 v44, 28, v47
	v_bfe_u32 v17, v17, 27, 4
	v_lshlrev_b64 v[44:45], v44, v[4:5]
	v_sub_u32_e32 v45, 29, v47
	v_cmp_eq_u32_e64 s[0:1], 0, v17
	v_and_b32_e32 v44, 7, v44
	v_lshlrev_b32_e32 v4, 8, v4
	v_cndmask_b32_e64 v17, v17, v45, s[0:1]
	v_lshl_add_u32 v17, v17, 10, v26
	v_cndmask_b32_e64 v44, v46, v44, s[0:1]
	v_and_or_b32 v4, v4, s28, v17
	v_lshl_or_b32 v4, v44, 7, v4
	v_cvt_f32_f16_e32 v44, v4
.LBB253_430:                            ;   in Loop: Header=BB253_296 Depth=1
	s_or_b64 exec, exec, s[12:13]
	s_waitcnt vmcnt(0)
	v_pk_mul_f32 v[12:13], v[14:15], v[12:13] op_sel_hi:[0,1]
	v_cvt_f16_f32_e32 v13, v13
	v_cvt_f16_f32_e32 v12, v12
	v_pk_mul_f32 v[18:19], v[14:15], v[18:19] op_sel_hi:[0,1]
	v_cvt_f16_f32_e32 v4, v19
	v_cvt_f16_f32_e32 v17, v18
	v_pack_b32_f16 v12, v12, v13
	v_fma_mixlo_f16 v13, v14, v42, 0
	v_lshlrev_b32_e32 v13, 16, v13
	v_fma_mixlo_f16 v16, v14, v16, 0
	v_or_b32_sdwa v13, v13, v16 dst_sel:DWORD dst_unused:UNUSED_PAD src0_sel:DWORD src1_sel:WORD_0
	v_fma_mixlo_f16 v16, v14, v43, 0
	v_fma_mixlo_f16 v14, v14, v44, 0
	v_pack_b32_f16 v17, v17, v4
	v_lshlrev_b32_e32 v14, 16, v14
	v_perm_b32 v4, v12, v17, s31
	v_perm_b32 v12, v12, v17, s34
	v_or_b32_sdwa v14, v14, v16 dst_sel:DWORD dst_unused:UNUSED_PAD src0_sel:DWORD src1_sel:WORD_0
	s_and_saveexec_b64 s[0:1], vcc
	s_cbranch_execz .LBB253_295
; %bb.431:                              ;   in Loop: Header=BB253_296 Depth=1
	v_lshrrev_b32_e32 v17, 16, v12
	v_cmp_gt_i32_e32 vcc, s30, v33
	v_lshrrev_b32_e32 v14, 16, v14
	s_nop 0
	v_cndmask_b32_e32 v17, 0, v17, vcc
	v_cmp_gt_i32_e32 vcc, s33, v24
	s_nop 1
	v_cndmask_b32_e32 v12, 0, v12, vcc
	v_perm_b32 v12, v17, v12, s35
	v_lshrrev_b32_e32 v17, 16, v4
	v_cmp_gt_i32_e32 vcc, s30, v32
	s_nop 1
	v_cndmask_b32_e32 v17, 0, v17, vcc
	v_cmp_gt_i32_e32 vcc, s33, v31
	s_nop 1
	v_cndmask_b32_e32 v4, 0, v4, vcc
	v_perm_b32 v4, v17, v4, s35
	v_lshrrev_b32_e32 v17, 16, v13
	v_cmp_gt_i32_e32 vcc, s30, v30
	s_nop 1
	v_cndmask_b32_e32 v17, 0, v17, vcc
	v_cmp_gt_i32_e32 vcc, s33, v29
	s_nop 1
	v_cndmask_b32_e32 v13, 0, v13, vcc
	v_cmp_gt_i32_e32 vcc, s30, v28
	v_perm_b32 v13, v17, v13, s35
	s_nop 0
	v_cndmask_b32_e32 v14, 0, v14, vcc
	v_cmp_gt_i32_e32 vcc, s33, v27
	s_nop 1
	v_cndmask_b32_e32 v16, 0, v16, vcc
	v_perm_b32 v14, v14, v16, s35
	s_branch .LBB253_295
.LBB253_432:                            ;   in Loop: Header=BB253_296 Depth=1
	v_cmp_eq_u16_sdwa s[36:37], v16, s27 src0_sel:BYTE_0 src1_sel:DWORD
	s_mov_b64 s[0:1], -1
                                        ; implicit-def: $sgpr16
	s_and_saveexec_b64 s[12:13], s[36:37]
; %bb.433:                              ;   in Loop: Header=BB253_296 Depth=1
	s_mov_b32 s16, 0x7fc02000
	s_xor_b64 s[0:1], exec, -1
; %bb.434:                              ;   in Loop: Header=BB253_296 Depth=1
	s_or_b64 exec, exec, s[12:13]
	s_and_b64 s[0:1], s[0:1], exec
	s_or_saveexec_b64 s[10:11], s[10:11]
	v_mov_b32_e32 v18, s16
	s_xor_b64 exec, exec, s[10:11]
	s_cbranch_execz .LBB253_298
.LBB253_435:                            ;   in Loop: Header=BB253_296 Depth=1
	v_cmp_ne_u16_sdwa s[12:13], v16, v5 src0_sel:BYTE_0 src1_sel:DWORD
	s_andn2_b64 s[0:1], s[0:1], exec
	s_and_b64 s[12:13], s[12:13], exec
	v_mov_b32_e32 v18, 0
	s_or_b64 s[0:1], s[0:1], s[12:13]
	s_or_b64 exec, exec, s[10:11]
	s_and_saveexec_b64 s[10:11], s[0:1]
	s_cbranch_execnz .LBB253_299
	s_branch .LBB253_300
.LBB253_436:                            ;   in Loop: Header=BB253_296 Depth=1
	v_cmp_eq_u16_e32 vcc, s27, v4
	s_mov_b64 s[0:1], -1
                                        ; implicit-def: $sgpr16
	s_and_saveexec_b64 s[12:13], vcc
; %bb.437:                              ;   in Loop: Header=BB253_296 Depth=1
	s_mov_b32 s16, 0x7fc02000
	s_xor_b64 s[0:1], exec, -1
; %bb.438:                              ;   in Loop: Header=BB253_296 Depth=1
	s_or_b64 exec, exec, s[12:13]
	s_and_b64 s[0:1], s[0:1], exec
	s_or_saveexec_b64 s[10:11], s[10:11]
	v_mov_b32_e32 v20, s16
	s_xor_b64 exec, exec, s[10:11]
	s_cbranch_execz .LBB253_302
.LBB253_439:                            ;   in Loop: Header=BB253_296 Depth=1
	v_cmp_ne_u16_e32 vcc, 0, v4
	s_andn2_b64 s[0:1], s[0:1], exec
	s_and_b64 s[12:13], vcc, exec
	v_mov_b32_e32 v20, 0
	s_or_b64 s[0:1], s[0:1], s[12:13]
	s_or_b64 exec, exec, s[10:11]
	s_and_saveexec_b64 s[10:11], s[0:1]
	s_cbranch_execnz .LBB253_303
	s_branch .LBB253_304
.LBB253_440:                            ;   in Loop: Header=BB253_296 Depth=1
	v_cmp_eq_u16_sdwa s[36:37], v4, s27 src0_sel:BYTE_0 src1_sel:DWORD
	s_mov_b64 s[0:1], -1
                                        ; implicit-def: $sgpr16
	s_and_saveexec_b64 s[12:13], s[36:37]
; %bb.441:                              ;   in Loop: Header=BB253_296 Depth=1
	s_mov_b32 s16, 0x7fc02000
	s_xor_b64 s[0:1], exec, -1
; %bb.442:                              ;   in Loop: Header=BB253_296 Depth=1
	s_or_b64 exec, exec, s[12:13]
	s_and_b64 s[0:1], s[0:1], exec
	s_or_saveexec_b64 s[10:11], s[10:11]
	v_mov_b32_e32 v19, s16
	s_xor_b64 exec, exec, s[10:11]
	s_cbranch_execz .LBB253_306
.LBB253_443:                            ;   in Loop: Header=BB253_296 Depth=1
	v_cmp_ne_u16_sdwa s[12:13], v4, v5 src0_sel:BYTE_0 src1_sel:DWORD
	s_andn2_b64 s[0:1], s[0:1], exec
	s_and_b64 s[12:13], s[12:13], exec
	v_mov_b32_e32 v19, 0
	s_or_b64 s[0:1], s[0:1], s[12:13]
	s_or_b64 exec, exec, s[10:11]
	s_and_saveexec_b64 s[10:11], s[0:1]
	s_cbranch_execnz .LBB253_307
	s_branch .LBB253_308
.LBB253_444:                            ;   in Loop: Header=BB253_296 Depth=1
	v_cmp_eq_u16_e32 vcc, s27, v4
	s_mov_b64 s[0:1], -1
                                        ; implicit-def: $sgpr16
	s_and_saveexec_b64 s[12:13], vcc
; %bb.445:                              ;   in Loop: Header=BB253_296 Depth=1
	s_mov_b32 s16, 0x7fc02000
	s_xor_b64 s[0:1], exec, -1
; %bb.446:                              ;   in Loop: Header=BB253_296 Depth=1
	s_or_b64 exec, exec, s[12:13]
	s_and_b64 s[0:1], s[0:1], exec
	s_or_saveexec_b64 s[10:11], s[10:11]
	v_mov_b32_e32 v21, s16
	s_xor_b64 exec, exec, s[10:11]
	s_cbranch_execz .LBB253_310
.LBB253_447:                            ;   in Loop: Header=BB253_296 Depth=1
	v_cmp_ne_u16_e32 vcc, 0, v4
	s_andn2_b64 s[0:1], s[0:1], exec
	s_and_b64 s[12:13], vcc, exec
	v_mov_b32_e32 v21, 0
	s_or_b64 s[0:1], s[0:1], s[12:13]
	s_or_b64 exec, exec, s[10:11]
	s_and_saveexec_b64 s[10:11], s[0:1]
	s_cbranch_execnz .LBB253_311
	s_branch .LBB253_312
.LBB253_448:                            ;   in Loop: Header=BB253_296 Depth=1
	v_cmp_eq_u16_sdwa s[36:37], v17, s27 src0_sel:BYTE_0 src1_sel:DWORD
	s_mov_b64 s[0:1], -1
                                        ; implicit-def: $sgpr16
	s_and_saveexec_b64 s[12:13], s[36:37]
; %bb.449:                              ;   in Loop: Header=BB253_296 Depth=1
	s_mov_b32 s16, 0x7fc02000
	s_xor_b64 s[0:1], exec, -1
; %bb.450:                              ;   in Loop: Header=BB253_296 Depth=1
	s_or_b64 exec, exec, s[12:13]
	s_and_b64 s[0:1], s[0:1], exec
	s_or_saveexec_b64 s[10:11], s[10:11]
	v_mov_b32_e32 v16, s16
	s_xor_b64 exec, exec, s[10:11]
	s_cbranch_execz .LBB253_314
.LBB253_451:                            ;   in Loop: Header=BB253_296 Depth=1
	v_cmp_ne_u16_sdwa s[12:13], v17, v5 src0_sel:BYTE_0 src1_sel:DWORD
	s_andn2_b64 s[0:1], s[0:1], exec
	s_and_b64 s[12:13], s[12:13], exec
	v_mov_b32_e32 v16, 0
	s_or_b64 s[0:1], s[0:1], s[12:13]
	s_or_b64 exec, exec, s[10:11]
	v_mov_b32_e32 v4, v17
	s_and_saveexec_b64 s[10:11], s[0:1]
	s_cbranch_execnz .LBB253_315
	s_branch .LBB253_316
.LBB253_452:                            ;   in Loop: Header=BB253_296 Depth=1
	v_cmp_eq_u16_e32 vcc, s27, v4
	s_mov_b64 s[0:1], -1
                                        ; implicit-def: $sgpr16
	s_and_saveexec_b64 s[12:13], vcc
; %bb.453:                              ;   in Loop: Header=BB253_296 Depth=1
	s_mov_b32 s16, 0x7fc02000
	s_xor_b64 s[0:1], exec, -1
; %bb.454:                              ;   in Loop: Header=BB253_296 Depth=1
	s_or_b64 exec, exec, s[12:13]
	s_and_b64 s[0:1], s[0:1], exec
	s_or_saveexec_b64 s[10:11], s[10:11]
	v_mov_b32_e32 v27, s16
	s_xor_b64 exec, exec, s[10:11]
	s_cbranch_execz .LBB253_318
.LBB253_455:                            ;   in Loop: Header=BB253_296 Depth=1
	v_cmp_ne_u16_e32 vcc, 0, v4
	s_andn2_b64 s[0:1], s[0:1], exec
	s_and_b64 s[12:13], vcc, exec
	v_mov_b32_e32 v27, 0
	s_or_b64 s[0:1], s[0:1], s[12:13]
	s_or_b64 exec, exec, s[10:11]
	s_and_saveexec_b64 s[10:11], s[0:1]
	s_cbranch_execnz .LBB253_319
	s_branch .LBB253_320
.LBB253_456:                            ;   in Loop: Header=BB253_296 Depth=1
	v_cmp_eq_u16_sdwa s[36:37], v4, s27 src0_sel:BYTE_0 src1_sel:DWORD
	s_mov_b64 s[0:1], -1
                                        ; implicit-def: $sgpr16
	s_and_saveexec_b64 s[12:13], s[36:37]
; %bb.457:                              ;   in Loop: Header=BB253_296 Depth=1
	s_mov_b32 s16, 0x7fc02000
	s_xor_b64 s[0:1], exec, -1
; %bb.458:                              ;   in Loop: Header=BB253_296 Depth=1
	s_or_b64 exec, exec, s[12:13]
	s_and_b64 s[0:1], s[0:1], exec
	s_or_saveexec_b64 s[10:11], s[10:11]
	v_mov_b32_e32 v28, s16
	s_xor_b64 exec, exec, s[10:11]
	s_cbranch_execz .LBB253_322
.LBB253_459:                            ;   in Loop: Header=BB253_296 Depth=1
	v_cmp_ne_u16_sdwa s[12:13], v4, v5 src0_sel:BYTE_0 src1_sel:DWORD
	s_andn2_b64 s[0:1], s[0:1], exec
	s_and_b64 s[12:13], s[12:13], exec
	v_mov_b32_e32 v28, 0
	s_or_b64 s[0:1], s[0:1], s[12:13]
	s_or_b64 exec, exec, s[10:11]
	s_and_saveexec_b64 s[10:11], s[0:1]
	s_cbranch_execnz .LBB253_323
	s_branch .LBB253_324
.LBB253_460:                            ;   in Loop: Header=BB253_296 Depth=1
	v_cmp_eq_u16_e32 vcc, s27, v4
	s_mov_b64 s[0:1], -1
                                        ; implicit-def: $sgpr16
	s_and_saveexec_b64 s[12:13], vcc
; %bb.461:                              ;   in Loop: Header=BB253_296 Depth=1
	s_mov_b32 s16, 0x7fc02000
	s_xor_b64 s[0:1], exec, -1
; %bb.462:                              ;   in Loop: Header=BB253_296 Depth=1
	s_or_b64 exec, exec, s[12:13]
	s_and_b64 s[0:1], s[0:1], exec
	s_or_saveexec_b64 s[10:11], s[10:11]
	v_mov_b32_e32 v29, s16
	s_xor_b64 exec, exec, s[10:11]
	s_cbranch_execz .LBB253_326
.LBB253_463:                            ;   in Loop: Header=BB253_296 Depth=1
	v_cmp_ne_u16_e32 vcc, 0, v4
	s_andn2_b64 s[0:1], s[0:1], exec
	s_and_b64 s[12:13], vcc, exec
	v_mov_b32_e32 v29, 0
	s_or_b64 s[0:1], s[0:1], s[12:13]
	s_or_b64 exec, exec, s[10:11]
	s_and_saveexec_b64 s[10:11], s[0:1]
	s_cbranch_execnz .LBB253_327
	s_branch .LBB253_328
.LBB253_464:                            ;   in Loop: Header=BB253_296 Depth=1
	v_cmp_eq_u16_sdwa s[36:37], v16, s27 src0_sel:BYTE_0 src1_sel:DWORD
	s_mov_b64 s[0:1], -1
                                        ; implicit-def: $sgpr16
	s_and_saveexec_b64 s[12:13], s[36:37]
; %bb.465:                              ;   in Loop: Header=BB253_296 Depth=1
	s_mov_b32 s16, 0x7fc02000
	s_xor_b64 s[0:1], exec, -1
; %bb.466:                              ;   in Loop: Header=BB253_296 Depth=1
	s_or_b64 exec, exec, s[12:13]
	s_and_b64 s[0:1], s[0:1], exec
	s_or_saveexec_b64 s[10:11], s[10:11]
	v_mov_b32_e32 v18, s16
	s_xor_b64 exec, exec, s[10:11]
	s_cbranch_execz .LBB253_332
.LBB253_467:                            ;   in Loop: Header=BB253_296 Depth=1
	v_cmp_ne_u16_sdwa s[12:13], v16, v5 src0_sel:BYTE_0 src1_sel:DWORD
	s_andn2_b64 s[0:1], s[0:1], exec
	s_and_b64 s[12:13], s[12:13], exec
	v_mov_b32_e32 v18, 0
	s_or_b64 s[0:1], s[0:1], s[12:13]
	s_or_b64 exec, exec, s[10:11]
	s_and_saveexec_b64 s[10:11], s[0:1]
	s_cbranch_execnz .LBB253_333
	s_branch .LBB253_334
.LBB253_468:                            ;   in Loop: Header=BB253_296 Depth=1
	v_cmp_eq_u16_e64 s[0:1], s27, v4
	s_mov_b64 s[10:11], -1
                                        ; implicit-def: $sgpr36
	s_and_saveexec_b64 s[16:17], s[0:1]
; %bb.469:                              ;   in Loop: Header=BB253_296 Depth=1
	s_mov_b32 s36, 0x7fc02000
	s_xor_b64 s[10:11], exec, -1
; %bb.470:                              ;   in Loop: Header=BB253_296 Depth=1
	s_or_b64 exec, exec, s[16:17]
	s_and_b64 s[10:11], s[10:11], exec
	s_or_saveexec_b64 s[12:13], s[12:13]
	v_mov_b32_e32 v20, s36
	s_xor_b64 exec, exec, s[12:13]
	s_cbranch_execz .LBB253_336
.LBB253_471:                            ;   in Loop: Header=BB253_296 Depth=1
	v_cmp_ne_u16_e64 s[0:1], 0, v4
	s_andn2_b64 s[10:11], s[10:11], exec
	s_and_b64 s[0:1], s[0:1], exec
	v_mov_b32_e32 v20, 0
	s_or_b64 s[10:11], s[10:11], s[0:1]
	s_or_b64 exec, exec, s[12:13]
	s_and_saveexec_b64 s[12:13], s[10:11]
	s_cbranch_execnz .LBB253_337
	s_branch .LBB253_338
.LBB253_472:                            ;   in Loop: Header=BB253_296 Depth=1
	v_cmp_eq_u16_sdwa s[36:37], v4, s27 src0_sel:BYTE_0 src1_sel:DWORD
	s_mov_b64 s[0:1], -1
                                        ; implicit-def: $sgpr16
	s_and_saveexec_b64 s[12:13], s[36:37]
; %bb.473:                              ;   in Loop: Header=BB253_296 Depth=1
	s_mov_b32 s16, 0x7fc02000
	s_xor_b64 s[0:1], exec, -1
; %bb.474:                              ;   in Loop: Header=BB253_296 Depth=1
	s_or_b64 exec, exec, s[12:13]
	s_and_b64 s[0:1], s[0:1], exec
	s_or_saveexec_b64 s[10:11], s[10:11]
	v_mov_b32_e32 v19, s16
	s_xor_b64 exec, exec, s[10:11]
	s_cbranch_execz .LBB253_340
.LBB253_475:                            ;   in Loop: Header=BB253_296 Depth=1
	v_cmp_ne_u16_sdwa s[12:13], v4, v5 src0_sel:BYTE_0 src1_sel:DWORD
	s_andn2_b64 s[0:1], s[0:1], exec
	s_and_b64 s[12:13], s[12:13], exec
	v_mov_b32_e32 v19, 0
	s_or_b64 s[0:1], s[0:1], s[12:13]
	s_or_b64 exec, exec, s[10:11]
	s_and_saveexec_b64 s[10:11], s[0:1]
	s_cbranch_execnz .LBB253_341
	s_branch .LBB253_342
.LBB253_476:                            ;   in Loop: Header=BB253_296 Depth=1
	v_cmp_eq_u16_e64 s[0:1], s27, v4
	s_mov_b64 s[10:11], -1
                                        ; implicit-def: $sgpr36
	s_and_saveexec_b64 s[16:17], s[0:1]
; %bb.477:                              ;   in Loop: Header=BB253_296 Depth=1
	s_mov_b32 s36, 0x7fc02000
	s_xor_b64 s[10:11], exec, -1
; %bb.478:                              ;   in Loop: Header=BB253_296 Depth=1
	s_or_b64 exec, exec, s[16:17]
	s_and_b64 s[10:11], s[10:11], exec
	s_or_saveexec_b64 s[12:13], s[12:13]
	v_mov_b32_e32 v21, s36
	s_xor_b64 exec, exec, s[12:13]
	s_cbranch_execz .LBB253_344
.LBB253_479:                            ;   in Loop: Header=BB253_296 Depth=1
	v_cmp_ne_u16_e64 s[0:1], 0, v4
	s_andn2_b64 s[10:11], s[10:11], exec
	s_and_b64 s[0:1], s[0:1], exec
	v_mov_b32_e32 v21, 0
	s_or_b64 s[10:11], s[10:11], s[0:1]
	s_or_b64 exec, exec, s[12:13]
	s_and_saveexec_b64 s[12:13], s[10:11]
	s_cbranch_execnz .LBB253_345
	s_branch .LBB253_346
.LBB253_480:                            ;   in Loop: Header=BB253_296 Depth=1
	v_cmp_eq_u16_sdwa s[36:37], v17, s27 src0_sel:BYTE_0 src1_sel:DWORD
	s_mov_b64 s[0:1], -1
                                        ; implicit-def: $sgpr16
	s_and_saveexec_b64 s[12:13], s[36:37]
; %bb.481:                              ;   in Loop: Header=BB253_296 Depth=1
	s_mov_b32 s16, 0x7fc02000
	s_xor_b64 s[0:1], exec, -1
; %bb.482:                              ;   in Loop: Header=BB253_296 Depth=1
	s_or_b64 exec, exec, s[12:13]
	s_and_b64 s[0:1], s[0:1], exec
	s_or_saveexec_b64 s[10:11], s[10:11]
	v_mov_b32_e32 v16, s16
	s_xor_b64 exec, exec, s[10:11]
	s_cbranch_execz .LBB253_348
.LBB253_483:                            ;   in Loop: Header=BB253_296 Depth=1
	v_cmp_ne_u16_sdwa s[12:13], v17, v5 src0_sel:BYTE_0 src1_sel:DWORD
	s_andn2_b64 s[0:1], s[0:1], exec
	s_and_b64 s[12:13], s[12:13], exec
	v_mov_b32_e32 v16, 0
	s_or_b64 s[0:1], s[0:1], s[12:13]
	s_or_b64 exec, exec, s[10:11]
	v_mov_b32_e32 v4, v17
	s_and_saveexec_b64 s[10:11], s[0:1]
	s_cbranch_execnz .LBB253_349
	s_branch .LBB253_350
.LBB253_484:                            ;   in Loop: Header=BB253_296 Depth=1
	v_cmp_eq_u16_e64 s[0:1], s27, v4
	s_mov_b64 s[10:11], -1
                                        ; implicit-def: $sgpr36
	s_and_saveexec_b64 s[16:17], s[0:1]
; %bb.485:                              ;   in Loop: Header=BB253_296 Depth=1
	s_mov_b32 s36, 0x7fc02000
	s_xor_b64 s[10:11], exec, -1
; %bb.486:                              ;   in Loop: Header=BB253_296 Depth=1
	s_or_b64 exec, exec, s[16:17]
	s_and_b64 s[10:11], s[10:11], exec
	s_or_saveexec_b64 s[12:13], s[12:13]
	v_mov_b32_e32 v40, s36
	s_xor_b64 exec, exec, s[12:13]
	s_cbranch_execz .LBB253_352
.LBB253_487:                            ;   in Loop: Header=BB253_296 Depth=1
	v_cmp_ne_u16_e64 s[0:1], 0, v4
	s_andn2_b64 s[10:11], s[10:11], exec
	s_and_b64 s[0:1], s[0:1], exec
	v_mov_b32_e32 v40, 0
	s_or_b64 s[10:11], s[10:11], s[0:1]
	s_or_b64 exec, exec, s[12:13]
	s_and_saveexec_b64 s[12:13], s[10:11]
	s_cbranch_execnz .LBB253_353
	s_branch .LBB253_354
.LBB253_488:                            ;   in Loop: Header=BB253_296 Depth=1
	v_cmp_eq_u16_sdwa s[36:37], v4, s27 src0_sel:BYTE_0 src1_sel:DWORD
	s_mov_b64 s[0:1], -1
                                        ; implicit-def: $sgpr16
	s_and_saveexec_b64 s[12:13], s[36:37]
; %bb.489:                              ;   in Loop: Header=BB253_296 Depth=1
	s_mov_b32 s16, 0x7fc02000
	s_xor_b64 s[0:1], exec, -1
; %bb.490:                              ;   in Loop: Header=BB253_296 Depth=1
	s_or_b64 exec, exec, s[12:13]
	s_and_b64 s[0:1], s[0:1], exec
	s_or_saveexec_b64 s[10:11], s[10:11]
	v_mov_b32_e32 v41, s16
	s_xor_b64 exec, exec, s[10:11]
	s_cbranch_execz .LBB253_356
.LBB253_491:                            ;   in Loop: Header=BB253_296 Depth=1
	v_cmp_ne_u16_sdwa s[12:13], v4, v5 src0_sel:BYTE_0 src1_sel:DWORD
	s_andn2_b64 s[0:1], s[0:1], exec
	s_and_b64 s[12:13], s[12:13], exec
	v_mov_b32_e32 v41, 0
	s_or_b64 s[0:1], s[0:1], s[12:13]
	s_or_b64 exec, exec, s[10:11]
	s_and_saveexec_b64 s[10:11], s[0:1]
	s_cbranch_execnz .LBB253_357
	s_branch .LBB253_358
.LBB253_492:                            ;   in Loop: Header=BB253_296 Depth=1
	v_cmp_eq_u16_e64 s[0:1], s27, v4
	s_mov_b64 s[10:11], -1
                                        ; implicit-def: $sgpr36
	s_and_saveexec_b64 s[16:17], s[0:1]
; %bb.493:                              ;   in Loop: Header=BB253_296 Depth=1
	s_mov_b32 s36, 0x7fc02000
	s_xor_b64 s[10:11], exec, -1
; %bb.494:                              ;   in Loop: Header=BB253_296 Depth=1
	s_or_b64 exec, exec, s[16:17]
	s_and_b64 s[10:11], s[10:11], exec
	s_or_saveexec_b64 s[12:13], s[12:13]
	v_mov_b32_e32 v42, s36
	s_xor_b64 exec, exec, s[12:13]
	s_cbranch_execz .LBB253_360
.LBB253_495:                            ;   in Loop: Header=BB253_296 Depth=1
	v_cmp_ne_u16_e64 s[0:1], 0, v4
	s_andn2_b64 s[10:11], s[10:11], exec
	s_and_b64 s[0:1], s[0:1], exec
	v_mov_b32_e32 v42, 0
	s_or_b64 s[10:11], s[10:11], s[0:1]
	s_or_b64 exec, exec, s[12:13]
	s_and_saveexec_b64 s[12:13], s[10:11]
	s_cbranch_execnz .LBB253_361
	s_branch .LBB253_362
.LBB253_496:                            ;   in Loop: Header=BB253_296 Depth=1
	v_cmp_eq_u16_sdwa s[36:37], v16, s27 src0_sel:BYTE_0 src1_sel:DWORD
	s_mov_b64 s[0:1], -1
                                        ; implicit-def: $sgpr16
	s_and_saveexec_b64 s[12:13], s[36:37]
; %bb.497:                              ;   in Loop: Header=BB253_296 Depth=1
	s_mov_b32 s16, 0x7fc02000
	s_xor_b64 s[0:1], exec, -1
; %bb.498:                              ;   in Loop: Header=BB253_296 Depth=1
	s_or_b64 exec, exec, s[12:13]
	s_and_b64 s[0:1], s[0:1], exec
	s_or_saveexec_b64 s[10:11], s[10:11]
	v_mov_b32_e32 v18, s16
	s_xor_b64 exec, exec, s[10:11]
	s_cbranch_execz .LBB253_366
.LBB253_499:                            ;   in Loop: Header=BB253_296 Depth=1
	v_cmp_ne_u16_sdwa s[12:13], v16, v5 src0_sel:BYTE_0 src1_sel:DWORD
	s_andn2_b64 s[0:1], s[0:1], exec
	s_and_b64 s[12:13], s[12:13], exec
	v_mov_b32_e32 v18, 0
	s_or_b64 s[0:1], s[0:1], s[12:13]
	s_or_b64 exec, exec, s[10:11]
	s_and_saveexec_b64 s[10:11], s[0:1]
	s_cbranch_execnz .LBB253_367
	s_branch .LBB253_368
.LBB253_500:                            ;   in Loop: Header=BB253_296 Depth=1
	v_cmp_eq_u16_e64 s[0:1], s27, v4
	s_mov_b64 s[10:11], -1
                                        ; implicit-def: $sgpr36
	s_and_saveexec_b64 s[16:17], s[0:1]
; %bb.501:                              ;   in Loop: Header=BB253_296 Depth=1
	s_mov_b32 s36, 0x7fc02000
	s_xor_b64 s[10:11], exec, -1
; %bb.502:                              ;   in Loop: Header=BB253_296 Depth=1
	s_or_b64 exec, exec, s[16:17]
	s_and_b64 s[10:11], s[10:11], exec
	s_or_saveexec_b64 s[12:13], s[12:13]
	v_mov_b32_e32 v20, s36
	s_xor_b64 exec, exec, s[12:13]
	s_cbranch_execz .LBB253_370
.LBB253_503:                            ;   in Loop: Header=BB253_296 Depth=1
	v_cmp_ne_u16_e64 s[0:1], 0, v4
	s_andn2_b64 s[10:11], s[10:11], exec
	s_and_b64 s[0:1], s[0:1], exec
	v_mov_b32_e32 v20, 0
	s_or_b64 s[10:11], s[10:11], s[0:1]
	s_or_b64 exec, exec, s[12:13]
	s_and_saveexec_b64 s[12:13], s[10:11]
	s_cbranch_execnz .LBB253_371
	s_branch .LBB253_372
.LBB253_504:                            ;   in Loop: Header=BB253_296 Depth=1
	v_cmp_eq_u16_sdwa s[36:37], v4, s27 src0_sel:BYTE_0 src1_sel:DWORD
	s_mov_b64 s[0:1], -1
                                        ; implicit-def: $sgpr16
	s_and_saveexec_b64 s[12:13], s[36:37]
; %bb.505:                              ;   in Loop: Header=BB253_296 Depth=1
	s_mov_b32 s16, 0x7fc02000
	s_xor_b64 s[0:1], exec, -1
; %bb.506:                              ;   in Loop: Header=BB253_296 Depth=1
	s_or_b64 exec, exec, s[12:13]
	s_and_b64 s[0:1], s[0:1], exec
	s_or_saveexec_b64 s[10:11], s[10:11]
	v_mov_b32_e32 v19, s16
	s_xor_b64 exec, exec, s[10:11]
	s_cbranch_execz .LBB253_374
.LBB253_507:                            ;   in Loop: Header=BB253_296 Depth=1
	v_cmp_ne_u16_sdwa s[12:13], v4, v5 src0_sel:BYTE_0 src1_sel:DWORD
	s_andn2_b64 s[0:1], s[0:1], exec
	s_and_b64 s[12:13], s[12:13], exec
	v_mov_b32_e32 v19, 0
	s_or_b64 s[0:1], s[0:1], s[12:13]
	s_or_b64 exec, exec, s[10:11]
	s_and_saveexec_b64 s[10:11], s[0:1]
	s_cbranch_execnz .LBB253_375
	s_branch .LBB253_376
.LBB253_508:                            ;   in Loop: Header=BB253_296 Depth=1
	v_cmp_eq_u16_e64 s[0:1], s27, v4
	s_mov_b64 s[10:11], -1
                                        ; implicit-def: $sgpr36
	s_and_saveexec_b64 s[16:17], s[0:1]
; %bb.509:                              ;   in Loop: Header=BB253_296 Depth=1
	s_mov_b32 s36, 0x7fc02000
	s_xor_b64 s[10:11], exec, -1
; %bb.510:                              ;   in Loop: Header=BB253_296 Depth=1
	s_or_b64 exec, exec, s[16:17]
	s_and_b64 s[10:11], s[10:11], exec
	s_or_saveexec_b64 s[12:13], s[12:13]
	v_mov_b32_e32 v21, s36
	s_xor_b64 exec, exec, s[12:13]
	s_cbranch_execz .LBB253_378
.LBB253_511:                            ;   in Loop: Header=BB253_296 Depth=1
	v_cmp_ne_u16_e64 s[0:1], 0, v4
	s_andn2_b64 s[10:11], s[10:11], exec
	s_and_b64 s[0:1], s[0:1], exec
	v_mov_b32_e32 v21, 0
	s_or_b64 s[10:11], s[10:11], s[0:1]
	s_or_b64 exec, exec, s[12:13]
	s_and_saveexec_b64 s[12:13], s[10:11]
	s_cbranch_execnz .LBB253_379
	s_branch .LBB253_380
.LBB253_512:                            ;   in Loop: Header=BB253_296 Depth=1
	v_cmp_eq_u16_sdwa s[36:37], v17, s27 src0_sel:BYTE_0 src1_sel:DWORD
	s_mov_b64 s[0:1], -1
                                        ; implicit-def: $sgpr16
	s_and_saveexec_b64 s[12:13], s[36:37]
; %bb.513:                              ;   in Loop: Header=BB253_296 Depth=1
	s_mov_b32 s16, 0x7fc02000
	s_xor_b64 s[0:1], exec, -1
; %bb.514:                              ;   in Loop: Header=BB253_296 Depth=1
	s_or_b64 exec, exec, s[12:13]
	s_and_b64 s[0:1], s[0:1], exec
	s_or_saveexec_b64 s[10:11], s[10:11]
	v_mov_b32_e32 v16, s16
	s_xor_b64 exec, exec, s[10:11]
	s_cbranch_execz .LBB253_382
.LBB253_515:                            ;   in Loop: Header=BB253_296 Depth=1
	v_cmp_ne_u16_sdwa s[12:13], v17, v5 src0_sel:BYTE_0 src1_sel:DWORD
	s_andn2_b64 s[0:1], s[0:1], exec
	s_and_b64 s[12:13], s[12:13], exec
	v_mov_b32_e32 v16, 0
	s_or_b64 s[0:1], s[0:1], s[12:13]
	s_or_b64 exec, exec, s[10:11]
	v_mov_b32_e32 v4, v17
	s_and_saveexec_b64 s[10:11], s[0:1]
	s_cbranch_execnz .LBB253_383
	s_branch .LBB253_384
.LBB253_516:                            ;   in Loop: Header=BB253_296 Depth=1
	v_cmp_eq_u16_e64 s[0:1], s27, v4
	s_mov_b64 s[10:11], -1
                                        ; implicit-def: $sgpr36
	s_and_saveexec_b64 s[16:17], s[0:1]
; %bb.517:                              ;   in Loop: Header=BB253_296 Depth=1
	s_mov_b32 s36, 0x7fc02000
	s_xor_b64 s[10:11], exec, -1
; %bb.518:                              ;   in Loop: Header=BB253_296 Depth=1
	s_or_b64 exec, exec, s[16:17]
	s_and_b64 s[10:11], s[10:11], exec
	s_or_saveexec_b64 s[12:13], s[12:13]
	v_mov_b32_e32 v42, s36
	s_xor_b64 exec, exec, s[12:13]
	s_cbranch_execz .LBB253_386
.LBB253_519:                            ;   in Loop: Header=BB253_296 Depth=1
	v_cmp_ne_u16_e64 s[0:1], 0, v4
	s_andn2_b64 s[10:11], s[10:11], exec
	s_and_b64 s[0:1], s[0:1], exec
	v_mov_b32_e32 v42, 0
	s_or_b64 s[10:11], s[10:11], s[0:1]
	s_or_b64 exec, exec, s[12:13]
	s_and_saveexec_b64 s[12:13], s[10:11]
	s_cbranch_execnz .LBB253_387
	s_branch .LBB253_388
.LBB253_520:                            ;   in Loop: Header=BB253_296 Depth=1
	v_cmp_eq_u16_sdwa s[36:37], v4, s27 src0_sel:BYTE_0 src1_sel:DWORD
	s_mov_b64 s[0:1], -1
                                        ; implicit-def: $sgpr16
	s_and_saveexec_b64 s[12:13], s[36:37]
; %bb.521:                              ;   in Loop: Header=BB253_296 Depth=1
	s_mov_b32 s16, 0x7fc02000
	s_xor_b64 s[0:1], exec, -1
; %bb.522:                              ;   in Loop: Header=BB253_296 Depth=1
	s_or_b64 exec, exec, s[12:13]
	s_and_b64 s[0:1], s[0:1], exec
	s_or_saveexec_b64 s[10:11], s[10:11]
	v_mov_b32_e32 v43, s16
	s_xor_b64 exec, exec, s[10:11]
	s_cbranch_execz .LBB253_390
.LBB253_523:                            ;   in Loop: Header=BB253_296 Depth=1
	v_cmp_ne_u16_sdwa s[12:13], v4, v5 src0_sel:BYTE_0 src1_sel:DWORD
	s_andn2_b64 s[0:1], s[0:1], exec
	s_and_b64 s[12:13], s[12:13], exec
	v_mov_b32_e32 v43, 0
	s_or_b64 s[0:1], s[0:1], s[12:13]
	s_or_b64 exec, exec, s[10:11]
	s_and_saveexec_b64 s[10:11], s[0:1]
	s_cbranch_execnz .LBB253_391
	s_branch .LBB253_392
.LBB253_524:                            ;   in Loop: Header=BB253_296 Depth=1
	v_cmp_eq_u16_e64 s[0:1], s27, v4
	s_mov_b64 s[10:11], -1
                                        ; implicit-def: $sgpr36
	s_and_saveexec_b64 s[16:17], s[0:1]
; %bb.525:                              ;   in Loop: Header=BB253_296 Depth=1
	s_mov_b32 s36, 0x7fc02000
	s_xor_b64 s[10:11], exec, -1
; %bb.526:                              ;   in Loop: Header=BB253_296 Depth=1
	s_or_b64 exec, exec, s[16:17]
	s_and_b64 s[10:11], s[10:11], exec
	s_or_saveexec_b64 s[12:13], s[12:13]
	v_mov_b32_e32 v44, s36
	s_xor_b64 exec, exec, s[12:13]
	s_cbranch_execz .LBB253_394
.LBB253_527:                            ;   in Loop: Header=BB253_296 Depth=1
	v_cmp_ne_u16_e64 s[0:1], 0, v4
	s_andn2_b64 s[10:11], s[10:11], exec
	s_and_b64 s[0:1], s[0:1], exec
	v_mov_b32_e32 v44, 0
	s_or_b64 s[10:11], s[10:11], s[0:1]
	s_or_b64 exec, exec, s[12:13]
	s_and_saveexec_b64 s[12:13], s[10:11]
	s_cbranch_execnz .LBB253_395
	s_branch .LBB253_396
.LBB253_528:                            ;   in Loop: Header=BB253_296 Depth=1
	v_cmp_eq_u16_sdwa s[36:37], v16, s27 src0_sel:BYTE_0 src1_sel:DWORD
	s_mov_b64 s[0:1], -1
                                        ; implicit-def: $sgpr16
	s_and_saveexec_b64 s[12:13], s[36:37]
; %bb.529:                              ;   in Loop: Header=BB253_296 Depth=1
	s_mov_b32 s16, 0x7fc02000
	s_xor_b64 s[0:1], exec, -1
; %bb.530:                              ;   in Loop: Header=BB253_296 Depth=1
	s_or_b64 exec, exec, s[12:13]
	s_and_b64 s[0:1], s[0:1], exec
	s_or_saveexec_b64 s[10:11], s[10:11]
	v_mov_b32_e32 v12, s16
	s_xor_b64 exec, exec, s[10:11]
	s_cbranch_execz .LBB253_400
.LBB253_531:                            ;   in Loop: Header=BB253_296 Depth=1
	v_cmp_ne_u16_sdwa s[12:13], v16, v5 src0_sel:BYTE_0 src1_sel:DWORD
	s_andn2_b64 s[0:1], s[0:1], exec
	s_and_b64 s[12:13], s[12:13], exec
	v_mov_b32_e32 v12, 0
	s_or_b64 s[0:1], s[0:1], s[12:13]
	s_or_b64 exec, exec, s[10:11]
	s_and_saveexec_b64 s[10:11], s[0:1]
	s_cbranch_execnz .LBB253_401
	s_branch .LBB253_402
.LBB253_532:                            ;   in Loop: Header=BB253_296 Depth=1
	v_cmp_eq_u16_e64 s[0:1], s27, v4
	s_mov_b64 s[10:11], -1
                                        ; implicit-def: $sgpr36
	s_and_saveexec_b64 s[16:17], s[0:1]
; %bb.533:                              ;   in Loop: Header=BB253_296 Depth=1
	s_mov_b32 s36, 0x7fc02000
	s_xor_b64 s[10:11], exec, -1
; %bb.534:                              ;   in Loop: Header=BB253_296 Depth=1
	s_or_b64 exec, exec, s[16:17]
	s_and_b64 s[10:11], s[10:11], exec
	s_or_saveexec_b64 s[12:13], s[12:13]
	v_mov_b32_e32 v18, s36
	s_xor_b64 exec, exec, s[12:13]
	s_cbranch_execz .LBB253_404
.LBB253_535:                            ;   in Loop: Header=BB253_296 Depth=1
	v_cmp_ne_u16_e64 s[0:1], 0, v4
	s_andn2_b64 s[10:11], s[10:11], exec
	s_and_b64 s[0:1], s[0:1], exec
	v_mov_b32_e32 v18, 0
	s_or_b64 s[10:11], s[10:11], s[0:1]
	s_or_b64 exec, exec, s[12:13]
	s_and_saveexec_b64 s[12:13], s[10:11]
	s_cbranch_execnz .LBB253_405
	s_branch .LBB253_406
.LBB253_536:                            ;   in Loop: Header=BB253_296 Depth=1
	v_cmp_eq_u16_sdwa s[36:37], v4, s27 src0_sel:BYTE_0 src1_sel:DWORD
	s_mov_b64 s[0:1], -1
                                        ; implicit-def: $sgpr16
	s_and_saveexec_b64 s[12:13], s[36:37]
; %bb.537:                              ;   in Loop: Header=BB253_296 Depth=1
	s_mov_b32 s16, 0x7fc02000
	s_xor_b64 s[0:1], exec, -1
; %bb.538:                              ;   in Loop: Header=BB253_296 Depth=1
	s_or_b64 exec, exec, s[12:13]
	s_and_b64 s[0:1], s[0:1], exec
	s_or_saveexec_b64 s[10:11], s[10:11]
	v_mov_b32_e32 v13, s16
	s_xor_b64 exec, exec, s[10:11]
	s_cbranch_execz .LBB253_408
.LBB253_539:                            ;   in Loop: Header=BB253_296 Depth=1
	v_cmp_ne_u16_sdwa s[12:13], v4, v5 src0_sel:BYTE_0 src1_sel:DWORD
	s_andn2_b64 s[0:1], s[0:1], exec
	s_and_b64 s[12:13], s[12:13], exec
	v_mov_b32_e32 v13, 0
	s_or_b64 s[0:1], s[0:1], s[12:13]
	s_or_b64 exec, exec, s[10:11]
	s_and_saveexec_b64 s[10:11], s[0:1]
	s_cbranch_execnz .LBB253_409
	s_branch .LBB253_410
.LBB253_540:                            ;   in Loop: Header=BB253_296 Depth=1
	v_cmp_eq_u16_e64 s[0:1], s27, v4
	s_mov_b64 s[10:11], -1
                                        ; implicit-def: $sgpr36
	s_and_saveexec_b64 s[16:17], s[0:1]
; %bb.541:                              ;   in Loop: Header=BB253_296 Depth=1
	s_mov_b32 s36, 0x7fc02000
	s_xor_b64 s[10:11], exec, -1
; %bb.542:                              ;   in Loop: Header=BB253_296 Depth=1
	s_or_b64 exec, exec, s[16:17]
	s_and_b64 s[10:11], s[10:11], exec
	s_or_saveexec_b64 s[12:13], s[12:13]
	v_mov_b32_e32 v19, s36
	s_xor_b64 exec, exec, s[12:13]
	s_cbranch_execz .LBB253_412
.LBB253_543:                            ;   in Loop: Header=BB253_296 Depth=1
	v_cmp_ne_u16_e64 s[0:1], 0, v4
	s_andn2_b64 s[10:11], s[10:11], exec
	s_and_b64 s[0:1], s[0:1], exec
	v_mov_b32_e32 v19, 0
	s_or_b64 s[10:11], s[10:11], s[0:1]
	s_or_b64 exec, exec, s[12:13]
	s_and_saveexec_b64 s[12:13], s[10:11]
	s_cbranch_execnz .LBB253_413
	s_branch .LBB253_414
.LBB253_544:                            ;   in Loop: Header=BB253_296 Depth=1
	v_cmp_eq_u16_sdwa s[36:37], v17, s27 src0_sel:BYTE_0 src1_sel:DWORD
	s_mov_b64 s[0:1], -1
                                        ; implicit-def: $sgpr16
	s_and_saveexec_b64 s[12:13], s[36:37]
; %bb.545:                              ;   in Loop: Header=BB253_296 Depth=1
	s_mov_b32 s16, 0x7fc02000
	s_xor_b64 s[0:1], exec, -1
; %bb.546:                              ;   in Loop: Header=BB253_296 Depth=1
	s_or_b64 exec, exec, s[12:13]
	s_and_b64 s[0:1], s[0:1], exec
	s_or_saveexec_b64 s[10:11], s[10:11]
	v_mov_b32_e32 v16, s16
	s_xor_b64 exec, exec, s[10:11]
	s_cbranch_execz .LBB253_416
.LBB253_547:                            ;   in Loop: Header=BB253_296 Depth=1
	v_cmp_ne_u16_sdwa s[12:13], v17, v5 src0_sel:BYTE_0 src1_sel:DWORD
	s_andn2_b64 s[0:1], s[0:1], exec
	s_and_b64 s[12:13], s[12:13], exec
	v_mov_b32_e32 v16, 0
	s_or_b64 s[0:1], s[0:1], s[12:13]
	s_or_b64 exec, exec, s[10:11]
	v_mov_b32_e32 v4, v17
	s_and_saveexec_b64 s[10:11], s[0:1]
	s_cbranch_execnz .LBB253_417
	s_branch .LBB253_418
.LBB253_548:                            ;   in Loop: Header=BB253_296 Depth=1
	v_cmp_eq_u16_e64 s[0:1], s27, v4
	s_mov_b64 s[10:11], -1
                                        ; implicit-def: $sgpr36
	s_and_saveexec_b64 s[16:17], s[0:1]
; %bb.549:                              ;   in Loop: Header=BB253_296 Depth=1
	s_mov_b32 s36, 0x7fc02000
	s_xor_b64 s[10:11], exec, -1
; %bb.550:                              ;   in Loop: Header=BB253_296 Depth=1
	s_or_b64 exec, exec, s[16:17]
	s_and_b64 s[10:11], s[10:11], exec
	s_or_saveexec_b64 s[12:13], s[12:13]
	v_mov_b32_e32 v42, s36
	s_xor_b64 exec, exec, s[12:13]
	s_cbranch_execz .LBB253_420
.LBB253_551:                            ;   in Loop: Header=BB253_296 Depth=1
	v_cmp_ne_u16_e64 s[0:1], 0, v4
	s_andn2_b64 s[10:11], s[10:11], exec
	s_and_b64 s[0:1], s[0:1], exec
	v_mov_b32_e32 v42, 0
	s_or_b64 s[10:11], s[10:11], s[0:1]
	s_or_b64 exec, exec, s[12:13]
	s_and_saveexec_b64 s[12:13], s[10:11]
	s_cbranch_execnz .LBB253_421
	s_branch .LBB253_422
.LBB253_552:                            ;   in Loop: Header=BB253_296 Depth=1
	v_cmp_eq_u16_sdwa s[36:37], v4, s27 src0_sel:BYTE_0 src1_sel:DWORD
	s_mov_b64 s[0:1], -1
                                        ; implicit-def: $sgpr16
	s_and_saveexec_b64 s[12:13], s[36:37]
; %bb.553:                              ;   in Loop: Header=BB253_296 Depth=1
	s_mov_b32 s16, 0x7fc02000
	s_xor_b64 s[0:1], exec, -1
; %bb.554:                              ;   in Loop: Header=BB253_296 Depth=1
	s_or_b64 exec, exec, s[12:13]
	s_and_b64 s[0:1], s[0:1], exec
	s_or_saveexec_b64 s[10:11], s[10:11]
	v_mov_b32_e32 v43, s16
	s_xor_b64 exec, exec, s[10:11]
	s_cbranch_execz .LBB253_424
.LBB253_555:                            ;   in Loop: Header=BB253_296 Depth=1
	v_cmp_ne_u16_sdwa s[12:13], v4, v5 src0_sel:BYTE_0 src1_sel:DWORD
	s_andn2_b64 s[0:1], s[0:1], exec
	s_and_b64 s[12:13], s[12:13], exec
	v_mov_b32_e32 v43, 0
	s_or_b64 s[0:1], s[0:1], s[12:13]
	s_or_b64 exec, exec, s[10:11]
	s_and_saveexec_b64 s[10:11], s[0:1]
	s_cbranch_execnz .LBB253_425
	s_branch .LBB253_426
.LBB253_556:                            ;   in Loop: Header=BB253_296 Depth=1
	v_cmp_eq_u16_e64 s[0:1], s27, v4
	s_mov_b64 s[10:11], -1
                                        ; implicit-def: $sgpr36
	s_and_saveexec_b64 s[16:17], s[0:1]
; %bb.557:                              ;   in Loop: Header=BB253_296 Depth=1
	s_mov_b32 s36, 0x7fc02000
	s_xor_b64 s[10:11], exec, -1
; %bb.558:                              ;   in Loop: Header=BB253_296 Depth=1
	s_or_b64 exec, exec, s[16:17]
	s_and_b64 s[10:11], s[10:11], exec
	s_or_saveexec_b64 s[12:13], s[12:13]
	v_mov_b32_e32 v44, s36
	s_xor_b64 exec, exec, s[12:13]
	s_cbranch_execz .LBB253_428
.LBB253_559:                            ;   in Loop: Header=BB253_296 Depth=1
	v_cmp_ne_u16_e64 s[0:1], 0, v4
	s_andn2_b64 s[10:11], s[10:11], exec
	s_and_b64 s[0:1], s[0:1], exec
	v_mov_b32_e32 v44, 0
	s_or_b64 s[10:11], s[10:11], s[0:1]
	s_or_b64 exec, exec, s[12:13]
	s_and_saveexec_b64 s[12:13], s[10:11]
	s_cbranch_execnz .LBB253_429
	s_branch .LBB253_430
.LBB253_560:
	s_or_b64 exec, exec, s[2:3]
.LBB253_561:
	s_or_b64 exec, exec, s[8:9]
	ds_bpermute_b32 v4, v22, v6
	ds_bpermute_b32 v5, v22, v7
	;; [unrolled: 1-line block ×4, first 2 shown]
	v_and_b32_e32 v1, 0x3c1, v0
	v_cmp_eq_u32_e32 vcc, 64, v1
	s_waitcnt lgkmcnt(2)
	v_pk_add_f32 v[4:5], v[6:7], v[4:5]
	s_waitcnt lgkmcnt(0)
	v_pk_add_f32 v[2:3], v[2:3], v[8:9]
	s_barrier
	s_and_saveexec_b64 s[0:1], vcc
	s_cbranch_execz .LBB253_563
; %bb.562:
	v_mov_b32_e32 v6, 0x110
	v_lshl_add_u32 v6, v15, 1, v6
	ds_write2_b32 v6, v4, v5 offset1:32
	ds_write2_b32 v6, v2, v3 offset0:64 offset1:96
.LBB253_563:
	s_or_b64 exec, exec, s[0:1]
	s_waitcnt lgkmcnt(0)
	s_barrier
	s_and_saveexec_b64 s[0:1], s[6:7]
	s_cbranch_execz .LBB253_570
; %bb.564:
	v_cmp_eq_u32_e32 vcc, 0, v23
	v_lshrrev_b32_e32 v6, 1, v0
	s_and_saveexec_b64 s[2:3], vcc
	s_cbranch_execnz .LBB253_573
; %bb.565:
	s_or_b64 exec, exec, s[2:3]
	s_and_saveexec_b64 s[2:3], vcc
	s_cbranch_execnz .LBB253_574
.LBB253_566:
	s_or_b64 exec, exec, s[2:3]
	s_and_saveexec_b64 s[2:3], vcc
	s_cbranch_execnz .LBB253_575
.LBB253_567:
	s_or_b64 exec, exec, s[2:3]
	s_and_saveexec_b64 s[2:3], vcc
	s_cbranch_execz .LBB253_569
.LBB253_568:
	v_mov_b32_e32 v7, 0x110
	v_lshl_add_u32 v6, v6, 2, v7
	ds_read_b32 v6, v6 offset:384
	s_waitcnt lgkmcnt(0)
	v_add_f32_e32 v3, v3, v6
.LBB253_569:
	s_or_b64 exec, exec, s[2:3]
.LBB253_570:
	s_or_b64 exec, exec, s[0:1]
	v_cmp_eq_u32_e32 vcc, 0, v1
	s_barrier
	s_and_saveexec_b64 s[0:1], vcc
	s_cbranch_execz .LBB253_572
; %bb.571:
	s_mul_i32 s0, s20, s21
	s_mul_i32 s0, s0, s5
	s_lshl_b32 s0, s0, 7
	s_ashr_i32 s1, s0, 31
	s_lshl_b64 s[0:1], s[0:1], 1
	s_add_u32 s2, s24, s0
	s_mul_i32 s0, s21, s22
	s_addc_u32 s3, s25, s1
	s_ashr_i32 s1, s0, 31
	s_lshl_b64 s[0:1], s[0:1], 1
	s_add_u32 s2, s2, s0
	s_addc_u32 s3, s3, s1
	s_lshl_b32 s0, s4, 7
	s_ashr_i32 s1, s0, 31
	s_lshl_b64 s[0:1], s[0:1], 1
	s_add_u32 s0, s2, s0
	s_addc_u32 s1, s3, s1
	;;#ASMSTART
	v_cvt_f16_f32 v1, v4;

	;;#ASMEND
	global_store_short v0, v1, s[0:1]
	;;#ASMSTART
	v_cvt_f16_f32 v1, v5;

	;;#ASMEND
	global_store_short v0, v1, s[0:1] offset:64
	;;#ASMSTART
	v_cvt_f16_f32 v1, v2;

	;;#ASMEND
	global_store_short v0, v1, s[0:1] offset:128
	;; [unrolled: 5-line block ×3, first 2 shown]
.LBB253_572:
	s_endpgm
.LBB253_573:
	v_mov_b32_e32 v7, 0x110
	v_lshl_add_u32 v7, v6, 2, v7
	ds_read_b32 v7, v7
	s_waitcnt lgkmcnt(0)
	v_add_f32_e32 v4, v4, v7
	s_or_b64 exec, exec, s[2:3]
	s_and_saveexec_b64 s[2:3], vcc
	s_cbranch_execz .LBB253_566
.LBB253_574:
	v_mov_b32_e32 v7, 0x110
	v_lshl_add_u32 v7, v6, 2, v7
	ds_read_b32 v7, v7 offset:128
	s_waitcnt lgkmcnt(0)
	v_add_f32_e32 v5, v5, v7
	s_or_b64 exec, exec, s[2:3]
	s_and_saveexec_b64 s[2:3], vcc
	s_cbranch_execz .LBB253_567
.LBB253_575:
	v_mov_b32_e32 v7, 0x110
	v_lshl_add_u32 v7, v6, 2, v7
	ds_read_b32 v7, v7 offset:256
	s_waitcnt lgkmcnt(0)
	v_add_f32_e32 v2, v2, v7
	s_or_b64 exec, exec, s[2:3]
	s_and_saveexec_b64 s[2:3], vcc
	s_cbranch_execnz .LBB253_568
	s_branch .LBB253_569
	.section	.rodata,"a",@progbits
	.p2align	6, 0x0
	.amdhsa_kernel _ZN4vllm25paged_attention_v1_kernelIthLi128ELi16ELi128ELNS_18Fp8KVCacheDataTypeE1ELb0EEEvPT_PKS2_PKT0_S8_ifPKiSA_iPKfiiiSC_SC_iiiii
		.amdhsa_group_segment_fixed_size 272
		.amdhsa_private_segment_fixed_size 0
		.amdhsa_kernarg_size 384
		.amdhsa_user_sgpr_count 2
		.amdhsa_user_sgpr_dispatch_ptr 0
		.amdhsa_user_sgpr_queue_ptr 0
		.amdhsa_user_sgpr_kernarg_segment_ptr 1
		.amdhsa_user_sgpr_dispatch_id 0
		.amdhsa_user_sgpr_kernarg_preload_length 0
		.amdhsa_user_sgpr_kernarg_preload_offset 0
		.amdhsa_user_sgpr_private_segment_size 0
		.amdhsa_uses_dynamic_stack 0
		.amdhsa_enable_private_segment 0
		.amdhsa_system_sgpr_workgroup_id_x 1
		.amdhsa_system_sgpr_workgroup_id_y 1
		.amdhsa_system_sgpr_workgroup_id_z 1
		.amdhsa_system_sgpr_workgroup_info 0
		.amdhsa_system_vgpr_workitem_id 0
		.amdhsa_next_free_vgpr 67
		.amdhsa_next_free_sgpr 50
		.amdhsa_accum_offset 68
		.amdhsa_reserve_vcc 1
		.amdhsa_float_round_mode_32 0
		.amdhsa_float_round_mode_16_64 0
		.amdhsa_float_denorm_mode_32 3
		.amdhsa_float_denorm_mode_16_64 3
		.amdhsa_dx10_clamp 1
		.amdhsa_ieee_mode 1
		.amdhsa_fp16_overflow 0
		.amdhsa_tg_split 0
		.amdhsa_exception_fp_ieee_invalid_op 0
		.amdhsa_exception_fp_denorm_src 0
		.amdhsa_exception_fp_ieee_div_zero 0
		.amdhsa_exception_fp_ieee_overflow 0
		.amdhsa_exception_fp_ieee_underflow 0
		.amdhsa_exception_fp_ieee_inexact 0
		.amdhsa_exception_int_div_zero 0
	.end_amdhsa_kernel
	.section	.text._ZN4vllm25paged_attention_v1_kernelIthLi128ELi16ELi128ELNS_18Fp8KVCacheDataTypeE1ELb0EEEvPT_PKS2_PKT0_S8_ifPKiSA_iPKfiiiSC_SC_iiiii,"axG",@progbits,_ZN4vllm25paged_attention_v1_kernelIthLi128ELi16ELi128ELNS_18Fp8KVCacheDataTypeE1ELb0EEEvPT_PKS2_PKT0_S8_ifPKiSA_iPKfiiiSC_SC_iiiii,comdat
.Lfunc_end253:
	.size	_ZN4vllm25paged_attention_v1_kernelIthLi128ELi16ELi128ELNS_18Fp8KVCacheDataTypeE1ELb0EEEvPT_PKS2_PKT0_S8_ifPKiSA_iPKfiiiSC_SC_iiiii, .Lfunc_end253-_ZN4vllm25paged_attention_v1_kernelIthLi128ELi16ELi128ELNS_18Fp8KVCacheDataTypeE1ELb0EEEvPT_PKS2_PKT0_S8_ifPKiSA_iPKfiiiSC_SC_iiiii
                                        ; -- End function
	.section	.AMDGPU.csdata,"",@progbits
; Kernel info:
; codeLenInByte = 22984
; NumSgprs: 56
; NumVgprs: 67
; NumAgprs: 0
; TotalNumVgprs: 67
; ScratchSize: 0
; MemoryBound: 0
; FloatMode: 240
; IeeeMode: 1
; LDSByteSize: 272 bytes/workgroup (compile time only)
; SGPRBlocks: 6
; VGPRBlocks: 8
; NumSGPRsForWavesPerEU: 56
; NumVGPRsForWavesPerEU: 67
; AccumOffset: 68
; Occupancy: 7
; WaveLimiterHint : 1
; COMPUTE_PGM_RSRC2:SCRATCH_EN: 0
; COMPUTE_PGM_RSRC2:USER_SGPR: 2
; COMPUTE_PGM_RSRC2:TRAP_HANDLER: 0
; COMPUTE_PGM_RSRC2:TGID_X_EN: 1
; COMPUTE_PGM_RSRC2:TGID_Y_EN: 1
; COMPUTE_PGM_RSRC2:TGID_Z_EN: 1
; COMPUTE_PGM_RSRC2:TIDIG_COMP_CNT: 0
; COMPUTE_PGM_RSRC3_GFX90A:ACCUM_OFFSET: 16
; COMPUTE_PGM_RSRC3_GFX90A:TG_SPLIT: 0
	.text
	.p2align	2                               ; -- Begin function _ZN4vllm22paged_attention_kernelIthLi192ELi16ELi128ELNS_18Fp8KVCacheDataTypeE1ELb0ELi0EEEvPfS2_PT_PKS3_PKT0_S9_ifPKiSB_iPKfiiiSD_SD_iiiii
	.type	_ZN4vllm22paged_attention_kernelIthLi192ELi16ELi128ELNS_18Fp8KVCacheDataTypeE1ELb0ELi0EEEvPfS2_PT_PKS3_PKT0_S9_ifPKiSB_iPKfiiiSD_SD_iiiii,@function
_ZN4vllm22paged_attention_kernelIthLi192ELi16ELi128ELNS_18Fp8KVCacheDataTypeE1ELb0ELi0EEEvPfS2_PT_PKS3_PKT0_S9_ifPKiSB_iPKfiiiSD_SD_iiiii: ; @_ZN4vllm22paged_attention_kernelIthLi192ELi16ELi128ELNS_18Fp8KVCacheDataTypeE1ELb0ELi0EEEvPfS2_PT_PKS3_PKT0_S9_ifPKiSB_iPKfiiiSD_SD_iiiii
; %bb.0:
	s_waitcnt vmcnt(0) expcnt(0) lgkmcnt(0)
	scratch_store_dword off, v40, s32 offset:88 ; 4-byte Folded Spill
	scratch_store_dword off, v41, s32 offset:84 ; 4-byte Folded Spill
	;; [unrolled: 1-line block ×22, first 2 shown]
	scratch_store_dword off, a38, s32       ; 4-byte Folded Spill
	s_mov_b32 s10, s13
	v_accvgpr_write_b32 a0, v0
	s_ashr_i32 s11, s13, 31
	v_accvgpr_write_b32 a1, v1
	v_lshl_add_u64 v[0:1], s[10:11], 2, v[12:13]
	flat_load_dword a8, v[0:1]
	v_sub_u32_e32 v0, 0, v8
	v_max_i32_e32 v0, v8, v0
	v_cvt_f32_u32_e32 v1, v0
	s_load_dword s0, s[8:9], 0x10
	s_load_dword s2, s[8:9], 0x0
	v_accvgpr_write_b32 a4, v22
	v_accvgpr_write_b32 a5, v23
	v_rcp_iflag_f32_e32 v1, v1
	s_waitcnt lgkmcnt(0)
	s_lshr_b32 s0, s0, 16
	s_cmp_lg_u32 s0, 0
	v_mov_b32_e32 v23, v7
	v_mul_f32_e32 v1, 0x4f7ffffe, v1
	v_cvt_u32_f32_e32 v1, v1
	s_cselect_b64 s[0:1], -1, 0
	v_sub_u32_e32 v7, 0, v0
	s_cmp_lg_u64 s[0:1], 0
	v_mul_lo_u32 v7, v7, v1
	s_addc_u32 s11, s2, 0
	v_mul_hi_u32 v7, v1, v7
	s_abs_i32 s0, s11
	v_add_u32_e32 v1, v1, v7
	v_mul_hi_u32 v1, s0, v1
	v_mul_lo_u32 v7, v1, v0
	v_sub_u32_e32 v7, s0, v7
	v_mov_b32_e32 v22, v6
	v_xor_b32_e32 v6, s11, v8
	v_add_u32_e32 v8, 1, v1
	v_cmp_ge_u32_e32 vcc, v7, v0
	v_ashrrev_i32_e32 v6, 31, v6
	v_mov_b32_e32 v25, v16
	v_cndmask_b32_e32 v1, v1, v8, vcc
	v_sub_u32_e32 v8, v7, v0
	v_cndmask_b32_e32 v7, v7, v8, vcc
	v_add_u32_e32 v8, 1, v1
	v_cmp_ge_u32_e32 vcc, v7, v0
	v_mov_b32_e32 v24, v15
	v_accvgpr_write_b32 a18, v20
	v_cndmask_b32_e32 v0, v1, v8, vcc
	v_xor_b32_e32 v0, v0, v6
	v_sub_u32_e32 v0, v0, v6
	v_sub_u32_e32 v1, 0, v0
	v_max_i32_e32 v1, v0, v1
	v_cvt_f32_u32_e32 v6, v1
	v_sub_u32_e32 v7, 0, v1
	s_abs_i32 s2, s12
	v_accvgpr_write_b32 a19, v21
	v_rcp_iflag_f32_e32 v6, v6
	v_accvgpr_write_b32 a6, v18
	v_accvgpr_write_b32 a20, v9
	s_mov_b32 s16, s15
	v_mul_f32_e32 v6, 0x4f7ffffe, v6
	v_cvt_u32_f32_e32 v6, v6
	v_cmp_ne_u64_e32 vcc, 0, v[24:25]
	v_mul_lo_u32 v7, v7, v6
	v_mul_hi_u32 v7, v6, v7
	v_add_u32_e32 v6, v6, v7
	v_mad_u64_u32 v[26:27], s[0:1], s2, v6, 0
	v_mov_b32_e32 v6, 0
	scratch_store_dword off, v6, s32 offset:96 ; 4-byte Folded Spill
	s_and_saveexec_b64 s[0:1], vcc
	s_cbranch_execz .LBB254_2
; %bb.1:
	s_ashr_i32 s13, s12, 31
	v_lshl_add_u64 v[6:7], s[12:13], 2, v[24:25]
	flat_load_dword v6, v[6:7]
	s_waitcnt vmcnt(0) lgkmcnt(0)
	scratch_store_dword off, v6, s32 offset:96 ; 4-byte Folded Spill
.LBB254_2:
	s_or_b64 exec, exec, s[0:1]
	v_and_b32_e32 v18, 0x3ff, v31
	s_movk_i32 s4, 0x60
	s_ashr_i32 s3, s12, 31
	v_ashrrev_i32_e32 v6, 31, v0
	v_and_b32_e32 v0, 3, v18
	s_mulk_i32 s12, 0xc0
	v_cmp_gt_u32_e32 vcc, s4, v18
	s_and_saveexec_b64 s[0:1], vcc
	s_cbranch_execz .LBB254_4
; %bb.3:
	v_mul_lo_u32 v8, s10, v17
	v_ashrrev_i32_e32 v9, 31, v8
	v_lshl_add_u64 v[2:3], v[8:9], 1, v[2:3]
	s_ashr_i32 s13, s12, 31
	v_lshl_add_u64 v[2:3], s[12:13], 1, v[2:3]
	v_lshlrev_b32_e32 v8, 2, v18
	v_mov_b32_e32 v9, 0
	v_lshl_add_u64 v[2:3], v[2:3], 0, v[8:9]
	flat_load_dword v2, v[2:3]
	v_and_b32_e32 v3, 0x3fc, v18
	v_mad_u32_u24 v3, v0, s4, v3
	s_waitcnt vmcnt(0) lgkmcnt(0)
	ds_write_b32 v3, v2
.LBB254_4:
	s_or_b64 exec, exec, s[0:1]
	s_waitcnt vmcnt(0)
	v_accvgpr_read_b32 v2, a8
	v_add_u32_e32 v2, 15, v2
	v_ashrrev_i32_e32 v3, 31, v2
	v_lshrrev_b32_e32 v3, 28, v3
	v_add_u32_e32 v2, v2, v3
	v_mul_lo_u32 v3, v27, v1
	v_sub_u32_e32 v3, s2, v3
	v_ashrrev_i32_e32 v8, 4, v2
	v_xor_b32_e32 v2, s3, v6
	v_add_u32_e32 v6, 1, v27
	v_cmp_ge_u32_e32 vcc, v3, v1
	v_sub_u32_e32 v7, v3, v1
	v_lshrrev_b32_e32 v9, 6, v18
	v_cndmask_b32_e32 v6, v27, v6, vcc
	v_cndmask_b32_e32 v3, v3, v7, vcc
	v_add_u32_e32 v7, 1, v6
	v_cmp_ge_u32_e32 vcc, v3, v1
	v_mul_lo_u32 v24, s10, v14
	v_ashrrev_i32_e32 v25, 31, v24
	v_cndmask_b32_e32 v1, v6, v7, vcc
	v_xor_b32_e32 v1, v1, v2
	v_sub_u32_e32 v3, v1, v2
	v_cmp_lt_i32_e64 s[0:1], v9, v8
	v_accvgpr_write_b32 a3, v8
	v_accvgpr_write_b32 a7, v9
	v_cmp_ge_i32_e32 vcc, v9, v8
	v_mbcnt_lo_u32_b32 v2, -1, 0
	s_waitcnt lgkmcnt(0)
	s_barrier
	s_waitcnt lgkmcnt(0)
                                        ; implicit-def: $sgpr4
                                        ; implicit-def: $agpr21
                                        ; implicit-def: $vgpr1
	s_and_saveexec_b64 s[2:3], vcc
	s_xor_b64 s[2:3], exec, s[2:3]
; %bb.5:
	v_mbcnt_hi_u32_b32 v0, -1, v2
	v_accvgpr_write_b32 a21, v0
	v_and_b32_e32 v0, 64, v0
	v_add_u32_e32 v1, 64, v0
	s_mov_b32 s4, 0xff7fffff
                                        ; implicit-def: $vgpr0
                                        ; kill: killed $vgpr0
                                        ; implicit-def: $agpr20
                                        ; implicit-def: $agpr18
                                        ; implicit-def: $vgpr4
                                        ; implicit-def: $vgpr0
                                        ; implicit-def: $vgpr2
; %bb.6:
	s_or_saveexec_b64 s[6:7], s[2:3]
	s_load_dword s15, s[8:9], 0x14
	s_load_dword s13, s[8:9], 0x8
	v_mul_lo_u32 v28, v3, v19
	v_mov_b32_e32 v6, s4
	v_ashrrev_i32_e32 v29, 31, v28
	v_lshrrev_b32_e32 v26, 4, v18
	s_xor_b64 exec, exec, s[6:7]
	s_cbranch_execz .LBB254_396
; %bb.7:
	v_bfe_u32 v3, v18, 2, 4
	v_lshl_add_u64 v[6:7], v[4:5], 0, v[28:29]
	v_lshlrev_b32_e32 v4, 4, v3
	v_mov_b32_e32 v5, 0
	v_lshl_add_u64 v[6:7], v[6:7], 0, v[4:5]
	v_accvgpr_write_b32 a23, v7
	v_accvgpr_write_b32 a22, v6
	v_lshlrev_b32_e32 v6, 1, v0
	v_mul_u32_u24_e32 v19, 0x60, v0
	v_cmp_eq_u32_e32 vcc, 0, v0
	scratch_load_dword v0, off, s32 offset:96 ; 4-byte Folded Reload
	v_and_b32_e32 v4, 60, v26
	v_accvgpr_read_b32 v39, a7
	s_ashr_i32 s17, s16, 31
	s_lshl_b64 s[4:5], s[16:17], 2
	v_mov_b32_e32 v7, v5
	s_getpc_b64 s[8:9]
	s_add_u32 s8, s8, llvm.amdgcn.dynlds.offset.table@rel32@lo+4
	s_addc_u32 s9, s9, llvm.amdgcn.dynlds.offset.table@rel32@hi+12
	v_accvgpr_write_b32 a12, v22
	v_accvgpr_write_b32 a16, v28
	;; [unrolled: 1-line block ×3, first 2 shown]
	s_add_u32 s8, s4, s8
	v_accvgpr_write_b32 a14, v24
	v_accvgpr_write_b32 a10, v10
	;; [unrolled: 1-line block ×6, first 2 shown]
	s_addc_u32 s9, s5, s9
	v_accvgpr_write_b32 a9, v26
	v_accvgpr_write_b32 a15, v25
	;; [unrolled: 1-line block ×3, first 2 shown]
	s_mov_b64 s[18:19], 0
	s_movk_i32 s17, 0x7f
	s_movk_i32 s26, 0x80
	s_mov_b32 s27, 0x8000
	v_mov_b32_e32 v38, 0x1c00
	s_waitcnt vmcnt(0)
	v_cmp_neq_f32_e64 s[2:3], 0, v0
	v_lshl_add_u64 v[0:1], v[24:25], 2, v[4:5]
	v_lshl_add_u64 v[0:1], v[10:11], 0, v[0:1]
	v_accvgpr_write_b32 a27, v1
	v_accvgpr_write_b32 a26, v0
	v_accvgpr_read_b32 v0, a8
	v_sub_u32_e32 v0, 1, v0
	v_accvgpr_write_b32 a28, v0
	v_lshl_or_b32 v0, v39, 4, v3
	v_accvgpr_write_b32 a29, v0
	v_lshlrev_b32_e32 v0, 2, v3
	v_lshl_or_b32 v0, v39, 6, v0
	v_accvgpr_write_b32 a30, v0
	v_mov_b32_e32 v0, 0xff7fffff
	scratch_store_dword off, v0, s32 offset:92 ; 4-byte Folded Spill
	v_mbcnt_hi_u32_b32 v0, -1, v2
	v_accvgpr_write_b32 a21, v0
	s_branch .LBB254_9
.LBB254_8:                              ;   in Loop: Header=BB254_9 Depth=1
	s_or_b64 exec, exec, s[20:21]
	v_accvgpr_read_b32 v0, a29
	s_waitcnt lgkmcnt(0)
	v_accvgpr_read_b32 v2, a26
	v_add_u32_e32 v0, 32, v0
	v_add_u32_e32 v39, 2, v39
	v_accvgpr_read_b32 v3, a27
	v_accvgpr_write_b32 a29, v0
	v_accvgpr_read_b32 v0, a3
	v_lshl_add_u64 v[2:3], v[2:3], 0, 8
	v_cmp_ge_i32_e64 s[4:5], v39, v0
	v_accvgpr_read_b32 v0, a30
	v_accvgpr_write_b32 a27, v3
	v_add_u32_e32 v0, 0x80, v0
	v_accvgpr_write_b32 a26, v2
	s_or_b64 s[18:19], s[4:5], s[18:19]
	v_accvgpr_write_b32 a30, v0
	s_andn2_b64 exec, exec, s[18:19]
	s_cbranch_execz .LBB254_395
.LBB254_9:                              ; =>This Inner Loop Header: Depth=1
	v_accvgpr_read_b32 v0, a26
	v_accvgpr_read_b32 v1, a27
	flat_load_dword v0, v[0:1]
	v_accvgpr_read_b32 v6, a22
	v_accvgpr_read_b32 v2, a6
	;; [unrolled: 1-line block ×3, first 2 shown]
                                        ; implicit-def: $sgpr24
	s_waitcnt vmcnt(0) lgkmcnt(0)
	v_mad_i64_i32 v[0:1], s[4:5], v0, v2, v[6:7]
	v_accvgpr_read_b32 v2, a24
	v_accvgpr_read_b32 v3, a25
	v_lshl_add_u64 v[28:29], v[0:1], 0, v[2:3]
	v_accvgpr_read_b32 v2, a18
	flat_load_ushort v0, v[28:29]
	v_accvgpr_read_b32 v3, a19
	flat_load_dword v48, v[2:3]
	s_mov_b64 s[4:5], 0
	s_waitcnt vmcnt(0) lgkmcnt(0)
	v_cmp_gt_i16_sdwa s[20:21], v0, s17 src0_sel:BYTE_0 src1_sel:DWORD
	s_and_saveexec_b64 s[22:23], s[20:21]
	s_xor_b64 s[20:21], exec, s[22:23]
	s_cbranch_execnz .LBB254_207
; %bb.10:                               ;   in Loop: Header=BB254_9 Depth=1
	s_or_saveexec_b64 s[20:21], s[20:21]
	v_mov_b32_e32 v49, s24
	s_xor_b64 exec, exec, s[20:21]
	s_cbranch_execnz .LBB254_210
.LBB254_11:                             ;   in Loop: Header=BB254_9 Depth=1
	s_or_b64 exec, exec, s[20:21]
	v_and_b32_e32 v4, 0xffff, v0
	s_and_saveexec_b64 s[20:21], s[4:5]
	s_cbranch_execz .LBB254_13
.LBB254_12:                             ;   in Loop: Header=BB254_9 Depth=1
	v_and_b32_e32 v2, 7, v4
	v_ffbh_u32_e32 v0, v2
	v_min_u32_e32 v6, 32, v0
	v_subrev_u32_e32 v0, 28, v6
	v_bfe_u32 v3, v4, 3, 4
	v_lshlrev_b64 v[0:1], v0, v[4:5]
	v_sub_u32_e32 v1, 29, v6
	v_cmp_eq_u32_e64 s[4:5], 0, v3
	v_and_b32_e32 v0, 7, v0
	s_nop 0
	v_cndmask_b32_e64 v1, v3, v1, s[4:5]
	v_cndmask_b32_e64 v0, v2, v0, s[4:5]
	v_lshlrev_b32_e32 v2, 8, v4
	v_lshl_add_u32 v1, v1, 10, v38
	v_and_or_b32 v1, v2, s27, v1
	v_lshl_or_b32 v0, v0, 7, v1
	v_cvt_f32_f16_e32 v49, v0
.LBB254_13:                             ;   in Loop: Header=BB254_9 Depth=1
	s_or_b64 exec, exec, s[20:21]
	v_lshrrev_b16_e32 v4, 8, v4
	v_cmp_lt_i16_e64 s[4:5], s17, v4
	s_mov_b64 s[20:21], 0
                                        ; implicit-def: $sgpr28
	s_and_saveexec_b64 s[22:23], s[4:5]
	s_xor_b64 s[22:23], exec, s[22:23]
	s_cbranch_execnz .LBB254_211
; %bb.14:                               ;   in Loop: Header=BB254_9 Depth=1
	s_or_saveexec_b64 s[22:23], s[22:23]
	v_mov_b32_e32 v50, s28
	s_xor_b64 exec, exec, s[22:23]
	s_cbranch_execnz .LBB254_214
.LBB254_15:                             ;   in Loop: Header=BB254_9 Depth=1
	s_or_b64 exec, exec, s[22:23]
	s_and_saveexec_b64 s[22:23], s[20:21]
	s_cbranch_execz .LBB254_17
.LBB254_16:                             ;   in Loop: Header=BB254_9 Depth=1
	v_and_b32_e32 v2, 7, v4
	v_ffbh_u32_e32 v0, v2
	v_min_u32_e32 v6, 32, v0
	v_subrev_u32_e32 v0, 28, v6
	v_bfe_u32 v3, v4, 3, 4
	v_lshlrev_b64 v[0:1], v0, v[4:5]
	v_sub_u32_e32 v1, 29, v6
	v_cmp_eq_u32_e64 s[4:5], 0, v3
	v_and_b32_e32 v0, 7, v0
	s_nop 0
	v_cndmask_b32_e64 v1, v3, v1, s[4:5]
	v_cndmask_b32_e64 v0, v2, v0, s[4:5]
	v_lshlrev_b32_e32 v2, 8, v4
	v_lshl_add_u32 v1, v1, 10, v38
	v_and_or_b32 v1, v2, s27, v1
	v_lshl_or_b32 v0, v0, 7, v1
	v_cvt_f32_f16_e32 v50, v0
.LBB254_17:                             ;   in Loop: Header=BB254_9 Depth=1
	s_or_b64 exec, exec, s[22:23]
	flat_load_ushort v0, v[28:29] offset:8
	s_mov_b64 s[4:5], 0
                                        ; implicit-def: $sgpr24
	s_waitcnt vmcnt(0) lgkmcnt(0)
	v_cmp_gt_i16_sdwa s[20:21], v0, s17 src0_sel:BYTE_0 src1_sel:DWORD
	s_and_saveexec_b64 s[22:23], s[20:21]
	s_xor_b64 s[20:21], exec, s[22:23]
	s_cbranch_execnz .LBB254_215
; %bb.18:                               ;   in Loop: Header=BB254_9 Depth=1
	s_or_saveexec_b64 s[20:21], s[20:21]
	v_mov_b32_e32 v51, s24
	s_xor_b64 exec, exec, s[20:21]
	s_cbranch_execnz .LBB254_218
.LBB254_19:                             ;   in Loop: Header=BB254_9 Depth=1
	s_or_b64 exec, exec, s[20:21]
	v_and_b32_e32 v4, 0xffff, v0
	s_and_saveexec_b64 s[20:21], s[4:5]
	s_cbranch_execz .LBB254_21
.LBB254_20:                             ;   in Loop: Header=BB254_9 Depth=1
	v_and_b32_e32 v2, 7, v4
	v_ffbh_u32_e32 v0, v2
	v_min_u32_e32 v6, 32, v0
	v_subrev_u32_e32 v0, 28, v6
	v_bfe_u32 v3, v4, 3, 4
	v_lshlrev_b64 v[0:1], v0, v[4:5]
	v_sub_u32_e32 v1, 29, v6
	v_cmp_eq_u32_e64 s[4:5], 0, v3
	v_and_b32_e32 v0, 7, v0
	s_nop 0
	v_cndmask_b32_e64 v1, v3, v1, s[4:5]
	v_cndmask_b32_e64 v0, v2, v0, s[4:5]
	v_lshlrev_b32_e32 v2, 8, v4
	v_lshl_add_u32 v1, v1, 10, v38
	v_and_or_b32 v1, v2, s27, v1
	v_lshl_or_b32 v0, v0, 7, v1
	v_cvt_f32_f16_e32 v51, v0
.LBB254_21:                             ;   in Loop: Header=BB254_9 Depth=1
	s_or_b64 exec, exec, s[20:21]
	v_lshrrev_b16_e32 v4, 8, v4
	v_cmp_lt_i16_e64 s[4:5], s17, v4
	s_mov_b64 s[20:21], 0
                                        ; implicit-def: $sgpr28
	s_and_saveexec_b64 s[22:23], s[4:5]
	s_xor_b64 s[22:23], exec, s[22:23]
	s_cbranch_execnz .LBB254_219
; %bb.22:                               ;   in Loop: Header=BB254_9 Depth=1
	s_or_saveexec_b64 s[22:23], s[22:23]
	v_mov_b32_e32 v52, s28
	s_xor_b64 exec, exec, s[22:23]
	s_cbranch_execnz .LBB254_222
.LBB254_23:                             ;   in Loop: Header=BB254_9 Depth=1
	s_or_b64 exec, exec, s[22:23]
	s_and_saveexec_b64 s[22:23], s[20:21]
	s_cbranch_execz .LBB254_25
.LBB254_24:                             ;   in Loop: Header=BB254_9 Depth=1
	v_and_b32_e32 v2, 7, v4
	v_ffbh_u32_e32 v0, v2
	v_min_u32_e32 v6, 32, v0
	v_subrev_u32_e32 v0, 28, v6
	v_bfe_u32 v3, v4, 3, 4
	v_lshlrev_b64 v[0:1], v0, v[4:5]
	v_sub_u32_e32 v1, 29, v6
	v_cmp_eq_u32_e64 s[4:5], 0, v3
	v_and_b32_e32 v0, 7, v0
	s_nop 0
	v_cndmask_b32_e64 v1, v3, v1, s[4:5]
	v_cndmask_b32_e64 v0, v2, v0, s[4:5]
	v_lshlrev_b32_e32 v2, 8, v4
	v_lshl_add_u32 v1, v1, 10, v38
	v_and_or_b32 v1, v2, s27, v1
	v_lshl_or_b32 v0, v0, 7, v1
	v_cvt_f32_f16_e32 v52, v0
.LBB254_25:                             ;   in Loop: Header=BB254_9 Depth=1
	s_or_b64 exec, exec, s[22:23]
	flat_load_ushort v0, v[28:29] offset:256
	s_mov_b64 s[4:5], 0
                                        ; implicit-def: $sgpr24
	s_waitcnt vmcnt(0) lgkmcnt(0)
	v_cmp_gt_i16_sdwa s[20:21], v0, s17 src0_sel:BYTE_0 src1_sel:DWORD
	s_and_saveexec_b64 s[22:23], s[20:21]
	s_xor_b64 s[20:21], exec, s[22:23]
	s_cbranch_execnz .LBB254_223
; %bb.26:                               ;   in Loop: Header=BB254_9 Depth=1
	s_or_saveexec_b64 s[20:21], s[20:21]
	v_mov_b32_e32 v12, s24
	s_xor_b64 exec, exec, s[20:21]
	s_cbranch_execnz .LBB254_226
.LBB254_27:                             ;   in Loop: Header=BB254_9 Depth=1
	s_or_b64 exec, exec, s[20:21]
	v_and_b32_e32 v4, 0xffff, v0
	s_and_saveexec_b64 s[20:21], s[4:5]
	s_cbranch_execz .LBB254_29
.LBB254_28:                             ;   in Loop: Header=BB254_9 Depth=1
	v_and_b32_e32 v2, 7, v4
	v_ffbh_u32_e32 v0, v2
	v_min_u32_e32 v6, 32, v0
	v_subrev_u32_e32 v0, 28, v6
	v_bfe_u32 v3, v4, 3, 4
	v_lshlrev_b64 v[0:1], v0, v[4:5]
	v_sub_u32_e32 v1, 29, v6
	v_cmp_eq_u32_e64 s[4:5], 0, v3
	v_and_b32_e32 v0, 7, v0
	s_nop 0
	v_cndmask_b32_e64 v1, v3, v1, s[4:5]
	v_cndmask_b32_e64 v0, v2, v0, s[4:5]
	v_lshlrev_b32_e32 v2, 8, v4
	v_lshl_add_u32 v1, v1, 10, v38
	v_and_or_b32 v1, v2, s27, v1
	v_lshl_or_b32 v0, v0, 7, v1
	v_cvt_f32_f16_e32 v12, v0
.LBB254_29:                             ;   in Loop: Header=BB254_9 Depth=1
	s_or_b64 exec, exec, s[20:21]
	v_lshrrev_b16_e32 v4, 8, v4
	v_cmp_lt_i16_e64 s[4:5], s17, v4
	s_mov_b64 s[20:21], 0
                                        ; implicit-def: $sgpr28
	s_and_saveexec_b64 s[22:23], s[4:5]
	s_xor_b64 s[22:23], exec, s[22:23]
	s_cbranch_execnz .LBB254_227
; %bb.30:                               ;   in Loop: Header=BB254_9 Depth=1
	s_or_saveexec_b64 s[22:23], s[22:23]
	v_mov_b32_e32 v26, s28
	s_xor_b64 exec, exec, s[22:23]
	s_cbranch_execnz .LBB254_230
.LBB254_31:                             ;   in Loop: Header=BB254_9 Depth=1
	s_or_b64 exec, exec, s[22:23]
	s_and_saveexec_b64 s[22:23], s[20:21]
	s_cbranch_execz .LBB254_33
.LBB254_32:                             ;   in Loop: Header=BB254_9 Depth=1
	v_and_b32_e32 v2, 7, v4
	v_ffbh_u32_e32 v0, v2
	v_min_u32_e32 v6, 32, v0
	v_subrev_u32_e32 v0, 28, v6
	v_bfe_u32 v3, v4, 3, 4
	v_lshlrev_b64 v[0:1], v0, v[4:5]
	v_sub_u32_e32 v1, 29, v6
	v_cmp_eq_u32_e64 s[4:5], 0, v3
	v_and_b32_e32 v0, 7, v0
	s_nop 0
	v_cndmask_b32_e64 v1, v3, v1, s[4:5]
	v_cndmask_b32_e64 v0, v2, v0, s[4:5]
	v_lshlrev_b32_e32 v2, 8, v4
	v_lshl_add_u32 v1, v1, 10, v38
	v_and_or_b32 v1, v2, s27, v1
	v_lshl_or_b32 v0, v0, 7, v1
	v_cvt_f32_f16_e32 v26, v0
.LBB254_33:                             ;   in Loop: Header=BB254_9 Depth=1
	s_or_b64 exec, exec, s[22:23]
	flat_load_ushort v0, v[28:29] offset:264
	s_mov_b64 s[4:5], 0
                                        ; implicit-def: $sgpr24
	s_waitcnt vmcnt(0) lgkmcnt(0)
	v_cmp_gt_i16_sdwa s[20:21], v0, s17 src0_sel:BYTE_0 src1_sel:DWORD
	s_and_saveexec_b64 s[22:23], s[20:21]
	s_xor_b64 s[20:21], exec, s[22:23]
	s_cbranch_execnz .LBB254_231
; %bb.34:                               ;   in Loop: Header=BB254_9 Depth=1
	s_or_saveexec_b64 s[20:21], s[20:21]
	v_mov_b32_e32 v27, s24
	s_xor_b64 exec, exec, s[20:21]
	s_cbranch_execnz .LBB254_234
.LBB254_35:                             ;   in Loop: Header=BB254_9 Depth=1
	s_or_b64 exec, exec, s[20:21]
	v_and_b32_e32 v4, 0xffff, v0
	s_and_saveexec_b64 s[20:21], s[4:5]
	s_cbranch_execz .LBB254_37
.LBB254_36:                             ;   in Loop: Header=BB254_9 Depth=1
	v_and_b32_e32 v2, 7, v4
	v_ffbh_u32_e32 v0, v2
	v_min_u32_e32 v6, 32, v0
	v_subrev_u32_e32 v0, 28, v6
	v_bfe_u32 v3, v4, 3, 4
	v_lshlrev_b64 v[0:1], v0, v[4:5]
	v_sub_u32_e32 v1, 29, v6
	v_cmp_eq_u32_e64 s[4:5], 0, v3
	v_and_b32_e32 v0, 7, v0
	s_nop 0
	v_cndmask_b32_e64 v1, v3, v1, s[4:5]
	v_cndmask_b32_e64 v0, v2, v0, s[4:5]
	v_lshlrev_b32_e32 v2, 8, v4
	v_lshl_add_u32 v1, v1, 10, v38
	v_and_or_b32 v1, v2, s27, v1
	v_lshl_or_b32 v0, v0, 7, v1
	v_cvt_f32_f16_e32 v27, v0
.LBB254_37:                             ;   in Loop: Header=BB254_9 Depth=1
	s_or_b64 exec, exec, s[20:21]
	v_lshrrev_b16_e32 v4, 8, v4
	v_cmp_lt_i16_e64 s[4:5], s17, v4
	s_mov_b64 s[20:21], 0
                                        ; implicit-def: $sgpr28
	s_and_saveexec_b64 s[22:23], s[4:5]
	s_xor_b64 s[22:23], exec, s[22:23]
	s_cbranch_execnz .LBB254_235
; %bb.38:                               ;   in Loop: Header=BB254_9 Depth=1
	s_or_saveexec_b64 s[22:23], s[22:23]
	v_mov_b32_e32 v30, s28
	s_xor_b64 exec, exec, s[22:23]
	s_cbranch_execnz .LBB254_238
.LBB254_39:                             ;   in Loop: Header=BB254_9 Depth=1
	s_or_b64 exec, exec, s[22:23]
	s_and_saveexec_b64 s[22:23], s[20:21]
	s_cbranch_execz .LBB254_41
.LBB254_40:                             ;   in Loop: Header=BB254_9 Depth=1
	v_and_b32_e32 v2, 7, v4
	v_ffbh_u32_e32 v0, v2
	v_min_u32_e32 v6, 32, v0
	v_subrev_u32_e32 v0, 28, v6
	v_bfe_u32 v3, v4, 3, 4
	v_lshlrev_b64 v[0:1], v0, v[4:5]
	v_sub_u32_e32 v1, 29, v6
	v_cmp_eq_u32_e64 s[4:5], 0, v3
	v_and_b32_e32 v0, 7, v0
	s_nop 0
	v_cndmask_b32_e64 v1, v3, v1, s[4:5]
	v_cndmask_b32_e64 v0, v2, v0, s[4:5]
	v_lshlrev_b32_e32 v2, 8, v4
	v_lshl_add_u32 v1, v1, 10, v38
	v_and_or_b32 v1, v2, s27, v1
	v_lshl_or_b32 v0, v0, 7, v1
	v_cvt_f32_f16_e32 v30, v0
.LBB254_41:                             ;   in Loop: Header=BB254_9 Depth=1
	s_or_b64 exec, exec, s[22:23]
	flat_load_ushort v0, v[28:29] offset:512
	s_mov_b64 s[4:5], 0
                                        ; implicit-def: $sgpr24
	s_waitcnt vmcnt(0) lgkmcnt(0)
	v_cmp_gt_i16_sdwa s[20:21], v0, s17 src0_sel:BYTE_0 src1_sel:DWORD
	s_and_saveexec_b64 s[22:23], s[20:21]
	s_xor_b64 s[20:21], exec, s[22:23]
	s_cbranch_execnz .LBB254_239
; %bb.42:                               ;   in Loop: Header=BB254_9 Depth=1
	s_or_saveexec_b64 s[20:21], s[20:21]
	v_mov_b32_e32 v31, s24
	s_xor_b64 exec, exec, s[20:21]
	s_cbranch_execnz .LBB254_242
.LBB254_43:                             ;   in Loop: Header=BB254_9 Depth=1
	s_or_b64 exec, exec, s[20:21]
	v_and_b32_e32 v4, 0xffff, v0
	s_and_saveexec_b64 s[20:21], s[4:5]
	s_cbranch_execz .LBB254_45
.LBB254_44:                             ;   in Loop: Header=BB254_9 Depth=1
	v_and_b32_e32 v2, 7, v4
	v_ffbh_u32_e32 v0, v2
	v_min_u32_e32 v6, 32, v0
	v_subrev_u32_e32 v0, 28, v6
	v_bfe_u32 v3, v4, 3, 4
	v_lshlrev_b64 v[0:1], v0, v[4:5]
	v_sub_u32_e32 v1, 29, v6
	v_cmp_eq_u32_e64 s[4:5], 0, v3
	v_and_b32_e32 v0, 7, v0
	s_nop 0
	v_cndmask_b32_e64 v1, v3, v1, s[4:5]
	v_cndmask_b32_e64 v0, v2, v0, s[4:5]
	v_lshlrev_b32_e32 v2, 8, v4
	v_lshl_add_u32 v1, v1, 10, v38
	v_and_or_b32 v1, v2, s27, v1
	v_lshl_or_b32 v0, v0, 7, v1
	v_cvt_f32_f16_e32 v31, v0
.LBB254_45:                             ;   in Loop: Header=BB254_9 Depth=1
	s_or_b64 exec, exec, s[20:21]
	v_lshrrev_b16_e32 v4, 8, v4
	v_cmp_lt_i16_e64 s[4:5], s17, v4
	s_mov_b64 s[20:21], 0
                                        ; implicit-def: $sgpr28
	s_and_saveexec_b64 s[22:23], s[4:5]
	s_xor_b64 s[22:23], exec, s[22:23]
	s_cbranch_execnz .LBB254_243
; %bb.46:                               ;   in Loop: Header=BB254_9 Depth=1
	s_or_saveexec_b64 s[22:23], s[22:23]
	v_mov_b32_e32 v36, s28
	s_xor_b64 exec, exec, s[22:23]
	s_cbranch_execnz .LBB254_246
.LBB254_47:                             ;   in Loop: Header=BB254_9 Depth=1
	s_or_b64 exec, exec, s[22:23]
	s_and_saveexec_b64 s[22:23], s[20:21]
	s_cbranch_execz .LBB254_49
.LBB254_48:                             ;   in Loop: Header=BB254_9 Depth=1
	v_and_b32_e32 v2, 7, v4
	v_ffbh_u32_e32 v0, v2
	v_min_u32_e32 v6, 32, v0
	v_subrev_u32_e32 v0, 28, v6
	v_bfe_u32 v3, v4, 3, 4
	v_lshlrev_b64 v[0:1], v0, v[4:5]
	v_sub_u32_e32 v1, 29, v6
	v_cmp_eq_u32_e64 s[4:5], 0, v3
	v_and_b32_e32 v0, 7, v0
	s_nop 0
	v_cndmask_b32_e64 v1, v3, v1, s[4:5]
	v_cndmask_b32_e64 v0, v2, v0, s[4:5]
	v_lshlrev_b32_e32 v2, 8, v4
	v_lshl_add_u32 v1, v1, 10, v38
	v_and_or_b32 v1, v2, s27, v1
	v_lshl_or_b32 v0, v0, 7, v1
	v_cvt_f32_f16_e32 v36, v0
.LBB254_49:                             ;   in Loop: Header=BB254_9 Depth=1
	s_or_b64 exec, exec, s[22:23]
	flat_load_ushort v0, v[28:29] offset:520
	s_mov_b64 s[4:5], 0
                                        ; implicit-def: $sgpr24
	s_waitcnt vmcnt(0) lgkmcnt(0)
	v_cmp_gt_i16_sdwa s[20:21], v0, s17 src0_sel:BYTE_0 src1_sel:DWORD
	s_and_saveexec_b64 s[22:23], s[20:21]
	s_xor_b64 s[20:21], exec, s[22:23]
	s_cbranch_execnz .LBB254_247
; %bb.50:                               ;   in Loop: Header=BB254_9 Depth=1
	s_or_saveexec_b64 s[20:21], s[20:21]
	v_mov_b32_e32 v37, s24
	s_xor_b64 exec, exec, s[20:21]
	s_cbranch_execnz .LBB254_250
.LBB254_51:                             ;   in Loop: Header=BB254_9 Depth=1
	s_or_b64 exec, exec, s[20:21]
	v_and_b32_e32 v4, 0xffff, v0
	s_and_saveexec_b64 s[20:21], s[4:5]
	s_cbranch_execz .LBB254_53
.LBB254_52:                             ;   in Loop: Header=BB254_9 Depth=1
	v_and_b32_e32 v2, 7, v4
	v_ffbh_u32_e32 v0, v2
	v_min_u32_e32 v6, 32, v0
	v_subrev_u32_e32 v0, 28, v6
	v_bfe_u32 v3, v4, 3, 4
	v_lshlrev_b64 v[0:1], v0, v[4:5]
	v_sub_u32_e32 v1, 29, v6
	v_cmp_eq_u32_e64 s[4:5], 0, v3
	v_and_b32_e32 v0, 7, v0
	s_nop 0
	v_cndmask_b32_e64 v1, v3, v1, s[4:5]
	v_cndmask_b32_e64 v0, v2, v0, s[4:5]
	v_lshlrev_b32_e32 v2, 8, v4
	v_lshl_add_u32 v1, v1, 10, v38
	v_and_or_b32 v1, v2, s27, v1
	v_lshl_or_b32 v0, v0, 7, v1
	v_cvt_f32_f16_e32 v37, v0
.LBB254_53:                             ;   in Loop: Header=BB254_9 Depth=1
	s_or_b64 exec, exec, s[20:21]
	v_lshrrev_b16_e32 v4, 8, v4
	v_cmp_lt_i16_e64 s[4:5], s17, v4
	s_mov_b64 s[20:21], 0
                                        ; implicit-def: $sgpr28
	s_and_saveexec_b64 s[22:23], s[4:5]
	s_xor_b64 s[22:23], exec, s[22:23]
	s_cbranch_execnz .LBB254_251
; %bb.54:                               ;   in Loop: Header=BB254_9 Depth=1
	s_or_saveexec_b64 s[22:23], s[22:23]
	v_mov_b32_e32 v43, s28
	s_xor_b64 exec, exec, s[22:23]
	s_cbranch_execnz .LBB254_254
.LBB254_55:                             ;   in Loop: Header=BB254_9 Depth=1
	s_or_b64 exec, exec, s[22:23]
	s_and_saveexec_b64 s[22:23], s[20:21]
	s_cbranch_execz .LBB254_57
.LBB254_56:                             ;   in Loop: Header=BB254_9 Depth=1
	v_and_b32_e32 v2, 7, v4
	v_ffbh_u32_e32 v0, v2
	v_min_u32_e32 v6, 32, v0
	v_subrev_u32_e32 v0, 28, v6
	v_bfe_u32 v3, v4, 3, 4
	v_lshlrev_b64 v[0:1], v0, v[4:5]
	v_sub_u32_e32 v1, 29, v6
	v_cmp_eq_u32_e64 s[4:5], 0, v3
	v_and_b32_e32 v0, 7, v0
	s_nop 0
	v_cndmask_b32_e64 v1, v3, v1, s[4:5]
	v_cndmask_b32_e64 v0, v2, v0, s[4:5]
	v_lshlrev_b32_e32 v2, 8, v4
	v_lshl_add_u32 v1, v1, 10, v38
	v_and_or_b32 v1, v2, s27, v1
	v_lshl_or_b32 v0, v0, 7, v1
	v_cvt_f32_f16_e32 v43, v0
.LBB254_57:                             ;   in Loop: Header=BB254_9 Depth=1
	s_or_b64 exec, exec, s[22:23]
	flat_load_ushort v0, v[28:29] offset:768
	s_mov_b64 s[4:5], 0
                                        ; implicit-def: $sgpr24
	s_waitcnt vmcnt(0) lgkmcnt(0)
	v_cmp_gt_i16_sdwa s[20:21], v0, s17 src0_sel:BYTE_0 src1_sel:DWORD
	s_and_saveexec_b64 s[22:23], s[20:21]
	s_xor_b64 s[20:21], exec, s[22:23]
	s_cbranch_execnz .LBB254_255
; %bb.58:                               ;   in Loop: Header=BB254_9 Depth=1
	s_or_saveexec_b64 s[20:21], s[20:21]
	v_mov_b32_e32 v47, s24
	s_xor_b64 exec, exec, s[20:21]
	s_cbranch_execnz .LBB254_258
.LBB254_59:                             ;   in Loop: Header=BB254_9 Depth=1
	s_or_b64 exec, exec, s[20:21]
	v_and_b32_e32 v4, 0xffff, v0
	s_and_saveexec_b64 s[20:21], s[4:5]
	s_cbranch_execz .LBB254_61
.LBB254_60:                             ;   in Loop: Header=BB254_9 Depth=1
	v_and_b32_e32 v2, 7, v4
	v_ffbh_u32_e32 v0, v2
	v_min_u32_e32 v6, 32, v0
	v_subrev_u32_e32 v0, 28, v6
	v_bfe_u32 v3, v4, 3, 4
	v_lshlrev_b64 v[0:1], v0, v[4:5]
	v_sub_u32_e32 v1, 29, v6
	v_cmp_eq_u32_e64 s[4:5], 0, v3
	v_and_b32_e32 v0, 7, v0
	s_nop 0
	v_cndmask_b32_e64 v1, v3, v1, s[4:5]
	v_cndmask_b32_e64 v0, v2, v0, s[4:5]
	v_lshlrev_b32_e32 v2, 8, v4
	v_lshl_add_u32 v1, v1, 10, v38
	v_and_or_b32 v1, v2, s27, v1
	v_lshl_or_b32 v0, v0, 7, v1
	v_cvt_f32_f16_e32 v47, v0
.LBB254_61:                             ;   in Loop: Header=BB254_9 Depth=1
	s_or_b64 exec, exec, s[20:21]
	v_lshrrev_b16_e32 v4, 8, v4
	v_cmp_lt_i16_e64 s[4:5], s17, v4
	s_mov_b64 s[20:21], 0
                                        ; implicit-def: $sgpr28
	s_and_saveexec_b64 s[22:23], s[4:5]
	s_xor_b64 s[22:23], exec, s[22:23]
	s_cbranch_execnz .LBB254_259
; %bb.62:                               ;   in Loop: Header=BB254_9 Depth=1
	s_or_saveexec_b64 s[22:23], s[22:23]
	v_mov_b32_e32 v40, s28
	s_xor_b64 exec, exec, s[22:23]
	s_cbranch_execnz .LBB254_262
.LBB254_63:                             ;   in Loop: Header=BB254_9 Depth=1
	s_or_b64 exec, exec, s[22:23]
	s_and_saveexec_b64 s[22:23], s[20:21]
	s_cbranch_execz .LBB254_65
.LBB254_64:                             ;   in Loop: Header=BB254_9 Depth=1
	v_and_b32_e32 v2, 7, v4
	v_ffbh_u32_e32 v0, v2
	v_min_u32_e32 v6, 32, v0
	v_subrev_u32_e32 v0, 28, v6
	v_bfe_u32 v3, v4, 3, 4
	v_lshlrev_b64 v[0:1], v0, v[4:5]
	v_sub_u32_e32 v1, 29, v6
	v_cmp_eq_u32_e64 s[4:5], 0, v3
	v_and_b32_e32 v0, 7, v0
	s_nop 0
	v_cndmask_b32_e64 v1, v3, v1, s[4:5]
	v_cndmask_b32_e64 v0, v2, v0, s[4:5]
	v_lshlrev_b32_e32 v2, 8, v4
	v_lshl_add_u32 v1, v1, 10, v38
	v_and_or_b32 v1, v2, s27, v1
	v_lshl_or_b32 v0, v0, 7, v1
	v_cvt_f32_f16_e32 v40, v0
.LBB254_65:                             ;   in Loop: Header=BB254_9 Depth=1
	s_or_b64 exec, exec, s[22:23]
	flat_load_ushort v0, v[28:29] offset:776
	s_mov_b64 s[4:5], 0
                                        ; implicit-def: $sgpr24
	s_waitcnt vmcnt(0) lgkmcnt(0)
	v_cmp_gt_i16_sdwa s[20:21], v0, s17 src0_sel:BYTE_0 src1_sel:DWORD
	s_and_saveexec_b64 s[22:23], s[20:21]
	s_xor_b64 s[20:21], exec, s[22:23]
	s_cbranch_execnz .LBB254_263
; %bb.66:                               ;   in Loop: Header=BB254_9 Depth=1
	s_or_saveexec_b64 s[20:21], s[20:21]
	v_mov_b32_e32 v62, s24
	s_xor_b64 exec, exec, s[20:21]
	s_cbranch_execnz .LBB254_266
.LBB254_67:                             ;   in Loop: Header=BB254_9 Depth=1
	s_or_b64 exec, exec, s[20:21]
	v_and_b32_e32 v4, 0xffff, v0
	s_and_saveexec_b64 s[20:21], s[4:5]
	s_cbranch_execz .LBB254_69
.LBB254_68:                             ;   in Loop: Header=BB254_9 Depth=1
	v_and_b32_e32 v2, 7, v4
	v_ffbh_u32_e32 v0, v2
	v_min_u32_e32 v6, 32, v0
	v_subrev_u32_e32 v0, 28, v6
	v_bfe_u32 v3, v4, 3, 4
	v_lshlrev_b64 v[0:1], v0, v[4:5]
	v_sub_u32_e32 v1, 29, v6
	v_cmp_eq_u32_e64 s[4:5], 0, v3
	v_and_b32_e32 v0, 7, v0
	s_nop 0
	v_cndmask_b32_e64 v1, v3, v1, s[4:5]
	v_cndmask_b32_e64 v0, v2, v0, s[4:5]
	v_lshlrev_b32_e32 v2, 8, v4
	v_lshl_add_u32 v1, v1, 10, v38
	v_and_or_b32 v1, v2, s27, v1
	v_lshl_or_b32 v0, v0, 7, v1
	v_cvt_f32_f16_e32 v62, v0
.LBB254_69:                             ;   in Loop: Header=BB254_9 Depth=1
	s_or_b64 exec, exec, s[20:21]
	v_lshrrev_b16_e32 v4, 8, v4
	v_cmp_lt_i16_e64 s[4:5], s17, v4
	s_mov_b64 s[20:21], 0
                                        ; implicit-def: $sgpr28
	s_and_saveexec_b64 s[22:23], s[4:5]
	s_xor_b64 s[22:23], exec, s[22:23]
	s_cbranch_execnz .LBB254_267
; %bb.70:                               ;   in Loop: Header=BB254_9 Depth=1
	s_or_saveexec_b64 s[22:23], s[22:23]
	v_mov_b32_e32 v63, s28
	s_xor_b64 exec, exec, s[22:23]
	s_cbranch_execnz .LBB254_270
.LBB254_71:                             ;   in Loop: Header=BB254_9 Depth=1
	s_or_b64 exec, exec, s[22:23]
	s_and_saveexec_b64 s[22:23], s[20:21]
	s_cbranch_execz .LBB254_73
.LBB254_72:                             ;   in Loop: Header=BB254_9 Depth=1
	v_and_b32_e32 v2, 7, v4
	v_ffbh_u32_e32 v0, v2
	v_min_u32_e32 v6, 32, v0
	v_subrev_u32_e32 v0, 28, v6
	v_bfe_u32 v3, v4, 3, 4
	v_lshlrev_b64 v[0:1], v0, v[4:5]
	v_sub_u32_e32 v1, 29, v6
	v_cmp_eq_u32_e64 s[4:5], 0, v3
	v_and_b32_e32 v0, 7, v0
	s_nop 0
	v_cndmask_b32_e64 v1, v3, v1, s[4:5]
	v_cndmask_b32_e64 v0, v2, v0, s[4:5]
	v_lshlrev_b32_e32 v2, 8, v4
	v_lshl_add_u32 v1, v1, 10, v38
	v_and_or_b32 v1, v2, s27, v1
	v_lshl_or_b32 v0, v0, 7, v1
	v_cvt_f32_f16_e32 v63, v0
.LBB254_73:                             ;   in Loop: Header=BB254_9 Depth=1
	s_or_b64 exec, exec, s[22:23]
	flat_load_ushort v0, v[28:29] offset:1024
	s_mov_b64 s[4:5], 0
                                        ; implicit-def: $sgpr24
	s_waitcnt vmcnt(0) lgkmcnt(0)
	v_cmp_gt_i16_sdwa s[20:21], v0, s17 src0_sel:BYTE_0 src1_sel:DWORD
	s_and_saveexec_b64 s[22:23], s[20:21]
	s_xor_b64 s[20:21], exec, s[22:23]
	s_cbranch_execnz .LBB254_271
; %bb.74:                               ;   in Loop: Header=BB254_9 Depth=1
	s_or_saveexec_b64 s[20:21], s[20:21]
	v_mov_b32_e32 v53, s24
	s_xor_b64 exec, exec, s[20:21]
	s_cbranch_execnz .LBB254_274
.LBB254_75:                             ;   in Loop: Header=BB254_9 Depth=1
	s_or_b64 exec, exec, s[20:21]
	v_and_b32_e32 v4, 0xffff, v0
	s_and_saveexec_b64 s[20:21], s[4:5]
	s_cbranch_execz .LBB254_77
.LBB254_76:                             ;   in Loop: Header=BB254_9 Depth=1
	v_and_b32_e32 v2, 7, v4
	v_ffbh_u32_e32 v0, v2
	v_min_u32_e32 v6, 32, v0
	v_subrev_u32_e32 v0, 28, v6
	v_bfe_u32 v3, v4, 3, 4
	v_lshlrev_b64 v[0:1], v0, v[4:5]
	v_sub_u32_e32 v1, 29, v6
	v_cmp_eq_u32_e64 s[4:5], 0, v3
	v_and_b32_e32 v0, 7, v0
	s_nop 0
	v_cndmask_b32_e64 v1, v3, v1, s[4:5]
	v_cndmask_b32_e64 v0, v2, v0, s[4:5]
	v_lshlrev_b32_e32 v2, 8, v4
	v_lshl_add_u32 v1, v1, 10, v38
	v_and_or_b32 v1, v2, s27, v1
	v_lshl_or_b32 v0, v0, 7, v1
	v_cvt_f32_f16_e32 v53, v0
.LBB254_77:                             ;   in Loop: Header=BB254_9 Depth=1
	s_or_b64 exec, exec, s[20:21]
	v_lshrrev_b16_e32 v4, 8, v4
	v_cmp_lt_i16_e64 s[4:5], s17, v4
	s_mov_b64 s[20:21], 0
                                        ; implicit-def: $sgpr28
	s_and_saveexec_b64 s[22:23], s[4:5]
	s_xor_b64 s[22:23], exec, s[22:23]
	s_cbranch_execnz .LBB254_275
; %bb.78:                               ;   in Loop: Header=BB254_9 Depth=1
	s_or_saveexec_b64 s[22:23], s[22:23]
	v_mov_b32_e32 v0, s28
	s_xor_b64 exec, exec, s[22:23]
	s_cbranch_execnz .LBB254_278
.LBB254_79:                             ;   in Loop: Header=BB254_9 Depth=1
	s_or_b64 exec, exec, s[22:23]
	s_and_saveexec_b64 s[22:23], s[20:21]
	s_cbranch_execz .LBB254_81
.LBB254_80:                             ;   in Loop: Header=BB254_9 Depth=1
	v_and_b32_e32 v2, 7, v4
	v_ffbh_u32_e32 v0, v2
	v_min_u32_e32 v6, 32, v0
	v_subrev_u32_e32 v0, 28, v6
	v_bfe_u32 v3, v4, 3, 4
	v_lshlrev_b64 v[0:1], v0, v[4:5]
	v_sub_u32_e32 v1, 29, v6
	v_cmp_eq_u32_e64 s[4:5], 0, v3
	v_and_b32_e32 v0, 7, v0
	s_nop 0
	v_cndmask_b32_e64 v1, v3, v1, s[4:5]
	v_cndmask_b32_e64 v0, v2, v0, s[4:5]
	v_lshlrev_b32_e32 v2, 8, v4
	v_lshl_add_u32 v1, v1, 10, v38
	v_and_or_b32 v1, v2, s27, v1
	v_lshl_or_b32 v0, v0, 7, v1
	v_cvt_f32_f16_e32 v0, v0
.LBB254_81:                             ;   in Loop: Header=BB254_9 Depth=1
	s_or_b64 exec, exec, s[22:23]
	v_accvgpr_write_b32 a31, v0
	flat_load_ushort v0, v[28:29] offset:1032
	s_mov_b64 s[4:5], 0
                                        ; implicit-def: $sgpr24
	s_waitcnt vmcnt(0) lgkmcnt(0)
	v_cmp_gt_i16_sdwa s[20:21], v0, s17 src0_sel:BYTE_0 src1_sel:DWORD
	s_and_saveexec_b64 s[22:23], s[20:21]
	s_xor_b64 s[20:21], exec, s[22:23]
	s_cbranch_execnz .LBB254_279
; %bb.82:                               ;   in Loop: Header=BB254_9 Depth=1
	s_or_saveexec_b64 s[20:21], s[20:21]
	v_mov_b32_e32 v54, s24
	s_xor_b64 exec, exec, s[20:21]
	s_cbranch_execnz .LBB254_282
.LBB254_83:                             ;   in Loop: Header=BB254_9 Depth=1
	s_or_b64 exec, exec, s[20:21]
	v_and_b32_e32 v4, 0xffff, v0
	s_and_saveexec_b64 s[20:21], s[4:5]
	s_cbranch_execz .LBB254_85
.LBB254_84:                             ;   in Loop: Header=BB254_9 Depth=1
	v_and_b32_e32 v2, 7, v4
	v_ffbh_u32_e32 v0, v2
	v_min_u32_e32 v6, 32, v0
	v_subrev_u32_e32 v0, 28, v6
	v_bfe_u32 v3, v4, 3, 4
	v_lshlrev_b64 v[0:1], v0, v[4:5]
	v_sub_u32_e32 v1, 29, v6
	v_cmp_eq_u32_e64 s[4:5], 0, v3
	v_and_b32_e32 v0, 7, v0
	s_nop 0
	v_cndmask_b32_e64 v1, v3, v1, s[4:5]
	v_cndmask_b32_e64 v0, v2, v0, s[4:5]
	v_lshlrev_b32_e32 v2, 8, v4
	v_lshl_add_u32 v1, v1, 10, v38
	v_and_or_b32 v1, v2, s27, v1
	v_lshl_or_b32 v0, v0, 7, v1
	v_cvt_f32_f16_e32 v54, v0
.LBB254_85:                             ;   in Loop: Header=BB254_9 Depth=1
	s_or_b64 exec, exec, s[20:21]
	v_lshrrev_b16_e32 v4, 8, v4
	v_cmp_lt_i16_e64 s[4:5], s17, v4
	s_mov_b64 s[20:21], 0
                                        ; implicit-def: $sgpr28
	s_and_saveexec_b64 s[22:23], s[4:5]
	s_xor_b64 s[22:23], exec, s[22:23]
	s_cbranch_execnz .LBB254_283
; %bb.86:                               ;   in Loop: Header=BB254_9 Depth=1
	s_or_saveexec_b64 s[22:23], s[22:23]
	v_mov_b32_e32 v0, s28
	s_xor_b64 exec, exec, s[22:23]
	s_cbranch_execnz .LBB254_286
.LBB254_87:                             ;   in Loop: Header=BB254_9 Depth=1
	s_or_b64 exec, exec, s[22:23]
	s_and_saveexec_b64 s[22:23], s[20:21]
	s_cbranch_execz .LBB254_89
.LBB254_88:                             ;   in Loop: Header=BB254_9 Depth=1
	v_and_b32_e32 v2, 7, v4
	v_ffbh_u32_e32 v0, v2
	v_min_u32_e32 v6, 32, v0
	v_subrev_u32_e32 v0, 28, v6
	v_bfe_u32 v3, v4, 3, 4
	v_lshlrev_b64 v[0:1], v0, v[4:5]
	v_sub_u32_e32 v1, 29, v6
	v_cmp_eq_u32_e64 s[4:5], 0, v3
	v_and_b32_e32 v0, 7, v0
	s_nop 0
	v_cndmask_b32_e64 v1, v3, v1, s[4:5]
	v_cndmask_b32_e64 v0, v2, v0, s[4:5]
	v_lshlrev_b32_e32 v2, 8, v4
	v_lshl_add_u32 v1, v1, 10, v38
	v_and_or_b32 v1, v2, s27, v1
	v_lshl_or_b32 v0, v0, 7, v1
	v_cvt_f32_f16_e32 v0, v0
.LBB254_89:                             ;   in Loop: Header=BB254_9 Depth=1
	s_or_b64 exec, exec, s[22:23]
	v_accvgpr_write_b32 a32, v0
	flat_load_ushort v0, v[28:29] offset:1280
	s_mov_b64 s[4:5], 0
                                        ; implicit-def: $sgpr24
	s_waitcnt vmcnt(0) lgkmcnt(0)
	v_cmp_gt_i16_sdwa s[20:21], v0, s17 src0_sel:BYTE_0 src1_sel:DWORD
	s_and_saveexec_b64 s[22:23], s[20:21]
	s_xor_b64 s[20:21], exec, s[22:23]
	s_cbranch_execnz .LBB254_287
; %bb.90:                               ;   in Loop: Header=BB254_9 Depth=1
	s_or_saveexec_b64 s[20:21], s[20:21]
	v_mov_b32_e32 v55, s24
	s_xor_b64 exec, exec, s[20:21]
	s_cbranch_execnz .LBB254_290
.LBB254_91:                             ;   in Loop: Header=BB254_9 Depth=1
	s_or_b64 exec, exec, s[20:21]
	v_and_b32_e32 v4, 0xffff, v0
	s_and_saveexec_b64 s[20:21], s[4:5]
	s_cbranch_execz .LBB254_93
.LBB254_92:                             ;   in Loop: Header=BB254_9 Depth=1
	v_and_b32_e32 v2, 7, v4
	v_ffbh_u32_e32 v0, v2
	v_min_u32_e32 v6, 32, v0
	v_subrev_u32_e32 v0, 28, v6
	v_bfe_u32 v3, v4, 3, 4
	v_lshlrev_b64 v[0:1], v0, v[4:5]
	v_sub_u32_e32 v1, 29, v6
	v_cmp_eq_u32_e64 s[4:5], 0, v3
	v_and_b32_e32 v0, 7, v0
	s_nop 0
	v_cndmask_b32_e64 v1, v3, v1, s[4:5]
	v_cndmask_b32_e64 v0, v2, v0, s[4:5]
	v_lshlrev_b32_e32 v2, 8, v4
	v_lshl_add_u32 v1, v1, 10, v38
	v_and_or_b32 v1, v2, s27, v1
	v_lshl_or_b32 v0, v0, 7, v1
	v_cvt_f32_f16_e32 v55, v0
.LBB254_93:                             ;   in Loop: Header=BB254_9 Depth=1
	s_or_b64 exec, exec, s[20:21]
	v_lshrrev_b16_e32 v4, 8, v4
	v_cmp_lt_i16_e64 s[4:5], s17, v4
	s_mov_b64 s[20:21], 0
                                        ; implicit-def: $sgpr28
	s_and_saveexec_b64 s[22:23], s[4:5]
	s_xor_b64 s[22:23], exec, s[22:23]
	s_cbranch_execnz .LBB254_291
; %bb.94:                               ;   in Loop: Header=BB254_9 Depth=1
	s_or_saveexec_b64 s[22:23], s[22:23]
	v_mov_b32_e32 v0, s28
	s_xor_b64 exec, exec, s[22:23]
	s_cbranch_execnz .LBB254_294
.LBB254_95:                             ;   in Loop: Header=BB254_9 Depth=1
	s_or_b64 exec, exec, s[22:23]
	s_and_saveexec_b64 s[22:23], s[20:21]
	s_cbranch_execz .LBB254_97
.LBB254_96:                             ;   in Loop: Header=BB254_9 Depth=1
	v_and_b32_e32 v2, 7, v4
	v_ffbh_u32_e32 v0, v2
	v_min_u32_e32 v6, 32, v0
	v_subrev_u32_e32 v0, 28, v6
	v_bfe_u32 v3, v4, 3, 4
	v_lshlrev_b64 v[0:1], v0, v[4:5]
	v_sub_u32_e32 v1, 29, v6
	v_cmp_eq_u32_e64 s[4:5], 0, v3
	v_and_b32_e32 v0, 7, v0
	s_nop 0
	v_cndmask_b32_e64 v1, v3, v1, s[4:5]
	v_cndmask_b32_e64 v0, v2, v0, s[4:5]
	v_lshlrev_b32_e32 v2, 8, v4
	v_lshl_add_u32 v1, v1, 10, v38
	v_and_or_b32 v1, v2, s27, v1
	v_lshl_or_b32 v0, v0, 7, v1
	v_cvt_f32_f16_e32 v0, v0
.LBB254_97:                             ;   in Loop: Header=BB254_9 Depth=1
	s_or_b64 exec, exec, s[22:23]
	v_accvgpr_write_b32 a33, v0
	flat_load_ushort v0, v[28:29] offset:1288
	s_mov_b64 s[4:5], 0
                                        ; implicit-def: $sgpr24
	s_waitcnt vmcnt(0) lgkmcnt(0)
	v_cmp_gt_i16_sdwa s[20:21], v0, s17 src0_sel:BYTE_0 src1_sel:DWORD
	s_and_saveexec_b64 s[22:23], s[20:21]
	s_xor_b64 s[20:21], exec, s[22:23]
	s_cbranch_execnz .LBB254_295
; %bb.98:                               ;   in Loop: Header=BB254_9 Depth=1
	s_or_saveexec_b64 s[20:21], s[20:21]
	v_mov_b32_e32 v41, s24
	s_xor_b64 exec, exec, s[20:21]
	s_cbranch_execnz .LBB254_298
.LBB254_99:                             ;   in Loop: Header=BB254_9 Depth=1
	s_or_b64 exec, exec, s[20:21]
	v_and_b32_e32 v4, 0xffff, v0
	s_and_saveexec_b64 s[20:21], s[4:5]
	s_cbranch_execz .LBB254_101
.LBB254_100:                            ;   in Loop: Header=BB254_9 Depth=1
	v_and_b32_e32 v2, 7, v4
	v_ffbh_u32_e32 v0, v2
	v_min_u32_e32 v6, 32, v0
	v_subrev_u32_e32 v0, 28, v6
	v_bfe_u32 v3, v4, 3, 4
	v_lshlrev_b64 v[0:1], v0, v[4:5]
	v_sub_u32_e32 v1, 29, v6
	v_cmp_eq_u32_e64 s[4:5], 0, v3
	v_and_b32_e32 v0, 7, v0
	s_nop 0
	v_cndmask_b32_e64 v1, v3, v1, s[4:5]
	v_cndmask_b32_e64 v0, v2, v0, s[4:5]
	v_lshlrev_b32_e32 v2, 8, v4
	v_lshl_add_u32 v1, v1, 10, v38
	v_and_or_b32 v1, v2, s27, v1
	v_lshl_or_b32 v0, v0, 7, v1
	v_cvt_f32_f16_e32 v41, v0
.LBB254_101:                            ;   in Loop: Header=BB254_9 Depth=1
	s_or_b64 exec, exec, s[20:21]
	v_lshrrev_b16_e32 v4, 8, v4
	v_cmp_lt_i16_e64 s[4:5], s17, v4
	s_mov_b64 s[20:21], 0
                                        ; implicit-def: $sgpr28
	s_and_saveexec_b64 s[22:23], s[4:5]
	s_xor_b64 s[22:23], exec, s[22:23]
	s_cbranch_execnz .LBB254_299
; %bb.102:                              ;   in Loop: Header=BB254_9 Depth=1
	s_or_saveexec_b64 s[22:23], s[22:23]
	v_mov_b32_e32 v0, s28
	s_xor_b64 exec, exec, s[22:23]
	s_cbranch_execnz .LBB254_302
.LBB254_103:                            ;   in Loop: Header=BB254_9 Depth=1
	s_or_b64 exec, exec, s[22:23]
	s_and_saveexec_b64 s[22:23], s[20:21]
	s_cbranch_execz .LBB254_105
.LBB254_104:                            ;   in Loop: Header=BB254_9 Depth=1
	v_and_b32_e32 v2, 7, v4
	v_ffbh_u32_e32 v0, v2
	v_min_u32_e32 v6, 32, v0
	v_subrev_u32_e32 v0, 28, v6
	v_bfe_u32 v3, v4, 3, 4
	v_lshlrev_b64 v[0:1], v0, v[4:5]
	v_sub_u32_e32 v1, 29, v6
	v_cmp_eq_u32_e64 s[4:5], 0, v3
	v_and_b32_e32 v0, 7, v0
	s_nop 0
	v_cndmask_b32_e64 v1, v3, v1, s[4:5]
	v_cndmask_b32_e64 v0, v2, v0, s[4:5]
	v_lshlrev_b32_e32 v2, 8, v4
	v_lshl_add_u32 v1, v1, 10, v38
	v_and_or_b32 v1, v2, s27, v1
	v_lshl_or_b32 v0, v0, 7, v1
	v_cvt_f32_f16_e32 v0, v0
.LBB254_105:                            ;   in Loop: Header=BB254_9 Depth=1
	s_or_b64 exec, exec, s[22:23]
	v_accvgpr_write_b32 a34, v0
	flat_load_ushort v0, v[28:29] offset:1536
	s_mov_b64 s[4:5], 0
                                        ; implicit-def: $sgpr24
	s_waitcnt vmcnt(0) lgkmcnt(0)
	v_cmp_gt_i16_sdwa s[20:21], v0, s17 src0_sel:BYTE_0 src1_sel:DWORD
	s_and_saveexec_b64 s[22:23], s[20:21]
	s_xor_b64 s[20:21], exec, s[22:23]
	s_cbranch_execnz .LBB254_303
; %bb.106:                              ;   in Loop: Header=BB254_9 Depth=1
	s_or_saveexec_b64 s[20:21], s[20:21]
	v_mov_b32_e32 v1, s24
	s_xor_b64 exec, exec, s[20:21]
	s_cbranch_execnz .LBB254_306
.LBB254_107:                            ;   in Loop: Header=BB254_9 Depth=1
	s_or_b64 exec, exec, s[20:21]
	v_and_b32_e32 v4, 0xffff, v0
	s_and_saveexec_b64 s[20:21], s[4:5]
	s_cbranch_execz .LBB254_109
.LBB254_108:                            ;   in Loop: Header=BB254_9 Depth=1
	v_and_b32_e32 v2, 7, v4
	v_ffbh_u32_e32 v0, v2
	v_min_u32_e32 v6, 32, v0
	v_subrev_u32_e32 v0, 28, v6
	v_bfe_u32 v3, v4, 3, 4
	v_lshlrev_b64 v[0:1], v0, v[4:5]
	v_sub_u32_e32 v1, 29, v6
	v_cmp_eq_u32_e64 s[4:5], 0, v3
	v_and_b32_e32 v0, 7, v0
	s_nop 0
	v_cndmask_b32_e64 v1, v3, v1, s[4:5]
	v_cndmask_b32_e64 v0, v2, v0, s[4:5]
	v_lshlrev_b32_e32 v2, 8, v4
	v_lshl_add_u32 v1, v1, 10, v38
	v_and_or_b32 v1, v2, s27, v1
	v_lshl_or_b32 v0, v0, 7, v1
	v_cvt_f32_f16_e32 v1, v0
.LBB254_109:                            ;   in Loop: Header=BB254_9 Depth=1
	s_or_b64 exec, exec, s[20:21]
	v_lshrrev_b16_e32 v4, 8, v4
	v_cmp_lt_i16_e64 s[4:5], s17, v4
	s_mov_b64 s[20:21], 0
                                        ; implicit-def: $sgpr28
	s_and_saveexec_b64 s[22:23], s[4:5]
	s_xor_b64 s[22:23], exec, s[22:23]
	s_cbranch_execnz .LBB254_307
; %bb.110:                              ;   in Loop: Header=BB254_9 Depth=1
	s_or_saveexec_b64 s[22:23], s[22:23]
	v_mov_b32_e32 v2, s28
	s_xor_b64 exec, exec, s[22:23]
	s_cbranch_execnz .LBB254_310
.LBB254_111:                            ;   in Loop: Header=BB254_9 Depth=1
	s_or_b64 exec, exec, s[22:23]
	v_accvgpr_write_b32 a35, v1
	s_and_saveexec_b64 s[22:23], s[20:21]
	s_cbranch_execz .LBB254_113
.LBB254_112:                            ;   in Loop: Header=BB254_9 Depth=1
	v_and_b32_e32 v3, 7, v4
	v_ffbh_u32_e32 v0, v3
	v_min_u32_e32 v7, 32, v0
	v_subrev_u32_e32 v0, 28, v7
	v_bfe_u32 v6, v4, 3, 4
	v_lshlrev_b64 v[0:1], v0, v[4:5]
	v_sub_u32_e32 v1, 29, v7
	v_cmp_eq_u32_e64 s[4:5], 0, v6
	v_and_b32_e32 v0, 7, v0
	s_nop 0
	v_cndmask_b32_e64 v1, v6, v1, s[4:5]
	v_cndmask_b32_e64 v0, v3, v0, s[4:5]
	v_lshlrev_b32_e32 v3, 8, v4
	v_lshl_add_u32 v1, v1, 10, v38
	v_and_or_b32 v1, v3, s27, v1
	v_lshl_or_b32 v0, v0, 7, v1
	v_cvt_f32_f16_e32 v2, v0
.LBB254_113:                            ;   in Loop: Header=BB254_9 Depth=1
	s_or_b64 exec, exec, s[22:23]
	flat_load_ushort v1, v[28:29] offset:1544
	s_mov_b64 s[4:5], 0
                                        ; implicit-def: $sgpr24
	s_waitcnt vmcnt(0) lgkmcnt(0)
	v_cmp_gt_i16_sdwa s[20:21], v1, s17 src0_sel:BYTE_0 src1_sel:DWORD
	s_and_saveexec_b64 s[22:23], s[20:21]
	s_xor_b64 s[20:21], exec, s[22:23]
	s_cbranch_execnz .LBB254_311
; %bb.114:                              ;   in Loop: Header=BB254_9 Depth=1
	s_or_saveexec_b64 s[20:21], s[20:21]
	v_mov_b32_e32 v0, s24
	s_xor_b64 exec, exec, s[20:21]
	s_cbranch_execnz .LBB254_314
.LBB254_115:                            ;   in Loop: Header=BB254_9 Depth=1
	s_or_b64 exec, exec, s[20:21]
	v_and_b32_e32 v4, 0xffff, v1
	s_and_saveexec_b64 s[20:21], s[4:5]
	s_cbranch_execz .LBB254_117
.LBB254_116:                            ;   in Loop: Header=BB254_9 Depth=1
	v_and_b32_e32 v6, 7, v4
	v_ffbh_u32_e32 v0, v6
	v_min_u32_e32 v8, 32, v0
	v_subrev_u32_e32 v0, 28, v8
	v_bfe_u32 v7, v4, 3, 4
	v_lshlrev_b64 v[0:1], v0, v[4:5]
	v_sub_u32_e32 v1, 29, v8
	v_cmp_eq_u32_e64 s[4:5], 0, v7
	v_and_b32_e32 v0, 7, v0
	s_nop 0
	v_cndmask_b32_e64 v1, v7, v1, s[4:5]
	v_cndmask_b32_e64 v0, v6, v0, s[4:5]
	v_lshlrev_b32_e32 v6, 8, v4
	v_lshl_add_u32 v1, v1, 10, v38
	v_and_or_b32 v1, v6, s27, v1
	v_lshl_or_b32 v0, v0, 7, v1
	v_cvt_f32_f16_e32 v0, v0
.LBB254_117:                            ;   in Loop: Header=BB254_9 Depth=1
	s_or_b64 exec, exec, s[20:21]
	v_lshrrev_b16_e32 v4, 8, v4
	v_cmp_lt_i16_e64 s[4:5], s17, v4
	s_mov_b64 s[20:21], 0
                                        ; implicit-def: $sgpr28
	s_and_saveexec_b64 s[22:23], s[4:5]
	s_xor_b64 s[22:23], exec, s[22:23]
	s_cbranch_execnz .LBB254_315
; %bb.118:                              ;   in Loop: Header=BB254_9 Depth=1
	s_or_saveexec_b64 s[22:23], s[22:23]
	v_mov_b32_e32 v1, s28
	s_xor_b64 exec, exec, s[22:23]
	s_cbranch_execnz .LBB254_318
.LBB254_119:                            ;   in Loop: Header=BB254_9 Depth=1
	s_or_b64 exec, exec, s[22:23]
	s_and_saveexec_b64 s[22:23], s[20:21]
	s_cbranch_execz .LBB254_121
.LBB254_120:                            ;   in Loop: Header=BB254_9 Depth=1
	v_and_b32_e32 v1, 7, v4
	v_ffbh_u32_e32 v6, v1
	v_min_u32_e32 v9, 32, v6
	v_subrev_u32_e32 v6, 28, v9
	v_bfe_u32 v8, v4, 3, 4
	v_lshlrev_b64 v[6:7], v6, v[4:5]
	v_sub_u32_e32 v7, 29, v9
	v_cmp_eq_u32_e64 s[4:5], 0, v8
	v_and_b32_e32 v6, 7, v6
	v_lshlrev_b32_e32 v4, 8, v4
	v_cndmask_b32_e64 v7, v8, v7, s[4:5]
	v_cndmask_b32_e64 v1, v1, v6, s[4:5]
	v_lshl_add_u32 v6, v7, 10, v38
	v_and_or_b32 v4, v4, s27, v6
	v_lshl_or_b32 v1, v1, 7, v4
	v_cvt_f32_f16_e32 v1, v1
.LBB254_121:                            ;   in Loop: Header=BB254_9 Depth=1
	s_or_b64 exec, exec, s[22:23]
	flat_load_ushort v4, v[28:29] offset:1792
	s_mov_b64 s[4:5], 0
                                        ; implicit-def: $sgpr24
	s_waitcnt vmcnt(0) lgkmcnt(0)
	v_cmp_gt_i16_sdwa s[20:21], v4, s17 src0_sel:BYTE_0 src1_sel:DWORD
	s_and_saveexec_b64 s[22:23], s[20:21]
	s_xor_b64 s[20:21], exec, s[22:23]
	s_cbranch_execnz .LBB254_319
; %bb.122:                              ;   in Loop: Header=BB254_9 Depth=1
	s_or_saveexec_b64 s[20:21], s[20:21]
	v_mov_b32_e32 v14, s24
	s_xor_b64 exec, exec, s[20:21]
	s_cbranch_execnz .LBB254_322
.LBB254_123:                            ;   in Loop: Header=BB254_9 Depth=1
	s_or_b64 exec, exec, s[20:21]
	v_and_b32_e32 v4, 0xffff, v4
	s_and_saveexec_b64 s[20:21], s[4:5]
	s_cbranch_execz .LBB254_125
.LBB254_124:                            ;   in Loop: Header=BB254_9 Depth=1
	v_and_b32_e32 v8, 7, v4
	v_ffbh_u32_e32 v6, v8
	v_min_u32_e32 v10, 32, v6
	v_subrev_u32_e32 v6, 28, v10
	v_bfe_u32 v9, v4, 3, 4
	v_lshlrev_b64 v[6:7], v6, v[4:5]
	v_sub_u32_e32 v7, 29, v10
	v_cmp_eq_u32_e64 s[4:5], 0, v9
	v_and_b32_e32 v6, 7, v6
	s_nop 0
	v_cndmask_b32_e64 v7, v9, v7, s[4:5]
	v_cndmask_b32_e64 v6, v8, v6, s[4:5]
	v_lshlrev_b32_e32 v8, 8, v4
	v_lshl_add_u32 v7, v7, 10, v38
	v_and_or_b32 v7, v8, s27, v7
	v_lshl_or_b32 v6, v6, 7, v7
	v_cvt_f32_f16_e32 v14, v6
.LBB254_125:                            ;   in Loop: Header=BB254_9 Depth=1
	s_or_b64 exec, exec, s[20:21]
	v_lshrrev_b16_e32 v4, 8, v4
	v_cmp_lt_i16_e64 s[4:5], s17, v4
	s_mov_b64 s[20:21], 0
                                        ; implicit-def: $sgpr28
	s_and_saveexec_b64 s[22:23], s[4:5]
	s_xor_b64 s[22:23], exec, s[22:23]
	s_cbranch_execnz .LBB254_323
; %bb.126:                              ;   in Loop: Header=BB254_9 Depth=1
	s_or_saveexec_b64 s[22:23], s[22:23]
	v_mov_b32_e32 v15, s28
	s_xor_b64 exec, exec, s[22:23]
	s_cbranch_execnz .LBB254_326
.LBB254_127:                            ;   in Loop: Header=BB254_9 Depth=1
	s_or_b64 exec, exec, s[22:23]
	s_and_saveexec_b64 s[22:23], s[20:21]
	s_cbranch_execz .LBB254_129
.LBB254_128:                            ;   in Loop: Header=BB254_9 Depth=1
	v_and_b32_e32 v8, 7, v4
	v_ffbh_u32_e32 v6, v8
	v_min_u32_e32 v10, 32, v6
	v_subrev_u32_e32 v6, 28, v10
	v_bfe_u32 v9, v4, 3, 4
	v_lshlrev_b64 v[6:7], v6, v[4:5]
	v_sub_u32_e32 v7, 29, v10
	v_cmp_eq_u32_e64 s[4:5], 0, v9
	v_and_b32_e32 v6, 7, v6
	v_lshlrev_b32_e32 v4, 8, v4
	v_cndmask_b32_e64 v7, v9, v7, s[4:5]
	v_lshl_add_u32 v7, v7, 10, v38
	v_cndmask_b32_e64 v6, v8, v6, s[4:5]
	v_and_or_b32 v4, v4, s27, v7
	v_lshl_or_b32 v4, v6, 7, v4
	v_cvt_f32_f16_e32 v15, v4
.LBB254_129:                            ;   in Loop: Header=BB254_9 Depth=1
	s_or_b64 exec, exec, s[22:23]
	flat_load_ushort v4, v[28:29] offset:1800
	s_mov_b64 s[4:5], 0
                                        ; implicit-def: $sgpr24
	s_waitcnt vmcnt(0) lgkmcnt(0)
	v_cmp_gt_i16_sdwa s[20:21], v4, s17 src0_sel:BYTE_0 src1_sel:DWORD
	s_and_saveexec_b64 s[22:23], s[20:21]
	s_xor_b64 s[20:21], exec, s[22:23]
	s_cbranch_execnz .LBB254_327
; %bb.130:                              ;   in Loop: Header=BB254_9 Depth=1
	s_or_saveexec_b64 s[20:21], s[20:21]
	v_mov_b32_e32 v6, s24
	s_xor_b64 exec, exec, s[20:21]
	s_cbranch_execnz .LBB254_330
.LBB254_131:                            ;   in Loop: Header=BB254_9 Depth=1
	s_or_b64 exec, exec, s[20:21]
	v_and_b32_e32 v4, 0xffff, v4
	s_and_saveexec_b64 s[20:21], s[4:5]
	s_cbranch_execz .LBB254_133
.LBB254_132:                            ;   in Loop: Header=BB254_9 Depth=1
	v_and_b32_e32 v8, 7, v4
	v_ffbh_u32_e32 v6, v8
	v_min_u32_e32 v10, 32, v6
	v_subrev_u32_e32 v6, 28, v10
	v_bfe_u32 v9, v4, 3, 4
	v_lshlrev_b64 v[6:7], v6, v[4:5]
	v_sub_u32_e32 v7, 29, v10
	v_cmp_eq_u32_e64 s[4:5], 0, v9
	v_and_b32_e32 v6, 7, v6
	s_nop 0
	v_cndmask_b32_e64 v7, v9, v7, s[4:5]
	v_cndmask_b32_e64 v6, v8, v6, s[4:5]
	v_lshlrev_b32_e32 v8, 8, v4
	v_lshl_add_u32 v7, v7, 10, v38
	v_and_or_b32 v7, v8, s27, v7
	v_lshl_or_b32 v6, v6, 7, v7
	v_cvt_f32_f16_e32 v6, v6
.LBB254_133:                            ;   in Loop: Header=BB254_9 Depth=1
	s_or_b64 exec, exec, s[20:21]
	v_lshrrev_b16_e32 v4, 8, v4
	v_cmp_lt_i16_e64 s[4:5], s17, v4
	s_mov_b64 s[20:21], 0
                                        ; implicit-def: $sgpr28
	s_and_saveexec_b64 s[22:23], s[4:5]
	s_xor_b64 s[22:23], exec, s[22:23]
	s_cbranch_execnz .LBB254_331
; %bb.134:                              ;   in Loop: Header=BB254_9 Depth=1
	s_or_saveexec_b64 s[22:23], s[22:23]
	v_mov_b32_e32 v7, s28
	s_xor_b64 exec, exec, s[22:23]
	s_cbranch_execnz .LBB254_334
.LBB254_135:                            ;   in Loop: Header=BB254_9 Depth=1
	s_or_b64 exec, exec, s[22:23]
	s_and_saveexec_b64 s[22:23], s[20:21]
	s_cbranch_execz .LBB254_137
.LBB254_136:                            ;   in Loop: Header=BB254_9 Depth=1
	v_and_b32_e32 v7, 7, v4
	v_ffbh_u32_e32 v8, v7
	v_min_u32_e32 v11, 32, v8
	v_subrev_u32_e32 v8, 28, v11
	v_bfe_u32 v10, v4, 3, 4
	v_lshlrev_b64 v[8:9], v8, v[4:5]
	v_sub_u32_e32 v9, 29, v11
	v_cmp_eq_u32_e64 s[4:5], 0, v10
	v_and_b32_e32 v8, 7, v8
	v_lshlrev_b32_e32 v4, 8, v4
	v_cndmask_b32_e64 v9, v10, v9, s[4:5]
	v_cndmask_b32_e64 v7, v7, v8, s[4:5]
	v_lshl_add_u32 v8, v9, 10, v38
	v_and_or_b32 v4, v4, s27, v8
	v_lshl_or_b32 v4, v7, 7, v4
	v_cvt_f32_f16_e32 v7, v4
.LBB254_137:                            ;   in Loop: Header=BB254_9 Depth=1
	s_or_b64 exec, exec, s[22:23]
	flat_load_ushort v4, v[28:29] offset:2048
	s_mov_b64 s[4:5], 0
                                        ; implicit-def: $sgpr24
	s_waitcnt vmcnt(0) lgkmcnt(0)
	v_cmp_gt_i16_sdwa s[20:21], v4, s17 src0_sel:BYTE_0 src1_sel:DWORD
	s_and_saveexec_b64 s[22:23], s[20:21]
	s_xor_b64 s[20:21], exec, s[22:23]
	s_cbranch_execnz .LBB254_335
; %bb.138:                              ;   in Loop: Header=BB254_9 Depth=1
	s_or_saveexec_b64 s[20:21], s[20:21]
	v_mov_b32_e32 v10, s24
	s_xor_b64 exec, exec, s[20:21]
	s_cbranch_execnz .LBB254_338
.LBB254_139:                            ;   in Loop: Header=BB254_9 Depth=1
	s_or_b64 exec, exec, s[20:21]
	v_and_b32_e32 v4, 0xffff, v4
	s_and_saveexec_b64 s[20:21], s[4:5]
	s_cbranch_execz .LBB254_141
.LBB254_140:                            ;   in Loop: Header=BB254_9 Depth=1
	v_and_b32_e32 v10, 7, v4
	v_ffbh_u32_e32 v8, v10
	v_min_u32_e32 v13, 32, v8
	v_subrev_u32_e32 v8, 28, v13
	v_bfe_u32 v11, v4, 3, 4
	v_lshlrev_b64 v[8:9], v8, v[4:5]
	v_sub_u32_e32 v9, 29, v13
	v_cmp_eq_u32_e64 s[4:5], 0, v11
	v_and_b32_e32 v8, 7, v8
	s_nop 0
	v_cndmask_b32_e64 v9, v11, v9, s[4:5]
	v_cndmask_b32_e64 v8, v10, v8, s[4:5]
	v_lshlrev_b32_e32 v10, 8, v4
	v_lshl_add_u32 v9, v9, 10, v38
	v_and_or_b32 v9, v10, s27, v9
	v_lshl_or_b32 v8, v8, 7, v9
	v_cvt_f32_f16_e32 v10, v8
.LBB254_141:                            ;   in Loop: Header=BB254_9 Depth=1
	s_or_b64 exec, exec, s[20:21]
	v_lshrrev_b16_e32 v4, 8, v4
	v_cmp_lt_i16_e64 s[4:5], s17, v4
	s_mov_b64 s[20:21], 0
                                        ; implicit-def: $sgpr28
	s_and_saveexec_b64 s[22:23], s[4:5]
	s_xor_b64 s[22:23], exec, s[22:23]
	s_cbranch_execnz .LBB254_339
; %bb.142:                              ;   in Loop: Header=BB254_9 Depth=1
	s_or_saveexec_b64 s[22:23], s[22:23]
	v_mov_b32_e32 v11, s28
	s_xor_b64 exec, exec, s[22:23]
	s_cbranch_execnz .LBB254_342
.LBB254_143:                            ;   in Loop: Header=BB254_9 Depth=1
	s_or_b64 exec, exec, s[22:23]
	s_and_saveexec_b64 s[22:23], s[20:21]
	s_cbranch_execz .LBB254_145
.LBB254_144:                            ;   in Loop: Header=BB254_9 Depth=1
	v_and_b32_e32 v11, 7, v4
	v_ffbh_u32_e32 v8, v11
	v_min_u32_e32 v16, 32, v8
	v_subrev_u32_e32 v8, 28, v16
	v_bfe_u32 v13, v4, 3, 4
	v_lshlrev_b64 v[8:9], v8, v[4:5]
	v_sub_u32_e32 v9, 29, v16
	v_cmp_eq_u32_e64 s[4:5], 0, v13
	v_and_b32_e32 v8, 7, v8
	v_lshlrev_b32_e32 v4, 8, v4
	v_cndmask_b32_e64 v9, v13, v9, s[4:5]
	v_lshl_add_u32 v9, v9, 10, v38
	v_cndmask_b32_e64 v8, v11, v8, s[4:5]
	v_and_or_b32 v4, v4, s27, v9
	v_lshl_or_b32 v4, v8, 7, v4
	v_cvt_f32_f16_e32 v11, v4
.LBB254_145:                            ;   in Loop: Header=BB254_9 Depth=1
	s_or_b64 exec, exec, s[22:23]
	flat_load_ushort v4, v[28:29] offset:2056
	s_mov_b64 s[4:5], 0
                                        ; implicit-def: $sgpr24
	s_waitcnt vmcnt(0) lgkmcnt(0)
	v_cmp_gt_i16_sdwa s[20:21], v4, s17 src0_sel:BYTE_0 src1_sel:DWORD
	s_and_saveexec_b64 s[22:23], s[20:21]
	s_xor_b64 s[20:21], exec, s[22:23]
	s_cbranch_execnz .LBB254_343
; %bb.146:                              ;   in Loop: Header=BB254_9 Depth=1
	s_or_saveexec_b64 s[20:21], s[20:21]
	v_mov_b32_e32 v8, s24
	s_xor_b64 exec, exec, s[20:21]
	s_cbranch_execnz .LBB254_346
.LBB254_147:                            ;   in Loop: Header=BB254_9 Depth=1
	s_or_b64 exec, exec, s[20:21]
	v_and_b32_e32 v4, 0xffff, v4
	s_and_saveexec_b64 s[20:21], s[4:5]
	s_cbranch_execz .LBB254_149
.LBB254_148:                            ;   in Loop: Header=BB254_9 Depth=1
	v_and_b32_e32 v13, 7, v4
	v_ffbh_u32_e32 v8, v13
	v_min_u32_e32 v17, 32, v8
	v_subrev_u32_e32 v8, 28, v17
	v_bfe_u32 v16, v4, 3, 4
	v_lshlrev_b64 v[8:9], v8, v[4:5]
	v_sub_u32_e32 v9, 29, v17
	v_cmp_eq_u32_e64 s[4:5], 0, v16
	v_and_b32_e32 v8, 7, v8
	s_nop 0
	v_cndmask_b32_e64 v9, v16, v9, s[4:5]
	v_cndmask_b32_e64 v8, v13, v8, s[4:5]
	v_lshlrev_b32_e32 v13, 8, v4
	v_lshl_add_u32 v9, v9, 10, v38
	v_and_or_b32 v9, v13, s27, v9
	v_lshl_or_b32 v8, v8, 7, v9
	v_cvt_f32_f16_e32 v8, v8
.LBB254_149:                            ;   in Loop: Header=BB254_9 Depth=1
	s_or_b64 exec, exec, s[20:21]
	v_lshrrev_b16_e32 v4, 8, v4
	v_cmp_lt_i16_e64 s[4:5], s17, v4
	s_mov_b64 s[20:21], 0
                                        ; implicit-def: $sgpr28
	s_and_saveexec_b64 s[22:23], s[4:5]
	s_xor_b64 s[22:23], exec, s[22:23]
	s_cbranch_execnz .LBB254_347
; %bb.150:                              ;   in Loop: Header=BB254_9 Depth=1
	s_or_saveexec_b64 s[22:23], s[22:23]
	v_mov_b32_e32 v35, s28
	s_xor_b64 exec, exec, s[22:23]
	s_cbranch_execnz .LBB254_350
.LBB254_151:                            ;   in Loop: Header=BB254_9 Depth=1
	s_or_b64 exec, exec, s[22:23]
	s_and_saveexec_b64 s[22:23], s[20:21]
	s_cbranch_execz .LBB254_153
.LBB254_152:                            ;   in Loop: Header=BB254_9 Depth=1
	v_and_b32_e32 v9, 7, v4
	v_ffbh_u32_e32 v16, v9
	v_min_u32_e32 v18, 32, v16
	v_subrev_u32_e32 v16, 28, v18
	v_bfe_u32 v13, v4, 3, 4
	v_lshlrev_b64 v[16:17], v16, v[4:5]
	v_sub_u32_e32 v17, 29, v18
	v_cmp_eq_u32_e64 s[4:5], 0, v13
	v_and_b32_e32 v16, 7, v16
	v_lshlrev_b32_e32 v4, 8, v4
	v_cndmask_b32_e64 v13, v13, v17, s[4:5]
	v_lshl_add_u32 v13, v13, 10, v38
	v_cndmask_b32_e64 v9, v9, v16, s[4:5]
	v_and_or_b32 v4, v4, s27, v13
	v_lshl_or_b32 v4, v9, 7, v4
	v_cvt_f32_f16_e32 v35, v4
.LBB254_153:                            ;   in Loop: Header=BB254_9 Depth=1
	s_or_b64 exec, exec, s[22:23]
	flat_load_ushort v4, v[28:29] offset:2304
	s_mov_b64 s[4:5], 0
                                        ; implicit-def: $sgpr24
	s_waitcnt vmcnt(0) lgkmcnt(0)
	v_cmp_gt_i16_sdwa s[20:21], v4, s17 src0_sel:BYTE_0 src1_sel:DWORD
	s_and_saveexec_b64 s[22:23], s[20:21]
	s_xor_b64 s[20:21], exec, s[22:23]
	s_cbranch_execnz .LBB254_351
; %bb.154:                              ;   in Loop: Header=BB254_9 Depth=1
	s_or_saveexec_b64 s[20:21], s[20:21]
	v_mov_b32_e32 v13, s24
	s_xor_b64 exec, exec, s[20:21]
	s_cbranch_execnz .LBB254_354
.LBB254_155:                            ;   in Loop: Header=BB254_9 Depth=1
	s_or_b64 exec, exec, s[20:21]
	v_and_b32_e32 v4, 0xffff, v4
	s_and_saveexec_b64 s[20:21], s[4:5]
	s_cbranch_execz .LBB254_157
.LBB254_156:                            ;   in Loop: Header=BB254_9 Depth=1
	v_and_b32_e32 v9, 7, v4
	v_ffbh_u32_e32 v16, v9
	v_min_u32_e32 v18, 32, v16
	v_subrev_u32_e32 v16, 28, v18
	v_bfe_u32 v13, v4, 3, 4
	v_lshlrev_b64 v[16:17], v16, v[4:5]
	v_sub_u32_e32 v17, 29, v18
	v_cmp_eq_u32_e64 s[4:5], 0, v13
	v_and_b32_e32 v16, 7, v16
	s_nop 0
	v_cndmask_b32_e64 v13, v13, v17, s[4:5]
	v_cndmask_b32_e64 v9, v9, v16, s[4:5]
	v_lshlrev_b32_e32 v16, 8, v4
	v_lshl_add_u32 v13, v13, 10, v38
	v_and_or_b32 v13, v16, s27, v13
	v_lshl_or_b32 v9, v9, 7, v13
	v_cvt_f32_f16_e32 v13, v9
.LBB254_157:                            ;   in Loop: Header=BB254_9 Depth=1
	s_or_b64 exec, exec, s[20:21]
	v_lshrrev_b16_e32 v4, 8, v4
	v_cmp_lt_i16_e64 s[4:5], s17, v4
	s_mov_b64 s[20:21], 0
                                        ; implicit-def: $sgpr28
	s_and_saveexec_b64 s[22:23], s[4:5]
	s_xor_b64 s[22:23], exec, s[22:23]
	s_cbranch_execnz .LBB254_355
; %bb.158:                              ;   in Loop: Header=BB254_9 Depth=1
	s_or_saveexec_b64 s[22:23], s[22:23]
	v_mov_b32_e32 v33, s28
	s_xor_b64 exec, exec, s[22:23]
	s_cbranch_execnz .LBB254_358
.LBB254_159:                            ;   in Loop: Header=BB254_9 Depth=1
	s_or_b64 exec, exec, s[22:23]
	s_and_saveexec_b64 s[22:23], s[20:21]
	s_cbranch_execz .LBB254_161
.LBB254_160:                            ;   in Loop: Header=BB254_9 Depth=1
	v_and_b32_e32 v9, 7, v4
	v_ffbh_u32_e32 v16, v9
	v_min_u32_e32 v20, 32, v16
	v_subrev_u32_e32 v16, 28, v20
	v_bfe_u32 v18, v4, 3, 4
	v_lshlrev_b64 v[16:17], v16, v[4:5]
	v_sub_u32_e32 v17, 29, v20
	v_cmp_eq_u32_e64 s[4:5], 0, v18
	v_and_b32_e32 v16, 7, v16
	v_lshlrev_b32_e32 v4, 8, v4
	v_cndmask_b32_e64 v17, v18, v17, s[4:5]
	v_cndmask_b32_e64 v9, v9, v16, s[4:5]
	v_lshl_add_u32 v16, v17, 10, v38
	v_and_or_b32 v4, v4, s27, v16
	v_lshl_or_b32 v4, v9, 7, v4
	v_cvt_f32_f16_e32 v33, v4
.LBB254_161:                            ;   in Loop: Header=BB254_9 Depth=1
	s_or_b64 exec, exec, s[22:23]
	flat_load_ushort v4, v[28:29] offset:2312
	s_mov_b64 s[4:5], 0
                                        ; implicit-def: $sgpr24
	s_waitcnt vmcnt(0) lgkmcnt(0)
	v_cmp_gt_i16_sdwa s[20:21], v4, s17 src0_sel:BYTE_0 src1_sel:DWORD
	s_and_saveexec_b64 s[22:23], s[20:21]
	s_xor_b64 s[20:21], exec, s[22:23]
	s_cbranch_execnz .LBB254_359
; %bb.162:                              ;   in Loop: Header=BB254_9 Depth=1
	s_or_saveexec_b64 s[20:21], s[20:21]
	v_mov_b32_e32 v9, s24
	s_xor_b64 exec, exec, s[20:21]
	s_cbranch_execnz .LBB254_362
.LBB254_163:                            ;   in Loop: Header=BB254_9 Depth=1
	s_or_b64 exec, exec, s[20:21]
	v_and_b32_e32 v4, 0xffff, v4
	s_and_saveexec_b64 s[20:21], s[4:5]
	s_cbranch_execz .LBB254_165
.LBB254_164:                            ;   in Loop: Header=BB254_9 Depth=1
	v_and_b32_e32 v9, 7, v4
	v_ffbh_u32_e32 v16, v9
	v_min_u32_e32 v20, 32, v16
	v_subrev_u32_e32 v16, 28, v20
	v_bfe_u32 v18, v4, 3, 4
	v_lshlrev_b64 v[16:17], v16, v[4:5]
	v_sub_u32_e32 v17, 29, v20
	v_cmp_eq_u32_e64 s[4:5], 0, v18
	v_and_b32_e32 v16, 7, v16
	s_nop 0
	v_cndmask_b32_e64 v17, v18, v17, s[4:5]
	v_cndmask_b32_e64 v9, v9, v16, s[4:5]
	v_lshlrev_b32_e32 v16, 8, v4
	v_lshl_add_u32 v17, v17, 10, v38
	v_and_or_b32 v16, v16, s27, v17
	v_lshl_or_b32 v9, v9, 7, v16
	v_cvt_f32_f16_e32 v9, v9
.LBB254_165:                            ;   in Loop: Header=BB254_9 Depth=1
	s_or_b64 exec, exec, s[20:21]
	v_lshrrev_b16_e32 v4, 8, v4
	v_cmp_lt_i16_e64 s[4:5], s17, v4
	s_mov_b64 s[20:21], 0
                                        ; implicit-def: $sgpr28
	s_and_saveexec_b64 s[22:23], s[4:5]
	s_xor_b64 s[22:23], exec, s[22:23]
	s_cbranch_execnz .LBB254_363
; %bb.166:                              ;   in Loop: Header=BB254_9 Depth=1
	s_or_saveexec_b64 s[22:23], s[22:23]
	v_mov_b32_e32 v16, s28
	s_xor_b64 exec, exec, s[22:23]
	s_cbranch_execnz .LBB254_366
.LBB254_167:                            ;   in Loop: Header=BB254_9 Depth=1
	s_or_b64 exec, exec, s[22:23]
	s_and_saveexec_b64 s[22:23], s[20:21]
	s_cbranch_execz .LBB254_169
.LBB254_168:                            ;   in Loop: Header=BB254_9 Depth=1
	v_and_b32_e32 v18, 7, v4
	v_ffbh_u32_e32 v16, v18
	v_min_u32_e32 v21, 32, v16
	v_subrev_u32_e32 v16, 28, v21
	v_bfe_u32 v20, v4, 3, 4
	v_lshlrev_b64 v[16:17], v16, v[4:5]
	v_sub_u32_e32 v17, 29, v21
	v_cmp_eq_u32_e64 s[4:5], 0, v20
	v_and_b32_e32 v16, 7, v16
	v_lshlrev_b32_e32 v4, 8, v4
	v_cndmask_b32_e64 v17, v20, v17, s[4:5]
	v_lshl_add_u32 v17, v17, 10, v38
	v_cndmask_b32_e64 v16, v18, v16, s[4:5]
	v_and_or_b32 v4, v4, s27, v17
	v_lshl_or_b32 v4, v16, 7, v4
	v_cvt_f32_f16_e32 v16, v4
.LBB254_169:                            ;   in Loop: Header=BB254_9 Depth=1
	s_or_b64 exec, exec, s[22:23]
	flat_load_ushort v4, v[28:29] offset:2560
	s_mov_b64 s[4:5], 0
                                        ; implicit-def: $sgpr24
	s_waitcnt vmcnt(0) lgkmcnt(0)
	v_cmp_gt_i16_sdwa s[20:21], v4, s17 src0_sel:BYTE_0 src1_sel:DWORD
	s_and_saveexec_b64 s[22:23], s[20:21]
	s_xor_b64 s[20:21], exec, s[22:23]
	s_cbranch_execnz .LBB254_367
; %bb.170:                              ;   in Loop: Header=BB254_9 Depth=1
	s_or_saveexec_b64 s[20:21], s[20:21]
	v_mov_b32_e32 v17, s24
	s_xor_b64 exec, exec, s[20:21]
	s_cbranch_execnz .LBB254_370
.LBB254_171:                            ;   in Loop: Header=BB254_9 Depth=1
	s_or_b64 exec, exec, s[20:21]
	v_and_b32_e32 v4, 0xffff, v4
	s_and_saveexec_b64 s[20:21], s[4:5]
	s_cbranch_execz .LBB254_173
.LBB254_172:                            ;   in Loop: Header=BB254_9 Depth=1
	v_and_b32_e32 v17, 7, v4
	v_ffbh_u32_e32 v20, v17
	v_min_u32_e32 v22, 32, v20
	v_subrev_u32_e32 v20, 28, v22
	v_bfe_u32 v18, v4, 3, 4
	v_lshlrev_b64 v[20:21], v20, v[4:5]
	v_sub_u32_e32 v21, 29, v22
	v_cmp_eq_u32_e64 s[4:5], 0, v18
	v_and_b32_e32 v20, 7, v20
	s_nop 0
	v_cndmask_b32_e64 v18, v18, v21, s[4:5]
	v_cndmask_b32_e64 v17, v17, v20, s[4:5]
	v_lshlrev_b32_e32 v20, 8, v4
	v_lshl_add_u32 v18, v18, 10, v38
	v_and_or_b32 v18, v20, s27, v18
	v_lshl_or_b32 v17, v17, 7, v18
	v_cvt_f32_f16_e32 v17, v17
.LBB254_173:                            ;   in Loop: Header=BB254_9 Depth=1
	s_or_b64 exec, exec, s[20:21]
	v_lshrrev_b16_e32 v4, 8, v4
	v_cmp_lt_i16_e64 s[4:5], s17, v4
	s_mov_b64 s[20:21], 0
                                        ; implicit-def: $sgpr28
	s_and_saveexec_b64 s[22:23], s[4:5]
	s_xor_b64 s[22:23], exec, s[22:23]
	s_cbranch_execnz .LBB254_371
; %bb.174:                              ;   in Loop: Header=BB254_9 Depth=1
	s_or_saveexec_b64 s[22:23], s[22:23]
	v_mov_b32_e32 v24, s28
	s_xor_b64 exec, exec, s[22:23]
	s_cbranch_execnz .LBB254_374
.LBB254_175:                            ;   in Loop: Header=BB254_9 Depth=1
	s_or_b64 exec, exec, s[22:23]
	s_and_saveexec_b64 s[22:23], s[20:21]
	s_cbranch_execz .LBB254_177
.LBB254_176:                            ;   in Loop: Header=BB254_9 Depth=1
	v_and_b32_e32 v18, 7, v4
	v_ffbh_u32_e32 v20, v18
	v_min_u32_e32 v23, 32, v20
	v_subrev_u32_e32 v20, 28, v23
	v_bfe_u32 v22, v4, 3, 4
	v_lshlrev_b64 v[20:21], v20, v[4:5]
	v_sub_u32_e32 v21, 29, v23
	v_cmp_eq_u32_e64 s[4:5], 0, v22
	v_and_b32_e32 v20, 7, v20
	v_lshlrev_b32_e32 v4, 8, v4
	v_cndmask_b32_e64 v21, v22, v21, s[4:5]
	v_cndmask_b32_e64 v18, v18, v20, s[4:5]
	v_lshl_add_u32 v20, v21, 10, v38
	v_and_or_b32 v4, v4, s27, v20
	v_lshl_or_b32 v4, v18, 7, v4
	v_cvt_f32_f16_e32 v24, v4
.LBB254_177:                            ;   in Loop: Header=BB254_9 Depth=1
	s_or_b64 exec, exec, s[22:23]
	flat_load_ushort v4, v[28:29] offset:2568
	s_mov_b64 s[4:5], 0
                                        ; implicit-def: $sgpr24
	s_waitcnt vmcnt(0) lgkmcnt(0)
	v_cmp_gt_i16_sdwa s[20:21], v4, s17 src0_sel:BYTE_0 src1_sel:DWORD
	s_and_saveexec_b64 s[22:23], s[20:21]
	s_xor_b64 s[20:21], exec, s[22:23]
	s_cbranch_execnz .LBB254_375
; %bb.178:                              ;   in Loop: Header=BB254_9 Depth=1
	s_or_saveexec_b64 s[20:21], s[20:21]
	v_mov_b32_e32 v25, s24
	s_xor_b64 exec, exec, s[20:21]
	s_cbranch_execnz .LBB254_378
.LBB254_179:                            ;   in Loop: Header=BB254_9 Depth=1
	s_or_b64 exec, exec, s[20:21]
	v_and_b32_e32 v4, 0xffff, v4
	s_and_saveexec_b64 s[20:21], s[4:5]
	s_cbranch_execz .LBB254_181
.LBB254_180:                            ;   in Loop: Header=BB254_9 Depth=1
	v_and_b32_e32 v18, 7, v4
	v_ffbh_u32_e32 v20, v18
	v_min_u32_e32 v23, 32, v20
	v_subrev_u32_e32 v20, 28, v23
	v_bfe_u32 v22, v4, 3, 4
	v_lshlrev_b64 v[20:21], v20, v[4:5]
	v_sub_u32_e32 v21, 29, v23
	v_cmp_eq_u32_e64 s[4:5], 0, v22
	v_and_b32_e32 v20, 7, v20
	s_nop 0
	v_cndmask_b32_e64 v21, v22, v21, s[4:5]
	v_cndmask_b32_e64 v18, v18, v20, s[4:5]
	v_lshlrev_b32_e32 v20, 8, v4
	v_lshl_add_u32 v21, v21, 10, v38
	v_and_or_b32 v20, v20, s27, v21
	v_lshl_or_b32 v18, v18, 7, v20
	v_cvt_f32_f16_e32 v25, v18
.LBB254_181:                            ;   in Loop: Header=BB254_9 Depth=1
	s_or_b64 exec, exec, s[20:21]
	v_lshrrev_b16_e32 v4, 8, v4
	v_cmp_lt_i16_e64 s[4:5], s17, v4
	s_mov_b64 s[20:21], 0
                                        ; implicit-def: $sgpr28
	s_and_saveexec_b64 s[22:23], s[4:5]
	s_xor_b64 s[22:23], exec, s[22:23]
	s_cbranch_execnz .LBB254_379
; %bb.182:                              ;   in Loop: Header=BB254_9 Depth=1
	s_or_saveexec_b64 s[22:23], s[22:23]
	v_mov_b32_e32 v34, s28
	s_xor_b64 exec, exec, s[22:23]
	s_cbranch_execnz .LBB254_382
.LBB254_183:                            ;   in Loop: Header=BB254_9 Depth=1
	s_or_b64 exec, exec, s[22:23]
	s_and_saveexec_b64 s[22:23], s[20:21]
	s_cbranch_execz .LBB254_185
.LBB254_184:                            ;   in Loop: Header=BB254_9 Depth=1
	v_and_b32_e32 v18, 7, v4
	v_ffbh_u32_e32 v20, v18
	v_min_u32_e32 v23, 32, v20
	v_subrev_u32_e32 v20, 28, v23
	v_bfe_u32 v22, v4, 3, 4
	v_lshlrev_b64 v[20:21], v20, v[4:5]
	v_sub_u32_e32 v21, 29, v23
	v_cmp_eq_u32_e64 s[4:5], 0, v22
	v_and_b32_e32 v20, 7, v20
	v_lshlrev_b32_e32 v4, 8, v4
	v_cndmask_b32_e64 v21, v22, v21, s[4:5]
	v_cndmask_b32_e64 v18, v18, v20, s[4:5]
	v_lshl_add_u32 v20, v21, 10, v38
	v_and_or_b32 v4, v4, s27, v20
	v_lshl_or_b32 v4, v18, 7, v4
	v_cvt_f32_f16_e32 v34, v4
.LBB254_185:                            ;   in Loop: Header=BB254_9 Depth=1
	s_or_b64 exec, exec, s[22:23]
	flat_load_ushort v4, v[28:29] offset:2816
	s_mov_b64 s[4:5], 0
                                        ; implicit-def: $sgpr24
	s_waitcnt vmcnt(0) lgkmcnt(0)
	v_cmp_gt_i16_sdwa s[20:21], v4, s17 src0_sel:BYTE_0 src1_sel:DWORD
	s_and_saveexec_b64 s[22:23], s[20:21]
	s_xor_b64 s[20:21], exec, s[22:23]
	s_cbranch_execnz .LBB254_383
; %bb.186:                              ;   in Loop: Header=BB254_9 Depth=1
	s_or_saveexec_b64 s[20:21], s[20:21]
	v_mov_b32_e32 v18, s24
	s_xor_b64 exec, exec, s[20:21]
	s_cbranch_execnz .LBB254_386
.LBB254_187:                            ;   in Loop: Header=BB254_9 Depth=1
	s_or_b64 exec, exec, s[20:21]
	v_and_b32_e32 v4, 0xffff, v4
	s_and_saveexec_b64 s[20:21], s[4:5]
	s_cbranch_execz .LBB254_189
.LBB254_188:                            ;   in Loop: Header=BB254_9 Depth=1
	v_and_b32_e32 v18, 7, v4
	v_ffbh_u32_e32 v20, v18
	v_min_u32_e32 v23, 32, v20
	v_subrev_u32_e32 v20, 28, v23
	v_bfe_u32 v22, v4, 3, 4
	v_lshlrev_b64 v[20:21], v20, v[4:5]
	v_sub_u32_e32 v21, 29, v23
	v_cmp_eq_u32_e64 s[4:5], 0, v22
	v_and_b32_e32 v20, 7, v20
	s_nop 0
	v_cndmask_b32_e64 v21, v22, v21, s[4:5]
	v_cndmask_b32_e64 v18, v18, v20, s[4:5]
	v_lshlrev_b32_e32 v20, 8, v4
	v_lshl_add_u32 v21, v21, 10, v38
	v_and_or_b32 v20, v20, s27, v21
	v_lshl_or_b32 v18, v18, 7, v20
	v_cvt_f32_f16_e32 v18, v18
.LBB254_189:                            ;   in Loop: Header=BB254_9 Depth=1
	s_or_b64 exec, exec, s[20:21]
	v_lshrrev_b16_e32 v4, 8, v4
	v_cmp_lt_i16_e64 s[4:5], s17, v4
	s_mov_b64 s[20:21], 0
                                        ; implicit-def: $sgpr28
	s_and_saveexec_b64 s[22:23], s[4:5]
	s_xor_b64 s[22:23], exec, s[22:23]
	s_cbranch_execnz .LBB254_387
; %bb.190:                              ;   in Loop: Header=BB254_9 Depth=1
	s_or_saveexec_b64 s[22:23], s[22:23]
	v_mov_b32_e32 v21, s28
	s_xor_b64 exec, exec, s[22:23]
	s_cbranch_execnz .LBB254_390
.LBB254_191:                            ;   in Loop: Header=BB254_9 Depth=1
	s_or_b64 exec, exec, s[22:23]
	s_and_saveexec_b64 s[22:23], s[20:21]
	s_cbranch_execz .LBB254_193
.LBB254_192:                            ;   in Loop: Header=BB254_9 Depth=1
	v_and_b32_e32 v22, 7, v4
	v_ffbh_u32_e32 v20, v22
	v_min_u32_e32 v32, 32, v20
	v_subrev_u32_e32 v20, 28, v32
	v_bfe_u32 v23, v4, 3, 4
	v_lshlrev_b64 v[20:21], v20, v[4:5]
	v_sub_u32_e32 v21, 29, v32
	v_cmp_eq_u32_e64 s[4:5], 0, v23
	v_and_b32_e32 v20, 7, v20
	v_lshlrev_b32_e32 v4, 8, v4
	v_cndmask_b32_e64 v21, v23, v21, s[4:5]
	v_lshl_add_u32 v21, v21, 10, v38
	v_cndmask_b32_e64 v20, v22, v20, s[4:5]
	v_and_or_b32 v4, v4, s27, v21
	v_lshl_or_b32 v4, v20, 7, v4
	v_cvt_f32_f16_e32 v21, v4
.LBB254_193:                            ;   in Loop: Header=BB254_9 Depth=1
	s_or_b64 exec, exec, s[22:23]
	flat_load_ushort v4, v[28:29] offset:2824
	s_mov_b64 s[4:5], 0
                                        ; implicit-def: $sgpr24
	s_waitcnt vmcnt(0) lgkmcnt(0)
	v_cmp_gt_i16_sdwa s[20:21], v4, s17 src0_sel:BYTE_0 src1_sel:DWORD
	s_and_saveexec_b64 s[22:23], s[20:21]
	s_xor_b64 s[20:21], exec, s[22:23]
	s_cbranch_execnz .LBB254_391
; %bb.194:                              ;   in Loop: Header=BB254_9 Depth=1
	s_or_saveexec_b64 s[20:21], s[20:21]
	v_mov_b32_e32 v28, s24
	s_xor_b64 exec, exec, s[20:21]
	s_cbranch_execnz .LBB254_394
.LBB254_195:                            ;   in Loop: Header=BB254_9 Depth=1
	s_or_b64 exec, exec, s[20:21]
	v_and_b32_e32 v4, 0xffff, v4
	s_and_saveexec_b64 s[20:21], s[4:5]
	s_cbranch_execz .LBB254_197
.LBB254_196:                            ;   in Loop: Header=BB254_9 Depth=1
	v_and_b32_e32 v20, 7, v4
	v_ffbh_u32_e32 v22, v20
	v_min_u32_e32 v29, 32, v22
	v_subrev_u32_e32 v22, 28, v29
	v_bfe_u32 v28, v4, 3, 4
	v_lshlrev_b64 v[22:23], v22, v[4:5]
	v_sub_u32_e32 v23, 29, v29
	v_cmp_eq_u32_e64 s[4:5], 0, v28
	v_and_b32_e32 v22, 7, v22
	s_nop 0
	v_cndmask_b32_e64 v23, v28, v23, s[4:5]
	v_cndmask_b32_e64 v20, v20, v22, s[4:5]
	v_lshlrev_b32_e32 v22, 8, v4
	v_lshl_add_u32 v23, v23, 10, v38
	v_and_or_b32 v22, v22, s27, v23
	v_lshl_or_b32 v20, v20, 7, v22
	v_cvt_f32_f16_e32 v28, v20
.LBB254_197:                            ;   in Loop: Header=BB254_9 Depth=1
	s_or_b64 exec, exec, s[20:21]
	v_lshrrev_b16_e32 v4, 8, v4
	v_cmp_lt_i16_e64 s[4:5], s17, v4
	s_mov_b64 s[20:21], 0
                                        ; implicit-def: $sgpr28
	s_and_saveexec_b64 s[22:23], s[4:5]
	s_xor_b64 s[22:23], exec, s[22:23]
	s_cbranch_execz .LBB254_201
; %bb.198:                              ;   in Loop: Header=BB254_9 Depth=1
	v_cmp_eq_u16_e64 s[4:5], s26, v4
	s_mov_b64 s[20:21], -1
                                        ; implicit-def: $sgpr28
	s_and_saveexec_b64 s[24:25], s[4:5]
; %bb.199:                              ;   in Loop: Header=BB254_9 Depth=1
	s_mov_b32 s28, 0x7fc02000
	s_xor_b64 s[20:21], exec, -1
; %bb.200:                              ;   in Loop: Header=BB254_9 Depth=1
	s_or_b64 exec, exec, s[24:25]
	s_and_b64 s[20:21], s[20:21], exec
.LBB254_201:                            ;   in Loop: Header=BB254_9 Depth=1
	s_or_saveexec_b64 s[22:23], s[22:23]
	v_mov_b32_e32 v20, s28
	s_xor_b64 exec, exec, s[22:23]
; %bb.202:                              ;   in Loop: Header=BB254_9 Depth=1
	v_cmp_ne_u16_e64 s[4:5], 0, v4
	s_andn2_b64 s[20:21], s[20:21], exec
	s_and_b64 s[4:5], s[4:5], exec
	v_mov_b32_e32 v20, 0
	s_or_b64 s[20:21], s[20:21], s[4:5]
; %bb.203:                              ;   in Loop: Header=BB254_9 Depth=1
	s_or_b64 exec, exec, s[22:23]
	v_accvgpr_write_b32 a38, v1
	v_accvgpr_write_b32 a37, v0
	;; [unrolled: 1-line block ×3, first 2 shown]
	v_mov_b32_e32 v3, v41
	v_mov_b32_e32 v2, v55
	;; [unrolled: 1-line block ×4, first 2 shown]
	s_and_saveexec_b64 s[22:23], s[20:21]
	s_cbranch_execz .LBB254_205
; %bb.204:                              ;   in Loop: Header=BB254_9 Depth=1
	v_and_b32_e32 v20, 7, v4
	v_ffbh_u32_e32 v22, v20
	v_min_u32_e32 v32, 32, v22
	v_subrev_u32_e32 v22, 28, v32
	v_bfe_u32 v29, v4, 3, 4
	v_lshlrev_b64 v[22:23], v22, v[4:5]
	v_sub_u32_e32 v23, 29, v32
	v_cmp_eq_u32_e64 s[4:5], 0, v29
	v_and_b32_e32 v22, 7, v22
	v_lshlrev_b32_e32 v4, 8, v4
	v_cndmask_b32_e64 v23, v29, v23, s[4:5]
	v_cndmask_b32_e64 v20, v20, v22, s[4:5]
	v_lshl_add_u32 v22, v23, 10, v38
	v_and_or_b32 v4, v4, s27, v22
	v_lshl_or_b32 v4, v20, 7, v4
	v_cvt_f32_f16_e32 v20, v4
.LBB254_205:                            ;   in Loop: Header=BB254_9 Depth=1
	s_or_b64 exec, exec, s[22:23]
	ds_read_b32 v4, v19
	v_fma_mixlo_f16 v22, v48, v49, 0
	v_fma_mixlo_f16 v23, v48, v50, 0
	;; [unrolled: 1-line block ×4, first 2 shown]
	s_waitcnt lgkmcnt(0)
	v_lshrrev_b32_e32 v29, 16, v4
	v_and_b32_e32 v4, 0xffff, v4
	;;#ASMSTART
	v_cvt_f32_f16 v32, v4;
	;;#ASMEND
	v_and_b32_e32 v4, 0xffff, v22
	;;#ASMSTART
	v_cvt_f32_f16 v50, v29;
	;;#ASMEND
	;;#ASMSTART
	v_cvt_f32_f16 v22, v4;
	;;#ASMEND
	v_and_b32_e32 v4, 0xffff, v23
	;;#ASMSTART
	v_cvt_f32_f16 v23, v4;
	;;#ASMEND
	ds_read_b32 v49, v19 offset:4
	v_fma_mixlo_f16 v29, v48, v18, 0
	v_fma_mixlo_f16 v18, v48, v51, 0
	;; [unrolled: 1-line block ×4, first 2 shown]
	s_waitcnt lgkmcnt(0)
	v_lshrrev_b32_e32 v51, 16, v49
	v_and_b32_e32 v49, 0xffff, v49
	v_and_b32_e32 v18, 0xffff, v18
	;;#ASMSTART
	v_cvt_f32_f16 v49, v49;
	;;#ASMEND
	;;#ASMSTART
	v_cvt_f32_f16 v51, v51;
	;;#ASMEND
	;; [unrolled: 3-line block ×3, first 2 shown]
	v_and_b32_e32 v18, 0xffff, v21
	;;#ASMSTART
	v_cvt_f32_f16 v53, v18;
	;;#ASMEND
	ds_read_b32 v54, v19 offset:8
	v_fma_mixlo_f16 v21, v48, v25, 0
	v_fma_mixlo_f16 v25, v48, v12, 0
	v_fma_mixlo_f16 v18, v48, v34, 0
	v_fma_mixlo_f16 v34, v48, v26, 0
	v_and_b32_e32 v25, 0xffff, v25
	s_waitcnt lgkmcnt(0)
	v_lshrrev_b32_e32 v55, 16, v54
	v_and_b32_e32 v54, 0xffff, v54
	;;#ASMSTART
	v_cvt_f32_f16 v41, v54;
	;;#ASMEND
	;;#ASMSTART
	v_cvt_f32_f16 v44, v55;
	;;#ASMEND
	;; [unrolled: 3-line block ×3, first 2 shown]
	v_and_b32_e32 v25, 0xffff, v34
	;;#ASMSTART
	v_cvt_f32_f16 v45, v25;
	;;#ASMEND
	ds_read_b32 v34, v19 offset:12
	v_fma_mixlo_f16 v25, v48, v17, 0
	v_fma_mixlo_f16 v17, v48, v27, 0
	v_fma_mixlo_f16 v54, v48, v30, 0
	v_and_b32_e32 v17, 0xffff, v17
	s_waitcnt lgkmcnt(0)
	v_lshrrev_b32_e32 v55, 16, v34
	v_and_b32_e32 v34, 0xffff, v34
	;;#ASMSTART
	v_cvt_f32_f16 v46, v34;
	;;#ASMEND
	;;#ASMSTART
	v_cvt_f32_f16 v56, v55;
	;;#ASMEND
	;; [unrolled: 3-line block ×3, first 2 shown]
	v_and_b32_e32 v17, 0xffff, v54
	;;#ASMSTART
	v_cvt_f32_f16 v58, v17;
	;;#ASMEND
	ds_read_b32 v34, v19 offset:16
	v_mul_f32_e32 v17, v49, v52
	v_fma_mixlo_f16 v54, v48, v31, 0
	v_fmac_f32_e32 v17, v32, v22
	v_fma_mixlo_f16 v55, v48, v36, 0
	s_waitcnt lgkmcnt(0)
	v_lshrrev_b32_e32 v22, 16, v34
	v_and_b32_e32 v32, 0xffff, v34
	;;#ASMSTART
	v_cvt_f32_f16 v59, v32;
	;;#ASMEND
	;;#ASMSTART
	v_cvt_f32_f16 v32, v22;
	;;#ASMEND
	v_and_b32_e32 v22, 0xffff, v54
	;;#ASMSTART
	v_cvt_f32_f16 v60, v22;
	;;#ASMEND
	v_and_b32_e32 v22, 0xffff, v55
	;;#ASMSTART
	v_cvt_f32_f16 v61, v22;
	;;#ASMEND
	ds_read_b32 v22, v19 offset:20
	v_fma_mixlo_f16 v52, v48, v37, 0
	v_fma_mixlo_f16 v54, v48, v43, 0
	;; [unrolled: 1-line block ×3, first 2 shown]
	v_mul_f32_e32 v9, v51, v53
	s_waitcnt lgkmcnt(0)
	v_lshrrev_b32_e32 v49, 16, v22
	v_and_b32_e32 v22, 0xffff, v22
	;;#ASMSTART
	v_cvt_f32_f16 v43, v22;
	;;#ASMEND
	v_and_b32_e32 v22, 0xffff, v52
	v_and_b32_e32 v51, 0xffff, v54
	;;#ASMSTART
	v_cvt_f32_f16 v49, v49;
	;;#ASMEND
	;;#ASMSTART
	v_cvt_f32_f16 v22, v22;
	;;#ASMEND
	;; [unrolled: 3-line block ×3, first 2 shown]
	ds_read_b32 v51, v19 offset:24
	v_fma_mixlo_f16 v52, v48, v47, 0
	v_fmac_f32_e32 v9, v50, v23
	v_fma_mixlo_f16 v53, v48, v40, 0
	v_fma_mixlo_f16 v47, v48, v62, 0
	s_waitcnt lgkmcnt(0)
	v_lshrrev_b32_e32 v23, 16, v51
	v_and_b32_e32 v50, 0xffff, v51
	;;#ASMSTART
	v_cvt_f32_f16 v50, v50;
	;;#ASMEND
	;;#ASMSTART
	v_cvt_f32_f16 v51, v23;
	;;#ASMEND
	v_and_b32_e32 v23, 0xffff, v52
	;;#ASMSTART
	v_cvt_f32_f16 v54, v23;
	;;#ASMEND
	v_and_b32_e32 v23, 0xffff, v53
	;;#ASMSTART
	v_cvt_f32_f16 v40, v23;
	;;#ASMEND
	ds_read_b32 v23, v19 offset:28
	v_fma_mixlo_f16 v62, v48, v63, 0
	v_fmac_f32_e32 v17, v41, v42
	v_fmac_f32_e32 v9, v44, v45
	v_fma_mixlo_f16 v31, v48, v1, 0
	s_waitcnt lgkmcnt(0)
	v_lshrrev_b32_e32 v53, 16, v23
	v_and_b32_e32 v23, 0xffff, v23
	;;#ASMSTART
	v_cvt_f32_f16 v52, v23;
	;;#ASMEND
	v_and_b32_e32 v23, 0xffff, v47
	;;#ASMSTART
	v_cvt_f32_f16 v53, v53;
	;;#ASMEND
	;;#ASMSTART
	v_cvt_f32_f16 v41, v23;
	;;#ASMEND
	v_and_b32_e32 v23, 0xffff, v62
	;;#ASMSTART
	v_cvt_f32_f16 v42, v23;
	;;#ASMEND
	ds_read_b32 v23, v19 offset:32
	v_fma_mixlo_f16 v47, v48, v0, 0
	v_accvgpr_read_b32 v0, a31
	v_fma_mixlo_f16 v62, v48, v0, 0
	v_and_b32_e32 v45, 0xffff, v47
	s_waitcnt lgkmcnt(0)
	v_lshrrev_b32_e32 v44, 16, v23
	v_and_b32_e32 v23, 0xffff, v23
	;;#ASMSTART
	v_cvt_f32_f16 v23, v23;
	;;#ASMEND
	;;#ASMSTART
	v_cvt_f32_f16 v44, v44;
	;;#ASMEND
	;;#ASMSTART
	v_cvt_f32_f16 v47, v45;
	;;#ASMEND
	v_and_b32_e32 v45, 0xffff, v62
	;;#ASMSTART
	v_cvt_f32_f16 v62, v45;
	;;#ASMEND
	ds_read_b32 v45, v19 offset:36
	v_accvgpr_read_b32 v0, a32
	v_fma_mixlo_f16 v63, v48, v0, 0
	v_fmac_f32_e32 v17, v46, v57
	v_and_b32_e32 v31, 0xffff, v31
	s_waitcnt lgkmcnt(0)
	v_lshrrev_b32_e32 v46, 16, v45
	v_and_b32_e32 v45, 0xffff, v45
	v_and_b32_e32 v57, 0xffff, v63
	;;#ASMSTART
	v_cvt_f32_f16 v45, v45;
	;;#ASMEND
	;;#ASMSTART
	v_cvt_f32_f16 v46, v46;
	;;#ASMEND
	;; [unrolled: 3-line block ×4, first 2 shown]
	ds_read_b32 v63, v19 offset:40
	v_accvgpr_read_b32 v0, a33
	v_fma_mixlo_f16 v12, v48, v2, 0
	v_fma_mixlo_f16 v30, v48, v0, 0
	v_fmac_f32_e32 v9, v56, v58
	s_waitcnt lgkmcnt(0)
	v_lshrrev_b32_e32 v56, 16, v63
	v_and_b32_e32 v58, 0xffff, v63
	v_and_b32_e32 v12, 0xffff, v12
	v_and_b32_e32 v30, 0xffff, v30
	;;#ASMSTART
	v_cvt_f32_f16 v58, v58;
	;;#ASMEND
	;;#ASMSTART
	v_cvt_f32_f16 v56, v56;
	;;#ASMEND
	;; [unrolled: 3-line block ×4, first 2 shown]
	ds_read_b32 v63, v19 offset:44
	v_accvgpr_read_b32 v0, a34
	v_fma_mixlo_f16 v2, v48, v3, 0
	v_fma_mixlo_f16 v3, v48, v0, 0
	v_fmac_f32_e32 v17, v59, v60
	s_waitcnt lgkmcnt(0)
	v_lshrrev_b32_e32 v59, 16, v63
	v_and_b32_e32 v60, 0xffff, v63
	v_and_b32_e32 v2, 0xffff, v2
	;; [unrolled: 1-line block ×3, first 2 shown]
	;;#ASMSTART
	v_cvt_f32_f16 v60, v60;
	;;#ASMEND
	;;#ASMSTART
	v_cvt_f32_f16 v59, v59;
	;;#ASMEND
	;;#ASMSTART
	v_cvt_f32_f16 v2, v2;
	;;#ASMEND
	;;#ASMSTART
	v_cvt_f32_f16 v3, v3;
	;;#ASMEND
	ds_read_b32 v63, v19 offset:48
	v_accvgpr_read_b32 v0, a35
	v_fma_mixlo_f16 v37, v48, v0, 0
	v_accvgpr_read_b32 v0, a36
	v_fma_mixlo_f16 v0, v48, v0, 0
	v_fmac_f32_e32 v9, v32, v61
	s_waitcnt lgkmcnt(0)
	v_lshrrev_b32_e32 v32, 16, v63
	v_and_b32_e32 v61, 0xffff, v63
	v_and_b32_e32 v37, 0xffff, v37
	;; [unrolled: 1-line block ×3, first 2 shown]
	;;#ASMSTART
	v_cvt_f32_f16 v61, v61;
	;;#ASMEND
	;;#ASMSTART
	v_cvt_f32_f16 v32, v32;
	;;#ASMEND
	;; [unrolled: 3-line block ×4, first 2 shown]
	ds_read_b32 v0, v19 offset:52
	v_accvgpr_read_b32 v1, a37
	v_fma_mixlo_f16 v1, v48, v1, 0
	v_accvgpr_read_b32 v26, a38
	v_fmac_f32_e32 v17, v43, v22
	s_waitcnt lgkmcnt(0)
	v_lshrrev_b32_e32 v22, 16, v0
	v_and_b32_e32 v0, 0xffff, v0
	v_fma_mixlo_f16 v26, v48, v26, 0
	;;#ASMSTART
	v_cvt_f32_f16 v27, v0;
	;;#ASMEND
	v_and_b32_e32 v0, 0xffff, v1
	;;#ASMSTART
	v_cvt_f32_f16 v22, v22;
	;;#ASMEND
	;;#ASMSTART
	v_cvt_f32_f16 v43, v0;
	;;#ASMEND
	v_and_b32_e32 v0, 0xffff, v26
	;;#ASMSTART
	v_cvt_f32_f16 v26, v0;
	;;#ASMEND
	ds_read_b32 v0, v19 offset:56
	v_fma_mixlo_f16 v1, v48, v14, 0
	v_fma_mixlo_f16 v14, v48, v15, 0
	v_fmac_f32_e32 v9, v49, v55
	v_and_b32_e32 v6, 0xffff, v6
	s_waitcnt lgkmcnt(0)
	v_lshrrev_b32_e32 v15, 16, v0
	v_and_b32_e32 v0, 0xffff, v0
	;;#ASMSTART
	v_cvt_f32_f16 v49, v0;
	;;#ASMEND
	v_and_b32_e32 v0, 0xffff, v1
	;;#ASMSTART
	v_cvt_f32_f16 v15, v15;
	;;#ASMEND
	;;#ASMSTART
	v_cvt_f32_f16 v55, v0;
	;;#ASMEND
	v_and_b32_e32 v0, 0xffff, v14
	;;#ASMSTART
	v_cvt_f32_f16 v14, v0;
	;;#ASMEND
	ds_read_b32 v36, v19 offset:60
	v_fma_mixlo_f16 v1, v48, v28, 0
	v_fma_mixlo_f16 v0, v48, v20, 0
	v_and_b32_e32 v7, 0xffff, v7
	v_fmac_f32_e32 v17, v50, v54
	s_waitcnt lgkmcnt(0)
	v_lshrrev_b32_e32 v20, 16, v36
	v_and_b32_e32 v28, 0xffff, v36
	;;#ASMSTART
	v_cvt_f32_f16 v28, v28;
	;;#ASMEND
	;;#ASMSTART
	v_cvt_f32_f16 v20, v20;
	;;#ASMEND
	;; [unrolled: 3-line block ×4, first 2 shown]
	ds_read_b32 v36, v19 offset:64
	v_fma_mixlo_f16 v10, v48, v10, 0
	v_fma_mixlo_f16 v11, v48, v11, 0
	v_fmac_f32_e32 v17, v52, v41
	v_fmac_f32_e32 v17, v23, v47
	s_waitcnt lgkmcnt(0)
	v_lshrrev_b32_e32 v23, 16, v36
	v_and_b32_e32 v36, 0xffff, v36
	v_and_b32_e32 v10, 0xffff, v10
	v_and_b32_e32 v11, 0xffff, v11
	v_fma_mixlo_f16 v24, v48, v24, 0
	v_fma_mixlo_f16 v16, v48, v16, 0
	;; [unrolled: 1-line block ×6, first 2 shown]
	;;#ASMSTART
	v_cvt_f32_f16 v36, v36;
	;;#ASMEND
	;;#ASMSTART
	v_cvt_f32_f16 v23, v23;
	;;#ASMEND
	;; [unrolled: 3-line block ×4, first 2 shown]
	ds_read_b32 v48, v19 offset:68
	v_fmac_f32_e32 v9, v51, v40
	v_fmac_f32_e32 v9, v53, v42
	;; [unrolled: 1-line block ×7, first 2 shown]
	s_waitcnt lgkmcnt(0)
	v_lshrrev_b32_e32 v12, 16, v48
	v_and_b32_e32 v30, 0xffff, v48
	v_and_b32_e32 v8, 0xffff, v8
	v_and_b32_e32 v31, 0xffff, v35
	;;#ASMSTART
	v_cvt_f32_f16 v30, v30;
	;;#ASMEND
	;;#ASMSTART
	v_cvt_f32_f16 v12, v12;
	;;#ASMEND
	;; [unrolled: 3-line block ×4, first 2 shown]
	ds_read_b32 v35, v19 offset:72
	v_fmac_f32_e32 v9, v59, v3
	v_fmac_f32_e32 v17, v60, v2
	;; [unrolled: 1-line block ×3, first 2 shown]
	v_and_b32_e32 v13, 0xffff, v13
	s_waitcnt lgkmcnt(0)
	v_lshrrev_b32_e32 v2, 16, v35
	v_and_b32_e32 v3, 0xffff, v35
	v_and_b32_e32 v32, 0xffff, v33
	;;#ASMSTART
	v_cvt_f32_f16 v3, v3;
	;;#ASMEND
	;;#ASMSTART
	v_cvt_f32_f16 v2, v2;
	;;#ASMEND
	;; [unrolled: 3-line block ×4, first 2 shown]
	ds_read_b32 v33, v19 offset:76
	v_fmac_f32_e32 v9, v22, v26
	v_fmac_f32_e32 v9, v15, v14
	v_and_b32_e32 v22, 0xffff, v34
	v_and_b32_e32 v16, 0xffff, v16
	s_waitcnt lgkmcnt(0)
	v_lshrrev_b32_e32 v14, 16, v33
	v_and_b32_e32 v15, 0xffff, v33
	;;#ASMSTART
	v_cvt_f32_f16 v15, v15;
	;;#ASMEND
	;;#ASMSTART
	v_cvt_f32_f16 v14, v14;
	;;#ASMEND
	;; [unrolled: 3-line block ×4, first 2 shown]
	ds_read_b32 v26, v19 offset:80
	v_fmac_f32_e32 v17, v61, v37
	v_fmac_f32_e32 v17, v27, v43
	;; [unrolled: 1-line block ×7, first 2 shown]
	s_waitcnt lgkmcnt(0)
	v_lshrrev_b32_e32 v6, 16, v26
	v_and_b32_e32 v7, 0xffff, v26
	v_and_b32_e32 v10, 0xffff, v25
	;; [unrolled: 1-line block ×3, first 2 shown]
	;;#ASMSTART
	v_cvt_f32_f16 v7, v7;
	;;#ASMEND
	;;#ASMSTART
	v_cvt_f32_f16 v6, v6;
	;;#ASMEND
	;; [unrolled: 3-line block ×4, first 2 shown]
	ds_read_b32 v20, v19 offset:84
	v_fmac_f32_e32 v17, v30, v8
	v_fmac_f32_e32 v9, v12, v31
	;; [unrolled: 1-line block ×4, first 2 shown]
	s_waitcnt lgkmcnt(0)
	v_lshrrev_b32_e32 v2, 16, v20
	v_and_b32_e32 v3, 0xffff, v20
	v_and_b32_e32 v8, 0xffff, v21
	;; [unrolled: 1-line block ×3, first 2 shown]
	;;#ASMSTART
	v_cvt_f32_f16 v3, v3;
	;;#ASMEND
	;;#ASMSTART
	v_cvt_f32_f16 v2, v2;
	;;#ASMEND
	;; [unrolled: 3-line block ×4, first 2 shown]
	ds_read_b32 v13, v19 offset:88
	v_fmac_f32_e32 v17, v15, v22
	v_fmac_f32_e32 v9, v14, v16
	;; [unrolled: 1-line block ×4, first 2 shown]
	s_waitcnt lgkmcnt(0)
	v_lshrrev_b32_e32 v6, 16, v13
	v_and_b32_e32 v7, 0xffff, v13
	v_and_b32_e32 v10, 0xffff, v29
	;; [unrolled: 1-line block ×3, first 2 shown]
	;;#ASMSTART
	v_cvt_f32_f16 v7, v7;
	;;#ASMEND
	;;#ASMSTART
	v_cvt_f32_f16 v6, v6;
	;;#ASMEND
	;; [unrolled: 3-line block ×4, first 2 shown]
	ds_read_b32 v11, v19 offset:92
	v_fmac_f32_e32 v17, v3, v8
	v_fmac_f32_e32 v9, v2, v12
	;; [unrolled: 1-line block ×3, first 2 shown]
	v_and_b32_e32 v1, 0xffff, v1
	s_waitcnt lgkmcnt(0)
	v_and_b32_e32 v3, 0xffff, v11
	v_lshrrev_b32_e32 v2, 16, v11
	;;#ASMSTART
	v_cvt_f32_f16 v3, v3;
	;;#ASMEND
	;;#ASMSTART
	v_cvt_f32_f16 v2, v2;
	;;#ASMEND
	;; [unrolled: 3-line block ×3, first 2 shown]
	v_fmac_f32_e32 v9, v6, v4
	v_fmac_f32_e32 v17, v3, v1
	v_accvgpr_read_b32 v3, a21
	v_and_b32_e32 v0, 0xffff, v0
	v_and_b32_e32 v1, 64, v3
	;;#ASMSTART
	v_cvt_f32_f16 v0, v0;
	;;#ASMEND
	v_add_u32_e32 v1, 64, v1
	v_fmac_f32_e32 v9, v2, v0
	v_xor_b32_e32 v2, 2, v3
	v_cmp_lt_i32_e64 s[4:5], v2, v1
	v_add_f32_e32 v0, v17, v9
	s_nop 0
	v_cndmask_b32_e64 v2, v3, v2, s[4:5]
	v_lshlrev_b32_e32 v2, 2, v2
	ds_bpermute_b32 v2, v2, v0
	s_waitcnt lgkmcnt(0)
	v_add_f32_e32 v0, v0, v2
	v_xor_b32_e32 v2, 1, v3
	v_cmp_lt_i32_e64 s[4:5], v2, v1
	s_nop 1
	v_cndmask_b32_e64 v2, v3, v2, s[4:5]
	v_lshlrev_b32_e32 v2, 2, v2
	ds_bpermute_b32 v2, v2, v0
	s_and_saveexec_b64 s[20:21], vcc
	s_cbranch_execz .LBB254_8
; %bb.206:                              ;   in Loop: Header=BB254_9 Depth=1
	s_waitcnt lgkmcnt(0)
	v_add_f32_e32 v0, v0, v2
	scratch_load_dword v2, off, s32 offset:96 ; 4-byte Folded Reload
	v_accvgpr_read_b32 v3, a28
	v_accvgpr_read_b32 v6, a29
	v_add_u32_e32 v3, v3, v6
	v_cvt_f32_i32_e32 v3, v3
	s_load_dword s4, s[8:9], 0x0
	v_accvgpr_read_b32 v4, a20
	s_waitcnt vmcnt(0)
	v_mul_f32_e32 v2, v2, v3
	v_cndmask_b32_e64 v2, 0, v2, s[2:3]
	v_accvgpr_read_b32 v3, a30
	v_fmac_f32_e32 v2, v0, v4
	v_accvgpr_read_b32 v0, a8
	s_waitcnt lgkmcnt(0)
	v_add_u32_e32 v3, s4, v3
	v_cmp_lt_i32_e64 s[4:5], v6, v0
	s_nop 1
	v_cndmask_b32_e64 v0, 0, v2, s[4:5]
	ds_write_b32 v3, v0
	scratch_load_dword v3, off, s32 offset:92 ; 4-byte Folded Reload
	s_waitcnt vmcnt(0)
	v_max_f32_e32 v0, v3, v3
	v_max_f32_e32 v0, v0, v2
	v_cndmask_b32_e64 v3, v3, v0, s[4:5]
	scratch_store_dword off, v3, s32 offset:92 ; 4-byte Folded Spill
	s_branch .LBB254_8
.LBB254_207:                            ;   in Loop: Header=BB254_9 Depth=1
	v_cmp_eq_u16_sdwa s[28:29], v0, s26 src0_sel:BYTE_0 src1_sel:DWORD
	s_mov_b64 s[4:5], -1
                                        ; implicit-def: $sgpr24
	s_and_saveexec_b64 s[22:23], s[28:29]
; %bb.208:                              ;   in Loop: Header=BB254_9 Depth=1
	s_mov_b32 s24, 0x7fc02000
	s_xor_b64 s[4:5], exec, -1
; %bb.209:                              ;   in Loop: Header=BB254_9 Depth=1
	s_or_b64 exec, exec, s[22:23]
	s_and_b64 s[4:5], s[4:5], exec
	s_or_saveexec_b64 s[20:21], s[20:21]
	v_mov_b32_e32 v49, s24
	s_xor_b64 exec, exec, s[20:21]
	s_cbranch_execz .LBB254_11
.LBB254_210:                            ;   in Loop: Header=BB254_9 Depth=1
	v_cmp_ne_u16_sdwa s[22:23], v0, v5 src0_sel:BYTE_0 src1_sel:DWORD
	s_andn2_b64 s[4:5], s[4:5], exec
	s_and_b64 s[22:23], s[22:23], exec
	v_mov_b32_e32 v49, 0
	s_or_b64 s[4:5], s[4:5], s[22:23]
	s_or_b64 exec, exec, s[20:21]
	v_and_b32_e32 v4, 0xffff, v0
	s_and_saveexec_b64 s[20:21], s[4:5]
	s_cbranch_execnz .LBB254_12
	s_branch .LBB254_13
.LBB254_211:                            ;   in Loop: Header=BB254_9 Depth=1
	v_cmp_eq_u16_e64 s[4:5], s26, v4
	s_mov_b64 s[20:21], -1
                                        ; implicit-def: $sgpr28
	s_and_saveexec_b64 s[24:25], s[4:5]
; %bb.212:                              ;   in Loop: Header=BB254_9 Depth=1
	s_mov_b32 s28, 0x7fc02000
	s_xor_b64 s[20:21], exec, -1
; %bb.213:                              ;   in Loop: Header=BB254_9 Depth=1
	s_or_b64 exec, exec, s[24:25]
	s_and_b64 s[20:21], s[20:21], exec
	s_or_saveexec_b64 s[22:23], s[22:23]
	v_mov_b32_e32 v50, s28
	s_xor_b64 exec, exec, s[22:23]
	s_cbranch_execz .LBB254_15
.LBB254_214:                            ;   in Loop: Header=BB254_9 Depth=1
	v_cmp_ne_u16_e64 s[4:5], 0, v4
	s_andn2_b64 s[20:21], s[20:21], exec
	s_and_b64 s[4:5], s[4:5], exec
	v_mov_b32_e32 v50, 0
	s_or_b64 s[20:21], s[20:21], s[4:5]
	s_or_b64 exec, exec, s[22:23]
	s_and_saveexec_b64 s[22:23], s[20:21]
	s_cbranch_execnz .LBB254_16
	s_branch .LBB254_17
.LBB254_215:                            ;   in Loop: Header=BB254_9 Depth=1
	v_cmp_eq_u16_sdwa s[28:29], v0, s26 src0_sel:BYTE_0 src1_sel:DWORD
	s_mov_b64 s[4:5], -1
                                        ; implicit-def: $sgpr24
	s_and_saveexec_b64 s[22:23], s[28:29]
; %bb.216:                              ;   in Loop: Header=BB254_9 Depth=1
	s_mov_b32 s24, 0x7fc02000
	s_xor_b64 s[4:5], exec, -1
; %bb.217:                              ;   in Loop: Header=BB254_9 Depth=1
	s_or_b64 exec, exec, s[22:23]
	s_and_b64 s[4:5], s[4:5], exec
	s_or_saveexec_b64 s[20:21], s[20:21]
	v_mov_b32_e32 v51, s24
	s_xor_b64 exec, exec, s[20:21]
	s_cbranch_execz .LBB254_19
.LBB254_218:                            ;   in Loop: Header=BB254_9 Depth=1
	v_cmp_ne_u16_sdwa s[22:23], v0, v5 src0_sel:BYTE_0 src1_sel:DWORD
	s_andn2_b64 s[4:5], s[4:5], exec
	s_and_b64 s[22:23], s[22:23], exec
	v_mov_b32_e32 v51, 0
	s_or_b64 s[4:5], s[4:5], s[22:23]
	s_or_b64 exec, exec, s[20:21]
	v_and_b32_e32 v4, 0xffff, v0
	s_and_saveexec_b64 s[20:21], s[4:5]
	s_cbranch_execnz .LBB254_20
	s_branch .LBB254_21
.LBB254_219:                            ;   in Loop: Header=BB254_9 Depth=1
	v_cmp_eq_u16_e64 s[4:5], s26, v4
	s_mov_b64 s[20:21], -1
                                        ; implicit-def: $sgpr28
	s_and_saveexec_b64 s[24:25], s[4:5]
; %bb.220:                              ;   in Loop: Header=BB254_9 Depth=1
	s_mov_b32 s28, 0x7fc02000
	s_xor_b64 s[20:21], exec, -1
; %bb.221:                              ;   in Loop: Header=BB254_9 Depth=1
	s_or_b64 exec, exec, s[24:25]
	s_and_b64 s[20:21], s[20:21], exec
	s_or_saveexec_b64 s[22:23], s[22:23]
	v_mov_b32_e32 v52, s28
	s_xor_b64 exec, exec, s[22:23]
	s_cbranch_execz .LBB254_23
.LBB254_222:                            ;   in Loop: Header=BB254_9 Depth=1
	v_cmp_ne_u16_e64 s[4:5], 0, v4
	s_andn2_b64 s[20:21], s[20:21], exec
	s_and_b64 s[4:5], s[4:5], exec
	v_mov_b32_e32 v52, 0
	s_or_b64 s[20:21], s[20:21], s[4:5]
	s_or_b64 exec, exec, s[22:23]
	s_and_saveexec_b64 s[22:23], s[20:21]
	s_cbranch_execnz .LBB254_24
	s_branch .LBB254_25
.LBB254_223:                            ;   in Loop: Header=BB254_9 Depth=1
	v_cmp_eq_u16_sdwa s[28:29], v0, s26 src0_sel:BYTE_0 src1_sel:DWORD
	s_mov_b64 s[4:5], -1
                                        ; implicit-def: $sgpr24
	s_and_saveexec_b64 s[22:23], s[28:29]
; %bb.224:                              ;   in Loop: Header=BB254_9 Depth=1
	s_mov_b32 s24, 0x7fc02000
	s_xor_b64 s[4:5], exec, -1
; %bb.225:                              ;   in Loop: Header=BB254_9 Depth=1
	s_or_b64 exec, exec, s[22:23]
	s_and_b64 s[4:5], s[4:5], exec
	s_or_saveexec_b64 s[20:21], s[20:21]
	v_mov_b32_e32 v12, s24
	s_xor_b64 exec, exec, s[20:21]
	s_cbranch_execz .LBB254_27
.LBB254_226:                            ;   in Loop: Header=BB254_9 Depth=1
	v_cmp_ne_u16_sdwa s[22:23], v0, v5 src0_sel:BYTE_0 src1_sel:DWORD
	s_andn2_b64 s[4:5], s[4:5], exec
	s_and_b64 s[22:23], s[22:23], exec
	v_mov_b32_e32 v12, 0
	s_or_b64 s[4:5], s[4:5], s[22:23]
	s_or_b64 exec, exec, s[20:21]
	v_and_b32_e32 v4, 0xffff, v0
	s_and_saveexec_b64 s[20:21], s[4:5]
	s_cbranch_execnz .LBB254_28
	s_branch .LBB254_29
.LBB254_227:                            ;   in Loop: Header=BB254_9 Depth=1
	v_cmp_eq_u16_e64 s[4:5], s26, v4
	s_mov_b64 s[20:21], -1
                                        ; implicit-def: $sgpr28
	s_and_saveexec_b64 s[24:25], s[4:5]
; %bb.228:                              ;   in Loop: Header=BB254_9 Depth=1
	s_mov_b32 s28, 0x7fc02000
	s_xor_b64 s[20:21], exec, -1
; %bb.229:                              ;   in Loop: Header=BB254_9 Depth=1
	s_or_b64 exec, exec, s[24:25]
	s_and_b64 s[20:21], s[20:21], exec
	s_or_saveexec_b64 s[22:23], s[22:23]
	v_mov_b32_e32 v26, s28
	s_xor_b64 exec, exec, s[22:23]
	s_cbranch_execz .LBB254_31
.LBB254_230:                            ;   in Loop: Header=BB254_9 Depth=1
	v_cmp_ne_u16_e64 s[4:5], 0, v4
	s_andn2_b64 s[20:21], s[20:21], exec
	s_and_b64 s[4:5], s[4:5], exec
	v_mov_b32_e32 v26, 0
	s_or_b64 s[20:21], s[20:21], s[4:5]
	s_or_b64 exec, exec, s[22:23]
	s_and_saveexec_b64 s[22:23], s[20:21]
	s_cbranch_execnz .LBB254_32
	s_branch .LBB254_33
.LBB254_231:                            ;   in Loop: Header=BB254_9 Depth=1
	v_cmp_eq_u16_sdwa s[28:29], v0, s26 src0_sel:BYTE_0 src1_sel:DWORD
	s_mov_b64 s[4:5], -1
                                        ; implicit-def: $sgpr24
	s_and_saveexec_b64 s[22:23], s[28:29]
; %bb.232:                              ;   in Loop: Header=BB254_9 Depth=1
	s_mov_b32 s24, 0x7fc02000
	s_xor_b64 s[4:5], exec, -1
; %bb.233:                              ;   in Loop: Header=BB254_9 Depth=1
	s_or_b64 exec, exec, s[22:23]
	s_and_b64 s[4:5], s[4:5], exec
	s_or_saveexec_b64 s[20:21], s[20:21]
	v_mov_b32_e32 v27, s24
	s_xor_b64 exec, exec, s[20:21]
	s_cbranch_execz .LBB254_35
.LBB254_234:                            ;   in Loop: Header=BB254_9 Depth=1
	v_cmp_ne_u16_sdwa s[22:23], v0, v5 src0_sel:BYTE_0 src1_sel:DWORD
	s_andn2_b64 s[4:5], s[4:5], exec
	s_and_b64 s[22:23], s[22:23], exec
	v_mov_b32_e32 v27, 0
	s_or_b64 s[4:5], s[4:5], s[22:23]
	s_or_b64 exec, exec, s[20:21]
	v_and_b32_e32 v4, 0xffff, v0
	s_and_saveexec_b64 s[20:21], s[4:5]
	s_cbranch_execnz .LBB254_36
	s_branch .LBB254_37
.LBB254_235:                            ;   in Loop: Header=BB254_9 Depth=1
	v_cmp_eq_u16_e64 s[4:5], s26, v4
	s_mov_b64 s[20:21], -1
                                        ; implicit-def: $sgpr28
	s_and_saveexec_b64 s[24:25], s[4:5]
; %bb.236:                              ;   in Loop: Header=BB254_9 Depth=1
	s_mov_b32 s28, 0x7fc02000
	s_xor_b64 s[20:21], exec, -1
; %bb.237:                              ;   in Loop: Header=BB254_9 Depth=1
	s_or_b64 exec, exec, s[24:25]
	s_and_b64 s[20:21], s[20:21], exec
	s_or_saveexec_b64 s[22:23], s[22:23]
	v_mov_b32_e32 v30, s28
	s_xor_b64 exec, exec, s[22:23]
	s_cbranch_execz .LBB254_39
.LBB254_238:                            ;   in Loop: Header=BB254_9 Depth=1
	v_cmp_ne_u16_e64 s[4:5], 0, v4
	s_andn2_b64 s[20:21], s[20:21], exec
	s_and_b64 s[4:5], s[4:5], exec
	v_mov_b32_e32 v30, 0
	s_or_b64 s[20:21], s[20:21], s[4:5]
	s_or_b64 exec, exec, s[22:23]
	s_and_saveexec_b64 s[22:23], s[20:21]
	s_cbranch_execnz .LBB254_40
	s_branch .LBB254_41
.LBB254_239:                            ;   in Loop: Header=BB254_9 Depth=1
	v_cmp_eq_u16_sdwa s[28:29], v0, s26 src0_sel:BYTE_0 src1_sel:DWORD
	s_mov_b64 s[4:5], -1
                                        ; implicit-def: $sgpr24
	s_and_saveexec_b64 s[22:23], s[28:29]
; %bb.240:                              ;   in Loop: Header=BB254_9 Depth=1
	s_mov_b32 s24, 0x7fc02000
	s_xor_b64 s[4:5], exec, -1
; %bb.241:                              ;   in Loop: Header=BB254_9 Depth=1
	s_or_b64 exec, exec, s[22:23]
	s_and_b64 s[4:5], s[4:5], exec
	s_or_saveexec_b64 s[20:21], s[20:21]
	v_mov_b32_e32 v31, s24
	s_xor_b64 exec, exec, s[20:21]
	s_cbranch_execz .LBB254_43
.LBB254_242:                            ;   in Loop: Header=BB254_9 Depth=1
	v_cmp_ne_u16_sdwa s[22:23], v0, v5 src0_sel:BYTE_0 src1_sel:DWORD
	s_andn2_b64 s[4:5], s[4:5], exec
	s_and_b64 s[22:23], s[22:23], exec
	v_mov_b32_e32 v31, 0
	s_or_b64 s[4:5], s[4:5], s[22:23]
	s_or_b64 exec, exec, s[20:21]
	v_and_b32_e32 v4, 0xffff, v0
	s_and_saveexec_b64 s[20:21], s[4:5]
	s_cbranch_execnz .LBB254_44
	s_branch .LBB254_45
.LBB254_243:                            ;   in Loop: Header=BB254_9 Depth=1
	v_cmp_eq_u16_e64 s[4:5], s26, v4
	s_mov_b64 s[20:21], -1
                                        ; implicit-def: $sgpr28
	s_and_saveexec_b64 s[24:25], s[4:5]
; %bb.244:                              ;   in Loop: Header=BB254_9 Depth=1
	s_mov_b32 s28, 0x7fc02000
	s_xor_b64 s[20:21], exec, -1
; %bb.245:                              ;   in Loop: Header=BB254_9 Depth=1
	s_or_b64 exec, exec, s[24:25]
	s_and_b64 s[20:21], s[20:21], exec
	s_or_saveexec_b64 s[22:23], s[22:23]
	v_mov_b32_e32 v36, s28
	s_xor_b64 exec, exec, s[22:23]
	s_cbranch_execz .LBB254_47
.LBB254_246:                            ;   in Loop: Header=BB254_9 Depth=1
	v_cmp_ne_u16_e64 s[4:5], 0, v4
	s_andn2_b64 s[20:21], s[20:21], exec
	s_and_b64 s[4:5], s[4:5], exec
	v_mov_b32_e32 v36, 0
	s_or_b64 s[20:21], s[20:21], s[4:5]
	s_or_b64 exec, exec, s[22:23]
	s_and_saveexec_b64 s[22:23], s[20:21]
	s_cbranch_execnz .LBB254_48
	s_branch .LBB254_49
.LBB254_247:                            ;   in Loop: Header=BB254_9 Depth=1
	v_cmp_eq_u16_sdwa s[28:29], v0, s26 src0_sel:BYTE_0 src1_sel:DWORD
	s_mov_b64 s[4:5], -1
                                        ; implicit-def: $sgpr24
	s_and_saveexec_b64 s[22:23], s[28:29]
; %bb.248:                              ;   in Loop: Header=BB254_9 Depth=1
	s_mov_b32 s24, 0x7fc02000
	s_xor_b64 s[4:5], exec, -1
; %bb.249:                              ;   in Loop: Header=BB254_9 Depth=1
	s_or_b64 exec, exec, s[22:23]
	s_and_b64 s[4:5], s[4:5], exec
	s_or_saveexec_b64 s[20:21], s[20:21]
	v_mov_b32_e32 v37, s24
	s_xor_b64 exec, exec, s[20:21]
	s_cbranch_execz .LBB254_51
.LBB254_250:                            ;   in Loop: Header=BB254_9 Depth=1
	v_cmp_ne_u16_sdwa s[22:23], v0, v5 src0_sel:BYTE_0 src1_sel:DWORD
	s_andn2_b64 s[4:5], s[4:5], exec
	s_and_b64 s[22:23], s[22:23], exec
	v_mov_b32_e32 v37, 0
	s_or_b64 s[4:5], s[4:5], s[22:23]
	s_or_b64 exec, exec, s[20:21]
	v_and_b32_e32 v4, 0xffff, v0
	s_and_saveexec_b64 s[20:21], s[4:5]
	s_cbranch_execnz .LBB254_52
	s_branch .LBB254_53
.LBB254_251:                            ;   in Loop: Header=BB254_9 Depth=1
	v_cmp_eq_u16_e64 s[4:5], s26, v4
	s_mov_b64 s[20:21], -1
                                        ; implicit-def: $sgpr28
	s_and_saveexec_b64 s[24:25], s[4:5]
; %bb.252:                              ;   in Loop: Header=BB254_9 Depth=1
	s_mov_b32 s28, 0x7fc02000
	s_xor_b64 s[20:21], exec, -1
; %bb.253:                              ;   in Loop: Header=BB254_9 Depth=1
	s_or_b64 exec, exec, s[24:25]
	s_and_b64 s[20:21], s[20:21], exec
	s_or_saveexec_b64 s[22:23], s[22:23]
	v_mov_b32_e32 v43, s28
	s_xor_b64 exec, exec, s[22:23]
	s_cbranch_execz .LBB254_55
.LBB254_254:                            ;   in Loop: Header=BB254_9 Depth=1
	v_cmp_ne_u16_e64 s[4:5], 0, v4
	s_andn2_b64 s[20:21], s[20:21], exec
	s_and_b64 s[4:5], s[4:5], exec
	v_mov_b32_e32 v43, 0
	s_or_b64 s[20:21], s[20:21], s[4:5]
	s_or_b64 exec, exec, s[22:23]
	s_and_saveexec_b64 s[22:23], s[20:21]
	s_cbranch_execnz .LBB254_56
	s_branch .LBB254_57
.LBB254_255:                            ;   in Loop: Header=BB254_9 Depth=1
	v_cmp_eq_u16_sdwa s[28:29], v0, s26 src0_sel:BYTE_0 src1_sel:DWORD
	s_mov_b64 s[4:5], -1
                                        ; implicit-def: $sgpr24
	s_and_saveexec_b64 s[22:23], s[28:29]
; %bb.256:                              ;   in Loop: Header=BB254_9 Depth=1
	s_mov_b32 s24, 0x7fc02000
	s_xor_b64 s[4:5], exec, -1
; %bb.257:                              ;   in Loop: Header=BB254_9 Depth=1
	s_or_b64 exec, exec, s[22:23]
	s_and_b64 s[4:5], s[4:5], exec
	s_or_saveexec_b64 s[20:21], s[20:21]
	v_mov_b32_e32 v47, s24
	s_xor_b64 exec, exec, s[20:21]
	s_cbranch_execz .LBB254_59
.LBB254_258:                            ;   in Loop: Header=BB254_9 Depth=1
	v_cmp_ne_u16_sdwa s[22:23], v0, v5 src0_sel:BYTE_0 src1_sel:DWORD
	s_andn2_b64 s[4:5], s[4:5], exec
	s_and_b64 s[22:23], s[22:23], exec
	v_mov_b32_e32 v47, 0
	s_or_b64 s[4:5], s[4:5], s[22:23]
	s_or_b64 exec, exec, s[20:21]
	v_and_b32_e32 v4, 0xffff, v0
	s_and_saveexec_b64 s[20:21], s[4:5]
	s_cbranch_execnz .LBB254_60
	s_branch .LBB254_61
.LBB254_259:                            ;   in Loop: Header=BB254_9 Depth=1
	v_cmp_eq_u16_e64 s[4:5], s26, v4
	s_mov_b64 s[20:21], -1
                                        ; implicit-def: $sgpr28
	s_and_saveexec_b64 s[24:25], s[4:5]
; %bb.260:                              ;   in Loop: Header=BB254_9 Depth=1
	s_mov_b32 s28, 0x7fc02000
	s_xor_b64 s[20:21], exec, -1
; %bb.261:                              ;   in Loop: Header=BB254_9 Depth=1
	s_or_b64 exec, exec, s[24:25]
	s_and_b64 s[20:21], s[20:21], exec
	s_or_saveexec_b64 s[22:23], s[22:23]
	v_mov_b32_e32 v40, s28
	s_xor_b64 exec, exec, s[22:23]
	s_cbranch_execz .LBB254_63
.LBB254_262:                            ;   in Loop: Header=BB254_9 Depth=1
	v_cmp_ne_u16_e64 s[4:5], 0, v4
	s_andn2_b64 s[20:21], s[20:21], exec
	s_and_b64 s[4:5], s[4:5], exec
	v_mov_b32_e32 v40, 0
	s_or_b64 s[20:21], s[20:21], s[4:5]
	s_or_b64 exec, exec, s[22:23]
	s_and_saveexec_b64 s[22:23], s[20:21]
	s_cbranch_execnz .LBB254_64
	s_branch .LBB254_65
.LBB254_263:                            ;   in Loop: Header=BB254_9 Depth=1
	v_cmp_eq_u16_sdwa s[28:29], v0, s26 src0_sel:BYTE_0 src1_sel:DWORD
	s_mov_b64 s[4:5], -1
                                        ; implicit-def: $sgpr24
	s_and_saveexec_b64 s[22:23], s[28:29]
; %bb.264:                              ;   in Loop: Header=BB254_9 Depth=1
	s_mov_b32 s24, 0x7fc02000
	s_xor_b64 s[4:5], exec, -1
; %bb.265:                              ;   in Loop: Header=BB254_9 Depth=1
	s_or_b64 exec, exec, s[22:23]
	s_and_b64 s[4:5], s[4:5], exec
	s_or_saveexec_b64 s[20:21], s[20:21]
	v_mov_b32_e32 v62, s24
	s_xor_b64 exec, exec, s[20:21]
	s_cbranch_execz .LBB254_67
.LBB254_266:                            ;   in Loop: Header=BB254_9 Depth=1
	v_cmp_ne_u16_sdwa s[22:23], v0, v5 src0_sel:BYTE_0 src1_sel:DWORD
	s_andn2_b64 s[4:5], s[4:5], exec
	s_and_b64 s[22:23], s[22:23], exec
	v_mov_b32_e32 v62, 0
	s_or_b64 s[4:5], s[4:5], s[22:23]
	s_or_b64 exec, exec, s[20:21]
	v_and_b32_e32 v4, 0xffff, v0
	s_and_saveexec_b64 s[20:21], s[4:5]
	s_cbranch_execnz .LBB254_68
	s_branch .LBB254_69
.LBB254_267:                            ;   in Loop: Header=BB254_9 Depth=1
	v_cmp_eq_u16_e64 s[4:5], s26, v4
	s_mov_b64 s[20:21], -1
                                        ; implicit-def: $sgpr28
	s_and_saveexec_b64 s[24:25], s[4:5]
; %bb.268:                              ;   in Loop: Header=BB254_9 Depth=1
	s_mov_b32 s28, 0x7fc02000
	s_xor_b64 s[20:21], exec, -1
; %bb.269:                              ;   in Loop: Header=BB254_9 Depth=1
	s_or_b64 exec, exec, s[24:25]
	s_and_b64 s[20:21], s[20:21], exec
	s_or_saveexec_b64 s[22:23], s[22:23]
	v_mov_b32_e32 v63, s28
	s_xor_b64 exec, exec, s[22:23]
	s_cbranch_execz .LBB254_71
.LBB254_270:                            ;   in Loop: Header=BB254_9 Depth=1
	v_cmp_ne_u16_e64 s[4:5], 0, v4
	s_andn2_b64 s[20:21], s[20:21], exec
	s_and_b64 s[4:5], s[4:5], exec
	v_mov_b32_e32 v63, 0
	s_or_b64 s[20:21], s[20:21], s[4:5]
	s_or_b64 exec, exec, s[22:23]
	s_and_saveexec_b64 s[22:23], s[20:21]
	s_cbranch_execnz .LBB254_72
	s_branch .LBB254_73
.LBB254_271:                            ;   in Loop: Header=BB254_9 Depth=1
	v_cmp_eq_u16_sdwa s[28:29], v0, s26 src0_sel:BYTE_0 src1_sel:DWORD
	s_mov_b64 s[4:5], -1
                                        ; implicit-def: $sgpr24
	s_and_saveexec_b64 s[22:23], s[28:29]
; %bb.272:                              ;   in Loop: Header=BB254_9 Depth=1
	s_mov_b32 s24, 0x7fc02000
	s_xor_b64 s[4:5], exec, -1
; %bb.273:                              ;   in Loop: Header=BB254_9 Depth=1
	s_or_b64 exec, exec, s[22:23]
	s_and_b64 s[4:5], s[4:5], exec
	s_or_saveexec_b64 s[20:21], s[20:21]
	v_mov_b32_e32 v53, s24
	s_xor_b64 exec, exec, s[20:21]
	s_cbranch_execz .LBB254_75
.LBB254_274:                            ;   in Loop: Header=BB254_9 Depth=1
	v_cmp_ne_u16_sdwa s[22:23], v0, v5 src0_sel:BYTE_0 src1_sel:DWORD
	s_andn2_b64 s[4:5], s[4:5], exec
	s_and_b64 s[22:23], s[22:23], exec
	v_mov_b32_e32 v53, 0
	s_or_b64 s[4:5], s[4:5], s[22:23]
	s_or_b64 exec, exec, s[20:21]
	v_and_b32_e32 v4, 0xffff, v0
	s_and_saveexec_b64 s[20:21], s[4:5]
	s_cbranch_execnz .LBB254_76
	s_branch .LBB254_77
.LBB254_275:                            ;   in Loop: Header=BB254_9 Depth=1
	v_cmp_eq_u16_e64 s[4:5], s26, v4
	s_mov_b64 s[20:21], -1
                                        ; implicit-def: $sgpr28
	s_and_saveexec_b64 s[24:25], s[4:5]
; %bb.276:                              ;   in Loop: Header=BB254_9 Depth=1
	s_mov_b32 s28, 0x7fc02000
	s_xor_b64 s[20:21], exec, -1
; %bb.277:                              ;   in Loop: Header=BB254_9 Depth=1
	s_or_b64 exec, exec, s[24:25]
	s_and_b64 s[20:21], s[20:21], exec
	s_or_saveexec_b64 s[22:23], s[22:23]
	v_mov_b32_e32 v0, s28
	s_xor_b64 exec, exec, s[22:23]
	s_cbranch_execz .LBB254_79
.LBB254_278:                            ;   in Loop: Header=BB254_9 Depth=1
	v_cmp_ne_u16_e64 s[4:5], 0, v4
	s_andn2_b64 s[20:21], s[20:21], exec
	s_and_b64 s[4:5], s[4:5], exec
	v_mov_b32_e32 v0, 0
	s_or_b64 s[20:21], s[20:21], s[4:5]
	s_or_b64 exec, exec, s[22:23]
	s_and_saveexec_b64 s[22:23], s[20:21]
	s_cbranch_execnz .LBB254_80
	s_branch .LBB254_81
.LBB254_279:                            ;   in Loop: Header=BB254_9 Depth=1
	v_cmp_eq_u16_sdwa s[28:29], v0, s26 src0_sel:BYTE_0 src1_sel:DWORD
	s_mov_b64 s[4:5], -1
                                        ; implicit-def: $sgpr24
	s_and_saveexec_b64 s[22:23], s[28:29]
; %bb.280:                              ;   in Loop: Header=BB254_9 Depth=1
	s_mov_b32 s24, 0x7fc02000
	s_xor_b64 s[4:5], exec, -1
; %bb.281:                              ;   in Loop: Header=BB254_9 Depth=1
	s_or_b64 exec, exec, s[22:23]
	s_and_b64 s[4:5], s[4:5], exec
	s_or_saveexec_b64 s[20:21], s[20:21]
	v_mov_b32_e32 v54, s24
	s_xor_b64 exec, exec, s[20:21]
	s_cbranch_execz .LBB254_83
.LBB254_282:                            ;   in Loop: Header=BB254_9 Depth=1
	v_cmp_ne_u16_sdwa s[22:23], v0, v5 src0_sel:BYTE_0 src1_sel:DWORD
	s_andn2_b64 s[4:5], s[4:5], exec
	s_and_b64 s[22:23], s[22:23], exec
	v_mov_b32_e32 v54, 0
	s_or_b64 s[4:5], s[4:5], s[22:23]
	s_or_b64 exec, exec, s[20:21]
	v_and_b32_e32 v4, 0xffff, v0
	s_and_saveexec_b64 s[20:21], s[4:5]
	s_cbranch_execnz .LBB254_84
	s_branch .LBB254_85
.LBB254_283:                            ;   in Loop: Header=BB254_9 Depth=1
	v_cmp_eq_u16_e64 s[4:5], s26, v4
	s_mov_b64 s[20:21], -1
                                        ; implicit-def: $sgpr28
	s_and_saveexec_b64 s[24:25], s[4:5]
; %bb.284:                              ;   in Loop: Header=BB254_9 Depth=1
	s_mov_b32 s28, 0x7fc02000
	s_xor_b64 s[20:21], exec, -1
; %bb.285:                              ;   in Loop: Header=BB254_9 Depth=1
	s_or_b64 exec, exec, s[24:25]
	s_and_b64 s[20:21], s[20:21], exec
	s_or_saveexec_b64 s[22:23], s[22:23]
	v_mov_b32_e32 v0, s28
	s_xor_b64 exec, exec, s[22:23]
	s_cbranch_execz .LBB254_87
.LBB254_286:                            ;   in Loop: Header=BB254_9 Depth=1
	v_cmp_ne_u16_e64 s[4:5], 0, v4
	s_andn2_b64 s[20:21], s[20:21], exec
	s_and_b64 s[4:5], s[4:5], exec
	v_mov_b32_e32 v0, 0
	s_or_b64 s[20:21], s[20:21], s[4:5]
	s_or_b64 exec, exec, s[22:23]
	s_and_saveexec_b64 s[22:23], s[20:21]
	s_cbranch_execnz .LBB254_88
	s_branch .LBB254_89
.LBB254_287:                            ;   in Loop: Header=BB254_9 Depth=1
	v_cmp_eq_u16_sdwa s[28:29], v0, s26 src0_sel:BYTE_0 src1_sel:DWORD
	s_mov_b64 s[4:5], -1
                                        ; implicit-def: $sgpr24
	s_and_saveexec_b64 s[22:23], s[28:29]
; %bb.288:                              ;   in Loop: Header=BB254_9 Depth=1
	s_mov_b32 s24, 0x7fc02000
	s_xor_b64 s[4:5], exec, -1
; %bb.289:                              ;   in Loop: Header=BB254_9 Depth=1
	s_or_b64 exec, exec, s[22:23]
	s_and_b64 s[4:5], s[4:5], exec
	s_or_saveexec_b64 s[20:21], s[20:21]
	v_mov_b32_e32 v55, s24
	s_xor_b64 exec, exec, s[20:21]
	s_cbranch_execz .LBB254_91
.LBB254_290:                            ;   in Loop: Header=BB254_9 Depth=1
	v_cmp_ne_u16_sdwa s[22:23], v0, v5 src0_sel:BYTE_0 src1_sel:DWORD
	s_andn2_b64 s[4:5], s[4:5], exec
	s_and_b64 s[22:23], s[22:23], exec
	v_mov_b32_e32 v55, 0
	s_or_b64 s[4:5], s[4:5], s[22:23]
	s_or_b64 exec, exec, s[20:21]
	v_and_b32_e32 v4, 0xffff, v0
	s_and_saveexec_b64 s[20:21], s[4:5]
	s_cbranch_execnz .LBB254_92
	s_branch .LBB254_93
.LBB254_291:                            ;   in Loop: Header=BB254_9 Depth=1
	v_cmp_eq_u16_e64 s[4:5], s26, v4
	s_mov_b64 s[20:21], -1
                                        ; implicit-def: $sgpr28
	s_and_saveexec_b64 s[24:25], s[4:5]
; %bb.292:                              ;   in Loop: Header=BB254_9 Depth=1
	s_mov_b32 s28, 0x7fc02000
	s_xor_b64 s[20:21], exec, -1
; %bb.293:                              ;   in Loop: Header=BB254_9 Depth=1
	s_or_b64 exec, exec, s[24:25]
	s_and_b64 s[20:21], s[20:21], exec
	s_or_saveexec_b64 s[22:23], s[22:23]
	v_mov_b32_e32 v0, s28
	s_xor_b64 exec, exec, s[22:23]
	s_cbranch_execz .LBB254_95
.LBB254_294:                            ;   in Loop: Header=BB254_9 Depth=1
	v_cmp_ne_u16_e64 s[4:5], 0, v4
	s_andn2_b64 s[20:21], s[20:21], exec
	s_and_b64 s[4:5], s[4:5], exec
	v_mov_b32_e32 v0, 0
	s_or_b64 s[20:21], s[20:21], s[4:5]
	s_or_b64 exec, exec, s[22:23]
	s_and_saveexec_b64 s[22:23], s[20:21]
	s_cbranch_execnz .LBB254_96
	s_branch .LBB254_97
.LBB254_295:                            ;   in Loop: Header=BB254_9 Depth=1
	v_cmp_eq_u16_sdwa s[28:29], v0, s26 src0_sel:BYTE_0 src1_sel:DWORD
	s_mov_b64 s[4:5], -1
                                        ; implicit-def: $sgpr24
	s_and_saveexec_b64 s[22:23], s[28:29]
; %bb.296:                              ;   in Loop: Header=BB254_9 Depth=1
	s_mov_b32 s24, 0x7fc02000
	s_xor_b64 s[4:5], exec, -1
; %bb.297:                              ;   in Loop: Header=BB254_9 Depth=1
	s_or_b64 exec, exec, s[22:23]
	s_and_b64 s[4:5], s[4:5], exec
	s_or_saveexec_b64 s[20:21], s[20:21]
	v_mov_b32_e32 v41, s24
	s_xor_b64 exec, exec, s[20:21]
	s_cbranch_execz .LBB254_99
.LBB254_298:                            ;   in Loop: Header=BB254_9 Depth=1
	v_cmp_ne_u16_sdwa s[22:23], v0, v5 src0_sel:BYTE_0 src1_sel:DWORD
	s_andn2_b64 s[4:5], s[4:5], exec
	s_and_b64 s[22:23], s[22:23], exec
	v_mov_b32_e32 v41, 0
	s_or_b64 s[4:5], s[4:5], s[22:23]
	s_or_b64 exec, exec, s[20:21]
	v_and_b32_e32 v4, 0xffff, v0
	s_and_saveexec_b64 s[20:21], s[4:5]
	s_cbranch_execnz .LBB254_100
	s_branch .LBB254_101
.LBB254_299:                            ;   in Loop: Header=BB254_9 Depth=1
	v_cmp_eq_u16_e64 s[4:5], s26, v4
	s_mov_b64 s[20:21], -1
                                        ; implicit-def: $sgpr28
	s_and_saveexec_b64 s[24:25], s[4:5]
; %bb.300:                              ;   in Loop: Header=BB254_9 Depth=1
	s_mov_b32 s28, 0x7fc02000
	s_xor_b64 s[20:21], exec, -1
; %bb.301:                              ;   in Loop: Header=BB254_9 Depth=1
	s_or_b64 exec, exec, s[24:25]
	s_and_b64 s[20:21], s[20:21], exec
	s_or_saveexec_b64 s[22:23], s[22:23]
	v_mov_b32_e32 v0, s28
	s_xor_b64 exec, exec, s[22:23]
	s_cbranch_execz .LBB254_103
.LBB254_302:                            ;   in Loop: Header=BB254_9 Depth=1
	v_cmp_ne_u16_e64 s[4:5], 0, v4
	s_andn2_b64 s[20:21], s[20:21], exec
	s_and_b64 s[4:5], s[4:5], exec
	v_mov_b32_e32 v0, 0
	s_or_b64 s[20:21], s[20:21], s[4:5]
	s_or_b64 exec, exec, s[22:23]
	s_and_saveexec_b64 s[22:23], s[20:21]
	s_cbranch_execnz .LBB254_104
	s_branch .LBB254_105
.LBB254_303:                            ;   in Loop: Header=BB254_9 Depth=1
	v_cmp_eq_u16_sdwa s[28:29], v0, s26 src0_sel:BYTE_0 src1_sel:DWORD
	s_mov_b64 s[4:5], -1
                                        ; implicit-def: $sgpr24
	s_and_saveexec_b64 s[22:23], s[28:29]
; %bb.304:                              ;   in Loop: Header=BB254_9 Depth=1
	s_mov_b32 s24, 0x7fc02000
	s_xor_b64 s[4:5], exec, -1
; %bb.305:                              ;   in Loop: Header=BB254_9 Depth=1
	s_or_b64 exec, exec, s[22:23]
	s_and_b64 s[4:5], s[4:5], exec
	s_or_saveexec_b64 s[20:21], s[20:21]
	v_mov_b32_e32 v1, s24
	s_xor_b64 exec, exec, s[20:21]
	s_cbranch_execz .LBB254_107
.LBB254_306:                            ;   in Loop: Header=BB254_9 Depth=1
	v_cmp_ne_u16_sdwa s[22:23], v0, v5 src0_sel:BYTE_0 src1_sel:DWORD
	s_andn2_b64 s[4:5], s[4:5], exec
	s_and_b64 s[22:23], s[22:23], exec
	v_mov_b32_e32 v1, 0
	s_or_b64 s[4:5], s[4:5], s[22:23]
	s_or_b64 exec, exec, s[20:21]
	v_and_b32_e32 v4, 0xffff, v0
	s_and_saveexec_b64 s[20:21], s[4:5]
	s_cbranch_execnz .LBB254_108
	s_branch .LBB254_109
.LBB254_307:                            ;   in Loop: Header=BB254_9 Depth=1
	v_cmp_eq_u16_e64 s[4:5], s26, v4
	s_mov_b64 s[20:21], -1
                                        ; implicit-def: $sgpr28
	s_and_saveexec_b64 s[24:25], s[4:5]
; %bb.308:                              ;   in Loop: Header=BB254_9 Depth=1
	s_mov_b32 s28, 0x7fc02000
	s_xor_b64 s[20:21], exec, -1
; %bb.309:                              ;   in Loop: Header=BB254_9 Depth=1
	s_or_b64 exec, exec, s[24:25]
	s_and_b64 s[20:21], s[20:21], exec
	s_or_saveexec_b64 s[22:23], s[22:23]
	v_mov_b32_e32 v2, s28
	s_xor_b64 exec, exec, s[22:23]
	s_cbranch_execz .LBB254_111
.LBB254_310:                            ;   in Loop: Header=BB254_9 Depth=1
	v_cmp_ne_u16_e64 s[4:5], 0, v4
	s_andn2_b64 s[20:21], s[20:21], exec
	s_and_b64 s[4:5], s[4:5], exec
	v_mov_b32_e32 v2, 0
	s_or_b64 s[20:21], s[20:21], s[4:5]
	s_or_b64 exec, exec, s[22:23]
	v_accvgpr_write_b32 a35, v1
	s_and_saveexec_b64 s[22:23], s[20:21]
	s_cbranch_execnz .LBB254_112
	s_branch .LBB254_113
.LBB254_311:                            ;   in Loop: Header=BB254_9 Depth=1
	v_cmp_eq_u16_sdwa s[28:29], v1, s26 src0_sel:BYTE_0 src1_sel:DWORD
	s_mov_b64 s[4:5], -1
                                        ; implicit-def: $sgpr24
	s_and_saveexec_b64 s[22:23], s[28:29]
; %bb.312:                              ;   in Loop: Header=BB254_9 Depth=1
	s_mov_b32 s24, 0x7fc02000
	s_xor_b64 s[4:5], exec, -1
; %bb.313:                              ;   in Loop: Header=BB254_9 Depth=1
	s_or_b64 exec, exec, s[22:23]
	s_and_b64 s[4:5], s[4:5], exec
	s_or_saveexec_b64 s[20:21], s[20:21]
	v_mov_b32_e32 v0, s24
	s_xor_b64 exec, exec, s[20:21]
	s_cbranch_execz .LBB254_115
.LBB254_314:                            ;   in Loop: Header=BB254_9 Depth=1
	v_cmp_ne_u16_sdwa s[22:23], v1, v5 src0_sel:BYTE_0 src1_sel:DWORD
	s_andn2_b64 s[4:5], s[4:5], exec
	s_and_b64 s[22:23], s[22:23], exec
	v_mov_b32_e32 v0, 0
	s_or_b64 s[4:5], s[4:5], s[22:23]
	s_or_b64 exec, exec, s[20:21]
	v_and_b32_e32 v4, 0xffff, v1
	s_and_saveexec_b64 s[20:21], s[4:5]
	s_cbranch_execnz .LBB254_116
	s_branch .LBB254_117
.LBB254_315:                            ;   in Loop: Header=BB254_9 Depth=1
	v_cmp_eq_u16_e64 s[4:5], s26, v4
	s_mov_b64 s[20:21], -1
                                        ; implicit-def: $sgpr28
	s_and_saveexec_b64 s[24:25], s[4:5]
; %bb.316:                              ;   in Loop: Header=BB254_9 Depth=1
	s_mov_b32 s28, 0x7fc02000
	s_xor_b64 s[20:21], exec, -1
; %bb.317:                              ;   in Loop: Header=BB254_9 Depth=1
	s_or_b64 exec, exec, s[24:25]
	s_and_b64 s[20:21], s[20:21], exec
	s_or_saveexec_b64 s[22:23], s[22:23]
	v_mov_b32_e32 v1, s28
	s_xor_b64 exec, exec, s[22:23]
	s_cbranch_execz .LBB254_119
.LBB254_318:                            ;   in Loop: Header=BB254_9 Depth=1
	v_cmp_ne_u16_e64 s[4:5], 0, v4
	s_andn2_b64 s[20:21], s[20:21], exec
	s_and_b64 s[4:5], s[4:5], exec
	v_mov_b32_e32 v1, 0
	s_or_b64 s[20:21], s[20:21], s[4:5]
	s_or_b64 exec, exec, s[22:23]
	s_and_saveexec_b64 s[22:23], s[20:21]
	s_cbranch_execnz .LBB254_120
	s_branch .LBB254_121
.LBB254_319:                            ;   in Loop: Header=BB254_9 Depth=1
	v_cmp_eq_u16_sdwa s[28:29], v4, s26 src0_sel:BYTE_0 src1_sel:DWORD
	s_mov_b64 s[4:5], -1
                                        ; implicit-def: $sgpr24
	s_and_saveexec_b64 s[22:23], s[28:29]
; %bb.320:                              ;   in Loop: Header=BB254_9 Depth=1
	s_mov_b32 s24, 0x7fc02000
	s_xor_b64 s[4:5], exec, -1
; %bb.321:                              ;   in Loop: Header=BB254_9 Depth=1
	s_or_b64 exec, exec, s[22:23]
	s_and_b64 s[4:5], s[4:5], exec
	s_or_saveexec_b64 s[20:21], s[20:21]
	v_mov_b32_e32 v14, s24
	s_xor_b64 exec, exec, s[20:21]
	s_cbranch_execz .LBB254_123
.LBB254_322:                            ;   in Loop: Header=BB254_9 Depth=1
	v_cmp_ne_u16_sdwa s[22:23], v4, v5 src0_sel:BYTE_0 src1_sel:DWORD
	s_andn2_b64 s[4:5], s[4:5], exec
	s_and_b64 s[22:23], s[22:23], exec
	v_mov_b32_e32 v14, 0
	s_or_b64 s[4:5], s[4:5], s[22:23]
	s_or_b64 exec, exec, s[20:21]
	v_and_b32_e32 v4, 0xffff, v4
	s_and_saveexec_b64 s[20:21], s[4:5]
	s_cbranch_execnz .LBB254_124
	s_branch .LBB254_125
.LBB254_323:                            ;   in Loop: Header=BB254_9 Depth=1
	v_cmp_eq_u16_e64 s[4:5], s26, v4
	s_mov_b64 s[20:21], -1
                                        ; implicit-def: $sgpr28
	s_and_saveexec_b64 s[24:25], s[4:5]
; %bb.324:                              ;   in Loop: Header=BB254_9 Depth=1
	s_mov_b32 s28, 0x7fc02000
	s_xor_b64 s[20:21], exec, -1
; %bb.325:                              ;   in Loop: Header=BB254_9 Depth=1
	s_or_b64 exec, exec, s[24:25]
	s_and_b64 s[20:21], s[20:21], exec
	s_or_saveexec_b64 s[22:23], s[22:23]
	v_mov_b32_e32 v15, s28
	s_xor_b64 exec, exec, s[22:23]
	s_cbranch_execz .LBB254_127
.LBB254_326:                            ;   in Loop: Header=BB254_9 Depth=1
	v_cmp_ne_u16_e64 s[4:5], 0, v4
	s_andn2_b64 s[20:21], s[20:21], exec
	s_and_b64 s[4:5], s[4:5], exec
	v_mov_b32_e32 v15, 0
	s_or_b64 s[20:21], s[20:21], s[4:5]
	s_or_b64 exec, exec, s[22:23]
	s_and_saveexec_b64 s[22:23], s[20:21]
	s_cbranch_execnz .LBB254_128
	s_branch .LBB254_129
.LBB254_327:                            ;   in Loop: Header=BB254_9 Depth=1
	v_cmp_eq_u16_sdwa s[28:29], v4, s26 src0_sel:BYTE_0 src1_sel:DWORD
	s_mov_b64 s[4:5], -1
                                        ; implicit-def: $sgpr24
	s_and_saveexec_b64 s[22:23], s[28:29]
; %bb.328:                              ;   in Loop: Header=BB254_9 Depth=1
	s_mov_b32 s24, 0x7fc02000
	s_xor_b64 s[4:5], exec, -1
; %bb.329:                              ;   in Loop: Header=BB254_9 Depth=1
	s_or_b64 exec, exec, s[22:23]
	s_and_b64 s[4:5], s[4:5], exec
	s_or_saveexec_b64 s[20:21], s[20:21]
	v_mov_b32_e32 v6, s24
	s_xor_b64 exec, exec, s[20:21]
	s_cbranch_execz .LBB254_131
.LBB254_330:                            ;   in Loop: Header=BB254_9 Depth=1
	v_cmp_ne_u16_sdwa s[22:23], v4, v5 src0_sel:BYTE_0 src1_sel:DWORD
	s_andn2_b64 s[4:5], s[4:5], exec
	s_and_b64 s[22:23], s[22:23], exec
	v_mov_b32_e32 v6, 0
	s_or_b64 s[4:5], s[4:5], s[22:23]
	s_or_b64 exec, exec, s[20:21]
	v_and_b32_e32 v4, 0xffff, v4
	s_and_saveexec_b64 s[20:21], s[4:5]
	s_cbranch_execnz .LBB254_132
	s_branch .LBB254_133
.LBB254_331:                            ;   in Loop: Header=BB254_9 Depth=1
	v_cmp_eq_u16_e64 s[4:5], s26, v4
	s_mov_b64 s[20:21], -1
                                        ; implicit-def: $sgpr28
	s_and_saveexec_b64 s[24:25], s[4:5]
; %bb.332:                              ;   in Loop: Header=BB254_9 Depth=1
	s_mov_b32 s28, 0x7fc02000
	s_xor_b64 s[20:21], exec, -1
; %bb.333:                              ;   in Loop: Header=BB254_9 Depth=1
	s_or_b64 exec, exec, s[24:25]
	s_and_b64 s[20:21], s[20:21], exec
	s_or_saveexec_b64 s[22:23], s[22:23]
	v_mov_b32_e32 v7, s28
	s_xor_b64 exec, exec, s[22:23]
	s_cbranch_execz .LBB254_135
.LBB254_334:                            ;   in Loop: Header=BB254_9 Depth=1
	v_cmp_ne_u16_e64 s[4:5], 0, v4
	s_andn2_b64 s[20:21], s[20:21], exec
	s_and_b64 s[4:5], s[4:5], exec
	v_mov_b32_e32 v7, 0
	s_or_b64 s[20:21], s[20:21], s[4:5]
	s_or_b64 exec, exec, s[22:23]
	s_and_saveexec_b64 s[22:23], s[20:21]
	s_cbranch_execnz .LBB254_136
	s_branch .LBB254_137
.LBB254_335:                            ;   in Loop: Header=BB254_9 Depth=1
	v_cmp_eq_u16_sdwa s[28:29], v4, s26 src0_sel:BYTE_0 src1_sel:DWORD
	s_mov_b64 s[4:5], -1
                                        ; implicit-def: $sgpr24
	s_and_saveexec_b64 s[22:23], s[28:29]
; %bb.336:                              ;   in Loop: Header=BB254_9 Depth=1
	s_mov_b32 s24, 0x7fc02000
	s_xor_b64 s[4:5], exec, -1
; %bb.337:                              ;   in Loop: Header=BB254_9 Depth=1
	s_or_b64 exec, exec, s[22:23]
	s_and_b64 s[4:5], s[4:5], exec
	s_or_saveexec_b64 s[20:21], s[20:21]
	v_mov_b32_e32 v10, s24
	s_xor_b64 exec, exec, s[20:21]
	s_cbranch_execz .LBB254_139
.LBB254_338:                            ;   in Loop: Header=BB254_9 Depth=1
	v_cmp_ne_u16_sdwa s[22:23], v4, v5 src0_sel:BYTE_0 src1_sel:DWORD
	s_andn2_b64 s[4:5], s[4:5], exec
	s_and_b64 s[22:23], s[22:23], exec
	v_mov_b32_e32 v10, 0
	s_or_b64 s[4:5], s[4:5], s[22:23]
	s_or_b64 exec, exec, s[20:21]
	v_and_b32_e32 v4, 0xffff, v4
	s_and_saveexec_b64 s[20:21], s[4:5]
	s_cbranch_execnz .LBB254_140
	s_branch .LBB254_141
.LBB254_339:                            ;   in Loop: Header=BB254_9 Depth=1
	v_cmp_eq_u16_e64 s[4:5], s26, v4
	s_mov_b64 s[20:21], -1
                                        ; implicit-def: $sgpr28
	s_and_saveexec_b64 s[24:25], s[4:5]
; %bb.340:                              ;   in Loop: Header=BB254_9 Depth=1
	s_mov_b32 s28, 0x7fc02000
	s_xor_b64 s[20:21], exec, -1
; %bb.341:                              ;   in Loop: Header=BB254_9 Depth=1
	s_or_b64 exec, exec, s[24:25]
	s_and_b64 s[20:21], s[20:21], exec
	s_or_saveexec_b64 s[22:23], s[22:23]
	v_mov_b32_e32 v11, s28
	s_xor_b64 exec, exec, s[22:23]
	s_cbranch_execz .LBB254_143
.LBB254_342:                            ;   in Loop: Header=BB254_9 Depth=1
	v_cmp_ne_u16_e64 s[4:5], 0, v4
	s_andn2_b64 s[20:21], s[20:21], exec
	s_and_b64 s[4:5], s[4:5], exec
	v_mov_b32_e32 v11, 0
	s_or_b64 s[20:21], s[20:21], s[4:5]
	s_or_b64 exec, exec, s[22:23]
	s_and_saveexec_b64 s[22:23], s[20:21]
	s_cbranch_execnz .LBB254_144
	s_branch .LBB254_145
.LBB254_343:                            ;   in Loop: Header=BB254_9 Depth=1
	v_cmp_eq_u16_sdwa s[28:29], v4, s26 src0_sel:BYTE_0 src1_sel:DWORD
	s_mov_b64 s[4:5], -1
                                        ; implicit-def: $sgpr24
	s_and_saveexec_b64 s[22:23], s[28:29]
; %bb.344:                              ;   in Loop: Header=BB254_9 Depth=1
	s_mov_b32 s24, 0x7fc02000
	s_xor_b64 s[4:5], exec, -1
; %bb.345:                              ;   in Loop: Header=BB254_9 Depth=1
	s_or_b64 exec, exec, s[22:23]
	s_and_b64 s[4:5], s[4:5], exec
	s_or_saveexec_b64 s[20:21], s[20:21]
	v_mov_b32_e32 v8, s24
	s_xor_b64 exec, exec, s[20:21]
	s_cbranch_execz .LBB254_147
.LBB254_346:                            ;   in Loop: Header=BB254_9 Depth=1
	v_cmp_ne_u16_sdwa s[22:23], v4, v5 src0_sel:BYTE_0 src1_sel:DWORD
	s_andn2_b64 s[4:5], s[4:5], exec
	s_and_b64 s[22:23], s[22:23], exec
	v_mov_b32_e32 v8, 0
	s_or_b64 s[4:5], s[4:5], s[22:23]
	s_or_b64 exec, exec, s[20:21]
	v_and_b32_e32 v4, 0xffff, v4
	s_and_saveexec_b64 s[20:21], s[4:5]
	s_cbranch_execnz .LBB254_148
	s_branch .LBB254_149
.LBB254_347:                            ;   in Loop: Header=BB254_9 Depth=1
	v_cmp_eq_u16_e64 s[4:5], s26, v4
	s_mov_b64 s[20:21], -1
                                        ; implicit-def: $sgpr28
	s_and_saveexec_b64 s[24:25], s[4:5]
; %bb.348:                              ;   in Loop: Header=BB254_9 Depth=1
	s_mov_b32 s28, 0x7fc02000
	s_xor_b64 s[20:21], exec, -1
; %bb.349:                              ;   in Loop: Header=BB254_9 Depth=1
	s_or_b64 exec, exec, s[24:25]
	s_and_b64 s[20:21], s[20:21], exec
	s_or_saveexec_b64 s[22:23], s[22:23]
	v_mov_b32_e32 v35, s28
	s_xor_b64 exec, exec, s[22:23]
	s_cbranch_execz .LBB254_151
.LBB254_350:                            ;   in Loop: Header=BB254_9 Depth=1
	v_cmp_ne_u16_e64 s[4:5], 0, v4
	s_andn2_b64 s[20:21], s[20:21], exec
	s_and_b64 s[4:5], s[4:5], exec
	v_mov_b32_e32 v35, 0
	s_or_b64 s[20:21], s[20:21], s[4:5]
	s_or_b64 exec, exec, s[22:23]
	s_and_saveexec_b64 s[22:23], s[20:21]
	s_cbranch_execnz .LBB254_152
	s_branch .LBB254_153
.LBB254_351:                            ;   in Loop: Header=BB254_9 Depth=1
	v_cmp_eq_u16_sdwa s[28:29], v4, s26 src0_sel:BYTE_0 src1_sel:DWORD
	s_mov_b64 s[4:5], -1
                                        ; implicit-def: $sgpr24
	s_and_saveexec_b64 s[22:23], s[28:29]
; %bb.352:                              ;   in Loop: Header=BB254_9 Depth=1
	s_mov_b32 s24, 0x7fc02000
	s_xor_b64 s[4:5], exec, -1
; %bb.353:                              ;   in Loop: Header=BB254_9 Depth=1
	s_or_b64 exec, exec, s[22:23]
	s_and_b64 s[4:5], s[4:5], exec
	s_or_saveexec_b64 s[20:21], s[20:21]
	v_mov_b32_e32 v13, s24
	s_xor_b64 exec, exec, s[20:21]
	s_cbranch_execz .LBB254_155
.LBB254_354:                            ;   in Loop: Header=BB254_9 Depth=1
	v_cmp_ne_u16_sdwa s[22:23], v4, v5 src0_sel:BYTE_0 src1_sel:DWORD
	s_andn2_b64 s[4:5], s[4:5], exec
	s_and_b64 s[22:23], s[22:23], exec
	v_mov_b32_e32 v13, 0
	s_or_b64 s[4:5], s[4:5], s[22:23]
	s_or_b64 exec, exec, s[20:21]
	v_and_b32_e32 v4, 0xffff, v4
	s_and_saveexec_b64 s[20:21], s[4:5]
	s_cbranch_execnz .LBB254_156
	s_branch .LBB254_157
.LBB254_355:                            ;   in Loop: Header=BB254_9 Depth=1
	v_cmp_eq_u16_e64 s[4:5], s26, v4
	s_mov_b64 s[20:21], -1
                                        ; implicit-def: $sgpr28
	s_and_saveexec_b64 s[24:25], s[4:5]
; %bb.356:                              ;   in Loop: Header=BB254_9 Depth=1
	s_mov_b32 s28, 0x7fc02000
	s_xor_b64 s[20:21], exec, -1
; %bb.357:                              ;   in Loop: Header=BB254_9 Depth=1
	s_or_b64 exec, exec, s[24:25]
	s_and_b64 s[20:21], s[20:21], exec
	s_or_saveexec_b64 s[22:23], s[22:23]
	v_mov_b32_e32 v33, s28
	s_xor_b64 exec, exec, s[22:23]
	s_cbranch_execz .LBB254_159
.LBB254_358:                            ;   in Loop: Header=BB254_9 Depth=1
	v_cmp_ne_u16_e64 s[4:5], 0, v4
	s_andn2_b64 s[20:21], s[20:21], exec
	s_and_b64 s[4:5], s[4:5], exec
	v_mov_b32_e32 v33, 0
	s_or_b64 s[20:21], s[20:21], s[4:5]
	s_or_b64 exec, exec, s[22:23]
	s_and_saveexec_b64 s[22:23], s[20:21]
	s_cbranch_execnz .LBB254_160
	s_branch .LBB254_161
.LBB254_359:                            ;   in Loop: Header=BB254_9 Depth=1
	v_cmp_eq_u16_sdwa s[28:29], v4, s26 src0_sel:BYTE_0 src1_sel:DWORD
	s_mov_b64 s[4:5], -1
                                        ; implicit-def: $sgpr24
	s_and_saveexec_b64 s[22:23], s[28:29]
; %bb.360:                              ;   in Loop: Header=BB254_9 Depth=1
	s_mov_b32 s24, 0x7fc02000
	s_xor_b64 s[4:5], exec, -1
; %bb.361:                              ;   in Loop: Header=BB254_9 Depth=1
	s_or_b64 exec, exec, s[22:23]
	s_and_b64 s[4:5], s[4:5], exec
	s_or_saveexec_b64 s[20:21], s[20:21]
	v_mov_b32_e32 v9, s24
	s_xor_b64 exec, exec, s[20:21]
	s_cbranch_execz .LBB254_163
.LBB254_362:                            ;   in Loop: Header=BB254_9 Depth=1
	v_cmp_ne_u16_sdwa s[22:23], v4, v5 src0_sel:BYTE_0 src1_sel:DWORD
	s_andn2_b64 s[4:5], s[4:5], exec
	s_and_b64 s[22:23], s[22:23], exec
	v_mov_b32_e32 v9, 0
	s_or_b64 s[4:5], s[4:5], s[22:23]
	s_or_b64 exec, exec, s[20:21]
	v_and_b32_e32 v4, 0xffff, v4
	s_and_saveexec_b64 s[20:21], s[4:5]
	s_cbranch_execnz .LBB254_164
	s_branch .LBB254_165
.LBB254_363:                            ;   in Loop: Header=BB254_9 Depth=1
	v_cmp_eq_u16_e64 s[4:5], s26, v4
	s_mov_b64 s[20:21], -1
                                        ; implicit-def: $sgpr28
	s_and_saveexec_b64 s[24:25], s[4:5]
; %bb.364:                              ;   in Loop: Header=BB254_9 Depth=1
	s_mov_b32 s28, 0x7fc02000
	s_xor_b64 s[20:21], exec, -1
; %bb.365:                              ;   in Loop: Header=BB254_9 Depth=1
	s_or_b64 exec, exec, s[24:25]
	s_and_b64 s[20:21], s[20:21], exec
	s_or_saveexec_b64 s[22:23], s[22:23]
	v_mov_b32_e32 v16, s28
	s_xor_b64 exec, exec, s[22:23]
	s_cbranch_execz .LBB254_167
.LBB254_366:                            ;   in Loop: Header=BB254_9 Depth=1
	v_cmp_ne_u16_e64 s[4:5], 0, v4
	s_andn2_b64 s[20:21], s[20:21], exec
	s_and_b64 s[4:5], s[4:5], exec
	v_mov_b32_e32 v16, 0
	s_or_b64 s[20:21], s[20:21], s[4:5]
	s_or_b64 exec, exec, s[22:23]
	s_and_saveexec_b64 s[22:23], s[20:21]
	s_cbranch_execnz .LBB254_168
	s_branch .LBB254_169
.LBB254_367:                            ;   in Loop: Header=BB254_9 Depth=1
	v_cmp_eq_u16_sdwa s[28:29], v4, s26 src0_sel:BYTE_0 src1_sel:DWORD
	s_mov_b64 s[4:5], -1
                                        ; implicit-def: $sgpr24
	s_and_saveexec_b64 s[22:23], s[28:29]
; %bb.368:                              ;   in Loop: Header=BB254_9 Depth=1
	s_mov_b32 s24, 0x7fc02000
	s_xor_b64 s[4:5], exec, -1
; %bb.369:                              ;   in Loop: Header=BB254_9 Depth=1
	s_or_b64 exec, exec, s[22:23]
	s_and_b64 s[4:5], s[4:5], exec
	s_or_saveexec_b64 s[20:21], s[20:21]
	v_mov_b32_e32 v17, s24
	s_xor_b64 exec, exec, s[20:21]
	s_cbranch_execz .LBB254_171
.LBB254_370:                            ;   in Loop: Header=BB254_9 Depth=1
	v_cmp_ne_u16_sdwa s[22:23], v4, v5 src0_sel:BYTE_0 src1_sel:DWORD
	s_andn2_b64 s[4:5], s[4:5], exec
	s_and_b64 s[22:23], s[22:23], exec
	v_mov_b32_e32 v17, 0
	s_or_b64 s[4:5], s[4:5], s[22:23]
	s_or_b64 exec, exec, s[20:21]
	v_and_b32_e32 v4, 0xffff, v4
	s_and_saveexec_b64 s[20:21], s[4:5]
	s_cbranch_execnz .LBB254_172
	s_branch .LBB254_173
.LBB254_371:                            ;   in Loop: Header=BB254_9 Depth=1
	v_cmp_eq_u16_e64 s[4:5], s26, v4
	s_mov_b64 s[20:21], -1
                                        ; implicit-def: $sgpr28
	s_and_saveexec_b64 s[24:25], s[4:5]
; %bb.372:                              ;   in Loop: Header=BB254_9 Depth=1
	s_mov_b32 s28, 0x7fc02000
	s_xor_b64 s[20:21], exec, -1
; %bb.373:                              ;   in Loop: Header=BB254_9 Depth=1
	s_or_b64 exec, exec, s[24:25]
	s_and_b64 s[20:21], s[20:21], exec
	s_or_saveexec_b64 s[22:23], s[22:23]
	v_mov_b32_e32 v24, s28
	s_xor_b64 exec, exec, s[22:23]
	s_cbranch_execz .LBB254_175
.LBB254_374:                            ;   in Loop: Header=BB254_9 Depth=1
	v_cmp_ne_u16_e64 s[4:5], 0, v4
	s_andn2_b64 s[20:21], s[20:21], exec
	s_and_b64 s[4:5], s[4:5], exec
	v_mov_b32_e32 v24, 0
	s_or_b64 s[20:21], s[20:21], s[4:5]
	s_or_b64 exec, exec, s[22:23]
	s_and_saveexec_b64 s[22:23], s[20:21]
	s_cbranch_execnz .LBB254_176
	s_branch .LBB254_177
.LBB254_375:                            ;   in Loop: Header=BB254_9 Depth=1
	v_cmp_eq_u16_sdwa s[28:29], v4, s26 src0_sel:BYTE_0 src1_sel:DWORD
	s_mov_b64 s[4:5], -1
                                        ; implicit-def: $sgpr24
	s_and_saveexec_b64 s[22:23], s[28:29]
; %bb.376:                              ;   in Loop: Header=BB254_9 Depth=1
	s_mov_b32 s24, 0x7fc02000
	s_xor_b64 s[4:5], exec, -1
; %bb.377:                              ;   in Loop: Header=BB254_9 Depth=1
	s_or_b64 exec, exec, s[22:23]
	s_and_b64 s[4:5], s[4:5], exec
	s_or_saveexec_b64 s[20:21], s[20:21]
	v_mov_b32_e32 v25, s24
	s_xor_b64 exec, exec, s[20:21]
	s_cbranch_execz .LBB254_179
.LBB254_378:                            ;   in Loop: Header=BB254_9 Depth=1
	v_cmp_ne_u16_sdwa s[22:23], v4, v5 src0_sel:BYTE_0 src1_sel:DWORD
	s_andn2_b64 s[4:5], s[4:5], exec
	s_and_b64 s[22:23], s[22:23], exec
	v_mov_b32_e32 v25, 0
	s_or_b64 s[4:5], s[4:5], s[22:23]
	s_or_b64 exec, exec, s[20:21]
	v_and_b32_e32 v4, 0xffff, v4
	s_and_saveexec_b64 s[20:21], s[4:5]
	s_cbranch_execnz .LBB254_180
	s_branch .LBB254_181
.LBB254_379:                            ;   in Loop: Header=BB254_9 Depth=1
	v_cmp_eq_u16_e64 s[4:5], s26, v4
	s_mov_b64 s[20:21], -1
                                        ; implicit-def: $sgpr28
	s_and_saveexec_b64 s[24:25], s[4:5]
; %bb.380:                              ;   in Loop: Header=BB254_9 Depth=1
	s_mov_b32 s28, 0x7fc02000
	s_xor_b64 s[20:21], exec, -1
; %bb.381:                              ;   in Loop: Header=BB254_9 Depth=1
	s_or_b64 exec, exec, s[24:25]
	s_and_b64 s[20:21], s[20:21], exec
	s_or_saveexec_b64 s[22:23], s[22:23]
	v_mov_b32_e32 v34, s28
	s_xor_b64 exec, exec, s[22:23]
	s_cbranch_execz .LBB254_183
.LBB254_382:                            ;   in Loop: Header=BB254_9 Depth=1
	v_cmp_ne_u16_e64 s[4:5], 0, v4
	s_andn2_b64 s[20:21], s[20:21], exec
	s_and_b64 s[4:5], s[4:5], exec
	v_mov_b32_e32 v34, 0
	s_or_b64 s[20:21], s[20:21], s[4:5]
	s_or_b64 exec, exec, s[22:23]
	s_and_saveexec_b64 s[22:23], s[20:21]
	s_cbranch_execnz .LBB254_184
	s_branch .LBB254_185
.LBB254_383:                            ;   in Loop: Header=BB254_9 Depth=1
	v_cmp_eq_u16_sdwa s[28:29], v4, s26 src0_sel:BYTE_0 src1_sel:DWORD
	s_mov_b64 s[4:5], -1
                                        ; implicit-def: $sgpr24
	s_and_saveexec_b64 s[22:23], s[28:29]
; %bb.384:                              ;   in Loop: Header=BB254_9 Depth=1
	s_mov_b32 s24, 0x7fc02000
	s_xor_b64 s[4:5], exec, -1
; %bb.385:                              ;   in Loop: Header=BB254_9 Depth=1
	s_or_b64 exec, exec, s[22:23]
	s_and_b64 s[4:5], s[4:5], exec
	s_or_saveexec_b64 s[20:21], s[20:21]
	v_mov_b32_e32 v18, s24
	s_xor_b64 exec, exec, s[20:21]
	s_cbranch_execz .LBB254_187
.LBB254_386:                            ;   in Loop: Header=BB254_9 Depth=1
	v_cmp_ne_u16_sdwa s[22:23], v4, v5 src0_sel:BYTE_0 src1_sel:DWORD
	s_andn2_b64 s[4:5], s[4:5], exec
	s_and_b64 s[22:23], s[22:23], exec
	v_mov_b32_e32 v18, 0
	s_or_b64 s[4:5], s[4:5], s[22:23]
	s_or_b64 exec, exec, s[20:21]
	v_and_b32_e32 v4, 0xffff, v4
	s_and_saveexec_b64 s[20:21], s[4:5]
	s_cbranch_execnz .LBB254_188
	s_branch .LBB254_189
.LBB254_387:                            ;   in Loop: Header=BB254_9 Depth=1
	v_cmp_eq_u16_e64 s[4:5], s26, v4
	s_mov_b64 s[20:21], -1
                                        ; implicit-def: $sgpr28
	s_and_saveexec_b64 s[24:25], s[4:5]
; %bb.388:                              ;   in Loop: Header=BB254_9 Depth=1
	s_mov_b32 s28, 0x7fc02000
	s_xor_b64 s[20:21], exec, -1
; %bb.389:                              ;   in Loop: Header=BB254_9 Depth=1
	s_or_b64 exec, exec, s[24:25]
	s_and_b64 s[20:21], s[20:21], exec
	s_or_saveexec_b64 s[22:23], s[22:23]
	v_mov_b32_e32 v21, s28
	s_xor_b64 exec, exec, s[22:23]
	s_cbranch_execz .LBB254_191
.LBB254_390:                            ;   in Loop: Header=BB254_9 Depth=1
	v_cmp_ne_u16_e64 s[4:5], 0, v4
	s_andn2_b64 s[20:21], s[20:21], exec
	s_and_b64 s[4:5], s[4:5], exec
	v_mov_b32_e32 v21, 0
	s_or_b64 s[20:21], s[20:21], s[4:5]
	s_or_b64 exec, exec, s[22:23]
	s_and_saveexec_b64 s[22:23], s[20:21]
	s_cbranch_execnz .LBB254_192
	s_branch .LBB254_193
.LBB254_391:                            ;   in Loop: Header=BB254_9 Depth=1
	v_cmp_eq_u16_sdwa s[28:29], v4, s26 src0_sel:BYTE_0 src1_sel:DWORD
	s_mov_b64 s[4:5], -1
                                        ; implicit-def: $sgpr24
	s_and_saveexec_b64 s[22:23], s[28:29]
; %bb.392:                              ;   in Loop: Header=BB254_9 Depth=1
	s_mov_b32 s24, 0x7fc02000
	s_xor_b64 s[4:5], exec, -1
; %bb.393:                              ;   in Loop: Header=BB254_9 Depth=1
	s_or_b64 exec, exec, s[22:23]
	s_and_b64 s[4:5], s[4:5], exec
	s_or_saveexec_b64 s[20:21], s[20:21]
	v_mov_b32_e32 v28, s24
	s_xor_b64 exec, exec, s[20:21]
	s_cbranch_execz .LBB254_195
.LBB254_394:                            ;   in Loop: Header=BB254_9 Depth=1
	v_cmp_ne_u16_sdwa s[22:23], v4, v5 src0_sel:BYTE_0 src1_sel:DWORD
	s_andn2_b64 s[4:5], s[4:5], exec
	s_and_b64 s[22:23], s[22:23], exec
	v_mov_b32_e32 v28, 0
	s_or_b64 s[4:5], s[4:5], s[22:23]
	s_or_b64 exec, exec, s[20:21]
	v_and_b32_e32 v4, 0xffff, v4
	s_and_saveexec_b64 s[20:21], s[4:5]
	s_cbranch_execnz .LBB254_196
	s_branch .LBB254_197
.LBB254_395:
	s_or_b64 exec, exec, s[18:19]
	scratch_load_dword v6, off, s32 offset:92 ; 4-byte Folded Reload
	v_accvgpr_read_b32 v10, a10
	v_accvgpr_read_b32 v23, a13
	;; [unrolled: 1-line block ×10, first 2 shown]
.LBB254_396:
	s_or_b64 exec, exec, s[6:7]
	v_accvgpr_read_b32 v7, a21
	v_xor_b32_e32 v0, 32, v7
	v_cmp_lt_i32_e32 vcc, v0, v1
	v_xor_b32_e32 v4, 16, v7
	s_waitcnt vmcnt(0)
	v_max_f32_e32 v3, v6, v6
	v_cndmask_b32_e32 v0, v7, v0, vcc
	v_lshlrev_b32_e32 v2, 2, v0
	ds_bpermute_b32 v0, v2, v6
	v_cmp_lt_i32_e32 vcc, v4, v1
	v_xor_b32_e32 v5, 8, v7
	v_and_b32_e32 v19, 63, v18
	s_waitcnt lgkmcnt(0)
	s_lshr_b32 s15, s15, 16
	v_max_f32_e32 v0, v0, v0
	v_max_f32_e32 v0, v3, v0
	v_cndmask_b32_e32 v3, v7, v4, vcc
	v_lshlrev_b32_e32 v3, 2, v3
	ds_bpermute_b32 v4, v3, v0
	v_cmp_lt_i32_e32 vcc, v5, v1
	s_waitcnt lgkmcnt(0)
	v_max_f32_e32 v4, v4, v4
	v_max_f32_e32 v0, v0, v4
	v_cndmask_b32_e32 v4, v7, v5, vcc
	v_lshlrev_b32_e32 v6, 2, v4
	ds_bpermute_b32 v4, v6, v0
	v_xor_b32_e32 v5, 4, v7
	v_cmp_lt_i32_e32 vcc, v5, v1
	s_waitcnt lgkmcnt(0)
	v_max_f32_e32 v4, v4, v4
	v_max_f32_e32 v0, v0, v4
	v_cndmask_b32_e32 v4, v7, v5, vcc
	v_lshlrev_b32_e32 v7, 2, v4
	ds_bpermute_b32 v5, v7, v0
	v_accvgpr_read_b32 v4, a7
	v_cmp_eq_u32_e32 vcc, 0, v19
	v_lshlrev_b32_e32 v4, 2, v4
	s_and_saveexec_b64 s[2:3], vcc
	s_cbranch_execz .LBB254_398
; %bb.397:
	s_waitcnt lgkmcnt(0)
	v_max_f32_e32 v5, v5, v5
	v_max_f32_e32 v0, v0, v0
	;; [unrolled: 1-line block ×3, first 2 shown]
	ds_write_b32 v4, v0 offset:384
.LBB254_398:
	s_or_b64 exec, exec, s[2:3]
	v_cmp_gt_u32_e64 s[2:3], 2, v19
	v_mov_b32_e32 v0, 0xff7fffff
	s_waitcnt lgkmcnt(0)
	v_lshlrev_b32_e32 v5, 2, v19
	s_barrier
	s_and_saveexec_b64 s[4:5], s[2:3]
	s_cbranch_execz .LBB254_400
; %bb.399:
	ds_read_b32 v0, v5 offset:384
.LBB254_400:
	s_or_b64 exec, exec, s[4:5]
	v_accvgpr_read_b32 v9, a21
	v_xor_b32_e32 v8, 1, v9
	v_cmp_lt_i32_e64 s[4:5], v8, v1
	v_accvgpr_read_b32 v12, a8
	v_mov_b32_e32 v14, 0
	v_cndmask_b32_e64 v8, v9, v8, s[4:5]
	v_lshlrev_b32_e32 v33, 2, v8
	s_waitcnt lgkmcnt(0)
	ds_bpermute_b32 v8, v33, v0
	v_max_f32_e32 v0, v0, v0
	v_lshlrev_b32_e32 v9, 2, v9
	s_waitcnt lgkmcnt(0)
	v_max_f32_e32 v8, v8, v8
	v_max_f32_e32 v0, v0, v8
	v_and_b32_e32 v8, 0xffffff00, v9
	ds_bpermute_b32 v9, v8, v0
	v_accvgpr_read_b32 v0, a3
	v_lshlrev_b32_e32 v0, 4, v0
	v_min_i32_e32 v0, v0, v12
	v_cmp_lt_i32_e64 s[4:5], v18, v0
	s_and_saveexec_b64 s[8:9], s[4:5]
	s_cbranch_execz .LBB254_404
; %bb.401:
	s_ashr_i32 s17, s16, 31
	s_lshl_b64 s[6:7], s[16:17], 2
	s_getpc_b64 s[18:19]
	s_add_u32 s18, s18, llvm.amdgcn.dynlds.offset.table@rel32@lo+4
	s_addc_u32 s19, s19, llvm.amdgcn.dynlds.offset.table@rel32@hi+12
	s_add_u32 s6, s6, s18
	s_addc_u32 s7, s7, s19
	s_load_dword s6, s[6:7], 0x0
	s_mov_b64 s[18:19], 0
	v_mov_b32_e32 v14, 0
	v_mov_b32_e32 v13, v18
	s_waitcnt lgkmcnt(0)
	v_lshl_add_u32 v15, v18, 2, s6
.LBB254_402:                            ; =>This Inner Loop Header: Depth=1
	ds_read_b32 v12, v15
	v_add_u32_e32 v13, 0x80, v13
	v_cmp_ge_i32_e64 s[6:7], v13, v0
	s_or_b64 s[18:19], s[6:7], s[18:19]
	s_waitcnt lgkmcnt(0)
	v_sub_f32_e32 v12, v12, v9
	v_mul_f32_e32 v12, 0x3fb8aa3b, v12
	v_exp_f32_e32 v12, v12
	ds_write_b32 v15, v12
	v_add_f32_e32 v14, v14, v12
	v_add_u32_e32 v15, 0x200, v15
	s_andn2_b64 exec, exec, s[18:19]
	s_cbranch_execnz .LBB254_402
; %bb.403:
	s_or_b64 exec, exec, s[18:19]
.LBB254_404:
	s_or_b64 exec, exec, s[8:9]
	ds_bpermute_b32 v2, v2, v14
	s_waitcnt lgkmcnt(0)
	v_add_f32_e32 v2, v14, v2
	ds_bpermute_b32 v3, v3, v2
	s_waitcnt lgkmcnt(0)
	v_add_f32_e32 v2, v2, v3
	;; [unrolled: 3-line block ×3, first 2 shown]
	ds_bpermute_b32 v3, v7, v2
	v_accvgpr_read_b32 v7, a21
	v_xor_b32_e32 v6, 2, v7
	v_cmp_lt_i32_e64 s[6:7], v6, v1
	s_waitcnt lgkmcnt(0)
	v_add_f32_e32 v2, v2, v3
	v_cndmask_b32_e64 v1, v7, v6, s[6:7]
	v_lshlrev_b32_e32 v1, 2, v1
	ds_bpermute_b32 v1, v1, v2
	s_waitcnt lgkmcnt(0)
	v_add_f32_e32 v1, v2, v1
	ds_bpermute_b32 v2, v33, v1
	s_waitcnt lgkmcnt(0)
	v_add_f32_e32 v1, v1, v2
	s_and_saveexec_b64 s[6:7], vcc
	s_cbranch_execz .LBB254_406
; %bb.405:
	ds_write_b32 v4, v1 offset:392
.LBB254_406:
	s_or_b64 exec, exec, s[6:7]
	s_waitcnt lgkmcnt(0)
	s_barrier
	s_and_saveexec_b64 s[6:7], s[2:3]
	s_cbranch_execz .LBB254_408
; %bb.407:
	ds_read_b32 v1, v5 offset:392
.LBB254_408:
	s_or_b64 exec, exec, s[6:7]
	s_waitcnt lgkmcnt(0)
	ds_bpermute_b32 v2, v33, v1
	s_waitcnt lgkmcnt(0)
	v_add_f32_e32 v1, v1, v2
	ds_bpermute_b32 v1, v8, v1
	s_and_saveexec_b64 s[2:3], s[4:5]
	s_cbranch_execz .LBB254_421
; %bb.409:
	s_waitcnt lgkmcnt(0)
	v_add_f32_e32 v1, 0x358637bd, v1
	v_div_scale_f32 v2, s[4:5], v1, v1, 1.0
	v_rcp_f32_e32 v3, v2
	v_div_scale_f32 v4, vcc, 1.0, v1, 1.0
	s_movk_i32 s4, 0x7f
	v_fma_f32 v5, -v2, v3, 1.0
	v_fmac_f32_e32 v3, v5, v3
	v_mul_f32_e32 v5, v4, v3
	v_fma_f32 v6, -v2, v5, v4
	v_fmac_f32_e32 v5, v6, v3
	v_fma_f32 v2, -v2, v5, v4
	v_div_fmas_f32 v2, v2, v3, v5
	v_div_fixup_f32 v4, v2, v1, 1.0
	v_xad_u32 v2, v18, -1, v0
	v_cmp_lt_u32_e32 vcc, s4, v2
	s_mov_b64 s[6:7], -1
	v_mov_b32_e32 v1, v18
	s_and_saveexec_b64 s[4:5], vcc
	s_cbranch_execz .LBB254_418
; %bb.410:
	v_lshrrev_b32_e32 v1, 7, v2
	v_add_u32_e32 v3, -1, v1
	v_lshrrev_b32_e32 v2, 1, v3
	v_mov_b32_e32 v5, v4
	v_add_u32_e32 v2, 1, v2
	v_cmp_lt_u32_e32 vcc, 13, v3
	v_mov_b32_e32 v7, 0
	s_and_saveexec_b64 s[6:7], vcc
	s_cbranch_execz .LBB254_414
; %bb.411:
	s_ashr_i32 s17, s16, 31
	s_lshl_b64 s[8:9], s[16:17], 2
	s_getpc_b64 s[18:19]
	s_add_u32 s18, s18, llvm.amdgcn.dynlds.offset.table@rel32@lo+4
	s_addc_u32 s19, s19, llvm.amdgcn.dynlds.offset.table@rel32@hi+12
	s_add_u32 s8, s8, s18
	s_addc_u32 s9, s9, s19
	s_load_dword s8, s[8:9], 0x0
	v_and_b32_e32 v3, -8, v2
	s_mov_b32 s17, 0
	s_waitcnt lgkmcnt(0)
	v_lshl_add_u32 v6, v18, 2, s8
	s_mov_b64 s[8:9], 0
.LBB254_412:                            ; =>This Inner Loop Header: Depth=1
	ds_read2st64_b32 v[8:9], v6 offset1:2
	ds_read2st64_b32 v[12:13], v6 offset0:4 offset1:6
	ds_read2st64_b32 v[14:15], v6 offset0:8 offset1:10
	;; [unrolled: 1-line block ×3, first 2 shown]
	v_add_u32_e32 v3, -8, v3
	s_waitcnt lgkmcnt(3)
	v_pk_mul_f32 v[8:9], v[4:5], v[8:9]
	s_waitcnt lgkmcnt(2)
	v_pk_mul_f32 v[12:13], v[4:5], v[12:13]
	ds_write2st64_b32 v6, v8, v9 offset1:2
	ds_write2st64_b32 v6, v12, v13 offset0:4 offset1:6
	ds_read2st64_b32 v[12:13], v6 offset0:16 offset1:18
	s_waitcnt lgkmcnt(4)
	v_pk_mul_f32 v[8:9], v[4:5], v[14:15]
	ds_write2st64_b32 v6, v8, v9 offset0:8 offset1:10
	s_waitcnt lgkmcnt(4)
	v_pk_mul_f32 v[8:9], v[4:5], v[16:17]
	ds_write2st64_b32 v6, v8, v9 offset0:12 offset1:14
	ds_read2st64_b32 v[8:9], v6 offset0:20 offset1:22
	s_waitcnt lgkmcnt(3)
	v_pk_mul_f32 v[12:13], v[4:5], v[12:13]
	ds_read2st64_b32 v[14:15], v6 offset0:24 offset1:26
	ds_write2st64_b32 v6, v12, v13 offset0:16 offset1:18
	ds_read2st64_b32 v[12:13], v6 offset0:28 offset1:30
	s_waitcnt lgkmcnt(3)
	v_pk_mul_f32 v[8:9], v[4:5], v[8:9]
	ds_write2st64_b32 v6, v8, v9 offset0:20 offset1:22
	s_waitcnt lgkmcnt(3)
	v_pk_mul_f32 v[8:9], v[4:5], v[14:15]
	ds_write2st64_b32 v6, v8, v9 offset0:24 offset1:26
	s_waitcnt lgkmcnt(2)
	v_pk_mul_f32 v[8:9], v[4:5], v[12:13]
	s_add_i32 s17, s17, 16
	v_cmp_eq_u32_e32 vcc, 0, v3
	ds_write2st64_b32 v6, v8, v9 offset0:28 offset1:30
	v_add_u32_e32 v6, 0x2000, v6
	s_or_b64 s[8:9], vcc, s[8:9]
	v_mov_b32_e32 v7, s17
	s_andn2_b64 exec, exec, s[8:9]
	s_cbranch_execnz .LBB254_412
; %bb.413:
	s_or_b64 exec, exec, s[8:9]
.LBB254_414:
	s_or_b64 exec, exec, s[6:7]
	v_and_b32_e32 v2, 7, v2
	v_cmp_ne_u32_e32 vcc, 0, v2
	s_and_saveexec_b64 s[6:7], vcc
	s_cbranch_execz .LBB254_417
; %bb.415:
	s_ashr_i32 s17, s16, 31
	s_lshl_b64 s[8:9], s[16:17], 2
	s_getpc_b64 s[18:19]
	s_add_u32 s18, s18, llvm.amdgcn.dynlds.offset.table@rel32@lo+4
	s_addc_u32 s19, s19, llvm.amdgcn.dynlds.offset.table@rel32@hi+12
	s_add_u32 s8, s8, s18
	s_addc_u32 s9, s9, s19
	s_load_dword s8, s[8:9], 0x0
	v_lshlrev_b32_e32 v3, 9, v7
	v_lshlrev_b32_e32 v6, 2, v18
	s_waitcnt lgkmcnt(0)
	v_add3_u32 v3, v3, v6, s8
	s_mov_b64 s[8:9], 0
.LBB254_416:                            ; =>This Inner Loop Header: Depth=1
	ds_read2st64_b32 v[6:7], v3 offset1:2
	v_add_u32_e32 v2, -1, v2
	v_cmp_eq_u32_e32 vcc, 0, v2
	s_or_b64 s[8:9], vcc, s[8:9]
	s_waitcnt lgkmcnt(0)
	v_pk_mul_f32 v[6:7], v[4:5], v[6:7]
	ds_write2st64_b32 v3, v6, v7 offset1:2
	v_add_u32_e32 v3, 0x400, v3
	s_andn2_b64 exec, exec, s[8:9]
	s_cbranch_execnz .LBB254_416
.LBB254_417:
	s_or_b64 exec, exec, s[6:7]
	v_add_u32_e32 v2, 1, v1
	v_and_b32_e32 v3, 0x3fffffe, v2
	v_cmp_ne_u32_e32 vcc, v2, v3
	v_lshl_add_u32 v1, v3, 7, v18
	s_orn2_b64 s[6:7], vcc, exec
.LBB254_418:
	s_or_b64 exec, exec, s[4:5]
	s_and_b64 exec, exec, s[6:7]
	s_cbranch_execz .LBB254_421
; %bb.419:
	s_ashr_i32 s17, s16, 31
	s_lshl_b64 s[4:5], s[16:17], 2
	s_getpc_b64 s[6:7]
	s_add_u32 s6, s6, llvm.amdgcn.dynlds.offset.table@rel32@lo+4
	s_addc_u32 s7, s7, llvm.amdgcn.dynlds.offset.table@rel32@hi+12
	s_add_u32 s4, s4, s6
	s_addc_u32 s5, s5, s7
	s_load_dword s4, s[4:5], 0x0
	s_waitcnt lgkmcnt(0)
	v_lshl_add_u32 v2, v1, 2, s4
	s_mov_b64 s[4:5], 0
.LBB254_420:                            ; =>This Inner Loop Header: Depth=1
	ds_read_b32 v3, v2
	v_add_u32_e32 v1, 0x80, v1
	v_cmp_ge_i32_e32 vcc, v1, v0
	s_or_b64 s[4:5], vcc, s[4:5]
	s_waitcnt lgkmcnt(0)
	v_mul_f32_e32 v3, v4, v3
	ds_write_b32 v2, v3
	v_add_u32_e32 v2, 0x200, v2
	s_andn2_b64 exec, exec, s[4:5]
	s_cbranch_execnz .LBB254_420
.LBB254_421:
	s_or_b64 exec, exec, s[2:3]
	v_mov_b32_e32 v5, 0
	v_and_b32_e32 v34, 1, v18
	v_mov_b32_e32 v4, 0
	v_mov_b32_e32 v17, 0
	;; [unrolled: 1-line block ×5, first 2 shown]
	s_waitcnt lgkmcnt(0)
	s_barrier
	s_and_saveexec_b64 s[2:3], s[0:1]
	s_cbranch_execz .LBB254_821
; %bb.422:
	s_ashr_i32 s17, s16, 31
	s_lshl_b64 s[0:1], s[16:17], 2
	s_getpc_b64 s[4:5]
	s_add_u32 s4, s4, llvm.amdgcn.dynlds.offset.table@rel32@lo+4
	s_addc_u32 s5, s5, llvm.amdgcn.dynlds.offset.table@rel32@hi+12
	s_add_u32 s0, s0, s4
	v_lshlrev_b32_e32 v2, 3, v18
	s_addc_u32 s1, s1, s5
	v_lshl_add_u64 v[0:1], v[22:23], 0, v[28:29]
	v_and_b32_e32 v6, 0x1f8, v2
	v_mov_b32_e32 v7, 0
	s_load_dword s0, s[0:1], 0x0
	v_lshl_add_u64 v[14:15], v[0:1], 0, v[6:7]
	v_and_b32_e32 v6, 60, v26
	v_accvgpr_read_b32 v3, a3
	v_lshl_add_u64 v[0:1], v[24:25], 2, v[6:7]
	v_and_b32_e32 v4, 8, v2
	v_add_u32_e32 v35, -1, v3
	v_lshl_add_u64 v[2:3], v[10:11], 0, v[0:1]
	v_accvgpr_read_b32 v1, a7
	v_lshlrev_b32_e32 v0, 5, v34
	v_lshl_or_b32 v0, v1, 6, v0
	v_accvgpr_write_b32 a2, v18
	v_accvgpr_read_b32 v9, a8
	v_lshl_or_b32 v36, v1, 4, v4
	s_waitcnt lgkmcnt(0)
	v_add_u32_e32 v37, s0, v0
	s_mov_b64 s[4:5], 0
	s_movk_i32 s17, 0x7f
	s_movk_i32 s20, 0x80
	s_mov_b32 s21, 0x8000
	s_movk_i32 s22, 0x380
	s_mov_b32 s23, 0x3020706
	s_mov_b32 s24, 0x1000504
	;; [unrolled: 1-line block ×3, first 2 shown]
	v_mov_b32_e32 v38, 0x1c00
	v_mov_b32_e32 v20, 0
	;; [unrolled: 1-line block ×7, first 2 shown]
	s_branch .LBB254_424
.LBB254_423:                            ;   in Loop: Header=BB254_424 Depth=1
	s_or_b64 exec, exec, s[0:1]
	v_add_f32_e32 v0, v0, v1
	v_add_f32_e32 v17, v17, v0
	;; [unrolled: 1-line block ×4, first 2 shown]
	;;#ASMSTART
	v_pk_mul_f16 v0, v54, v22;

	;;#ASMEND
	;;#ASMSTART
	v_pk_mul_f16 v1, v55, v6;

	;;#ASMEND
	;; [unrolled: 4-line block ×4, first 2 shown]
	v_add_f32_e32 v12, v42, v43
	;;#ASMSTART
	v_pk_add_f16 v0, v0, v1;

	;;#ASMEND
	v_add_f32_e32 v20, v20, v12
	;;#ASMSTART
	v_pk_add_f16 v0, v0, v6;

	;;#ASMEND
	;; [unrolled: 5-line block ×3, first 2 shown]
	v_add_f32_e32 v21, v21, v12
	v_lshrrev_b32_e32 v1, 16, v0
	v_and_b32_e32 v0, 0xffff, v0
	;;#ASMSTART
	v_cvt_f32_f16 v0, v0;
	;;#ASMEND
	;;#ASMSTART
	v_cvt_f32_f16 v1, v1;
	;;#ASMEND
	v_add_f32_e32 v12, v46, v47
	v_add_f32_e32 v0, v0, v1
	v_accvgpr_read_b32 v1, a7
	v_add_f32_e32 v5, v5, v0
	v_add_u32_e32 v1, 2, v1
	v_accvgpr_read_b32 v0, a3
	v_cmp_ge_i32_e32 vcc, v1, v0
	v_add_f32_e32 v16, v16, v12
	v_lshl_add_u64 v[2:3], v[2:3], 0, 8
	v_add_u32_e32 v36, 32, v36
	v_accvgpr_write_b32 a7, v1
	s_or_b64 s[4:5], vcc, s[4:5]
	v_add_u32_e32 v37, 0x80, v37
	s_andn2_b64 exec, exec, s[4:5]
	s_cbranch_execz .LBB254_820
.LBB254_424:                            ; =>This Inner Loop Header: Depth=1
	ds_read2_b64 v[22:25], v37 offset1:1
	ds_read2_b64 v[26:29], v37 offset0:2 offset1:3
	v_accvgpr_read_b32 v10, a6
                                        ; implicit-def: $sgpr18
	s_waitcnt lgkmcnt(1)
	;;#ASMSTART
	v_cvt_f16_f32 v0, v22;

	;;#ASMEND
	;;#ASMSTART
	v_cvt_f16_f32 v1, v23;

	;;#ASMEND
	;;#ASMSTART
	v_cvt_f16_f32 v8, v24;

	;;#ASMEND
	;;#ASMSTART
	v_cvt_f16_f32 v13, v25;

	;;#ASMEND
	s_waitcnt lgkmcnt(0)
	;;#ASMSTART
	v_cvt_f16_f32 v25, v26;

	;;#ASMEND
	;;#ASMSTART
	v_cvt_f16_f32 v40, v27;

	;;#ASMEND
	;; [unrolled: 4-line block ×4, first 2 shown]
	flat_load_dword v6, v[2:3]
	v_accvgpr_read_b32 v23, a5
	v_accvgpr_read_b32 v22, a4
	flat_load_dword v24, v[22:23]
	s_waitcnt vmcnt(0) lgkmcnt(0)
	v_mad_i64_i32 v[10:11], s[0:1], v6, v10, v[14:15]
	flat_load_dwordx2 v[26:27], v[10:11]
	s_mov_b64 s[0:1], 0
	s_waitcnt vmcnt(0) lgkmcnt(0)
	v_cmp_gt_i16_sdwa s[6:7], v26, s17 src0_sel:BYTE_0 src1_sel:DWORD
	s_and_saveexec_b64 s[8:9], s[6:7]
	s_xor_b64 s[6:7], exec, s[8:9]
	s_cbranch_execnz .LBB254_628
; %bb.425:                              ;   in Loop: Header=BB254_424 Depth=1
	s_or_saveexec_b64 s[6:7], s[6:7]
	v_mov_b32_e32 v28, s18
	s_xor_b64 exec, exec, s[6:7]
	s_cbranch_execnz .LBB254_631
.LBB254_426:                            ;   in Loop: Header=BB254_424 Depth=1
	s_or_b64 exec, exec, s[6:7]
	s_and_saveexec_b64 s[6:7], s[0:1]
	s_cbranch_execz .LBB254_428
.LBB254_427:                            ;   in Loop: Header=BB254_424 Depth=1
	v_and_b32_e32 v6, 7, v26
	v_ffbh_u32_e32 v6, v6
	v_bfe_u32 v12, v26, 3, 4
	v_min_u32_e32 v6, 32, v6
	v_subrev_u32_e32 v18, 28, v6
	v_sub_u32_e32 v6, 29, v6
	v_cmp_eq_u32_e32 vcc, 0, v12
	s_nop 1
	v_cndmask_b32_e32 v6, v12, v6, vcc
	v_cndmask_b32_e32 v12, 0, v18, vcc
	v_lshlrev_b64 v[22:23], v12, v[26:27]
	v_lshlrev_b32_e32 v18, 8, v26
	v_lshl_add_u32 v6, v6, 10, v38
	v_lshlrev_b32_e32 v12, 7, v22
	v_and_or_b32 v6, v18, s21, v6
	v_and_or_b32 v6, v12, s22, v6
	v_cvt_f32_f16_e32 v28, v6
.LBB254_428:                            ;   in Loop: Header=BB254_424 Depth=1
	s_or_b64 exec, exec, s[6:7]
	v_lshrrev_b16_e32 v6, 8, v26
	v_cmp_lt_i16_e32 vcc, s17, v6
	s_mov_b64 s[0:1], 0
                                        ; implicit-def: $sgpr18
	s_and_saveexec_b64 s[6:7], vcc
	s_xor_b64 s[6:7], exec, s[6:7]
	s_cbranch_execnz .LBB254_632
; %bb.429:                              ;   in Loop: Header=BB254_424 Depth=1
	s_or_saveexec_b64 s[6:7], s[6:7]
	v_mov_b32_e32 v30, s18
	s_xor_b64 exec, exec, s[6:7]
	s_cbranch_execnz .LBB254_635
.LBB254_430:                            ;   in Loop: Header=BB254_424 Depth=1
	s_or_b64 exec, exec, s[6:7]
	s_and_saveexec_b64 s[6:7], s[0:1]
	s_cbranch_execz .LBB254_432
.LBB254_431:                            ;   in Loop: Header=BB254_424 Depth=1
	v_and_b32_e32 v12, 7, v6
	v_ffbh_u32_e32 v22, v12
	v_min_u32_e32 v29, 32, v22
	v_subrev_u32_e32 v22, 28, v29
	v_bfe_u32 v18, v6, 3, 4
	v_lshlrev_b64 v[22:23], v22, v[6:7]
	v_sub_u32_e32 v23, 29, v29
	v_cmp_eq_u32_e32 vcc, 0, v18
	v_and_b32_e32 v22, 7, v22
	v_lshlrev_b32_e32 v6, 8, v6
	v_cndmask_b32_e32 v18, v18, v23, vcc
	v_lshl_add_u32 v18, v18, 10, v38
	v_cndmask_b32_e32 v12, v12, v22, vcc
	v_and_or_b32 v6, v6, s21, v18
	v_lshl_or_b32 v6, v12, 7, v6
	v_cvt_f32_f16_e32 v30, v6
.LBB254_432:                            ;   in Loop: Header=BB254_424 Depth=1
	s_or_b64 exec, exec, s[6:7]
	v_lshrrev_b32_e32 v6, 16, v26
	v_cmp_gt_i16_sdwa s[6:7], v6, s17 src0_sel:BYTE_0 src1_sel:DWORD
	s_mov_b64 s[0:1], 0
                                        ; implicit-def: $sgpr18
	s_and_saveexec_b64 s[8:9], s[6:7]
	s_xor_b64 s[6:7], exec, s[8:9]
	s_cbranch_execnz .LBB254_636
; %bb.433:                              ;   in Loop: Header=BB254_424 Depth=1
	s_or_saveexec_b64 s[6:7], s[6:7]
	v_mov_b32_e32 v29, s18
	s_xor_b64 exec, exec, s[6:7]
	s_cbranch_execnz .LBB254_639
.LBB254_434:                            ;   in Loop: Header=BB254_424 Depth=1
	s_or_b64 exec, exec, s[6:7]
	s_and_saveexec_b64 s[6:7], s[0:1]
	s_cbranch_execz .LBB254_436
.LBB254_435:                            ;   in Loop: Header=BB254_424 Depth=1
	v_bfe_u32 v12, v26, 16, 3
	v_ffbh_u32_e32 v22, v12
	v_min_u32_e32 v29, 32, v22
	v_subrev_u32_e32 v22, 28, v29
	v_bfe_u32 v18, v26, 19, 4
	v_lshlrev_b64 v[22:23], v22, v[6:7]
	v_sub_u32_e32 v23, 29, v29
	v_cmp_eq_u32_e32 vcc, 0, v18
	v_and_b32_e32 v22, 7, v22
	v_lshlrev_b32_e32 v6, 8, v6
	v_cndmask_b32_e32 v18, v18, v23, vcc
	v_lshl_add_u32 v18, v18, 10, v38
	v_cndmask_b32_e32 v12, v12, v22, vcc
	v_and_or_b32 v6, v6, s21, v18
	v_lshl_or_b32 v6, v12, 7, v6
	v_cvt_f32_f16_e32 v29, v6
.LBB254_436:                            ;   in Loop: Header=BB254_424 Depth=1
	s_or_b64 exec, exec, s[6:7]
	v_lshrrev_b32_e32 v6, 24, v26
	v_cmp_lt_i16_e32 vcc, s17, v6
	s_mov_b64 s[0:1], 0
                                        ; implicit-def: $sgpr18
	s_and_saveexec_b64 s[6:7], vcc
	s_xor_b64 s[6:7], exec, s[6:7]
	s_cbranch_execnz .LBB254_640
; %bb.437:                              ;   in Loop: Header=BB254_424 Depth=1
	s_or_saveexec_b64 s[6:7], s[6:7]
	v_mov_b32_e32 v31, s18
	s_xor_b64 exec, exec, s[6:7]
	s_cbranch_execnz .LBB254_643
.LBB254_438:                            ;   in Loop: Header=BB254_424 Depth=1
	s_or_b64 exec, exec, s[6:7]
	s_and_saveexec_b64 s[6:7], s[0:1]
	s_cbranch_execz .LBB254_440
.LBB254_439:                            ;   in Loop: Header=BB254_424 Depth=1
	v_bfe_u32 v12, v26, 24, 3
	v_ffbh_u32_e32 v22, v12
	v_bfe_u32 v18, v26, 27, 4
	v_min_u32_e32 v26, 32, v22
	v_subrev_u32_e32 v22, 28, v26
	v_lshlrev_b64 v[22:23], v22, v[6:7]
	v_sub_u32_e32 v23, 29, v26
	v_cmp_eq_u32_e32 vcc, 0, v18
	v_and_b32_e32 v22, 7, v22
	v_lshlrev_b32_e32 v6, 8, v6
	v_cndmask_b32_e32 v18, v18, v23, vcc
	v_lshl_add_u32 v18, v18, 10, v38
	v_cndmask_b32_e32 v12, v12, v22, vcc
	v_and_or_b32 v6, v6, s21, v18
	v_lshl_or_b32 v6, v12, 7, v6
	v_cvt_f32_f16_e32 v31, v6
.LBB254_440:                            ;   in Loop: Header=BB254_424 Depth=1
	s_or_b64 exec, exec, s[6:7]
	v_cmp_gt_i16_sdwa s[6:7], v27, s17 src0_sel:BYTE_0 src1_sel:DWORD
	s_mov_b64 s[0:1], 0
                                        ; implicit-def: $sgpr18
	s_and_saveexec_b64 s[8:9], s[6:7]
	s_xor_b64 s[6:7], exec, s[8:9]
	s_cbranch_execnz .LBB254_644
; %bb.441:                              ;   in Loop: Header=BB254_424 Depth=1
	s_or_saveexec_b64 s[6:7], s[6:7]
	v_mov_b32_e32 v18, s18
	s_xor_b64 exec, exec, s[6:7]
	s_cbranch_execnz .LBB254_647
.LBB254_442:                            ;   in Loop: Header=BB254_424 Depth=1
	s_or_b64 exec, exec, s[6:7]
	v_mov_b32_e32 v6, v27
	s_and_saveexec_b64 s[6:7], s[0:1]
	s_cbranch_execz .LBB254_444
.LBB254_443:                            ;   in Loop: Header=BB254_424 Depth=1
	v_and_b32_e32 v12, 7, v27
	v_ffbh_u32_e32 v12, v12
	v_bfe_u32 v18, v27, 3, 4
	v_min_u32_e32 v12, 32, v12
	v_subrev_u32_e32 v22, 28, v12
	v_sub_u32_e32 v12, 29, v12
	v_cmp_eq_u32_e32 vcc, 0, v18
	s_nop 1
	v_cndmask_b32_e32 v12, v18, v12, vcc
	v_cndmask_b32_e32 v18, 0, v22, vcc
	v_lshlrev_b64 v[22:23], v18, v[6:7]
	v_lshlrev_b32_e32 v18, 7, v22
	v_lshlrev_b32_e32 v22, 8, v27
	v_lshl_add_u32 v12, v12, 10, v38
	v_and_or_b32 v12, v22, s21, v12
	v_and_or_b32 v12, v18, s22, v12
	v_cvt_f32_f16_e32 v18, v12
.LBB254_444:                            ;   in Loop: Header=BB254_424 Depth=1
	s_or_b64 exec, exec, s[6:7]
	v_lshrrev_b16_e32 v6, 8, v6
	v_cmp_lt_i16_e32 vcc, s17, v6
	s_mov_b64 s[0:1], 0
                                        ; implicit-def: $sgpr18
	s_and_saveexec_b64 s[6:7], vcc
	s_xor_b64 s[6:7], exec, s[6:7]
	s_cbranch_execnz .LBB254_648
; %bb.445:                              ;   in Loop: Header=BB254_424 Depth=1
	s_or_saveexec_b64 s[6:7], s[6:7]
	v_mov_b32_e32 v26, s18
	s_xor_b64 exec, exec, s[6:7]
	s_cbranch_execnz .LBB254_651
.LBB254_446:                            ;   in Loop: Header=BB254_424 Depth=1
	s_or_b64 exec, exec, s[6:7]
	s_and_saveexec_b64 s[6:7], s[0:1]
	s_cbranch_execz .LBB254_448
.LBB254_447:                            ;   in Loop: Header=BB254_424 Depth=1
	v_and_b32_e32 v12, 7, v6
	v_ffbh_u32_e32 v22, v12
	v_min_u32_e32 v32, 32, v22
	v_subrev_u32_e32 v22, 28, v32
	v_bfe_u32 v26, v6, 3, 4
	v_lshlrev_b64 v[22:23], v22, v[6:7]
	v_sub_u32_e32 v23, 29, v32
	v_cmp_eq_u32_e32 vcc, 0, v26
	v_and_b32_e32 v22, 7, v22
	v_lshlrev_b32_e32 v6, 8, v6
	v_cndmask_b32_e32 v23, v26, v23, vcc
	v_cndmask_b32_e32 v12, v12, v22, vcc
	v_lshl_add_u32 v22, v23, 10, v38
	v_and_or_b32 v6, v6, s21, v22
	v_lshl_or_b32 v6, v12, 7, v6
	v_cvt_f32_f16_e32 v26, v6
.LBB254_448:                            ;   in Loop: Header=BB254_424 Depth=1
	s_or_b64 exec, exec, s[6:7]
	v_lshrrev_b32_e32 v6, 16, v27
	v_cmp_gt_i16_sdwa s[6:7], v6, s17 src0_sel:BYTE_0 src1_sel:DWORD
	s_mov_b64 s[0:1], 0
                                        ; implicit-def: $sgpr18
	s_and_saveexec_b64 s[8:9], s[6:7]
	s_xor_b64 s[6:7], exec, s[8:9]
	s_cbranch_execnz .LBB254_652
; %bb.449:                              ;   in Loop: Header=BB254_424 Depth=1
	s_or_saveexec_b64 s[6:7], s[6:7]
	v_mov_b32_e32 v39, s18
	s_xor_b64 exec, exec, s[6:7]
	s_cbranch_execnz .LBB254_655
.LBB254_450:                            ;   in Loop: Header=BB254_424 Depth=1
	s_or_b64 exec, exec, s[6:7]
	s_and_saveexec_b64 s[6:7], s[0:1]
	s_cbranch_execz .LBB254_452
.LBB254_451:                            ;   in Loop: Header=BB254_424 Depth=1
	v_bfe_u32 v12, v27, 16, 3
	v_ffbh_u32_e32 v22, v12
	v_min_u32_e32 v39, 32, v22
	v_subrev_u32_e32 v22, 28, v39
	v_bfe_u32 v32, v27, 19, 4
	v_lshlrev_b64 v[22:23], v22, v[6:7]
	v_sub_u32_e32 v23, 29, v39
	v_cmp_eq_u32_e32 vcc, 0, v32
	v_and_b32_e32 v22, 7, v22
	v_lshlrev_b32_e32 v6, 8, v6
	v_cndmask_b32_e32 v23, v32, v23, vcc
	v_cndmask_b32_e32 v12, v12, v22, vcc
	v_lshl_add_u32 v22, v23, 10, v38
	v_and_or_b32 v6, v6, s21, v22
	v_lshl_or_b32 v6, v12, 7, v6
	v_cvt_f32_f16_e32 v39, v6
.LBB254_452:                            ;   in Loop: Header=BB254_424 Depth=1
	s_or_b64 exec, exec, s[6:7]
	v_lshrrev_b32_e32 v6, 24, v27
	v_cmp_lt_i16_e32 vcc, s17, v6
	s_mov_b64 s[0:1], 0
                                        ; implicit-def: $sgpr18
	s_and_saveexec_b64 s[6:7], vcc
	s_xor_b64 s[6:7], exec, s[6:7]
	s_cbranch_execnz .LBB254_656
; %bb.453:                              ;   in Loop: Header=BB254_424 Depth=1
	s_or_saveexec_b64 s[6:7], s[6:7]
	v_mov_b32_e32 v23, s18
	s_xor_b64 exec, exec, s[6:7]
	s_cbranch_execnz .LBB254_659
.LBB254_454:                            ;   in Loop: Header=BB254_424 Depth=1
	s_or_b64 exec, exec, s[6:7]
	s_and_saveexec_b64 s[6:7], s[0:1]
	s_cbranch_execz .LBB254_456
.LBB254_455:                            ;   in Loop: Header=BB254_424 Depth=1
	v_bfe_u32 v12, v27, 24, 3
	v_ffbh_u32_e32 v22, v12
	v_min_u32_e32 v32, 32, v22
	v_subrev_u32_e32 v22, 28, v32
	v_bfe_u32 v27, v27, 27, 4
	v_lshlrev_b64 v[22:23], v22, v[6:7]
	v_sub_u32_e32 v23, 29, v32
	v_cmp_eq_u32_e32 vcc, 0, v27
	v_and_b32_e32 v22, 7, v22
	v_lshlrev_b32_e32 v6, 8, v6
	v_cndmask_b32_e32 v23, v27, v23, vcc
	v_cndmask_b32_e32 v12, v12, v22, vcc
	v_lshl_add_u32 v22, v23, 10, v38
	v_and_or_b32 v6, v6, s21, v22
	v_lshl_or_b32 v6, v12, 7, v6
	v_cvt_f32_f16_e32 v23, v6
.LBB254_456:                            ;   in Loop: Header=BB254_424 Depth=1
	s_or_b64 exec, exec, s[6:7]
	v_pk_mul_f32 v[30:31], v[24:25], v[30:31] op_sel_hi:[0,1]
	v_pk_mul_f32 v[28:29], v[24:25], v[28:29] op_sel_hi:[0,1]
	v_cvt_f16_f32_e32 v6, v31
	v_cvt_f16_f32_e32 v12, v30
	;; [unrolled: 1-line block ×4, first 2 shown]
	v_fma_mixlo_f16 v18, v24, v18, 0
	v_pack_b32_f16 v12, v12, v6
	v_accvgpr_read_b32 v28, a7
	v_pack_b32_f16 v22, v27, v22
	v_perm_b32 v6, v22, v12, s23
	v_perm_b32 v22, v22, v12, s24
	v_fma_mixlo_f16 v12, v24, v26, 0
	v_lshlrev_b32_e32 v12, 16, v12
	v_or_b32_sdwa v18, v12, v18 dst_sel:DWORD dst_unused:UNUSED_PAD src0_sel:DWORD src1_sel:WORD_0
	v_fma_mixlo_f16 v12, v24, v23, 0
	v_fma_mixlo_f16 v26, v24, v39, 0
	v_lshlrev_b32_e32 v12, 16, v12
	v_cmp_eq_u32_e32 vcc, v35, v28
	v_or_b32_sdwa v23, v12, v26 dst_sel:DWORD dst_unused:UNUSED_PAD src0_sel:DWORD src1_sel:WORD_0
	v_add_u32_e32 v53, 1, v36
	v_or_b32_e32 v52, 3, v36
	v_or_b32_e32 v51, 2, v36
	;; [unrolled: 1-line block ×6, first 2 shown]
	s_and_saveexec_b64 s[6:7], vcc
	s_cbranch_execz .LBB254_458
; %bb.457:                              ;   in Loop: Header=BB254_424 Depth=1
	v_lshrrev_b32_e32 v12, 16, v22
	v_cmp_lt_i32_e64 s[0:1], v53, v9
	v_accvgpr_read_b32 v24, a8
	s_nop 0
	v_cndmask_b32_e64 v12, 0, v12, s[0:1]
	v_cmp_lt_i32_e64 s[0:1], v36, v24
	s_nop 1
	v_cndmask_b32_e64 v22, 0, v22, s[0:1]
	v_perm_b32 v22, v12, v22, s25
	v_lshrrev_b32_e32 v12, 16, v6
	v_cmp_lt_i32_e64 s[0:1], v52, v9
	s_nop 1
	v_cndmask_b32_e64 v12, 0, v12, s[0:1]
	v_cmp_lt_i32_e64 s[0:1], v51, v24
	s_nop 1
	v_cndmask_b32_e64 v6, 0, v6, s[0:1]
	v_perm_b32 v6, v12, v6, s25
	v_lshrrev_b32_e32 v12, 16, v18
	v_cmp_lt_i32_e64 s[0:1], v50, v9
	;; [unrolled: 8-line block ×3, first 2 shown]
	s_nop 1
	v_cndmask_b32_e64 v12, 0, v12, s[0:1]
	v_cmp_lt_i32_e64 s[0:1], v39, v24
	s_nop 1
	v_cndmask_b32_e64 v23, 0, v26, s[0:1]
	v_perm_b32 v23, v12, v23, s25
.LBB254_458:                            ;   in Loop: Header=BB254_424 Depth=1
	s_or_b64 exec, exec, s[6:7]
	v_and_b32_e32 v0, 0xffff, v0
	v_lshl_or_b32 v54, v1, 16, v0
	v_and_b32_e32 v0, 0xffff, v8
	v_lshl_or_b32 v55, v13, 16, v0
	;; [unrolled: 2-line block ×4, first 2 shown]
	;;#ASMSTART
	v_pk_mul_f16 v0, v54, v22;

	;;#ASMEND
	;;#ASMSTART
	v_pk_mul_f16 v1, v55, v6;

	;;#ASMEND
	;; [unrolled: 4-line block ×4, first 2 shown]
	s_mov_b64 s[0:1], 0
	;;#ASMSTART
	v_pk_add_f16 v0, v0, v1;

	;;#ASMEND
                                        ; implicit-def: $sgpr18
	s_nop 0
	;;#ASMSTART
	v_pk_add_f16 v0, v0, v6;

	;;#ASMEND
	s_nop 0
	;;#ASMSTART
	v_pk_add_f16 v0, v0, v8;

	;;#ASMEND
	s_nop 0
	v_lshrrev_b32_e32 v1, 16, v0
	v_and_b32_e32 v0, 0xffff, v0
	;;#ASMSTART
	v_cvt_f32_f16 v42, v0;
	;;#ASMEND
	;;#ASMSTART
	v_cvt_f32_f16 v43, v1;
	;;#ASMEND
	v_accvgpr_read_b32 v0, a4
	flat_load_dwordx2 v[26:27], v[10:11] offset:512
	v_accvgpr_read_b32 v1, a5
	flat_load_dword v24, v[0:1]
	s_waitcnt vmcnt(0) lgkmcnt(0)
	v_cmp_gt_i16_sdwa s[6:7], v26, s17 src0_sel:BYTE_0 src1_sel:DWORD
	s_and_saveexec_b64 s[8:9], s[6:7]
	s_xor_b64 s[6:7], exec, s[8:9]
	s_cbranch_execnz .LBB254_660
; %bb.459:                              ;   in Loop: Header=BB254_424 Depth=1
	s_or_saveexec_b64 s[6:7], s[6:7]
	v_mov_b32_e32 v28, s18
	s_xor_b64 exec, exec, s[6:7]
	s_cbranch_execnz .LBB254_663
.LBB254_460:                            ;   in Loop: Header=BB254_424 Depth=1
	s_or_b64 exec, exec, s[6:7]
	s_and_saveexec_b64 s[6:7], s[0:1]
	s_cbranch_execz .LBB254_462
.LBB254_461:                            ;   in Loop: Header=BB254_424 Depth=1
	v_and_b32_e32 v0, 7, v26
	v_ffbh_u32_e32 v0, v0
	v_bfe_u32 v1, v26, 3, 4
	v_min_u32_e32 v0, 32, v0
	v_subrev_u32_e32 v6, 28, v0
	v_sub_u32_e32 v0, 29, v0
	v_cmp_eq_u32_e64 s[0:1], 0, v1
	s_nop 1
	v_cndmask_b32_e64 v8, v1, v0, s[0:1]
	v_cndmask_b32_e64 v0, 0, v6, s[0:1]
	v_lshlrev_b64 v[0:1], v0, v[26:27]
	v_lshlrev_b32_e32 v1, 8, v26
	v_lshl_add_u32 v6, v8, 10, v38
	v_lshlrev_b32_e32 v0, 7, v0
	v_and_or_b32 v1, v1, s21, v6
	v_and_or_b32 v0, v0, s22, v1
	v_cvt_f32_f16_e32 v28, v0
.LBB254_462:                            ;   in Loop: Header=BB254_424 Depth=1
	s_or_b64 exec, exec, s[6:7]
	v_lshrrev_b16_e32 v6, 8, v26
	v_cmp_lt_i16_e64 s[0:1], s17, v6
	s_mov_b64 s[6:7], 0
                                        ; implicit-def: $sgpr26
	s_and_saveexec_b64 s[8:9], s[0:1]
	s_xor_b64 s[8:9], exec, s[8:9]
	s_cbranch_execnz .LBB254_664
; %bb.463:                              ;   in Loop: Header=BB254_424 Depth=1
	s_or_saveexec_b64 s[8:9], s[8:9]
	v_mov_b32_e32 v30, s26
	s_xor_b64 exec, exec, s[8:9]
	s_cbranch_execnz .LBB254_667
.LBB254_464:                            ;   in Loop: Header=BB254_424 Depth=1
	s_or_b64 exec, exec, s[8:9]
	s_and_saveexec_b64 s[8:9], s[6:7]
	s_cbranch_execz .LBB254_466
.LBB254_465:                            ;   in Loop: Header=BB254_424 Depth=1
	v_and_b32_e32 v8, 7, v6
	v_ffbh_u32_e32 v0, v8
	v_min_u32_e32 v13, 32, v0
	v_subrev_u32_e32 v0, 28, v13
	v_bfe_u32 v12, v6, 3, 4
	v_lshlrev_b64 v[0:1], v0, v[6:7]
	v_sub_u32_e32 v1, 29, v13
	v_cmp_eq_u32_e64 s[0:1], 0, v12
	v_and_b32_e32 v0, 7, v0
	v_lshlrev_b32_e32 v6, 8, v6
	v_cndmask_b32_e64 v1, v12, v1, s[0:1]
	v_lshl_add_u32 v1, v1, 10, v38
	v_cndmask_b32_e64 v0, v8, v0, s[0:1]
	v_and_or_b32 v1, v6, s21, v1
	v_lshl_or_b32 v0, v0, 7, v1
	v_cvt_f32_f16_e32 v30, v0
.LBB254_466:                            ;   in Loop: Header=BB254_424 Depth=1
	s_or_b64 exec, exec, s[8:9]
	v_lshrrev_b32_e32 v6, 16, v26
	v_cmp_gt_i16_sdwa s[6:7], v6, s17 src0_sel:BYTE_0 src1_sel:DWORD
	s_mov_b64 s[0:1], 0
                                        ; implicit-def: $sgpr18
	s_and_saveexec_b64 s[8:9], s[6:7]
	s_xor_b64 s[6:7], exec, s[8:9]
	s_cbranch_execnz .LBB254_668
; %bb.467:                              ;   in Loop: Header=BB254_424 Depth=1
	s_or_saveexec_b64 s[6:7], s[6:7]
	v_mov_b32_e32 v29, s18
	s_xor_b64 exec, exec, s[6:7]
	s_cbranch_execnz .LBB254_671
.LBB254_468:                            ;   in Loop: Header=BB254_424 Depth=1
	s_or_b64 exec, exec, s[6:7]
	s_and_saveexec_b64 s[6:7], s[0:1]
	s_cbranch_execz .LBB254_470
.LBB254_469:                            ;   in Loop: Header=BB254_424 Depth=1
	v_bfe_u32 v8, v26, 16, 3
	v_ffbh_u32_e32 v0, v8
	v_min_u32_e32 v13, 32, v0
	v_subrev_u32_e32 v0, 28, v13
	v_bfe_u32 v12, v26, 19, 4
	v_lshlrev_b64 v[0:1], v0, v[6:7]
	v_sub_u32_e32 v1, 29, v13
	v_cmp_eq_u32_e64 s[0:1], 0, v12
	v_and_b32_e32 v0, 7, v0
	v_lshlrev_b32_e32 v6, 8, v6
	v_cndmask_b32_e64 v1, v12, v1, s[0:1]
	v_lshl_add_u32 v1, v1, 10, v38
	v_cndmask_b32_e64 v0, v8, v0, s[0:1]
	v_and_or_b32 v1, v6, s21, v1
	v_lshl_or_b32 v0, v0, 7, v1
	v_cvt_f32_f16_e32 v29, v0
.LBB254_470:                            ;   in Loop: Header=BB254_424 Depth=1
	s_or_b64 exec, exec, s[6:7]
	v_lshrrev_b32_e32 v6, 24, v26
	v_cmp_lt_i16_e64 s[0:1], s17, v6
	s_mov_b64 s[6:7], 0
                                        ; implicit-def: $sgpr26
	s_and_saveexec_b64 s[8:9], s[0:1]
	s_xor_b64 s[8:9], exec, s[8:9]
	s_cbranch_execnz .LBB254_672
; %bb.471:                              ;   in Loop: Header=BB254_424 Depth=1
	s_or_saveexec_b64 s[8:9], s[8:9]
	v_mov_b32_e32 v31, s26
	s_xor_b64 exec, exec, s[8:9]
	s_cbranch_execnz .LBB254_675
.LBB254_472:                            ;   in Loop: Header=BB254_424 Depth=1
	s_or_b64 exec, exec, s[8:9]
	s_and_saveexec_b64 s[8:9], s[6:7]
	s_cbranch_execz .LBB254_474
.LBB254_473:                            ;   in Loop: Header=BB254_424 Depth=1
	v_bfe_u32 v8, v26, 24, 3
	v_ffbh_u32_e32 v0, v8
	v_min_u32_e32 v13, 32, v0
	v_subrev_u32_e32 v0, 28, v13
	v_bfe_u32 v12, v26, 27, 4
	v_lshlrev_b64 v[0:1], v0, v[6:7]
	v_sub_u32_e32 v1, 29, v13
	v_cmp_eq_u32_e64 s[0:1], 0, v12
	v_and_b32_e32 v0, 7, v0
	v_lshlrev_b32_e32 v6, 8, v6
	v_cndmask_b32_e64 v1, v12, v1, s[0:1]
	v_lshl_add_u32 v1, v1, 10, v38
	v_cndmask_b32_e64 v0, v8, v0, s[0:1]
	v_and_or_b32 v1, v6, s21, v1
	v_lshl_or_b32 v0, v0, 7, v1
	v_cvt_f32_f16_e32 v31, v0
.LBB254_474:                            ;   in Loop: Header=BB254_424 Depth=1
	s_or_b64 exec, exec, s[8:9]
	v_cmp_gt_i16_sdwa s[6:7], v27, s17 src0_sel:BYTE_0 src1_sel:DWORD
	s_mov_b64 s[0:1], 0
                                        ; implicit-def: $sgpr18
	s_and_saveexec_b64 s[8:9], s[6:7]
	s_xor_b64 s[6:7], exec, s[8:9]
	s_cbranch_execnz .LBB254_676
; %bb.475:                              ;   in Loop: Header=BB254_424 Depth=1
	s_or_saveexec_b64 s[6:7], s[6:7]
	v_mov_b32_e32 v0, s18
	s_xor_b64 exec, exec, s[6:7]
	s_cbranch_execnz .LBB254_679
.LBB254_476:                            ;   in Loop: Header=BB254_424 Depth=1
	s_or_b64 exec, exec, s[6:7]
	v_mov_b32_e32 v6, v27
	s_and_saveexec_b64 s[6:7], s[0:1]
	s_cbranch_execz .LBB254_478
.LBB254_477:                            ;   in Loop: Header=BB254_424 Depth=1
	v_and_b32_e32 v0, 7, v27
	v_ffbh_u32_e32 v0, v0
	v_bfe_u32 v1, v27, 3, 4
	v_min_u32_e32 v0, 32, v0
	v_subrev_u32_e32 v8, 28, v0
	v_sub_u32_e32 v0, 29, v0
	v_cmp_eq_u32_e64 s[0:1], 0, v1
	s_nop 1
	v_cndmask_b32_e64 v12, v1, v0, s[0:1]
	v_cndmask_b32_e64 v0, 0, v8, s[0:1]
	v_lshlrev_b64 v[0:1], v0, v[6:7]
	v_lshlrev_b32_e32 v1, 8, v27
	v_lshl_add_u32 v8, v12, 10, v38
	v_lshlrev_b32_e32 v0, 7, v0
	v_and_or_b32 v1, v1, s21, v8
	v_and_or_b32 v0, v0, s22, v1
	v_cvt_f32_f16_e32 v0, v0
.LBB254_478:                            ;   in Loop: Header=BB254_424 Depth=1
	s_or_b64 exec, exec, s[6:7]
	v_lshrrev_b16_e32 v6, 8, v6
	v_cmp_lt_i16_e64 s[0:1], s17, v6
	s_mov_b64 s[6:7], 0
                                        ; implicit-def: $sgpr26
	s_and_saveexec_b64 s[8:9], s[0:1]
	s_xor_b64 s[8:9], exec, s[8:9]
	s_cbranch_execnz .LBB254_680
; %bb.479:                              ;   in Loop: Header=BB254_424 Depth=1
	s_or_saveexec_b64 s[8:9], s[8:9]
	v_mov_b32_e32 v1, s26
	s_xor_b64 exec, exec, s[8:9]
	s_cbranch_execnz .LBB254_683
.LBB254_480:                            ;   in Loop: Header=BB254_424 Depth=1
	s_or_b64 exec, exec, s[8:9]
	s_and_saveexec_b64 s[8:9], s[6:7]
	s_cbranch_execz .LBB254_482
.LBB254_481:                            ;   in Loop: Header=BB254_424 Depth=1
	v_and_b32_e32 v1, 7, v6
	v_ffbh_u32_e32 v12, v1
	v_bfe_u32 v8, v6, 3, 4
	v_min_u32_e32 v12, 32, v12
	v_subrev_u32_e32 v13, 28, v12
	v_sub_u32_e32 v12, 29, v12
	v_cmp_eq_u32_e64 s[0:1], 0, v8
	v_lshlrev_b64 v[22:23], v13, v[6:7]
	v_and_b32_e32 v13, 7, v22
	v_cndmask_b32_e64 v8, v8, v12, s[0:1]
	v_lshlrev_b32_e32 v6, 8, v6
	v_lshl_add_u32 v8, v8, 10, v38
	v_cndmask_b32_e64 v1, v1, v13, s[0:1]
	v_and_or_b32 v6, v6, s21, v8
	v_lshl_or_b32 v1, v1, 7, v6
	v_cvt_f32_f16_e32 v1, v1
.LBB254_482:                            ;   in Loop: Header=BB254_424 Depth=1
	s_or_b64 exec, exec, s[8:9]
	v_lshrrev_b32_e32 v6, 16, v27
	v_cmp_gt_i16_sdwa s[6:7], v6, s17 src0_sel:BYTE_0 src1_sel:DWORD
	s_mov_b64 s[0:1], 0
                                        ; implicit-def: $sgpr18
	s_and_saveexec_b64 s[8:9], s[6:7]
	s_xor_b64 s[6:7], exec, s[8:9]
	s_cbranch_execnz .LBB254_684
; %bb.483:                              ;   in Loop: Header=BB254_424 Depth=1
	s_or_saveexec_b64 s[6:7], s[6:7]
	v_mov_b32_e32 v8, s18
	s_xor_b64 exec, exec, s[6:7]
	s_cbranch_execnz .LBB254_687
.LBB254_484:                            ;   in Loop: Header=BB254_424 Depth=1
	s_or_b64 exec, exec, s[6:7]
	s_and_saveexec_b64 s[6:7], s[0:1]
	s_cbranch_execz .LBB254_486
.LBB254_485:                            ;   in Loop: Header=BB254_424 Depth=1
	v_bfe_u32 v8, v27, 16, 3
	v_ffbh_u32_e32 v13, v8
	v_bfe_u32 v12, v27, 19, 4
	v_min_u32_e32 v13, 32, v13
	v_subrev_u32_e32 v18, 28, v13
	v_sub_u32_e32 v13, 29, v13
	v_cmp_eq_u32_e64 s[0:1], 0, v12
	v_lshlrev_b64 v[22:23], v18, v[6:7]
	v_and_b32_e32 v18, 7, v22
	v_cndmask_b32_e64 v12, v12, v13, s[0:1]
	v_lshlrev_b32_e32 v6, 8, v6
	v_lshl_add_u32 v12, v12, 10, v38
	v_cndmask_b32_e64 v8, v8, v18, s[0:1]
	v_and_or_b32 v6, v6, s21, v12
	v_lshl_or_b32 v6, v8, 7, v6
	v_cvt_f32_f16_e32 v8, v6
.LBB254_486:                            ;   in Loop: Header=BB254_424 Depth=1
	s_or_b64 exec, exec, s[6:7]
	v_lshrrev_b32_e32 v6, 24, v27
	v_cmp_lt_i16_e64 s[0:1], s17, v6
	s_mov_b64 s[6:7], 0
                                        ; implicit-def: $sgpr26
	s_and_saveexec_b64 s[8:9], s[0:1]
	s_xor_b64 s[8:9], exec, s[8:9]
	s_cbranch_execnz .LBB254_688
; %bb.487:                              ;   in Loop: Header=BB254_424 Depth=1
	s_or_saveexec_b64 s[8:9], s[8:9]
	v_mov_b32_e32 v18, s26
	s_xor_b64 exec, exec, s[8:9]
	s_cbranch_execnz .LBB254_691
.LBB254_488:                            ;   in Loop: Header=BB254_424 Depth=1
	s_or_b64 exec, exec, s[8:9]
	s_and_saveexec_b64 s[8:9], s[6:7]
	s_cbranch_execz .LBB254_490
.LBB254_489:                            ;   in Loop: Header=BB254_424 Depth=1
	v_bfe_u32 v12, v27, 24, 3
	v_ffbh_u32_e32 v18, v12
	v_bfe_u32 v13, v27, 27, 4
	v_min_u32_e32 v18, 32, v18
	v_subrev_u32_e32 v22, 28, v18
	v_sub_u32_e32 v18, 29, v18
	v_cmp_eq_u32_e64 s[0:1], 0, v13
	v_lshlrev_b64 v[22:23], v22, v[6:7]
	v_and_b32_e32 v22, 7, v22
	v_cndmask_b32_e64 v13, v13, v18, s[0:1]
	v_lshlrev_b32_e32 v6, 8, v6
	v_lshl_add_u32 v13, v13, 10, v38
	v_cndmask_b32_e64 v12, v12, v22, s[0:1]
	v_and_or_b32 v6, v6, s21, v13
	v_lshl_or_b32 v6, v12, 7, v6
	v_cvt_f32_f16_e32 v18, v6
.LBB254_490:                            ;   in Loop: Header=BB254_424 Depth=1
	s_or_b64 exec, exec, s[8:9]
	v_pk_mul_f32 v[22:23], v[24:25], v[30:31] op_sel_hi:[0,1]
	v_pk_mul_f32 v[26:27], v[24:25], v[28:29] op_sel_hi:[0,1]
	v_cvt_f16_f32_e32 v6, v23
	v_cvt_f16_f32_e32 v12, v22
	;; [unrolled: 1-line block ×4, first 2 shown]
	v_fma_mixlo_f16 v1, v24, v1, 0
	v_lshlrev_b32_e32 v1, 16, v1
	v_fma_mixlo_f16 v0, v24, v0, 0
	v_or_b32_sdwa v0, v1, v0 dst_sel:DWORD dst_unused:UNUSED_PAD src0_sel:DWORD src1_sel:WORD_0
	v_fma_mixlo_f16 v1, v24, v18, 0
	v_pack_b32_f16 v12, v12, v6
	v_pack_b32_f16 v13, v22, v13
	v_fma_mixlo_f16 v8, v24, v8, 0
	v_lshlrev_b32_e32 v1, 16, v1
	v_perm_b32 v6, v13, v12, s23
	v_perm_b32 v13, v13, v12, s24
	v_or_b32_sdwa v1, v1, v8 dst_sel:DWORD dst_unused:UNUSED_PAD src0_sel:DWORD src1_sel:WORD_0
	s_and_saveexec_b64 s[6:7], vcc
	s_cbranch_execz .LBB254_492
; %bb.491:                              ;   in Loop: Header=BB254_424 Depth=1
	v_lshrrev_b32_e32 v12, 16, v13
	v_cmp_lt_i32_e64 s[0:1], v53, v9
	v_accvgpr_read_b32 v18, a8
	v_lshrrev_b32_e32 v1, 16, v1
	v_cndmask_b32_e64 v12, 0, v12, s[0:1]
	v_cmp_lt_i32_e64 s[0:1], v36, v18
	s_nop 1
	v_cndmask_b32_e64 v13, 0, v13, s[0:1]
	v_perm_b32 v13, v12, v13, s25
	v_lshrrev_b32_e32 v12, 16, v6
	v_cmp_lt_i32_e64 s[0:1], v52, v9
	s_nop 1
	v_cndmask_b32_e64 v12, 0, v12, s[0:1]
	v_cmp_lt_i32_e64 s[0:1], v51, v18
	s_nop 1
	v_cndmask_b32_e64 v6, 0, v6, s[0:1]
	v_perm_b32 v6, v12, v6, s25
	v_lshrrev_b32_e32 v12, 16, v0
	v_cmp_lt_i32_e64 s[0:1], v50, v9
	s_nop 1
	v_cndmask_b32_e64 v12, 0, v12, s[0:1]
	v_cmp_lt_i32_e64 s[0:1], v49, v18
	s_nop 1
	v_cndmask_b32_e64 v0, 0, v0, s[0:1]
	v_cmp_lt_i32_e64 s[0:1], v48, v9
	v_perm_b32 v0, v12, v0, s25
	s_nop 0
	v_cndmask_b32_e64 v1, 0, v1, s[0:1]
	v_cmp_lt_i32_e64 s[0:1], v39, v18
	s_nop 1
	v_cndmask_b32_e64 v8, 0, v8, s[0:1]
	v_perm_b32 v1, v1, v8, s25
.LBB254_492:                            ;   in Loop: Header=BB254_424 Depth=1
	s_or_b64 exec, exec, s[6:7]
	;;#ASMSTART
	v_pk_mul_f16 v8, v54, v13;

	;;#ASMEND
	;;#ASMSTART
	v_pk_mul_f16 v6, v55, v6;

	;;#ASMEND
	;; [unrolled: 4-line block ×4, first 2 shown]
	s_mov_b64 s[0:1], 0
	;;#ASMSTART
	v_pk_add_f16 v6, v8, v6;

	;;#ASMEND
                                        ; implicit-def: $sgpr18
	s_nop 0
	;;#ASMSTART
	v_pk_add_f16 v0, v6, v0;

	;;#ASMEND
	s_nop 0
	;;#ASMSTART
	v_pk_add_f16 v0, v0, v1;

	;;#ASMEND
	s_nop 0
	v_lshrrev_b32_e32 v1, 16, v0
	v_and_b32_e32 v0, 0xffff, v0
	;;#ASMSTART
	v_cvt_f32_f16 v44, v0;
	;;#ASMEND
	;;#ASMSTART
	v_cvt_f32_f16 v45, v1;
	;;#ASMEND
	v_accvgpr_read_b32 v0, a4
	flat_load_dwordx2 v[26:27], v[10:11] offset:1024
	v_accvgpr_read_b32 v1, a5
	flat_load_dword v24, v[0:1]
	s_waitcnt vmcnt(0) lgkmcnt(0)
	v_cmp_gt_i16_sdwa s[6:7], v26, s17 src0_sel:BYTE_0 src1_sel:DWORD
	s_and_saveexec_b64 s[8:9], s[6:7]
	s_xor_b64 s[6:7], exec, s[8:9]
	s_cbranch_execnz .LBB254_692
; %bb.493:                              ;   in Loop: Header=BB254_424 Depth=1
	s_or_saveexec_b64 s[6:7], s[6:7]
	v_mov_b32_e32 v28, s18
	s_xor_b64 exec, exec, s[6:7]
	s_cbranch_execnz .LBB254_695
.LBB254_494:                            ;   in Loop: Header=BB254_424 Depth=1
	s_or_b64 exec, exec, s[6:7]
	s_and_saveexec_b64 s[6:7], s[0:1]
	s_cbranch_execz .LBB254_496
.LBB254_495:                            ;   in Loop: Header=BB254_424 Depth=1
	v_and_b32_e32 v0, 7, v26
	v_ffbh_u32_e32 v0, v0
	v_bfe_u32 v1, v26, 3, 4
	v_min_u32_e32 v0, 32, v0
	v_subrev_u32_e32 v6, 28, v0
	v_sub_u32_e32 v0, 29, v0
	v_cmp_eq_u32_e64 s[0:1], 0, v1
	s_nop 1
	v_cndmask_b32_e64 v8, v1, v0, s[0:1]
	v_cndmask_b32_e64 v0, 0, v6, s[0:1]
	v_lshlrev_b64 v[0:1], v0, v[26:27]
	v_lshlrev_b32_e32 v1, 8, v26
	v_lshl_add_u32 v6, v8, 10, v38
	v_lshlrev_b32_e32 v0, 7, v0
	v_and_or_b32 v1, v1, s21, v6
	v_and_or_b32 v0, v0, s22, v1
	v_cvt_f32_f16_e32 v28, v0
.LBB254_496:                            ;   in Loop: Header=BB254_424 Depth=1
	s_or_b64 exec, exec, s[6:7]
	v_lshrrev_b16_e32 v6, 8, v26
	v_cmp_lt_i16_e64 s[0:1], s17, v6
	s_mov_b64 s[6:7], 0
                                        ; implicit-def: $sgpr26
	s_and_saveexec_b64 s[8:9], s[0:1]
	s_xor_b64 s[8:9], exec, s[8:9]
	s_cbranch_execnz .LBB254_696
; %bb.497:                              ;   in Loop: Header=BB254_424 Depth=1
	s_or_saveexec_b64 s[8:9], s[8:9]
	v_mov_b32_e32 v30, s26
	s_xor_b64 exec, exec, s[8:9]
	s_cbranch_execnz .LBB254_699
.LBB254_498:                            ;   in Loop: Header=BB254_424 Depth=1
	s_or_b64 exec, exec, s[8:9]
	s_and_saveexec_b64 s[8:9], s[6:7]
	s_cbranch_execz .LBB254_500
.LBB254_499:                            ;   in Loop: Header=BB254_424 Depth=1
	v_and_b32_e32 v8, 7, v6
	v_ffbh_u32_e32 v0, v8
	v_min_u32_e32 v13, 32, v0
	v_subrev_u32_e32 v0, 28, v13
	v_bfe_u32 v12, v6, 3, 4
	v_lshlrev_b64 v[0:1], v0, v[6:7]
	v_sub_u32_e32 v1, 29, v13
	v_cmp_eq_u32_e64 s[0:1], 0, v12
	v_and_b32_e32 v0, 7, v0
	v_lshlrev_b32_e32 v6, 8, v6
	v_cndmask_b32_e64 v1, v12, v1, s[0:1]
	v_lshl_add_u32 v1, v1, 10, v38
	v_cndmask_b32_e64 v0, v8, v0, s[0:1]
	v_and_or_b32 v1, v6, s21, v1
	v_lshl_or_b32 v0, v0, 7, v1
	v_cvt_f32_f16_e32 v30, v0
.LBB254_500:                            ;   in Loop: Header=BB254_424 Depth=1
	s_or_b64 exec, exec, s[8:9]
	v_lshrrev_b32_e32 v6, 16, v26
	v_cmp_gt_i16_sdwa s[6:7], v6, s17 src0_sel:BYTE_0 src1_sel:DWORD
	s_mov_b64 s[0:1], 0
                                        ; implicit-def: $sgpr18
	s_and_saveexec_b64 s[8:9], s[6:7]
	s_xor_b64 s[6:7], exec, s[8:9]
	s_cbranch_execnz .LBB254_700
; %bb.501:                              ;   in Loop: Header=BB254_424 Depth=1
	s_or_saveexec_b64 s[6:7], s[6:7]
	v_mov_b32_e32 v29, s18
	s_xor_b64 exec, exec, s[6:7]
	s_cbranch_execnz .LBB254_703
.LBB254_502:                            ;   in Loop: Header=BB254_424 Depth=1
	s_or_b64 exec, exec, s[6:7]
	s_and_saveexec_b64 s[6:7], s[0:1]
	s_cbranch_execz .LBB254_504
.LBB254_503:                            ;   in Loop: Header=BB254_424 Depth=1
	v_bfe_u32 v8, v26, 16, 3
	v_ffbh_u32_e32 v0, v8
	v_min_u32_e32 v13, 32, v0
	v_subrev_u32_e32 v0, 28, v13
	v_bfe_u32 v12, v26, 19, 4
	v_lshlrev_b64 v[0:1], v0, v[6:7]
	v_sub_u32_e32 v1, 29, v13
	v_cmp_eq_u32_e64 s[0:1], 0, v12
	v_and_b32_e32 v0, 7, v0
	v_lshlrev_b32_e32 v6, 8, v6
	v_cndmask_b32_e64 v1, v12, v1, s[0:1]
	v_lshl_add_u32 v1, v1, 10, v38
	v_cndmask_b32_e64 v0, v8, v0, s[0:1]
	v_and_or_b32 v1, v6, s21, v1
	v_lshl_or_b32 v0, v0, 7, v1
	v_cvt_f32_f16_e32 v29, v0
.LBB254_504:                            ;   in Loop: Header=BB254_424 Depth=1
	s_or_b64 exec, exec, s[6:7]
	v_lshrrev_b32_e32 v6, 24, v26
	v_cmp_lt_i16_e64 s[0:1], s17, v6
	s_mov_b64 s[6:7], 0
                                        ; implicit-def: $sgpr26
	s_and_saveexec_b64 s[8:9], s[0:1]
	s_xor_b64 s[8:9], exec, s[8:9]
	s_cbranch_execnz .LBB254_704
; %bb.505:                              ;   in Loop: Header=BB254_424 Depth=1
	s_or_saveexec_b64 s[8:9], s[8:9]
	v_mov_b32_e32 v31, s26
	s_xor_b64 exec, exec, s[8:9]
	s_cbranch_execnz .LBB254_707
.LBB254_506:                            ;   in Loop: Header=BB254_424 Depth=1
	s_or_b64 exec, exec, s[8:9]
	s_and_saveexec_b64 s[8:9], s[6:7]
	s_cbranch_execz .LBB254_508
.LBB254_507:                            ;   in Loop: Header=BB254_424 Depth=1
	v_bfe_u32 v8, v26, 24, 3
	v_ffbh_u32_e32 v0, v8
	v_min_u32_e32 v13, 32, v0
	v_subrev_u32_e32 v0, 28, v13
	v_bfe_u32 v12, v26, 27, 4
	v_lshlrev_b64 v[0:1], v0, v[6:7]
	v_sub_u32_e32 v1, 29, v13
	v_cmp_eq_u32_e64 s[0:1], 0, v12
	v_and_b32_e32 v0, 7, v0
	v_lshlrev_b32_e32 v6, 8, v6
	v_cndmask_b32_e64 v1, v12, v1, s[0:1]
	v_lshl_add_u32 v1, v1, 10, v38
	v_cndmask_b32_e64 v0, v8, v0, s[0:1]
	v_and_or_b32 v1, v6, s21, v1
	v_lshl_or_b32 v0, v0, 7, v1
	v_cvt_f32_f16_e32 v31, v0
.LBB254_508:                            ;   in Loop: Header=BB254_424 Depth=1
	s_or_b64 exec, exec, s[8:9]
	v_cmp_gt_i16_sdwa s[6:7], v27, s17 src0_sel:BYTE_0 src1_sel:DWORD
	s_mov_b64 s[0:1], 0
                                        ; implicit-def: $sgpr18
	s_and_saveexec_b64 s[8:9], s[6:7]
	s_xor_b64 s[6:7], exec, s[8:9]
	s_cbranch_execnz .LBB254_708
; %bb.509:                              ;   in Loop: Header=BB254_424 Depth=1
	s_or_saveexec_b64 s[6:7], s[6:7]
	v_mov_b32_e32 v0, s18
	s_xor_b64 exec, exec, s[6:7]
	s_cbranch_execnz .LBB254_711
.LBB254_510:                            ;   in Loop: Header=BB254_424 Depth=1
	s_or_b64 exec, exec, s[6:7]
	v_mov_b32_e32 v6, v27
	s_and_saveexec_b64 s[6:7], s[0:1]
	s_cbranch_execz .LBB254_512
.LBB254_511:                            ;   in Loop: Header=BB254_424 Depth=1
	v_and_b32_e32 v0, 7, v27
	v_ffbh_u32_e32 v0, v0
	v_bfe_u32 v1, v27, 3, 4
	v_min_u32_e32 v0, 32, v0
	v_subrev_u32_e32 v8, 28, v0
	v_sub_u32_e32 v0, 29, v0
	v_cmp_eq_u32_e64 s[0:1], 0, v1
	s_nop 1
	v_cndmask_b32_e64 v12, v1, v0, s[0:1]
	v_cndmask_b32_e64 v0, 0, v8, s[0:1]
	v_lshlrev_b64 v[0:1], v0, v[6:7]
	v_lshlrev_b32_e32 v1, 8, v27
	v_lshl_add_u32 v8, v12, 10, v38
	v_lshlrev_b32_e32 v0, 7, v0
	v_and_or_b32 v1, v1, s21, v8
	v_and_or_b32 v0, v0, s22, v1
	v_cvt_f32_f16_e32 v0, v0
.LBB254_512:                            ;   in Loop: Header=BB254_424 Depth=1
	s_or_b64 exec, exec, s[6:7]
	v_lshrrev_b16_e32 v6, 8, v6
	v_cmp_lt_i16_e64 s[0:1], s17, v6
	s_mov_b64 s[6:7], 0
                                        ; implicit-def: $sgpr26
	s_and_saveexec_b64 s[8:9], s[0:1]
	s_xor_b64 s[8:9], exec, s[8:9]
	s_cbranch_execnz .LBB254_712
; %bb.513:                              ;   in Loop: Header=BB254_424 Depth=1
	s_or_saveexec_b64 s[8:9], s[8:9]
	v_mov_b32_e32 v1, s26
	s_xor_b64 exec, exec, s[8:9]
	s_cbranch_execnz .LBB254_715
.LBB254_514:                            ;   in Loop: Header=BB254_424 Depth=1
	s_or_b64 exec, exec, s[8:9]
	s_and_saveexec_b64 s[8:9], s[6:7]
	s_cbranch_execz .LBB254_516
.LBB254_515:                            ;   in Loop: Header=BB254_424 Depth=1
	v_and_b32_e32 v1, 7, v6
	v_ffbh_u32_e32 v12, v1
	v_bfe_u32 v8, v6, 3, 4
	v_min_u32_e32 v12, 32, v12
	v_subrev_u32_e32 v13, 28, v12
	v_sub_u32_e32 v12, 29, v12
	v_cmp_eq_u32_e64 s[0:1], 0, v8
	v_lshlrev_b64 v[22:23], v13, v[6:7]
	v_and_b32_e32 v13, 7, v22
	v_cndmask_b32_e64 v8, v8, v12, s[0:1]
	v_lshlrev_b32_e32 v6, 8, v6
	v_lshl_add_u32 v8, v8, 10, v38
	v_cndmask_b32_e64 v1, v1, v13, s[0:1]
	v_and_or_b32 v6, v6, s21, v8
	v_lshl_or_b32 v1, v1, 7, v6
	v_cvt_f32_f16_e32 v1, v1
.LBB254_516:                            ;   in Loop: Header=BB254_424 Depth=1
	s_or_b64 exec, exec, s[8:9]
	v_lshrrev_b32_e32 v6, 16, v27
	v_cmp_gt_i16_sdwa s[6:7], v6, s17 src0_sel:BYTE_0 src1_sel:DWORD
	s_mov_b64 s[0:1], 0
                                        ; implicit-def: $sgpr18
	s_and_saveexec_b64 s[8:9], s[6:7]
	s_xor_b64 s[6:7], exec, s[8:9]
	s_cbranch_execnz .LBB254_716
; %bb.517:                              ;   in Loop: Header=BB254_424 Depth=1
	s_or_saveexec_b64 s[6:7], s[6:7]
	v_mov_b32_e32 v8, s18
	s_xor_b64 exec, exec, s[6:7]
	s_cbranch_execnz .LBB254_719
.LBB254_518:                            ;   in Loop: Header=BB254_424 Depth=1
	s_or_b64 exec, exec, s[6:7]
	s_and_saveexec_b64 s[6:7], s[0:1]
	s_cbranch_execz .LBB254_520
.LBB254_519:                            ;   in Loop: Header=BB254_424 Depth=1
	v_bfe_u32 v8, v27, 16, 3
	v_ffbh_u32_e32 v13, v8
	v_bfe_u32 v12, v27, 19, 4
	v_min_u32_e32 v13, 32, v13
	v_subrev_u32_e32 v18, 28, v13
	v_sub_u32_e32 v13, 29, v13
	v_cmp_eq_u32_e64 s[0:1], 0, v12
	v_lshlrev_b64 v[22:23], v18, v[6:7]
	v_and_b32_e32 v18, 7, v22
	v_cndmask_b32_e64 v12, v12, v13, s[0:1]
	v_lshlrev_b32_e32 v6, 8, v6
	v_lshl_add_u32 v12, v12, 10, v38
	v_cndmask_b32_e64 v8, v8, v18, s[0:1]
	v_and_or_b32 v6, v6, s21, v12
	v_lshl_or_b32 v6, v8, 7, v6
	v_cvt_f32_f16_e32 v8, v6
.LBB254_520:                            ;   in Loop: Header=BB254_424 Depth=1
	s_or_b64 exec, exec, s[6:7]
	v_lshrrev_b32_e32 v6, 24, v27
	v_cmp_lt_i16_e64 s[0:1], s17, v6
	s_mov_b64 s[6:7], 0
                                        ; implicit-def: $sgpr26
	s_and_saveexec_b64 s[8:9], s[0:1]
	s_xor_b64 s[8:9], exec, s[8:9]
	s_cbranch_execnz .LBB254_720
; %bb.521:                              ;   in Loop: Header=BB254_424 Depth=1
	s_or_saveexec_b64 s[8:9], s[8:9]
	v_mov_b32_e32 v18, s26
	s_xor_b64 exec, exec, s[8:9]
	s_cbranch_execnz .LBB254_723
.LBB254_522:                            ;   in Loop: Header=BB254_424 Depth=1
	s_or_b64 exec, exec, s[8:9]
	s_and_saveexec_b64 s[8:9], s[6:7]
	s_cbranch_execz .LBB254_524
.LBB254_523:                            ;   in Loop: Header=BB254_424 Depth=1
	v_bfe_u32 v12, v27, 24, 3
	v_ffbh_u32_e32 v18, v12
	v_bfe_u32 v13, v27, 27, 4
	v_min_u32_e32 v18, 32, v18
	v_subrev_u32_e32 v22, 28, v18
	v_sub_u32_e32 v18, 29, v18
	v_cmp_eq_u32_e64 s[0:1], 0, v13
	v_lshlrev_b64 v[22:23], v22, v[6:7]
	v_and_b32_e32 v22, 7, v22
	v_cndmask_b32_e64 v13, v13, v18, s[0:1]
	v_lshlrev_b32_e32 v6, 8, v6
	v_lshl_add_u32 v13, v13, 10, v38
	v_cndmask_b32_e64 v12, v12, v22, s[0:1]
	v_and_or_b32 v6, v6, s21, v13
	v_lshl_or_b32 v6, v12, 7, v6
	v_cvt_f32_f16_e32 v18, v6
.LBB254_524:                            ;   in Loop: Header=BB254_424 Depth=1
	s_or_b64 exec, exec, s[8:9]
	v_pk_mul_f32 v[22:23], v[24:25], v[30:31] op_sel_hi:[0,1]
	v_pk_mul_f32 v[26:27], v[24:25], v[28:29] op_sel_hi:[0,1]
	v_cvt_f16_f32_e32 v6, v23
	v_cvt_f16_f32_e32 v12, v22
	v_cvt_f16_f32_e32 v13, v27
	v_cvt_f16_f32_e32 v22, v26
	v_fma_mixlo_f16 v1, v24, v1, 0
	v_lshlrev_b32_e32 v1, 16, v1
	v_fma_mixlo_f16 v0, v24, v0, 0
	v_or_b32_sdwa v0, v1, v0 dst_sel:DWORD dst_unused:UNUSED_PAD src0_sel:DWORD src1_sel:WORD_0
	v_fma_mixlo_f16 v1, v24, v18, 0
	v_pack_b32_f16 v12, v12, v6
	v_pack_b32_f16 v13, v22, v13
	v_fma_mixlo_f16 v8, v24, v8, 0
	v_lshlrev_b32_e32 v1, 16, v1
	v_perm_b32 v6, v13, v12, s23
	v_perm_b32 v13, v13, v12, s24
	v_or_b32_sdwa v1, v1, v8 dst_sel:DWORD dst_unused:UNUSED_PAD src0_sel:DWORD src1_sel:WORD_0
	s_and_saveexec_b64 s[6:7], vcc
	s_cbranch_execz .LBB254_526
; %bb.525:                              ;   in Loop: Header=BB254_424 Depth=1
	v_lshrrev_b32_e32 v12, 16, v13
	v_cmp_lt_i32_e64 s[0:1], v53, v9
	v_accvgpr_read_b32 v18, a8
	v_lshrrev_b32_e32 v1, 16, v1
	v_cndmask_b32_e64 v12, 0, v12, s[0:1]
	v_cmp_lt_i32_e64 s[0:1], v36, v18
	s_nop 1
	v_cndmask_b32_e64 v13, 0, v13, s[0:1]
	v_perm_b32 v13, v12, v13, s25
	v_lshrrev_b32_e32 v12, 16, v6
	v_cmp_lt_i32_e64 s[0:1], v52, v9
	s_nop 1
	v_cndmask_b32_e64 v12, 0, v12, s[0:1]
	v_cmp_lt_i32_e64 s[0:1], v51, v18
	s_nop 1
	v_cndmask_b32_e64 v6, 0, v6, s[0:1]
	v_perm_b32 v6, v12, v6, s25
	v_lshrrev_b32_e32 v12, 16, v0
	v_cmp_lt_i32_e64 s[0:1], v50, v9
	s_nop 1
	v_cndmask_b32_e64 v12, 0, v12, s[0:1]
	v_cmp_lt_i32_e64 s[0:1], v49, v18
	s_nop 1
	v_cndmask_b32_e64 v0, 0, v0, s[0:1]
	v_cmp_lt_i32_e64 s[0:1], v48, v9
	v_perm_b32 v0, v12, v0, s25
	s_nop 0
	v_cndmask_b32_e64 v1, 0, v1, s[0:1]
	v_cmp_lt_i32_e64 s[0:1], v39, v18
	s_nop 1
	v_cndmask_b32_e64 v8, 0, v8, s[0:1]
	v_perm_b32 v1, v1, v8, s25
.LBB254_526:                            ;   in Loop: Header=BB254_424 Depth=1
	s_or_b64 exec, exec, s[6:7]
	;;#ASMSTART
	v_pk_mul_f16 v8, v54, v13;

	;;#ASMEND
	;;#ASMSTART
	v_pk_mul_f16 v6, v55, v6;

	;;#ASMEND
	;; [unrolled: 4-line block ×4, first 2 shown]
	s_mov_b64 s[0:1], 0
	;;#ASMSTART
	v_pk_add_f16 v6, v8, v6;

	;;#ASMEND
                                        ; implicit-def: $sgpr18
	s_nop 0
	;;#ASMSTART
	v_pk_add_f16 v0, v6, v0;

	;;#ASMEND
	s_nop 0
	;;#ASMSTART
	v_pk_add_f16 v0, v0, v1;

	;;#ASMEND
	s_nop 0
	v_lshrrev_b32_e32 v1, 16, v0
	v_and_b32_e32 v0, 0xffff, v0
	;;#ASMSTART
	v_cvt_f32_f16 v46, v0;
	;;#ASMEND
	;;#ASMSTART
	v_cvt_f32_f16 v47, v1;
	;;#ASMEND
	v_accvgpr_read_b32 v0, a4
	flat_load_dwordx2 v[26:27], v[10:11] offset:1536
	v_accvgpr_read_b32 v1, a5
	flat_load_dword v24, v[0:1]
	s_waitcnt vmcnt(0) lgkmcnt(0)
	v_cmp_gt_i16_sdwa s[6:7], v26, s17 src0_sel:BYTE_0 src1_sel:DWORD
	s_and_saveexec_b64 s[8:9], s[6:7]
	s_xor_b64 s[6:7], exec, s[8:9]
	s_cbranch_execnz .LBB254_724
; %bb.527:                              ;   in Loop: Header=BB254_424 Depth=1
	s_or_saveexec_b64 s[6:7], s[6:7]
	v_mov_b32_e32 v28, s18
	s_xor_b64 exec, exec, s[6:7]
	s_cbranch_execnz .LBB254_727
.LBB254_528:                            ;   in Loop: Header=BB254_424 Depth=1
	s_or_b64 exec, exec, s[6:7]
	s_and_saveexec_b64 s[6:7], s[0:1]
	s_cbranch_execz .LBB254_530
.LBB254_529:                            ;   in Loop: Header=BB254_424 Depth=1
	v_and_b32_e32 v0, 7, v26
	v_ffbh_u32_e32 v0, v0
	v_bfe_u32 v1, v26, 3, 4
	v_min_u32_e32 v0, 32, v0
	v_subrev_u32_e32 v6, 28, v0
	v_sub_u32_e32 v0, 29, v0
	v_cmp_eq_u32_e64 s[0:1], 0, v1
	s_nop 1
	v_cndmask_b32_e64 v8, v1, v0, s[0:1]
	v_cndmask_b32_e64 v0, 0, v6, s[0:1]
	v_lshlrev_b64 v[0:1], v0, v[26:27]
	v_lshlrev_b32_e32 v1, 8, v26
	v_lshl_add_u32 v6, v8, 10, v38
	v_lshlrev_b32_e32 v0, 7, v0
	v_and_or_b32 v1, v1, s21, v6
	v_and_or_b32 v0, v0, s22, v1
	v_cvt_f32_f16_e32 v28, v0
.LBB254_530:                            ;   in Loop: Header=BB254_424 Depth=1
	s_or_b64 exec, exec, s[6:7]
	v_lshrrev_b16_e32 v6, 8, v26
	v_cmp_lt_i16_e64 s[0:1], s17, v6
	s_mov_b64 s[6:7], 0
                                        ; implicit-def: $sgpr26
	s_and_saveexec_b64 s[8:9], s[0:1]
	s_xor_b64 s[8:9], exec, s[8:9]
	s_cbranch_execnz .LBB254_728
; %bb.531:                              ;   in Loop: Header=BB254_424 Depth=1
	s_or_saveexec_b64 s[8:9], s[8:9]
	v_mov_b32_e32 v30, s26
	s_xor_b64 exec, exec, s[8:9]
	s_cbranch_execnz .LBB254_731
.LBB254_532:                            ;   in Loop: Header=BB254_424 Depth=1
	s_or_b64 exec, exec, s[8:9]
	s_and_saveexec_b64 s[8:9], s[6:7]
	s_cbranch_execz .LBB254_534
.LBB254_533:                            ;   in Loop: Header=BB254_424 Depth=1
	v_and_b32_e32 v8, 7, v6
	v_ffbh_u32_e32 v0, v8
	v_min_u32_e32 v13, 32, v0
	v_subrev_u32_e32 v0, 28, v13
	v_bfe_u32 v12, v6, 3, 4
	v_lshlrev_b64 v[0:1], v0, v[6:7]
	v_sub_u32_e32 v1, 29, v13
	v_cmp_eq_u32_e64 s[0:1], 0, v12
	v_and_b32_e32 v0, 7, v0
	v_lshlrev_b32_e32 v6, 8, v6
	v_cndmask_b32_e64 v1, v12, v1, s[0:1]
	v_lshl_add_u32 v1, v1, 10, v38
	v_cndmask_b32_e64 v0, v8, v0, s[0:1]
	v_and_or_b32 v1, v6, s21, v1
	v_lshl_or_b32 v0, v0, 7, v1
	v_cvt_f32_f16_e32 v30, v0
.LBB254_534:                            ;   in Loop: Header=BB254_424 Depth=1
	s_or_b64 exec, exec, s[8:9]
	v_lshrrev_b32_e32 v6, 16, v26
	v_cmp_gt_i16_sdwa s[6:7], v6, s17 src0_sel:BYTE_0 src1_sel:DWORD
	s_mov_b64 s[0:1], 0
                                        ; implicit-def: $sgpr18
	s_and_saveexec_b64 s[8:9], s[6:7]
	s_xor_b64 s[6:7], exec, s[8:9]
	s_cbranch_execnz .LBB254_732
; %bb.535:                              ;   in Loop: Header=BB254_424 Depth=1
	s_or_saveexec_b64 s[6:7], s[6:7]
	v_mov_b32_e32 v29, s18
	s_xor_b64 exec, exec, s[6:7]
	s_cbranch_execnz .LBB254_735
.LBB254_536:                            ;   in Loop: Header=BB254_424 Depth=1
	s_or_b64 exec, exec, s[6:7]
	s_and_saveexec_b64 s[6:7], s[0:1]
	s_cbranch_execz .LBB254_538
.LBB254_537:                            ;   in Loop: Header=BB254_424 Depth=1
	v_bfe_u32 v8, v26, 16, 3
	v_ffbh_u32_e32 v0, v8
	v_min_u32_e32 v13, 32, v0
	v_subrev_u32_e32 v0, 28, v13
	v_bfe_u32 v12, v26, 19, 4
	v_lshlrev_b64 v[0:1], v0, v[6:7]
	v_sub_u32_e32 v1, 29, v13
	v_cmp_eq_u32_e64 s[0:1], 0, v12
	v_and_b32_e32 v0, 7, v0
	v_lshlrev_b32_e32 v6, 8, v6
	v_cndmask_b32_e64 v1, v12, v1, s[0:1]
	v_lshl_add_u32 v1, v1, 10, v38
	v_cndmask_b32_e64 v0, v8, v0, s[0:1]
	v_and_or_b32 v1, v6, s21, v1
	v_lshl_or_b32 v0, v0, 7, v1
	v_cvt_f32_f16_e32 v29, v0
.LBB254_538:                            ;   in Loop: Header=BB254_424 Depth=1
	s_or_b64 exec, exec, s[6:7]
	v_lshrrev_b32_e32 v6, 24, v26
	v_cmp_lt_i16_e64 s[0:1], s17, v6
	s_mov_b64 s[6:7], 0
                                        ; implicit-def: $sgpr26
	s_and_saveexec_b64 s[8:9], s[0:1]
	s_xor_b64 s[8:9], exec, s[8:9]
	s_cbranch_execnz .LBB254_736
; %bb.539:                              ;   in Loop: Header=BB254_424 Depth=1
	s_or_saveexec_b64 s[8:9], s[8:9]
	v_mov_b32_e32 v31, s26
	s_xor_b64 exec, exec, s[8:9]
	s_cbranch_execnz .LBB254_739
.LBB254_540:                            ;   in Loop: Header=BB254_424 Depth=1
	s_or_b64 exec, exec, s[8:9]
	s_and_saveexec_b64 s[8:9], s[6:7]
	s_cbranch_execz .LBB254_542
.LBB254_541:                            ;   in Loop: Header=BB254_424 Depth=1
	v_bfe_u32 v8, v26, 24, 3
	v_ffbh_u32_e32 v0, v8
	v_min_u32_e32 v13, 32, v0
	v_subrev_u32_e32 v0, 28, v13
	v_bfe_u32 v12, v26, 27, 4
	v_lshlrev_b64 v[0:1], v0, v[6:7]
	v_sub_u32_e32 v1, 29, v13
	v_cmp_eq_u32_e64 s[0:1], 0, v12
	v_and_b32_e32 v0, 7, v0
	v_lshlrev_b32_e32 v6, 8, v6
	v_cndmask_b32_e64 v1, v12, v1, s[0:1]
	v_lshl_add_u32 v1, v1, 10, v38
	v_cndmask_b32_e64 v0, v8, v0, s[0:1]
	v_and_or_b32 v1, v6, s21, v1
	v_lshl_or_b32 v0, v0, 7, v1
	v_cvt_f32_f16_e32 v31, v0
.LBB254_542:                            ;   in Loop: Header=BB254_424 Depth=1
	s_or_b64 exec, exec, s[8:9]
	v_cmp_gt_i16_sdwa s[6:7], v27, s17 src0_sel:BYTE_0 src1_sel:DWORD
	s_mov_b64 s[0:1], 0
                                        ; implicit-def: $sgpr18
	s_and_saveexec_b64 s[8:9], s[6:7]
	s_xor_b64 s[6:7], exec, s[8:9]
	s_cbranch_execnz .LBB254_740
; %bb.543:                              ;   in Loop: Header=BB254_424 Depth=1
	s_or_saveexec_b64 s[6:7], s[6:7]
	v_mov_b32_e32 v0, s18
	s_xor_b64 exec, exec, s[6:7]
	s_cbranch_execnz .LBB254_743
.LBB254_544:                            ;   in Loop: Header=BB254_424 Depth=1
	s_or_b64 exec, exec, s[6:7]
	v_mov_b32_e32 v6, v27
	s_and_saveexec_b64 s[6:7], s[0:1]
	s_cbranch_execz .LBB254_546
.LBB254_545:                            ;   in Loop: Header=BB254_424 Depth=1
	v_and_b32_e32 v0, 7, v27
	v_ffbh_u32_e32 v0, v0
	v_bfe_u32 v1, v27, 3, 4
	v_min_u32_e32 v0, 32, v0
	v_subrev_u32_e32 v8, 28, v0
	v_sub_u32_e32 v0, 29, v0
	v_cmp_eq_u32_e64 s[0:1], 0, v1
	s_nop 1
	v_cndmask_b32_e64 v12, v1, v0, s[0:1]
	v_cndmask_b32_e64 v0, 0, v8, s[0:1]
	v_lshlrev_b64 v[0:1], v0, v[6:7]
	v_lshlrev_b32_e32 v1, 8, v27
	v_lshl_add_u32 v8, v12, 10, v38
	v_lshlrev_b32_e32 v0, 7, v0
	v_and_or_b32 v1, v1, s21, v8
	v_and_or_b32 v0, v0, s22, v1
	v_cvt_f32_f16_e32 v0, v0
.LBB254_546:                            ;   in Loop: Header=BB254_424 Depth=1
	s_or_b64 exec, exec, s[6:7]
	v_lshrrev_b16_e32 v6, 8, v6
	v_cmp_lt_i16_e64 s[0:1], s17, v6
	s_mov_b64 s[6:7], 0
                                        ; implicit-def: $sgpr26
	s_and_saveexec_b64 s[8:9], s[0:1]
	s_xor_b64 s[8:9], exec, s[8:9]
	s_cbranch_execnz .LBB254_744
; %bb.547:                              ;   in Loop: Header=BB254_424 Depth=1
	s_or_saveexec_b64 s[8:9], s[8:9]
	v_mov_b32_e32 v1, s26
	s_xor_b64 exec, exec, s[8:9]
	s_cbranch_execnz .LBB254_747
.LBB254_548:                            ;   in Loop: Header=BB254_424 Depth=1
	s_or_b64 exec, exec, s[8:9]
	s_and_saveexec_b64 s[8:9], s[6:7]
	s_cbranch_execz .LBB254_550
.LBB254_549:                            ;   in Loop: Header=BB254_424 Depth=1
	v_and_b32_e32 v1, 7, v6
	v_ffbh_u32_e32 v12, v1
	v_bfe_u32 v8, v6, 3, 4
	v_min_u32_e32 v12, 32, v12
	v_subrev_u32_e32 v13, 28, v12
	v_sub_u32_e32 v12, 29, v12
	v_cmp_eq_u32_e64 s[0:1], 0, v8
	v_lshlrev_b64 v[22:23], v13, v[6:7]
	v_and_b32_e32 v13, 7, v22
	v_cndmask_b32_e64 v8, v8, v12, s[0:1]
	v_lshlrev_b32_e32 v6, 8, v6
	v_lshl_add_u32 v8, v8, 10, v38
	v_cndmask_b32_e64 v1, v1, v13, s[0:1]
	v_and_or_b32 v6, v6, s21, v8
	v_lshl_or_b32 v1, v1, 7, v6
	v_cvt_f32_f16_e32 v1, v1
.LBB254_550:                            ;   in Loop: Header=BB254_424 Depth=1
	s_or_b64 exec, exec, s[8:9]
	v_lshrrev_b32_e32 v6, 16, v27
	v_cmp_gt_i16_sdwa s[6:7], v6, s17 src0_sel:BYTE_0 src1_sel:DWORD
	s_mov_b64 s[0:1], 0
                                        ; implicit-def: $sgpr18
	s_and_saveexec_b64 s[8:9], s[6:7]
	s_xor_b64 s[6:7], exec, s[8:9]
	s_cbranch_execnz .LBB254_748
; %bb.551:                              ;   in Loop: Header=BB254_424 Depth=1
	s_or_saveexec_b64 s[6:7], s[6:7]
	v_mov_b32_e32 v8, s18
	s_xor_b64 exec, exec, s[6:7]
	s_cbranch_execnz .LBB254_751
.LBB254_552:                            ;   in Loop: Header=BB254_424 Depth=1
	s_or_b64 exec, exec, s[6:7]
	s_and_saveexec_b64 s[6:7], s[0:1]
	s_cbranch_execz .LBB254_554
.LBB254_553:                            ;   in Loop: Header=BB254_424 Depth=1
	v_bfe_u32 v8, v27, 16, 3
	v_ffbh_u32_e32 v13, v8
	v_bfe_u32 v12, v27, 19, 4
	v_min_u32_e32 v13, 32, v13
	v_subrev_u32_e32 v18, 28, v13
	v_sub_u32_e32 v13, 29, v13
	v_cmp_eq_u32_e64 s[0:1], 0, v12
	v_lshlrev_b64 v[22:23], v18, v[6:7]
	v_and_b32_e32 v18, 7, v22
	v_cndmask_b32_e64 v12, v12, v13, s[0:1]
	v_lshlrev_b32_e32 v6, 8, v6
	v_lshl_add_u32 v12, v12, 10, v38
	v_cndmask_b32_e64 v8, v8, v18, s[0:1]
	v_and_or_b32 v6, v6, s21, v12
	v_lshl_or_b32 v6, v8, 7, v6
	v_cvt_f32_f16_e32 v8, v6
.LBB254_554:                            ;   in Loop: Header=BB254_424 Depth=1
	s_or_b64 exec, exec, s[6:7]
	v_lshrrev_b32_e32 v6, 24, v27
	v_cmp_lt_i16_e64 s[0:1], s17, v6
	s_mov_b64 s[6:7], 0
                                        ; implicit-def: $sgpr26
	s_and_saveexec_b64 s[8:9], s[0:1]
	s_xor_b64 s[8:9], exec, s[8:9]
	s_cbranch_execnz .LBB254_752
; %bb.555:                              ;   in Loop: Header=BB254_424 Depth=1
	s_or_saveexec_b64 s[8:9], s[8:9]
	v_mov_b32_e32 v18, s26
	s_xor_b64 exec, exec, s[8:9]
	s_cbranch_execnz .LBB254_755
.LBB254_556:                            ;   in Loop: Header=BB254_424 Depth=1
	s_or_b64 exec, exec, s[8:9]
	s_and_saveexec_b64 s[8:9], s[6:7]
	s_cbranch_execz .LBB254_558
.LBB254_557:                            ;   in Loop: Header=BB254_424 Depth=1
	v_bfe_u32 v12, v27, 24, 3
	v_ffbh_u32_e32 v18, v12
	v_bfe_u32 v13, v27, 27, 4
	v_min_u32_e32 v18, 32, v18
	v_subrev_u32_e32 v22, 28, v18
	v_sub_u32_e32 v18, 29, v18
	v_cmp_eq_u32_e64 s[0:1], 0, v13
	v_lshlrev_b64 v[22:23], v22, v[6:7]
	v_and_b32_e32 v22, 7, v22
	v_cndmask_b32_e64 v13, v13, v18, s[0:1]
	v_lshlrev_b32_e32 v6, 8, v6
	v_lshl_add_u32 v13, v13, 10, v38
	v_cndmask_b32_e64 v12, v12, v22, s[0:1]
	v_and_or_b32 v6, v6, s21, v13
	v_lshl_or_b32 v6, v12, 7, v6
	v_cvt_f32_f16_e32 v18, v6
.LBB254_558:                            ;   in Loop: Header=BB254_424 Depth=1
	s_or_b64 exec, exec, s[8:9]
	v_pk_mul_f32 v[22:23], v[24:25], v[30:31] op_sel_hi:[0,1]
	v_pk_mul_f32 v[26:27], v[24:25], v[28:29] op_sel_hi:[0,1]
	v_cvt_f16_f32_e32 v6, v23
	v_cvt_f16_f32_e32 v12, v22
	;; [unrolled: 1-line block ×4, first 2 shown]
	v_fma_mixlo_f16 v1, v24, v1, 0
	v_lshlrev_b32_e32 v1, 16, v1
	v_fma_mixlo_f16 v0, v24, v0, 0
	v_or_b32_sdwa v0, v1, v0 dst_sel:DWORD dst_unused:UNUSED_PAD src0_sel:DWORD src1_sel:WORD_0
	v_fma_mixlo_f16 v1, v24, v18, 0
	v_pack_b32_f16 v12, v12, v6
	v_pack_b32_f16 v13, v22, v13
	v_fma_mixlo_f16 v8, v24, v8, 0
	v_lshlrev_b32_e32 v1, 16, v1
	v_perm_b32 v6, v13, v12, s23
	v_perm_b32 v13, v13, v12, s24
	v_or_b32_sdwa v1, v1, v8 dst_sel:DWORD dst_unused:UNUSED_PAD src0_sel:DWORD src1_sel:WORD_0
	s_and_saveexec_b64 s[6:7], vcc
	s_cbranch_execz .LBB254_560
; %bb.559:                              ;   in Loop: Header=BB254_424 Depth=1
	v_lshrrev_b32_e32 v12, 16, v13
	v_cmp_lt_i32_e64 s[0:1], v53, v9
	v_accvgpr_read_b32 v18, a8
	v_lshrrev_b32_e32 v1, 16, v1
	v_cndmask_b32_e64 v12, 0, v12, s[0:1]
	v_cmp_lt_i32_e64 s[0:1], v36, v18
	s_nop 1
	v_cndmask_b32_e64 v13, 0, v13, s[0:1]
	v_perm_b32 v13, v12, v13, s25
	v_lshrrev_b32_e32 v12, 16, v6
	v_cmp_lt_i32_e64 s[0:1], v52, v9
	s_nop 1
	v_cndmask_b32_e64 v12, 0, v12, s[0:1]
	v_cmp_lt_i32_e64 s[0:1], v51, v18
	s_nop 1
	v_cndmask_b32_e64 v6, 0, v6, s[0:1]
	v_perm_b32 v6, v12, v6, s25
	v_lshrrev_b32_e32 v12, 16, v0
	v_cmp_lt_i32_e64 s[0:1], v50, v9
	s_nop 1
	v_cndmask_b32_e64 v12, 0, v12, s[0:1]
	v_cmp_lt_i32_e64 s[0:1], v49, v18
	s_nop 1
	v_cndmask_b32_e64 v0, 0, v0, s[0:1]
	v_cmp_lt_i32_e64 s[0:1], v48, v9
	v_perm_b32 v0, v12, v0, s25
	s_nop 0
	v_cndmask_b32_e64 v1, 0, v1, s[0:1]
	v_cmp_lt_i32_e64 s[0:1], v39, v18
	s_nop 1
	v_cndmask_b32_e64 v8, 0, v8, s[0:1]
	v_perm_b32 v1, v1, v8, s25
.LBB254_560:                            ;   in Loop: Header=BB254_424 Depth=1
	s_or_b64 exec, exec, s[6:7]
	;;#ASMSTART
	v_pk_mul_f16 v8, v54, v13;

	;;#ASMEND
	;;#ASMSTART
	v_pk_mul_f16 v6, v55, v6;

	;;#ASMEND
	;;#ASMSTART
	v_pk_mul_f16 v0, v40, v0;

	;;#ASMEND
	;;#ASMSTART
	v_pk_mul_f16 v1, v41, v1;

	;;#ASMEND
	v_accvgpr_read_b32 v13, a5
	;;#ASMSTART
	v_pk_add_f16 v6, v8, v6;

	;;#ASMEND
	v_accvgpr_read_b32 v12, a4
	;;#ASMSTART
	v_pk_add_f16 v0, v6, v0;

	;;#ASMEND
	s_mov_b64 s[0:1], 0
	;;#ASMSTART
	v_pk_add_f16 v0, v0, v1;

	;;#ASMEND
                                        ; implicit-def: $sgpr18
	s_nop 0
	v_lshrrev_b32_e32 v1, 16, v0
	v_and_b32_e32 v0, 0xffff, v0
	;;#ASMSTART
	v_cvt_f32_f16 v0, v0;
	;;#ASMEND
	;;#ASMSTART
	v_cvt_f32_f16 v1, v1;
	;;#ASMEND
	flat_load_dwordx2 v[26:27], v[10:11] offset:2048
	flat_load_dword v24, v[12:13]
	s_waitcnt vmcnt(0) lgkmcnt(0)
	v_cmp_gt_i16_sdwa s[6:7], v26, s17 src0_sel:BYTE_0 src1_sel:DWORD
	s_and_saveexec_b64 s[8:9], s[6:7]
	s_xor_b64 s[6:7], exec, s[8:9]
	s_cbranch_execnz .LBB254_756
; %bb.561:                              ;   in Loop: Header=BB254_424 Depth=1
	s_or_saveexec_b64 s[6:7], s[6:7]
	v_mov_b32_e32 v28, s18
	s_xor_b64 exec, exec, s[6:7]
	s_cbranch_execnz .LBB254_759
.LBB254_562:                            ;   in Loop: Header=BB254_424 Depth=1
	s_or_b64 exec, exec, s[6:7]
	s_and_saveexec_b64 s[6:7], s[0:1]
	s_cbranch_execz .LBB254_564
.LBB254_563:                            ;   in Loop: Header=BB254_424 Depth=1
	v_and_b32_e32 v6, 7, v26
	v_ffbh_u32_e32 v6, v6
	v_bfe_u32 v8, v26, 3, 4
	v_min_u32_e32 v6, 32, v6
	v_subrev_u32_e32 v12, 28, v6
	v_sub_u32_e32 v6, 29, v6
	v_cmp_eq_u32_e64 s[0:1], 0, v8
	s_nop 1
	v_cndmask_b32_e64 v6, v8, v6, s[0:1]
	v_cndmask_b32_e64 v8, 0, v12, s[0:1]
	v_lshlrev_b64 v[22:23], v8, v[26:27]
	v_lshlrev_b32_e32 v12, 8, v26
	v_lshl_add_u32 v6, v6, 10, v38
	v_lshlrev_b32_e32 v8, 7, v22
	v_and_or_b32 v6, v12, s21, v6
	v_and_or_b32 v6, v8, s22, v6
	v_cvt_f32_f16_e32 v28, v6
.LBB254_564:                            ;   in Loop: Header=BB254_424 Depth=1
	s_or_b64 exec, exec, s[6:7]
	v_lshrrev_b16_e32 v6, 8, v26
	v_cmp_lt_i16_e64 s[0:1], s17, v6
	s_mov_b64 s[6:7], 0
                                        ; implicit-def: $sgpr26
	s_and_saveexec_b64 s[8:9], s[0:1]
	s_xor_b64 s[8:9], exec, s[8:9]
	s_cbranch_execnz .LBB254_760
; %bb.565:                              ;   in Loop: Header=BB254_424 Depth=1
	s_or_saveexec_b64 s[8:9], s[8:9]
	v_mov_b32_e32 v30, s26
	s_xor_b64 exec, exec, s[8:9]
	s_cbranch_execnz .LBB254_763
.LBB254_566:                            ;   in Loop: Header=BB254_424 Depth=1
	s_or_b64 exec, exec, s[8:9]
	s_and_saveexec_b64 s[8:9], s[6:7]
	s_cbranch_execz .LBB254_568
.LBB254_567:                            ;   in Loop: Header=BB254_424 Depth=1
	v_and_b32_e32 v8, 7, v6
	v_ffbh_u32_e32 v13, v8
	v_bfe_u32 v12, v6, 3, 4
	v_min_u32_e32 v13, 32, v13
	v_subrev_u32_e32 v18, 28, v13
	v_sub_u32_e32 v13, 29, v13
	v_cmp_eq_u32_e64 s[0:1], 0, v12
	v_lshlrev_b64 v[22:23], v18, v[6:7]
	v_and_b32_e32 v18, 7, v22
	v_cndmask_b32_e64 v12, v12, v13, s[0:1]
	v_lshlrev_b32_e32 v6, 8, v6
	v_lshl_add_u32 v12, v12, 10, v38
	v_cndmask_b32_e64 v8, v8, v18, s[0:1]
	v_and_or_b32 v6, v6, s21, v12
	v_lshl_or_b32 v6, v8, 7, v6
	v_cvt_f32_f16_e32 v30, v6
.LBB254_568:                            ;   in Loop: Header=BB254_424 Depth=1
	s_or_b64 exec, exec, s[8:9]
	v_lshrrev_b32_e32 v6, 16, v26
	v_cmp_gt_i16_sdwa s[6:7], v6, s17 src0_sel:BYTE_0 src1_sel:DWORD
	s_mov_b64 s[0:1], 0
                                        ; implicit-def: $sgpr18
	s_and_saveexec_b64 s[8:9], s[6:7]
	s_xor_b64 s[6:7], exec, s[8:9]
	s_cbranch_execnz .LBB254_764
; %bb.569:                              ;   in Loop: Header=BB254_424 Depth=1
	s_or_saveexec_b64 s[6:7], s[6:7]
	v_mov_b32_e32 v29, s18
	s_xor_b64 exec, exec, s[6:7]
	s_cbranch_execnz .LBB254_767
.LBB254_570:                            ;   in Loop: Header=BB254_424 Depth=1
	s_or_b64 exec, exec, s[6:7]
	s_and_saveexec_b64 s[6:7], s[0:1]
	s_cbranch_execz .LBB254_572
.LBB254_571:                            ;   in Loop: Header=BB254_424 Depth=1
	v_bfe_u32 v8, v26, 16, 3
	v_ffbh_u32_e32 v13, v8
	v_bfe_u32 v12, v26, 19, 4
	v_min_u32_e32 v13, 32, v13
	v_subrev_u32_e32 v18, 28, v13
	v_sub_u32_e32 v13, 29, v13
	v_cmp_eq_u32_e64 s[0:1], 0, v12
	v_lshlrev_b64 v[22:23], v18, v[6:7]
	v_and_b32_e32 v18, 7, v22
	v_cndmask_b32_e64 v12, v12, v13, s[0:1]
	v_lshlrev_b32_e32 v6, 8, v6
	v_lshl_add_u32 v12, v12, 10, v38
	v_cndmask_b32_e64 v8, v8, v18, s[0:1]
	v_and_or_b32 v6, v6, s21, v12
	v_lshl_or_b32 v6, v8, 7, v6
	v_cvt_f32_f16_e32 v29, v6
.LBB254_572:                            ;   in Loop: Header=BB254_424 Depth=1
	s_or_b64 exec, exec, s[6:7]
	v_lshrrev_b32_e32 v6, 24, v26
	v_cmp_lt_i16_e64 s[0:1], s17, v6
	s_mov_b64 s[6:7], 0
                                        ; implicit-def: $sgpr26
	s_and_saveexec_b64 s[8:9], s[0:1]
	s_xor_b64 s[8:9], exec, s[8:9]
	s_cbranch_execnz .LBB254_768
; %bb.573:                              ;   in Loop: Header=BB254_424 Depth=1
	s_or_saveexec_b64 s[8:9], s[8:9]
	v_mov_b32_e32 v31, s26
	s_xor_b64 exec, exec, s[8:9]
	s_cbranch_execnz .LBB254_771
.LBB254_574:                            ;   in Loop: Header=BB254_424 Depth=1
	s_or_b64 exec, exec, s[8:9]
	s_and_saveexec_b64 s[8:9], s[6:7]
	s_cbranch_execz .LBB254_576
.LBB254_575:                            ;   in Loop: Header=BB254_424 Depth=1
	v_bfe_u32 v8, v26, 24, 3
	v_ffbh_u32_e32 v13, v8
	v_bfe_u32 v12, v26, 27, 4
	v_min_u32_e32 v13, 32, v13
	v_subrev_u32_e32 v18, 28, v13
	v_sub_u32_e32 v13, 29, v13
	v_cmp_eq_u32_e64 s[0:1], 0, v12
	v_lshlrev_b64 v[22:23], v18, v[6:7]
	v_and_b32_e32 v18, 7, v22
	v_cndmask_b32_e64 v12, v12, v13, s[0:1]
	v_lshlrev_b32_e32 v6, 8, v6
	v_lshl_add_u32 v12, v12, 10, v38
	v_cndmask_b32_e64 v8, v8, v18, s[0:1]
	v_and_or_b32 v6, v6, s21, v12
	v_lshl_or_b32 v6, v8, 7, v6
	v_cvt_f32_f16_e32 v31, v6
.LBB254_576:                            ;   in Loop: Header=BB254_424 Depth=1
	s_or_b64 exec, exec, s[8:9]
	v_cmp_gt_i16_sdwa s[6:7], v27, s17 src0_sel:BYTE_0 src1_sel:DWORD
	s_mov_b64 s[0:1], 0
                                        ; implicit-def: $sgpr18
	s_and_saveexec_b64 s[8:9], s[6:7]
	s_xor_b64 s[6:7], exec, s[8:9]
	s_cbranch_execnz .LBB254_772
; %bb.577:                              ;   in Loop: Header=BB254_424 Depth=1
	s_or_saveexec_b64 s[6:7], s[6:7]
	v_mov_b32_e32 v8, s18
	s_xor_b64 exec, exec, s[6:7]
	s_cbranch_execnz .LBB254_775
.LBB254_578:                            ;   in Loop: Header=BB254_424 Depth=1
	s_or_b64 exec, exec, s[6:7]
	v_mov_b32_e32 v6, v27
	s_and_saveexec_b64 s[6:7], s[0:1]
	s_cbranch_execz .LBB254_580
.LBB254_579:                            ;   in Loop: Header=BB254_424 Depth=1
	v_and_b32_e32 v8, 7, v27
	v_ffbh_u32_e32 v8, v8
	v_bfe_u32 v12, v27, 3, 4
	v_min_u32_e32 v8, 32, v8
	v_subrev_u32_e32 v13, 28, v8
	v_sub_u32_e32 v8, 29, v8
	v_cmp_eq_u32_e64 s[0:1], 0, v12
	s_nop 1
	v_cndmask_b32_e64 v8, v12, v8, s[0:1]
	v_cndmask_b32_e64 v12, 0, v13, s[0:1]
	v_lshlrev_b64 v[22:23], v12, v[6:7]
	v_lshlrev_b32_e32 v13, 8, v27
	v_lshl_add_u32 v8, v8, 10, v38
	v_lshlrev_b32_e32 v12, 7, v22
	v_and_or_b32 v8, v13, s21, v8
	v_and_or_b32 v8, v12, s22, v8
	v_cvt_f32_f16_e32 v8, v8
.LBB254_580:                            ;   in Loop: Header=BB254_424 Depth=1
	s_or_b64 exec, exec, s[6:7]
	v_lshrrev_b16_e32 v6, 8, v6
	v_cmp_lt_i16_e64 s[0:1], s17, v6
	s_mov_b64 s[6:7], 0
                                        ; implicit-def: $sgpr26
	s_and_saveexec_b64 s[8:9], s[0:1]
	s_xor_b64 s[8:9], exec, s[8:9]
	s_cbranch_execnz .LBB254_776
; %bb.581:                              ;   in Loop: Header=BB254_424 Depth=1
	s_or_saveexec_b64 s[8:9], s[8:9]
	v_mov_b32_e32 v13, s26
	s_xor_b64 exec, exec, s[8:9]
	s_cbranch_execnz .LBB254_779
.LBB254_582:                            ;   in Loop: Header=BB254_424 Depth=1
	s_or_b64 exec, exec, s[8:9]
	s_and_saveexec_b64 s[8:9], s[6:7]
	s_cbranch_execz .LBB254_584
.LBB254_583:                            ;   in Loop: Header=BB254_424 Depth=1
	v_and_b32_e32 v12, 7, v6
	v_ffbh_u32_e32 v18, v12
	v_bfe_u32 v13, v6, 3, 4
	v_min_u32_e32 v18, 32, v18
	v_subrev_u32_e32 v22, 28, v18
	v_sub_u32_e32 v18, 29, v18
	v_cmp_eq_u32_e64 s[0:1], 0, v13
	v_lshlrev_b64 v[22:23], v22, v[6:7]
	v_and_b32_e32 v22, 7, v22
	v_cndmask_b32_e64 v13, v13, v18, s[0:1]
	v_lshlrev_b32_e32 v6, 8, v6
	v_lshl_add_u32 v13, v13, 10, v38
	v_cndmask_b32_e64 v12, v12, v22, s[0:1]
	v_and_or_b32 v6, v6, s21, v13
	v_lshl_or_b32 v6, v12, 7, v6
	v_cvt_f32_f16_e32 v13, v6
.LBB254_584:                            ;   in Loop: Header=BB254_424 Depth=1
	s_or_b64 exec, exec, s[8:9]
	v_lshrrev_b32_e32 v6, 16, v27
	v_cmp_gt_i16_sdwa s[6:7], v6, s17 src0_sel:BYTE_0 src1_sel:DWORD
	s_mov_b64 s[0:1], 0
                                        ; implicit-def: $sgpr18
	s_and_saveexec_b64 s[8:9], s[6:7]
	s_xor_b64 s[6:7], exec, s[8:9]
	s_cbranch_execnz .LBB254_780
; %bb.585:                              ;   in Loop: Header=BB254_424 Depth=1
	s_or_saveexec_b64 s[6:7], s[6:7]
	v_mov_b32_e32 v18, s18
	s_xor_b64 exec, exec, s[6:7]
	s_cbranch_execnz .LBB254_783
.LBB254_586:                            ;   in Loop: Header=BB254_424 Depth=1
	s_or_b64 exec, exec, s[6:7]
	s_and_saveexec_b64 s[6:7], s[0:1]
	s_cbranch_execz .LBB254_588
.LBB254_587:                            ;   in Loop: Header=BB254_424 Depth=1
	v_bfe_u32 v12, v27, 16, 3
	v_ffbh_u32_e32 v22, v12
	v_min_u32_e32 v25, 32, v22
	v_subrev_u32_e32 v22, 28, v25
	v_bfe_u32 v18, v27, 19, 4
	v_lshlrev_b64 v[22:23], v22, v[6:7]
	v_sub_u32_e32 v23, 29, v25
	v_cmp_eq_u32_e64 s[0:1], 0, v18
	v_and_b32_e32 v22, 7, v22
	v_lshlrev_b32_e32 v6, 8, v6
	v_cndmask_b32_e64 v18, v18, v23, s[0:1]
	v_lshl_add_u32 v18, v18, 10, v38
	v_cndmask_b32_e64 v12, v12, v22, s[0:1]
	v_and_or_b32 v6, v6, s21, v18
	v_lshl_or_b32 v6, v12, 7, v6
	v_cvt_f32_f16_e32 v18, v6
.LBB254_588:                            ;   in Loop: Header=BB254_424 Depth=1
	s_or_b64 exec, exec, s[6:7]
	v_lshrrev_b32_e32 v6, 24, v27
	v_cmp_lt_i16_e64 s[0:1], s17, v6
	s_mov_b64 s[6:7], 0
                                        ; implicit-def: $sgpr26
	s_and_saveexec_b64 s[8:9], s[0:1]
	s_xor_b64 s[8:9], exec, s[8:9]
	s_cbranch_execnz .LBB254_784
; %bb.589:                              ;   in Loop: Header=BB254_424 Depth=1
	s_or_saveexec_b64 s[8:9], s[8:9]
	v_mov_b32_e32 v23, s26
	s_xor_b64 exec, exec, s[8:9]
	s_cbranch_execnz .LBB254_787
.LBB254_590:                            ;   in Loop: Header=BB254_424 Depth=1
	s_or_b64 exec, exec, s[8:9]
	s_and_saveexec_b64 s[8:9], s[6:7]
	s_cbranch_execz .LBB254_592
.LBB254_591:                            ;   in Loop: Header=BB254_424 Depth=1
	v_bfe_u32 v12, v27, 24, 3
	v_ffbh_u32_e32 v22, v12
	v_min_u32_e32 v26, 32, v22
	v_subrev_u32_e32 v22, 28, v26
	v_bfe_u32 v25, v27, 27, 4
	v_lshlrev_b64 v[22:23], v22, v[6:7]
	v_sub_u32_e32 v23, 29, v26
	v_cmp_eq_u32_e64 s[0:1], 0, v25
	v_and_b32_e32 v22, 7, v22
	v_lshlrev_b32_e32 v6, 8, v6
	v_cndmask_b32_e64 v23, v25, v23, s[0:1]
	v_cndmask_b32_e64 v12, v12, v22, s[0:1]
	v_lshl_add_u32 v22, v23, 10, v38
	v_and_or_b32 v6, v6, s21, v22
	v_lshl_or_b32 v6, v12, 7, v6
	v_cvt_f32_f16_e32 v23, v6
.LBB254_592:                            ;   in Loop: Header=BB254_424 Depth=1
	s_or_b64 exec, exec, s[8:9]
	v_pk_mul_f32 v[26:27], v[24:25], v[30:31] op_sel_hi:[0,1]
	v_pk_mul_f32 v[28:29], v[24:25], v[28:29] op_sel_hi:[0,1]
	v_cvt_f16_f32_e32 v6, v27
	v_cvt_f16_f32_e32 v12, v26
	;; [unrolled: 1-line block ×4, first 2 shown]
	v_fma_mixlo_f16 v8, v24, v8, 0
	v_pack_b32_f16 v12, v12, v6
	v_fma_mixlo_f16 v18, v24, v18, 0
	v_pack_b32_f16 v22, v25, v22
	v_perm_b32 v6, v22, v12, s23
	v_perm_b32 v22, v22, v12, s24
	v_fma_mixlo_f16 v12, v24, v13, 0
	v_lshlrev_b32_e32 v12, 16, v12
	v_or_b32_sdwa v8, v12, v8 dst_sel:DWORD dst_unused:UNUSED_PAD src0_sel:DWORD src1_sel:WORD_0
	v_fma_mixlo_f16 v12, v24, v23, 0
	v_lshlrev_b32_e32 v12, 16, v12
	v_or_b32_sdwa v13, v12, v18 dst_sel:DWORD dst_unused:UNUSED_PAD src0_sel:DWORD src1_sel:WORD_0
	s_and_saveexec_b64 s[6:7], vcc
	s_cbranch_execz .LBB254_594
; %bb.593:                              ;   in Loop: Header=BB254_424 Depth=1
	v_lshrrev_b32_e32 v12, 16, v22
	v_cmp_lt_i32_e64 s[0:1], v53, v9
	v_accvgpr_read_b32 v24, a8
	s_nop 0
	v_cndmask_b32_e64 v12, 0, v12, s[0:1]
	v_cmp_lt_i32_e64 s[0:1], v36, v24
	s_nop 1
	v_cndmask_b32_e64 v22, 0, v22, s[0:1]
	v_perm_b32 v22, v12, v22, s25
	v_lshrrev_b32_e32 v12, 16, v6
	v_cmp_lt_i32_e64 s[0:1], v52, v9
	s_nop 1
	v_cndmask_b32_e64 v12, 0, v12, s[0:1]
	v_cmp_lt_i32_e64 s[0:1], v51, v24
	s_nop 1
	v_cndmask_b32_e64 v6, 0, v6, s[0:1]
	v_perm_b32 v6, v12, v6, s25
	v_lshrrev_b32_e32 v12, 16, v8
	v_cmp_lt_i32_e64 s[0:1], v50, v9
	;; [unrolled: 8-line block ×3, first 2 shown]
	s_nop 1
	v_cndmask_b32_e64 v12, 0, v12, s[0:1]
	v_cmp_lt_i32_e64 s[0:1], v39, v24
	s_nop 1
	v_cndmask_b32_e64 v13, 0, v18, s[0:1]
	v_perm_b32 v13, v12, v13, s25
.LBB254_594:                            ;   in Loop: Header=BB254_424 Depth=1
	s_or_b64 exec, exec, s[6:7]
	;;#ASMSTART
	v_pk_mul_f16 v12, v54, v22;

	;;#ASMEND
	;;#ASMSTART
	v_pk_mul_f16 v6, v55, v6;

	;;#ASMEND
	;; [unrolled: 4-line block ×4, first 2 shown]
	s_mov_b64 s[0:1], 0
	;;#ASMSTART
	v_pk_add_f16 v6, v12, v6;

	;;#ASMEND
                                        ; implicit-def: $sgpr18
	s_nop 0
	;;#ASMSTART
	v_pk_add_f16 v6, v6, v8;

	;;#ASMEND
	s_nop 0
	;;#ASMSTART
	v_pk_add_f16 v6, v6, v13;

	;;#ASMEND
	s_nop 0
	v_lshrrev_b32_e32 v12, 16, v6
	v_and_b32_e32 v6, 0xffff, v6
	;;#ASMSTART
	v_cvt_f32_f16 v8, v6;
	;;#ASMEND
	;;#ASMSTART
	v_cvt_f32_f16 v13, v12;
	;;#ASMEND
	flat_load_dwordx2 v[24:25], v[10:11] offset:2560
	v_accvgpr_read_b32 v11, a5
	v_accvgpr_read_b32 v10, a4
	flat_load_dword v10, v[10:11]
	s_waitcnt vmcnt(0) lgkmcnt(0)
	v_cmp_gt_i16_sdwa s[6:7], v24, s17 src0_sel:BYTE_0 src1_sel:DWORD
	s_and_saveexec_b64 s[8:9], s[6:7]
	s_xor_b64 s[6:7], exec, s[8:9]
	s_cbranch_execnz .LBB254_788
; %bb.595:                              ;   in Loop: Header=BB254_424 Depth=1
	s_or_saveexec_b64 s[6:7], s[6:7]
	v_mov_b32_e32 v26, s18
	s_xor_b64 exec, exec, s[6:7]
	s_cbranch_execnz .LBB254_791
.LBB254_596:                            ;   in Loop: Header=BB254_424 Depth=1
	s_or_b64 exec, exec, s[6:7]
	s_and_saveexec_b64 s[6:7], s[0:1]
	s_cbranch_execz .LBB254_598
.LBB254_597:                            ;   in Loop: Header=BB254_424 Depth=1
	v_and_b32_e32 v6, 7, v24
	v_ffbh_u32_e32 v6, v6
	v_bfe_u32 v11, v24, 3, 4
	v_min_u32_e32 v6, 32, v6
	v_subrev_u32_e32 v12, 28, v6
	v_sub_u32_e32 v6, 29, v6
	v_cmp_eq_u32_e64 s[0:1], 0, v11
	s_nop 1
	v_cndmask_b32_e64 v6, v11, v6, s[0:1]
	v_cndmask_b32_e64 v11, 0, v12, s[0:1]
	v_lshlrev_b64 v[22:23], v11, v[24:25]
	v_lshlrev_b32_e32 v12, 8, v24
	v_lshl_add_u32 v6, v6, 10, v38
	v_lshlrev_b32_e32 v11, 7, v22
	v_and_or_b32 v6, v12, s21, v6
	v_and_or_b32 v6, v11, s22, v6
	v_cvt_f32_f16_e32 v26, v6
.LBB254_598:                            ;   in Loop: Header=BB254_424 Depth=1
	s_or_b64 exec, exec, s[6:7]
	v_lshrrev_b16_e32 v6, 8, v24
	v_cmp_lt_i16_e64 s[0:1], s17, v6
	s_mov_b64 s[6:7], 0
                                        ; implicit-def: $sgpr26
	s_and_saveexec_b64 s[8:9], s[0:1]
	s_xor_b64 s[8:9], exec, s[8:9]
	s_cbranch_execnz .LBB254_792
; %bb.599:                              ;   in Loop: Header=BB254_424 Depth=1
	s_or_saveexec_b64 s[8:9], s[8:9]
	v_mov_b32_e32 v28, s26
	s_xor_b64 exec, exec, s[8:9]
	s_cbranch_execnz .LBB254_795
.LBB254_600:                            ;   in Loop: Header=BB254_424 Depth=1
	s_or_b64 exec, exec, s[8:9]
	s_and_saveexec_b64 s[8:9], s[6:7]
	s_cbranch_execz .LBB254_602
.LBB254_601:                            ;   in Loop: Header=BB254_424 Depth=1
	v_and_b32_e32 v11, 7, v6
	v_ffbh_u32_e32 v18, v11
	v_bfe_u32 v12, v6, 3, 4
	v_min_u32_e32 v18, 32, v18
	v_subrev_u32_e32 v22, 28, v18
	v_sub_u32_e32 v18, 29, v18
	v_cmp_eq_u32_e64 s[0:1], 0, v12
	v_lshlrev_b64 v[22:23], v22, v[6:7]
	v_and_b32_e32 v22, 7, v22
	v_cndmask_b32_e64 v12, v12, v18, s[0:1]
	v_lshlrev_b32_e32 v6, 8, v6
	v_lshl_add_u32 v12, v12, 10, v38
	v_cndmask_b32_e64 v11, v11, v22, s[0:1]
	v_and_or_b32 v6, v6, s21, v12
	v_lshl_or_b32 v6, v11, 7, v6
	v_cvt_f32_f16_e32 v28, v6
.LBB254_602:                            ;   in Loop: Header=BB254_424 Depth=1
	s_or_b64 exec, exec, s[8:9]
	v_lshrrev_b32_e32 v6, 16, v24
	v_cmp_gt_i16_sdwa s[6:7], v6, s17 src0_sel:BYTE_0 src1_sel:DWORD
	s_mov_b64 s[0:1], 0
                                        ; implicit-def: $sgpr18
	s_and_saveexec_b64 s[8:9], s[6:7]
	s_xor_b64 s[6:7], exec, s[8:9]
	s_cbranch_execnz .LBB254_796
; %bb.603:                              ;   in Loop: Header=BB254_424 Depth=1
	s_or_saveexec_b64 s[6:7], s[6:7]
	v_mov_b32_e32 v27, s18
	s_xor_b64 exec, exec, s[6:7]
	s_cbranch_execnz .LBB254_799
.LBB254_604:                            ;   in Loop: Header=BB254_424 Depth=1
	s_or_b64 exec, exec, s[6:7]
	s_and_saveexec_b64 s[6:7], s[0:1]
	s_cbranch_execz .LBB254_606
.LBB254_605:                            ;   in Loop: Header=BB254_424 Depth=1
	v_bfe_u32 v11, v24, 16, 3
	v_ffbh_u32_e32 v18, v11
	v_bfe_u32 v12, v24, 19, 4
	v_min_u32_e32 v18, 32, v18
	v_subrev_u32_e32 v22, 28, v18
	v_sub_u32_e32 v18, 29, v18
	v_cmp_eq_u32_e64 s[0:1], 0, v12
	v_lshlrev_b64 v[22:23], v22, v[6:7]
	v_and_b32_e32 v22, 7, v22
	v_cndmask_b32_e64 v12, v12, v18, s[0:1]
	v_lshlrev_b32_e32 v6, 8, v6
	v_lshl_add_u32 v12, v12, 10, v38
	v_cndmask_b32_e64 v11, v11, v22, s[0:1]
	v_and_or_b32 v6, v6, s21, v12
	v_lshl_or_b32 v6, v11, 7, v6
	v_cvt_f32_f16_e32 v27, v6
.LBB254_606:                            ;   in Loop: Header=BB254_424 Depth=1
	s_or_b64 exec, exec, s[6:7]
	v_lshrrev_b32_e32 v6, 24, v24
	v_cmp_lt_i16_e64 s[0:1], s17, v6
	s_mov_b64 s[6:7], 0
                                        ; implicit-def: $sgpr26
	s_and_saveexec_b64 s[8:9], s[0:1]
	s_xor_b64 s[8:9], exec, s[8:9]
	s_cbranch_execnz .LBB254_800
; %bb.607:                              ;   in Loop: Header=BB254_424 Depth=1
	s_or_saveexec_b64 s[8:9], s[8:9]
	v_mov_b32_e32 v29, s26
	s_xor_b64 exec, exec, s[8:9]
	s_cbranch_execnz .LBB254_803
.LBB254_608:                            ;   in Loop: Header=BB254_424 Depth=1
	s_or_b64 exec, exec, s[8:9]
	s_and_saveexec_b64 s[8:9], s[6:7]
	s_cbranch_execz .LBB254_610
.LBB254_609:                            ;   in Loop: Header=BB254_424 Depth=1
	v_bfe_u32 v11, v24, 24, 3
	v_ffbh_u32_e32 v18, v11
	v_bfe_u32 v12, v24, 27, 4
	v_min_u32_e32 v18, 32, v18
	v_subrev_u32_e32 v22, 28, v18
	v_sub_u32_e32 v18, 29, v18
	v_cmp_eq_u32_e64 s[0:1], 0, v12
	v_lshlrev_b64 v[22:23], v22, v[6:7]
	v_and_b32_e32 v22, 7, v22
	v_cndmask_b32_e64 v12, v12, v18, s[0:1]
	v_lshlrev_b32_e32 v6, 8, v6
	v_lshl_add_u32 v12, v12, 10, v38
	v_cndmask_b32_e64 v11, v11, v22, s[0:1]
	v_and_or_b32 v6, v6, s21, v12
	v_lshl_or_b32 v6, v11, 7, v6
	v_cvt_f32_f16_e32 v29, v6
.LBB254_610:                            ;   in Loop: Header=BB254_424 Depth=1
	s_or_b64 exec, exec, s[8:9]
	v_cmp_gt_i16_sdwa s[6:7], v25, s17 src0_sel:BYTE_0 src1_sel:DWORD
	s_mov_b64 s[0:1], 0
                                        ; implicit-def: $sgpr18
	s_and_saveexec_b64 s[8:9], s[6:7]
	s_xor_b64 s[6:7], exec, s[8:9]
	s_cbranch_execnz .LBB254_804
; %bb.611:                              ;   in Loop: Header=BB254_424 Depth=1
	s_or_saveexec_b64 s[6:7], s[6:7]
	v_mov_b32_e32 v11, s18
	s_xor_b64 exec, exec, s[6:7]
	s_cbranch_execnz .LBB254_807
.LBB254_612:                            ;   in Loop: Header=BB254_424 Depth=1
	s_or_b64 exec, exec, s[6:7]
	v_mov_b32_e32 v6, v25
	s_and_saveexec_b64 s[6:7], s[0:1]
	s_cbranch_execz .LBB254_614
.LBB254_613:                            ;   in Loop: Header=BB254_424 Depth=1
	v_and_b32_e32 v11, 7, v25
	v_ffbh_u32_e32 v11, v11
	v_bfe_u32 v12, v25, 3, 4
	v_min_u32_e32 v11, 32, v11
	v_subrev_u32_e32 v18, 28, v11
	v_sub_u32_e32 v11, 29, v11
	v_cmp_eq_u32_e64 s[0:1], 0, v12
	s_nop 1
	v_cndmask_b32_e64 v11, v12, v11, s[0:1]
	v_cndmask_b32_e64 v12, 0, v18, s[0:1]
	v_lshlrev_b64 v[22:23], v12, v[6:7]
	v_lshlrev_b32_e32 v18, 8, v25
	v_lshl_add_u32 v11, v11, 10, v38
	v_lshlrev_b32_e32 v12, 7, v22
	v_and_or_b32 v11, v18, s21, v11
	v_and_or_b32 v11, v12, s22, v11
	v_cvt_f32_f16_e32 v11, v11
.LBB254_614:                            ;   in Loop: Header=BB254_424 Depth=1
	s_or_b64 exec, exec, s[6:7]
	v_lshrrev_b16_e32 v6, 8, v6
	v_cmp_lt_i16_e64 s[0:1], s17, v6
	s_mov_b64 s[6:7], 0
                                        ; implicit-def: $sgpr26
	s_and_saveexec_b64 s[8:9], s[0:1]
	s_xor_b64 s[8:9], exec, s[8:9]
	s_cbranch_execnz .LBB254_808
; %bb.615:                              ;   in Loop: Header=BB254_424 Depth=1
	s_or_saveexec_b64 s[8:9], s[8:9]
	v_mov_b32_e32 v18, s26
	s_xor_b64 exec, exec, s[8:9]
	s_cbranch_execnz .LBB254_811
.LBB254_616:                            ;   in Loop: Header=BB254_424 Depth=1
	s_or_b64 exec, exec, s[8:9]
	s_and_saveexec_b64 s[8:9], s[6:7]
	s_cbranch_execz .LBB254_618
.LBB254_617:                            ;   in Loop: Header=BB254_424 Depth=1
	v_and_b32_e32 v12, 7, v6
	v_ffbh_u32_e32 v22, v12
	v_min_u32_e32 v24, 32, v22
	v_subrev_u32_e32 v22, 28, v24
	v_bfe_u32 v18, v6, 3, 4
	v_lshlrev_b64 v[22:23], v22, v[6:7]
	v_sub_u32_e32 v23, 29, v24
	v_cmp_eq_u32_e64 s[0:1], 0, v18
	v_and_b32_e32 v22, 7, v22
	v_lshlrev_b32_e32 v6, 8, v6
	v_cndmask_b32_e64 v18, v18, v23, s[0:1]
	v_lshl_add_u32 v18, v18, 10, v38
	v_cndmask_b32_e64 v12, v12, v22, s[0:1]
	v_and_or_b32 v6, v6, s21, v18
	v_lshl_or_b32 v6, v12, 7, v6
	v_cvt_f32_f16_e32 v18, v6
.LBB254_618:                            ;   in Loop: Header=BB254_424 Depth=1
	s_or_b64 exec, exec, s[8:9]
	v_lshrrev_b32_e32 v6, 16, v25
	v_cmp_gt_i16_sdwa s[6:7], v6, s17 src0_sel:BYTE_0 src1_sel:DWORD
	s_mov_b64 s[0:1], 0
                                        ; implicit-def: $sgpr18
	s_and_saveexec_b64 s[8:9], s[6:7]
	s_xor_b64 s[6:7], exec, s[8:9]
	s_cbranch_execnz .LBB254_812
; %bb.619:                              ;   in Loop: Header=BB254_424 Depth=1
	s_or_saveexec_b64 s[6:7], s[6:7]
	v_mov_b32_e32 v24, s18
	s_xor_b64 exec, exec, s[6:7]
	s_cbranch_execnz .LBB254_815
.LBB254_620:                            ;   in Loop: Header=BB254_424 Depth=1
	s_or_b64 exec, exec, s[6:7]
	s_and_saveexec_b64 s[6:7], s[0:1]
	s_cbranch_execz .LBB254_622
.LBB254_621:                            ;   in Loop: Header=BB254_424 Depth=1
	v_bfe_u32 v12, v25, 16, 3
	v_ffbh_u32_e32 v22, v12
	v_min_u32_e32 v30, 32, v22
	v_subrev_u32_e32 v22, 28, v30
	v_bfe_u32 v24, v25, 19, 4
	v_lshlrev_b64 v[22:23], v22, v[6:7]
	v_sub_u32_e32 v23, 29, v30
	v_cmp_eq_u32_e64 s[0:1], 0, v24
	v_and_b32_e32 v22, 7, v22
	v_lshlrev_b32_e32 v6, 8, v6
	v_cndmask_b32_e64 v23, v24, v23, s[0:1]
	v_cndmask_b32_e64 v12, v12, v22, s[0:1]
	v_lshl_add_u32 v22, v23, 10, v38
	v_and_or_b32 v6, v6, s21, v22
	v_lshl_or_b32 v6, v12, 7, v6
	v_cvt_f32_f16_e32 v24, v6
.LBB254_622:                            ;   in Loop: Header=BB254_424 Depth=1
	s_or_b64 exec, exec, s[6:7]
	v_lshrrev_b32_e32 v6, 24, v25
	v_cmp_lt_i16_e64 s[0:1], s17, v6
	s_mov_b64 s[6:7], 0
                                        ; implicit-def: $sgpr26
	s_and_saveexec_b64 s[8:9], s[0:1]
	s_xor_b64 s[8:9], exec, s[8:9]
	s_cbranch_execnz .LBB254_816
; %bb.623:                              ;   in Loop: Header=BB254_424 Depth=1
	s_or_saveexec_b64 s[8:9], s[8:9]
	v_mov_b32_e32 v23, s26
	s_xor_b64 exec, exec, s[8:9]
	s_cbranch_execnz .LBB254_819
.LBB254_624:                            ;   in Loop: Header=BB254_424 Depth=1
	s_or_b64 exec, exec, s[8:9]
	s_and_saveexec_b64 s[8:9], s[6:7]
	s_cbranch_execz .LBB254_626
.LBB254_625:                            ;   in Loop: Header=BB254_424 Depth=1
	v_bfe_u32 v12, v25, 24, 3
	v_ffbh_u32_e32 v22, v12
	v_min_u32_e32 v30, 32, v22
	v_subrev_u32_e32 v22, 28, v30
	v_bfe_u32 v25, v25, 27, 4
	v_lshlrev_b64 v[22:23], v22, v[6:7]
	v_sub_u32_e32 v23, 29, v30
	v_cmp_eq_u32_e64 s[0:1], 0, v25
	v_and_b32_e32 v22, 7, v22
	v_lshlrev_b32_e32 v6, 8, v6
	v_cndmask_b32_e64 v23, v25, v23, s[0:1]
	v_cndmask_b32_e64 v12, v12, v22, s[0:1]
	v_lshl_add_u32 v22, v23, 10, v38
	v_and_or_b32 v6, v6, s21, v22
	v_lshl_or_b32 v6, v12, 7, v6
	v_cvt_f32_f16_e32 v23, v6
.LBB254_626:                            ;   in Loop: Header=BB254_424 Depth=1
	s_or_b64 exec, exec, s[8:9]
	v_pk_mul_f32 v[28:29], v[10:11], v[28:29] op_sel_hi:[0,1]
	v_pk_mul_f32 v[26:27], v[10:11], v[26:27] op_sel_hi:[0,1]
	v_cvt_f16_f32_e32 v6, v29
	v_cvt_f16_f32_e32 v12, v28
	v_cvt_f16_f32_e32 v22, v27
	v_cvt_f16_f32_e32 v25, v26
	v_fma_mixlo_f16 v11, v10, v11, 0
	v_pack_b32_f16 v12, v12, v6
	v_pack_b32_f16 v22, v25, v22
	v_perm_b32 v6, v22, v12, s23
	v_perm_b32 v22, v22, v12, s24
	v_fma_mixlo_f16 v12, v10, v18, 0
	v_fma_mixlo_f16 v18, v10, v24, 0
	;; [unrolled: 1-line block ×3, first 2 shown]
	v_lshlrev_b32_e32 v12, 16, v12
	v_lshlrev_b32_e32 v10, 16, v10
	v_or_b32_sdwa v11, v12, v11 dst_sel:DWORD dst_unused:UNUSED_PAD src0_sel:DWORD src1_sel:WORD_0
	v_or_b32_sdwa v10, v10, v18 dst_sel:DWORD dst_unused:UNUSED_PAD src0_sel:DWORD src1_sel:WORD_0
	s_and_saveexec_b64 s[0:1], vcc
	s_cbranch_execz .LBB254_423
; %bb.627:                              ;   in Loop: Header=BB254_424 Depth=1
	v_lshrrev_b32_e32 v12, 16, v22
	v_cmp_lt_i32_e32 vcc, v53, v9
	v_accvgpr_read_b32 v24, a8
	v_lshrrev_b32_e32 v10, 16, v10
	v_cndmask_b32_e32 v12, 0, v12, vcc
	v_cmp_lt_i32_e32 vcc, v36, v24
	s_nop 1
	v_cndmask_b32_e32 v22, 0, v22, vcc
	v_perm_b32 v22, v12, v22, s25
	v_lshrrev_b32_e32 v12, 16, v6
	v_cmp_lt_i32_e32 vcc, v52, v9
	s_nop 1
	v_cndmask_b32_e32 v12, 0, v12, vcc
	v_cmp_lt_i32_e32 vcc, v51, v24
	s_nop 1
	v_cndmask_b32_e32 v6, 0, v6, vcc
	v_perm_b32 v6, v12, v6, s25
	v_lshrrev_b32_e32 v12, 16, v11
	v_cmp_lt_i32_e32 vcc, v50, v9
	s_nop 1
	v_cndmask_b32_e32 v12, 0, v12, vcc
	v_cmp_lt_i32_e32 vcc, v49, v24
	s_nop 1
	v_cndmask_b32_e32 v11, 0, v11, vcc
	v_cmp_lt_i32_e32 vcc, v48, v9
	v_perm_b32 v11, v12, v11, s25
	s_nop 0
	v_cndmask_b32_e32 v10, 0, v10, vcc
	v_cmp_lt_i32_e32 vcc, v39, v24
	s_nop 1
	v_cndmask_b32_e32 v12, 0, v18, vcc
	v_perm_b32 v10, v10, v12, s25
	s_branch .LBB254_423
.LBB254_628:                            ;   in Loop: Header=BB254_424 Depth=1
	v_cmp_eq_u16_sdwa s[26:27], v26, s20 src0_sel:BYTE_0 src1_sel:DWORD
	s_mov_b64 s[0:1], -1
                                        ; implicit-def: $sgpr18
	s_and_saveexec_b64 s[8:9], s[26:27]
; %bb.629:                              ;   in Loop: Header=BB254_424 Depth=1
	s_mov_b32 s18, 0x7fc02000
	s_xor_b64 s[0:1], exec, -1
; %bb.630:                              ;   in Loop: Header=BB254_424 Depth=1
	s_or_b64 exec, exec, s[8:9]
	s_and_b64 s[0:1], s[0:1], exec
	s_or_saveexec_b64 s[6:7], s[6:7]
	v_mov_b32_e32 v28, s18
	s_xor_b64 exec, exec, s[6:7]
	s_cbranch_execz .LBB254_426
.LBB254_631:                            ;   in Loop: Header=BB254_424 Depth=1
	v_cmp_ne_u16_sdwa s[8:9], v26, v7 src0_sel:BYTE_0 src1_sel:DWORD
	s_andn2_b64 s[0:1], s[0:1], exec
	s_and_b64 s[8:9], s[8:9], exec
	v_mov_b32_e32 v28, 0
	s_or_b64 s[0:1], s[0:1], s[8:9]
	s_or_b64 exec, exec, s[6:7]
	s_and_saveexec_b64 s[6:7], s[0:1]
	s_cbranch_execnz .LBB254_427
	s_branch .LBB254_428
.LBB254_632:                            ;   in Loop: Header=BB254_424 Depth=1
	v_cmp_eq_u16_e32 vcc, s20, v6
	s_mov_b64 s[0:1], -1
                                        ; implicit-def: $sgpr18
	s_and_saveexec_b64 s[8:9], vcc
; %bb.633:                              ;   in Loop: Header=BB254_424 Depth=1
	s_mov_b32 s18, 0x7fc02000
	s_xor_b64 s[0:1], exec, -1
; %bb.634:                              ;   in Loop: Header=BB254_424 Depth=1
	s_or_b64 exec, exec, s[8:9]
	s_and_b64 s[0:1], s[0:1], exec
	s_or_saveexec_b64 s[6:7], s[6:7]
	v_mov_b32_e32 v30, s18
	s_xor_b64 exec, exec, s[6:7]
	s_cbranch_execz .LBB254_430
.LBB254_635:                            ;   in Loop: Header=BB254_424 Depth=1
	v_cmp_ne_u16_e32 vcc, 0, v6
	s_andn2_b64 s[0:1], s[0:1], exec
	s_and_b64 s[8:9], vcc, exec
	v_mov_b32_e32 v30, 0
	s_or_b64 s[0:1], s[0:1], s[8:9]
	s_or_b64 exec, exec, s[6:7]
	s_and_saveexec_b64 s[6:7], s[0:1]
	s_cbranch_execnz .LBB254_431
	s_branch .LBB254_432
.LBB254_636:                            ;   in Loop: Header=BB254_424 Depth=1
	v_cmp_eq_u16_sdwa s[26:27], v6, s20 src0_sel:BYTE_0 src1_sel:DWORD
	s_mov_b64 s[0:1], -1
                                        ; implicit-def: $sgpr18
	s_and_saveexec_b64 s[8:9], s[26:27]
; %bb.637:                              ;   in Loop: Header=BB254_424 Depth=1
	s_mov_b32 s18, 0x7fc02000
	s_xor_b64 s[0:1], exec, -1
; %bb.638:                              ;   in Loop: Header=BB254_424 Depth=1
	s_or_b64 exec, exec, s[8:9]
	s_and_b64 s[0:1], s[0:1], exec
	s_or_saveexec_b64 s[6:7], s[6:7]
	v_mov_b32_e32 v29, s18
	s_xor_b64 exec, exec, s[6:7]
	s_cbranch_execz .LBB254_434
.LBB254_639:                            ;   in Loop: Header=BB254_424 Depth=1
	v_cmp_ne_u16_sdwa s[8:9], v6, v7 src0_sel:BYTE_0 src1_sel:DWORD
	s_andn2_b64 s[0:1], s[0:1], exec
	s_and_b64 s[8:9], s[8:9], exec
	v_mov_b32_e32 v29, 0
	s_or_b64 s[0:1], s[0:1], s[8:9]
	s_or_b64 exec, exec, s[6:7]
	s_and_saveexec_b64 s[6:7], s[0:1]
	s_cbranch_execnz .LBB254_435
	s_branch .LBB254_436
.LBB254_640:                            ;   in Loop: Header=BB254_424 Depth=1
	v_cmp_eq_u16_e32 vcc, s20, v6
	s_mov_b64 s[0:1], -1
                                        ; implicit-def: $sgpr18
	s_and_saveexec_b64 s[8:9], vcc
; %bb.641:                              ;   in Loop: Header=BB254_424 Depth=1
	s_mov_b32 s18, 0x7fc02000
	s_xor_b64 s[0:1], exec, -1
; %bb.642:                              ;   in Loop: Header=BB254_424 Depth=1
	s_or_b64 exec, exec, s[8:9]
	s_and_b64 s[0:1], s[0:1], exec
	s_or_saveexec_b64 s[6:7], s[6:7]
	v_mov_b32_e32 v31, s18
	s_xor_b64 exec, exec, s[6:7]
	s_cbranch_execz .LBB254_438
.LBB254_643:                            ;   in Loop: Header=BB254_424 Depth=1
	v_cmp_ne_u16_e32 vcc, 0, v6
	s_andn2_b64 s[0:1], s[0:1], exec
	s_and_b64 s[8:9], vcc, exec
	v_mov_b32_e32 v31, 0
	s_or_b64 s[0:1], s[0:1], s[8:9]
	s_or_b64 exec, exec, s[6:7]
	s_and_saveexec_b64 s[6:7], s[0:1]
	s_cbranch_execnz .LBB254_439
	s_branch .LBB254_440
.LBB254_644:                            ;   in Loop: Header=BB254_424 Depth=1
	v_cmp_eq_u16_sdwa s[26:27], v27, s20 src0_sel:BYTE_0 src1_sel:DWORD
	s_mov_b64 s[0:1], -1
                                        ; implicit-def: $sgpr18
	s_and_saveexec_b64 s[8:9], s[26:27]
; %bb.645:                              ;   in Loop: Header=BB254_424 Depth=1
	s_mov_b32 s18, 0x7fc02000
	s_xor_b64 s[0:1], exec, -1
; %bb.646:                              ;   in Loop: Header=BB254_424 Depth=1
	s_or_b64 exec, exec, s[8:9]
	s_and_b64 s[0:1], s[0:1], exec
	s_or_saveexec_b64 s[6:7], s[6:7]
	v_mov_b32_e32 v18, s18
	s_xor_b64 exec, exec, s[6:7]
	s_cbranch_execz .LBB254_442
.LBB254_647:                            ;   in Loop: Header=BB254_424 Depth=1
	v_cmp_ne_u16_sdwa s[8:9], v27, v7 src0_sel:BYTE_0 src1_sel:DWORD
	s_andn2_b64 s[0:1], s[0:1], exec
	s_and_b64 s[8:9], s[8:9], exec
	v_mov_b32_e32 v18, 0
	s_or_b64 s[0:1], s[0:1], s[8:9]
	s_or_b64 exec, exec, s[6:7]
	v_mov_b32_e32 v6, v27
	s_and_saveexec_b64 s[6:7], s[0:1]
	s_cbranch_execnz .LBB254_443
	s_branch .LBB254_444
.LBB254_648:                            ;   in Loop: Header=BB254_424 Depth=1
	v_cmp_eq_u16_e32 vcc, s20, v6
	s_mov_b64 s[0:1], -1
                                        ; implicit-def: $sgpr18
	s_and_saveexec_b64 s[8:9], vcc
; %bb.649:                              ;   in Loop: Header=BB254_424 Depth=1
	s_mov_b32 s18, 0x7fc02000
	s_xor_b64 s[0:1], exec, -1
; %bb.650:                              ;   in Loop: Header=BB254_424 Depth=1
	s_or_b64 exec, exec, s[8:9]
	s_and_b64 s[0:1], s[0:1], exec
	s_or_saveexec_b64 s[6:7], s[6:7]
	v_mov_b32_e32 v26, s18
	s_xor_b64 exec, exec, s[6:7]
	s_cbranch_execz .LBB254_446
.LBB254_651:                            ;   in Loop: Header=BB254_424 Depth=1
	v_cmp_ne_u16_e32 vcc, 0, v6
	s_andn2_b64 s[0:1], s[0:1], exec
	s_and_b64 s[8:9], vcc, exec
	v_mov_b32_e32 v26, 0
	s_or_b64 s[0:1], s[0:1], s[8:9]
	s_or_b64 exec, exec, s[6:7]
	s_and_saveexec_b64 s[6:7], s[0:1]
	s_cbranch_execnz .LBB254_447
	s_branch .LBB254_448
.LBB254_652:                            ;   in Loop: Header=BB254_424 Depth=1
	v_cmp_eq_u16_sdwa s[26:27], v6, s20 src0_sel:BYTE_0 src1_sel:DWORD
	s_mov_b64 s[0:1], -1
                                        ; implicit-def: $sgpr18
	s_and_saveexec_b64 s[8:9], s[26:27]
; %bb.653:                              ;   in Loop: Header=BB254_424 Depth=1
	s_mov_b32 s18, 0x7fc02000
	s_xor_b64 s[0:1], exec, -1
; %bb.654:                              ;   in Loop: Header=BB254_424 Depth=1
	s_or_b64 exec, exec, s[8:9]
	s_and_b64 s[0:1], s[0:1], exec
	s_or_saveexec_b64 s[6:7], s[6:7]
	v_mov_b32_e32 v39, s18
	s_xor_b64 exec, exec, s[6:7]
	s_cbranch_execz .LBB254_450
.LBB254_655:                            ;   in Loop: Header=BB254_424 Depth=1
	v_cmp_ne_u16_sdwa s[8:9], v6, v7 src0_sel:BYTE_0 src1_sel:DWORD
	s_andn2_b64 s[0:1], s[0:1], exec
	s_and_b64 s[8:9], s[8:9], exec
	v_mov_b32_e32 v39, 0
	s_or_b64 s[0:1], s[0:1], s[8:9]
	s_or_b64 exec, exec, s[6:7]
	s_and_saveexec_b64 s[6:7], s[0:1]
	s_cbranch_execnz .LBB254_451
	s_branch .LBB254_452
.LBB254_656:                            ;   in Loop: Header=BB254_424 Depth=1
	v_cmp_eq_u16_e32 vcc, s20, v6
	s_mov_b64 s[0:1], -1
                                        ; implicit-def: $sgpr18
	s_and_saveexec_b64 s[8:9], vcc
; %bb.657:                              ;   in Loop: Header=BB254_424 Depth=1
	s_mov_b32 s18, 0x7fc02000
	s_xor_b64 s[0:1], exec, -1
; %bb.658:                              ;   in Loop: Header=BB254_424 Depth=1
	s_or_b64 exec, exec, s[8:9]
	s_and_b64 s[0:1], s[0:1], exec
	s_or_saveexec_b64 s[6:7], s[6:7]
	v_mov_b32_e32 v23, s18
	s_xor_b64 exec, exec, s[6:7]
	s_cbranch_execz .LBB254_454
.LBB254_659:                            ;   in Loop: Header=BB254_424 Depth=1
	v_cmp_ne_u16_e32 vcc, 0, v6
	s_andn2_b64 s[0:1], s[0:1], exec
	s_and_b64 s[8:9], vcc, exec
	v_mov_b32_e32 v23, 0
	s_or_b64 s[0:1], s[0:1], s[8:9]
	s_or_b64 exec, exec, s[6:7]
	s_and_saveexec_b64 s[6:7], s[0:1]
	s_cbranch_execnz .LBB254_455
	s_branch .LBB254_456
.LBB254_660:                            ;   in Loop: Header=BB254_424 Depth=1
	v_cmp_eq_u16_sdwa s[26:27], v26, s20 src0_sel:BYTE_0 src1_sel:DWORD
	s_mov_b64 s[0:1], -1
                                        ; implicit-def: $sgpr18
	s_and_saveexec_b64 s[8:9], s[26:27]
; %bb.661:                              ;   in Loop: Header=BB254_424 Depth=1
	s_mov_b32 s18, 0x7fc02000
	s_xor_b64 s[0:1], exec, -1
; %bb.662:                              ;   in Loop: Header=BB254_424 Depth=1
	s_or_b64 exec, exec, s[8:9]
	s_and_b64 s[0:1], s[0:1], exec
	s_or_saveexec_b64 s[6:7], s[6:7]
	v_mov_b32_e32 v28, s18
	s_xor_b64 exec, exec, s[6:7]
	s_cbranch_execz .LBB254_460
.LBB254_663:                            ;   in Loop: Header=BB254_424 Depth=1
	v_cmp_ne_u16_sdwa s[8:9], v26, v7 src0_sel:BYTE_0 src1_sel:DWORD
	s_andn2_b64 s[0:1], s[0:1], exec
	s_and_b64 s[8:9], s[8:9], exec
	v_mov_b32_e32 v28, 0
	s_or_b64 s[0:1], s[0:1], s[8:9]
	s_or_b64 exec, exec, s[6:7]
	s_and_saveexec_b64 s[6:7], s[0:1]
	s_cbranch_execnz .LBB254_461
	s_branch .LBB254_462
.LBB254_664:                            ;   in Loop: Header=BB254_424 Depth=1
	v_cmp_eq_u16_e64 s[0:1], s20, v6
	s_mov_b64 s[6:7], -1
                                        ; implicit-def: $sgpr26
	s_and_saveexec_b64 s[18:19], s[0:1]
; %bb.665:                              ;   in Loop: Header=BB254_424 Depth=1
	s_mov_b32 s26, 0x7fc02000
	s_xor_b64 s[6:7], exec, -1
; %bb.666:                              ;   in Loop: Header=BB254_424 Depth=1
	s_or_b64 exec, exec, s[18:19]
	s_and_b64 s[6:7], s[6:7], exec
	s_or_saveexec_b64 s[8:9], s[8:9]
	v_mov_b32_e32 v30, s26
	s_xor_b64 exec, exec, s[8:9]
	s_cbranch_execz .LBB254_464
.LBB254_667:                            ;   in Loop: Header=BB254_424 Depth=1
	v_cmp_ne_u16_e64 s[0:1], 0, v6
	s_andn2_b64 s[6:7], s[6:7], exec
	s_and_b64 s[0:1], s[0:1], exec
	v_mov_b32_e32 v30, 0
	s_or_b64 s[6:7], s[6:7], s[0:1]
	s_or_b64 exec, exec, s[8:9]
	s_and_saveexec_b64 s[8:9], s[6:7]
	s_cbranch_execnz .LBB254_465
	s_branch .LBB254_466
.LBB254_668:                            ;   in Loop: Header=BB254_424 Depth=1
	v_cmp_eq_u16_sdwa s[26:27], v6, s20 src0_sel:BYTE_0 src1_sel:DWORD
	s_mov_b64 s[0:1], -1
                                        ; implicit-def: $sgpr18
	s_and_saveexec_b64 s[8:9], s[26:27]
; %bb.669:                              ;   in Loop: Header=BB254_424 Depth=1
	s_mov_b32 s18, 0x7fc02000
	s_xor_b64 s[0:1], exec, -1
; %bb.670:                              ;   in Loop: Header=BB254_424 Depth=1
	s_or_b64 exec, exec, s[8:9]
	s_and_b64 s[0:1], s[0:1], exec
	s_or_saveexec_b64 s[6:7], s[6:7]
	v_mov_b32_e32 v29, s18
	s_xor_b64 exec, exec, s[6:7]
	s_cbranch_execz .LBB254_468
.LBB254_671:                            ;   in Loop: Header=BB254_424 Depth=1
	v_cmp_ne_u16_sdwa s[8:9], v6, v7 src0_sel:BYTE_0 src1_sel:DWORD
	s_andn2_b64 s[0:1], s[0:1], exec
	s_and_b64 s[8:9], s[8:9], exec
	v_mov_b32_e32 v29, 0
	s_or_b64 s[0:1], s[0:1], s[8:9]
	s_or_b64 exec, exec, s[6:7]
	s_and_saveexec_b64 s[6:7], s[0:1]
	s_cbranch_execnz .LBB254_469
	s_branch .LBB254_470
.LBB254_672:                            ;   in Loop: Header=BB254_424 Depth=1
	v_cmp_eq_u16_e64 s[0:1], s20, v6
	s_mov_b64 s[6:7], -1
                                        ; implicit-def: $sgpr26
	s_and_saveexec_b64 s[18:19], s[0:1]
; %bb.673:                              ;   in Loop: Header=BB254_424 Depth=1
	s_mov_b32 s26, 0x7fc02000
	s_xor_b64 s[6:7], exec, -1
; %bb.674:                              ;   in Loop: Header=BB254_424 Depth=1
	s_or_b64 exec, exec, s[18:19]
	s_and_b64 s[6:7], s[6:7], exec
	s_or_saveexec_b64 s[8:9], s[8:9]
	v_mov_b32_e32 v31, s26
	s_xor_b64 exec, exec, s[8:9]
	s_cbranch_execz .LBB254_472
.LBB254_675:                            ;   in Loop: Header=BB254_424 Depth=1
	v_cmp_ne_u16_e64 s[0:1], 0, v6
	s_andn2_b64 s[6:7], s[6:7], exec
	s_and_b64 s[0:1], s[0:1], exec
	v_mov_b32_e32 v31, 0
	s_or_b64 s[6:7], s[6:7], s[0:1]
	s_or_b64 exec, exec, s[8:9]
	s_and_saveexec_b64 s[8:9], s[6:7]
	s_cbranch_execnz .LBB254_473
	s_branch .LBB254_474
.LBB254_676:                            ;   in Loop: Header=BB254_424 Depth=1
	v_cmp_eq_u16_sdwa s[26:27], v27, s20 src0_sel:BYTE_0 src1_sel:DWORD
	s_mov_b64 s[0:1], -1
                                        ; implicit-def: $sgpr18
	s_and_saveexec_b64 s[8:9], s[26:27]
; %bb.677:                              ;   in Loop: Header=BB254_424 Depth=1
	s_mov_b32 s18, 0x7fc02000
	s_xor_b64 s[0:1], exec, -1
; %bb.678:                              ;   in Loop: Header=BB254_424 Depth=1
	s_or_b64 exec, exec, s[8:9]
	s_and_b64 s[0:1], s[0:1], exec
	s_or_saveexec_b64 s[6:7], s[6:7]
	v_mov_b32_e32 v0, s18
	s_xor_b64 exec, exec, s[6:7]
	s_cbranch_execz .LBB254_476
.LBB254_679:                            ;   in Loop: Header=BB254_424 Depth=1
	v_cmp_ne_u16_sdwa s[8:9], v27, v7 src0_sel:BYTE_0 src1_sel:DWORD
	s_andn2_b64 s[0:1], s[0:1], exec
	s_and_b64 s[8:9], s[8:9], exec
	v_mov_b32_e32 v0, 0
	s_or_b64 s[0:1], s[0:1], s[8:9]
	s_or_b64 exec, exec, s[6:7]
	v_mov_b32_e32 v6, v27
	s_and_saveexec_b64 s[6:7], s[0:1]
	s_cbranch_execnz .LBB254_477
	s_branch .LBB254_478
.LBB254_680:                            ;   in Loop: Header=BB254_424 Depth=1
	v_cmp_eq_u16_e64 s[0:1], s20, v6
	s_mov_b64 s[6:7], -1
                                        ; implicit-def: $sgpr26
	s_and_saveexec_b64 s[18:19], s[0:1]
; %bb.681:                              ;   in Loop: Header=BB254_424 Depth=1
	s_mov_b32 s26, 0x7fc02000
	s_xor_b64 s[6:7], exec, -1
; %bb.682:                              ;   in Loop: Header=BB254_424 Depth=1
	s_or_b64 exec, exec, s[18:19]
	s_and_b64 s[6:7], s[6:7], exec
	s_or_saveexec_b64 s[8:9], s[8:9]
	v_mov_b32_e32 v1, s26
	s_xor_b64 exec, exec, s[8:9]
	s_cbranch_execz .LBB254_480
.LBB254_683:                            ;   in Loop: Header=BB254_424 Depth=1
	v_cmp_ne_u16_e64 s[0:1], 0, v6
	s_andn2_b64 s[6:7], s[6:7], exec
	s_and_b64 s[0:1], s[0:1], exec
	v_mov_b32_e32 v1, 0
	s_or_b64 s[6:7], s[6:7], s[0:1]
	s_or_b64 exec, exec, s[8:9]
	s_and_saveexec_b64 s[8:9], s[6:7]
	s_cbranch_execnz .LBB254_481
	s_branch .LBB254_482
.LBB254_684:                            ;   in Loop: Header=BB254_424 Depth=1
	v_cmp_eq_u16_sdwa s[26:27], v6, s20 src0_sel:BYTE_0 src1_sel:DWORD
	s_mov_b64 s[0:1], -1
                                        ; implicit-def: $sgpr18
	s_and_saveexec_b64 s[8:9], s[26:27]
; %bb.685:                              ;   in Loop: Header=BB254_424 Depth=1
	s_mov_b32 s18, 0x7fc02000
	s_xor_b64 s[0:1], exec, -1
; %bb.686:                              ;   in Loop: Header=BB254_424 Depth=1
	s_or_b64 exec, exec, s[8:9]
	s_and_b64 s[0:1], s[0:1], exec
	s_or_saveexec_b64 s[6:7], s[6:7]
	v_mov_b32_e32 v8, s18
	s_xor_b64 exec, exec, s[6:7]
	s_cbranch_execz .LBB254_484
.LBB254_687:                            ;   in Loop: Header=BB254_424 Depth=1
	v_cmp_ne_u16_sdwa s[8:9], v6, v7 src0_sel:BYTE_0 src1_sel:DWORD
	s_andn2_b64 s[0:1], s[0:1], exec
	s_and_b64 s[8:9], s[8:9], exec
	v_mov_b32_e32 v8, 0
	s_or_b64 s[0:1], s[0:1], s[8:9]
	s_or_b64 exec, exec, s[6:7]
	s_and_saveexec_b64 s[6:7], s[0:1]
	s_cbranch_execnz .LBB254_485
	s_branch .LBB254_486
.LBB254_688:                            ;   in Loop: Header=BB254_424 Depth=1
	v_cmp_eq_u16_e64 s[0:1], s20, v6
	s_mov_b64 s[6:7], -1
                                        ; implicit-def: $sgpr26
	s_and_saveexec_b64 s[18:19], s[0:1]
; %bb.689:                              ;   in Loop: Header=BB254_424 Depth=1
	s_mov_b32 s26, 0x7fc02000
	s_xor_b64 s[6:7], exec, -1
; %bb.690:                              ;   in Loop: Header=BB254_424 Depth=1
	s_or_b64 exec, exec, s[18:19]
	s_and_b64 s[6:7], s[6:7], exec
	s_or_saveexec_b64 s[8:9], s[8:9]
	v_mov_b32_e32 v18, s26
	s_xor_b64 exec, exec, s[8:9]
	s_cbranch_execz .LBB254_488
.LBB254_691:                            ;   in Loop: Header=BB254_424 Depth=1
	v_cmp_ne_u16_e64 s[0:1], 0, v6
	s_andn2_b64 s[6:7], s[6:7], exec
	s_and_b64 s[0:1], s[0:1], exec
	v_mov_b32_e32 v18, 0
	s_or_b64 s[6:7], s[6:7], s[0:1]
	s_or_b64 exec, exec, s[8:9]
	s_and_saveexec_b64 s[8:9], s[6:7]
	s_cbranch_execnz .LBB254_489
	s_branch .LBB254_490
.LBB254_692:                            ;   in Loop: Header=BB254_424 Depth=1
	v_cmp_eq_u16_sdwa s[26:27], v26, s20 src0_sel:BYTE_0 src1_sel:DWORD
	s_mov_b64 s[0:1], -1
                                        ; implicit-def: $sgpr18
	s_and_saveexec_b64 s[8:9], s[26:27]
; %bb.693:                              ;   in Loop: Header=BB254_424 Depth=1
	s_mov_b32 s18, 0x7fc02000
	s_xor_b64 s[0:1], exec, -1
; %bb.694:                              ;   in Loop: Header=BB254_424 Depth=1
	s_or_b64 exec, exec, s[8:9]
	s_and_b64 s[0:1], s[0:1], exec
	s_or_saveexec_b64 s[6:7], s[6:7]
	v_mov_b32_e32 v28, s18
	s_xor_b64 exec, exec, s[6:7]
	s_cbranch_execz .LBB254_494
.LBB254_695:                            ;   in Loop: Header=BB254_424 Depth=1
	v_cmp_ne_u16_sdwa s[8:9], v26, v7 src0_sel:BYTE_0 src1_sel:DWORD
	s_andn2_b64 s[0:1], s[0:1], exec
	s_and_b64 s[8:9], s[8:9], exec
	v_mov_b32_e32 v28, 0
	s_or_b64 s[0:1], s[0:1], s[8:9]
	s_or_b64 exec, exec, s[6:7]
	s_and_saveexec_b64 s[6:7], s[0:1]
	s_cbranch_execnz .LBB254_495
	s_branch .LBB254_496
.LBB254_696:                            ;   in Loop: Header=BB254_424 Depth=1
	v_cmp_eq_u16_e64 s[0:1], s20, v6
	s_mov_b64 s[6:7], -1
                                        ; implicit-def: $sgpr26
	s_and_saveexec_b64 s[18:19], s[0:1]
; %bb.697:                              ;   in Loop: Header=BB254_424 Depth=1
	s_mov_b32 s26, 0x7fc02000
	s_xor_b64 s[6:7], exec, -1
; %bb.698:                              ;   in Loop: Header=BB254_424 Depth=1
	s_or_b64 exec, exec, s[18:19]
	s_and_b64 s[6:7], s[6:7], exec
	s_or_saveexec_b64 s[8:9], s[8:9]
	v_mov_b32_e32 v30, s26
	s_xor_b64 exec, exec, s[8:9]
	s_cbranch_execz .LBB254_498
.LBB254_699:                            ;   in Loop: Header=BB254_424 Depth=1
	v_cmp_ne_u16_e64 s[0:1], 0, v6
	s_andn2_b64 s[6:7], s[6:7], exec
	s_and_b64 s[0:1], s[0:1], exec
	v_mov_b32_e32 v30, 0
	s_or_b64 s[6:7], s[6:7], s[0:1]
	s_or_b64 exec, exec, s[8:9]
	s_and_saveexec_b64 s[8:9], s[6:7]
	s_cbranch_execnz .LBB254_499
	s_branch .LBB254_500
.LBB254_700:                            ;   in Loop: Header=BB254_424 Depth=1
	v_cmp_eq_u16_sdwa s[26:27], v6, s20 src0_sel:BYTE_0 src1_sel:DWORD
	s_mov_b64 s[0:1], -1
                                        ; implicit-def: $sgpr18
	s_and_saveexec_b64 s[8:9], s[26:27]
; %bb.701:                              ;   in Loop: Header=BB254_424 Depth=1
	s_mov_b32 s18, 0x7fc02000
	s_xor_b64 s[0:1], exec, -1
; %bb.702:                              ;   in Loop: Header=BB254_424 Depth=1
	s_or_b64 exec, exec, s[8:9]
	s_and_b64 s[0:1], s[0:1], exec
	s_or_saveexec_b64 s[6:7], s[6:7]
	v_mov_b32_e32 v29, s18
	s_xor_b64 exec, exec, s[6:7]
	s_cbranch_execz .LBB254_502
.LBB254_703:                            ;   in Loop: Header=BB254_424 Depth=1
	v_cmp_ne_u16_sdwa s[8:9], v6, v7 src0_sel:BYTE_0 src1_sel:DWORD
	s_andn2_b64 s[0:1], s[0:1], exec
	s_and_b64 s[8:9], s[8:9], exec
	v_mov_b32_e32 v29, 0
	s_or_b64 s[0:1], s[0:1], s[8:9]
	s_or_b64 exec, exec, s[6:7]
	s_and_saveexec_b64 s[6:7], s[0:1]
	s_cbranch_execnz .LBB254_503
	s_branch .LBB254_504
.LBB254_704:                            ;   in Loop: Header=BB254_424 Depth=1
	v_cmp_eq_u16_e64 s[0:1], s20, v6
	s_mov_b64 s[6:7], -1
                                        ; implicit-def: $sgpr26
	s_and_saveexec_b64 s[18:19], s[0:1]
; %bb.705:                              ;   in Loop: Header=BB254_424 Depth=1
	s_mov_b32 s26, 0x7fc02000
	s_xor_b64 s[6:7], exec, -1
; %bb.706:                              ;   in Loop: Header=BB254_424 Depth=1
	s_or_b64 exec, exec, s[18:19]
	s_and_b64 s[6:7], s[6:7], exec
	s_or_saveexec_b64 s[8:9], s[8:9]
	v_mov_b32_e32 v31, s26
	s_xor_b64 exec, exec, s[8:9]
	s_cbranch_execz .LBB254_506
.LBB254_707:                            ;   in Loop: Header=BB254_424 Depth=1
	v_cmp_ne_u16_e64 s[0:1], 0, v6
	s_andn2_b64 s[6:7], s[6:7], exec
	s_and_b64 s[0:1], s[0:1], exec
	v_mov_b32_e32 v31, 0
	s_or_b64 s[6:7], s[6:7], s[0:1]
	s_or_b64 exec, exec, s[8:9]
	s_and_saveexec_b64 s[8:9], s[6:7]
	s_cbranch_execnz .LBB254_507
	s_branch .LBB254_508
.LBB254_708:                            ;   in Loop: Header=BB254_424 Depth=1
	v_cmp_eq_u16_sdwa s[26:27], v27, s20 src0_sel:BYTE_0 src1_sel:DWORD
	s_mov_b64 s[0:1], -1
                                        ; implicit-def: $sgpr18
	s_and_saveexec_b64 s[8:9], s[26:27]
; %bb.709:                              ;   in Loop: Header=BB254_424 Depth=1
	s_mov_b32 s18, 0x7fc02000
	s_xor_b64 s[0:1], exec, -1
; %bb.710:                              ;   in Loop: Header=BB254_424 Depth=1
	s_or_b64 exec, exec, s[8:9]
	s_and_b64 s[0:1], s[0:1], exec
	s_or_saveexec_b64 s[6:7], s[6:7]
	v_mov_b32_e32 v0, s18
	s_xor_b64 exec, exec, s[6:7]
	s_cbranch_execz .LBB254_510
.LBB254_711:                            ;   in Loop: Header=BB254_424 Depth=1
	v_cmp_ne_u16_sdwa s[8:9], v27, v7 src0_sel:BYTE_0 src1_sel:DWORD
	s_andn2_b64 s[0:1], s[0:1], exec
	s_and_b64 s[8:9], s[8:9], exec
	v_mov_b32_e32 v0, 0
	s_or_b64 s[0:1], s[0:1], s[8:9]
	s_or_b64 exec, exec, s[6:7]
	v_mov_b32_e32 v6, v27
	s_and_saveexec_b64 s[6:7], s[0:1]
	s_cbranch_execnz .LBB254_511
	s_branch .LBB254_512
.LBB254_712:                            ;   in Loop: Header=BB254_424 Depth=1
	v_cmp_eq_u16_e64 s[0:1], s20, v6
	s_mov_b64 s[6:7], -1
                                        ; implicit-def: $sgpr26
	s_and_saveexec_b64 s[18:19], s[0:1]
; %bb.713:                              ;   in Loop: Header=BB254_424 Depth=1
	s_mov_b32 s26, 0x7fc02000
	s_xor_b64 s[6:7], exec, -1
; %bb.714:                              ;   in Loop: Header=BB254_424 Depth=1
	s_or_b64 exec, exec, s[18:19]
	s_and_b64 s[6:7], s[6:7], exec
	s_or_saveexec_b64 s[8:9], s[8:9]
	v_mov_b32_e32 v1, s26
	s_xor_b64 exec, exec, s[8:9]
	s_cbranch_execz .LBB254_514
.LBB254_715:                            ;   in Loop: Header=BB254_424 Depth=1
	v_cmp_ne_u16_e64 s[0:1], 0, v6
	s_andn2_b64 s[6:7], s[6:7], exec
	s_and_b64 s[0:1], s[0:1], exec
	v_mov_b32_e32 v1, 0
	s_or_b64 s[6:7], s[6:7], s[0:1]
	s_or_b64 exec, exec, s[8:9]
	s_and_saveexec_b64 s[8:9], s[6:7]
	s_cbranch_execnz .LBB254_515
	s_branch .LBB254_516
.LBB254_716:                            ;   in Loop: Header=BB254_424 Depth=1
	v_cmp_eq_u16_sdwa s[26:27], v6, s20 src0_sel:BYTE_0 src1_sel:DWORD
	s_mov_b64 s[0:1], -1
                                        ; implicit-def: $sgpr18
	s_and_saveexec_b64 s[8:9], s[26:27]
; %bb.717:                              ;   in Loop: Header=BB254_424 Depth=1
	s_mov_b32 s18, 0x7fc02000
	s_xor_b64 s[0:1], exec, -1
; %bb.718:                              ;   in Loop: Header=BB254_424 Depth=1
	s_or_b64 exec, exec, s[8:9]
	s_and_b64 s[0:1], s[0:1], exec
	s_or_saveexec_b64 s[6:7], s[6:7]
	v_mov_b32_e32 v8, s18
	s_xor_b64 exec, exec, s[6:7]
	s_cbranch_execz .LBB254_518
.LBB254_719:                            ;   in Loop: Header=BB254_424 Depth=1
	v_cmp_ne_u16_sdwa s[8:9], v6, v7 src0_sel:BYTE_0 src1_sel:DWORD
	s_andn2_b64 s[0:1], s[0:1], exec
	s_and_b64 s[8:9], s[8:9], exec
	v_mov_b32_e32 v8, 0
	s_or_b64 s[0:1], s[0:1], s[8:9]
	s_or_b64 exec, exec, s[6:7]
	s_and_saveexec_b64 s[6:7], s[0:1]
	s_cbranch_execnz .LBB254_519
	s_branch .LBB254_520
.LBB254_720:                            ;   in Loop: Header=BB254_424 Depth=1
	v_cmp_eq_u16_e64 s[0:1], s20, v6
	s_mov_b64 s[6:7], -1
                                        ; implicit-def: $sgpr26
	s_and_saveexec_b64 s[18:19], s[0:1]
; %bb.721:                              ;   in Loop: Header=BB254_424 Depth=1
	s_mov_b32 s26, 0x7fc02000
	s_xor_b64 s[6:7], exec, -1
; %bb.722:                              ;   in Loop: Header=BB254_424 Depth=1
	s_or_b64 exec, exec, s[18:19]
	s_and_b64 s[6:7], s[6:7], exec
	s_or_saveexec_b64 s[8:9], s[8:9]
	v_mov_b32_e32 v18, s26
	s_xor_b64 exec, exec, s[8:9]
	s_cbranch_execz .LBB254_522
.LBB254_723:                            ;   in Loop: Header=BB254_424 Depth=1
	v_cmp_ne_u16_e64 s[0:1], 0, v6
	s_andn2_b64 s[6:7], s[6:7], exec
	s_and_b64 s[0:1], s[0:1], exec
	v_mov_b32_e32 v18, 0
	s_or_b64 s[6:7], s[6:7], s[0:1]
	s_or_b64 exec, exec, s[8:9]
	s_and_saveexec_b64 s[8:9], s[6:7]
	s_cbranch_execnz .LBB254_523
	s_branch .LBB254_524
.LBB254_724:                            ;   in Loop: Header=BB254_424 Depth=1
	v_cmp_eq_u16_sdwa s[26:27], v26, s20 src0_sel:BYTE_0 src1_sel:DWORD
	s_mov_b64 s[0:1], -1
                                        ; implicit-def: $sgpr18
	s_and_saveexec_b64 s[8:9], s[26:27]
; %bb.725:                              ;   in Loop: Header=BB254_424 Depth=1
	s_mov_b32 s18, 0x7fc02000
	s_xor_b64 s[0:1], exec, -1
; %bb.726:                              ;   in Loop: Header=BB254_424 Depth=1
	s_or_b64 exec, exec, s[8:9]
	s_and_b64 s[0:1], s[0:1], exec
	s_or_saveexec_b64 s[6:7], s[6:7]
	v_mov_b32_e32 v28, s18
	s_xor_b64 exec, exec, s[6:7]
	s_cbranch_execz .LBB254_528
.LBB254_727:                            ;   in Loop: Header=BB254_424 Depth=1
	v_cmp_ne_u16_sdwa s[8:9], v26, v7 src0_sel:BYTE_0 src1_sel:DWORD
	s_andn2_b64 s[0:1], s[0:1], exec
	s_and_b64 s[8:9], s[8:9], exec
	v_mov_b32_e32 v28, 0
	s_or_b64 s[0:1], s[0:1], s[8:9]
	s_or_b64 exec, exec, s[6:7]
	s_and_saveexec_b64 s[6:7], s[0:1]
	s_cbranch_execnz .LBB254_529
	s_branch .LBB254_530
.LBB254_728:                            ;   in Loop: Header=BB254_424 Depth=1
	v_cmp_eq_u16_e64 s[0:1], s20, v6
	s_mov_b64 s[6:7], -1
                                        ; implicit-def: $sgpr26
	s_and_saveexec_b64 s[18:19], s[0:1]
; %bb.729:                              ;   in Loop: Header=BB254_424 Depth=1
	s_mov_b32 s26, 0x7fc02000
	s_xor_b64 s[6:7], exec, -1
; %bb.730:                              ;   in Loop: Header=BB254_424 Depth=1
	s_or_b64 exec, exec, s[18:19]
	s_and_b64 s[6:7], s[6:7], exec
	s_or_saveexec_b64 s[8:9], s[8:9]
	v_mov_b32_e32 v30, s26
	s_xor_b64 exec, exec, s[8:9]
	s_cbranch_execz .LBB254_532
.LBB254_731:                            ;   in Loop: Header=BB254_424 Depth=1
	v_cmp_ne_u16_e64 s[0:1], 0, v6
	s_andn2_b64 s[6:7], s[6:7], exec
	s_and_b64 s[0:1], s[0:1], exec
	v_mov_b32_e32 v30, 0
	s_or_b64 s[6:7], s[6:7], s[0:1]
	s_or_b64 exec, exec, s[8:9]
	s_and_saveexec_b64 s[8:9], s[6:7]
	s_cbranch_execnz .LBB254_533
	s_branch .LBB254_534
.LBB254_732:                            ;   in Loop: Header=BB254_424 Depth=1
	v_cmp_eq_u16_sdwa s[26:27], v6, s20 src0_sel:BYTE_0 src1_sel:DWORD
	s_mov_b64 s[0:1], -1
                                        ; implicit-def: $sgpr18
	s_and_saveexec_b64 s[8:9], s[26:27]
; %bb.733:                              ;   in Loop: Header=BB254_424 Depth=1
	s_mov_b32 s18, 0x7fc02000
	s_xor_b64 s[0:1], exec, -1
; %bb.734:                              ;   in Loop: Header=BB254_424 Depth=1
	s_or_b64 exec, exec, s[8:9]
	s_and_b64 s[0:1], s[0:1], exec
	s_or_saveexec_b64 s[6:7], s[6:7]
	v_mov_b32_e32 v29, s18
	s_xor_b64 exec, exec, s[6:7]
	s_cbranch_execz .LBB254_536
.LBB254_735:                            ;   in Loop: Header=BB254_424 Depth=1
	v_cmp_ne_u16_sdwa s[8:9], v6, v7 src0_sel:BYTE_0 src1_sel:DWORD
	s_andn2_b64 s[0:1], s[0:1], exec
	s_and_b64 s[8:9], s[8:9], exec
	v_mov_b32_e32 v29, 0
	s_or_b64 s[0:1], s[0:1], s[8:9]
	s_or_b64 exec, exec, s[6:7]
	s_and_saveexec_b64 s[6:7], s[0:1]
	s_cbranch_execnz .LBB254_537
	s_branch .LBB254_538
.LBB254_736:                            ;   in Loop: Header=BB254_424 Depth=1
	v_cmp_eq_u16_e64 s[0:1], s20, v6
	s_mov_b64 s[6:7], -1
                                        ; implicit-def: $sgpr26
	s_and_saveexec_b64 s[18:19], s[0:1]
; %bb.737:                              ;   in Loop: Header=BB254_424 Depth=1
	s_mov_b32 s26, 0x7fc02000
	s_xor_b64 s[6:7], exec, -1
; %bb.738:                              ;   in Loop: Header=BB254_424 Depth=1
	s_or_b64 exec, exec, s[18:19]
	s_and_b64 s[6:7], s[6:7], exec
	s_or_saveexec_b64 s[8:9], s[8:9]
	v_mov_b32_e32 v31, s26
	s_xor_b64 exec, exec, s[8:9]
	s_cbranch_execz .LBB254_540
.LBB254_739:                            ;   in Loop: Header=BB254_424 Depth=1
	v_cmp_ne_u16_e64 s[0:1], 0, v6
	s_andn2_b64 s[6:7], s[6:7], exec
	s_and_b64 s[0:1], s[0:1], exec
	v_mov_b32_e32 v31, 0
	s_or_b64 s[6:7], s[6:7], s[0:1]
	s_or_b64 exec, exec, s[8:9]
	s_and_saveexec_b64 s[8:9], s[6:7]
	s_cbranch_execnz .LBB254_541
	s_branch .LBB254_542
.LBB254_740:                            ;   in Loop: Header=BB254_424 Depth=1
	v_cmp_eq_u16_sdwa s[26:27], v27, s20 src0_sel:BYTE_0 src1_sel:DWORD
	s_mov_b64 s[0:1], -1
                                        ; implicit-def: $sgpr18
	s_and_saveexec_b64 s[8:9], s[26:27]
; %bb.741:                              ;   in Loop: Header=BB254_424 Depth=1
	s_mov_b32 s18, 0x7fc02000
	s_xor_b64 s[0:1], exec, -1
; %bb.742:                              ;   in Loop: Header=BB254_424 Depth=1
	s_or_b64 exec, exec, s[8:9]
	s_and_b64 s[0:1], s[0:1], exec
	s_or_saveexec_b64 s[6:7], s[6:7]
	v_mov_b32_e32 v0, s18
	s_xor_b64 exec, exec, s[6:7]
	s_cbranch_execz .LBB254_544
.LBB254_743:                            ;   in Loop: Header=BB254_424 Depth=1
	v_cmp_ne_u16_sdwa s[8:9], v27, v7 src0_sel:BYTE_0 src1_sel:DWORD
	s_andn2_b64 s[0:1], s[0:1], exec
	s_and_b64 s[8:9], s[8:9], exec
	v_mov_b32_e32 v0, 0
	s_or_b64 s[0:1], s[0:1], s[8:9]
	s_or_b64 exec, exec, s[6:7]
	v_mov_b32_e32 v6, v27
	s_and_saveexec_b64 s[6:7], s[0:1]
	s_cbranch_execnz .LBB254_545
	s_branch .LBB254_546
.LBB254_744:                            ;   in Loop: Header=BB254_424 Depth=1
	v_cmp_eq_u16_e64 s[0:1], s20, v6
	s_mov_b64 s[6:7], -1
                                        ; implicit-def: $sgpr26
	s_and_saveexec_b64 s[18:19], s[0:1]
; %bb.745:                              ;   in Loop: Header=BB254_424 Depth=1
	s_mov_b32 s26, 0x7fc02000
	s_xor_b64 s[6:7], exec, -1
; %bb.746:                              ;   in Loop: Header=BB254_424 Depth=1
	s_or_b64 exec, exec, s[18:19]
	s_and_b64 s[6:7], s[6:7], exec
	s_or_saveexec_b64 s[8:9], s[8:9]
	v_mov_b32_e32 v1, s26
	s_xor_b64 exec, exec, s[8:9]
	s_cbranch_execz .LBB254_548
.LBB254_747:                            ;   in Loop: Header=BB254_424 Depth=1
	v_cmp_ne_u16_e64 s[0:1], 0, v6
	s_andn2_b64 s[6:7], s[6:7], exec
	s_and_b64 s[0:1], s[0:1], exec
	v_mov_b32_e32 v1, 0
	s_or_b64 s[6:7], s[6:7], s[0:1]
	s_or_b64 exec, exec, s[8:9]
	s_and_saveexec_b64 s[8:9], s[6:7]
	s_cbranch_execnz .LBB254_549
	s_branch .LBB254_550
.LBB254_748:                            ;   in Loop: Header=BB254_424 Depth=1
	v_cmp_eq_u16_sdwa s[26:27], v6, s20 src0_sel:BYTE_0 src1_sel:DWORD
	s_mov_b64 s[0:1], -1
                                        ; implicit-def: $sgpr18
	s_and_saveexec_b64 s[8:9], s[26:27]
; %bb.749:                              ;   in Loop: Header=BB254_424 Depth=1
	s_mov_b32 s18, 0x7fc02000
	s_xor_b64 s[0:1], exec, -1
; %bb.750:                              ;   in Loop: Header=BB254_424 Depth=1
	s_or_b64 exec, exec, s[8:9]
	s_and_b64 s[0:1], s[0:1], exec
	s_or_saveexec_b64 s[6:7], s[6:7]
	v_mov_b32_e32 v8, s18
	s_xor_b64 exec, exec, s[6:7]
	s_cbranch_execz .LBB254_552
.LBB254_751:                            ;   in Loop: Header=BB254_424 Depth=1
	v_cmp_ne_u16_sdwa s[8:9], v6, v7 src0_sel:BYTE_0 src1_sel:DWORD
	s_andn2_b64 s[0:1], s[0:1], exec
	s_and_b64 s[8:9], s[8:9], exec
	v_mov_b32_e32 v8, 0
	s_or_b64 s[0:1], s[0:1], s[8:9]
	s_or_b64 exec, exec, s[6:7]
	s_and_saveexec_b64 s[6:7], s[0:1]
	s_cbranch_execnz .LBB254_553
	s_branch .LBB254_554
.LBB254_752:                            ;   in Loop: Header=BB254_424 Depth=1
	v_cmp_eq_u16_e64 s[0:1], s20, v6
	s_mov_b64 s[6:7], -1
                                        ; implicit-def: $sgpr26
	s_and_saveexec_b64 s[18:19], s[0:1]
; %bb.753:                              ;   in Loop: Header=BB254_424 Depth=1
	s_mov_b32 s26, 0x7fc02000
	s_xor_b64 s[6:7], exec, -1
; %bb.754:                              ;   in Loop: Header=BB254_424 Depth=1
	s_or_b64 exec, exec, s[18:19]
	s_and_b64 s[6:7], s[6:7], exec
	s_or_saveexec_b64 s[8:9], s[8:9]
	v_mov_b32_e32 v18, s26
	s_xor_b64 exec, exec, s[8:9]
	s_cbranch_execz .LBB254_556
.LBB254_755:                            ;   in Loop: Header=BB254_424 Depth=1
	v_cmp_ne_u16_e64 s[0:1], 0, v6
	s_andn2_b64 s[6:7], s[6:7], exec
	s_and_b64 s[0:1], s[0:1], exec
	v_mov_b32_e32 v18, 0
	s_or_b64 s[6:7], s[6:7], s[0:1]
	s_or_b64 exec, exec, s[8:9]
	s_and_saveexec_b64 s[8:9], s[6:7]
	s_cbranch_execnz .LBB254_557
	s_branch .LBB254_558
.LBB254_756:                            ;   in Loop: Header=BB254_424 Depth=1
	v_cmp_eq_u16_sdwa s[26:27], v26, s20 src0_sel:BYTE_0 src1_sel:DWORD
	s_mov_b64 s[0:1], -1
                                        ; implicit-def: $sgpr18
	s_and_saveexec_b64 s[8:9], s[26:27]
; %bb.757:                              ;   in Loop: Header=BB254_424 Depth=1
	s_mov_b32 s18, 0x7fc02000
	s_xor_b64 s[0:1], exec, -1
; %bb.758:                              ;   in Loop: Header=BB254_424 Depth=1
	s_or_b64 exec, exec, s[8:9]
	s_and_b64 s[0:1], s[0:1], exec
	s_or_saveexec_b64 s[6:7], s[6:7]
	v_mov_b32_e32 v28, s18
	s_xor_b64 exec, exec, s[6:7]
	s_cbranch_execz .LBB254_562
.LBB254_759:                            ;   in Loop: Header=BB254_424 Depth=1
	v_cmp_ne_u16_sdwa s[8:9], v26, v7 src0_sel:BYTE_0 src1_sel:DWORD
	s_andn2_b64 s[0:1], s[0:1], exec
	s_and_b64 s[8:9], s[8:9], exec
	v_mov_b32_e32 v28, 0
	s_or_b64 s[0:1], s[0:1], s[8:9]
	s_or_b64 exec, exec, s[6:7]
	s_and_saveexec_b64 s[6:7], s[0:1]
	s_cbranch_execnz .LBB254_563
	s_branch .LBB254_564
.LBB254_760:                            ;   in Loop: Header=BB254_424 Depth=1
	v_cmp_eq_u16_e64 s[0:1], s20, v6
	s_mov_b64 s[6:7], -1
                                        ; implicit-def: $sgpr26
	s_and_saveexec_b64 s[18:19], s[0:1]
; %bb.761:                              ;   in Loop: Header=BB254_424 Depth=1
	s_mov_b32 s26, 0x7fc02000
	s_xor_b64 s[6:7], exec, -1
; %bb.762:                              ;   in Loop: Header=BB254_424 Depth=1
	s_or_b64 exec, exec, s[18:19]
	s_and_b64 s[6:7], s[6:7], exec
	s_or_saveexec_b64 s[8:9], s[8:9]
	v_mov_b32_e32 v30, s26
	s_xor_b64 exec, exec, s[8:9]
	s_cbranch_execz .LBB254_566
.LBB254_763:                            ;   in Loop: Header=BB254_424 Depth=1
	v_cmp_ne_u16_e64 s[0:1], 0, v6
	s_andn2_b64 s[6:7], s[6:7], exec
	s_and_b64 s[0:1], s[0:1], exec
	v_mov_b32_e32 v30, 0
	s_or_b64 s[6:7], s[6:7], s[0:1]
	s_or_b64 exec, exec, s[8:9]
	s_and_saveexec_b64 s[8:9], s[6:7]
	s_cbranch_execnz .LBB254_567
	s_branch .LBB254_568
.LBB254_764:                            ;   in Loop: Header=BB254_424 Depth=1
	v_cmp_eq_u16_sdwa s[26:27], v6, s20 src0_sel:BYTE_0 src1_sel:DWORD
	s_mov_b64 s[0:1], -1
                                        ; implicit-def: $sgpr18
	s_and_saveexec_b64 s[8:9], s[26:27]
; %bb.765:                              ;   in Loop: Header=BB254_424 Depth=1
	s_mov_b32 s18, 0x7fc02000
	s_xor_b64 s[0:1], exec, -1
; %bb.766:                              ;   in Loop: Header=BB254_424 Depth=1
	s_or_b64 exec, exec, s[8:9]
	s_and_b64 s[0:1], s[0:1], exec
	s_or_saveexec_b64 s[6:7], s[6:7]
	v_mov_b32_e32 v29, s18
	s_xor_b64 exec, exec, s[6:7]
	s_cbranch_execz .LBB254_570
.LBB254_767:                            ;   in Loop: Header=BB254_424 Depth=1
	v_cmp_ne_u16_sdwa s[8:9], v6, v7 src0_sel:BYTE_0 src1_sel:DWORD
	s_andn2_b64 s[0:1], s[0:1], exec
	s_and_b64 s[8:9], s[8:9], exec
	v_mov_b32_e32 v29, 0
	s_or_b64 s[0:1], s[0:1], s[8:9]
	s_or_b64 exec, exec, s[6:7]
	s_and_saveexec_b64 s[6:7], s[0:1]
	s_cbranch_execnz .LBB254_571
	s_branch .LBB254_572
.LBB254_768:                            ;   in Loop: Header=BB254_424 Depth=1
	v_cmp_eq_u16_e64 s[0:1], s20, v6
	s_mov_b64 s[6:7], -1
                                        ; implicit-def: $sgpr26
	s_and_saveexec_b64 s[18:19], s[0:1]
; %bb.769:                              ;   in Loop: Header=BB254_424 Depth=1
	s_mov_b32 s26, 0x7fc02000
	s_xor_b64 s[6:7], exec, -1
; %bb.770:                              ;   in Loop: Header=BB254_424 Depth=1
	s_or_b64 exec, exec, s[18:19]
	s_and_b64 s[6:7], s[6:7], exec
	s_or_saveexec_b64 s[8:9], s[8:9]
	v_mov_b32_e32 v31, s26
	s_xor_b64 exec, exec, s[8:9]
	s_cbranch_execz .LBB254_574
.LBB254_771:                            ;   in Loop: Header=BB254_424 Depth=1
	v_cmp_ne_u16_e64 s[0:1], 0, v6
	s_andn2_b64 s[6:7], s[6:7], exec
	s_and_b64 s[0:1], s[0:1], exec
	v_mov_b32_e32 v31, 0
	s_or_b64 s[6:7], s[6:7], s[0:1]
	s_or_b64 exec, exec, s[8:9]
	s_and_saveexec_b64 s[8:9], s[6:7]
	s_cbranch_execnz .LBB254_575
	s_branch .LBB254_576
.LBB254_772:                            ;   in Loop: Header=BB254_424 Depth=1
	v_cmp_eq_u16_sdwa s[26:27], v27, s20 src0_sel:BYTE_0 src1_sel:DWORD
	s_mov_b64 s[0:1], -1
                                        ; implicit-def: $sgpr18
	s_and_saveexec_b64 s[8:9], s[26:27]
; %bb.773:                              ;   in Loop: Header=BB254_424 Depth=1
	s_mov_b32 s18, 0x7fc02000
	s_xor_b64 s[0:1], exec, -1
; %bb.774:                              ;   in Loop: Header=BB254_424 Depth=1
	s_or_b64 exec, exec, s[8:9]
	s_and_b64 s[0:1], s[0:1], exec
	s_or_saveexec_b64 s[6:7], s[6:7]
	v_mov_b32_e32 v8, s18
	s_xor_b64 exec, exec, s[6:7]
	s_cbranch_execz .LBB254_578
.LBB254_775:                            ;   in Loop: Header=BB254_424 Depth=1
	v_cmp_ne_u16_sdwa s[8:9], v27, v7 src0_sel:BYTE_0 src1_sel:DWORD
	s_andn2_b64 s[0:1], s[0:1], exec
	s_and_b64 s[8:9], s[8:9], exec
	v_mov_b32_e32 v8, 0
	s_or_b64 s[0:1], s[0:1], s[8:9]
	s_or_b64 exec, exec, s[6:7]
	v_mov_b32_e32 v6, v27
	s_and_saveexec_b64 s[6:7], s[0:1]
	s_cbranch_execnz .LBB254_579
	s_branch .LBB254_580
.LBB254_776:                            ;   in Loop: Header=BB254_424 Depth=1
	v_cmp_eq_u16_e64 s[0:1], s20, v6
	s_mov_b64 s[6:7], -1
                                        ; implicit-def: $sgpr26
	s_and_saveexec_b64 s[18:19], s[0:1]
; %bb.777:                              ;   in Loop: Header=BB254_424 Depth=1
	s_mov_b32 s26, 0x7fc02000
	s_xor_b64 s[6:7], exec, -1
; %bb.778:                              ;   in Loop: Header=BB254_424 Depth=1
	s_or_b64 exec, exec, s[18:19]
	s_and_b64 s[6:7], s[6:7], exec
	s_or_saveexec_b64 s[8:9], s[8:9]
	v_mov_b32_e32 v13, s26
	s_xor_b64 exec, exec, s[8:9]
	s_cbranch_execz .LBB254_582
.LBB254_779:                            ;   in Loop: Header=BB254_424 Depth=1
	v_cmp_ne_u16_e64 s[0:1], 0, v6
	s_andn2_b64 s[6:7], s[6:7], exec
	s_and_b64 s[0:1], s[0:1], exec
	v_mov_b32_e32 v13, 0
	s_or_b64 s[6:7], s[6:7], s[0:1]
	s_or_b64 exec, exec, s[8:9]
	s_and_saveexec_b64 s[8:9], s[6:7]
	s_cbranch_execnz .LBB254_583
	s_branch .LBB254_584
.LBB254_780:                            ;   in Loop: Header=BB254_424 Depth=1
	v_cmp_eq_u16_sdwa s[26:27], v6, s20 src0_sel:BYTE_0 src1_sel:DWORD
	s_mov_b64 s[0:1], -1
                                        ; implicit-def: $sgpr18
	s_and_saveexec_b64 s[8:9], s[26:27]
; %bb.781:                              ;   in Loop: Header=BB254_424 Depth=1
	s_mov_b32 s18, 0x7fc02000
	s_xor_b64 s[0:1], exec, -1
; %bb.782:                              ;   in Loop: Header=BB254_424 Depth=1
	s_or_b64 exec, exec, s[8:9]
	s_and_b64 s[0:1], s[0:1], exec
	s_or_saveexec_b64 s[6:7], s[6:7]
	v_mov_b32_e32 v18, s18
	s_xor_b64 exec, exec, s[6:7]
	s_cbranch_execz .LBB254_586
.LBB254_783:                            ;   in Loop: Header=BB254_424 Depth=1
	v_cmp_ne_u16_sdwa s[8:9], v6, v7 src0_sel:BYTE_0 src1_sel:DWORD
	s_andn2_b64 s[0:1], s[0:1], exec
	s_and_b64 s[8:9], s[8:9], exec
	v_mov_b32_e32 v18, 0
	s_or_b64 s[0:1], s[0:1], s[8:9]
	s_or_b64 exec, exec, s[6:7]
	s_and_saveexec_b64 s[6:7], s[0:1]
	s_cbranch_execnz .LBB254_587
	s_branch .LBB254_588
.LBB254_784:                            ;   in Loop: Header=BB254_424 Depth=1
	v_cmp_eq_u16_e64 s[0:1], s20, v6
	s_mov_b64 s[6:7], -1
                                        ; implicit-def: $sgpr26
	s_and_saveexec_b64 s[18:19], s[0:1]
; %bb.785:                              ;   in Loop: Header=BB254_424 Depth=1
	s_mov_b32 s26, 0x7fc02000
	s_xor_b64 s[6:7], exec, -1
; %bb.786:                              ;   in Loop: Header=BB254_424 Depth=1
	s_or_b64 exec, exec, s[18:19]
	s_and_b64 s[6:7], s[6:7], exec
	s_or_saveexec_b64 s[8:9], s[8:9]
	v_mov_b32_e32 v23, s26
	s_xor_b64 exec, exec, s[8:9]
	s_cbranch_execz .LBB254_590
.LBB254_787:                            ;   in Loop: Header=BB254_424 Depth=1
	v_cmp_ne_u16_e64 s[0:1], 0, v6
	s_andn2_b64 s[6:7], s[6:7], exec
	s_and_b64 s[0:1], s[0:1], exec
	v_mov_b32_e32 v23, 0
	s_or_b64 s[6:7], s[6:7], s[0:1]
	s_or_b64 exec, exec, s[8:9]
	s_and_saveexec_b64 s[8:9], s[6:7]
	s_cbranch_execnz .LBB254_591
	s_branch .LBB254_592
.LBB254_788:                            ;   in Loop: Header=BB254_424 Depth=1
	v_cmp_eq_u16_sdwa s[26:27], v24, s20 src0_sel:BYTE_0 src1_sel:DWORD
	s_mov_b64 s[0:1], -1
                                        ; implicit-def: $sgpr18
	s_and_saveexec_b64 s[8:9], s[26:27]
; %bb.789:                              ;   in Loop: Header=BB254_424 Depth=1
	s_mov_b32 s18, 0x7fc02000
	s_xor_b64 s[0:1], exec, -1
; %bb.790:                              ;   in Loop: Header=BB254_424 Depth=1
	s_or_b64 exec, exec, s[8:9]
	s_and_b64 s[0:1], s[0:1], exec
	s_or_saveexec_b64 s[6:7], s[6:7]
	v_mov_b32_e32 v26, s18
	s_xor_b64 exec, exec, s[6:7]
	s_cbranch_execz .LBB254_596
.LBB254_791:                            ;   in Loop: Header=BB254_424 Depth=1
	v_cmp_ne_u16_sdwa s[8:9], v24, v7 src0_sel:BYTE_0 src1_sel:DWORD
	s_andn2_b64 s[0:1], s[0:1], exec
	s_and_b64 s[8:9], s[8:9], exec
	v_mov_b32_e32 v26, 0
	s_or_b64 s[0:1], s[0:1], s[8:9]
	s_or_b64 exec, exec, s[6:7]
	s_and_saveexec_b64 s[6:7], s[0:1]
	s_cbranch_execnz .LBB254_597
	s_branch .LBB254_598
.LBB254_792:                            ;   in Loop: Header=BB254_424 Depth=1
	v_cmp_eq_u16_e64 s[0:1], s20, v6
	s_mov_b64 s[6:7], -1
                                        ; implicit-def: $sgpr26
	s_and_saveexec_b64 s[18:19], s[0:1]
; %bb.793:                              ;   in Loop: Header=BB254_424 Depth=1
	s_mov_b32 s26, 0x7fc02000
	s_xor_b64 s[6:7], exec, -1
; %bb.794:                              ;   in Loop: Header=BB254_424 Depth=1
	s_or_b64 exec, exec, s[18:19]
	s_and_b64 s[6:7], s[6:7], exec
	s_or_saveexec_b64 s[8:9], s[8:9]
	v_mov_b32_e32 v28, s26
	s_xor_b64 exec, exec, s[8:9]
	s_cbranch_execz .LBB254_600
.LBB254_795:                            ;   in Loop: Header=BB254_424 Depth=1
	v_cmp_ne_u16_e64 s[0:1], 0, v6
	s_andn2_b64 s[6:7], s[6:7], exec
	s_and_b64 s[0:1], s[0:1], exec
	v_mov_b32_e32 v28, 0
	s_or_b64 s[6:7], s[6:7], s[0:1]
	s_or_b64 exec, exec, s[8:9]
	s_and_saveexec_b64 s[8:9], s[6:7]
	s_cbranch_execnz .LBB254_601
	s_branch .LBB254_602
.LBB254_796:                            ;   in Loop: Header=BB254_424 Depth=1
	v_cmp_eq_u16_sdwa s[26:27], v6, s20 src0_sel:BYTE_0 src1_sel:DWORD
	s_mov_b64 s[0:1], -1
                                        ; implicit-def: $sgpr18
	s_and_saveexec_b64 s[8:9], s[26:27]
; %bb.797:                              ;   in Loop: Header=BB254_424 Depth=1
	s_mov_b32 s18, 0x7fc02000
	s_xor_b64 s[0:1], exec, -1
; %bb.798:                              ;   in Loop: Header=BB254_424 Depth=1
	s_or_b64 exec, exec, s[8:9]
	s_and_b64 s[0:1], s[0:1], exec
	s_or_saveexec_b64 s[6:7], s[6:7]
	v_mov_b32_e32 v27, s18
	s_xor_b64 exec, exec, s[6:7]
	s_cbranch_execz .LBB254_604
.LBB254_799:                            ;   in Loop: Header=BB254_424 Depth=1
	v_cmp_ne_u16_sdwa s[8:9], v6, v7 src0_sel:BYTE_0 src1_sel:DWORD
	s_andn2_b64 s[0:1], s[0:1], exec
	s_and_b64 s[8:9], s[8:9], exec
	v_mov_b32_e32 v27, 0
	s_or_b64 s[0:1], s[0:1], s[8:9]
	s_or_b64 exec, exec, s[6:7]
	s_and_saveexec_b64 s[6:7], s[0:1]
	s_cbranch_execnz .LBB254_605
	s_branch .LBB254_606
.LBB254_800:                            ;   in Loop: Header=BB254_424 Depth=1
	v_cmp_eq_u16_e64 s[0:1], s20, v6
	s_mov_b64 s[6:7], -1
                                        ; implicit-def: $sgpr26
	s_and_saveexec_b64 s[18:19], s[0:1]
; %bb.801:                              ;   in Loop: Header=BB254_424 Depth=1
	s_mov_b32 s26, 0x7fc02000
	s_xor_b64 s[6:7], exec, -1
; %bb.802:                              ;   in Loop: Header=BB254_424 Depth=1
	s_or_b64 exec, exec, s[18:19]
	s_and_b64 s[6:7], s[6:7], exec
	s_or_saveexec_b64 s[8:9], s[8:9]
	v_mov_b32_e32 v29, s26
	s_xor_b64 exec, exec, s[8:9]
	s_cbranch_execz .LBB254_608
.LBB254_803:                            ;   in Loop: Header=BB254_424 Depth=1
	v_cmp_ne_u16_e64 s[0:1], 0, v6
	s_andn2_b64 s[6:7], s[6:7], exec
	s_and_b64 s[0:1], s[0:1], exec
	v_mov_b32_e32 v29, 0
	s_or_b64 s[6:7], s[6:7], s[0:1]
	s_or_b64 exec, exec, s[8:9]
	s_and_saveexec_b64 s[8:9], s[6:7]
	s_cbranch_execnz .LBB254_609
	s_branch .LBB254_610
.LBB254_804:                            ;   in Loop: Header=BB254_424 Depth=1
	v_cmp_eq_u16_sdwa s[26:27], v25, s20 src0_sel:BYTE_0 src1_sel:DWORD
	s_mov_b64 s[0:1], -1
                                        ; implicit-def: $sgpr18
	s_and_saveexec_b64 s[8:9], s[26:27]
; %bb.805:                              ;   in Loop: Header=BB254_424 Depth=1
	s_mov_b32 s18, 0x7fc02000
	s_xor_b64 s[0:1], exec, -1
; %bb.806:                              ;   in Loop: Header=BB254_424 Depth=1
	s_or_b64 exec, exec, s[8:9]
	s_and_b64 s[0:1], s[0:1], exec
	s_or_saveexec_b64 s[6:7], s[6:7]
	v_mov_b32_e32 v11, s18
	s_xor_b64 exec, exec, s[6:7]
	s_cbranch_execz .LBB254_612
.LBB254_807:                            ;   in Loop: Header=BB254_424 Depth=1
	v_cmp_ne_u16_sdwa s[8:9], v25, v7 src0_sel:BYTE_0 src1_sel:DWORD
	s_andn2_b64 s[0:1], s[0:1], exec
	s_and_b64 s[8:9], s[8:9], exec
	v_mov_b32_e32 v11, 0
	s_or_b64 s[0:1], s[0:1], s[8:9]
	s_or_b64 exec, exec, s[6:7]
	v_mov_b32_e32 v6, v25
	s_and_saveexec_b64 s[6:7], s[0:1]
	s_cbranch_execnz .LBB254_613
	s_branch .LBB254_614
.LBB254_808:                            ;   in Loop: Header=BB254_424 Depth=1
	v_cmp_eq_u16_e64 s[0:1], s20, v6
	s_mov_b64 s[6:7], -1
                                        ; implicit-def: $sgpr26
	s_and_saveexec_b64 s[18:19], s[0:1]
; %bb.809:                              ;   in Loop: Header=BB254_424 Depth=1
	s_mov_b32 s26, 0x7fc02000
	s_xor_b64 s[6:7], exec, -1
; %bb.810:                              ;   in Loop: Header=BB254_424 Depth=1
	s_or_b64 exec, exec, s[18:19]
	s_and_b64 s[6:7], s[6:7], exec
	s_or_saveexec_b64 s[8:9], s[8:9]
	v_mov_b32_e32 v18, s26
	s_xor_b64 exec, exec, s[8:9]
	s_cbranch_execz .LBB254_616
.LBB254_811:                            ;   in Loop: Header=BB254_424 Depth=1
	v_cmp_ne_u16_e64 s[0:1], 0, v6
	s_andn2_b64 s[6:7], s[6:7], exec
	s_and_b64 s[0:1], s[0:1], exec
	v_mov_b32_e32 v18, 0
	s_or_b64 s[6:7], s[6:7], s[0:1]
	s_or_b64 exec, exec, s[8:9]
	s_and_saveexec_b64 s[8:9], s[6:7]
	s_cbranch_execnz .LBB254_617
	s_branch .LBB254_618
.LBB254_812:                            ;   in Loop: Header=BB254_424 Depth=1
	v_cmp_eq_u16_sdwa s[26:27], v6, s20 src0_sel:BYTE_0 src1_sel:DWORD
	s_mov_b64 s[0:1], -1
                                        ; implicit-def: $sgpr18
	s_and_saveexec_b64 s[8:9], s[26:27]
; %bb.813:                              ;   in Loop: Header=BB254_424 Depth=1
	s_mov_b32 s18, 0x7fc02000
	s_xor_b64 s[0:1], exec, -1
; %bb.814:                              ;   in Loop: Header=BB254_424 Depth=1
	s_or_b64 exec, exec, s[8:9]
	s_and_b64 s[0:1], s[0:1], exec
	s_or_saveexec_b64 s[6:7], s[6:7]
	v_mov_b32_e32 v24, s18
	s_xor_b64 exec, exec, s[6:7]
	s_cbranch_execz .LBB254_620
.LBB254_815:                            ;   in Loop: Header=BB254_424 Depth=1
	v_cmp_ne_u16_sdwa s[8:9], v6, v7 src0_sel:BYTE_0 src1_sel:DWORD
	s_andn2_b64 s[0:1], s[0:1], exec
	s_and_b64 s[8:9], s[8:9], exec
	v_mov_b32_e32 v24, 0
	s_or_b64 s[0:1], s[0:1], s[8:9]
	s_or_b64 exec, exec, s[6:7]
	s_and_saveexec_b64 s[6:7], s[0:1]
	s_cbranch_execnz .LBB254_621
	s_branch .LBB254_622
.LBB254_816:                            ;   in Loop: Header=BB254_424 Depth=1
	v_cmp_eq_u16_e64 s[0:1], s20, v6
	s_mov_b64 s[6:7], -1
                                        ; implicit-def: $sgpr26
	s_and_saveexec_b64 s[18:19], s[0:1]
; %bb.817:                              ;   in Loop: Header=BB254_424 Depth=1
	s_mov_b32 s26, 0x7fc02000
	s_xor_b64 s[6:7], exec, -1
; %bb.818:                              ;   in Loop: Header=BB254_424 Depth=1
	s_or_b64 exec, exec, s[18:19]
	s_and_b64 s[6:7], s[6:7], exec
	s_or_saveexec_b64 s[8:9], s[8:9]
	v_mov_b32_e32 v23, s26
	s_xor_b64 exec, exec, s[8:9]
	s_cbranch_execz .LBB254_624
.LBB254_819:                            ;   in Loop: Header=BB254_424 Depth=1
	v_cmp_ne_u16_e64 s[0:1], 0, v6
	s_andn2_b64 s[6:7], s[6:7], exec
	s_and_b64 s[0:1], s[0:1], exec
	v_mov_b32_e32 v23, 0
	s_or_b64 s[6:7], s[6:7], s[0:1]
	s_or_b64 exec, exec, s[8:9]
	s_and_saveexec_b64 s[8:9], s[6:7]
	s_cbranch_execnz .LBB254_625
	s_branch .LBB254_626
.LBB254_820:
	s_or_b64 exec, exec, s[4:5]
	v_accvgpr_read_b32 v18, a2
.LBB254_821:
	s_or_b64 exec, exec, s[2:3]
	ds_bpermute_b32 v0, v33, v20
	ds_bpermute_b32 v1, v33, v21
	;; [unrolled: 1-line block ×6, first 2 shown]
	s_waitcnt lgkmcnt(4)
	v_pk_add_f32 v[10:11], v[20:21], v[0:1]
	v_and_b32_e32 v0, 0x3c1, v18
	s_waitcnt lgkmcnt(2)
	v_pk_add_f32 v[6:7], v[16:17], v[2:3]
	v_cmp_eq_u32_e32 vcc, 64, v0
	s_waitcnt lgkmcnt(0)
	v_pk_add_f32 v[2:3], v[4:5], v[8:9]
	s_barrier
	s_and_saveexec_b64 s[0:1], vcc
	s_cbranch_execz .LBB254_823
; %bb.822:
	s_ashr_i32 s17, s16, 31
	s_lshl_b64 s[2:3], s[16:17], 2
	s_getpc_b64 s[4:5]
	s_add_u32 s4, s4, llvm.amdgcn.dynlds.offset.table@rel32@lo+4
	s_addc_u32 s5, s5, llvm.amdgcn.dynlds.offset.table@rel32@hi+12
	s_add_u32 s2, s2, s4
	s_addc_u32 s3, s3, s5
	s_load_dword s2, s[2:3], 0x0
	s_waitcnt lgkmcnt(0)
	v_lshl_add_u32 v1, v19, 1, s2
	ds_write2_b32 v1, v10, v11 offset1:32
	ds_write2_b32 v1, v6, v7 offset0:64 offset1:96
	ds_write2_b32 v1, v2, v3 offset0:128 offset1:160
.LBB254_823:
	s_or_b64 exec, exec, s[0:1]
	v_cmp_gt_u32_e32 vcc, 64, v18
	s_waitcnt lgkmcnt(0)
	s_barrier
	s_and_saveexec_b64 s[0:1], vcc
	s_cbranch_execz .LBB254_832
; %bb.824:
	v_cmp_eq_u32_e32 vcc, 0, v34
	v_lshrrev_b32_e32 v1, 1, v18
	s_and_saveexec_b64 s[2:3], vcc
	s_cbranch_execnz .LBB254_835
; %bb.825:
	s_or_b64 exec, exec, s[2:3]
	s_and_saveexec_b64 s[2:3], vcc
	s_cbranch_execnz .LBB254_836
.LBB254_826:
	s_or_b64 exec, exec, s[2:3]
	s_and_saveexec_b64 s[2:3], vcc
	s_cbranch_execnz .LBB254_837
.LBB254_827:
	s_or_b64 exec, exec, s[2:3]
	s_and_saveexec_b64 s[2:3], vcc
	s_cbranch_execnz .LBB254_838
.LBB254_828:
	s_or_b64 exec, exec, s[2:3]
	s_and_saveexec_b64 s[2:3], vcc
	s_cbranch_execnz .LBB254_839
.LBB254_829:
	s_or_b64 exec, exec, s[2:3]
	s_and_saveexec_b64 s[2:3], vcc
	s_cbranch_execz .LBB254_831
.LBB254_830:
	s_ashr_i32 s17, s16, 31
	s_lshl_b64 s[4:5], s[16:17], 2
	s_getpc_b64 s[6:7]
	s_add_u32 s6, s6, llvm.amdgcn.dynlds.offset.table@rel32@lo+4
	s_addc_u32 s7, s7, llvm.amdgcn.dynlds.offset.table@rel32@hi+12
	s_add_u32 s4, s4, s6
	s_addc_u32 s5, s5, s7
	s_load_dword s4, s[4:5], 0x0
	s_waitcnt lgkmcnt(0)
	v_lshl_add_u32 v1, v1, 2, s4
	ds_read_b32 v1, v1 offset:640
	s_waitcnt lgkmcnt(0)
	v_add_f32_e32 v3, v3, v1
.LBB254_831:
	s_or_b64 exec, exec, s[2:3]
.LBB254_832:
	s_or_b64 exec, exec, s[0:1]
	v_cmp_eq_u32_e32 vcc, 0, v0
	s_barrier
	s_and_saveexec_b64 s[0:1], vcc
	s_cbranch_execz .LBB254_834
; %bb.833:
	v_cmp_ne_u16_e64 s[2:3], s15, 0
	s_cmp_lg_u64 s[2:3], 0
	s_addc_u32 s4, s13, 0
	s_mul_i32 s2, s4, s10
	s_mul_i32 s2, s2, s11
	s_mulk_i32 s2, 0xc0
	s_mul_i32 s4, s12, s4
	s_mul_i32 s6, s14, 0xc0
	s_ashr_i32 s3, s2, 31
	s_ashr_i32 s5, s4, 31
	s_ashr_i32 s7, s6, 31
	s_lshl_b64 s[2:3], s[2:3], 1
	s_lshl_b64 s[4:5], s[4:5], 1
	s_lshl_b64 s[6:7], s[6:7], 1
	s_add_u32 s4, s6, s4
	s_addc_u32 s5, s7, s5
	s_add_u32 s2, s4, s2
	v_accvgpr_read_b32 v0, a0
	s_addc_u32 s3, s5, s3
	v_accvgpr_read_b32 v1, a1
	v_lshl_add_u64 v[0:1], s[2:3], 0, v[0:1]
	v_mov_b32_e32 v19, 0
	v_lshl_add_u64 v[0:1], v[0:1], 0, v[18:19]
	;;#ASMSTART
	v_cvt_f16_f32 v4, v10;

	;;#ASMEND
	flat_store_short v[0:1], v4
	;;#ASMSTART
	v_cvt_f16_f32 v4, v11;

	;;#ASMEND
	flat_store_short v[0:1], v4 offset:64
	;;#ASMSTART
	v_cvt_f16_f32 v4, v6;

	;;#ASMEND
	flat_store_short v[0:1], v4 offset:128
	;; [unrolled: 5-line block ×5, first 2 shown]
.LBB254_834:
	s_or_b64 exec, exec, s[0:1]
	scratch_load_dword a38, off, s32        ; 4-byte Folded Reload
	scratch_load_dword a37, off, s32 offset:4 ; 4-byte Folded Reload
	scratch_load_dword a36, off, s32 offset:8 ; 4-byte Folded Reload
	;; [unrolled: 1-line block ×22, first 2 shown]
	s_waitcnt vmcnt(0) lgkmcnt(0)
	s_setpc_b64 s[30:31]
.LBB254_835:
	s_ashr_i32 s17, s16, 31
	s_lshl_b64 s[4:5], s[16:17], 2
	s_getpc_b64 s[6:7]
	s_add_u32 s6, s6, llvm.amdgcn.dynlds.offset.table@rel32@lo+4
	s_addc_u32 s7, s7, llvm.amdgcn.dynlds.offset.table@rel32@hi+12
	s_add_u32 s4, s4, s6
	s_addc_u32 s5, s5, s7
	s_load_dword s4, s[4:5], 0x0
	s_waitcnt lgkmcnt(0)
	v_lshl_add_u32 v4, v1, 2, s4
	ds_read_b32 v4, v4
	s_waitcnt lgkmcnt(0)
	v_add_f32_e32 v10, v10, v4
	s_or_b64 exec, exec, s[2:3]
	s_and_saveexec_b64 s[2:3], vcc
	s_cbranch_execz .LBB254_826
.LBB254_836:
	s_ashr_i32 s17, s16, 31
	s_lshl_b64 s[4:5], s[16:17], 2
	s_getpc_b64 s[6:7]
	s_add_u32 s6, s6, llvm.amdgcn.dynlds.offset.table@rel32@lo+4
	s_addc_u32 s7, s7, llvm.amdgcn.dynlds.offset.table@rel32@hi+12
	s_add_u32 s4, s4, s6
	s_addc_u32 s5, s5, s7
	s_load_dword s4, s[4:5], 0x0
	s_waitcnt lgkmcnt(0)
	v_lshl_add_u32 v4, v1, 2, s4
	ds_read_b32 v4, v4 offset:128
	s_waitcnt lgkmcnt(0)
	v_add_f32_e32 v11, v11, v4
	s_or_b64 exec, exec, s[2:3]
	s_and_saveexec_b64 s[2:3], vcc
	s_cbranch_execz .LBB254_827
.LBB254_837:
	s_ashr_i32 s17, s16, 31
	s_lshl_b64 s[4:5], s[16:17], 2
	s_getpc_b64 s[6:7]
	s_add_u32 s6, s6, llvm.amdgcn.dynlds.offset.table@rel32@lo+4
	s_addc_u32 s7, s7, llvm.amdgcn.dynlds.offset.table@rel32@hi+12
	s_add_u32 s4, s4, s6
	s_addc_u32 s5, s5, s7
	s_load_dword s4, s[4:5], 0x0
	s_waitcnt lgkmcnt(0)
	v_lshl_add_u32 v4, v1, 2, s4
	ds_read_b32 v4, v4 offset:256
	s_waitcnt lgkmcnt(0)
	v_add_f32_e32 v6, v6, v4
	s_or_b64 exec, exec, s[2:3]
	s_and_saveexec_b64 s[2:3], vcc
	s_cbranch_execz .LBB254_828
.LBB254_838:
	s_ashr_i32 s17, s16, 31
	s_lshl_b64 s[4:5], s[16:17], 2
	s_getpc_b64 s[6:7]
	s_add_u32 s6, s6, llvm.amdgcn.dynlds.offset.table@rel32@lo+4
	s_addc_u32 s7, s7, llvm.amdgcn.dynlds.offset.table@rel32@hi+12
	s_add_u32 s4, s4, s6
	s_addc_u32 s5, s5, s7
	s_load_dword s4, s[4:5], 0x0
	s_waitcnt lgkmcnt(0)
	v_lshl_add_u32 v4, v1, 2, s4
	ds_read_b32 v4, v4 offset:384
	s_waitcnt lgkmcnt(0)
	v_add_f32_e32 v7, v7, v4
	s_or_b64 exec, exec, s[2:3]
	s_and_saveexec_b64 s[2:3], vcc
	s_cbranch_execz .LBB254_829
.LBB254_839:
	s_ashr_i32 s17, s16, 31
	s_lshl_b64 s[4:5], s[16:17], 2
	s_getpc_b64 s[6:7]
	s_add_u32 s6, s6, llvm.amdgcn.dynlds.offset.table@rel32@lo+4
	s_addc_u32 s7, s7, llvm.amdgcn.dynlds.offset.table@rel32@hi+12
	s_add_u32 s4, s4, s6
	s_addc_u32 s5, s5, s7
	s_load_dword s4, s[4:5], 0x0
	s_waitcnt lgkmcnt(0)
	v_lshl_add_u32 v4, v1, 2, s4
	ds_read_b32 v4, v4 offset:512
	s_waitcnt lgkmcnt(0)
	v_add_f32_e32 v2, v2, v4
	s_or_b64 exec, exec, s[2:3]
	s_and_saveexec_b64 s[2:3], vcc
	s_cbranch_execnz .LBB254_830
	s_branch .LBB254_831
.Lfunc_end254:
	.size	_ZN4vllm22paged_attention_kernelIthLi192ELi16ELi128ELNS_18Fp8KVCacheDataTypeE1ELb0ELi0EEEvPfS2_PT_PKS3_PKT0_S9_ifPKiSB_iPKfiiiSD_SD_iiiii, .Lfunc_end254-_ZN4vllm22paged_attention_kernelIthLi192ELi16ELi128ELNS_18Fp8KVCacheDataTypeE1ELb0ELi0EEEvPfS2_PT_PKS3_PKT0_S9_ifPKiSB_iPKfiiiSD_SD_iiiii
                                        ; -- End function
	.section	.AMDGPU.csdata,"",@progbits
; Function info:
; codeLenInByte = 35068
; NumSgprs: 39
; NumVgprs: 64
; NumAgprs: 39
; TotalNumVgprs: 103
; ScratchSize: 104
; MemoryBound: 0
	.section	.text._ZN4vllm25paged_attention_v1_kernelIthLi192ELi16ELi128ELNS_18Fp8KVCacheDataTypeE1ELb0EEEvPT_PKS2_PKT0_S8_ifPKiSA_iPKfiiiSC_SC_iiiii,"axG",@progbits,_ZN4vllm25paged_attention_v1_kernelIthLi192ELi16ELi128ELNS_18Fp8KVCacheDataTypeE1ELb0EEEvPT_PKS2_PKT0_S8_ifPKiSA_iPKfiiiSC_SC_iiiii,comdat
	.protected	_ZN4vllm25paged_attention_v1_kernelIthLi192ELi16ELi128ELNS_18Fp8KVCacheDataTypeE1ELb0EEEvPT_PKS2_PKT0_S8_ifPKiSA_iPKfiiiSC_SC_iiiii ; -- Begin function _ZN4vllm25paged_attention_v1_kernelIthLi192ELi16ELi128ELNS_18Fp8KVCacheDataTypeE1ELb0EEEvPT_PKS2_PKT0_S8_ifPKiSA_iPKfiiiSC_SC_iiiii
	.globl	_ZN4vllm25paged_attention_v1_kernelIthLi192ELi16ELi128ELNS_18Fp8KVCacheDataTypeE1ELb0EEEvPT_PKS2_PKT0_S8_ifPKiSA_iPKfiiiSC_SC_iiiii
	.p2align	8
	.type	_ZN4vllm25paged_attention_v1_kernelIthLi192ELi16ELi128ELNS_18Fp8KVCacheDataTypeE1ELb0EEEvPT_PKS2_PKT0_S8_ifPKiSA_iPKfiiiSC_SC_iiiii,@function
_ZN4vllm25paged_attention_v1_kernelIthLi192ELi16ELi128ELNS_18Fp8KVCacheDataTypeE1ELb0EEEvPT_PKS2_PKT0_S8_ifPKiSA_iPKfiiiSC_SC_iiiii: ; @_ZN4vllm25paged_attention_v1_kernelIthLi192ELi16ELi128ELNS_18Fp8KVCacheDataTypeE1ELb0EEEvPT_PKS2_PKT0_S8_ifPKiSA_iPKfiiiSC_SC_iiiii
; %bb.0:
	s_load_dwordx8 s[16:23], s[0:1], 0x0
	s_load_dwordx4 s[36:39], s[0:1], 0x20
	s_load_dwordx2 s[6:7], s[0:1], 0x30
	s_load_dword s5, s[0:1], 0x38
	s_load_dwordx2 s[10:11], s[0:1], 0x40
	s_load_dwordx8 s[24:31], s[0:1], 0x48
	s_add_u32 s8, s0, 0x80
	s_addc_u32 s9, s1, 0
	s_mov_b32 s12, s2
	s_mov_b32 s13, s3
	;; [unrolled: 1-line block ×4, first 2 shown]
	v_mov_b32_e32 v31, v0
	s_waitcnt lgkmcnt(0)
	v_mov_b32_e32 v0, s16
	v_mov_b32_e32 v1, s17
	;; [unrolled: 1-line block ×24, first 2 shown]
	s_mov_b32 s32, 0
	s_getpc_b64 s[0:1]
	s_add_u32 s0, s0, _ZN4vllm22paged_attention_kernelIthLi192ELi16ELi128ELNS_18Fp8KVCacheDataTypeE1ELb0ELi0EEEvPfS2_PT_PKS3_PKT0_S9_ifPKiSB_iPKfiiiSD_SD_iiiii@rel32@lo+4
	s_addc_u32 s1, s1, _ZN4vllm22paged_attention_kernelIthLi192ELi16ELi128ELNS_18Fp8KVCacheDataTypeE1ELb0ELi0EEEvPfS2_PT_PKS3_PKT0_S9_ifPKiSB_iPKfiiiSD_SD_iiiii@rel32@hi+12
	s_swappc_b64 s[30:31], s[0:1]
	s_endpgm
	.section	.rodata,"a",@progbits
	.p2align	6, 0x0
	.amdhsa_kernel _ZN4vllm25paged_attention_v1_kernelIthLi192ELi16ELi128ELNS_18Fp8KVCacheDataTypeE1ELb0EEEvPT_PKS2_PKT0_S8_ifPKiSA_iPKfiiiSC_SC_iiiii
		.amdhsa_group_segment_fixed_size 400
		.amdhsa_private_segment_fixed_size 104
		.amdhsa_kernarg_size 384
		.amdhsa_user_sgpr_count 2
		.amdhsa_user_sgpr_dispatch_ptr 0
		.amdhsa_user_sgpr_queue_ptr 0
		.amdhsa_user_sgpr_kernarg_segment_ptr 1
		.amdhsa_user_sgpr_dispatch_id 0
		.amdhsa_user_sgpr_kernarg_preload_length 0
		.amdhsa_user_sgpr_kernarg_preload_offset 0
		.amdhsa_user_sgpr_private_segment_size 0
		.amdhsa_uses_dynamic_stack 0
		.amdhsa_enable_private_segment 1
		.amdhsa_system_sgpr_workgroup_id_x 1
		.amdhsa_system_sgpr_workgroup_id_y 1
		.amdhsa_system_sgpr_workgroup_id_z 1
		.amdhsa_system_sgpr_workgroup_info 0
		.amdhsa_system_vgpr_workitem_id 0
		.amdhsa_next_free_vgpr 103
		.amdhsa_next_free_sgpr 40
		.amdhsa_accum_offset 64
		.amdhsa_reserve_vcc 1
		.amdhsa_float_round_mode_32 0
		.amdhsa_float_round_mode_16_64 0
		.amdhsa_float_denorm_mode_32 3
		.amdhsa_float_denorm_mode_16_64 3
		.amdhsa_dx10_clamp 1
		.amdhsa_ieee_mode 1
		.amdhsa_fp16_overflow 0
		.amdhsa_tg_split 0
		.amdhsa_exception_fp_ieee_invalid_op 0
		.amdhsa_exception_fp_denorm_src 0
		.amdhsa_exception_fp_ieee_div_zero 0
		.amdhsa_exception_fp_ieee_overflow 0
		.amdhsa_exception_fp_ieee_underflow 0
		.amdhsa_exception_fp_ieee_inexact 0
		.amdhsa_exception_int_div_zero 0
	.end_amdhsa_kernel
	.section	.text._ZN4vllm25paged_attention_v1_kernelIthLi192ELi16ELi128ELNS_18Fp8KVCacheDataTypeE1ELb0EEEvPT_PKS2_PKT0_S8_ifPKiSA_iPKfiiiSC_SC_iiiii,"axG",@progbits,_ZN4vllm25paged_attention_v1_kernelIthLi192ELi16ELi128ELNS_18Fp8KVCacheDataTypeE1ELb0EEEvPT_PKS2_PKT0_S8_ifPKiSA_iPKfiiiSC_SC_iiiii,comdat
.Lfunc_end255:
	.size	_ZN4vllm25paged_attention_v1_kernelIthLi192ELi16ELi128ELNS_18Fp8KVCacheDataTypeE1ELb0EEEvPT_PKS2_PKT0_S8_ifPKiSA_iPKfiiiSC_SC_iiiii, .Lfunc_end255-_ZN4vllm25paged_attention_v1_kernelIthLi192ELi16ELi128ELNS_18Fp8KVCacheDataTypeE1ELb0EEEvPT_PKS2_PKT0_S8_ifPKiSA_iPKfiiiSC_SC_iiiii
                                        ; -- End function
	.section	.AMDGPU.csdata,"",@progbits
; Kernel info:
; codeLenInByte = 212
; NumSgprs: 46
; NumVgprs: 64
; NumAgprs: 39
; TotalNumVgprs: 103
; ScratchSize: 104
; MemoryBound: 0
; FloatMode: 240
; IeeeMode: 1
; LDSByteSize: 400 bytes/workgroup (compile time only)
; SGPRBlocks: 5
; VGPRBlocks: 12
; NumSGPRsForWavesPerEU: 46
; NumVGPRsForWavesPerEU: 103
; AccumOffset: 64
; Occupancy: 4
; WaveLimiterHint : 1
; COMPUTE_PGM_RSRC2:SCRATCH_EN: 1
; COMPUTE_PGM_RSRC2:USER_SGPR: 2
; COMPUTE_PGM_RSRC2:TRAP_HANDLER: 0
; COMPUTE_PGM_RSRC2:TGID_X_EN: 1
; COMPUTE_PGM_RSRC2:TGID_Y_EN: 1
; COMPUTE_PGM_RSRC2:TGID_Z_EN: 1
; COMPUTE_PGM_RSRC2:TIDIG_COMP_CNT: 0
; COMPUTE_PGM_RSRC3_GFX90A:ACCUM_OFFSET: 15
; COMPUTE_PGM_RSRC3_GFX90A:TG_SPLIT: 0
	.text
	.p2align	2                               ; -- Begin function _ZN4vllm22paged_attention_kernelIthLi256ELi16ELi128ELNS_18Fp8KVCacheDataTypeE1ELb0ELi0EEEvPfS2_PT_PKS3_PKT0_S9_ifPKiSB_iPKfiiiSD_SD_iiiii
	.type	_ZN4vllm22paged_attention_kernelIthLi256ELi16ELi128ELNS_18Fp8KVCacheDataTypeE1ELb0ELi0EEEvPfS2_PT_PKS3_PKT0_S9_ifPKiSB_iPKfiiiSD_SD_iiiii,@function
_ZN4vllm22paged_attention_kernelIthLi256ELi16ELi128ELNS_18Fp8KVCacheDataTypeE1ELb0ELi0EEEvPfS2_PT_PKS3_PKT0_S9_ifPKiSB_iPKfiiiSD_SD_iiiii: ; @_ZN4vllm22paged_attention_kernelIthLi256ELi16ELi128ELNS_18Fp8KVCacheDataTypeE1ELb0ELi0EEEvPfS2_PT_PKS3_PKT0_S9_ifPKiSB_iPKfiiiSD_SD_iiiii
; %bb.0:
	s_waitcnt vmcnt(0) expcnt(0) lgkmcnt(0)
	scratch_store_dword off, v40, s32 offset:108 ; 4-byte Folded Spill
	scratch_store_dword off, v41, s32 offset:104 ; 4-byte Folded Spill
	;; [unrolled: 1-line block ×27, first 2 shown]
	scratch_store_dword off, a43, s32       ; 4-byte Folded Spill
	s_mov_b32 s10, s13
	v_accvgpr_write_b32 a0, v0
	s_ashr_i32 s11, s13, 31
	v_accvgpr_write_b32 a1, v1
	v_lshl_add_u64 v[0:1], s[10:11], 2, v[12:13]
	flat_load_dword v12, v[0:1]
	v_sub_u32_e32 v0, 0, v8
	v_max_i32_e32 v0, v8, v0
	v_cvt_f32_u32_e32 v1, v0
	s_load_dword s0, s[8:9], 0x10
	s_load_dword s2, s[8:9], 0x0
	v_accvgpr_write_b32 a4, v22
	v_accvgpr_write_b32 a5, v23
	v_rcp_iflag_f32_e32 v1, v1
	s_waitcnt lgkmcnt(0)
	s_lshr_b32 s0, s0, 16
	s_cmp_lg_u32 s0, 0
	v_mov_b32_e32 v23, v7
	v_mul_f32_e32 v1, 0x4f7ffffe, v1
	v_cvt_u32_f32_e32 v1, v1
	s_cselect_b64 s[0:1], -1, 0
	v_sub_u32_e32 v7, 0, v0
	s_cmp_lg_u64 s[0:1], 0
	v_mul_lo_u32 v7, v7, v1
	s_addc_u32 s11, s2, 0
	v_mul_hi_u32 v7, v1, v7
	s_abs_i32 s0, s11
	v_add_u32_e32 v1, v1, v7
	v_mul_hi_u32 v1, s0, v1
	v_mul_lo_u32 v7, v1, v0
	v_sub_u32_e32 v7, s0, v7
	v_mov_b32_e32 v22, v6
	v_xor_b32_e32 v6, s11, v8
	v_add_u32_e32 v8, 1, v1
	v_cmp_ge_u32_e32 vcc, v7, v0
	v_ashrrev_i32_e32 v6, 31, v6
	v_mov_b32_e32 v25, v16
	v_cndmask_b32_e32 v1, v1, v8, vcc
	v_sub_u32_e32 v8, v7, v0
	v_cndmask_b32_e32 v7, v7, v8, vcc
	v_add_u32_e32 v8, 1, v1
	v_cmp_ge_u32_e32 vcc, v7, v0
	v_mov_b32_e32 v24, v15
	v_accvgpr_write_b32 a18, v20
	v_cndmask_b32_e32 v0, v1, v8, vcc
	v_xor_b32_e32 v0, v0, v6
	v_sub_u32_e32 v0, v0, v6
	v_sub_u32_e32 v1, 0, v0
	v_max_i32_e32 v1, v0, v1
	v_cvt_f32_u32_e32 v6, v1
	v_sub_u32_e32 v7, 0, v1
	s_abs_i32 s2, s12
	v_accvgpr_write_b32 a19, v21
	v_rcp_iflag_f32_e32 v6, v6
	v_accvgpr_write_b32 a6, v18
	v_accvgpr_write_b32 a15, v9
	s_mov_b32 s16, s15
	v_mul_f32_e32 v6, 0x4f7ffffe, v6
	v_cvt_u32_f32_e32 v6, v6
	v_cmp_ne_u64_e32 vcc, 0, v[24:25]
	v_mul_lo_u32 v7, v7, v6
	v_mul_hi_u32 v7, v6, v7
	v_add_u32_e32 v6, v6, v7
	v_mad_u64_u32 v[26:27], s[0:1], s2, v6, 0
	v_mov_b32_e32 v6, 0
	scratch_store_dword off, v6, s32 offset:120 ; 4-byte Folded Spill
	s_and_saveexec_b64 s[0:1], vcc
	s_cbranch_execz .LBB256_2
; %bb.1:
	s_ashr_i32 s13, s12, 31
	v_lshl_add_u64 v[6:7], s[12:13], 2, v[24:25]
	flat_load_dword v6, v[6:7]
	s_waitcnt vmcnt(0) lgkmcnt(0)
	scratch_store_dword off, v6, s32 offset:120 ; 4-byte Folded Spill
.LBB256_2:
	s_or_b64 exec, exec, s[0:1]
	v_and_b32_e32 v18, 0x3ff, v31
	s_movk_i32 s0, 0x80
	s_ashr_i32 s3, s12, 31
	v_ashrrev_i32_e32 v6, 31, v0
	v_and_b32_e32 v0, 3, v18
	s_lshl_b32 s12, s12, 8
	v_cmp_gt_u32_e32 vcc, s0, v18
	s_and_saveexec_b64 s[0:1], vcc
	s_cbranch_execz .LBB256_4
; %bb.3:
	v_mul_lo_u32 v8, s10, v17
	v_ashrrev_i32_e32 v9, 31, v8
	v_lshl_add_u64 v[2:3], v[8:9], 1, v[2:3]
	s_ashr_i32 s13, s12, 31
	v_lshl_add_u64 v[2:3], s[12:13], 1, v[2:3]
	v_lshlrev_b32_e32 v8, 2, v18
	v_mov_b32_e32 v9, 0
	v_lshl_add_u64 v[2:3], v[2:3], 0, v[8:9]
	flat_load_dword v2, v[2:3]
	v_and_b32_e32 v3, 0x3fc, v18
	v_lshl_add_u32 v3, v0, 7, v3
	s_waitcnt vmcnt(0) lgkmcnt(0)
	ds_write_b32 v3, v2
.LBB256_4:
	s_or_b64 exec, exec, s[0:1]
	s_waitcnt vmcnt(0)
	v_add_u32_e32 v2, 15, v12
	v_ashrrev_i32_e32 v3, 31, v2
	v_lshrrev_b32_e32 v3, 28, v3
	v_add_u32_e32 v2, v2, v3
	v_mul_lo_u32 v3, v27, v1
	v_sub_u32_e32 v3, s2, v3
	v_ashrrev_i32_e32 v8, 4, v2
	v_xor_b32_e32 v2, s3, v6
	v_add_u32_e32 v6, 1, v27
	v_cmp_ge_u32_e32 vcc, v3, v1
	v_sub_u32_e32 v7, v3, v1
	v_lshrrev_b32_e32 v9, 6, v18
	v_cndmask_b32_e32 v6, v27, v6, vcc
	v_cndmask_b32_e32 v3, v3, v7, vcc
	v_add_u32_e32 v7, 1, v6
	v_cmp_ge_u32_e32 vcc, v3, v1
	v_mul_lo_u32 v26, s10, v14
	v_ashrrev_i32_e32 v27, 31, v26
	v_cndmask_b32_e32 v1, v6, v7, vcc
	v_xor_b32_e32 v1, v1, v2
	v_sub_u32_e32 v3, v1, v2
	v_cmp_lt_i32_e64 s[0:1], v9, v8
	v_accvgpr_write_b32 a3, v8
	v_accvgpr_write_b32 a7, v9
	v_cmp_ge_i32_e32 vcc, v9, v8
	v_mbcnt_lo_u32_b32 v2, -1, 0
	s_waitcnt lgkmcnt(0)
	s_barrier
	s_waitcnt lgkmcnt(0)
                                        ; implicit-def: $sgpr4
                                        ; implicit-def: $agpr20
                                        ; implicit-def: $vgpr1
	s_and_saveexec_b64 s[2:3], vcc
	s_xor_b64 s[2:3], exec, s[2:3]
; %bb.5:
	v_mbcnt_hi_u32_b32 v0, -1, v2
	v_accvgpr_write_b32 a20, v0
	v_and_b32_e32 v0, 64, v0
	v_add_u32_e32 v1, 64, v0
	s_mov_b32 s4, 0xff7fffff
                                        ; implicit-def: $vgpr0
                                        ; kill: killed $vgpr0
                                        ; implicit-def: $agpr15
                                        ; implicit-def: $agpr18
                                        ; implicit-def: $vgpr4
                                        ; implicit-def: $vgpr0
                                        ; implicit-def: $vgpr2
; %bb.6:
	s_or_saveexec_b64 s[6:7], s[2:3]
	s_load_dword s15, s[8:9], 0x14
	s_load_dword s13, s[8:9], 0x8
	v_mul_lo_u32 v30, v3, v19
	v_mov_b32_e32 v6, s4
	v_ashrrev_i32_e32 v31, 31, v30
	v_lshrrev_b32_e32 v28, 4, v18
	s_xor_b64 exec, exec, s[6:7]
	s_cbranch_execz .LBB256_524
; %bb.7:
	v_bfe_u32 v3, v18, 2, 4
	v_lshl_add_u64 v[6:7], v[4:5], 0, v[30:31]
	v_lshlrev_b32_e32 v4, 4, v3
	v_mov_b32_e32 v5, 0
	v_lshl_add_u64 v[6:7], v[6:7], 0, v[4:5]
	v_accvgpr_write_b32 a23, v7
	v_accvgpr_write_b32 a22, v6
	v_lshlrev_b32_e32 v6, 1, v0
	v_lshlrev_b32_e32 v19, 7, v0
	v_cmp_eq_u32_e32 vcc, 0, v0
	scratch_load_dword v0, off, s32 offset:120 ; 4-byte Folded Reload
	v_and_b32_e32 v4, 60, v28
	s_ashr_i32 s17, s16, 31
	s_lshl_b64 s[4:5], s[16:17], 2
	v_mov_b32_e32 v7, v5
	s_getpc_b64 s[8:9]
	s_add_u32 s8, s8, llvm.amdgcn.dynlds.offset.table@rel32@lo+4
	s_addc_u32 s9, s9, llvm.amdgcn.dynlds.offset.table@rel32@hi+12
	v_accvgpr_write_b32 a10, v22
	v_accvgpr_write_b32 a16, v30
	;; [unrolled: 1-line block ×3, first 2 shown]
	s_add_u32 s8, s4, s8
	v_accvgpr_write_b32 a12, v26
	v_accvgpr_write_b32 a8, v10
	v_accvgpr_write_b32 a11, v23
	v_accvgpr_write_b32 a2, v18
	v_accvgpr_write_b32 a17, v31
	v_accvgpr_write_b32 a24, v6
	s_addc_u32 s9, s5, s9
	v_accvgpr_write_b32 a14, v28
	v_accvgpr_write_b32 a13, v27
	;; [unrolled: 1-line block ×3, first 2 shown]
	s_mov_b64 s[18:19], 0
	s_movk_i32 s17, 0x7f
	s_movk_i32 s26, 0x80
	s_mov_b32 s27, 0x8000
	v_mov_b32_e32 v38, 0x1c00
	v_accvgpr_read_b32 v7, a7
	s_waitcnt vmcnt(0)
	v_cmp_neq_f32_e64 s[2:3], 0, v0
	v_lshl_add_u64 v[0:1], v[26:27], 2, v[4:5]
	v_lshl_add_u64 v[0:1], v[10:11], 0, v[0:1]
	v_accvgpr_write_b32 a27, v1
	v_accvgpr_write_b32 a26, v0
	v_sub_u32_e32 v0, 1, v12
	v_accvgpr_read_b32 v1, a7
	v_accvgpr_write_b32 a21, v0
	v_lshl_or_b32 v0, v1, 4, v3
	v_accvgpr_write_b32 a28, v0
	v_lshlrev_b32_e32 v0, 2, v3
	v_lshl_or_b32 v0, v1, 6, v0
	v_accvgpr_write_b32 a29, v0
	v_mov_b32_e32 v0, 0xff7fffff
	scratch_store_dword off, v0, s32 offset:116 ; 4-byte Folded Spill
	v_mbcnt_hi_u32_b32 v0, -1, v2
	v_accvgpr_write_b32 a20, v0
	s_branch .LBB256_9
.LBB256_8:                              ;   in Loop: Header=BB256_9 Depth=1
	s_or_b64 exec, exec, s[20:21]
	v_accvgpr_read_b32 v0, a28
	s_waitcnt lgkmcnt(0)
	v_accvgpr_read_b32 v2, a26
	v_add_u32_e32 v0, 32, v0
	v_add_u32_e32 v7, 2, v7
	v_accvgpr_read_b32 v3, a27
	v_accvgpr_write_b32 a28, v0
	v_accvgpr_read_b32 v0, a3
	v_lshl_add_u64 v[2:3], v[2:3], 0, 8
	v_cmp_ge_i32_e64 s[4:5], v7, v0
	v_accvgpr_read_b32 v0, a29
	v_accvgpr_write_b32 a27, v3
	v_add_u32_e32 v0, 0x80, v0
	v_accvgpr_write_b32 a26, v2
	s_or_b64 s[18:19], s[4:5], s[18:19]
	v_accvgpr_write_b32 a29, v0
	s_andn2_b64 exec, exec, s[18:19]
	s_cbranch_execz .LBB256_523
.LBB256_9:                              ; =>This Inner Loop Header: Depth=1
	v_accvgpr_read_b32 v0, a26
	v_accvgpr_read_b32 v1, a27
	flat_load_dword v0, v[0:1]
	v_accvgpr_write_b32 a30, v7
	v_accvgpr_read_b32 v6, a22
	v_accvgpr_read_b32 v2, a6
	;; [unrolled: 1-line block ×3, first 2 shown]
                                        ; implicit-def: $sgpr24
	s_waitcnt vmcnt(0) lgkmcnt(0)
	v_mad_i64_i32 v[0:1], s[4:5], v0, v2, v[6:7]
	v_accvgpr_read_b32 v2, a24
	v_accvgpr_read_b32 v3, a25
	v_lshl_add_u64 v[28:29], v[0:1], 0, v[2:3]
	v_accvgpr_read_b32 v2, a18
	flat_load_ushort v0, v[28:29]
	v_accvgpr_read_b32 v3, a19
	flat_load_dword v48, v[2:3]
	s_mov_b64 s[4:5], 0
	s_waitcnt vmcnt(0) lgkmcnt(0)
	v_cmp_gt_i16_sdwa s[20:21], v0, s17 src0_sel:BYTE_0 src1_sel:DWORD
	s_and_saveexec_b64 s[22:23], s[20:21]
	s_xor_b64 s[20:21], exec, s[22:23]
	s_cbranch_execnz .LBB256_275
; %bb.10:                               ;   in Loop: Header=BB256_9 Depth=1
	s_or_saveexec_b64 s[20:21], s[20:21]
	v_mov_b32_e32 v56, s24
	s_xor_b64 exec, exec, s[20:21]
	s_cbranch_execnz .LBB256_278
.LBB256_11:                             ;   in Loop: Header=BB256_9 Depth=1
	s_or_b64 exec, exec, s[20:21]
	v_and_b32_e32 v4, 0xffff, v0
	s_and_saveexec_b64 s[20:21], s[4:5]
	s_cbranch_execz .LBB256_13
.LBB256_12:                             ;   in Loop: Header=BB256_9 Depth=1
	v_and_b32_e32 v2, 7, v4
	v_ffbh_u32_e32 v0, v2
	v_min_u32_e32 v6, 32, v0
	v_subrev_u32_e32 v0, 28, v6
	v_bfe_u32 v3, v4, 3, 4
	v_lshlrev_b64 v[0:1], v0, v[4:5]
	v_sub_u32_e32 v1, 29, v6
	v_cmp_eq_u32_e64 s[4:5], 0, v3
	v_and_b32_e32 v0, 7, v0
	s_nop 0
	v_cndmask_b32_e64 v1, v3, v1, s[4:5]
	v_cndmask_b32_e64 v0, v2, v0, s[4:5]
	v_lshlrev_b32_e32 v2, 8, v4
	v_lshl_add_u32 v1, v1, 10, v38
	v_and_or_b32 v1, v2, s27, v1
	v_lshl_or_b32 v0, v0, 7, v1
	v_cvt_f32_f16_e32 v56, v0
.LBB256_13:                             ;   in Loop: Header=BB256_9 Depth=1
	s_or_b64 exec, exec, s[20:21]
	v_lshrrev_b16_e32 v4, 8, v4
	v_cmp_lt_i16_e64 s[4:5], s17, v4
	s_mov_b64 s[20:21], 0
                                        ; implicit-def: $sgpr28
	s_and_saveexec_b64 s[22:23], s[4:5]
	s_xor_b64 s[22:23], exec, s[22:23]
	s_cbranch_execnz .LBB256_279
; %bb.14:                               ;   in Loop: Header=BB256_9 Depth=1
	s_or_saveexec_b64 s[22:23], s[22:23]
	v_mov_b32_e32 v0, s28
	s_xor_b64 exec, exec, s[22:23]
	s_cbranch_execnz .LBB256_282
.LBB256_15:                             ;   in Loop: Header=BB256_9 Depth=1
	s_or_b64 exec, exec, s[22:23]
	s_and_saveexec_b64 s[22:23], s[20:21]
	s_cbranch_execz .LBB256_17
.LBB256_16:                             ;   in Loop: Header=BB256_9 Depth=1
	v_and_b32_e32 v2, 7, v4
	v_ffbh_u32_e32 v0, v2
	v_min_u32_e32 v6, 32, v0
	v_subrev_u32_e32 v0, 28, v6
	v_bfe_u32 v3, v4, 3, 4
	v_lshlrev_b64 v[0:1], v0, v[4:5]
	v_sub_u32_e32 v1, 29, v6
	v_cmp_eq_u32_e64 s[4:5], 0, v3
	v_and_b32_e32 v0, 7, v0
	s_nop 0
	v_cndmask_b32_e64 v1, v3, v1, s[4:5]
	v_cndmask_b32_e64 v0, v2, v0, s[4:5]
	v_lshlrev_b32_e32 v2, 8, v4
	v_lshl_add_u32 v1, v1, 10, v38
	v_and_or_b32 v1, v2, s27, v1
	v_lshl_or_b32 v0, v0, 7, v1
	v_cvt_f32_f16_e32 v0, v0
.LBB256_17:                             ;   in Loop: Header=BB256_9 Depth=1
	s_or_b64 exec, exec, s[22:23]
	v_accvgpr_write_b32 a34, v0
	flat_load_ushort v0, v[28:29] offset:8
	s_mov_b64 s[4:5], 0
                                        ; implicit-def: $sgpr24
	s_waitcnt vmcnt(0) lgkmcnt(0)
	v_cmp_gt_i16_sdwa s[20:21], v0, s17 src0_sel:BYTE_0 src1_sel:DWORD
	s_and_saveexec_b64 s[22:23], s[20:21]
	s_xor_b64 s[20:21], exec, s[22:23]
	s_cbranch_execz .LBB256_21
; %bb.18:                               ;   in Loop: Header=BB256_9 Depth=1
	v_cmp_eq_u16_sdwa s[28:29], v0, s26 src0_sel:BYTE_0 src1_sel:DWORD
	s_mov_b64 s[4:5], -1
                                        ; implicit-def: $sgpr24
	s_and_saveexec_b64 s[22:23], s[28:29]
; %bb.19:                               ;   in Loop: Header=BB256_9 Depth=1
	s_mov_b32 s24, 0x7fc02000
	s_xor_b64 s[4:5], exec, -1
; %bb.20:                               ;   in Loop: Header=BB256_9 Depth=1
	s_or_b64 exec, exec, s[22:23]
	s_and_b64 s[4:5], s[4:5], exec
.LBB256_21:                             ;   in Loop: Header=BB256_9 Depth=1
	s_or_saveexec_b64 s[20:21], s[20:21]
	v_mov_b32_e32 v1, s24
	scratch_store_dword off, v1, s32 offset:112 ; 4-byte Folded Spill
	s_xor_b64 exec, exec, s[20:21]
	s_cbranch_execz .LBB256_23
; %bb.22:                               ;   in Loop: Header=BB256_9 Depth=1
	v_cmp_ne_u16_sdwa s[22:23], v0, v5 src0_sel:BYTE_0 src1_sel:DWORD
	s_andn2_b64 s[4:5], s[4:5], exec
	s_and_b64 s[22:23], s[22:23], exec
	v_mov_b32_e32 v1, 0
	s_or_b64 s[4:5], s[4:5], s[22:23]
	scratch_store_dword off, v1, s32 offset:112 ; 4-byte Folded Spill
.LBB256_23:                             ;   in Loop: Header=BB256_9 Depth=1
	s_or_b64 exec, exec, s[20:21]
	v_and_b32_e32 v4, 0xffff, v0
	s_and_saveexec_b64 s[20:21], s[4:5]
	s_cbranch_execz .LBB256_25
; %bb.24:                               ;   in Loop: Header=BB256_9 Depth=1
	v_and_b32_e32 v2, 7, v4
	v_ffbh_u32_e32 v0, v2
	v_min_u32_e32 v6, 32, v0
	v_subrev_u32_e32 v0, 28, v6
	v_bfe_u32 v3, v4, 3, 4
	v_lshlrev_b64 v[0:1], v0, v[4:5]
	v_sub_u32_e32 v1, 29, v6
	v_cmp_eq_u32_e64 s[4:5], 0, v3
	v_and_b32_e32 v0, 7, v0
	s_nop 0
	v_cndmask_b32_e64 v1, v3, v1, s[4:5]
	v_cndmask_b32_e64 v0, v2, v0, s[4:5]
	v_lshlrev_b32_e32 v2, 8, v4
	v_lshl_add_u32 v1, v1, 10, v38
	v_and_or_b32 v1, v2, s27, v1
	v_lshl_or_b32 v0, v0, 7, v1
	v_cvt_f32_f16_e32 v0, v0
	scratch_store_dword off, v0, s32 offset:112 ; 4-byte Folded Spill
.LBB256_25:                             ;   in Loop: Header=BB256_9 Depth=1
	s_or_b64 exec, exec, s[20:21]
	v_lshrrev_b16_e32 v4, 8, v4
	v_cmp_lt_i16_e64 s[4:5], s17, v4
	s_mov_b64 s[20:21], 0
                                        ; implicit-def: $sgpr28
	s_and_saveexec_b64 s[22:23], s[4:5]
	s_xor_b64 s[22:23], exec, s[22:23]
	s_cbranch_execnz .LBB256_283
; %bb.26:                               ;   in Loop: Header=BB256_9 Depth=1
	s_or_saveexec_b64 s[22:23], s[22:23]
	v_mov_b32_e32 v0, s28
	s_xor_b64 exec, exec, s[22:23]
	s_cbranch_execnz .LBB256_286
.LBB256_27:                             ;   in Loop: Header=BB256_9 Depth=1
	s_or_b64 exec, exec, s[22:23]
	s_and_saveexec_b64 s[22:23], s[20:21]
	s_cbranch_execz .LBB256_29
.LBB256_28:                             ;   in Loop: Header=BB256_9 Depth=1
	v_and_b32_e32 v2, 7, v4
	v_ffbh_u32_e32 v0, v2
	v_min_u32_e32 v6, 32, v0
	v_subrev_u32_e32 v0, 28, v6
	v_bfe_u32 v3, v4, 3, 4
	v_lshlrev_b64 v[0:1], v0, v[4:5]
	v_sub_u32_e32 v1, 29, v6
	v_cmp_eq_u32_e64 s[4:5], 0, v3
	v_and_b32_e32 v0, 7, v0
	s_nop 0
	v_cndmask_b32_e64 v1, v3, v1, s[4:5]
	v_cndmask_b32_e64 v0, v2, v0, s[4:5]
	v_lshlrev_b32_e32 v2, 8, v4
	v_lshl_add_u32 v1, v1, 10, v38
	v_and_or_b32 v1, v2, s27, v1
	v_lshl_or_b32 v0, v0, 7, v1
	v_cvt_f32_f16_e32 v0, v0
.LBB256_29:                             ;   in Loop: Header=BB256_9 Depth=1
	s_or_b64 exec, exec, s[22:23]
	v_accvgpr_write_b32 a36, v0
	flat_load_ushort v0, v[28:29] offset:256
	s_mov_b64 s[4:5], 0
                                        ; implicit-def: $sgpr24
	s_waitcnt vmcnt(0) lgkmcnt(0)
	v_cmp_gt_i16_sdwa s[20:21], v0, s17 src0_sel:BYTE_0 src1_sel:DWORD
	s_and_saveexec_b64 s[22:23], s[20:21]
	s_xor_b64 s[20:21], exec, s[22:23]
	s_cbranch_execnz .LBB256_287
; %bb.30:                               ;   in Loop: Header=BB256_9 Depth=1
	s_or_saveexec_b64 s[20:21], s[20:21]
	v_mov_b32_e32 v30, s24
	s_xor_b64 exec, exec, s[20:21]
	s_cbranch_execnz .LBB256_290
.LBB256_31:                             ;   in Loop: Header=BB256_9 Depth=1
	s_or_b64 exec, exec, s[20:21]
	v_and_b32_e32 v4, 0xffff, v0
	s_and_saveexec_b64 s[20:21], s[4:5]
	s_cbranch_execz .LBB256_33
.LBB256_32:                             ;   in Loop: Header=BB256_9 Depth=1
	v_and_b32_e32 v2, 7, v4
	v_ffbh_u32_e32 v0, v2
	v_min_u32_e32 v6, 32, v0
	v_subrev_u32_e32 v0, 28, v6
	v_bfe_u32 v3, v4, 3, 4
	v_lshlrev_b64 v[0:1], v0, v[4:5]
	v_sub_u32_e32 v1, 29, v6
	v_cmp_eq_u32_e64 s[4:5], 0, v3
	v_and_b32_e32 v0, 7, v0
	s_nop 0
	v_cndmask_b32_e64 v1, v3, v1, s[4:5]
	v_cndmask_b32_e64 v0, v2, v0, s[4:5]
	v_lshlrev_b32_e32 v2, 8, v4
	v_lshl_add_u32 v1, v1, 10, v38
	v_and_or_b32 v1, v2, s27, v1
	v_lshl_or_b32 v0, v0, 7, v1
	v_cvt_f32_f16_e32 v30, v0
.LBB256_33:                             ;   in Loop: Header=BB256_9 Depth=1
	s_or_b64 exec, exec, s[20:21]
	v_lshrrev_b16_e32 v4, 8, v4
	v_cmp_lt_i16_e64 s[4:5], s17, v4
	s_mov_b64 s[20:21], 0
                                        ; implicit-def: $sgpr28
	s_and_saveexec_b64 s[22:23], s[4:5]
	s_xor_b64 s[22:23], exec, s[22:23]
	s_cbranch_execnz .LBB256_291
; %bb.34:                               ;   in Loop: Header=BB256_9 Depth=1
	s_or_saveexec_b64 s[22:23], s[22:23]
	v_mov_b32_e32 v0, s28
	s_xor_b64 exec, exec, s[22:23]
	s_cbranch_execnz .LBB256_294
.LBB256_35:                             ;   in Loop: Header=BB256_9 Depth=1
	s_or_b64 exec, exec, s[22:23]
	s_and_saveexec_b64 s[22:23], s[20:21]
	s_cbranch_execz .LBB256_37
.LBB256_36:                             ;   in Loop: Header=BB256_9 Depth=1
	v_and_b32_e32 v2, 7, v4
	v_ffbh_u32_e32 v0, v2
	v_min_u32_e32 v6, 32, v0
	v_subrev_u32_e32 v0, 28, v6
	v_bfe_u32 v3, v4, 3, 4
	v_lshlrev_b64 v[0:1], v0, v[4:5]
	v_sub_u32_e32 v1, 29, v6
	v_cmp_eq_u32_e64 s[4:5], 0, v3
	v_and_b32_e32 v0, 7, v0
	s_nop 0
	v_cndmask_b32_e64 v1, v3, v1, s[4:5]
	v_cndmask_b32_e64 v0, v2, v0, s[4:5]
	v_lshlrev_b32_e32 v2, 8, v4
	v_lshl_add_u32 v1, v1, 10, v38
	v_and_or_b32 v1, v2, s27, v1
	v_lshl_or_b32 v0, v0, 7, v1
	v_cvt_f32_f16_e32 v0, v0
.LBB256_37:                             ;   in Loop: Header=BB256_9 Depth=1
	s_or_b64 exec, exec, s[22:23]
	v_accvgpr_write_b32 a40, v0
	flat_load_ushort v0, v[28:29] offset:264
	s_mov_b64 s[4:5], 0
                                        ; implicit-def: $sgpr24
	s_waitcnt vmcnt(0) lgkmcnt(0)
	v_cmp_gt_i16_sdwa s[20:21], v0, s17 src0_sel:BYTE_0 src1_sel:DWORD
	s_and_saveexec_b64 s[22:23], s[20:21]
	s_xor_b64 s[20:21], exec, s[22:23]
	s_cbranch_execnz .LBB256_295
; %bb.38:                               ;   in Loop: Header=BB256_9 Depth=1
	s_or_saveexec_b64 s[20:21], s[20:21]
	v_mov_b32_e32 v37, s24
	s_xor_b64 exec, exec, s[20:21]
	s_cbranch_execnz .LBB256_298
.LBB256_39:                             ;   in Loop: Header=BB256_9 Depth=1
	s_or_b64 exec, exec, s[20:21]
	v_and_b32_e32 v4, 0xffff, v0
	s_and_saveexec_b64 s[20:21], s[4:5]
	s_cbranch_execz .LBB256_41
.LBB256_40:                             ;   in Loop: Header=BB256_9 Depth=1
	v_and_b32_e32 v2, 7, v4
	v_ffbh_u32_e32 v0, v2
	v_min_u32_e32 v6, 32, v0
	v_subrev_u32_e32 v0, 28, v6
	v_bfe_u32 v3, v4, 3, 4
	v_lshlrev_b64 v[0:1], v0, v[4:5]
	v_sub_u32_e32 v1, 29, v6
	v_cmp_eq_u32_e64 s[4:5], 0, v3
	v_and_b32_e32 v0, 7, v0
	s_nop 0
	v_cndmask_b32_e64 v1, v3, v1, s[4:5]
	v_cndmask_b32_e64 v0, v2, v0, s[4:5]
	v_lshlrev_b32_e32 v2, 8, v4
	v_lshl_add_u32 v1, v1, 10, v38
	v_and_or_b32 v1, v2, s27, v1
	v_lshl_or_b32 v0, v0, 7, v1
	v_cvt_f32_f16_e32 v37, v0
.LBB256_41:                             ;   in Loop: Header=BB256_9 Depth=1
	s_or_b64 exec, exec, s[20:21]
	v_lshrrev_b16_e32 v4, 8, v4
	v_cmp_lt_i16_e64 s[4:5], s17, v4
	s_mov_b64 s[20:21], 0
                                        ; implicit-def: $sgpr28
	s_and_saveexec_b64 s[22:23], s[4:5]
	s_xor_b64 s[22:23], exec, s[22:23]
	s_cbranch_execnz .LBB256_299
; %bb.42:                               ;   in Loop: Header=BB256_9 Depth=1
	s_or_saveexec_b64 s[22:23], s[22:23]
	v_mov_b32_e32 v59, s28
	s_xor_b64 exec, exec, s[22:23]
	s_cbranch_execnz .LBB256_302
.LBB256_43:                             ;   in Loop: Header=BB256_9 Depth=1
	s_or_b64 exec, exec, s[22:23]
	s_and_saveexec_b64 s[22:23], s[20:21]
	s_cbranch_execz .LBB256_45
.LBB256_44:                             ;   in Loop: Header=BB256_9 Depth=1
	v_and_b32_e32 v2, 7, v4
	v_ffbh_u32_e32 v0, v2
	v_min_u32_e32 v6, 32, v0
	v_subrev_u32_e32 v0, 28, v6
	v_bfe_u32 v3, v4, 3, 4
	v_lshlrev_b64 v[0:1], v0, v[4:5]
	v_sub_u32_e32 v1, 29, v6
	v_cmp_eq_u32_e64 s[4:5], 0, v3
	v_and_b32_e32 v0, 7, v0
	s_nop 0
	v_cndmask_b32_e64 v1, v3, v1, s[4:5]
	v_cndmask_b32_e64 v0, v2, v0, s[4:5]
	v_lshlrev_b32_e32 v2, 8, v4
	v_lshl_add_u32 v1, v1, 10, v38
	v_and_or_b32 v1, v2, s27, v1
	v_lshl_or_b32 v0, v0, 7, v1
	v_cvt_f32_f16_e32 v59, v0
.LBB256_45:                             ;   in Loop: Header=BB256_9 Depth=1
	s_or_b64 exec, exec, s[22:23]
	flat_load_ushort v0, v[28:29] offset:512
	s_mov_b64 s[4:5], 0
                                        ; implicit-def: $sgpr24
	s_waitcnt vmcnt(0) lgkmcnt(0)
	v_cmp_gt_i16_sdwa s[20:21], v0, s17 src0_sel:BYTE_0 src1_sel:DWORD
	s_and_saveexec_b64 s[22:23], s[20:21]
	s_xor_b64 s[20:21], exec, s[22:23]
	s_cbranch_execnz .LBB256_303
; %bb.46:                               ;   in Loop: Header=BB256_9 Depth=1
	s_or_saveexec_b64 s[20:21], s[20:21]
	v_mov_b32_e32 v60, s24
	s_xor_b64 exec, exec, s[20:21]
	s_cbranch_execnz .LBB256_306
.LBB256_47:                             ;   in Loop: Header=BB256_9 Depth=1
	s_or_b64 exec, exec, s[20:21]
	v_and_b32_e32 v4, 0xffff, v0
	s_and_saveexec_b64 s[20:21], s[4:5]
	s_cbranch_execz .LBB256_49
.LBB256_48:                             ;   in Loop: Header=BB256_9 Depth=1
	v_and_b32_e32 v2, 7, v4
	v_ffbh_u32_e32 v0, v2
	v_min_u32_e32 v6, 32, v0
	v_subrev_u32_e32 v0, 28, v6
	v_bfe_u32 v3, v4, 3, 4
	v_lshlrev_b64 v[0:1], v0, v[4:5]
	v_sub_u32_e32 v1, 29, v6
	v_cmp_eq_u32_e64 s[4:5], 0, v3
	v_and_b32_e32 v0, 7, v0
	s_nop 0
	v_cndmask_b32_e64 v1, v3, v1, s[4:5]
	v_cndmask_b32_e64 v0, v2, v0, s[4:5]
	v_lshlrev_b32_e32 v2, 8, v4
	v_lshl_add_u32 v1, v1, 10, v38
	v_and_or_b32 v1, v2, s27, v1
	v_lshl_or_b32 v0, v0, 7, v1
	v_cvt_f32_f16_e32 v60, v0
.LBB256_49:                             ;   in Loop: Header=BB256_9 Depth=1
	s_or_b64 exec, exec, s[20:21]
	v_lshrrev_b16_e32 v4, 8, v4
	v_cmp_lt_i16_e64 s[4:5], s17, v4
	s_mov_b64 s[20:21], 0
                                        ; implicit-def: $sgpr28
	s_and_saveexec_b64 s[22:23], s[4:5]
	s_xor_b64 s[22:23], exec, s[22:23]
	s_cbranch_execnz .LBB256_307
; %bb.50:                               ;   in Loop: Header=BB256_9 Depth=1
	s_or_saveexec_b64 s[22:23], s[22:23]
	v_mov_b32_e32 v61, s28
	s_xor_b64 exec, exec, s[22:23]
	s_cbranch_execnz .LBB256_310
.LBB256_51:                             ;   in Loop: Header=BB256_9 Depth=1
	s_or_b64 exec, exec, s[22:23]
	s_and_saveexec_b64 s[22:23], s[20:21]
	s_cbranch_execz .LBB256_53
.LBB256_52:                             ;   in Loop: Header=BB256_9 Depth=1
	v_and_b32_e32 v2, 7, v4
	v_ffbh_u32_e32 v0, v2
	v_min_u32_e32 v6, 32, v0
	v_subrev_u32_e32 v0, 28, v6
	v_bfe_u32 v3, v4, 3, 4
	v_lshlrev_b64 v[0:1], v0, v[4:5]
	v_sub_u32_e32 v1, 29, v6
	v_cmp_eq_u32_e64 s[4:5], 0, v3
	v_and_b32_e32 v0, 7, v0
	s_nop 0
	v_cndmask_b32_e64 v1, v3, v1, s[4:5]
	v_cndmask_b32_e64 v0, v2, v0, s[4:5]
	v_lshlrev_b32_e32 v2, 8, v4
	v_lshl_add_u32 v1, v1, 10, v38
	v_and_or_b32 v1, v2, s27, v1
	v_lshl_or_b32 v0, v0, 7, v1
	v_cvt_f32_f16_e32 v61, v0
.LBB256_53:                             ;   in Loop: Header=BB256_9 Depth=1
	s_or_b64 exec, exec, s[22:23]
	flat_load_ushort v0, v[28:29] offset:520
	s_mov_b64 s[4:5], 0
                                        ; implicit-def: $sgpr24
	s_waitcnt vmcnt(0) lgkmcnt(0)
	v_cmp_gt_i16_sdwa s[20:21], v0, s17 src0_sel:BYTE_0 src1_sel:DWORD
	s_and_saveexec_b64 s[22:23], s[20:21]
	s_xor_b64 s[20:21], exec, s[22:23]
	s_cbranch_execnz .LBB256_311
; %bb.54:                               ;   in Loop: Header=BB256_9 Depth=1
	s_or_saveexec_b64 s[20:21], s[20:21]
	v_mov_b32_e32 v62, s24
	s_xor_b64 exec, exec, s[20:21]
	s_cbranch_execnz .LBB256_314
.LBB256_55:                             ;   in Loop: Header=BB256_9 Depth=1
	s_or_b64 exec, exec, s[20:21]
	v_and_b32_e32 v4, 0xffff, v0
	s_and_saveexec_b64 s[20:21], s[4:5]
	s_cbranch_execz .LBB256_57
.LBB256_56:                             ;   in Loop: Header=BB256_9 Depth=1
	v_and_b32_e32 v2, 7, v4
	v_ffbh_u32_e32 v0, v2
	v_min_u32_e32 v6, 32, v0
	v_subrev_u32_e32 v0, 28, v6
	v_bfe_u32 v3, v4, 3, 4
	v_lshlrev_b64 v[0:1], v0, v[4:5]
	v_sub_u32_e32 v1, 29, v6
	v_cmp_eq_u32_e64 s[4:5], 0, v3
	v_and_b32_e32 v0, 7, v0
	s_nop 0
	v_cndmask_b32_e64 v1, v3, v1, s[4:5]
	v_cndmask_b32_e64 v0, v2, v0, s[4:5]
	v_lshlrev_b32_e32 v2, 8, v4
	v_lshl_add_u32 v1, v1, 10, v38
	v_and_or_b32 v1, v2, s27, v1
	v_lshl_or_b32 v0, v0, 7, v1
	v_cvt_f32_f16_e32 v62, v0
.LBB256_57:                             ;   in Loop: Header=BB256_9 Depth=1
	s_or_b64 exec, exec, s[20:21]
	v_lshrrev_b16_e32 v4, 8, v4
	v_cmp_lt_i16_e64 s[4:5], s17, v4
	s_mov_b64 s[20:21], 0
                                        ; implicit-def: $sgpr28
	s_and_saveexec_b64 s[22:23], s[4:5]
	s_xor_b64 s[22:23], exec, s[22:23]
	s_cbranch_execnz .LBB256_315
; %bb.58:                               ;   in Loop: Header=BB256_9 Depth=1
	s_or_saveexec_b64 s[22:23], s[22:23]
	v_mov_b32_e32 v63, s28
	s_xor_b64 exec, exec, s[22:23]
	s_cbranch_execnz .LBB256_318
.LBB256_59:                             ;   in Loop: Header=BB256_9 Depth=1
	s_or_b64 exec, exec, s[22:23]
	s_and_saveexec_b64 s[22:23], s[20:21]
	s_cbranch_execz .LBB256_61
.LBB256_60:                             ;   in Loop: Header=BB256_9 Depth=1
	v_and_b32_e32 v2, 7, v4
	v_ffbh_u32_e32 v0, v2
	v_min_u32_e32 v6, 32, v0
	v_subrev_u32_e32 v0, 28, v6
	v_bfe_u32 v3, v4, 3, 4
	v_lshlrev_b64 v[0:1], v0, v[4:5]
	v_sub_u32_e32 v1, 29, v6
	v_cmp_eq_u32_e64 s[4:5], 0, v3
	v_and_b32_e32 v0, 7, v0
	s_nop 0
	v_cndmask_b32_e64 v1, v3, v1, s[4:5]
	v_cndmask_b32_e64 v0, v2, v0, s[4:5]
	v_lshlrev_b32_e32 v2, 8, v4
	v_lshl_add_u32 v1, v1, 10, v38
	v_and_or_b32 v1, v2, s27, v1
	v_lshl_or_b32 v0, v0, 7, v1
	v_cvt_f32_f16_e32 v63, v0
.LBB256_61:                             ;   in Loop: Header=BB256_9 Depth=1
	s_or_b64 exec, exec, s[22:23]
	flat_load_ushort v0, v[28:29] offset:768
	s_mov_b64 s[4:5], 0
                                        ; implicit-def: $sgpr24
	s_waitcnt vmcnt(0) lgkmcnt(0)
	v_cmp_gt_i16_sdwa s[20:21], v0, s17 src0_sel:BYTE_0 src1_sel:DWORD
	s_and_saveexec_b64 s[22:23], s[20:21]
	s_xor_b64 s[20:21], exec, s[22:23]
	s_cbranch_execnz .LBB256_319
; %bb.62:                               ;   in Loop: Header=BB256_9 Depth=1
	s_or_saveexec_b64 s[20:21], s[20:21]
	v_mov_b32_e32 v57, s24
	s_xor_b64 exec, exec, s[20:21]
	s_cbranch_execnz .LBB256_322
.LBB256_63:                             ;   in Loop: Header=BB256_9 Depth=1
	s_or_b64 exec, exec, s[20:21]
	v_and_b32_e32 v4, 0xffff, v0
	s_and_saveexec_b64 s[20:21], s[4:5]
	s_cbranch_execz .LBB256_65
.LBB256_64:                             ;   in Loop: Header=BB256_9 Depth=1
	v_and_b32_e32 v2, 7, v4
	v_ffbh_u32_e32 v0, v2
	v_min_u32_e32 v6, 32, v0
	v_subrev_u32_e32 v0, 28, v6
	v_bfe_u32 v3, v4, 3, 4
	v_lshlrev_b64 v[0:1], v0, v[4:5]
	v_sub_u32_e32 v1, 29, v6
	v_cmp_eq_u32_e64 s[4:5], 0, v3
	v_and_b32_e32 v0, 7, v0
	s_nop 0
	v_cndmask_b32_e64 v1, v3, v1, s[4:5]
	v_cndmask_b32_e64 v0, v2, v0, s[4:5]
	v_lshlrev_b32_e32 v2, 8, v4
	v_lshl_add_u32 v1, v1, 10, v38
	v_and_or_b32 v1, v2, s27, v1
	v_lshl_or_b32 v0, v0, 7, v1
	v_cvt_f32_f16_e32 v57, v0
.LBB256_65:                             ;   in Loop: Header=BB256_9 Depth=1
	s_or_b64 exec, exec, s[20:21]
	v_lshrrev_b16_e32 v4, 8, v4
	v_cmp_lt_i16_e64 s[4:5], s17, v4
	s_mov_b64 s[20:21], 0
                                        ; implicit-def: $sgpr28
	s_and_saveexec_b64 s[22:23], s[4:5]
	s_xor_b64 s[22:23], exec, s[22:23]
	s_cbranch_execnz .LBB256_323
; %bb.66:                               ;   in Loop: Header=BB256_9 Depth=1
	s_or_saveexec_b64 s[22:23], s[22:23]
	v_mov_b32_e32 v0, s28
	s_xor_b64 exec, exec, s[22:23]
	s_cbranch_execnz .LBB256_326
.LBB256_67:                             ;   in Loop: Header=BB256_9 Depth=1
	s_or_b64 exec, exec, s[22:23]
	s_and_saveexec_b64 s[22:23], s[20:21]
	s_cbranch_execz .LBB256_69
.LBB256_68:                             ;   in Loop: Header=BB256_9 Depth=1
	v_and_b32_e32 v2, 7, v4
	v_ffbh_u32_e32 v0, v2
	v_min_u32_e32 v6, 32, v0
	v_subrev_u32_e32 v0, 28, v6
	v_bfe_u32 v3, v4, 3, 4
	v_lshlrev_b64 v[0:1], v0, v[4:5]
	v_sub_u32_e32 v1, 29, v6
	v_cmp_eq_u32_e64 s[4:5], 0, v3
	v_and_b32_e32 v0, 7, v0
	s_nop 0
	v_cndmask_b32_e64 v1, v3, v1, s[4:5]
	v_cndmask_b32_e64 v0, v2, v0, s[4:5]
	v_lshlrev_b32_e32 v2, 8, v4
	v_lshl_add_u32 v1, v1, 10, v38
	v_and_or_b32 v1, v2, s27, v1
	v_lshl_or_b32 v0, v0, 7, v1
	v_cvt_f32_f16_e32 v0, v0
.LBB256_69:                             ;   in Loop: Header=BB256_9 Depth=1
	s_or_b64 exec, exec, s[22:23]
	v_accvgpr_write_b32 a31, v0
	flat_load_ushort v0, v[28:29] offset:776
	s_mov_b64 s[4:5], 0
                                        ; implicit-def: $sgpr24
	s_waitcnt vmcnt(0) lgkmcnt(0)
	v_cmp_gt_i16_sdwa s[20:21], v0, s17 src0_sel:BYTE_0 src1_sel:DWORD
	s_and_saveexec_b64 s[22:23], s[20:21]
	s_xor_b64 s[20:21], exec, s[22:23]
	s_cbranch_execnz .LBB256_327
; %bb.70:                               ;   in Loop: Header=BB256_9 Depth=1
	s_or_saveexec_b64 s[20:21], s[20:21]
	v_mov_b32_e32 v58, s24
	s_xor_b64 exec, exec, s[20:21]
	s_cbranch_execnz .LBB256_330
.LBB256_71:                             ;   in Loop: Header=BB256_9 Depth=1
	s_or_b64 exec, exec, s[20:21]
	v_and_b32_e32 v4, 0xffff, v0
	s_and_saveexec_b64 s[20:21], s[4:5]
	s_cbranch_execz .LBB256_73
.LBB256_72:                             ;   in Loop: Header=BB256_9 Depth=1
	v_and_b32_e32 v2, 7, v4
	v_ffbh_u32_e32 v0, v2
	v_min_u32_e32 v6, 32, v0
	v_subrev_u32_e32 v0, 28, v6
	v_bfe_u32 v3, v4, 3, 4
	v_lshlrev_b64 v[0:1], v0, v[4:5]
	v_sub_u32_e32 v1, 29, v6
	v_cmp_eq_u32_e64 s[4:5], 0, v3
	v_and_b32_e32 v0, 7, v0
	s_nop 0
	v_cndmask_b32_e64 v1, v3, v1, s[4:5]
	v_cndmask_b32_e64 v0, v2, v0, s[4:5]
	v_lshlrev_b32_e32 v2, 8, v4
	v_lshl_add_u32 v1, v1, 10, v38
	v_and_or_b32 v1, v2, s27, v1
	v_lshl_or_b32 v0, v0, 7, v1
	v_cvt_f32_f16_e32 v58, v0
.LBB256_73:                             ;   in Loop: Header=BB256_9 Depth=1
	s_or_b64 exec, exec, s[20:21]
	v_lshrrev_b16_e32 v4, 8, v4
	v_cmp_lt_i16_e64 s[4:5], s17, v4
	s_mov_b64 s[20:21], 0
                                        ; implicit-def: $sgpr28
	s_and_saveexec_b64 s[22:23], s[4:5]
	s_xor_b64 s[22:23], exec, s[22:23]
	s_cbranch_execnz .LBB256_331
; %bb.74:                               ;   in Loop: Header=BB256_9 Depth=1
	s_or_saveexec_b64 s[22:23], s[22:23]
	v_mov_b32_e32 v0, s28
	s_xor_b64 exec, exec, s[22:23]
	s_cbranch_execnz .LBB256_334
.LBB256_75:                             ;   in Loop: Header=BB256_9 Depth=1
	s_or_b64 exec, exec, s[22:23]
	s_and_saveexec_b64 s[22:23], s[20:21]
	s_cbranch_execz .LBB256_77
.LBB256_76:                             ;   in Loop: Header=BB256_9 Depth=1
	v_and_b32_e32 v2, 7, v4
	v_ffbh_u32_e32 v0, v2
	v_min_u32_e32 v6, 32, v0
	v_subrev_u32_e32 v0, 28, v6
	v_bfe_u32 v3, v4, 3, 4
	v_lshlrev_b64 v[0:1], v0, v[4:5]
	v_sub_u32_e32 v1, 29, v6
	v_cmp_eq_u32_e64 s[4:5], 0, v3
	v_and_b32_e32 v0, 7, v0
	s_nop 0
	v_cndmask_b32_e64 v1, v3, v1, s[4:5]
	v_cndmask_b32_e64 v0, v2, v0, s[4:5]
	v_lshlrev_b32_e32 v2, 8, v4
	v_lshl_add_u32 v1, v1, 10, v38
	v_and_or_b32 v1, v2, s27, v1
	v_lshl_or_b32 v0, v0, 7, v1
	v_cvt_f32_f16_e32 v0, v0
.LBB256_77:                             ;   in Loop: Header=BB256_9 Depth=1
	s_or_b64 exec, exec, s[22:23]
	v_accvgpr_write_b32 a32, v0
	flat_load_ushort v0, v[28:29] offset:1024
	s_mov_b64 s[4:5], 0
                                        ; implicit-def: $sgpr24
	s_waitcnt vmcnt(0) lgkmcnt(0)
	v_cmp_gt_i16_sdwa s[20:21], v0, s17 src0_sel:BYTE_0 src1_sel:DWORD
	s_and_saveexec_b64 s[22:23], s[20:21]
	s_xor_b64 s[20:21], exec, s[22:23]
	s_cbranch_execnz .LBB256_335
; %bb.78:                               ;   in Loop: Header=BB256_9 Depth=1
	s_or_saveexec_b64 s[20:21], s[20:21]
	v_mov_b32_e32 v26, s24
	s_xor_b64 exec, exec, s[20:21]
	s_cbranch_execnz .LBB256_338
.LBB256_79:                             ;   in Loop: Header=BB256_9 Depth=1
	s_or_b64 exec, exec, s[20:21]
	v_and_b32_e32 v4, 0xffff, v0
	s_and_saveexec_b64 s[20:21], s[4:5]
	s_cbranch_execz .LBB256_81
.LBB256_80:                             ;   in Loop: Header=BB256_9 Depth=1
	v_and_b32_e32 v2, 7, v4
	v_ffbh_u32_e32 v0, v2
	v_min_u32_e32 v6, 32, v0
	v_subrev_u32_e32 v0, 28, v6
	v_bfe_u32 v3, v4, 3, 4
	v_lshlrev_b64 v[0:1], v0, v[4:5]
	v_sub_u32_e32 v1, 29, v6
	v_cmp_eq_u32_e64 s[4:5], 0, v3
	v_and_b32_e32 v0, 7, v0
	s_nop 0
	v_cndmask_b32_e64 v1, v3, v1, s[4:5]
	v_cndmask_b32_e64 v0, v2, v0, s[4:5]
	v_lshlrev_b32_e32 v2, 8, v4
	v_lshl_add_u32 v1, v1, 10, v38
	v_and_or_b32 v1, v2, s27, v1
	v_lshl_or_b32 v0, v0, 7, v1
	v_cvt_f32_f16_e32 v26, v0
.LBB256_81:                             ;   in Loop: Header=BB256_9 Depth=1
	s_or_b64 exec, exec, s[20:21]
	v_lshrrev_b16_e32 v4, 8, v4
	v_cmp_lt_i16_e64 s[4:5], s17, v4
	s_mov_b64 s[20:21], 0
                                        ; implicit-def: $sgpr28
	s_and_saveexec_b64 s[22:23], s[4:5]
	s_xor_b64 s[22:23], exec, s[22:23]
	s_cbranch_execnz .LBB256_339
; %bb.82:                               ;   in Loop: Header=BB256_9 Depth=1
	s_or_saveexec_b64 s[22:23], s[22:23]
	v_mov_b32_e32 v0, s28
	s_xor_b64 exec, exec, s[22:23]
	s_cbranch_execnz .LBB256_342
.LBB256_83:                             ;   in Loop: Header=BB256_9 Depth=1
	s_or_b64 exec, exec, s[22:23]
	s_and_saveexec_b64 s[22:23], s[20:21]
	s_cbranch_execz .LBB256_85
.LBB256_84:                             ;   in Loop: Header=BB256_9 Depth=1
	v_and_b32_e32 v2, 7, v4
	v_ffbh_u32_e32 v0, v2
	v_min_u32_e32 v6, 32, v0
	v_subrev_u32_e32 v0, 28, v6
	v_bfe_u32 v3, v4, 3, 4
	v_lshlrev_b64 v[0:1], v0, v[4:5]
	v_sub_u32_e32 v1, 29, v6
	v_cmp_eq_u32_e64 s[4:5], 0, v3
	v_and_b32_e32 v0, 7, v0
	s_nop 0
	v_cndmask_b32_e64 v1, v3, v1, s[4:5]
	v_cndmask_b32_e64 v0, v2, v0, s[4:5]
	v_lshlrev_b32_e32 v2, 8, v4
	v_lshl_add_u32 v1, v1, 10, v38
	v_and_or_b32 v1, v2, s27, v1
	v_lshl_or_b32 v0, v0, 7, v1
	v_cvt_f32_f16_e32 v0, v0
.LBB256_85:                             ;   in Loop: Header=BB256_9 Depth=1
	s_or_b64 exec, exec, s[22:23]
	v_accvgpr_write_b32 a33, v0
	flat_load_ushort v0, v[28:29] offset:1032
	s_mov_b64 s[4:5], 0
                                        ; implicit-def: $sgpr24
	s_waitcnt vmcnt(0) lgkmcnt(0)
	v_cmp_gt_i16_sdwa s[20:21], v0, s17 src0_sel:BYTE_0 src1_sel:DWORD
	s_and_saveexec_b64 s[22:23], s[20:21]
	s_xor_b64 s[20:21], exec, s[22:23]
	s_cbranch_execnz .LBB256_343
; %bb.86:                               ;   in Loop: Header=BB256_9 Depth=1
	s_or_saveexec_b64 s[20:21], s[20:21]
	v_mov_b32_e32 v27, s24
	s_xor_b64 exec, exec, s[20:21]
	s_cbranch_execnz .LBB256_346
.LBB256_87:                             ;   in Loop: Header=BB256_9 Depth=1
	s_or_b64 exec, exec, s[20:21]
	v_and_b32_e32 v4, 0xffff, v0
	s_and_saveexec_b64 s[20:21], s[4:5]
	s_cbranch_execz .LBB256_89
.LBB256_88:                             ;   in Loop: Header=BB256_9 Depth=1
	v_and_b32_e32 v2, 7, v4
	v_ffbh_u32_e32 v0, v2
	v_min_u32_e32 v6, 32, v0
	v_subrev_u32_e32 v0, 28, v6
	v_bfe_u32 v3, v4, 3, 4
	v_lshlrev_b64 v[0:1], v0, v[4:5]
	v_sub_u32_e32 v1, 29, v6
	v_cmp_eq_u32_e64 s[4:5], 0, v3
	v_and_b32_e32 v0, 7, v0
	s_nop 0
	v_cndmask_b32_e64 v1, v3, v1, s[4:5]
	v_cndmask_b32_e64 v0, v2, v0, s[4:5]
	v_lshlrev_b32_e32 v2, 8, v4
	v_lshl_add_u32 v1, v1, 10, v38
	v_and_or_b32 v1, v2, s27, v1
	v_lshl_or_b32 v0, v0, 7, v1
	v_cvt_f32_f16_e32 v27, v0
.LBB256_89:                             ;   in Loop: Header=BB256_9 Depth=1
	s_or_b64 exec, exec, s[20:21]
	v_lshrrev_b16_e32 v4, 8, v4
	v_cmp_lt_i16_e64 s[4:5], s17, v4
	s_mov_b64 s[20:21], 0
                                        ; implicit-def: $sgpr28
	s_and_saveexec_b64 s[22:23], s[4:5]
	s_xor_b64 s[22:23], exec, s[22:23]
	s_cbranch_execnz .LBB256_347
; %bb.90:                               ;   in Loop: Header=BB256_9 Depth=1
	s_or_saveexec_b64 s[22:23], s[22:23]
	v_mov_b32_e32 v0, s28
	s_xor_b64 exec, exec, s[22:23]
	s_cbranch_execnz .LBB256_350
.LBB256_91:                             ;   in Loop: Header=BB256_9 Depth=1
	s_or_b64 exec, exec, s[22:23]
	s_and_saveexec_b64 s[22:23], s[20:21]
	s_cbranch_execz .LBB256_93
.LBB256_92:                             ;   in Loop: Header=BB256_9 Depth=1
	v_and_b32_e32 v2, 7, v4
	v_ffbh_u32_e32 v0, v2
	v_min_u32_e32 v6, 32, v0
	v_subrev_u32_e32 v0, 28, v6
	v_bfe_u32 v3, v4, 3, 4
	v_lshlrev_b64 v[0:1], v0, v[4:5]
	v_sub_u32_e32 v1, 29, v6
	v_cmp_eq_u32_e64 s[4:5], 0, v3
	v_and_b32_e32 v0, 7, v0
	s_nop 0
	v_cndmask_b32_e64 v1, v3, v1, s[4:5]
	v_cndmask_b32_e64 v0, v2, v0, s[4:5]
	v_lshlrev_b32_e32 v2, 8, v4
	v_lshl_add_u32 v1, v1, 10, v38
	v_and_or_b32 v1, v2, s27, v1
	v_lshl_or_b32 v0, v0, 7, v1
	v_cvt_f32_f16_e32 v0, v0
.LBB256_93:                             ;   in Loop: Header=BB256_9 Depth=1
	s_or_b64 exec, exec, s[22:23]
	v_accvgpr_write_b32 a35, v0
	flat_load_ushort v0, v[28:29] offset:1280
	s_mov_b64 s[4:5], 0
                                        ; implicit-def: $sgpr24
	s_waitcnt vmcnt(0) lgkmcnt(0)
	v_cmp_gt_i16_sdwa s[20:21], v0, s17 src0_sel:BYTE_0 src1_sel:DWORD
	s_and_saveexec_b64 s[22:23], s[20:21]
	s_xor_b64 s[20:21], exec, s[22:23]
	s_cbranch_execnz .LBB256_351
; %bb.94:                               ;   in Loop: Header=BB256_9 Depth=1
	s_or_saveexec_b64 s[20:21], s[20:21]
	v_mov_b32_e32 v31, s24
	s_xor_b64 exec, exec, s[20:21]
	s_cbranch_execnz .LBB256_354
.LBB256_95:                             ;   in Loop: Header=BB256_9 Depth=1
	s_or_b64 exec, exec, s[20:21]
	v_and_b32_e32 v4, 0xffff, v0
	s_and_saveexec_b64 s[20:21], s[4:5]
	s_cbranch_execz .LBB256_97
.LBB256_96:                             ;   in Loop: Header=BB256_9 Depth=1
	v_and_b32_e32 v2, 7, v4
	v_ffbh_u32_e32 v0, v2
	v_min_u32_e32 v6, 32, v0
	v_subrev_u32_e32 v0, 28, v6
	v_bfe_u32 v3, v4, 3, 4
	v_lshlrev_b64 v[0:1], v0, v[4:5]
	v_sub_u32_e32 v1, 29, v6
	v_cmp_eq_u32_e64 s[4:5], 0, v3
	v_and_b32_e32 v0, 7, v0
	s_nop 0
	v_cndmask_b32_e64 v1, v3, v1, s[4:5]
	v_cndmask_b32_e64 v0, v2, v0, s[4:5]
	v_lshlrev_b32_e32 v2, 8, v4
	v_lshl_add_u32 v1, v1, 10, v38
	v_and_or_b32 v1, v2, s27, v1
	v_lshl_or_b32 v0, v0, 7, v1
	v_cvt_f32_f16_e32 v31, v0
.LBB256_97:                             ;   in Loop: Header=BB256_9 Depth=1
	s_or_b64 exec, exec, s[20:21]
	v_lshrrev_b16_e32 v4, 8, v4
	v_cmp_lt_i16_e64 s[4:5], s17, v4
	s_mov_b64 s[20:21], 0
                                        ; implicit-def: $sgpr28
	s_and_saveexec_b64 s[22:23], s[4:5]
	s_xor_b64 s[22:23], exec, s[22:23]
	s_cbranch_execnz .LBB256_355
; %bb.98:                               ;   in Loop: Header=BB256_9 Depth=1
	s_or_saveexec_b64 s[22:23], s[22:23]
	v_mov_b32_e32 v0, s28
	s_xor_b64 exec, exec, s[22:23]
	s_cbranch_execnz .LBB256_358
.LBB256_99:                             ;   in Loop: Header=BB256_9 Depth=1
	s_or_b64 exec, exec, s[22:23]
	s_and_saveexec_b64 s[22:23], s[20:21]
	s_cbranch_execz .LBB256_101
.LBB256_100:                            ;   in Loop: Header=BB256_9 Depth=1
	v_and_b32_e32 v2, 7, v4
	v_ffbh_u32_e32 v0, v2
	v_min_u32_e32 v6, 32, v0
	v_subrev_u32_e32 v0, 28, v6
	v_bfe_u32 v3, v4, 3, 4
	v_lshlrev_b64 v[0:1], v0, v[4:5]
	v_sub_u32_e32 v1, 29, v6
	v_cmp_eq_u32_e64 s[4:5], 0, v3
	v_and_b32_e32 v0, 7, v0
	s_nop 0
	v_cndmask_b32_e64 v1, v3, v1, s[4:5]
	v_cndmask_b32_e64 v0, v2, v0, s[4:5]
	v_lshlrev_b32_e32 v2, 8, v4
	v_lshl_add_u32 v1, v1, 10, v38
	v_and_or_b32 v1, v2, s27, v1
	v_lshl_or_b32 v0, v0, 7, v1
	v_cvt_f32_f16_e32 v0, v0
.LBB256_101:                            ;   in Loop: Header=BB256_9 Depth=1
	s_or_b64 exec, exec, s[22:23]
	v_accvgpr_write_b32 a37, v0
	flat_load_ushort v0, v[28:29] offset:1288
	s_mov_b64 s[4:5], 0
                                        ; implicit-def: $sgpr24
	s_waitcnt vmcnt(0) lgkmcnt(0)
	v_cmp_gt_i16_sdwa s[20:21], v0, s17 src0_sel:BYTE_0 src1_sel:DWORD
	s_and_saveexec_b64 s[22:23], s[20:21]
	s_xor_b64 s[20:21], exec, s[22:23]
	s_cbranch_execnz .LBB256_359
; %bb.102:                              ;   in Loop: Header=BB256_9 Depth=1
	s_or_saveexec_b64 s[20:21], s[20:21]
	v_mov_b32_e32 v36, s24
	s_xor_b64 exec, exec, s[20:21]
	s_cbranch_execnz .LBB256_362
.LBB256_103:                            ;   in Loop: Header=BB256_9 Depth=1
	s_or_b64 exec, exec, s[20:21]
	v_and_b32_e32 v4, 0xffff, v0
	s_and_saveexec_b64 s[20:21], s[4:5]
	s_cbranch_execz .LBB256_105
.LBB256_104:                            ;   in Loop: Header=BB256_9 Depth=1
	v_and_b32_e32 v2, 7, v4
	v_ffbh_u32_e32 v0, v2
	v_min_u32_e32 v6, 32, v0
	v_subrev_u32_e32 v0, 28, v6
	v_bfe_u32 v3, v4, 3, 4
	v_lshlrev_b64 v[0:1], v0, v[4:5]
	v_sub_u32_e32 v1, 29, v6
	v_cmp_eq_u32_e64 s[4:5], 0, v3
	v_and_b32_e32 v0, 7, v0
	s_nop 0
	v_cndmask_b32_e64 v1, v3, v1, s[4:5]
	v_cndmask_b32_e64 v0, v2, v0, s[4:5]
	v_lshlrev_b32_e32 v2, 8, v4
	v_lshl_add_u32 v1, v1, 10, v38
	v_and_or_b32 v1, v2, s27, v1
	v_lshl_or_b32 v0, v0, 7, v1
	v_cvt_f32_f16_e32 v36, v0
.LBB256_105:                            ;   in Loop: Header=BB256_9 Depth=1
	s_or_b64 exec, exec, s[20:21]
	v_lshrrev_b16_e32 v4, 8, v4
	v_cmp_lt_i16_e64 s[4:5], s17, v4
	s_mov_b64 s[20:21], 0
                                        ; implicit-def: $sgpr28
	s_and_saveexec_b64 s[22:23], s[4:5]
	s_xor_b64 s[22:23], exec, s[22:23]
	s_cbranch_execnz .LBB256_363
; %bb.106:                              ;   in Loop: Header=BB256_9 Depth=1
	s_or_saveexec_b64 s[22:23], s[22:23]
	v_mov_b32_e32 v0, s28
	s_xor_b64 exec, exec, s[22:23]
	s_cbranch_execnz .LBB256_366
.LBB256_107:                            ;   in Loop: Header=BB256_9 Depth=1
	s_or_b64 exec, exec, s[22:23]
	s_and_saveexec_b64 s[22:23], s[20:21]
	s_cbranch_execz .LBB256_109
.LBB256_108:                            ;   in Loop: Header=BB256_9 Depth=1
	v_and_b32_e32 v2, 7, v4
	v_ffbh_u32_e32 v0, v2
	v_min_u32_e32 v6, 32, v0
	v_subrev_u32_e32 v0, 28, v6
	v_bfe_u32 v3, v4, 3, 4
	v_lshlrev_b64 v[0:1], v0, v[4:5]
	v_sub_u32_e32 v1, 29, v6
	v_cmp_eq_u32_e64 s[4:5], 0, v3
	v_and_b32_e32 v0, 7, v0
	s_nop 0
	v_cndmask_b32_e64 v1, v3, v1, s[4:5]
	v_cndmask_b32_e64 v0, v2, v0, s[4:5]
	v_lshlrev_b32_e32 v2, 8, v4
	v_lshl_add_u32 v1, v1, 10, v38
	v_and_or_b32 v1, v2, s27, v1
	v_lshl_or_b32 v0, v0, 7, v1
	v_cvt_f32_f16_e32 v0, v0
.LBB256_109:                            ;   in Loop: Header=BB256_9 Depth=1
	s_or_b64 exec, exec, s[22:23]
	v_accvgpr_write_b32 a38, v0
	flat_load_ushort v0, v[28:29] offset:1536
	s_mov_b64 s[4:5], 0
                                        ; implicit-def: $sgpr24
	s_waitcnt vmcnt(0) lgkmcnt(0)
	v_cmp_gt_i16_sdwa s[20:21], v0, s17 src0_sel:BYTE_0 src1_sel:DWORD
	s_and_saveexec_b64 s[22:23], s[20:21]
	s_xor_b64 s[20:21], exec, s[22:23]
	s_cbranch_execnz .LBB256_367
; %bb.110:                              ;   in Loop: Header=BB256_9 Depth=1
	s_or_saveexec_b64 s[20:21], s[20:21]
	v_mov_b32_e32 v1, s24
	s_xor_b64 exec, exec, s[20:21]
	s_cbranch_execnz .LBB256_370
.LBB256_111:                            ;   in Loop: Header=BB256_9 Depth=1
	s_or_b64 exec, exec, s[20:21]
	v_and_b32_e32 v4, 0xffff, v0
	s_and_saveexec_b64 s[20:21], s[4:5]
	s_cbranch_execz .LBB256_113
.LBB256_112:                            ;   in Loop: Header=BB256_9 Depth=1
	v_and_b32_e32 v2, 7, v4
	v_ffbh_u32_e32 v0, v2
	v_min_u32_e32 v6, 32, v0
	v_subrev_u32_e32 v0, 28, v6
	v_bfe_u32 v3, v4, 3, 4
	v_lshlrev_b64 v[0:1], v0, v[4:5]
	v_sub_u32_e32 v1, 29, v6
	v_cmp_eq_u32_e64 s[4:5], 0, v3
	v_and_b32_e32 v0, 7, v0
	s_nop 0
	v_cndmask_b32_e64 v1, v3, v1, s[4:5]
	v_cndmask_b32_e64 v0, v2, v0, s[4:5]
	v_lshlrev_b32_e32 v2, 8, v4
	v_lshl_add_u32 v1, v1, 10, v38
	v_and_or_b32 v1, v2, s27, v1
	v_lshl_or_b32 v0, v0, 7, v1
	v_cvt_f32_f16_e32 v1, v0
.LBB256_113:                            ;   in Loop: Header=BB256_9 Depth=1
	s_or_b64 exec, exec, s[20:21]
	v_lshrrev_b16_e32 v4, 8, v4
	v_cmp_lt_i16_e64 s[4:5], s17, v4
	s_mov_b64 s[20:21], 0
                                        ; implicit-def: $sgpr28
	s_and_saveexec_b64 s[22:23], s[4:5]
	s_xor_b64 s[22:23], exec, s[22:23]
	s_cbranch_execnz .LBB256_371
; %bb.114:                              ;   in Loop: Header=BB256_9 Depth=1
	s_or_saveexec_b64 s[22:23], s[22:23]
	v_mov_b32_e32 v39, s28
	s_xor_b64 exec, exec, s[22:23]
	s_cbranch_execnz .LBB256_374
.LBB256_115:                            ;   in Loop: Header=BB256_9 Depth=1
	s_or_b64 exec, exec, s[22:23]
	v_accvgpr_write_b32 a39, v1
	s_and_saveexec_b64 s[22:23], s[20:21]
	s_cbranch_execz .LBB256_117
.LBB256_116:                            ;   in Loop: Header=BB256_9 Depth=1
	v_and_b32_e32 v3, 7, v4
	v_ffbh_u32_e32 v0, v3
	v_min_u32_e32 v7, 32, v0
	v_subrev_u32_e32 v0, 28, v7
	v_bfe_u32 v6, v4, 3, 4
	v_lshlrev_b64 v[0:1], v0, v[4:5]
	v_sub_u32_e32 v1, 29, v7
	v_cmp_eq_u32_e64 s[4:5], 0, v6
	v_and_b32_e32 v0, 7, v0
	s_nop 0
	v_cndmask_b32_e64 v1, v6, v1, s[4:5]
	v_cndmask_b32_e64 v0, v3, v0, s[4:5]
	v_lshlrev_b32_e32 v3, 8, v4
	v_lshl_add_u32 v1, v1, 10, v38
	v_and_or_b32 v1, v3, s27, v1
	v_lshl_or_b32 v0, v0, 7, v1
	v_cvt_f32_f16_e32 v39, v0
.LBB256_117:                            ;   in Loop: Header=BB256_9 Depth=1
	s_or_b64 exec, exec, s[22:23]
	flat_load_ushort v1, v[28:29] offset:1544
	s_mov_b64 s[4:5], 0
                                        ; implicit-def: $sgpr24
	s_waitcnt vmcnt(0) lgkmcnt(0)
	v_cmp_gt_i16_sdwa s[20:21], v1, s17 src0_sel:BYTE_0 src1_sel:DWORD
	s_and_saveexec_b64 s[22:23], s[20:21]
	s_xor_b64 s[20:21], exec, s[22:23]
	s_cbranch_execnz .LBB256_375
; %bb.118:                              ;   in Loop: Header=BB256_9 Depth=1
	s_or_saveexec_b64 s[20:21], s[20:21]
	v_mov_b32_e32 v0, s24
	s_xor_b64 exec, exec, s[20:21]
	s_cbranch_execnz .LBB256_378
.LBB256_119:                            ;   in Loop: Header=BB256_9 Depth=1
	s_or_b64 exec, exec, s[20:21]
	v_and_b32_e32 v4, 0xffff, v1
	s_and_saveexec_b64 s[20:21], s[4:5]
	s_cbranch_execz .LBB256_121
.LBB256_120:                            ;   in Loop: Header=BB256_9 Depth=1
	v_and_b32_e32 v6, 7, v4
	v_ffbh_u32_e32 v0, v6
	v_min_u32_e32 v8, 32, v0
	v_subrev_u32_e32 v0, 28, v8
	v_bfe_u32 v7, v4, 3, 4
	v_lshlrev_b64 v[0:1], v0, v[4:5]
	v_sub_u32_e32 v1, 29, v8
	v_cmp_eq_u32_e64 s[4:5], 0, v7
	v_and_b32_e32 v0, 7, v0
	s_nop 0
	v_cndmask_b32_e64 v1, v7, v1, s[4:5]
	v_cndmask_b32_e64 v0, v6, v0, s[4:5]
	v_lshlrev_b32_e32 v6, 8, v4
	v_lshl_add_u32 v1, v1, 10, v38
	v_and_or_b32 v1, v6, s27, v1
	v_lshl_or_b32 v0, v0, 7, v1
	v_cvt_f32_f16_e32 v0, v0
.LBB256_121:                            ;   in Loop: Header=BB256_9 Depth=1
	s_or_b64 exec, exec, s[20:21]
	v_lshrrev_b16_e32 v4, 8, v4
	v_cmp_lt_i16_e64 s[4:5], s17, v4
	s_mov_b64 s[20:21], 0
                                        ; implicit-def: $sgpr28
	s_and_saveexec_b64 s[22:23], s[4:5]
	s_xor_b64 s[22:23], exec, s[22:23]
	s_cbranch_execnz .LBB256_379
; %bb.122:                              ;   in Loop: Header=BB256_9 Depth=1
	s_or_saveexec_b64 s[22:23], s[22:23]
	v_mov_b32_e32 v1, s28
	s_xor_b64 exec, exec, s[22:23]
	s_cbranch_execnz .LBB256_382
.LBB256_123:                            ;   in Loop: Header=BB256_9 Depth=1
	s_or_b64 exec, exec, s[22:23]
	s_and_saveexec_b64 s[22:23], s[20:21]
	s_cbranch_execz .LBB256_125
.LBB256_124:                            ;   in Loop: Header=BB256_9 Depth=1
	v_and_b32_e32 v1, 7, v4
	v_ffbh_u32_e32 v6, v1
	v_min_u32_e32 v9, 32, v6
	v_subrev_u32_e32 v6, 28, v9
	v_bfe_u32 v8, v4, 3, 4
	v_lshlrev_b64 v[6:7], v6, v[4:5]
	v_sub_u32_e32 v7, 29, v9
	v_cmp_eq_u32_e64 s[4:5], 0, v8
	v_and_b32_e32 v6, 7, v6
	v_lshlrev_b32_e32 v4, 8, v4
	v_cndmask_b32_e64 v7, v8, v7, s[4:5]
	v_cndmask_b32_e64 v1, v1, v6, s[4:5]
	v_lshl_add_u32 v6, v7, 10, v38
	v_and_or_b32 v4, v4, s27, v6
	v_lshl_or_b32 v1, v1, 7, v4
	v_cvt_f32_f16_e32 v1, v1
.LBB256_125:                            ;   in Loop: Header=BB256_9 Depth=1
	s_or_b64 exec, exec, s[22:23]
	flat_load_ushort v4, v[28:29] offset:1792
	s_mov_b64 s[4:5], 0
                                        ; implicit-def: $sgpr24
	s_waitcnt vmcnt(0) lgkmcnt(0)
	v_cmp_gt_i16_sdwa s[20:21], v4, s17 src0_sel:BYTE_0 src1_sel:DWORD
	s_and_saveexec_b64 s[22:23], s[20:21]
	s_xor_b64 s[20:21], exec, s[22:23]
	s_cbranch_execnz .LBB256_383
; %bb.126:                              ;   in Loop: Header=BB256_9 Depth=1
	s_or_saveexec_b64 s[20:21], s[20:21]
	v_mov_b32_e32 v14, s24
	s_xor_b64 exec, exec, s[20:21]
	s_cbranch_execnz .LBB256_386
.LBB256_127:                            ;   in Loop: Header=BB256_9 Depth=1
	s_or_b64 exec, exec, s[20:21]
	v_and_b32_e32 v4, 0xffff, v4
	s_and_saveexec_b64 s[20:21], s[4:5]
	s_cbranch_execz .LBB256_129
.LBB256_128:                            ;   in Loop: Header=BB256_9 Depth=1
	v_and_b32_e32 v8, 7, v4
	v_ffbh_u32_e32 v6, v8
	v_min_u32_e32 v10, 32, v6
	v_subrev_u32_e32 v6, 28, v10
	v_bfe_u32 v9, v4, 3, 4
	v_lshlrev_b64 v[6:7], v6, v[4:5]
	v_sub_u32_e32 v7, 29, v10
	v_cmp_eq_u32_e64 s[4:5], 0, v9
	v_and_b32_e32 v6, 7, v6
	s_nop 0
	v_cndmask_b32_e64 v7, v9, v7, s[4:5]
	v_cndmask_b32_e64 v6, v8, v6, s[4:5]
	v_lshlrev_b32_e32 v8, 8, v4
	v_lshl_add_u32 v7, v7, 10, v38
	v_and_or_b32 v7, v8, s27, v7
	v_lshl_or_b32 v6, v6, 7, v7
	v_cvt_f32_f16_e32 v14, v6
.LBB256_129:                            ;   in Loop: Header=BB256_9 Depth=1
	s_or_b64 exec, exec, s[20:21]
	v_lshrrev_b16_e32 v4, 8, v4
	v_cmp_lt_i16_e64 s[4:5], s17, v4
	s_mov_b64 s[20:21], 0
                                        ; implicit-def: $sgpr28
	s_and_saveexec_b64 s[22:23], s[4:5]
	s_xor_b64 s[22:23], exec, s[22:23]
	s_cbranch_execnz .LBB256_387
; %bb.130:                              ;   in Loop: Header=BB256_9 Depth=1
	s_or_saveexec_b64 s[22:23], s[22:23]
	v_mov_b32_e32 v15, s28
	s_xor_b64 exec, exec, s[22:23]
	s_cbranch_execnz .LBB256_390
.LBB256_131:                            ;   in Loop: Header=BB256_9 Depth=1
	s_or_b64 exec, exec, s[22:23]
	s_and_saveexec_b64 s[22:23], s[20:21]
	s_cbranch_execz .LBB256_133
.LBB256_132:                            ;   in Loop: Header=BB256_9 Depth=1
	v_and_b32_e32 v8, 7, v4
	v_ffbh_u32_e32 v6, v8
	v_min_u32_e32 v10, 32, v6
	v_subrev_u32_e32 v6, 28, v10
	v_bfe_u32 v9, v4, 3, 4
	v_lshlrev_b64 v[6:7], v6, v[4:5]
	v_sub_u32_e32 v7, 29, v10
	v_cmp_eq_u32_e64 s[4:5], 0, v9
	v_and_b32_e32 v6, 7, v6
	v_lshlrev_b32_e32 v4, 8, v4
	v_cndmask_b32_e64 v7, v9, v7, s[4:5]
	v_lshl_add_u32 v7, v7, 10, v38
	v_cndmask_b32_e64 v6, v8, v6, s[4:5]
	v_and_or_b32 v4, v4, s27, v7
	v_lshl_or_b32 v4, v6, 7, v4
	v_cvt_f32_f16_e32 v15, v4
.LBB256_133:                            ;   in Loop: Header=BB256_9 Depth=1
	s_or_b64 exec, exec, s[22:23]
	flat_load_ushort v4, v[28:29] offset:1800
	s_mov_b64 s[4:5], 0
                                        ; implicit-def: $sgpr24
	s_waitcnt vmcnt(0) lgkmcnt(0)
	v_cmp_gt_i16_sdwa s[20:21], v4, s17 src0_sel:BYTE_0 src1_sel:DWORD
	s_and_saveexec_b64 s[22:23], s[20:21]
	s_xor_b64 s[20:21], exec, s[22:23]
	s_cbranch_execnz .LBB256_391
; %bb.134:                              ;   in Loop: Header=BB256_9 Depth=1
	s_or_saveexec_b64 s[20:21], s[20:21]
	v_mov_b32_e32 v6, s24
	s_xor_b64 exec, exec, s[20:21]
	s_cbranch_execnz .LBB256_394
.LBB256_135:                            ;   in Loop: Header=BB256_9 Depth=1
	s_or_b64 exec, exec, s[20:21]
	v_and_b32_e32 v4, 0xffff, v4
	s_and_saveexec_b64 s[20:21], s[4:5]
	s_cbranch_execz .LBB256_137
.LBB256_136:                            ;   in Loop: Header=BB256_9 Depth=1
	v_and_b32_e32 v8, 7, v4
	v_ffbh_u32_e32 v6, v8
	v_min_u32_e32 v10, 32, v6
	v_subrev_u32_e32 v6, 28, v10
	v_bfe_u32 v9, v4, 3, 4
	v_lshlrev_b64 v[6:7], v6, v[4:5]
	v_sub_u32_e32 v7, 29, v10
	v_cmp_eq_u32_e64 s[4:5], 0, v9
	v_and_b32_e32 v6, 7, v6
	s_nop 0
	v_cndmask_b32_e64 v7, v9, v7, s[4:5]
	v_cndmask_b32_e64 v6, v8, v6, s[4:5]
	v_lshlrev_b32_e32 v8, 8, v4
	v_lshl_add_u32 v7, v7, 10, v38
	v_and_or_b32 v7, v8, s27, v7
	v_lshl_or_b32 v6, v6, 7, v7
	v_cvt_f32_f16_e32 v6, v6
.LBB256_137:                            ;   in Loop: Header=BB256_9 Depth=1
	s_or_b64 exec, exec, s[20:21]
	v_lshrrev_b16_e32 v4, 8, v4
	v_cmp_lt_i16_e64 s[4:5], s17, v4
	s_mov_b64 s[20:21], 0
                                        ; implicit-def: $sgpr28
	s_and_saveexec_b64 s[22:23], s[4:5]
	s_xor_b64 s[22:23], exec, s[22:23]
	s_cbranch_execnz .LBB256_395
; %bb.138:                              ;   in Loop: Header=BB256_9 Depth=1
	s_or_saveexec_b64 s[22:23], s[22:23]
	v_mov_b32_e32 v7, s28
	s_xor_b64 exec, exec, s[22:23]
	s_cbranch_execnz .LBB256_398
.LBB256_139:                            ;   in Loop: Header=BB256_9 Depth=1
	s_or_b64 exec, exec, s[22:23]
	s_and_saveexec_b64 s[22:23], s[20:21]
	s_cbranch_execz .LBB256_141
.LBB256_140:                            ;   in Loop: Header=BB256_9 Depth=1
	v_and_b32_e32 v7, 7, v4
	v_ffbh_u32_e32 v8, v7
	v_min_u32_e32 v11, 32, v8
	v_subrev_u32_e32 v8, 28, v11
	v_bfe_u32 v10, v4, 3, 4
	v_lshlrev_b64 v[8:9], v8, v[4:5]
	v_sub_u32_e32 v9, 29, v11
	v_cmp_eq_u32_e64 s[4:5], 0, v10
	v_and_b32_e32 v8, 7, v8
	v_lshlrev_b32_e32 v4, 8, v4
	v_cndmask_b32_e64 v9, v10, v9, s[4:5]
	v_cndmask_b32_e64 v7, v7, v8, s[4:5]
	v_lshl_add_u32 v8, v9, 10, v38
	v_and_or_b32 v4, v4, s27, v8
	v_lshl_or_b32 v4, v7, 7, v4
	v_cvt_f32_f16_e32 v7, v4
.LBB256_141:                            ;   in Loop: Header=BB256_9 Depth=1
	s_or_b64 exec, exec, s[22:23]
	flat_load_ushort v4, v[28:29] offset:2048
	s_mov_b64 s[4:5], 0
                                        ; implicit-def: $sgpr24
	s_waitcnt vmcnt(0) lgkmcnt(0)
	v_cmp_gt_i16_sdwa s[20:21], v4, s17 src0_sel:BYTE_0 src1_sel:DWORD
	s_and_saveexec_b64 s[22:23], s[20:21]
	s_xor_b64 s[20:21], exec, s[22:23]
	s_cbranch_execnz .LBB256_399
; %bb.142:                              ;   in Loop: Header=BB256_9 Depth=1
	s_or_saveexec_b64 s[20:21], s[20:21]
	v_mov_b32_e32 v3, s24
	s_xor_b64 exec, exec, s[20:21]
	s_cbranch_execnz .LBB256_402
.LBB256_143:                            ;   in Loop: Header=BB256_9 Depth=1
	s_or_b64 exec, exec, s[20:21]
	v_and_b32_e32 v4, 0xffff, v4
	s_and_saveexec_b64 s[20:21], s[4:5]
	s_cbranch_execz .LBB256_145
.LBB256_144:                            ;   in Loop: Header=BB256_9 Depth=1
	v_and_b32_e32 v10, 7, v4
	v_ffbh_u32_e32 v8, v10
	v_min_u32_e32 v13, 32, v8
	v_subrev_u32_e32 v8, 28, v13
	v_bfe_u32 v11, v4, 3, 4
	v_lshlrev_b64 v[8:9], v8, v[4:5]
	v_sub_u32_e32 v9, 29, v13
	v_cmp_eq_u32_e64 s[4:5], 0, v11
	v_and_b32_e32 v8, 7, v8
	s_nop 0
	v_cndmask_b32_e64 v9, v11, v9, s[4:5]
	v_cndmask_b32_e64 v8, v10, v8, s[4:5]
	v_lshlrev_b32_e32 v10, 8, v4
	v_lshl_add_u32 v9, v9, 10, v38
	v_and_or_b32 v9, v10, s27, v9
	v_lshl_or_b32 v8, v8, 7, v9
	v_cvt_f32_f16_e32 v3, v8
.LBB256_145:                            ;   in Loop: Header=BB256_9 Depth=1
	s_or_b64 exec, exec, s[20:21]
	v_lshrrev_b16_e32 v4, 8, v4
	v_cmp_lt_i16_e64 s[4:5], s17, v4
	s_mov_b64 s[20:21], 0
                                        ; implicit-def: $sgpr28
	s_and_saveexec_b64 s[22:23], s[4:5]
	s_xor_b64 s[22:23], exec, s[22:23]
	s_cbranch_execnz .LBB256_403
; %bb.146:                              ;   in Loop: Header=BB256_9 Depth=1
	s_or_saveexec_b64 s[22:23], s[22:23]
	v_mov_b32_e32 v11, s28
	s_xor_b64 exec, exec, s[22:23]
	s_cbranch_execnz .LBB256_406
.LBB256_147:                            ;   in Loop: Header=BB256_9 Depth=1
	s_or_b64 exec, exec, s[22:23]
	s_and_saveexec_b64 s[22:23], s[20:21]
	s_cbranch_execz .LBB256_149
.LBB256_148:                            ;   in Loop: Header=BB256_9 Depth=1
	v_and_b32_e32 v11, 7, v4
	v_ffbh_u32_e32 v8, v11
	v_min_u32_e32 v16, 32, v8
	v_subrev_u32_e32 v8, 28, v16
	v_bfe_u32 v13, v4, 3, 4
	v_lshlrev_b64 v[8:9], v8, v[4:5]
	v_sub_u32_e32 v9, 29, v16
	v_cmp_eq_u32_e64 s[4:5], 0, v13
	v_and_b32_e32 v8, 7, v8
	v_lshlrev_b32_e32 v4, 8, v4
	v_cndmask_b32_e64 v9, v13, v9, s[4:5]
	v_lshl_add_u32 v9, v9, 10, v38
	v_cndmask_b32_e64 v8, v11, v8, s[4:5]
	v_and_or_b32 v4, v4, s27, v9
	v_lshl_or_b32 v4, v8, 7, v4
	v_cvt_f32_f16_e32 v11, v4
.LBB256_149:                            ;   in Loop: Header=BB256_9 Depth=1
	s_or_b64 exec, exec, s[22:23]
	flat_load_ushort v4, v[28:29] offset:2056
	s_mov_b64 s[4:5], 0
                                        ; implicit-def: $sgpr24
	s_waitcnt vmcnt(0) lgkmcnt(0)
	v_cmp_gt_i16_sdwa s[20:21], v4, s17 src0_sel:BYTE_0 src1_sel:DWORD
	s_and_saveexec_b64 s[22:23], s[20:21]
	s_xor_b64 s[20:21], exec, s[22:23]
	s_cbranch_execnz .LBB256_407
; %bb.150:                              ;   in Loop: Header=BB256_9 Depth=1
	s_or_saveexec_b64 s[20:21], s[20:21]
	v_mov_b32_e32 v8, s24
	s_xor_b64 exec, exec, s[20:21]
	s_cbranch_execnz .LBB256_410
.LBB256_151:                            ;   in Loop: Header=BB256_9 Depth=1
	s_or_b64 exec, exec, s[20:21]
	v_and_b32_e32 v4, 0xffff, v4
	s_and_saveexec_b64 s[20:21], s[4:5]
	s_cbranch_execz .LBB256_153
.LBB256_152:                            ;   in Loop: Header=BB256_9 Depth=1
	v_and_b32_e32 v13, 7, v4
	v_ffbh_u32_e32 v8, v13
	v_min_u32_e32 v17, 32, v8
	v_subrev_u32_e32 v8, 28, v17
	v_bfe_u32 v16, v4, 3, 4
	v_lshlrev_b64 v[8:9], v8, v[4:5]
	v_sub_u32_e32 v9, 29, v17
	v_cmp_eq_u32_e64 s[4:5], 0, v16
	v_and_b32_e32 v8, 7, v8
	s_nop 0
	v_cndmask_b32_e64 v9, v16, v9, s[4:5]
	v_cndmask_b32_e64 v8, v13, v8, s[4:5]
	v_lshlrev_b32_e32 v13, 8, v4
	v_lshl_add_u32 v9, v9, 10, v38
	v_and_or_b32 v9, v13, s27, v9
	v_lshl_or_b32 v8, v8, 7, v9
	v_cvt_f32_f16_e32 v8, v8
.LBB256_153:                            ;   in Loop: Header=BB256_9 Depth=1
	s_or_b64 exec, exec, s[20:21]
	v_lshrrev_b16_e32 v4, 8, v4
	v_cmp_lt_i16_e64 s[4:5], s17, v4
	s_mov_b64 s[20:21], 0
                                        ; implicit-def: $sgpr28
	s_and_saveexec_b64 s[22:23], s[4:5]
	s_xor_b64 s[22:23], exec, s[22:23]
	s_cbranch_execnz .LBB256_411
; %bb.154:                              ;   in Loop: Header=BB256_9 Depth=1
	s_or_saveexec_b64 s[22:23], s[22:23]
	v_mov_b32_e32 v35, s28
	s_xor_b64 exec, exec, s[22:23]
	s_cbranch_execnz .LBB256_414
.LBB256_155:                            ;   in Loop: Header=BB256_9 Depth=1
	s_or_b64 exec, exec, s[22:23]
	s_and_saveexec_b64 s[22:23], s[20:21]
	s_cbranch_execz .LBB256_157
.LBB256_156:                            ;   in Loop: Header=BB256_9 Depth=1
	v_and_b32_e32 v9, 7, v4
	v_ffbh_u32_e32 v16, v9
	v_min_u32_e32 v18, 32, v16
	v_subrev_u32_e32 v16, 28, v18
	v_bfe_u32 v13, v4, 3, 4
	v_lshlrev_b64 v[16:17], v16, v[4:5]
	v_sub_u32_e32 v17, 29, v18
	v_cmp_eq_u32_e64 s[4:5], 0, v13
	v_and_b32_e32 v16, 7, v16
	v_lshlrev_b32_e32 v4, 8, v4
	v_cndmask_b32_e64 v13, v13, v17, s[4:5]
	v_lshl_add_u32 v13, v13, 10, v38
	v_cndmask_b32_e64 v9, v9, v16, s[4:5]
	v_and_or_b32 v4, v4, s27, v13
	v_lshl_or_b32 v4, v9, 7, v4
	v_cvt_f32_f16_e32 v35, v4
.LBB256_157:                            ;   in Loop: Header=BB256_9 Depth=1
	s_or_b64 exec, exec, s[22:23]
	flat_load_ushort v4, v[28:29] offset:2304
	s_mov_b64 s[4:5], 0
                                        ; implicit-def: $sgpr24
	s_waitcnt vmcnt(0) lgkmcnt(0)
	v_cmp_gt_i16_sdwa s[20:21], v4, s17 src0_sel:BYTE_0 src1_sel:DWORD
	s_and_saveexec_b64 s[22:23], s[20:21]
	s_xor_b64 s[20:21], exec, s[22:23]
	s_cbranch_execnz .LBB256_415
; %bb.158:                              ;   in Loop: Header=BB256_9 Depth=1
	s_or_saveexec_b64 s[20:21], s[20:21]
	v_mov_b32_e32 v10, s24
	s_xor_b64 exec, exec, s[20:21]
	s_cbranch_execnz .LBB256_418
.LBB256_159:                            ;   in Loop: Header=BB256_9 Depth=1
	s_or_b64 exec, exec, s[20:21]
	v_and_b32_e32 v4, 0xffff, v4
	s_and_saveexec_b64 s[20:21], s[4:5]
	s_cbranch_execz .LBB256_161
.LBB256_160:                            ;   in Loop: Header=BB256_9 Depth=1
	v_and_b32_e32 v9, 7, v4
	v_ffbh_u32_e32 v16, v9
	v_min_u32_e32 v18, 32, v16
	v_subrev_u32_e32 v16, 28, v18
	v_bfe_u32 v13, v4, 3, 4
	v_lshlrev_b64 v[16:17], v16, v[4:5]
	v_sub_u32_e32 v17, 29, v18
	v_cmp_eq_u32_e64 s[4:5], 0, v13
	v_and_b32_e32 v16, 7, v16
	s_nop 0
	v_cndmask_b32_e64 v13, v13, v17, s[4:5]
	v_cndmask_b32_e64 v9, v9, v16, s[4:5]
	v_lshlrev_b32_e32 v16, 8, v4
	v_lshl_add_u32 v13, v13, 10, v38
	v_and_or_b32 v13, v16, s27, v13
	v_lshl_or_b32 v9, v9, 7, v13
	v_cvt_f32_f16_e32 v10, v9
.LBB256_161:                            ;   in Loop: Header=BB256_9 Depth=1
	s_or_b64 exec, exec, s[20:21]
	v_lshrrev_b16_e32 v4, 8, v4
	v_cmp_lt_i16_e64 s[4:5], s17, v4
	s_mov_b64 s[20:21], 0
                                        ; implicit-def: $sgpr28
	s_and_saveexec_b64 s[22:23], s[4:5]
	s_xor_b64 s[22:23], exec, s[22:23]
	s_cbranch_execnz .LBB256_419
; %bb.162:                              ;   in Loop: Header=BB256_9 Depth=1
	s_or_saveexec_b64 s[22:23], s[22:23]
	v_mov_b32_e32 v32, s28
	s_xor_b64 exec, exec, s[22:23]
	s_cbranch_execnz .LBB256_422
.LBB256_163:                            ;   in Loop: Header=BB256_9 Depth=1
	s_or_b64 exec, exec, s[22:23]
	s_and_saveexec_b64 s[22:23], s[20:21]
	s_cbranch_execz .LBB256_165
.LBB256_164:                            ;   in Loop: Header=BB256_9 Depth=1
	v_and_b32_e32 v9, 7, v4
	v_ffbh_u32_e32 v16, v9
	v_min_u32_e32 v20, 32, v16
	v_subrev_u32_e32 v16, 28, v20
	v_bfe_u32 v18, v4, 3, 4
	v_lshlrev_b64 v[16:17], v16, v[4:5]
	v_sub_u32_e32 v17, 29, v20
	v_cmp_eq_u32_e64 s[4:5], 0, v18
	v_and_b32_e32 v16, 7, v16
	v_lshlrev_b32_e32 v4, 8, v4
	v_cndmask_b32_e64 v17, v18, v17, s[4:5]
	v_cndmask_b32_e64 v9, v9, v16, s[4:5]
	v_lshl_add_u32 v16, v17, 10, v38
	v_and_or_b32 v4, v4, s27, v16
	v_lshl_or_b32 v4, v9, 7, v4
	v_cvt_f32_f16_e32 v32, v4
.LBB256_165:                            ;   in Loop: Header=BB256_9 Depth=1
	s_or_b64 exec, exec, s[22:23]
	flat_load_ushort v4, v[28:29] offset:2312
	s_mov_b64 s[4:5], 0
                                        ; implicit-def: $sgpr24
	s_waitcnt vmcnt(0) lgkmcnt(0)
	v_cmp_gt_i16_sdwa s[20:21], v4, s17 src0_sel:BYTE_0 src1_sel:DWORD
	s_and_saveexec_b64 s[22:23], s[20:21]
	s_xor_b64 s[20:21], exec, s[22:23]
	s_cbranch_execnz .LBB256_423
; %bb.166:                              ;   in Loop: Header=BB256_9 Depth=1
	s_or_saveexec_b64 s[20:21], s[20:21]
	v_mov_b32_e32 v9, s24
	s_xor_b64 exec, exec, s[20:21]
	s_cbranch_execnz .LBB256_426
.LBB256_167:                            ;   in Loop: Header=BB256_9 Depth=1
	s_or_b64 exec, exec, s[20:21]
	v_and_b32_e32 v4, 0xffff, v4
	s_and_saveexec_b64 s[20:21], s[4:5]
	s_cbranch_execz .LBB256_169
.LBB256_168:                            ;   in Loop: Header=BB256_9 Depth=1
	v_and_b32_e32 v9, 7, v4
	v_ffbh_u32_e32 v16, v9
	v_min_u32_e32 v20, 32, v16
	v_subrev_u32_e32 v16, 28, v20
	v_bfe_u32 v18, v4, 3, 4
	v_lshlrev_b64 v[16:17], v16, v[4:5]
	v_sub_u32_e32 v17, 29, v20
	v_cmp_eq_u32_e64 s[4:5], 0, v18
	v_and_b32_e32 v16, 7, v16
	s_nop 0
	v_cndmask_b32_e64 v17, v18, v17, s[4:5]
	v_cndmask_b32_e64 v9, v9, v16, s[4:5]
	v_lshlrev_b32_e32 v16, 8, v4
	v_lshl_add_u32 v17, v17, 10, v38
	v_and_or_b32 v16, v16, s27, v17
	v_lshl_or_b32 v9, v9, 7, v16
	v_cvt_f32_f16_e32 v9, v9
.LBB256_169:                            ;   in Loop: Header=BB256_9 Depth=1
	s_or_b64 exec, exec, s[20:21]
	v_lshrrev_b16_e32 v4, 8, v4
	v_cmp_lt_i16_e64 s[4:5], s17, v4
	s_mov_b64 s[20:21], 0
                                        ; implicit-def: $sgpr28
	s_and_saveexec_b64 s[22:23], s[4:5]
	s_xor_b64 s[22:23], exec, s[22:23]
	s_cbranch_execnz .LBB256_427
; %bb.170:                              ;   in Loop: Header=BB256_9 Depth=1
	s_or_saveexec_b64 s[22:23], s[22:23]
	v_mov_b32_e32 v16, s28
	s_xor_b64 exec, exec, s[22:23]
	s_cbranch_execnz .LBB256_430
.LBB256_171:                            ;   in Loop: Header=BB256_9 Depth=1
	s_or_b64 exec, exec, s[22:23]
	s_and_saveexec_b64 s[22:23], s[20:21]
	s_cbranch_execz .LBB256_173
.LBB256_172:                            ;   in Loop: Header=BB256_9 Depth=1
	v_and_b32_e32 v18, 7, v4
	v_ffbh_u32_e32 v16, v18
	v_min_u32_e32 v21, 32, v16
	v_subrev_u32_e32 v16, 28, v21
	v_bfe_u32 v20, v4, 3, 4
	v_lshlrev_b64 v[16:17], v16, v[4:5]
	v_sub_u32_e32 v17, 29, v21
	v_cmp_eq_u32_e64 s[4:5], 0, v20
	v_and_b32_e32 v16, 7, v16
	v_lshlrev_b32_e32 v4, 8, v4
	v_cndmask_b32_e64 v17, v20, v17, s[4:5]
	v_lshl_add_u32 v17, v17, 10, v38
	v_cndmask_b32_e64 v16, v18, v16, s[4:5]
	v_and_or_b32 v4, v4, s27, v17
	v_lshl_or_b32 v4, v16, 7, v4
	v_cvt_f32_f16_e32 v16, v4
.LBB256_173:                            ;   in Loop: Header=BB256_9 Depth=1
	s_or_b64 exec, exec, s[22:23]
	flat_load_ushort v4, v[28:29] offset:2560
	s_mov_b64 s[4:5], 0
                                        ; implicit-def: $sgpr24
	s_waitcnt vmcnt(0) lgkmcnt(0)
	v_cmp_gt_i16_sdwa s[20:21], v4, s17 src0_sel:BYTE_0 src1_sel:DWORD
	s_and_saveexec_b64 s[22:23], s[20:21]
	s_xor_b64 s[20:21], exec, s[22:23]
	s_cbranch_execnz .LBB256_431
; %bb.174:                              ;   in Loop: Header=BB256_9 Depth=1
	s_or_saveexec_b64 s[20:21], s[20:21]
	v_mov_b32_e32 v17, s24
	s_xor_b64 exec, exec, s[20:21]
	s_cbranch_execnz .LBB256_434
.LBB256_175:                            ;   in Loop: Header=BB256_9 Depth=1
	s_or_b64 exec, exec, s[20:21]
	v_and_b32_e32 v4, 0xffff, v4
	s_and_saveexec_b64 s[20:21], s[4:5]
	s_cbranch_execz .LBB256_177
.LBB256_176:                            ;   in Loop: Header=BB256_9 Depth=1
	v_and_b32_e32 v17, 7, v4
	v_ffbh_u32_e32 v20, v17
	v_min_u32_e32 v22, 32, v20
	v_subrev_u32_e32 v20, 28, v22
	v_bfe_u32 v18, v4, 3, 4
	v_lshlrev_b64 v[20:21], v20, v[4:5]
	v_sub_u32_e32 v21, 29, v22
	v_cmp_eq_u32_e64 s[4:5], 0, v18
	v_and_b32_e32 v20, 7, v20
	s_nop 0
	v_cndmask_b32_e64 v18, v18, v21, s[4:5]
	v_cndmask_b32_e64 v17, v17, v20, s[4:5]
	v_lshlrev_b32_e32 v20, 8, v4
	v_lshl_add_u32 v18, v18, 10, v38
	v_and_or_b32 v18, v20, s27, v18
	v_lshl_or_b32 v17, v17, 7, v18
	v_cvt_f32_f16_e32 v17, v17
.LBB256_177:                            ;   in Loop: Header=BB256_9 Depth=1
	s_or_b64 exec, exec, s[20:21]
	v_lshrrev_b16_e32 v4, 8, v4
	v_cmp_lt_i16_e64 s[4:5], s17, v4
	s_mov_b64 s[20:21], 0
                                        ; implicit-def: $sgpr28
	s_and_saveexec_b64 s[22:23], s[4:5]
	s_xor_b64 s[22:23], exec, s[22:23]
	s_cbranch_execnz .LBB256_435
; %bb.178:                              ;   in Loop: Header=BB256_9 Depth=1
	s_or_saveexec_b64 s[22:23], s[22:23]
	v_mov_b32_e32 v24, s28
	s_xor_b64 exec, exec, s[22:23]
	s_cbranch_execnz .LBB256_438
.LBB256_179:                            ;   in Loop: Header=BB256_9 Depth=1
	s_or_b64 exec, exec, s[22:23]
	s_and_saveexec_b64 s[22:23], s[20:21]
	s_cbranch_execz .LBB256_181
.LBB256_180:                            ;   in Loop: Header=BB256_9 Depth=1
	v_and_b32_e32 v18, 7, v4
	v_ffbh_u32_e32 v20, v18
	v_min_u32_e32 v23, 32, v20
	v_subrev_u32_e32 v20, 28, v23
	v_bfe_u32 v22, v4, 3, 4
	v_lshlrev_b64 v[20:21], v20, v[4:5]
	v_sub_u32_e32 v21, 29, v23
	v_cmp_eq_u32_e64 s[4:5], 0, v22
	v_and_b32_e32 v20, 7, v20
	v_lshlrev_b32_e32 v4, 8, v4
	v_cndmask_b32_e64 v21, v22, v21, s[4:5]
	v_cndmask_b32_e64 v18, v18, v20, s[4:5]
	v_lshl_add_u32 v20, v21, 10, v38
	v_and_or_b32 v4, v4, s27, v20
	v_lshl_or_b32 v4, v18, 7, v4
	v_cvt_f32_f16_e32 v24, v4
.LBB256_181:                            ;   in Loop: Header=BB256_9 Depth=1
	s_or_b64 exec, exec, s[22:23]
	flat_load_ushort v4, v[28:29] offset:2568
	s_mov_b64 s[4:5], 0
                                        ; implicit-def: $sgpr24
	s_waitcnt vmcnt(0) lgkmcnt(0)
	v_cmp_gt_i16_sdwa s[20:21], v4, s17 src0_sel:BYTE_0 src1_sel:DWORD
	s_and_saveexec_b64 s[22:23], s[20:21]
	s_xor_b64 s[20:21], exec, s[22:23]
	s_cbranch_execnz .LBB256_439
; %bb.182:                              ;   in Loop: Header=BB256_9 Depth=1
	s_or_saveexec_b64 s[20:21], s[20:21]
	v_mov_b32_e32 v25, s24
	s_xor_b64 exec, exec, s[20:21]
	s_cbranch_execnz .LBB256_442
.LBB256_183:                            ;   in Loop: Header=BB256_9 Depth=1
	s_or_b64 exec, exec, s[20:21]
	v_and_b32_e32 v4, 0xffff, v4
	s_and_saveexec_b64 s[20:21], s[4:5]
	s_cbranch_execz .LBB256_185
.LBB256_184:                            ;   in Loop: Header=BB256_9 Depth=1
	v_and_b32_e32 v18, 7, v4
	v_ffbh_u32_e32 v20, v18
	v_min_u32_e32 v23, 32, v20
	v_subrev_u32_e32 v20, 28, v23
	v_bfe_u32 v22, v4, 3, 4
	v_lshlrev_b64 v[20:21], v20, v[4:5]
	v_sub_u32_e32 v21, 29, v23
	v_cmp_eq_u32_e64 s[4:5], 0, v22
	v_and_b32_e32 v20, 7, v20
	s_nop 0
	v_cndmask_b32_e64 v21, v22, v21, s[4:5]
	v_cndmask_b32_e64 v18, v18, v20, s[4:5]
	v_lshlrev_b32_e32 v20, 8, v4
	v_lshl_add_u32 v21, v21, 10, v38
	v_and_or_b32 v20, v20, s27, v21
	v_lshl_or_b32 v18, v18, 7, v20
	v_cvt_f32_f16_e32 v25, v18
.LBB256_185:                            ;   in Loop: Header=BB256_9 Depth=1
	s_or_b64 exec, exec, s[20:21]
	v_lshrrev_b16_e32 v4, 8, v4
	v_cmp_lt_i16_e64 s[4:5], s17, v4
	s_mov_b64 s[20:21], 0
                                        ; implicit-def: $sgpr28
	s_and_saveexec_b64 s[22:23], s[4:5]
	s_xor_b64 s[22:23], exec, s[22:23]
	s_cbranch_execnz .LBB256_443
; %bb.186:                              ;   in Loop: Header=BB256_9 Depth=1
	s_or_saveexec_b64 s[22:23], s[22:23]
	v_mov_b32_e32 v33, s28
	s_xor_b64 exec, exec, s[22:23]
	s_cbranch_execnz .LBB256_446
.LBB256_187:                            ;   in Loop: Header=BB256_9 Depth=1
	s_or_b64 exec, exec, s[22:23]
	s_and_saveexec_b64 s[22:23], s[20:21]
	s_cbranch_execz .LBB256_189
.LBB256_188:                            ;   in Loop: Header=BB256_9 Depth=1
	v_and_b32_e32 v18, 7, v4
	v_ffbh_u32_e32 v20, v18
	v_min_u32_e32 v23, 32, v20
	v_subrev_u32_e32 v20, 28, v23
	v_bfe_u32 v22, v4, 3, 4
	v_lshlrev_b64 v[20:21], v20, v[4:5]
	v_sub_u32_e32 v21, 29, v23
	v_cmp_eq_u32_e64 s[4:5], 0, v22
	v_and_b32_e32 v20, 7, v20
	v_lshlrev_b32_e32 v4, 8, v4
	v_cndmask_b32_e64 v21, v22, v21, s[4:5]
	v_cndmask_b32_e64 v18, v18, v20, s[4:5]
	v_lshl_add_u32 v20, v21, 10, v38
	v_and_or_b32 v4, v4, s27, v20
	v_lshl_or_b32 v4, v18, 7, v4
	v_cvt_f32_f16_e32 v33, v4
.LBB256_189:                            ;   in Loop: Header=BB256_9 Depth=1
	s_or_b64 exec, exec, s[22:23]
	flat_load_ushort v4, v[28:29] offset:2816
	s_mov_b64 s[4:5], 0
                                        ; implicit-def: $sgpr24
	s_waitcnt vmcnt(0) lgkmcnt(0)
	v_cmp_gt_i16_sdwa s[20:21], v4, s17 src0_sel:BYTE_0 src1_sel:DWORD
	s_and_saveexec_b64 s[22:23], s[20:21]
	s_xor_b64 s[20:21], exec, s[22:23]
	s_cbranch_execnz .LBB256_447
; %bb.190:                              ;   in Loop: Header=BB256_9 Depth=1
	s_or_saveexec_b64 s[20:21], s[20:21]
	v_mov_b32_e32 v18, s24
	s_xor_b64 exec, exec, s[20:21]
	s_cbranch_execnz .LBB256_450
.LBB256_191:                            ;   in Loop: Header=BB256_9 Depth=1
	s_or_b64 exec, exec, s[20:21]
	v_and_b32_e32 v4, 0xffff, v4
	s_and_saveexec_b64 s[20:21], s[4:5]
	s_cbranch_execz .LBB256_193
.LBB256_192:                            ;   in Loop: Header=BB256_9 Depth=1
	v_and_b32_e32 v18, 7, v4
	v_ffbh_u32_e32 v20, v18
	v_min_u32_e32 v23, 32, v20
	v_subrev_u32_e32 v20, 28, v23
	v_bfe_u32 v22, v4, 3, 4
	v_lshlrev_b64 v[20:21], v20, v[4:5]
	v_sub_u32_e32 v21, 29, v23
	v_cmp_eq_u32_e64 s[4:5], 0, v22
	v_and_b32_e32 v20, 7, v20
	s_nop 0
	v_cndmask_b32_e64 v21, v22, v21, s[4:5]
	v_cndmask_b32_e64 v18, v18, v20, s[4:5]
	v_lshlrev_b32_e32 v20, 8, v4
	v_lshl_add_u32 v21, v21, 10, v38
	v_and_or_b32 v20, v20, s27, v21
	v_lshl_or_b32 v18, v18, 7, v20
	v_cvt_f32_f16_e32 v18, v18
.LBB256_193:                            ;   in Loop: Header=BB256_9 Depth=1
	s_or_b64 exec, exec, s[20:21]
	v_lshrrev_b16_e32 v4, 8, v4
	v_cmp_lt_i16_e64 s[4:5], s17, v4
	s_mov_b64 s[20:21], 0
                                        ; implicit-def: $sgpr28
	s_and_saveexec_b64 s[22:23], s[4:5]
	s_xor_b64 s[22:23], exec, s[22:23]
	s_cbranch_execnz .LBB256_451
; %bb.194:                              ;   in Loop: Header=BB256_9 Depth=1
	s_or_saveexec_b64 s[22:23], s[22:23]
	v_mov_b32_e32 v21, s28
	s_xor_b64 exec, exec, s[22:23]
	s_cbranch_execnz .LBB256_454
.LBB256_195:                            ;   in Loop: Header=BB256_9 Depth=1
	s_or_b64 exec, exec, s[22:23]
	s_and_saveexec_b64 s[22:23], s[20:21]
	s_cbranch_execz .LBB256_197
.LBB256_196:                            ;   in Loop: Header=BB256_9 Depth=1
	v_and_b32_e32 v22, 7, v4
	v_ffbh_u32_e32 v20, v22
	v_min_u32_e32 v34, 32, v20
	v_subrev_u32_e32 v20, 28, v34
	v_bfe_u32 v23, v4, 3, 4
	v_lshlrev_b64 v[20:21], v20, v[4:5]
	v_sub_u32_e32 v21, 29, v34
	v_cmp_eq_u32_e64 s[4:5], 0, v23
	v_and_b32_e32 v20, 7, v20
	v_lshlrev_b32_e32 v4, 8, v4
	v_cndmask_b32_e64 v21, v23, v21, s[4:5]
	v_lshl_add_u32 v21, v21, 10, v38
	v_cndmask_b32_e64 v20, v22, v20, s[4:5]
	v_and_or_b32 v4, v4, s27, v21
	v_lshl_or_b32 v4, v20, 7, v4
	v_cvt_f32_f16_e32 v21, v4
.LBB256_197:                            ;   in Loop: Header=BB256_9 Depth=1
	s_or_b64 exec, exec, s[22:23]
	flat_load_ushort v4, v[28:29] offset:2824
	s_mov_b64 s[4:5], 0
                                        ; implicit-def: $sgpr24
	s_waitcnt vmcnt(0) lgkmcnt(0)
	v_cmp_gt_i16_sdwa s[20:21], v4, s17 src0_sel:BYTE_0 src1_sel:DWORD
	s_and_saveexec_b64 s[22:23], s[20:21]
	s_xor_b64 s[20:21], exec, s[22:23]
	s_cbranch_execnz .LBB256_455
; %bb.198:                              ;   in Loop: Header=BB256_9 Depth=1
	s_or_saveexec_b64 s[20:21], s[20:21]
	v_mov_b32_e32 v20, s24
	s_xor_b64 exec, exec, s[20:21]
	s_cbranch_execnz .LBB256_458
.LBB256_199:                            ;   in Loop: Header=BB256_9 Depth=1
	s_or_b64 exec, exec, s[20:21]
	v_and_b32_e32 v4, 0xffff, v4
	s_and_saveexec_b64 s[20:21], s[4:5]
	s_cbranch_execz .LBB256_201
.LBB256_200:                            ;   in Loop: Header=BB256_9 Depth=1
	v_and_b32_e32 v20, 7, v4
	v_ffbh_u32_e32 v22, v20
	v_min_u32_e32 v49, 32, v22
	v_subrev_u32_e32 v22, 28, v49
	v_bfe_u32 v34, v4, 3, 4
	v_lshlrev_b64 v[22:23], v22, v[4:5]
	v_sub_u32_e32 v23, 29, v49
	v_cmp_eq_u32_e64 s[4:5], 0, v34
	v_and_b32_e32 v22, 7, v22
	s_nop 0
	v_cndmask_b32_e64 v23, v34, v23, s[4:5]
	v_cndmask_b32_e64 v20, v20, v22, s[4:5]
	v_lshlrev_b32_e32 v22, 8, v4
	v_lshl_add_u32 v23, v23, 10, v38
	v_and_or_b32 v22, v22, s27, v23
	v_lshl_or_b32 v20, v20, 7, v22
	v_cvt_f32_f16_e32 v20, v20
.LBB256_201:                            ;   in Loop: Header=BB256_9 Depth=1
	s_or_b64 exec, exec, s[20:21]
	v_lshrrev_b16_e32 v4, 8, v4
	v_cmp_lt_i16_e64 s[4:5], s17, v4
	s_mov_b64 s[20:21], 0
                                        ; implicit-def: $sgpr28
	s_and_saveexec_b64 s[22:23], s[4:5]
	s_xor_b64 s[22:23], exec, s[22:23]
	s_cbranch_execnz .LBB256_459
; %bb.202:                              ;   in Loop: Header=BB256_9 Depth=1
	s_or_saveexec_b64 s[22:23], s[22:23]
	v_mov_b32_e32 v49, s28
	s_xor_b64 exec, exec, s[22:23]
	s_cbranch_execnz .LBB256_462
.LBB256_203:                            ;   in Loop: Header=BB256_9 Depth=1
	s_or_b64 exec, exec, s[22:23]
	s_and_saveexec_b64 s[22:23], s[20:21]
	s_cbranch_execz .LBB256_205
.LBB256_204:                            ;   in Loop: Header=BB256_9 Depth=1
	v_and_b32_e32 v34, 7, v4
	v_ffbh_u32_e32 v22, v34
	v_min_u32_e32 v50, 32, v22
	v_subrev_u32_e32 v22, 28, v50
	v_bfe_u32 v49, v4, 3, 4
	v_lshlrev_b64 v[22:23], v22, v[4:5]
	v_sub_u32_e32 v23, 29, v50
	v_cmp_eq_u32_e64 s[4:5], 0, v49
	v_and_b32_e32 v22, 7, v22
	v_lshlrev_b32_e32 v4, 8, v4
	v_cndmask_b32_e64 v23, v49, v23, s[4:5]
	v_lshl_add_u32 v23, v23, 10, v38
	v_cndmask_b32_e64 v22, v34, v22, s[4:5]
	v_and_or_b32 v4, v4, s27, v23
	v_lshl_or_b32 v4, v22, 7, v4
	v_cvt_f32_f16_e32 v49, v4
.LBB256_205:                            ;   in Loop: Header=BB256_9 Depth=1
	s_or_b64 exec, exec, s[22:23]
	flat_load_ushort v4, v[28:29] offset:3072
	s_mov_b64 s[4:5], 0
                                        ; implicit-def: $sgpr24
	s_waitcnt vmcnt(0) lgkmcnt(0)
	v_cmp_gt_i16_sdwa s[20:21], v4, s17 src0_sel:BYTE_0 src1_sel:DWORD
	s_and_saveexec_b64 s[22:23], s[20:21]
	s_xor_b64 s[20:21], exec, s[22:23]
	s_cbranch_execnz .LBB256_463
; %bb.206:                              ;   in Loop: Header=BB256_9 Depth=1
	s_or_saveexec_b64 s[20:21], s[20:21]
	v_mov_b32_e32 v50, s24
	s_xor_b64 exec, exec, s[20:21]
	s_cbranch_execnz .LBB256_466
.LBB256_207:                            ;   in Loop: Header=BB256_9 Depth=1
	s_or_b64 exec, exec, s[20:21]
	v_and_b32_e32 v4, 0xffff, v4
	s_and_saveexec_b64 s[20:21], s[4:5]
	s_cbranch_execz .LBB256_209
.LBB256_208:                            ;   in Loop: Header=BB256_9 Depth=1
	v_and_b32_e32 v34, 7, v4
	v_ffbh_u32_e32 v22, v34
	v_min_u32_e32 v51, 32, v22
	v_subrev_u32_e32 v22, 28, v51
	v_bfe_u32 v50, v4, 3, 4
	v_lshlrev_b64 v[22:23], v22, v[4:5]
	v_sub_u32_e32 v23, 29, v51
	v_cmp_eq_u32_e64 s[4:5], 0, v50
	v_and_b32_e32 v22, 7, v22
	s_nop 0
	v_cndmask_b32_e64 v23, v50, v23, s[4:5]
	v_cndmask_b32_e64 v22, v34, v22, s[4:5]
	v_lshlrev_b32_e32 v34, 8, v4
	v_lshl_add_u32 v23, v23, 10, v38
	v_and_or_b32 v23, v34, s27, v23
	v_lshl_or_b32 v22, v22, 7, v23
	v_cvt_f32_f16_e32 v50, v22
.LBB256_209:                            ;   in Loop: Header=BB256_9 Depth=1
	s_or_b64 exec, exec, s[20:21]
	v_lshrrev_b16_e32 v4, 8, v4
	v_cmp_lt_i16_e64 s[4:5], s17, v4
	s_mov_b64 s[20:21], 0
                                        ; implicit-def: $sgpr28
	s_and_saveexec_b64 s[22:23], s[4:5]
	s_xor_b64 s[22:23], exec, s[22:23]
	s_cbranch_execnz .LBB256_467
; %bb.210:                              ;   in Loop: Header=BB256_9 Depth=1
	s_or_saveexec_b64 s[22:23], s[22:23]
	v_mov_b32_e32 v51, s28
	s_xor_b64 exec, exec, s[22:23]
	s_cbranch_execnz .LBB256_470
.LBB256_211:                            ;   in Loop: Header=BB256_9 Depth=1
	s_or_b64 exec, exec, s[22:23]
	s_and_saveexec_b64 s[22:23], s[20:21]
	s_cbranch_execz .LBB256_213
.LBB256_212:                            ;   in Loop: Header=BB256_9 Depth=1
	v_and_b32_e32 v34, 7, v4
	v_ffbh_u32_e32 v22, v34
	v_min_u32_e32 v52, 32, v22
	v_subrev_u32_e32 v22, 28, v52
	v_bfe_u32 v51, v4, 3, 4
	v_lshlrev_b64 v[22:23], v22, v[4:5]
	v_sub_u32_e32 v23, 29, v52
	v_cmp_eq_u32_e64 s[4:5], 0, v51
	v_and_b32_e32 v22, 7, v22
	v_lshlrev_b32_e32 v4, 8, v4
	v_cndmask_b32_e64 v23, v51, v23, s[4:5]
	v_lshl_add_u32 v23, v23, 10, v38
	v_cndmask_b32_e64 v22, v34, v22, s[4:5]
	v_and_or_b32 v4, v4, s27, v23
	v_lshl_or_b32 v4, v22, 7, v4
	v_cvt_f32_f16_e32 v51, v4
.LBB256_213:                            ;   in Loop: Header=BB256_9 Depth=1
	s_or_b64 exec, exec, s[22:23]
	flat_load_ushort v4, v[28:29] offset:3080
	s_mov_b64 s[4:5], 0
                                        ; implicit-def: $sgpr24
	s_waitcnt vmcnt(0) lgkmcnt(0)
	v_cmp_gt_i16_sdwa s[20:21], v4, s17 src0_sel:BYTE_0 src1_sel:DWORD
	s_and_saveexec_b64 s[22:23], s[20:21]
	s_xor_b64 s[20:21], exec, s[22:23]
	s_cbranch_execnz .LBB256_471
; %bb.214:                              ;   in Loop: Header=BB256_9 Depth=1
	s_or_saveexec_b64 s[20:21], s[20:21]
	v_mov_b32_e32 v52, s24
	s_xor_b64 exec, exec, s[20:21]
	s_cbranch_execnz .LBB256_474
.LBB256_215:                            ;   in Loop: Header=BB256_9 Depth=1
	s_or_b64 exec, exec, s[20:21]
	v_and_b32_e32 v4, 0xffff, v4
	s_and_saveexec_b64 s[20:21], s[4:5]
	s_cbranch_execz .LBB256_217
.LBB256_216:                            ;   in Loop: Header=BB256_9 Depth=1
	v_and_b32_e32 v34, 7, v4
	v_ffbh_u32_e32 v22, v34
	v_min_u32_e32 v53, 32, v22
	v_subrev_u32_e32 v22, 28, v53
	v_bfe_u32 v52, v4, 3, 4
	v_lshlrev_b64 v[22:23], v22, v[4:5]
	v_sub_u32_e32 v23, 29, v53
	v_cmp_eq_u32_e64 s[4:5], 0, v52
	v_and_b32_e32 v22, 7, v22
	s_nop 0
	v_cndmask_b32_e64 v23, v52, v23, s[4:5]
	v_cndmask_b32_e64 v22, v34, v22, s[4:5]
	v_lshlrev_b32_e32 v34, 8, v4
	v_lshl_add_u32 v23, v23, 10, v38
	v_and_or_b32 v23, v34, s27, v23
	v_lshl_or_b32 v22, v22, 7, v23
	v_cvt_f32_f16_e32 v52, v22
.LBB256_217:                            ;   in Loop: Header=BB256_9 Depth=1
	s_or_b64 exec, exec, s[20:21]
	v_lshrrev_b16_e32 v4, 8, v4
	v_cmp_lt_i16_e64 s[4:5], s17, v4
	s_mov_b64 s[20:21], 0
                                        ; implicit-def: $sgpr28
	s_and_saveexec_b64 s[22:23], s[4:5]
	s_xor_b64 s[22:23], exec, s[22:23]
	s_cbranch_execnz .LBB256_475
; %bb.218:                              ;   in Loop: Header=BB256_9 Depth=1
	s_or_saveexec_b64 s[22:23], s[22:23]
	v_mov_b32_e32 v53, s28
	s_xor_b64 exec, exec, s[22:23]
	s_cbranch_execnz .LBB256_478
.LBB256_219:                            ;   in Loop: Header=BB256_9 Depth=1
	s_or_b64 exec, exec, s[22:23]
	s_and_saveexec_b64 s[22:23], s[20:21]
	s_cbranch_execz .LBB256_221
.LBB256_220:                            ;   in Loop: Header=BB256_9 Depth=1
	v_and_b32_e32 v34, 7, v4
	v_ffbh_u32_e32 v22, v34
	v_min_u32_e32 v54, 32, v22
	v_subrev_u32_e32 v22, 28, v54
	v_bfe_u32 v53, v4, 3, 4
	v_lshlrev_b64 v[22:23], v22, v[4:5]
	v_sub_u32_e32 v23, 29, v54
	v_cmp_eq_u32_e64 s[4:5], 0, v53
	v_and_b32_e32 v22, 7, v22
	v_lshlrev_b32_e32 v4, 8, v4
	v_cndmask_b32_e64 v23, v53, v23, s[4:5]
	v_lshl_add_u32 v23, v23, 10, v38
	v_cndmask_b32_e64 v22, v34, v22, s[4:5]
	v_and_or_b32 v4, v4, s27, v23
	v_lshl_or_b32 v4, v22, 7, v4
	v_cvt_f32_f16_e32 v53, v4
.LBB256_221:                            ;   in Loop: Header=BB256_9 Depth=1
	s_or_b64 exec, exec, s[22:23]
	flat_load_ushort v4, v[28:29] offset:3328
	s_mov_b64 s[4:5], 0
                                        ; implicit-def: $sgpr24
	s_waitcnt vmcnt(0) lgkmcnt(0)
	v_cmp_gt_i16_sdwa s[20:21], v4, s17 src0_sel:BYTE_0 src1_sel:DWORD
	s_and_saveexec_b64 s[22:23], s[20:21]
	s_xor_b64 s[20:21], exec, s[22:23]
	s_cbranch_execnz .LBB256_479
; %bb.222:                              ;   in Loop: Header=BB256_9 Depth=1
	s_or_saveexec_b64 s[20:21], s[20:21]
	v_mov_b32_e32 v54, s24
	s_xor_b64 exec, exec, s[20:21]
	s_cbranch_execnz .LBB256_482
.LBB256_223:                            ;   in Loop: Header=BB256_9 Depth=1
	s_or_b64 exec, exec, s[20:21]
	v_and_b32_e32 v4, 0xffff, v4
	s_and_saveexec_b64 s[20:21], s[4:5]
	s_cbranch_execz .LBB256_225
.LBB256_224:                            ;   in Loop: Header=BB256_9 Depth=1
	v_and_b32_e32 v34, 7, v4
	v_ffbh_u32_e32 v22, v34
	v_min_u32_e32 v55, 32, v22
	v_subrev_u32_e32 v22, 28, v55
	v_bfe_u32 v54, v4, 3, 4
	v_lshlrev_b64 v[22:23], v22, v[4:5]
	v_sub_u32_e32 v23, 29, v55
	v_cmp_eq_u32_e64 s[4:5], 0, v54
	v_and_b32_e32 v22, 7, v22
	s_nop 0
	v_cndmask_b32_e64 v23, v54, v23, s[4:5]
	v_cndmask_b32_e64 v22, v34, v22, s[4:5]
	v_lshlrev_b32_e32 v34, 8, v4
	v_lshl_add_u32 v23, v23, 10, v38
	v_and_or_b32 v23, v34, s27, v23
	v_lshl_or_b32 v22, v22, 7, v23
	v_cvt_f32_f16_e32 v54, v22
.LBB256_225:                            ;   in Loop: Header=BB256_9 Depth=1
	s_or_b64 exec, exec, s[20:21]
	v_lshrrev_b16_e32 v4, 8, v4
	v_cmp_lt_i16_e64 s[4:5], s17, v4
	s_mov_b64 s[20:21], 0
                                        ; implicit-def: $sgpr28
	s_and_saveexec_b64 s[22:23], s[4:5]
	s_xor_b64 s[22:23], exec, s[22:23]
	s_cbranch_execnz .LBB256_483
; %bb.226:                              ;   in Loop: Header=BB256_9 Depth=1
	s_or_saveexec_b64 s[22:23], s[22:23]
	v_mov_b32_e32 v55, s28
	s_xor_b64 exec, exec, s[22:23]
	s_cbranch_execnz .LBB256_486
.LBB256_227:                            ;   in Loop: Header=BB256_9 Depth=1
	s_or_b64 exec, exec, s[22:23]
	s_and_saveexec_b64 s[22:23], s[20:21]
	s_cbranch_execz .LBB256_229
.LBB256_228:                            ;   in Loop: Header=BB256_9 Depth=1
	v_and_b32_e32 v34, 7, v4
	v_ffbh_u32_e32 v22, v34
	v_min_u32_e32 v40, 32, v22
	v_subrev_u32_e32 v22, 28, v40
	v_bfe_u32 v55, v4, 3, 4
	v_lshlrev_b64 v[22:23], v22, v[4:5]
	v_sub_u32_e32 v23, 29, v40
	v_cmp_eq_u32_e64 s[4:5], 0, v55
	v_and_b32_e32 v22, 7, v22
	v_lshlrev_b32_e32 v4, 8, v4
	v_cndmask_b32_e64 v23, v55, v23, s[4:5]
	v_lshl_add_u32 v23, v23, 10, v38
	v_cndmask_b32_e64 v22, v34, v22, s[4:5]
	v_and_or_b32 v4, v4, s27, v23
	v_lshl_or_b32 v4, v22, 7, v4
	v_cvt_f32_f16_e32 v55, v4
.LBB256_229:                            ;   in Loop: Header=BB256_9 Depth=1
	s_or_b64 exec, exec, s[22:23]
	flat_load_ushort v4, v[28:29] offset:3336
	s_mov_b64 s[4:5], 0
                                        ; implicit-def: $sgpr24
	s_waitcnt vmcnt(0) lgkmcnt(0)
	v_cmp_gt_i16_sdwa s[20:21], v4, s17 src0_sel:BYTE_0 src1_sel:DWORD
	s_and_saveexec_b64 s[22:23], s[20:21]
	s_xor_b64 s[20:21], exec, s[22:23]
	s_cbranch_execnz .LBB256_487
; %bb.230:                              ;   in Loop: Header=BB256_9 Depth=1
	s_or_saveexec_b64 s[20:21], s[20:21]
	v_mov_b32_e32 v40, s24
	s_xor_b64 exec, exec, s[20:21]
	s_cbranch_execnz .LBB256_490
.LBB256_231:                            ;   in Loop: Header=BB256_9 Depth=1
	s_or_b64 exec, exec, s[20:21]
	v_and_b32_e32 v4, 0xffff, v4
	s_and_saveexec_b64 s[20:21], s[4:5]
	s_cbranch_execz .LBB256_233
.LBB256_232:                            ;   in Loop: Header=BB256_9 Depth=1
	v_and_b32_e32 v34, 7, v4
	v_ffbh_u32_e32 v22, v34
	v_min_u32_e32 v41, 32, v22
	v_subrev_u32_e32 v22, 28, v41
	v_bfe_u32 v40, v4, 3, 4
	v_lshlrev_b64 v[22:23], v22, v[4:5]
	v_sub_u32_e32 v23, 29, v41
	v_cmp_eq_u32_e64 s[4:5], 0, v40
	v_and_b32_e32 v22, 7, v22
	s_nop 0
	v_cndmask_b32_e64 v23, v40, v23, s[4:5]
	v_cndmask_b32_e64 v22, v34, v22, s[4:5]
	v_lshlrev_b32_e32 v34, 8, v4
	v_lshl_add_u32 v23, v23, 10, v38
	v_and_or_b32 v23, v34, s27, v23
	v_lshl_or_b32 v22, v22, 7, v23
	v_cvt_f32_f16_e32 v40, v22
.LBB256_233:                            ;   in Loop: Header=BB256_9 Depth=1
	s_or_b64 exec, exec, s[20:21]
	v_lshrrev_b16_e32 v4, 8, v4
	v_cmp_lt_i16_e64 s[4:5], s17, v4
	s_mov_b64 s[20:21], 0
                                        ; implicit-def: $sgpr28
	s_and_saveexec_b64 s[22:23], s[4:5]
	s_xor_b64 s[22:23], exec, s[22:23]
	s_cbranch_execnz .LBB256_491
; %bb.234:                              ;   in Loop: Header=BB256_9 Depth=1
	s_or_saveexec_b64 s[22:23], s[22:23]
	v_mov_b32_e32 v41, s28
	s_xor_b64 exec, exec, s[22:23]
	s_cbranch_execnz .LBB256_494
.LBB256_235:                            ;   in Loop: Header=BB256_9 Depth=1
	s_or_b64 exec, exec, s[22:23]
	s_and_saveexec_b64 s[22:23], s[20:21]
	s_cbranch_execz .LBB256_237
.LBB256_236:                            ;   in Loop: Header=BB256_9 Depth=1
	v_and_b32_e32 v34, 7, v4
	v_ffbh_u32_e32 v22, v34
	v_min_u32_e32 v42, 32, v22
	v_subrev_u32_e32 v22, 28, v42
	v_bfe_u32 v41, v4, 3, 4
	v_lshlrev_b64 v[22:23], v22, v[4:5]
	v_sub_u32_e32 v23, 29, v42
	v_cmp_eq_u32_e64 s[4:5], 0, v41
	v_and_b32_e32 v22, 7, v22
	v_lshlrev_b32_e32 v4, 8, v4
	v_cndmask_b32_e64 v23, v41, v23, s[4:5]
	v_lshl_add_u32 v23, v23, 10, v38
	v_cndmask_b32_e64 v22, v34, v22, s[4:5]
	v_and_or_b32 v4, v4, s27, v23
	v_lshl_or_b32 v4, v22, 7, v4
	v_cvt_f32_f16_e32 v41, v4
.LBB256_237:                            ;   in Loop: Header=BB256_9 Depth=1
	s_or_b64 exec, exec, s[22:23]
	flat_load_ushort v4, v[28:29] offset:3584
	s_mov_b64 s[4:5], 0
                                        ; implicit-def: $sgpr24
	s_waitcnt vmcnt(0) lgkmcnt(0)
	v_cmp_gt_i16_sdwa s[20:21], v4, s17 src0_sel:BYTE_0 src1_sel:DWORD
	s_and_saveexec_b64 s[22:23], s[20:21]
	s_xor_b64 s[20:21], exec, s[22:23]
	s_cbranch_execnz .LBB256_495
; %bb.238:                              ;   in Loop: Header=BB256_9 Depth=1
	s_or_saveexec_b64 s[20:21], s[20:21]
	v_mov_b32_e32 v42, s24
	s_xor_b64 exec, exec, s[20:21]
	s_cbranch_execnz .LBB256_498
.LBB256_239:                            ;   in Loop: Header=BB256_9 Depth=1
	s_or_b64 exec, exec, s[20:21]
	v_and_b32_e32 v4, 0xffff, v4
	s_and_saveexec_b64 s[20:21], s[4:5]
	s_cbranch_execz .LBB256_241
.LBB256_240:                            ;   in Loop: Header=BB256_9 Depth=1
	v_and_b32_e32 v34, 7, v4
	v_ffbh_u32_e32 v22, v34
	v_min_u32_e32 v43, 32, v22
	v_subrev_u32_e32 v22, 28, v43
	v_bfe_u32 v42, v4, 3, 4
	v_lshlrev_b64 v[22:23], v22, v[4:5]
	v_sub_u32_e32 v23, 29, v43
	v_cmp_eq_u32_e64 s[4:5], 0, v42
	v_and_b32_e32 v22, 7, v22
	s_nop 0
	v_cndmask_b32_e64 v23, v42, v23, s[4:5]
	v_cndmask_b32_e64 v22, v34, v22, s[4:5]
	v_lshlrev_b32_e32 v34, 8, v4
	v_lshl_add_u32 v23, v23, 10, v38
	v_and_or_b32 v23, v34, s27, v23
	v_lshl_or_b32 v22, v22, 7, v23
	v_cvt_f32_f16_e32 v42, v22
.LBB256_241:                            ;   in Loop: Header=BB256_9 Depth=1
	s_or_b64 exec, exec, s[20:21]
	v_lshrrev_b16_e32 v4, 8, v4
	v_cmp_lt_i16_e64 s[4:5], s17, v4
	s_mov_b64 s[20:21], 0
                                        ; implicit-def: $sgpr28
	s_and_saveexec_b64 s[22:23], s[4:5]
	s_xor_b64 s[22:23], exec, s[22:23]
	s_cbranch_execnz .LBB256_499
; %bb.242:                              ;   in Loop: Header=BB256_9 Depth=1
	s_or_saveexec_b64 s[22:23], s[22:23]
	v_mov_b32_e32 v43, s28
	s_xor_b64 exec, exec, s[22:23]
	s_cbranch_execnz .LBB256_502
.LBB256_243:                            ;   in Loop: Header=BB256_9 Depth=1
	s_or_b64 exec, exec, s[22:23]
	s_and_saveexec_b64 s[22:23], s[20:21]
	s_cbranch_execz .LBB256_245
.LBB256_244:                            ;   in Loop: Header=BB256_9 Depth=1
	v_and_b32_e32 v34, 7, v4
	v_ffbh_u32_e32 v22, v34
	v_min_u32_e32 v44, 32, v22
	v_subrev_u32_e32 v22, 28, v44
	v_bfe_u32 v43, v4, 3, 4
	v_lshlrev_b64 v[22:23], v22, v[4:5]
	v_sub_u32_e32 v23, 29, v44
	v_cmp_eq_u32_e64 s[4:5], 0, v43
	v_and_b32_e32 v22, 7, v22
	v_lshlrev_b32_e32 v4, 8, v4
	v_cndmask_b32_e64 v23, v43, v23, s[4:5]
	v_lshl_add_u32 v23, v23, 10, v38
	v_cndmask_b32_e64 v22, v34, v22, s[4:5]
	v_and_or_b32 v4, v4, s27, v23
	v_lshl_or_b32 v4, v22, 7, v4
	v_cvt_f32_f16_e32 v43, v4
.LBB256_245:                            ;   in Loop: Header=BB256_9 Depth=1
	s_or_b64 exec, exec, s[22:23]
	flat_load_ushort v4, v[28:29] offset:3592
	s_mov_b64 s[4:5], 0
                                        ; implicit-def: $sgpr24
	s_waitcnt vmcnt(0) lgkmcnt(0)
	v_cmp_gt_i16_sdwa s[20:21], v4, s17 src0_sel:BYTE_0 src1_sel:DWORD
	s_and_saveexec_b64 s[22:23], s[20:21]
	s_xor_b64 s[20:21], exec, s[22:23]
	s_cbranch_execnz .LBB256_503
; %bb.246:                              ;   in Loop: Header=BB256_9 Depth=1
	s_or_saveexec_b64 s[20:21], s[20:21]
	v_mov_b32_e32 v23, s24
	s_xor_b64 exec, exec, s[20:21]
	s_cbranch_execnz .LBB256_506
.LBB256_247:                            ;   in Loop: Header=BB256_9 Depth=1
	s_or_b64 exec, exec, s[20:21]
	v_and_b32_e32 v4, 0xffff, v4
	s_and_saveexec_b64 s[20:21], s[4:5]
	s_cbranch_execz .LBB256_249
.LBB256_248:                            ;   in Loop: Header=BB256_9 Depth=1
	v_and_b32_e32 v34, 7, v4
	v_ffbh_u32_e32 v22, v34
	v_min_u32_e32 v45, 32, v22
	v_subrev_u32_e32 v22, 28, v45
	v_bfe_u32 v44, v4, 3, 4
	v_lshlrev_b64 v[22:23], v22, v[4:5]
	v_sub_u32_e32 v23, 29, v45
	v_cmp_eq_u32_e64 s[4:5], 0, v44
	v_and_b32_e32 v22, 7, v22
	s_nop 0
	v_cndmask_b32_e64 v23, v44, v23, s[4:5]
	v_cndmask_b32_e64 v22, v34, v22, s[4:5]
	v_lshlrev_b32_e32 v34, 8, v4
	v_lshl_add_u32 v23, v23, 10, v38
	v_and_or_b32 v23, v34, s27, v23
	v_lshl_or_b32 v22, v22, 7, v23
	v_cvt_f32_f16_e32 v23, v22
.LBB256_249:                            ;   in Loop: Header=BB256_9 Depth=1
	s_or_b64 exec, exec, s[20:21]
	v_lshrrev_b16_e32 v4, 8, v4
	v_cmp_lt_i16_e64 s[4:5], s17, v4
	s_mov_b64 s[20:21], 0
                                        ; implicit-def: $sgpr28
	s_and_saveexec_b64 s[22:23], s[4:5]
	s_xor_b64 s[22:23], exec, s[22:23]
	s_cbranch_execnz .LBB256_507
; %bb.250:                              ;   in Loop: Header=BB256_9 Depth=1
	s_or_saveexec_b64 s[22:23], s[22:23]
	v_mov_b32_e32 v22, s28
	s_xor_b64 exec, exec, s[22:23]
	s_cbranch_execnz .LBB256_510
.LBB256_251:                            ;   in Loop: Header=BB256_9 Depth=1
	s_or_b64 exec, exec, s[22:23]
	s_and_saveexec_b64 s[22:23], s[20:21]
	s_cbranch_execz .LBB256_253
.LBB256_252:                            ;   in Loop: Header=BB256_9 Depth=1
	v_and_b32_e32 v22, 7, v4
	v_ffbh_u32_e32 v44, v22
	v_min_u32_e32 v46, 32, v44
	v_subrev_u32_e32 v44, 28, v46
	v_bfe_u32 v34, v4, 3, 4
	v_lshlrev_b64 v[44:45], v44, v[4:5]
	v_sub_u32_e32 v45, 29, v46
	v_cmp_eq_u32_e64 s[4:5], 0, v34
	v_and_b32_e32 v44, 7, v44
	v_lshlrev_b32_e32 v4, 8, v4
	v_cndmask_b32_e64 v34, v34, v45, s[4:5]
	v_lshl_add_u32 v34, v34, 10, v38
	v_cndmask_b32_e64 v22, v22, v44, s[4:5]
	v_and_or_b32 v4, v4, s27, v34
	v_lshl_or_b32 v4, v22, 7, v4
	v_cvt_f32_f16_e32 v22, v4
.LBB256_253:                            ;   in Loop: Header=BB256_9 Depth=1
	s_or_b64 exec, exec, s[22:23]
	flat_load_ushort v4, v[28:29] offset:3840
	s_mov_b64 s[4:5], 0
                                        ; implicit-def: $sgpr24
	s_waitcnt vmcnt(0) lgkmcnt(0)
	v_cmp_gt_i16_sdwa s[20:21], v4, s17 src0_sel:BYTE_0 src1_sel:DWORD
	s_and_saveexec_b64 s[22:23], s[20:21]
	s_xor_b64 s[20:21], exec, s[22:23]
	s_cbranch_execnz .LBB256_511
; %bb.254:                              ;   in Loop: Header=BB256_9 Depth=1
	s_or_saveexec_b64 s[20:21], s[20:21]
	v_mov_b32_e32 v44, s24
	s_xor_b64 exec, exec, s[20:21]
	s_cbranch_execnz .LBB256_514
.LBB256_255:                            ;   in Loop: Header=BB256_9 Depth=1
	s_or_b64 exec, exec, s[20:21]
	v_and_b32_e32 v4, 0xffff, v4
	s_and_saveexec_b64 s[20:21], s[4:5]
	s_cbranch_execz .LBB256_257
.LBB256_256:                            ;   in Loop: Header=BB256_9 Depth=1
	v_and_b32_e32 v34, 7, v4
	v_ffbh_u32_e32 v44, v34
	v_min_u32_e32 v47, 32, v44
	v_subrev_u32_e32 v44, 28, v47
	v_bfe_u32 v46, v4, 3, 4
	v_lshlrev_b64 v[44:45], v44, v[4:5]
	v_sub_u32_e32 v45, 29, v47
	v_cmp_eq_u32_e64 s[4:5], 0, v46
	v_and_b32_e32 v44, 7, v44
	s_nop 0
	v_cndmask_b32_e64 v45, v46, v45, s[4:5]
	v_cndmask_b32_e64 v34, v34, v44, s[4:5]
	v_lshlrev_b32_e32 v44, 8, v4
	v_lshl_add_u32 v45, v45, 10, v38
	v_and_or_b32 v44, v44, s27, v45
	v_lshl_or_b32 v34, v34, 7, v44
	v_cvt_f32_f16_e32 v44, v34
.LBB256_257:                            ;   in Loop: Header=BB256_9 Depth=1
	s_or_b64 exec, exec, s[20:21]
	v_lshrrev_b16_e32 v4, 8, v4
	v_cmp_lt_i16_e64 s[4:5], s17, v4
	s_mov_b64 s[20:21], 0
                                        ; implicit-def: $sgpr28
	s_and_saveexec_b64 s[22:23], s[4:5]
	s_xor_b64 s[22:23], exec, s[22:23]
	s_cbranch_execnz .LBB256_515
; %bb.258:                              ;   in Loop: Header=BB256_9 Depth=1
	s_or_saveexec_b64 s[22:23], s[22:23]
	v_mov_b32_e32 v45, s28
	s_xor_b64 exec, exec, s[22:23]
	s_cbranch_execnz .LBB256_518
.LBB256_259:                            ;   in Loop: Header=BB256_9 Depth=1
	s_or_b64 exec, exec, s[22:23]
	s_and_saveexec_b64 s[22:23], s[20:21]
	s_cbranch_execz .LBB256_261
.LBB256_260:                            ;   in Loop: Header=BB256_9 Depth=1
	v_and_b32_e32 v34, 7, v4
	v_ffbh_u32_e32 v46, v34
	v_mov_b32_e32 v2, v56
	v_min_u32_e32 v56, 32, v46
	v_subrev_u32_e32 v46, 28, v56
	v_bfe_u32 v45, v4, 3, 4
	v_lshlrev_b64 v[46:47], v46, v[4:5]
	v_sub_u32_e32 v47, 29, v56
	v_cmp_eq_u32_e64 s[4:5], 0, v45
	v_and_b32_e32 v46, 7, v46
	v_lshlrev_b32_e32 v4, 8, v4
	v_cndmask_b32_e64 v45, v45, v47, s[4:5]
	v_lshl_add_u32 v45, v45, 10, v38
	v_cndmask_b32_e64 v34, v34, v46, s[4:5]
	v_and_or_b32 v4, v4, s27, v45
	v_lshl_or_b32 v4, v34, 7, v4
	v_cvt_f32_f16_e32 v45, v4
	v_mov_b32_e32 v56, v2
.LBB256_261:                            ;   in Loop: Header=BB256_9 Depth=1
	s_or_b64 exec, exec, s[22:23]
	flat_load_ushort v4, v[28:29] offset:3848
	s_mov_b64 s[4:5], 0
                                        ; implicit-def: $sgpr24
	s_waitcnt vmcnt(0) lgkmcnt(0)
	v_cmp_gt_i16_sdwa s[20:21], v4, s17 src0_sel:BYTE_0 src1_sel:DWORD
	s_and_saveexec_b64 s[22:23], s[20:21]
	s_xor_b64 s[20:21], exec, s[22:23]
	s_cbranch_execnz .LBB256_519
; %bb.262:                              ;   in Loop: Header=BB256_9 Depth=1
	s_or_saveexec_b64 s[20:21], s[20:21]
	v_mov_b32_e32 v28, s24
	s_xor_b64 exec, exec, s[20:21]
	s_cbranch_execnz .LBB256_522
.LBB256_263:                            ;   in Loop: Header=BB256_9 Depth=1
	s_or_b64 exec, exec, s[20:21]
	v_and_b32_e32 v4, 0xffff, v4
	s_and_saveexec_b64 s[20:21], s[4:5]
	s_cbranch_execz .LBB256_265
.LBB256_264:                            ;   in Loop: Header=BB256_9 Depth=1
	v_and_b32_e32 v34, 7, v4
	v_ffbh_u32_e32 v28, v34
	v_min_u32_e32 v47, 32, v28
	v_subrev_u32_e32 v28, 28, v47
	v_bfe_u32 v46, v4, 3, 4
	v_lshlrev_b64 v[28:29], v28, v[4:5]
	v_sub_u32_e32 v29, 29, v47
	v_cmp_eq_u32_e64 s[4:5], 0, v46
	v_and_b32_e32 v28, 7, v28
	s_nop 0
	v_cndmask_b32_e64 v29, v46, v29, s[4:5]
	v_cndmask_b32_e64 v28, v34, v28, s[4:5]
	v_lshlrev_b32_e32 v34, 8, v4
	v_lshl_add_u32 v29, v29, 10, v38
	v_and_or_b32 v29, v34, s27, v29
	v_lshl_or_b32 v28, v28, 7, v29
	v_cvt_f32_f16_e32 v28, v28
.LBB256_265:                            ;   in Loop: Header=BB256_9 Depth=1
	s_or_b64 exec, exec, s[20:21]
	v_lshrrev_b16_e32 v4, 8, v4
	v_cmp_lt_i16_e64 s[4:5], s17, v4
	s_mov_b64 s[20:21], 0
                                        ; implicit-def: $sgpr28
	s_and_saveexec_b64 s[22:23], s[4:5]
	s_xor_b64 s[22:23], exec, s[22:23]
	s_cbranch_execz .LBB256_269
; %bb.266:                              ;   in Loop: Header=BB256_9 Depth=1
	v_cmp_eq_u16_e64 s[4:5], s26, v4
	s_mov_b64 s[20:21], -1
                                        ; implicit-def: $sgpr28
	s_and_saveexec_b64 s[24:25], s[4:5]
; %bb.267:                              ;   in Loop: Header=BB256_9 Depth=1
	s_mov_b32 s28, 0x7fc02000
	s_xor_b64 s[20:21], exec, -1
; %bb.268:                              ;   in Loop: Header=BB256_9 Depth=1
	s_or_b64 exec, exec, s[24:25]
	s_and_b64 s[20:21], s[20:21], exec
.LBB256_269:                            ;   in Loop: Header=BB256_9 Depth=1
	s_or_saveexec_b64 s[22:23], s[22:23]
	v_mov_b32_e32 v34, s28
	s_xor_b64 exec, exec, s[22:23]
; %bb.270:                              ;   in Loop: Header=BB256_9 Depth=1
	v_cmp_ne_u16_e64 s[4:5], 0, v4
	s_andn2_b64 s[20:21], s[20:21], exec
	s_and_b64 s[4:5], s[4:5], exec
	v_mov_b32_e32 v34, 0
	s_or_b64 s[20:21], s[20:21], s[4:5]
; %bb.271:                              ;   in Loop: Header=BB256_9 Depth=1
	s_or_b64 exec, exec, s[22:23]
	v_accvgpr_write_b32 a43, v10
	v_accvgpr_write_b32 a42, v8
	;; [unrolled: 1-line block ×3, first 2 shown]
	v_mov_b32_e32 v3, v58
	v_mov_b32_e32 v2, v57
	s_and_saveexec_b64 s[22:23], s[20:21]
	s_cbranch_execz .LBB256_273
; %bb.272:                              ;   in Loop: Header=BB256_9 Depth=1
	v_and_b32_e32 v29, 7, v4
	v_ffbh_u32_e32 v46, v29
	v_mov_b32_e32 v8, v56
	v_min_u32_e32 v56, 32, v46
	v_subrev_u32_e32 v46, 28, v56
	v_bfe_u32 v34, v4, 3, 4
	v_lshlrev_b64 v[46:47], v46, v[4:5]
	v_sub_u32_e32 v47, 29, v56
	v_cmp_eq_u32_e64 s[4:5], 0, v34
	v_and_b32_e32 v46, 7, v46
	v_lshlrev_b32_e32 v4, 8, v4
	v_cndmask_b32_e64 v34, v34, v47, s[4:5]
	v_lshl_add_u32 v34, v34, 10, v38
	v_cndmask_b32_e64 v29, v29, v46, s[4:5]
	v_and_or_b32 v4, v4, s27, v34
	v_lshl_or_b32 v4, v29, 7, v4
	v_cvt_f32_f16_e32 v34, v4
	v_mov_b32_e32 v56, v8
.LBB256_273:                            ;   in Loop: Header=BB256_9 Depth=1
	s_or_b64 exec, exec, s[22:23]
	scratch_load_dword v4, off, s32 offset:112 ; 4-byte Folded Reload
	ds_read_b32 v47, v19
	v_accvgpr_read_b32 v8, a34
	v_fma_mixlo_f16 v29, v48, v56, 0
	v_fma_mixlo_f16 v46, v48, v8, 0
	v_and_b32_e32 v29, 0xffff, v29
	s_waitcnt lgkmcnt(0)
	v_lshrrev_b32_e32 v56, 16, v47
	v_and_b32_e32 v47, 0xffff, v47
	v_and_b32_e32 v46, 0xffff, v46
	;;#ASMSTART
	v_cvt_f32_f16 v47, v47;
	;;#ASMEND
	;;#ASMSTART
	v_cvt_f32_f16 v56, v56;
	;;#ASMEND
	;; [unrolled: 3-line block ×4, first 2 shown]
	ds_read_b32 v57, v19 offset:4
	v_accvgpr_read_b32 v8, a36
	v_fma_mixlo_f16 v0, v48, v0, 0
	v_fma_mixlo_f16 v1, v48, v1, 0
	v_and_b32_e32 v0, 0xffff, v0
	s_waitcnt lgkmcnt(0)
	v_lshrrev_b32_e32 v58, 16, v57
	v_and_b32_e32 v57, 0xffff, v57
	;;#ASMSTART
	v_cvt_f32_f16 v57, v57;
	;;#ASMEND
	;;#ASMSTART
	v_cvt_f32_f16 v58, v58;
	;;#ASMEND
	v_fma_mixlo_f16 v32, v48, v32, 0
	v_fma_mixlo_f16 v9, v48, v9, 0
	;; [unrolled: 1-line block ×5, first 2 shown]
	v_and_b32_e32 v20, 0xffff, v20
	v_fma_mixlo_f16 v50, v48, v50, 0
	v_fma_mixlo_f16 v51, v48, v51, 0
	;; [unrolled: 1-line block ×8, first 2 shown]
	s_waitcnt vmcnt(0)
	v_fma_mixlo_f16 v4, v48, v4, 0
	v_and_b32_e32 v4, 0xffff, v4
	;;#ASMSTART
	v_cvt_f32_f16 v4, v4;
	;;#ASMEND
	s_nop 0
	v_mul_f32_e32 v4, v57, v4
	v_fmac_f32_e32 v4, v47, v29
	v_fma_mixlo_f16 v29, v48, v8, 0
	v_and_b32_e32 v29, 0xffff, v29
	;;#ASMSTART
	v_cvt_f32_f16 v29, v29;
	;;#ASMEND
	ds_read_b32 v47, v19 offset:8
	v_mul_f32_e32 v29, v58, v29
	v_fmac_f32_e32 v29, v56, v46
	v_fma_mixlo_f16 v46, v48, v30, 0
	v_and_b32_e32 v46, 0xffff, v46
	s_waitcnt lgkmcnt(0)
	v_lshrrev_b32_e32 v56, 16, v47
	v_and_b32_e32 v47, 0xffff, v47
	;;#ASMSTART
	v_cvt_f32_f16 v47, v47;
	;;#ASMEND
	;;#ASMSTART
	v_cvt_f32_f16 v56, v56;
	;;#ASMEND
	;; [unrolled: 3-line block ×3, first 2 shown]
	v_accvgpr_read_b32 v8, a40
	v_fmac_f32_e32 v4, v47, v46
	v_fma_mixlo_f16 v46, v48, v8, 0
	v_and_b32_e32 v46, 0xffff, v46
	;;#ASMSTART
	v_cvt_f32_f16 v46, v46;
	;;#ASMEND
	ds_read_b32 v47, v19 offset:12
	v_fmac_f32_e32 v29, v56, v46
	v_fma_mixlo_f16 v46, v48, v37, 0
	v_and_b32_e32 v46, 0xffff, v46
	v_fma_mixlo_f16 v57, v48, v2, 0
	s_waitcnt lgkmcnt(0)
	v_lshrrev_b32_e32 v56, 16, v47
	v_and_b32_e32 v47, 0xffff, v47
	;;#ASMSTART
	v_cvt_f32_f16 v47, v47;
	;;#ASMEND
	;;#ASMSTART
	v_cvt_f32_f16 v56, v56;
	;;#ASMEND
	;; [unrolled: 3-line block ×3, first 2 shown]
	v_accvgpr_read_b32 v2, a31
	v_fmac_f32_e32 v4, v47, v46
	v_fma_mixlo_f16 v46, v48, v59, 0
	v_and_b32_e32 v46, 0xffff, v46
	;;#ASMSTART
	v_cvt_f32_f16 v46, v46;
	;;#ASMEND
	ds_read_b32 v47, v19 offset:16
	v_fmac_f32_e32 v29, v56, v46
	v_fma_mixlo_f16 v46, v48, v60, 0
	v_and_b32_e32 v46, 0xffff, v46
	v_fma_mixlo_f16 v58, v48, v2, 0
	s_waitcnt lgkmcnt(0)
	v_lshrrev_b32_e32 v56, 16, v47
	v_and_b32_e32 v47, 0xffff, v47
	;;#ASMSTART
	v_cvt_f32_f16 v47, v47;
	;;#ASMEND
	;;#ASMSTART
	v_cvt_f32_f16 v56, v56;
	;;#ASMEND
	;;#ASMSTART
	v_cvt_f32_f16 v46, v46;
	;;#ASMEND
	v_accvgpr_read_b32 v2, a32
	v_fmac_f32_e32 v4, v47, v46
	v_fma_mixlo_f16 v46, v48, v61, 0
	v_and_b32_e32 v46, 0xffff, v46
	;;#ASMSTART
	v_cvt_f32_f16 v46, v46;
	;;#ASMEND
	v_fma_mixlo_f16 v47, v48, v62, 0
	v_fmac_f32_e32 v29, v56, v46
	ds_read_b32 v46, v19 offset:20
	v_and_b32_e32 v47, 0xffff, v47
	v_fma_mixlo_f16 v59, v48, v3, 0
	v_fma_mixlo_f16 v60, v48, v2, 0
	v_accvgpr_read_b32 v2, a33
	s_waitcnt lgkmcnt(0)
	v_lshrrev_b32_e32 v56, 16, v46
	v_and_b32_e32 v46, 0xffff, v46
	;;#ASMSTART
	v_cvt_f32_f16 v46, v46;
	;;#ASMEND
	;;#ASMSTART
	v_cvt_f32_f16 v56, v56;
	;;#ASMEND
	;; [unrolled: 3-line block ×3, first 2 shown]
	v_fma_mixlo_f16 v61, v48, v26, 0
	v_fmac_f32_e32 v4, v46, v47
	v_fma_mixlo_f16 v46, v48, v63, 0
	v_and_b32_e32 v46, 0xffff, v46
	;;#ASMSTART
	v_cvt_f32_f16 v46, v46;
	;;#ASMEND
	ds_read_b32 v47, v19 offset:24
	v_fmac_f32_e32 v29, v56, v46
	v_and_b32_e32 v56, 0xffff, v57
	v_and_b32_e32 v57, 0xffff, v58
	v_fma_mixlo_f16 v62, v48, v2, 0
	s_waitcnt lgkmcnt(0)
	v_lshrrev_b32_e32 v46, 16, v47
	v_and_b32_e32 v47, 0xffff, v47
	;;#ASMSTART
	v_cvt_f32_f16 v47, v47;
	;;#ASMEND
	;;#ASMSTART
	v_cvt_f32_f16 v46, v46;
	;;#ASMEND
	;; [unrolled: 3-line block ×4, first 2 shown]
	ds_read_b32 v58, v19 offset:28
	v_fmac_f32_e32 v4, v47, v56
	v_fmac_f32_e32 v29, v46, v57
	v_accvgpr_read_b32 v2, a35
	v_fma_mixlo_f16 v63, v48, v27, 0
	s_waitcnt lgkmcnt(0)
	v_lshrrev_b32_e32 v47, 16, v58
	v_and_b32_e32 v56, 0xffff, v58
	v_and_b32_e32 v58, 0xffff, v59
	;; [unrolled: 1-line block ×3, first 2 shown]
	;;#ASMSTART
	v_cvt_f32_f16 v56, v56;
	;;#ASMEND
	;;#ASMSTART
	v_cvt_f32_f16 v47, v47;
	;;#ASMEND
	;; [unrolled: 3-line block ×4, first 2 shown]
	ds_read_b32 v60, v19 offset:32
	v_fma_mixlo_f16 v30, v48, v2, 0
	v_fmac_f32_e32 v4, v56, v58
	v_and_b32_e32 v30, 0xffff, v30
	v_fma_mixlo_f16 v2, v48, v31, 0
	s_waitcnt lgkmcnt(0)
	v_lshrrev_b32_e32 v46, 16, v60
	v_and_b32_e32 v57, 0xffff, v60
	v_and_b32_e32 v60, 0xffff, v61
	v_and_b32_e32 v61, 0xffff, v62
	;;#ASMSTART
	v_cvt_f32_f16 v57, v57;
	;;#ASMEND
	;;#ASMSTART
	v_cvt_f32_f16 v46, v46;
	;;#ASMEND
	;; [unrolled: 3-line block ×4, first 2 shown]
	ds_read_b32 v62, v19 offset:36
	v_accvgpr_read_b32 v3, a37
	v_fma_mixlo_f16 v3, v48, v3, 0
	v_fmac_f32_e32 v29, v47, v59
	v_and_b32_e32 v2, 0xffff, v2
	s_waitcnt lgkmcnt(0)
	v_lshrrev_b32_e32 v56, 16, v62
	v_and_b32_e32 v58, 0xffff, v62
	;;#ASMSTART
	v_cvt_f32_f16 v58, v58;
	;;#ASMEND
	;;#ASMSTART
	v_cvt_f32_f16 v62, v56;
	;;#ASMEND
	v_and_b32_e32 v56, 0xffff, v63
	;;#ASMSTART
	v_cvt_f32_f16 v56, v56;
	;;#ASMEND
	;;#ASMSTART
	v_cvt_f32_f16 v63, v30;
	;;#ASMEND
	ds_read_b32 v30, v19 offset:40
	v_accvgpr_read_b32 v8, a38
	v_fmac_f32_e32 v4, v57, v60
	v_fmac_f32_e32 v29, v46, v61
	;; [unrolled: 1-line block ×3, first 2 shown]
	s_waitcnt lgkmcnt(0)
	v_lshrrev_b32_e32 v47, 16, v30
	v_and_b32_e32 v30, 0xffff, v30
	;;#ASMSTART
	v_cvt_f32_f16 v59, v30;
	;;#ASMEND
	;;#ASMSTART
	v_cvt_f32_f16 v31, v47;
	;;#ASMEND
	;; [unrolled: 3-line block ×3, first 2 shown]
	v_and_b32_e32 v2, 0xffff, v3
	;;#ASMSTART
	v_cvt_f32_f16 v10, v2;
	;;#ASMEND
	ds_read_b32 v2, v19 offset:44
	v_fma_mixlo_f16 v3, v48, v36, 0
	v_fma_mixlo_f16 v30, v48, v8, 0
	v_fmac_f32_e32 v29, v62, v63
	v_fma_mixlo_f16 v62, v48, v7, 0
	s_waitcnt lgkmcnt(0)
	v_lshrrev_b32_e32 v57, 16, v2
	v_and_b32_e32 v2, 0xffff, v2
	;;#ASMSTART
	v_cvt_f32_f16 v60, v2;
	;;#ASMEND
	v_and_b32_e32 v2, 0xffff, v3
	;;#ASMSTART
	v_cvt_f32_f16 v8, v57;
	;;#ASMEND
	;;#ASMSTART
	v_cvt_f32_f16 v37, v2;
	;;#ASMEND
	v_and_b32_e32 v2, 0xffff, v30
	;;#ASMSTART
	v_cvt_f32_f16 v13, v2;
	;;#ASMEND
	ds_read_b32 v2, v19 offset:48
	v_accvgpr_read_b32 v3, a39
	v_fma_mixlo_f16 v3, v48, v3, 0
	v_fma_mixlo_f16 v30, v48, v43, 0
	;; [unrolled: 1-line block ×3, first 2 shown]
	s_waitcnt lgkmcnt(0)
	v_lshrrev_b32_e32 v46, 16, v2
	v_and_b32_e32 v2, 0xffff, v2
	;;#ASMSTART
	v_cvt_f32_f16 v61, v2;
	;;#ASMEND
	v_and_b32_e32 v2, 0xffff, v3
	;;#ASMSTART
	v_cvt_f32_f16 v57, v46;
	;;#ASMEND
	;;#ASMSTART
	v_cvt_f32_f16 v26, v2;
	;;#ASMEND
	v_and_b32_e32 v2, 0xffff, v43
	;;#ASMSTART
	v_cvt_f32_f16 v27, v2;
	;;#ASMEND
	ds_read_b32 v3, v19 offset:52
	v_fma_mixlo_f16 v2, v48, v40, 0
	v_fma_mixlo_f16 v46, v48, v15, 0
	v_fmac_f32_e32 v4, v59, v47
	v_accvgpr_read_b32 v36, a41
	s_waitcnt lgkmcnt(0)
	v_lshrrev_b32_e32 v40, 16, v3
	v_and_b32_e32 v3, 0xffff, v3
	;;#ASMSTART
	v_cvt_f32_f16 v56, v3;
	;;#ASMEND
	;;#ASMSTART
	v_cvt_f32_f16 v40, v40;
	;;#ASMEND
	;; [unrolled: 3-line block ×3, first 2 shown]
	v_and_b32_e32 v0, 0xffff, v1
	;;#ASMSTART
	v_cvt_f32_f16 v43, v0;
	;;#ASMEND
	ds_read_b32 v1, v19 offset:56
	v_fma_mixlo_f16 v3, v48, v14, 0
	v_fma_mixlo_f16 v0, v48, v41, 0
	;; [unrolled: 1-line block ×3, first 2 shown]
	v_fmac_f32_e32 v29, v31, v10
	s_waitcnt lgkmcnt(0)
	v_lshrrev_b32_e32 v15, 16, v1
	v_and_b32_e32 v1, 0xffff, v1
	;;#ASMSTART
	v_cvt_f32_f16 v14, v1;
	;;#ASMEND
	v_and_b32_e32 v1, 0xffff, v3
	;;#ASMSTART
	v_cvt_f32_f16 v15, v15;
	;;#ASMEND
	;;#ASMSTART
	v_cvt_f32_f16 v41, v1;
	;;#ASMEND
	v_and_b32_e32 v1, 0xffff, v46
	;;#ASMSTART
	v_cvt_f32_f16 v46, v1;
	;;#ASMEND
	ds_read_b32 v3, v19 offset:60
	v_fma_mixlo_f16 v1, v48, v54, 0
	v_fma_mixlo_f16 v54, v48, v6, 0
	v_fmac_f32_e32 v4, v60, v37
	v_accvgpr_read_b32 v39, a43
	s_waitcnt lgkmcnt(0)
	v_lshrrev_b32_e32 v7, 16, v3
	v_and_b32_e32 v3, 0xffff, v3
	;;#ASMSTART
	v_cvt_f32_f16 v6, v3;
	;;#ASMEND
	v_and_b32_e32 v3, 0xffff, v54
	;;#ASMSTART
	v_cvt_f32_f16 v7, v7;
	;;#ASMEND
	;;#ASMSTART
	v_cvt_f32_f16 v54, v3;
	;;#ASMEND
	v_and_b32_e32 v3, 0xffff, v62
	;;#ASMSTART
	v_cvt_f32_f16 v47, v3;
	;;#ASMEND
	ds_read_b32 v59, v19 offset:64
	v_fma_mixlo_f16 v62, v48, v36, 0
	v_fma_mixlo_f16 v3, v48, v55, 0
	v_accvgpr_read_b32 v36, a42
	v_fmac_f32_e32 v29, v8, v13
	s_waitcnt lgkmcnt(0)
	v_lshrrev_b32_e32 v10, 16, v59
	v_and_b32_e32 v11, 0xffff, v59
	;;#ASMSTART
	v_cvt_f32_f16 v11, v11;
	;;#ASMEND
	;;#ASMSTART
	v_cvt_f32_f16 v55, v10;
	;;#ASMEND
	v_and_b32_e32 v10, 0xffff, v62
	;;#ASMSTART
	v_cvt_f32_f16 v59, v10;
	;;#ASMEND
	v_and_b32_e32 v10, 0xffff, v63
	;;#ASMSTART
	v_cvt_f32_f16 v31, v10;
	;;#ASMEND
	ds_read_b32 v62, v19 offset:68
	v_fma_mixlo_f16 v63, v48, v36, 0
	v_fma_mixlo_f16 v36, v48, v35, 0
	;; [unrolled: 1-line block ×3, first 2 shown]
	v_and_b32_e32 v36, 0xffff, v36
	s_waitcnt lgkmcnt(0)
	v_lshrrev_b32_e32 v37, 16, v62
	v_and_b32_e32 v35, 0xffff, v62
	;;#ASMSTART
	v_cvt_f32_f16 v35, v35;
	;;#ASMEND
	;;#ASMSTART
	v_cvt_f32_f16 v52, v37;
	;;#ASMEND
	v_and_b32_e32 v37, 0xffff, v63
	;;#ASMSTART
	v_cvt_f32_f16 v37, v37;
	;;#ASMEND
	;;#ASMSTART
	v_cvt_f32_f16 v36, v36;
	;;#ASMEND
	ds_read_b32 v60, v19 offset:72
	v_fma_mixlo_f16 v62, v48, v39, 0
	v_fmac_f32_e32 v4, v61, v26
	v_fmac_f32_e32 v29, v57, v27
	;; [unrolled: 1-line block ×3, first 2 shown]
	s_waitcnt lgkmcnt(0)
	v_lshrrev_b32_e32 v8, 16, v60
	v_and_b32_e32 v13, 0xffff, v60
	;;#ASMSTART
	v_cvt_f32_f16 v13, v13;
	;;#ASMEND
	;;#ASMSTART
	v_cvt_f32_f16 v60, v8;
	;;#ASMEND
	v_and_b32_e32 v8, 0xffff, v62
	;;#ASMSTART
	v_cvt_f32_f16 v62, v8;
	;;#ASMEND
	v_and_b32_e32 v8, 0xffff, v32
	;;#ASMSTART
	v_cvt_f32_f16 v32, v8;
	;;#ASMEND
	ds_read_b32 v8, v19 offset:76
	v_fmac_f32_e32 v29, v40, v43
	v_fmac_f32_e32 v4, v14, v41
	;; [unrolled: 1-line block ×4, first 2 shown]
	s_waitcnt lgkmcnt(0)
	v_lshrrev_b32_e32 v26, 16, v8
	v_and_b32_e32 v8, 0xffff, v8
	;;#ASMSTART
	v_cvt_f32_f16 v61, v8;
	;;#ASMEND
	v_and_b32_e32 v8, 0xffff, v9
	;;#ASMSTART
	v_cvt_f32_f16 v26, v26;
	;;#ASMEND
	;;#ASMSTART
	v_cvt_f32_f16 v63, v8;
	;;#ASMEND
	v_and_b32_e32 v8, 0xffff, v16
	;;#ASMSTART
	v_cvt_f32_f16 v16, v8;
	;;#ASMEND
	ds_read_b32 v8, v19 offset:80
	v_fma_mixlo_f16 v9, v48, v17, 0
	v_fma_mixlo_f16 v17, v48, v24, 0
	v_fmac_f32_e32 v29, v7, v47
	v_fmac_f32_e32 v4, v11, v59
	s_waitcnt lgkmcnt(0)
	v_lshrrev_b32_e32 v24, 16, v8
	v_and_b32_e32 v8, 0xffff, v8
	;;#ASMSTART
	v_cvt_f32_f16 v27, v8;
	;;#ASMEND
	v_and_b32_e32 v8, 0xffff, v9
	;;#ASMSTART
	v_cvt_f32_f16 v24, v24;
	;;#ASMEND
	;;#ASMSTART
	v_cvt_f32_f16 v57, v8;
	;;#ASMEND
	v_and_b32_e32 v8, 0xffff, v17
	;;#ASMSTART
	v_cvt_f32_f16 v17, v8;
	;;#ASMEND
	ds_read_b32 v8, v19 offset:84
	v_fma_mixlo_f16 v9, v48, v25, 0
	v_fma_mixlo_f16 v25, v48, v33, 0
	v_fmac_f32_e32 v29, v55, v31
	v_and_b32_e32 v11, 0xffff, v50
	s_waitcnt lgkmcnt(0)
	v_lshrrev_b32_e32 v33, 16, v8
	v_and_b32_e32 v8, 0xffff, v8
	;;#ASMSTART
	v_cvt_f32_f16 v56, v8;
	;;#ASMEND
	v_and_b32_e32 v8, 0xffff, v9
	;;#ASMSTART
	v_cvt_f32_f16 v33, v33;
	;;#ASMEND
	;;#ASMSTART
	v_cvt_f32_f16 v58, v8;
	;;#ASMEND
	v_and_b32_e32 v8, 0xffff, v25
	;;#ASMSTART
	v_cvt_f32_f16 v25, v8;
	;;#ASMEND
	ds_read_b32 v8, v19 offset:88
	v_fma_mixlo_f16 v9, v48, v18, 0
	v_fma_mixlo_f16 v18, v48, v21, 0
	v_and_b32_e32 v31, 0xffff, v51
	v_fmac_f32_e32 v4, v35, v37
	s_waitcnt lgkmcnt(0)
	v_lshrrev_b32_e32 v21, 16, v8
	v_and_b32_e32 v8, 0xffff, v8
	;;#ASMSTART
	v_cvt_f32_f16 v40, v8;
	;;#ASMEND
	v_and_b32_e32 v8, 0xffff, v9
	;;#ASMSTART
	v_cvt_f32_f16 v21, v21;
	;;#ASMEND
	;;#ASMSTART
	v_cvt_f32_f16 v43, v8;
	;;#ASMEND
	v_and_b32_e32 v8, 0xffff, v18
	;;#ASMSTART
	v_cvt_f32_f16 v18, v8;
	;;#ASMEND
	ds_read_b32 v39, v19 offset:92
	v_fma_mixlo_f16 v9, v48, v28, 0
	v_and_b32_e32 v28, 0xffff, v49
	v_fma_mixlo_f16 v8, v48, v34, 0
	v_fmac_f32_e32 v29, v52, v36
	s_waitcnt lgkmcnt(0)
	v_lshrrev_b32_e32 v14, 16, v39
	v_and_b32_e32 v15, 0xffff, v39
	;;#ASMSTART
	v_cvt_f32_f16 v15, v15;
	;;#ASMEND
	;;#ASMSTART
	v_cvt_f32_f16 v14, v14;
	;;#ASMEND
	;;#ASMSTART
	v_cvt_f32_f16 v20, v20;
	;;#ASMEND
	;;#ASMSTART
	v_cvt_f32_f16 v28, v28;
	;;#ASMEND
	ds_read_b32 v34, v19 offset:96
	v_fmac_f32_e32 v4, v13, v62
	v_fmac_f32_e32 v29, v60, v32
	v_and_b32_e32 v10, 0xffff, v10
	v_fmac_f32_e32 v29, v26, v16
	s_waitcnt lgkmcnt(0)
	v_lshrrev_b32_e32 v6, 16, v34
	v_and_b32_e32 v7, 0xffff, v34
	;;#ASMSTART
	v_cvt_f32_f16 v7, v7;
	;;#ASMEND
	;;#ASMSTART
	v_cvt_f32_f16 v6, v6;
	;;#ASMEND
	;; [unrolled: 3-line block ×4, first 2 shown]
	ds_read_b32 v34, v19 offset:100
	v_fmac_f32_e32 v29, v24, v17
	v_and_b32_e32 v1, 0xffff, v1
	v_and_b32_e32 v3, 0xffff, v3
	v_fmac_f32_e32 v29, v33, v25
	s_waitcnt lgkmcnt(0)
	v_lshrrev_b32_e32 v13, 16, v34
	v_and_b32_e32 v32, 0xffff, v34
	v_and_b32_e32 v34, 0xffff, v53
	;;#ASMSTART
	v_cvt_f32_f16 v32, v32;
	;;#ASMEND
	;;#ASMSTART
	v_cvt_f32_f16 v13, v13;
	;;#ASMEND
	;; [unrolled: 3-line block ×4, first 2 shown]
	ds_read_b32 v35, v19 offset:104
	v_fmac_f32_e32 v29, v21, v18
	v_and_b32_e32 v2, 0xffff, v2
	v_and_b32_e32 v0, 0xffff, v0
	v_fmac_f32_e32 v4, v61, v63
	s_waitcnt lgkmcnt(0)
	v_lshrrev_b32_e32 v16, 16, v35
	v_and_b32_e32 v17, 0xffff, v35
	;;#ASMSTART
	v_cvt_f32_f16 v17, v17;
	;;#ASMEND
	;;#ASMSTART
	v_cvt_f32_f16 v16, v16;
	;;#ASMEND
	;; [unrolled: 3-line block ×4, first 2 shown]
	ds_read_b32 v24, v19 offset:108
	v_fmac_f32_e32 v4, v27, v57
	v_fmac_f32_e32 v4, v56, v58
	;; [unrolled: 1-line block ×4, first 2 shown]
	s_waitcnt lgkmcnt(0)
	v_lshrrev_b32_e32 v18, 16, v24
	v_and_b32_e32 v21, 0xffff, v24
	;;#ASMSTART
	v_cvt_f32_f16 v21, v21;
	;;#ASMEND
	;;#ASMSTART
	v_cvt_f32_f16 v18, v18;
	;;#ASMEND
	;; [unrolled: 3-line block ×4, first 2 shown]
	ds_read_b32 v24, v19 offset:112
	v_fmac_f32_e32 v29, v14, v28
	v_fmac_f32_e32 v4, v7, v11
	;; [unrolled: 1-line block ×3, first 2 shown]
	v_and_b32_e32 v11, 0xffff, v42
	s_waitcnt lgkmcnt(0)
	v_lshrrev_b32_e32 v6, 16, v24
	v_and_b32_e32 v7, 0xffff, v24
	v_and_b32_e32 v14, 0xffff, v30
	;;#ASMSTART
	v_cvt_f32_f16 v7, v7;
	;;#ASMEND
	;;#ASMSTART
	v_cvt_f32_f16 v6, v6;
	;;#ASMEND
	;;#ASMSTART
	v_cvt_f32_f16 v11, v11;
	;;#ASMEND
	;;#ASMSTART
	v_cvt_f32_f16 v14, v14;
	;;#ASMEND
	ds_read_b32 v15, v19 offset:116
	v_fmac_f32_e32 v4, v32, v10
	v_fmac_f32_e32 v29, v13, v34
	v_fmac_f32_e32 v4, v17, v1
	v_fmac_f32_e32 v29, v16, v3
	s_waitcnt lgkmcnt(0)
	v_lshrrev_b32_e32 v1, 16, v15
	v_and_b32_e32 v3, 0xffff, v15
	v_and_b32_e32 v10, 0xffff, v23
	v_and_b32_e32 v13, 0xffff, v22
	;;#ASMSTART
	v_cvt_f32_f16 v3, v3;
	;;#ASMEND
	;;#ASMSTART
	v_cvt_f32_f16 v1, v1;
	;;#ASMEND
	;;#ASMSTART
	v_cvt_f32_f16 v10, v10;
	;;#ASMEND
	;;#ASMSTART
	v_cvt_f32_f16 v13, v13;
	;;#ASMEND
	ds_read_b32 v15, v19 offset:120
	v_fmac_f32_e32 v4, v21, v2
	v_fmac_f32_e32 v29, v18, v0
	v_fmac_f32_e32 v4, v7, v11
	v_fmac_f32_e32 v29, v6, v14
	s_waitcnt lgkmcnt(0)
	v_lshrrev_b32_e32 v0, 16, v15
	v_and_b32_e32 v2, 0xffff, v15
	;; [unrolled: 22-line block ×3, first 2 shown]
	v_and_b32_e32 v2, 0xffff, v9
	v_and_b32_e32 v3, 0xffff, v8
	;;#ASMSTART
	v_cvt_f32_f16 v1, v1;
	;;#ASMEND
	;;#ASMSTART
	v_cvt_f32_f16 v0, v0;
	;;#ASMEND
	;; [unrolled: 3-line block ×4, first 2 shown]
	s_nop 0
	v_fmac_f32_e32 v29, v0, v3
	v_accvgpr_read_b32 v3, a20
	v_fmac_f32_e32 v4, v1, v2
	v_and_b32_e32 v1, 64, v3
	v_add_u32_e32 v1, 64, v1
	v_xor_b32_e32 v2, 2, v3
	v_cmp_lt_i32_e64 s[4:5], v2, v1
	v_add_f32_e32 v0, v4, v29
	s_nop 0
	v_cndmask_b32_e64 v2, v3, v2, s[4:5]
	v_lshlrev_b32_e32 v2, 2, v2
	ds_bpermute_b32 v2, v2, v0
	s_waitcnt lgkmcnt(0)
	v_add_f32_e32 v0, v0, v2
	v_xor_b32_e32 v2, 1, v3
	v_cmp_lt_i32_e64 s[4:5], v2, v1
	s_nop 1
	v_cndmask_b32_e64 v2, v3, v2, s[4:5]
	v_lshlrev_b32_e32 v2, 2, v2
	ds_bpermute_b32 v2, v2, v0
	s_mov_b64 s[20:21], exec
	s_and_b64 s[4:5], s[20:21], vcc
	v_accvgpr_read_b32 v7, a30
	s_mov_b64 exec, s[4:5]
	s_cbranch_execz .LBB256_8
; %bb.274:                              ;   in Loop: Header=BB256_9 Depth=1
	s_waitcnt lgkmcnt(0)
	v_add_f32_e32 v0, v0, v2
	scratch_load_dword v2, off, s32 offset:120 ; 4-byte Folded Reload
	v_accvgpr_read_b32 v3, a21
	v_accvgpr_read_b32 v6, a28
	v_add_u32_e32 v3, v3, v6
	v_cvt_f32_i32_e32 v3, v3
	s_load_dword s4, s[8:9], 0x0
	v_accvgpr_read_b32 v4, a15
	s_waitcnt vmcnt(0)
	v_mul_f32_e32 v2, v2, v3
	v_accvgpr_read_b32 v3, a29
	v_cndmask_b32_e64 v2, 0, v2, s[2:3]
	s_waitcnt lgkmcnt(0)
	v_add_u32_e32 v3, s4, v3
	v_fmac_f32_e32 v2, v0, v4
	v_cmp_lt_i32_e64 s[4:5], v6, v12
	s_nop 1
	v_cndmask_b32_e64 v0, 0, v2, s[4:5]
	ds_write_b32 v3, v0
	scratch_load_dword v3, off, s32 offset:116 ; 4-byte Folded Reload
	s_waitcnt vmcnt(0)
	v_max_f32_e32 v0, v3, v3
	v_max_f32_e32 v0, v0, v2
	v_cndmask_b32_e64 v3, v3, v0, s[4:5]
	scratch_store_dword off, v3, s32 offset:116 ; 4-byte Folded Spill
	s_branch .LBB256_8
.LBB256_275:                            ;   in Loop: Header=BB256_9 Depth=1
	v_cmp_eq_u16_sdwa s[28:29], v0, s26 src0_sel:BYTE_0 src1_sel:DWORD
	s_mov_b64 s[4:5], -1
                                        ; implicit-def: $sgpr24
	s_and_saveexec_b64 s[22:23], s[28:29]
; %bb.276:                              ;   in Loop: Header=BB256_9 Depth=1
	s_mov_b32 s24, 0x7fc02000
	s_xor_b64 s[4:5], exec, -1
; %bb.277:                              ;   in Loop: Header=BB256_9 Depth=1
	s_or_b64 exec, exec, s[22:23]
	s_and_b64 s[4:5], s[4:5], exec
	s_or_saveexec_b64 s[20:21], s[20:21]
	v_mov_b32_e32 v56, s24
	s_xor_b64 exec, exec, s[20:21]
	s_cbranch_execz .LBB256_11
.LBB256_278:                            ;   in Loop: Header=BB256_9 Depth=1
	v_cmp_ne_u16_sdwa s[22:23], v0, v5 src0_sel:BYTE_0 src1_sel:DWORD
	s_andn2_b64 s[4:5], s[4:5], exec
	s_and_b64 s[22:23], s[22:23], exec
	v_mov_b32_e32 v56, 0
	s_or_b64 s[4:5], s[4:5], s[22:23]
	s_or_b64 exec, exec, s[20:21]
	v_and_b32_e32 v4, 0xffff, v0
	s_and_saveexec_b64 s[20:21], s[4:5]
	s_cbranch_execnz .LBB256_12
	s_branch .LBB256_13
.LBB256_279:                            ;   in Loop: Header=BB256_9 Depth=1
	v_cmp_eq_u16_e64 s[4:5], s26, v4
	s_mov_b64 s[20:21], -1
                                        ; implicit-def: $sgpr28
	s_and_saveexec_b64 s[24:25], s[4:5]
; %bb.280:                              ;   in Loop: Header=BB256_9 Depth=1
	s_mov_b32 s28, 0x7fc02000
	s_xor_b64 s[20:21], exec, -1
; %bb.281:                              ;   in Loop: Header=BB256_9 Depth=1
	s_or_b64 exec, exec, s[24:25]
	s_and_b64 s[20:21], s[20:21], exec
	s_or_saveexec_b64 s[22:23], s[22:23]
	v_mov_b32_e32 v0, s28
	s_xor_b64 exec, exec, s[22:23]
	s_cbranch_execz .LBB256_15
.LBB256_282:                            ;   in Loop: Header=BB256_9 Depth=1
	v_cmp_ne_u16_e64 s[4:5], 0, v4
	s_andn2_b64 s[20:21], s[20:21], exec
	s_and_b64 s[4:5], s[4:5], exec
	v_mov_b32_e32 v0, 0
	s_or_b64 s[20:21], s[20:21], s[4:5]
	s_or_b64 exec, exec, s[22:23]
	s_and_saveexec_b64 s[22:23], s[20:21]
	s_cbranch_execnz .LBB256_16
	s_branch .LBB256_17
.LBB256_283:                            ;   in Loop: Header=BB256_9 Depth=1
	v_cmp_eq_u16_e64 s[4:5], s26, v4
	s_mov_b64 s[20:21], -1
                                        ; implicit-def: $sgpr28
	s_and_saveexec_b64 s[24:25], s[4:5]
; %bb.284:                              ;   in Loop: Header=BB256_9 Depth=1
	s_mov_b32 s28, 0x7fc02000
	s_xor_b64 s[20:21], exec, -1
; %bb.285:                              ;   in Loop: Header=BB256_9 Depth=1
	s_or_b64 exec, exec, s[24:25]
	s_and_b64 s[20:21], s[20:21], exec
	s_or_saveexec_b64 s[22:23], s[22:23]
	v_mov_b32_e32 v0, s28
	s_xor_b64 exec, exec, s[22:23]
	s_cbranch_execz .LBB256_27
.LBB256_286:                            ;   in Loop: Header=BB256_9 Depth=1
	v_cmp_ne_u16_e64 s[4:5], 0, v4
	s_andn2_b64 s[20:21], s[20:21], exec
	s_and_b64 s[4:5], s[4:5], exec
	v_mov_b32_e32 v0, 0
	s_or_b64 s[20:21], s[20:21], s[4:5]
	s_or_b64 exec, exec, s[22:23]
	s_and_saveexec_b64 s[22:23], s[20:21]
	s_cbranch_execnz .LBB256_28
	s_branch .LBB256_29
.LBB256_287:                            ;   in Loop: Header=BB256_9 Depth=1
	v_cmp_eq_u16_sdwa s[28:29], v0, s26 src0_sel:BYTE_0 src1_sel:DWORD
	s_mov_b64 s[4:5], -1
                                        ; implicit-def: $sgpr24
	s_and_saveexec_b64 s[22:23], s[28:29]
; %bb.288:                              ;   in Loop: Header=BB256_9 Depth=1
	s_mov_b32 s24, 0x7fc02000
	s_xor_b64 s[4:5], exec, -1
; %bb.289:                              ;   in Loop: Header=BB256_9 Depth=1
	s_or_b64 exec, exec, s[22:23]
	s_and_b64 s[4:5], s[4:5], exec
	s_or_saveexec_b64 s[20:21], s[20:21]
	v_mov_b32_e32 v30, s24
	s_xor_b64 exec, exec, s[20:21]
	s_cbranch_execz .LBB256_31
.LBB256_290:                            ;   in Loop: Header=BB256_9 Depth=1
	v_cmp_ne_u16_sdwa s[22:23], v0, v5 src0_sel:BYTE_0 src1_sel:DWORD
	s_andn2_b64 s[4:5], s[4:5], exec
	s_and_b64 s[22:23], s[22:23], exec
	v_mov_b32_e32 v30, 0
	s_or_b64 s[4:5], s[4:5], s[22:23]
	s_or_b64 exec, exec, s[20:21]
	v_and_b32_e32 v4, 0xffff, v0
	s_and_saveexec_b64 s[20:21], s[4:5]
	s_cbranch_execnz .LBB256_32
	s_branch .LBB256_33
.LBB256_291:                            ;   in Loop: Header=BB256_9 Depth=1
	v_cmp_eq_u16_e64 s[4:5], s26, v4
	s_mov_b64 s[20:21], -1
                                        ; implicit-def: $sgpr28
	s_and_saveexec_b64 s[24:25], s[4:5]
; %bb.292:                              ;   in Loop: Header=BB256_9 Depth=1
	s_mov_b32 s28, 0x7fc02000
	s_xor_b64 s[20:21], exec, -1
; %bb.293:                              ;   in Loop: Header=BB256_9 Depth=1
	s_or_b64 exec, exec, s[24:25]
	s_and_b64 s[20:21], s[20:21], exec
	s_or_saveexec_b64 s[22:23], s[22:23]
	v_mov_b32_e32 v0, s28
	s_xor_b64 exec, exec, s[22:23]
	s_cbranch_execz .LBB256_35
.LBB256_294:                            ;   in Loop: Header=BB256_9 Depth=1
	v_cmp_ne_u16_e64 s[4:5], 0, v4
	s_andn2_b64 s[20:21], s[20:21], exec
	s_and_b64 s[4:5], s[4:5], exec
	v_mov_b32_e32 v0, 0
	s_or_b64 s[20:21], s[20:21], s[4:5]
	s_or_b64 exec, exec, s[22:23]
	s_and_saveexec_b64 s[22:23], s[20:21]
	s_cbranch_execnz .LBB256_36
	s_branch .LBB256_37
.LBB256_295:                            ;   in Loop: Header=BB256_9 Depth=1
	v_cmp_eq_u16_sdwa s[28:29], v0, s26 src0_sel:BYTE_0 src1_sel:DWORD
	s_mov_b64 s[4:5], -1
                                        ; implicit-def: $sgpr24
	s_and_saveexec_b64 s[22:23], s[28:29]
; %bb.296:                              ;   in Loop: Header=BB256_9 Depth=1
	s_mov_b32 s24, 0x7fc02000
	s_xor_b64 s[4:5], exec, -1
; %bb.297:                              ;   in Loop: Header=BB256_9 Depth=1
	s_or_b64 exec, exec, s[22:23]
	s_and_b64 s[4:5], s[4:5], exec
	s_or_saveexec_b64 s[20:21], s[20:21]
	v_mov_b32_e32 v37, s24
	s_xor_b64 exec, exec, s[20:21]
	s_cbranch_execz .LBB256_39
.LBB256_298:                            ;   in Loop: Header=BB256_9 Depth=1
	v_cmp_ne_u16_sdwa s[22:23], v0, v5 src0_sel:BYTE_0 src1_sel:DWORD
	s_andn2_b64 s[4:5], s[4:5], exec
	s_and_b64 s[22:23], s[22:23], exec
	v_mov_b32_e32 v37, 0
	s_or_b64 s[4:5], s[4:5], s[22:23]
	s_or_b64 exec, exec, s[20:21]
	v_and_b32_e32 v4, 0xffff, v0
	s_and_saveexec_b64 s[20:21], s[4:5]
	s_cbranch_execnz .LBB256_40
	s_branch .LBB256_41
.LBB256_299:                            ;   in Loop: Header=BB256_9 Depth=1
	v_cmp_eq_u16_e64 s[4:5], s26, v4
	s_mov_b64 s[20:21], -1
                                        ; implicit-def: $sgpr28
	s_and_saveexec_b64 s[24:25], s[4:5]
; %bb.300:                              ;   in Loop: Header=BB256_9 Depth=1
	s_mov_b32 s28, 0x7fc02000
	s_xor_b64 s[20:21], exec, -1
; %bb.301:                              ;   in Loop: Header=BB256_9 Depth=1
	s_or_b64 exec, exec, s[24:25]
	s_and_b64 s[20:21], s[20:21], exec
	s_or_saveexec_b64 s[22:23], s[22:23]
	v_mov_b32_e32 v59, s28
	s_xor_b64 exec, exec, s[22:23]
	s_cbranch_execz .LBB256_43
.LBB256_302:                            ;   in Loop: Header=BB256_9 Depth=1
	v_cmp_ne_u16_e64 s[4:5], 0, v4
	s_andn2_b64 s[20:21], s[20:21], exec
	s_and_b64 s[4:5], s[4:5], exec
	v_mov_b32_e32 v59, 0
	s_or_b64 s[20:21], s[20:21], s[4:5]
	s_or_b64 exec, exec, s[22:23]
	s_and_saveexec_b64 s[22:23], s[20:21]
	s_cbranch_execnz .LBB256_44
	s_branch .LBB256_45
.LBB256_303:                            ;   in Loop: Header=BB256_9 Depth=1
	v_cmp_eq_u16_sdwa s[28:29], v0, s26 src0_sel:BYTE_0 src1_sel:DWORD
	s_mov_b64 s[4:5], -1
                                        ; implicit-def: $sgpr24
	s_and_saveexec_b64 s[22:23], s[28:29]
; %bb.304:                              ;   in Loop: Header=BB256_9 Depth=1
	s_mov_b32 s24, 0x7fc02000
	s_xor_b64 s[4:5], exec, -1
; %bb.305:                              ;   in Loop: Header=BB256_9 Depth=1
	s_or_b64 exec, exec, s[22:23]
	s_and_b64 s[4:5], s[4:5], exec
	s_or_saveexec_b64 s[20:21], s[20:21]
	v_mov_b32_e32 v60, s24
	s_xor_b64 exec, exec, s[20:21]
	s_cbranch_execz .LBB256_47
.LBB256_306:                            ;   in Loop: Header=BB256_9 Depth=1
	v_cmp_ne_u16_sdwa s[22:23], v0, v5 src0_sel:BYTE_0 src1_sel:DWORD
	s_andn2_b64 s[4:5], s[4:5], exec
	s_and_b64 s[22:23], s[22:23], exec
	v_mov_b32_e32 v60, 0
	s_or_b64 s[4:5], s[4:5], s[22:23]
	s_or_b64 exec, exec, s[20:21]
	v_and_b32_e32 v4, 0xffff, v0
	s_and_saveexec_b64 s[20:21], s[4:5]
	s_cbranch_execnz .LBB256_48
	s_branch .LBB256_49
.LBB256_307:                            ;   in Loop: Header=BB256_9 Depth=1
	v_cmp_eq_u16_e64 s[4:5], s26, v4
	s_mov_b64 s[20:21], -1
                                        ; implicit-def: $sgpr28
	s_and_saveexec_b64 s[24:25], s[4:5]
; %bb.308:                              ;   in Loop: Header=BB256_9 Depth=1
	s_mov_b32 s28, 0x7fc02000
	s_xor_b64 s[20:21], exec, -1
; %bb.309:                              ;   in Loop: Header=BB256_9 Depth=1
	s_or_b64 exec, exec, s[24:25]
	s_and_b64 s[20:21], s[20:21], exec
	s_or_saveexec_b64 s[22:23], s[22:23]
	v_mov_b32_e32 v61, s28
	s_xor_b64 exec, exec, s[22:23]
	s_cbranch_execz .LBB256_51
.LBB256_310:                            ;   in Loop: Header=BB256_9 Depth=1
	v_cmp_ne_u16_e64 s[4:5], 0, v4
	s_andn2_b64 s[20:21], s[20:21], exec
	s_and_b64 s[4:5], s[4:5], exec
	v_mov_b32_e32 v61, 0
	s_or_b64 s[20:21], s[20:21], s[4:5]
	s_or_b64 exec, exec, s[22:23]
	s_and_saveexec_b64 s[22:23], s[20:21]
	s_cbranch_execnz .LBB256_52
	s_branch .LBB256_53
.LBB256_311:                            ;   in Loop: Header=BB256_9 Depth=1
	v_cmp_eq_u16_sdwa s[28:29], v0, s26 src0_sel:BYTE_0 src1_sel:DWORD
	s_mov_b64 s[4:5], -1
                                        ; implicit-def: $sgpr24
	s_and_saveexec_b64 s[22:23], s[28:29]
; %bb.312:                              ;   in Loop: Header=BB256_9 Depth=1
	s_mov_b32 s24, 0x7fc02000
	s_xor_b64 s[4:5], exec, -1
; %bb.313:                              ;   in Loop: Header=BB256_9 Depth=1
	s_or_b64 exec, exec, s[22:23]
	s_and_b64 s[4:5], s[4:5], exec
	s_or_saveexec_b64 s[20:21], s[20:21]
	v_mov_b32_e32 v62, s24
	s_xor_b64 exec, exec, s[20:21]
	s_cbranch_execz .LBB256_55
.LBB256_314:                            ;   in Loop: Header=BB256_9 Depth=1
	v_cmp_ne_u16_sdwa s[22:23], v0, v5 src0_sel:BYTE_0 src1_sel:DWORD
	s_andn2_b64 s[4:5], s[4:5], exec
	s_and_b64 s[22:23], s[22:23], exec
	v_mov_b32_e32 v62, 0
	s_or_b64 s[4:5], s[4:5], s[22:23]
	s_or_b64 exec, exec, s[20:21]
	v_and_b32_e32 v4, 0xffff, v0
	s_and_saveexec_b64 s[20:21], s[4:5]
	s_cbranch_execnz .LBB256_56
	s_branch .LBB256_57
.LBB256_315:                            ;   in Loop: Header=BB256_9 Depth=1
	v_cmp_eq_u16_e64 s[4:5], s26, v4
	s_mov_b64 s[20:21], -1
                                        ; implicit-def: $sgpr28
	s_and_saveexec_b64 s[24:25], s[4:5]
; %bb.316:                              ;   in Loop: Header=BB256_9 Depth=1
	s_mov_b32 s28, 0x7fc02000
	s_xor_b64 s[20:21], exec, -1
; %bb.317:                              ;   in Loop: Header=BB256_9 Depth=1
	s_or_b64 exec, exec, s[24:25]
	s_and_b64 s[20:21], s[20:21], exec
	s_or_saveexec_b64 s[22:23], s[22:23]
	v_mov_b32_e32 v63, s28
	s_xor_b64 exec, exec, s[22:23]
	s_cbranch_execz .LBB256_59
.LBB256_318:                            ;   in Loop: Header=BB256_9 Depth=1
	v_cmp_ne_u16_e64 s[4:5], 0, v4
	s_andn2_b64 s[20:21], s[20:21], exec
	s_and_b64 s[4:5], s[4:5], exec
	v_mov_b32_e32 v63, 0
	s_or_b64 s[20:21], s[20:21], s[4:5]
	s_or_b64 exec, exec, s[22:23]
	s_and_saveexec_b64 s[22:23], s[20:21]
	s_cbranch_execnz .LBB256_60
	s_branch .LBB256_61
.LBB256_319:                            ;   in Loop: Header=BB256_9 Depth=1
	v_cmp_eq_u16_sdwa s[28:29], v0, s26 src0_sel:BYTE_0 src1_sel:DWORD
	s_mov_b64 s[4:5], -1
                                        ; implicit-def: $sgpr24
	s_and_saveexec_b64 s[22:23], s[28:29]
; %bb.320:                              ;   in Loop: Header=BB256_9 Depth=1
	s_mov_b32 s24, 0x7fc02000
	s_xor_b64 s[4:5], exec, -1
; %bb.321:                              ;   in Loop: Header=BB256_9 Depth=1
	s_or_b64 exec, exec, s[22:23]
	s_and_b64 s[4:5], s[4:5], exec
	s_or_saveexec_b64 s[20:21], s[20:21]
	v_mov_b32_e32 v57, s24
	s_xor_b64 exec, exec, s[20:21]
	s_cbranch_execz .LBB256_63
.LBB256_322:                            ;   in Loop: Header=BB256_9 Depth=1
	v_cmp_ne_u16_sdwa s[22:23], v0, v5 src0_sel:BYTE_0 src1_sel:DWORD
	s_andn2_b64 s[4:5], s[4:5], exec
	s_and_b64 s[22:23], s[22:23], exec
	v_mov_b32_e32 v57, 0
	s_or_b64 s[4:5], s[4:5], s[22:23]
	s_or_b64 exec, exec, s[20:21]
	v_and_b32_e32 v4, 0xffff, v0
	s_and_saveexec_b64 s[20:21], s[4:5]
	s_cbranch_execnz .LBB256_64
	s_branch .LBB256_65
.LBB256_323:                            ;   in Loop: Header=BB256_9 Depth=1
	v_cmp_eq_u16_e64 s[4:5], s26, v4
	s_mov_b64 s[20:21], -1
                                        ; implicit-def: $sgpr28
	s_and_saveexec_b64 s[24:25], s[4:5]
; %bb.324:                              ;   in Loop: Header=BB256_9 Depth=1
	s_mov_b32 s28, 0x7fc02000
	s_xor_b64 s[20:21], exec, -1
; %bb.325:                              ;   in Loop: Header=BB256_9 Depth=1
	s_or_b64 exec, exec, s[24:25]
	s_and_b64 s[20:21], s[20:21], exec
	s_or_saveexec_b64 s[22:23], s[22:23]
	v_mov_b32_e32 v0, s28
	s_xor_b64 exec, exec, s[22:23]
	s_cbranch_execz .LBB256_67
.LBB256_326:                            ;   in Loop: Header=BB256_9 Depth=1
	v_cmp_ne_u16_e64 s[4:5], 0, v4
	s_andn2_b64 s[20:21], s[20:21], exec
	s_and_b64 s[4:5], s[4:5], exec
	v_mov_b32_e32 v0, 0
	s_or_b64 s[20:21], s[20:21], s[4:5]
	s_or_b64 exec, exec, s[22:23]
	s_and_saveexec_b64 s[22:23], s[20:21]
	s_cbranch_execnz .LBB256_68
	s_branch .LBB256_69
.LBB256_327:                            ;   in Loop: Header=BB256_9 Depth=1
	v_cmp_eq_u16_sdwa s[28:29], v0, s26 src0_sel:BYTE_0 src1_sel:DWORD
	s_mov_b64 s[4:5], -1
                                        ; implicit-def: $sgpr24
	s_and_saveexec_b64 s[22:23], s[28:29]
; %bb.328:                              ;   in Loop: Header=BB256_9 Depth=1
	s_mov_b32 s24, 0x7fc02000
	s_xor_b64 s[4:5], exec, -1
; %bb.329:                              ;   in Loop: Header=BB256_9 Depth=1
	s_or_b64 exec, exec, s[22:23]
	s_and_b64 s[4:5], s[4:5], exec
	s_or_saveexec_b64 s[20:21], s[20:21]
	v_mov_b32_e32 v58, s24
	s_xor_b64 exec, exec, s[20:21]
	s_cbranch_execz .LBB256_71
.LBB256_330:                            ;   in Loop: Header=BB256_9 Depth=1
	v_cmp_ne_u16_sdwa s[22:23], v0, v5 src0_sel:BYTE_0 src1_sel:DWORD
	s_andn2_b64 s[4:5], s[4:5], exec
	s_and_b64 s[22:23], s[22:23], exec
	v_mov_b32_e32 v58, 0
	s_or_b64 s[4:5], s[4:5], s[22:23]
	s_or_b64 exec, exec, s[20:21]
	v_and_b32_e32 v4, 0xffff, v0
	s_and_saveexec_b64 s[20:21], s[4:5]
	s_cbranch_execnz .LBB256_72
	s_branch .LBB256_73
.LBB256_331:                            ;   in Loop: Header=BB256_9 Depth=1
	v_cmp_eq_u16_e64 s[4:5], s26, v4
	s_mov_b64 s[20:21], -1
                                        ; implicit-def: $sgpr28
	s_and_saveexec_b64 s[24:25], s[4:5]
; %bb.332:                              ;   in Loop: Header=BB256_9 Depth=1
	s_mov_b32 s28, 0x7fc02000
	s_xor_b64 s[20:21], exec, -1
; %bb.333:                              ;   in Loop: Header=BB256_9 Depth=1
	s_or_b64 exec, exec, s[24:25]
	s_and_b64 s[20:21], s[20:21], exec
	s_or_saveexec_b64 s[22:23], s[22:23]
	v_mov_b32_e32 v0, s28
	s_xor_b64 exec, exec, s[22:23]
	s_cbranch_execz .LBB256_75
.LBB256_334:                            ;   in Loop: Header=BB256_9 Depth=1
	v_cmp_ne_u16_e64 s[4:5], 0, v4
	s_andn2_b64 s[20:21], s[20:21], exec
	s_and_b64 s[4:5], s[4:5], exec
	v_mov_b32_e32 v0, 0
	s_or_b64 s[20:21], s[20:21], s[4:5]
	s_or_b64 exec, exec, s[22:23]
	s_and_saveexec_b64 s[22:23], s[20:21]
	s_cbranch_execnz .LBB256_76
	s_branch .LBB256_77
.LBB256_335:                            ;   in Loop: Header=BB256_9 Depth=1
	v_cmp_eq_u16_sdwa s[28:29], v0, s26 src0_sel:BYTE_0 src1_sel:DWORD
	s_mov_b64 s[4:5], -1
                                        ; implicit-def: $sgpr24
	s_and_saveexec_b64 s[22:23], s[28:29]
; %bb.336:                              ;   in Loop: Header=BB256_9 Depth=1
	s_mov_b32 s24, 0x7fc02000
	s_xor_b64 s[4:5], exec, -1
; %bb.337:                              ;   in Loop: Header=BB256_9 Depth=1
	s_or_b64 exec, exec, s[22:23]
	s_and_b64 s[4:5], s[4:5], exec
	s_or_saveexec_b64 s[20:21], s[20:21]
	v_mov_b32_e32 v26, s24
	s_xor_b64 exec, exec, s[20:21]
	s_cbranch_execz .LBB256_79
.LBB256_338:                            ;   in Loop: Header=BB256_9 Depth=1
	v_cmp_ne_u16_sdwa s[22:23], v0, v5 src0_sel:BYTE_0 src1_sel:DWORD
	s_andn2_b64 s[4:5], s[4:5], exec
	s_and_b64 s[22:23], s[22:23], exec
	v_mov_b32_e32 v26, 0
	s_or_b64 s[4:5], s[4:5], s[22:23]
	s_or_b64 exec, exec, s[20:21]
	v_and_b32_e32 v4, 0xffff, v0
	s_and_saveexec_b64 s[20:21], s[4:5]
	s_cbranch_execnz .LBB256_80
	s_branch .LBB256_81
.LBB256_339:                            ;   in Loop: Header=BB256_9 Depth=1
	v_cmp_eq_u16_e64 s[4:5], s26, v4
	s_mov_b64 s[20:21], -1
                                        ; implicit-def: $sgpr28
	s_and_saveexec_b64 s[24:25], s[4:5]
; %bb.340:                              ;   in Loop: Header=BB256_9 Depth=1
	s_mov_b32 s28, 0x7fc02000
	s_xor_b64 s[20:21], exec, -1
; %bb.341:                              ;   in Loop: Header=BB256_9 Depth=1
	s_or_b64 exec, exec, s[24:25]
	s_and_b64 s[20:21], s[20:21], exec
	s_or_saveexec_b64 s[22:23], s[22:23]
	v_mov_b32_e32 v0, s28
	s_xor_b64 exec, exec, s[22:23]
	s_cbranch_execz .LBB256_83
.LBB256_342:                            ;   in Loop: Header=BB256_9 Depth=1
	v_cmp_ne_u16_e64 s[4:5], 0, v4
	s_andn2_b64 s[20:21], s[20:21], exec
	s_and_b64 s[4:5], s[4:5], exec
	v_mov_b32_e32 v0, 0
	s_or_b64 s[20:21], s[20:21], s[4:5]
	s_or_b64 exec, exec, s[22:23]
	s_and_saveexec_b64 s[22:23], s[20:21]
	s_cbranch_execnz .LBB256_84
	s_branch .LBB256_85
.LBB256_343:                            ;   in Loop: Header=BB256_9 Depth=1
	v_cmp_eq_u16_sdwa s[28:29], v0, s26 src0_sel:BYTE_0 src1_sel:DWORD
	s_mov_b64 s[4:5], -1
                                        ; implicit-def: $sgpr24
	s_and_saveexec_b64 s[22:23], s[28:29]
; %bb.344:                              ;   in Loop: Header=BB256_9 Depth=1
	s_mov_b32 s24, 0x7fc02000
	s_xor_b64 s[4:5], exec, -1
; %bb.345:                              ;   in Loop: Header=BB256_9 Depth=1
	s_or_b64 exec, exec, s[22:23]
	s_and_b64 s[4:5], s[4:5], exec
	s_or_saveexec_b64 s[20:21], s[20:21]
	v_mov_b32_e32 v27, s24
	s_xor_b64 exec, exec, s[20:21]
	s_cbranch_execz .LBB256_87
.LBB256_346:                            ;   in Loop: Header=BB256_9 Depth=1
	v_cmp_ne_u16_sdwa s[22:23], v0, v5 src0_sel:BYTE_0 src1_sel:DWORD
	s_andn2_b64 s[4:5], s[4:5], exec
	s_and_b64 s[22:23], s[22:23], exec
	v_mov_b32_e32 v27, 0
	s_or_b64 s[4:5], s[4:5], s[22:23]
	s_or_b64 exec, exec, s[20:21]
	v_and_b32_e32 v4, 0xffff, v0
	s_and_saveexec_b64 s[20:21], s[4:5]
	s_cbranch_execnz .LBB256_88
	s_branch .LBB256_89
.LBB256_347:                            ;   in Loop: Header=BB256_9 Depth=1
	v_cmp_eq_u16_e64 s[4:5], s26, v4
	s_mov_b64 s[20:21], -1
                                        ; implicit-def: $sgpr28
	s_and_saveexec_b64 s[24:25], s[4:5]
; %bb.348:                              ;   in Loop: Header=BB256_9 Depth=1
	s_mov_b32 s28, 0x7fc02000
	s_xor_b64 s[20:21], exec, -1
; %bb.349:                              ;   in Loop: Header=BB256_9 Depth=1
	s_or_b64 exec, exec, s[24:25]
	s_and_b64 s[20:21], s[20:21], exec
	s_or_saveexec_b64 s[22:23], s[22:23]
	v_mov_b32_e32 v0, s28
	s_xor_b64 exec, exec, s[22:23]
	s_cbranch_execz .LBB256_91
.LBB256_350:                            ;   in Loop: Header=BB256_9 Depth=1
	v_cmp_ne_u16_e64 s[4:5], 0, v4
	s_andn2_b64 s[20:21], s[20:21], exec
	s_and_b64 s[4:5], s[4:5], exec
	v_mov_b32_e32 v0, 0
	s_or_b64 s[20:21], s[20:21], s[4:5]
	s_or_b64 exec, exec, s[22:23]
	s_and_saveexec_b64 s[22:23], s[20:21]
	s_cbranch_execnz .LBB256_92
	s_branch .LBB256_93
.LBB256_351:                            ;   in Loop: Header=BB256_9 Depth=1
	v_cmp_eq_u16_sdwa s[28:29], v0, s26 src0_sel:BYTE_0 src1_sel:DWORD
	s_mov_b64 s[4:5], -1
                                        ; implicit-def: $sgpr24
	s_and_saveexec_b64 s[22:23], s[28:29]
; %bb.352:                              ;   in Loop: Header=BB256_9 Depth=1
	s_mov_b32 s24, 0x7fc02000
	s_xor_b64 s[4:5], exec, -1
; %bb.353:                              ;   in Loop: Header=BB256_9 Depth=1
	s_or_b64 exec, exec, s[22:23]
	s_and_b64 s[4:5], s[4:5], exec
	s_or_saveexec_b64 s[20:21], s[20:21]
	v_mov_b32_e32 v31, s24
	s_xor_b64 exec, exec, s[20:21]
	s_cbranch_execz .LBB256_95
.LBB256_354:                            ;   in Loop: Header=BB256_9 Depth=1
	v_cmp_ne_u16_sdwa s[22:23], v0, v5 src0_sel:BYTE_0 src1_sel:DWORD
	s_andn2_b64 s[4:5], s[4:5], exec
	s_and_b64 s[22:23], s[22:23], exec
	v_mov_b32_e32 v31, 0
	s_or_b64 s[4:5], s[4:5], s[22:23]
	s_or_b64 exec, exec, s[20:21]
	v_and_b32_e32 v4, 0xffff, v0
	s_and_saveexec_b64 s[20:21], s[4:5]
	s_cbranch_execnz .LBB256_96
	s_branch .LBB256_97
.LBB256_355:                            ;   in Loop: Header=BB256_9 Depth=1
	v_cmp_eq_u16_e64 s[4:5], s26, v4
	s_mov_b64 s[20:21], -1
                                        ; implicit-def: $sgpr28
	s_and_saveexec_b64 s[24:25], s[4:5]
; %bb.356:                              ;   in Loop: Header=BB256_9 Depth=1
	s_mov_b32 s28, 0x7fc02000
	s_xor_b64 s[20:21], exec, -1
; %bb.357:                              ;   in Loop: Header=BB256_9 Depth=1
	s_or_b64 exec, exec, s[24:25]
	s_and_b64 s[20:21], s[20:21], exec
	s_or_saveexec_b64 s[22:23], s[22:23]
	v_mov_b32_e32 v0, s28
	s_xor_b64 exec, exec, s[22:23]
	s_cbranch_execz .LBB256_99
.LBB256_358:                            ;   in Loop: Header=BB256_9 Depth=1
	v_cmp_ne_u16_e64 s[4:5], 0, v4
	s_andn2_b64 s[20:21], s[20:21], exec
	s_and_b64 s[4:5], s[4:5], exec
	v_mov_b32_e32 v0, 0
	s_or_b64 s[20:21], s[20:21], s[4:5]
	s_or_b64 exec, exec, s[22:23]
	s_and_saveexec_b64 s[22:23], s[20:21]
	s_cbranch_execnz .LBB256_100
	s_branch .LBB256_101
.LBB256_359:                            ;   in Loop: Header=BB256_9 Depth=1
	v_cmp_eq_u16_sdwa s[28:29], v0, s26 src0_sel:BYTE_0 src1_sel:DWORD
	s_mov_b64 s[4:5], -1
                                        ; implicit-def: $sgpr24
	s_and_saveexec_b64 s[22:23], s[28:29]
; %bb.360:                              ;   in Loop: Header=BB256_9 Depth=1
	s_mov_b32 s24, 0x7fc02000
	s_xor_b64 s[4:5], exec, -1
; %bb.361:                              ;   in Loop: Header=BB256_9 Depth=1
	s_or_b64 exec, exec, s[22:23]
	s_and_b64 s[4:5], s[4:5], exec
	s_or_saveexec_b64 s[20:21], s[20:21]
	v_mov_b32_e32 v36, s24
	s_xor_b64 exec, exec, s[20:21]
	s_cbranch_execz .LBB256_103
.LBB256_362:                            ;   in Loop: Header=BB256_9 Depth=1
	v_cmp_ne_u16_sdwa s[22:23], v0, v5 src0_sel:BYTE_0 src1_sel:DWORD
	s_andn2_b64 s[4:5], s[4:5], exec
	s_and_b64 s[22:23], s[22:23], exec
	v_mov_b32_e32 v36, 0
	s_or_b64 s[4:5], s[4:5], s[22:23]
	s_or_b64 exec, exec, s[20:21]
	v_and_b32_e32 v4, 0xffff, v0
	s_and_saveexec_b64 s[20:21], s[4:5]
	s_cbranch_execnz .LBB256_104
	s_branch .LBB256_105
.LBB256_363:                            ;   in Loop: Header=BB256_9 Depth=1
	v_cmp_eq_u16_e64 s[4:5], s26, v4
	s_mov_b64 s[20:21], -1
                                        ; implicit-def: $sgpr28
	s_and_saveexec_b64 s[24:25], s[4:5]
; %bb.364:                              ;   in Loop: Header=BB256_9 Depth=1
	s_mov_b32 s28, 0x7fc02000
	s_xor_b64 s[20:21], exec, -1
; %bb.365:                              ;   in Loop: Header=BB256_9 Depth=1
	s_or_b64 exec, exec, s[24:25]
	s_and_b64 s[20:21], s[20:21], exec
	s_or_saveexec_b64 s[22:23], s[22:23]
	v_mov_b32_e32 v0, s28
	s_xor_b64 exec, exec, s[22:23]
	s_cbranch_execz .LBB256_107
.LBB256_366:                            ;   in Loop: Header=BB256_9 Depth=1
	v_cmp_ne_u16_e64 s[4:5], 0, v4
	s_andn2_b64 s[20:21], s[20:21], exec
	s_and_b64 s[4:5], s[4:5], exec
	v_mov_b32_e32 v0, 0
	s_or_b64 s[20:21], s[20:21], s[4:5]
	s_or_b64 exec, exec, s[22:23]
	s_and_saveexec_b64 s[22:23], s[20:21]
	s_cbranch_execnz .LBB256_108
	s_branch .LBB256_109
.LBB256_367:                            ;   in Loop: Header=BB256_9 Depth=1
	v_cmp_eq_u16_sdwa s[28:29], v0, s26 src0_sel:BYTE_0 src1_sel:DWORD
	s_mov_b64 s[4:5], -1
                                        ; implicit-def: $sgpr24
	s_and_saveexec_b64 s[22:23], s[28:29]
; %bb.368:                              ;   in Loop: Header=BB256_9 Depth=1
	s_mov_b32 s24, 0x7fc02000
	s_xor_b64 s[4:5], exec, -1
; %bb.369:                              ;   in Loop: Header=BB256_9 Depth=1
	s_or_b64 exec, exec, s[22:23]
	s_and_b64 s[4:5], s[4:5], exec
	s_or_saveexec_b64 s[20:21], s[20:21]
	v_mov_b32_e32 v1, s24
	s_xor_b64 exec, exec, s[20:21]
	s_cbranch_execz .LBB256_111
.LBB256_370:                            ;   in Loop: Header=BB256_9 Depth=1
	v_cmp_ne_u16_sdwa s[22:23], v0, v5 src0_sel:BYTE_0 src1_sel:DWORD
	s_andn2_b64 s[4:5], s[4:5], exec
	s_and_b64 s[22:23], s[22:23], exec
	v_mov_b32_e32 v1, 0
	s_or_b64 s[4:5], s[4:5], s[22:23]
	s_or_b64 exec, exec, s[20:21]
	v_and_b32_e32 v4, 0xffff, v0
	s_and_saveexec_b64 s[20:21], s[4:5]
	s_cbranch_execnz .LBB256_112
	s_branch .LBB256_113
.LBB256_371:                            ;   in Loop: Header=BB256_9 Depth=1
	v_cmp_eq_u16_e64 s[4:5], s26, v4
	s_mov_b64 s[20:21], -1
                                        ; implicit-def: $sgpr28
	s_and_saveexec_b64 s[24:25], s[4:5]
; %bb.372:                              ;   in Loop: Header=BB256_9 Depth=1
	s_mov_b32 s28, 0x7fc02000
	s_xor_b64 s[20:21], exec, -1
; %bb.373:                              ;   in Loop: Header=BB256_9 Depth=1
	s_or_b64 exec, exec, s[24:25]
	s_and_b64 s[20:21], s[20:21], exec
	s_or_saveexec_b64 s[22:23], s[22:23]
	v_mov_b32_e32 v39, s28
	s_xor_b64 exec, exec, s[22:23]
	s_cbranch_execz .LBB256_115
.LBB256_374:                            ;   in Loop: Header=BB256_9 Depth=1
	v_cmp_ne_u16_e64 s[4:5], 0, v4
	s_andn2_b64 s[20:21], s[20:21], exec
	s_and_b64 s[4:5], s[4:5], exec
	v_mov_b32_e32 v39, 0
	s_or_b64 s[20:21], s[20:21], s[4:5]
	s_or_b64 exec, exec, s[22:23]
	v_accvgpr_write_b32 a39, v1
	s_and_saveexec_b64 s[22:23], s[20:21]
	s_cbranch_execnz .LBB256_116
	s_branch .LBB256_117
.LBB256_375:                            ;   in Loop: Header=BB256_9 Depth=1
	v_cmp_eq_u16_sdwa s[28:29], v1, s26 src0_sel:BYTE_0 src1_sel:DWORD
	s_mov_b64 s[4:5], -1
                                        ; implicit-def: $sgpr24
	s_and_saveexec_b64 s[22:23], s[28:29]
; %bb.376:                              ;   in Loop: Header=BB256_9 Depth=1
	s_mov_b32 s24, 0x7fc02000
	s_xor_b64 s[4:5], exec, -1
; %bb.377:                              ;   in Loop: Header=BB256_9 Depth=1
	s_or_b64 exec, exec, s[22:23]
	s_and_b64 s[4:5], s[4:5], exec
	s_or_saveexec_b64 s[20:21], s[20:21]
	v_mov_b32_e32 v0, s24
	s_xor_b64 exec, exec, s[20:21]
	s_cbranch_execz .LBB256_119
.LBB256_378:                            ;   in Loop: Header=BB256_9 Depth=1
	v_cmp_ne_u16_sdwa s[22:23], v1, v5 src0_sel:BYTE_0 src1_sel:DWORD
	s_andn2_b64 s[4:5], s[4:5], exec
	s_and_b64 s[22:23], s[22:23], exec
	v_mov_b32_e32 v0, 0
	s_or_b64 s[4:5], s[4:5], s[22:23]
	s_or_b64 exec, exec, s[20:21]
	v_and_b32_e32 v4, 0xffff, v1
	s_and_saveexec_b64 s[20:21], s[4:5]
	s_cbranch_execnz .LBB256_120
	s_branch .LBB256_121
.LBB256_379:                            ;   in Loop: Header=BB256_9 Depth=1
	v_cmp_eq_u16_e64 s[4:5], s26, v4
	s_mov_b64 s[20:21], -1
                                        ; implicit-def: $sgpr28
	s_and_saveexec_b64 s[24:25], s[4:5]
; %bb.380:                              ;   in Loop: Header=BB256_9 Depth=1
	s_mov_b32 s28, 0x7fc02000
	s_xor_b64 s[20:21], exec, -1
; %bb.381:                              ;   in Loop: Header=BB256_9 Depth=1
	s_or_b64 exec, exec, s[24:25]
	s_and_b64 s[20:21], s[20:21], exec
	s_or_saveexec_b64 s[22:23], s[22:23]
	v_mov_b32_e32 v1, s28
	s_xor_b64 exec, exec, s[22:23]
	s_cbranch_execz .LBB256_123
.LBB256_382:                            ;   in Loop: Header=BB256_9 Depth=1
	v_cmp_ne_u16_e64 s[4:5], 0, v4
	s_andn2_b64 s[20:21], s[20:21], exec
	s_and_b64 s[4:5], s[4:5], exec
	v_mov_b32_e32 v1, 0
	s_or_b64 s[20:21], s[20:21], s[4:5]
	s_or_b64 exec, exec, s[22:23]
	s_and_saveexec_b64 s[22:23], s[20:21]
	s_cbranch_execnz .LBB256_124
	s_branch .LBB256_125
.LBB256_383:                            ;   in Loop: Header=BB256_9 Depth=1
	v_cmp_eq_u16_sdwa s[28:29], v4, s26 src0_sel:BYTE_0 src1_sel:DWORD
	s_mov_b64 s[4:5], -1
                                        ; implicit-def: $sgpr24
	s_and_saveexec_b64 s[22:23], s[28:29]
; %bb.384:                              ;   in Loop: Header=BB256_9 Depth=1
	s_mov_b32 s24, 0x7fc02000
	s_xor_b64 s[4:5], exec, -1
; %bb.385:                              ;   in Loop: Header=BB256_9 Depth=1
	s_or_b64 exec, exec, s[22:23]
	s_and_b64 s[4:5], s[4:5], exec
	s_or_saveexec_b64 s[20:21], s[20:21]
	v_mov_b32_e32 v14, s24
	s_xor_b64 exec, exec, s[20:21]
	s_cbranch_execz .LBB256_127
.LBB256_386:                            ;   in Loop: Header=BB256_9 Depth=1
	v_cmp_ne_u16_sdwa s[22:23], v4, v5 src0_sel:BYTE_0 src1_sel:DWORD
	s_andn2_b64 s[4:5], s[4:5], exec
	s_and_b64 s[22:23], s[22:23], exec
	v_mov_b32_e32 v14, 0
	s_or_b64 s[4:5], s[4:5], s[22:23]
	s_or_b64 exec, exec, s[20:21]
	v_and_b32_e32 v4, 0xffff, v4
	s_and_saveexec_b64 s[20:21], s[4:5]
	s_cbranch_execnz .LBB256_128
	s_branch .LBB256_129
.LBB256_387:                            ;   in Loop: Header=BB256_9 Depth=1
	v_cmp_eq_u16_e64 s[4:5], s26, v4
	s_mov_b64 s[20:21], -1
                                        ; implicit-def: $sgpr28
	s_and_saveexec_b64 s[24:25], s[4:5]
; %bb.388:                              ;   in Loop: Header=BB256_9 Depth=1
	s_mov_b32 s28, 0x7fc02000
	s_xor_b64 s[20:21], exec, -1
; %bb.389:                              ;   in Loop: Header=BB256_9 Depth=1
	s_or_b64 exec, exec, s[24:25]
	s_and_b64 s[20:21], s[20:21], exec
	s_or_saveexec_b64 s[22:23], s[22:23]
	v_mov_b32_e32 v15, s28
	s_xor_b64 exec, exec, s[22:23]
	s_cbranch_execz .LBB256_131
.LBB256_390:                            ;   in Loop: Header=BB256_9 Depth=1
	v_cmp_ne_u16_e64 s[4:5], 0, v4
	s_andn2_b64 s[20:21], s[20:21], exec
	s_and_b64 s[4:5], s[4:5], exec
	v_mov_b32_e32 v15, 0
	s_or_b64 s[20:21], s[20:21], s[4:5]
	s_or_b64 exec, exec, s[22:23]
	s_and_saveexec_b64 s[22:23], s[20:21]
	s_cbranch_execnz .LBB256_132
	s_branch .LBB256_133
.LBB256_391:                            ;   in Loop: Header=BB256_9 Depth=1
	v_cmp_eq_u16_sdwa s[28:29], v4, s26 src0_sel:BYTE_0 src1_sel:DWORD
	s_mov_b64 s[4:5], -1
                                        ; implicit-def: $sgpr24
	s_and_saveexec_b64 s[22:23], s[28:29]
; %bb.392:                              ;   in Loop: Header=BB256_9 Depth=1
	s_mov_b32 s24, 0x7fc02000
	s_xor_b64 s[4:5], exec, -1
; %bb.393:                              ;   in Loop: Header=BB256_9 Depth=1
	s_or_b64 exec, exec, s[22:23]
	s_and_b64 s[4:5], s[4:5], exec
	s_or_saveexec_b64 s[20:21], s[20:21]
	v_mov_b32_e32 v6, s24
	s_xor_b64 exec, exec, s[20:21]
	s_cbranch_execz .LBB256_135
.LBB256_394:                            ;   in Loop: Header=BB256_9 Depth=1
	v_cmp_ne_u16_sdwa s[22:23], v4, v5 src0_sel:BYTE_0 src1_sel:DWORD
	s_andn2_b64 s[4:5], s[4:5], exec
	s_and_b64 s[22:23], s[22:23], exec
	v_mov_b32_e32 v6, 0
	s_or_b64 s[4:5], s[4:5], s[22:23]
	s_or_b64 exec, exec, s[20:21]
	v_and_b32_e32 v4, 0xffff, v4
	s_and_saveexec_b64 s[20:21], s[4:5]
	s_cbranch_execnz .LBB256_136
	s_branch .LBB256_137
.LBB256_395:                            ;   in Loop: Header=BB256_9 Depth=1
	v_cmp_eq_u16_e64 s[4:5], s26, v4
	s_mov_b64 s[20:21], -1
                                        ; implicit-def: $sgpr28
	s_and_saveexec_b64 s[24:25], s[4:5]
; %bb.396:                              ;   in Loop: Header=BB256_9 Depth=1
	s_mov_b32 s28, 0x7fc02000
	s_xor_b64 s[20:21], exec, -1
; %bb.397:                              ;   in Loop: Header=BB256_9 Depth=1
	s_or_b64 exec, exec, s[24:25]
	s_and_b64 s[20:21], s[20:21], exec
	s_or_saveexec_b64 s[22:23], s[22:23]
	v_mov_b32_e32 v7, s28
	s_xor_b64 exec, exec, s[22:23]
	s_cbranch_execz .LBB256_139
.LBB256_398:                            ;   in Loop: Header=BB256_9 Depth=1
	v_cmp_ne_u16_e64 s[4:5], 0, v4
	s_andn2_b64 s[20:21], s[20:21], exec
	s_and_b64 s[4:5], s[4:5], exec
	v_mov_b32_e32 v7, 0
	s_or_b64 s[20:21], s[20:21], s[4:5]
	s_or_b64 exec, exec, s[22:23]
	s_and_saveexec_b64 s[22:23], s[20:21]
	s_cbranch_execnz .LBB256_140
	s_branch .LBB256_141
.LBB256_399:                            ;   in Loop: Header=BB256_9 Depth=1
	v_cmp_eq_u16_sdwa s[28:29], v4, s26 src0_sel:BYTE_0 src1_sel:DWORD
	s_mov_b64 s[4:5], -1
                                        ; implicit-def: $sgpr24
	s_and_saveexec_b64 s[22:23], s[28:29]
; %bb.400:                              ;   in Loop: Header=BB256_9 Depth=1
	s_mov_b32 s24, 0x7fc02000
	s_xor_b64 s[4:5], exec, -1
; %bb.401:                              ;   in Loop: Header=BB256_9 Depth=1
	s_or_b64 exec, exec, s[22:23]
	s_and_b64 s[4:5], s[4:5], exec
	s_or_saveexec_b64 s[20:21], s[20:21]
	v_mov_b32_e32 v3, s24
	s_xor_b64 exec, exec, s[20:21]
	s_cbranch_execz .LBB256_143
.LBB256_402:                            ;   in Loop: Header=BB256_9 Depth=1
	v_cmp_ne_u16_sdwa s[22:23], v4, v5 src0_sel:BYTE_0 src1_sel:DWORD
	s_andn2_b64 s[4:5], s[4:5], exec
	s_and_b64 s[22:23], s[22:23], exec
	v_mov_b32_e32 v3, 0
	s_or_b64 s[4:5], s[4:5], s[22:23]
	s_or_b64 exec, exec, s[20:21]
	v_and_b32_e32 v4, 0xffff, v4
	s_and_saveexec_b64 s[20:21], s[4:5]
	s_cbranch_execnz .LBB256_144
	s_branch .LBB256_145
.LBB256_403:                            ;   in Loop: Header=BB256_9 Depth=1
	v_cmp_eq_u16_e64 s[4:5], s26, v4
	s_mov_b64 s[20:21], -1
                                        ; implicit-def: $sgpr28
	s_and_saveexec_b64 s[24:25], s[4:5]
; %bb.404:                              ;   in Loop: Header=BB256_9 Depth=1
	s_mov_b32 s28, 0x7fc02000
	s_xor_b64 s[20:21], exec, -1
; %bb.405:                              ;   in Loop: Header=BB256_9 Depth=1
	s_or_b64 exec, exec, s[24:25]
	s_and_b64 s[20:21], s[20:21], exec
	s_or_saveexec_b64 s[22:23], s[22:23]
	v_mov_b32_e32 v11, s28
	s_xor_b64 exec, exec, s[22:23]
	s_cbranch_execz .LBB256_147
.LBB256_406:                            ;   in Loop: Header=BB256_9 Depth=1
	v_cmp_ne_u16_e64 s[4:5], 0, v4
	s_andn2_b64 s[20:21], s[20:21], exec
	s_and_b64 s[4:5], s[4:5], exec
	v_mov_b32_e32 v11, 0
	s_or_b64 s[20:21], s[20:21], s[4:5]
	s_or_b64 exec, exec, s[22:23]
	s_and_saveexec_b64 s[22:23], s[20:21]
	s_cbranch_execnz .LBB256_148
	s_branch .LBB256_149
.LBB256_407:                            ;   in Loop: Header=BB256_9 Depth=1
	v_cmp_eq_u16_sdwa s[28:29], v4, s26 src0_sel:BYTE_0 src1_sel:DWORD
	s_mov_b64 s[4:5], -1
                                        ; implicit-def: $sgpr24
	s_and_saveexec_b64 s[22:23], s[28:29]
; %bb.408:                              ;   in Loop: Header=BB256_9 Depth=1
	s_mov_b32 s24, 0x7fc02000
	s_xor_b64 s[4:5], exec, -1
; %bb.409:                              ;   in Loop: Header=BB256_9 Depth=1
	s_or_b64 exec, exec, s[22:23]
	s_and_b64 s[4:5], s[4:5], exec
	s_or_saveexec_b64 s[20:21], s[20:21]
	v_mov_b32_e32 v8, s24
	s_xor_b64 exec, exec, s[20:21]
	s_cbranch_execz .LBB256_151
.LBB256_410:                            ;   in Loop: Header=BB256_9 Depth=1
	v_cmp_ne_u16_sdwa s[22:23], v4, v5 src0_sel:BYTE_0 src1_sel:DWORD
	s_andn2_b64 s[4:5], s[4:5], exec
	s_and_b64 s[22:23], s[22:23], exec
	v_mov_b32_e32 v8, 0
	s_or_b64 s[4:5], s[4:5], s[22:23]
	s_or_b64 exec, exec, s[20:21]
	v_and_b32_e32 v4, 0xffff, v4
	s_and_saveexec_b64 s[20:21], s[4:5]
	s_cbranch_execnz .LBB256_152
	s_branch .LBB256_153
.LBB256_411:                            ;   in Loop: Header=BB256_9 Depth=1
	v_cmp_eq_u16_e64 s[4:5], s26, v4
	s_mov_b64 s[20:21], -1
                                        ; implicit-def: $sgpr28
	s_and_saveexec_b64 s[24:25], s[4:5]
; %bb.412:                              ;   in Loop: Header=BB256_9 Depth=1
	s_mov_b32 s28, 0x7fc02000
	s_xor_b64 s[20:21], exec, -1
; %bb.413:                              ;   in Loop: Header=BB256_9 Depth=1
	s_or_b64 exec, exec, s[24:25]
	s_and_b64 s[20:21], s[20:21], exec
	s_or_saveexec_b64 s[22:23], s[22:23]
	v_mov_b32_e32 v35, s28
	s_xor_b64 exec, exec, s[22:23]
	s_cbranch_execz .LBB256_155
.LBB256_414:                            ;   in Loop: Header=BB256_9 Depth=1
	v_cmp_ne_u16_e64 s[4:5], 0, v4
	s_andn2_b64 s[20:21], s[20:21], exec
	s_and_b64 s[4:5], s[4:5], exec
	v_mov_b32_e32 v35, 0
	s_or_b64 s[20:21], s[20:21], s[4:5]
	s_or_b64 exec, exec, s[22:23]
	s_and_saveexec_b64 s[22:23], s[20:21]
	s_cbranch_execnz .LBB256_156
	s_branch .LBB256_157
.LBB256_415:                            ;   in Loop: Header=BB256_9 Depth=1
	v_cmp_eq_u16_sdwa s[28:29], v4, s26 src0_sel:BYTE_0 src1_sel:DWORD
	s_mov_b64 s[4:5], -1
                                        ; implicit-def: $sgpr24
	s_and_saveexec_b64 s[22:23], s[28:29]
; %bb.416:                              ;   in Loop: Header=BB256_9 Depth=1
	s_mov_b32 s24, 0x7fc02000
	s_xor_b64 s[4:5], exec, -1
; %bb.417:                              ;   in Loop: Header=BB256_9 Depth=1
	s_or_b64 exec, exec, s[22:23]
	s_and_b64 s[4:5], s[4:5], exec
	s_or_saveexec_b64 s[20:21], s[20:21]
	v_mov_b32_e32 v10, s24
	s_xor_b64 exec, exec, s[20:21]
	s_cbranch_execz .LBB256_159
.LBB256_418:                            ;   in Loop: Header=BB256_9 Depth=1
	v_cmp_ne_u16_sdwa s[22:23], v4, v5 src0_sel:BYTE_0 src1_sel:DWORD
	s_andn2_b64 s[4:5], s[4:5], exec
	s_and_b64 s[22:23], s[22:23], exec
	v_mov_b32_e32 v10, 0
	s_or_b64 s[4:5], s[4:5], s[22:23]
	s_or_b64 exec, exec, s[20:21]
	v_and_b32_e32 v4, 0xffff, v4
	s_and_saveexec_b64 s[20:21], s[4:5]
	s_cbranch_execnz .LBB256_160
	s_branch .LBB256_161
.LBB256_419:                            ;   in Loop: Header=BB256_9 Depth=1
	v_cmp_eq_u16_e64 s[4:5], s26, v4
	s_mov_b64 s[20:21], -1
                                        ; implicit-def: $sgpr28
	s_and_saveexec_b64 s[24:25], s[4:5]
; %bb.420:                              ;   in Loop: Header=BB256_9 Depth=1
	s_mov_b32 s28, 0x7fc02000
	s_xor_b64 s[20:21], exec, -1
; %bb.421:                              ;   in Loop: Header=BB256_9 Depth=1
	s_or_b64 exec, exec, s[24:25]
	s_and_b64 s[20:21], s[20:21], exec
	s_or_saveexec_b64 s[22:23], s[22:23]
	v_mov_b32_e32 v32, s28
	s_xor_b64 exec, exec, s[22:23]
	s_cbranch_execz .LBB256_163
.LBB256_422:                            ;   in Loop: Header=BB256_9 Depth=1
	v_cmp_ne_u16_e64 s[4:5], 0, v4
	s_andn2_b64 s[20:21], s[20:21], exec
	s_and_b64 s[4:5], s[4:5], exec
	v_mov_b32_e32 v32, 0
	s_or_b64 s[20:21], s[20:21], s[4:5]
	s_or_b64 exec, exec, s[22:23]
	s_and_saveexec_b64 s[22:23], s[20:21]
	s_cbranch_execnz .LBB256_164
	s_branch .LBB256_165
.LBB256_423:                            ;   in Loop: Header=BB256_9 Depth=1
	v_cmp_eq_u16_sdwa s[28:29], v4, s26 src0_sel:BYTE_0 src1_sel:DWORD
	s_mov_b64 s[4:5], -1
                                        ; implicit-def: $sgpr24
	s_and_saveexec_b64 s[22:23], s[28:29]
; %bb.424:                              ;   in Loop: Header=BB256_9 Depth=1
	s_mov_b32 s24, 0x7fc02000
	s_xor_b64 s[4:5], exec, -1
; %bb.425:                              ;   in Loop: Header=BB256_9 Depth=1
	s_or_b64 exec, exec, s[22:23]
	s_and_b64 s[4:5], s[4:5], exec
	s_or_saveexec_b64 s[20:21], s[20:21]
	v_mov_b32_e32 v9, s24
	s_xor_b64 exec, exec, s[20:21]
	s_cbranch_execz .LBB256_167
.LBB256_426:                            ;   in Loop: Header=BB256_9 Depth=1
	v_cmp_ne_u16_sdwa s[22:23], v4, v5 src0_sel:BYTE_0 src1_sel:DWORD
	s_andn2_b64 s[4:5], s[4:5], exec
	s_and_b64 s[22:23], s[22:23], exec
	v_mov_b32_e32 v9, 0
	s_or_b64 s[4:5], s[4:5], s[22:23]
	s_or_b64 exec, exec, s[20:21]
	v_and_b32_e32 v4, 0xffff, v4
	s_and_saveexec_b64 s[20:21], s[4:5]
	s_cbranch_execnz .LBB256_168
	s_branch .LBB256_169
.LBB256_427:                            ;   in Loop: Header=BB256_9 Depth=1
	v_cmp_eq_u16_e64 s[4:5], s26, v4
	s_mov_b64 s[20:21], -1
                                        ; implicit-def: $sgpr28
	s_and_saveexec_b64 s[24:25], s[4:5]
; %bb.428:                              ;   in Loop: Header=BB256_9 Depth=1
	s_mov_b32 s28, 0x7fc02000
	s_xor_b64 s[20:21], exec, -1
; %bb.429:                              ;   in Loop: Header=BB256_9 Depth=1
	s_or_b64 exec, exec, s[24:25]
	s_and_b64 s[20:21], s[20:21], exec
	s_or_saveexec_b64 s[22:23], s[22:23]
	v_mov_b32_e32 v16, s28
	s_xor_b64 exec, exec, s[22:23]
	s_cbranch_execz .LBB256_171
.LBB256_430:                            ;   in Loop: Header=BB256_9 Depth=1
	v_cmp_ne_u16_e64 s[4:5], 0, v4
	s_andn2_b64 s[20:21], s[20:21], exec
	s_and_b64 s[4:5], s[4:5], exec
	v_mov_b32_e32 v16, 0
	s_or_b64 s[20:21], s[20:21], s[4:5]
	s_or_b64 exec, exec, s[22:23]
	s_and_saveexec_b64 s[22:23], s[20:21]
	s_cbranch_execnz .LBB256_172
	s_branch .LBB256_173
.LBB256_431:                            ;   in Loop: Header=BB256_9 Depth=1
	v_cmp_eq_u16_sdwa s[28:29], v4, s26 src0_sel:BYTE_0 src1_sel:DWORD
	s_mov_b64 s[4:5], -1
                                        ; implicit-def: $sgpr24
	s_and_saveexec_b64 s[22:23], s[28:29]
; %bb.432:                              ;   in Loop: Header=BB256_9 Depth=1
	s_mov_b32 s24, 0x7fc02000
	s_xor_b64 s[4:5], exec, -1
; %bb.433:                              ;   in Loop: Header=BB256_9 Depth=1
	s_or_b64 exec, exec, s[22:23]
	s_and_b64 s[4:5], s[4:5], exec
	s_or_saveexec_b64 s[20:21], s[20:21]
	v_mov_b32_e32 v17, s24
	s_xor_b64 exec, exec, s[20:21]
	s_cbranch_execz .LBB256_175
.LBB256_434:                            ;   in Loop: Header=BB256_9 Depth=1
	v_cmp_ne_u16_sdwa s[22:23], v4, v5 src0_sel:BYTE_0 src1_sel:DWORD
	s_andn2_b64 s[4:5], s[4:5], exec
	s_and_b64 s[22:23], s[22:23], exec
	v_mov_b32_e32 v17, 0
	s_or_b64 s[4:5], s[4:5], s[22:23]
	s_or_b64 exec, exec, s[20:21]
	v_and_b32_e32 v4, 0xffff, v4
	s_and_saveexec_b64 s[20:21], s[4:5]
	s_cbranch_execnz .LBB256_176
	s_branch .LBB256_177
.LBB256_435:                            ;   in Loop: Header=BB256_9 Depth=1
	v_cmp_eq_u16_e64 s[4:5], s26, v4
	s_mov_b64 s[20:21], -1
                                        ; implicit-def: $sgpr28
	s_and_saveexec_b64 s[24:25], s[4:5]
; %bb.436:                              ;   in Loop: Header=BB256_9 Depth=1
	s_mov_b32 s28, 0x7fc02000
	s_xor_b64 s[20:21], exec, -1
; %bb.437:                              ;   in Loop: Header=BB256_9 Depth=1
	s_or_b64 exec, exec, s[24:25]
	s_and_b64 s[20:21], s[20:21], exec
	s_or_saveexec_b64 s[22:23], s[22:23]
	v_mov_b32_e32 v24, s28
	s_xor_b64 exec, exec, s[22:23]
	s_cbranch_execz .LBB256_179
.LBB256_438:                            ;   in Loop: Header=BB256_9 Depth=1
	v_cmp_ne_u16_e64 s[4:5], 0, v4
	s_andn2_b64 s[20:21], s[20:21], exec
	s_and_b64 s[4:5], s[4:5], exec
	v_mov_b32_e32 v24, 0
	s_or_b64 s[20:21], s[20:21], s[4:5]
	s_or_b64 exec, exec, s[22:23]
	s_and_saveexec_b64 s[22:23], s[20:21]
	s_cbranch_execnz .LBB256_180
	s_branch .LBB256_181
.LBB256_439:                            ;   in Loop: Header=BB256_9 Depth=1
	v_cmp_eq_u16_sdwa s[28:29], v4, s26 src0_sel:BYTE_0 src1_sel:DWORD
	s_mov_b64 s[4:5], -1
                                        ; implicit-def: $sgpr24
	s_and_saveexec_b64 s[22:23], s[28:29]
; %bb.440:                              ;   in Loop: Header=BB256_9 Depth=1
	s_mov_b32 s24, 0x7fc02000
	s_xor_b64 s[4:5], exec, -1
; %bb.441:                              ;   in Loop: Header=BB256_9 Depth=1
	s_or_b64 exec, exec, s[22:23]
	s_and_b64 s[4:5], s[4:5], exec
	s_or_saveexec_b64 s[20:21], s[20:21]
	v_mov_b32_e32 v25, s24
	s_xor_b64 exec, exec, s[20:21]
	s_cbranch_execz .LBB256_183
.LBB256_442:                            ;   in Loop: Header=BB256_9 Depth=1
	v_cmp_ne_u16_sdwa s[22:23], v4, v5 src0_sel:BYTE_0 src1_sel:DWORD
	s_andn2_b64 s[4:5], s[4:5], exec
	s_and_b64 s[22:23], s[22:23], exec
	v_mov_b32_e32 v25, 0
	s_or_b64 s[4:5], s[4:5], s[22:23]
	s_or_b64 exec, exec, s[20:21]
	v_and_b32_e32 v4, 0xffff, v4
	s_and_saveexec_b64 s[20:21], s[4:5]
	s_cbranch_execnz .LBB256_184
	s_branch .LBB256_185
.LBB256_443:                            ;   in Loop: Header=BB256_9 Depth=1
	v_cmp_eq_u16_e64 s[4:5], s26, v4
	s_mov_b64 s[20:21], -1
                                        ; implicit-def: $sgpr28
	s_and_saveexec_b64 s[24:25], s[4:5]
; %bb.444:                              ;   in Loop: Header=BB256_9 Depth=1
	s_mov_b32 s28, 0x7fc02000
	s_xor_b64 s[20:21], exec, -1
; %bb.445:                              ;   in Loop: Header=BB256_9 Depth=1
	s_or_b64 exec, exec, s[24:25]
	s_and_b64 s[20:21], s[20:21], exec
	s_or_saveexec_b64 s[22:23], s[22:23]
	v_mov_b32_e32 v33, s28
	s_xor_b64 exec, exec, s[22:23]
	s_cbranch_execz .LBB256_187
.LBB256_446:                            ;   in Loop: Header=BB256_9 Depth=1
	v_cmp_ne_u16_e64 s[4:5], 0, v4
	s_andn2_b64 s[20:21], s[20:21], exec
	s_and_b64 s[4:5], s[4:5], exec
	v_mov_b32_e32 v33, 0
	s_or_b64 s[20:21], s[20:21], s[4:5]
	s_or_b64 exec, exec, s[22:23]
	s_and_saveexec_b64 s[22:23], s[20:21]
	s_cbranch_execnz .LBB256_188
	s_branch .LBB256_189
.LBB256_447:                            ;   in Loop: Header=BB256_9 Depth=1
	v_cmp_eq_u16_sdwa s[28:29], v4, s26 src0_sel:BYTE_0 src1_sel:DWORD
	s_mov_b64 s[4:5], -1
                                        ; implicit-def: $sgpr24
	s_and_saveexec_b64 s[22:23], s[28:29]
; %bb.448:                              ;   in Loop: Header=BB256_9 Depth=1
	s_mov_b32 s24, 0x7fc02000
	s_xor_b64 s[4:5], exec, -1
; %bb.449:                              ;   in Loop: Header=BB256_9 Depth=1
	s_or_b64 exec, exec, s[22:23]
	s_and_b64 s[4:5], s[4:5], exec
	s_or_saveexec_b64 s[20:21], s[20:21]
	v_mov_b32_e32 v18, s24
	s_xor_b64 exec, exec, s[20:21]
	s_cbranch_execz .LBB256_191
.LBB256_450:                            ;   in Loop: Header=BB256_9 Depth=1
	v_cmp_ne_u16_sdwa s[22:23], v4, v5 src0_sel:BYTE_0 src1_sel:DWORD
	s_andn2_b64 s[4:5], s[4:5], exec
	s_and_b64 s[22:23], s[22:23], exec
	v_mov_b32_e32 v18, 0
	s_or_b64 s[4:5], s[4:5], s[22:23]
	s_or_b64 exec, exec, s[20:21]
	v_and_b32_e32 v4, 0xffff, v4
	s_and_saveexec_b64 s[20:21], s[4:5]
	s_cbranch_execnz .LBB256_192
	s_branch .LBB256_193
.LBB256_451:                            ;   in Loop: Header=BB256_9 Depth=1
	v_cmp_eq_u16_e64 s[4:5], s26, v4
	s_mov_b64 s[20:21], -1
                                        ; implicit-def: $sgpr28
	s_and_saveexec_b64 s[24:25], s[4:5]
; %bb.452:                              ;   in Loop: Header=BB256_9 Depth=1
	s_mov_b32 s28, 0x7fc02000
	s_xor_b64 s[20:21], exec, -1
; %bb.453:                              ;   in Loop: Header=BB256_9 Depth=1
	s_or_b64 exec, exec, s[24:25]
	s_and_b64 s[20:21], s[20:21], exec
	s_or_saveexec_b64 s[22:23], s[22:23]
	v_mov_b32_e32 v21, s28
	s_xor_b64 exec, exec, s[22:23]
	s_cbranch_execz .LBB256_195
.LBB256_454:                            ;   in Loop: Header=BB256_9 Depth=1
	v_cmp_ne_u16_e64 s[4:5], 0, v4
	s_andn2_b64 s[20:21], s[20:21], exec
	s_and_b64 s[4:5], s[4:5], exec
	v_mov_b32_e32 v21, 0
	s_or_b64 s[20:21], s[20:21], s[4:5]
	s_or_b64 exec, exec, s[22:23]
	s_and_saveexec_b64 s[22:23], s[20:21]
	s_cbranch_execnz .LBB256_196
	s_branch .LBB256_197
.LBB256_455:                            ;   in Loop: Header=BB256_9 Depth=1
	v_cmp_eq_u16_sdwa s[28:29], v4, s26 src0_sel:BYTE_0 src1_sel:DWORD
	s_mov_b64 s[4:5], -1
                                        ; implicit-def: $sgpr24
	s_and_saveexec_b64 s[22:23], s[28:29]
; %bb.456:                              ;   in Loop: Header=BB256_9 Depth=1
	s_mov_b32 s24, 0x7fc02000
	s_xor_b64 s[4:5], exec, -1
; %bb.457:                              ;   in Loop: Header=BB256_9 Depth=1
	s_or_b64 exec, exec, s[22:23]
	s_and_b64 s[4:5], s[4:5], exec
	s_or_saveexec_b64 s[20:21], s[20:21]
	v_mov_b32_e32 v20, s24
	s_xor_b64 exec, exec, s[20:21]
	s_cbranch_execz .LBB256_199
.LBB256_458:                            ;   in Loop: Header=BB256_9 Depth=1
	v_cmp_ne_u16_sdwa s[22:23], v4, v5 src0_sel:BYTE_0 src1_sel:DWORD
	s_andn2_b64 s[4:5], s[4:5], exec
	s_and_b64 s[22:23], s[22:23], exec
	v_mov_b32_e32 v20, 0
	s_or_b64 s[4:5], s[4:5], s[22:23]
	s_or_b64 exec, exec, s[20:21]
	v_and_b32_e32 v4, 0xffff, v4
	s_and_saveexec_b64 s[20:21], s[4:5]
	s_cbranch_execnz .LBB256_200
	s_branch .LBB256_201
.LBB256_459:                            ;   in Loop: Header=BB256_9 Depth=1
	v_cmp_eq_u16_e64 s[4:5], s26, v4
	s_mov_b64 s[20:21], -1
                                        ; implicit-def: $sgpr28
	s_and_saveexec_b64 s[24:25], s[4:5]
; %bb.460:                              ;   in Loop: Header=BB256_9 Depth=1
	s_mov_b32 s28, 0x7fc02000
	s_xor_b64 s[20:21], exec, -1
; %bb.461:                              ;   in Loop: Header=BB256_9 Depth=1
	s_or_b64 exec, exec, s[24:25]
	s_and_b64 s[20:21], s[20:21], exec
	s_or_saveexec_b64 s[22:23], s[22:23]
	v_mov_b32_e32 v49, s28
	s_xor_b64 exec, exec, s[22:23]
	s_cbranch_execz .LBB256_203
.LBB256_462:                            ;   in Loop: Header=BB256_9 Depth=1
	v_cmp_ne_u16_e64 s[4:5], 0, v4
	s_andn2_b64 s[20:21], s[20:21], exec
	s_and_b64 s[4:5], s[4:5], exec
	v_mov_b32_e32 v49, 0
	s_or_b64 s[20:21], s[20:21], s[4:5]
	s_or_b64 exec, exec, s[22:23]
	s_and_saveexec_b64 s[22:23], s[20:21]
	s_cbranch_execnz .LBB256_204
	s_branch .LBB256_205
.LBB256_463:                            ;   in Loop: Header=BB256_9 Depth=1
	v_cmp_eq_u16_sdwa s[28:29], v4, s26 src0_sel:BYTE_0 src1_sel:DWORD
	s_mov_b64 s[4:5], -1
                                        ; implicit-def: $sgpr24
	s_and_saveexec_b64 s[22:23], s[28:29]
; %bb.464:                              ;   in Loop: Header=BB256_9 Depth=1
	s_mov_b32 s24, 0x7fc02000
	s_xor_b64 s[4:5], exec, -1
; %bb.465:                              ;   in Loop: Header=BB256_9 Depth=1
	s_or_b64 exec, exec, s[22:23]
	s_and_b64 s[4:5], s[4:5], exec
	s_or_saveexec_b64 s[20:21], s[20:21]
	v_mov_b32_e32 v50, s24
	s_xor_b64 exec, exec, s[20:21]
	s_cbranch_execz .LBB256_207
.LBB256_466:                            ;   in Loop: Header=BB256_9 Depth=1
	v_cmp_ne_u16_sdwa s[22:23], v4, v5 src0_sel:BYTE_0 src1_sel:DWORD
	s_andn2_b64 s[4:5], s[4:5], exec
	s_and_b64 s[22:23], s[22:23], exec
	v_mov_b32_e32 v50, 0
	s_or_b64 s[4:5], s[4:5], s[22:23]
	s_or_b64 exec, exec, s[20:21]
	v_and_b32_e32 v4, 0xffff, v4
	s_and_saveexec_b64 s[20:21], s[4:5]
	s_cbranch_execnz .LBB256_208
	s_branch .LBB256_209
.LBB256_467:                            ;   in Loop: Header=BB256_9 Depth=1
	v_cmp_eq_u16_e64 s[4:5], s26, v4
	s_mov_b64 s[20:21], -1
                                        ; implicit-def: $sgpr28
	s_and_saveexec_b64 s[24:25], s[4:5]
; %bb.468:                              ;   in Loop: Header=BB256_9 Depth=1
	s_mov_b32 s28, 0x7fc02000
	s_xor_b64 s[20:21], exec, -1
; %bb.469:                              ;   in Loop: Header=BB256_9 Depth=1
	s_or_b64 exec, exec, s[24:25]
	s_and_b64 s[20:21], s[20:21], exec
	s_or_saveexec_b64 s[22:23], s[22:23]
	v_mov_b32_e32 v51, s28
	s_xor_b64 exec, exec, s[22:23]
	s_cbranch_execz .LBB256_211
.LBB256_470:                            ;   in Loop: Header=BB256_9 Depth=1
	v_cmp_ne_u16_e64 s[4:5], 0, v4
	s_andn2_b64 s[20:21], s[20:21], exec
	s_and_b64 s[4:5], s[4:5], exec
	v_mov_b32_e32 v51, 0
	s_or_b64 s[20:21], s[20:21], s[4:5]
	s_or_b64 exec, exec, s[22:23]
	s_and_saveexec_b64 s[22:23], s[20:21]
	s_cbranch_execnz .LBB256_212
	s_branch .LBB256_213
.LBB256_471:                            ;   in Loop: Header=BB256_9 Depth=1
	v_cmp_eq_u16_sdwa s[28:29], v4, s26 src0_sel:BYTE_0 src1_sel:DWORD
	s_mov_b64 s[4:5], -1
                                        ; implicit-def: $sgpr24
	s_and_saveexec_b64 s[22:23], s[28:29]
; %bb.472:                              ;   in Loop: Header=BB256_9 Depth=1
	s_mov_b32 s24, 0x7fc02000
	s_xor_b64 s[4:5], exec, -1
; %bb.473:                              ;   in Loop: Header=BB256_9 Depth=1
	s_or_b64 exec, exec, s[22:23]
	s_and_b64 s[4:5], s[4:5], exec
	s_or_saveexec_b64 s[20:21], s[20:21]
	v_mov_b32_e32 v52, s24
	s_xor_b64 exec, exec, s[20:21]
	s_cbranch_execz .LBB256_215
.LBB256_474:                            ;   in Loop: Header=BB256_9 Depth=1
	v_cmp_ne_u16_sdwa s[22:23], v4, v5 src0_sel:BYTE_0 src1_sel:DWORD
	s_andn2_b64 s[4:5], s[4:5], exec
	s_and_b64 s[22:23], s[22:23], exec
	v_mov_b32_e32 v52, 0
	s_or_b64 s[4:5], s[4:5], s[22:23]
	s_or_b64 exec, exec, s[20:21]
	v_and_b32_e32 v4, 0xffff, v4
	s_and_saveexec_b64 s[20:21], s[4:5]
	s_cbranch_execnz .LBB256_216
	s_branch .LBB256_217
.LBB256_475:                            ;   in Loop: Header=BB256_9 Depth=1
	v_cmp_eq_u16_e64 s[4:5], s26, v4
	s_mov_b64 s[20:21], -1
                                        ; implicit-def: $sgpr28
	s_and_saveexec_b64 s[24:25], s[4:5]
; %bb.476:                              ;   in Loop: Header=BB256_9 Depth=1
	s_mov_b32 s28, 0x7fc02000
	s_xor_b64 s[20:21], exec, -1
; %bb.477:                              ;   in Loop: Header=BB256_9 Depth=1
	s_or_b64 exec, exec, s[24:25]
	s_and_b64 s[20:21], s[20:21], exec
	s_or_saveexec_b64 s[22:23], s[22:23]
	v_mov_b32_e32 v53, s28
	s_xor_b64 exec, exec, s[22:23]
	s_cbranch_execz .LBB256_219
.LBB256_478:                            ;   in Loop: Header=BB256_9 Depth=1
	v_cmp_ne_u16_e64 s[4:5], 0, v4
	s_andn2_b64 s[20:21], s[20:21], exec
	s_and_b64 s[4:5], s[4:5], exec
	v_mov_b32_e32 v53, 0
	s_or_b64 s[20:21], s[20:21], s[4:5]
	s_or_b64 exec, exec, s[22:23]
	s_and_saveexec_b64 s[22:23], s[20:21]
	s_cbranch_execnz .LBB256_220
	s_branch .LBB256_221
.LBB256_479:                            ;   in Loop: Header=BB256_9 Depth=1
	v_cmp_eq_u16_sdwa s[28:29], v4, s26 src0_sel:BYTE_0 src1_sel:DWORD
	s_mov_b64 s[4:5], -1
                                        ; implicit-def: $sgpr24
	s_and_saveexec_b64 s[22:23], s[28:29]
; %bb.480:                              ;   in Loop: Header=BB256_9 Depth=1
	s_mov_b32 s24, 0x7fc02000
	s_xor_b64 s[4:5], exec, -1
; %bb.481:                              ;   in Loop: Header=BB256_9 Depth=1
	s_or_b64 exec, exec, s[22:23]
	s_and_b64 s[4:5], s[4:5], exec
	s_or_saveexec_b64 s[20:21], s[20:21]
	v_mov_b32_e32 v54, s24
	s_xor_b64 exec, exec, s[20:21]
	s_cbranch_execz .LBB256_223
.LBB256_482:                            ;   in Loop: Header=BB256_9 Depth=1
	v_cmp_ne_u16_sdwa s[22:23], v4, v5 src0_sel:BYTE_0 src1_sel:DWORD
	s_andn2_b64 s[4:5], s[4:5], exec
	s_and_b64 s[22:23], s[22:23], exec
	v_mov_b32_e32 v54, 0
	s_or_b64 s[4:5], s[4:5], s[22:23]
	s_or_b64 exec, exec, s[20:21]
	v_and_b32_e32 v4, 0xffff, v4
	s_and_saveexec_b64 s[20:21], s[4:5]
	s_cbranch_execnz .LBB256_224
	s_branch .LBB256_225
.LBB256_483:                            ;   in Loop: Header=BB256_9 Depth=1
	v_cmp_eq_u16_e64 s[4:5], s26, v4
	s_mov_b64 s[20:21], -1
                                        ; implicit-def: $sgpr28
	s_and_saveexec_b64 s[24:25], s[4:5]
; %bb.484:                              ;   in Loop: Header=BB256_9 Depth=1
	s_mov_b32 s28, 0x7fc02000
	s_xor_b64 s[20:21], exec, -1
; %bb.485:                              ;   in Loop: Header=BB256_9 Depth=1
	s_or_b64 exec, exec, s[24:25]
	s_and_b64 s[20:21], s[20:21], exec
	s_or_saveexec_b64 s[22:23], s[22:23]
	v_mov_b32_e32 v55, s28
	s_xor_b64 exec, exec, s[22:23]
	s_cbranch_execz .LBB256_227
.LBB256_486:                            ;   in Loop: Header=BB256_9 Depth=1
	v_cmp_ne_u16_e64 s[4:5], 0, v4
	s_andn2_b64 s[20:21], s[20:21], exec
	s_and_b64 s[4:5], s[4:5], exec
	v_mov_b32_e32 v55, 0
	s_or_b64 s[20:21], s[20:21], s[4:5]
	s_or_b64 exec, exec, s[22:23]
	s_and_saveexec_b64 s[22:23], s[20:21]
	s_cbranch_execnz .LBB256_228
	s_branch .LBB256_229
.LBB256_487:                            ;   in Loop: Header=BB256_9 Depth=1
	v_cmp_eq_u16_sdwa s[28:29], v4, s26 src0_sel:BYTE_0 src1_sel:DWORD
	s_mov_b64 s[4:5], -1
                                        ; implicit-def: $sgpr24
	s_and_saveexec_b64 s[22:23], s[28:29]
; %bb.488:                              ;   in Loop: Header=BB256_9 Depth=1
	s_mov_b32 s24, 0x7fc02000
	s_xor_b64 s[4:5], exec, -1
; %bb.489:                              ;   in Loop: Header=BB256_9 Depth=1
	s_or_b64 exec, exec, s[22:23]
	s_and_b64 s[4:5], s[4:5], exec
	s_or_saveexec_b64 s[20:21], s[20:21]
	v_mov_b32_e32 v40, s24
	s_xor_b64 exec, exec, s[20:21]
	s_cbranch_execz .LBB256_231
.LBB256_490:                            ;   in Loop: Header=BB256_9 Depth=1
	v_cmp_ne_u16_sdwa s[22:23], v4, v5 src0_sel:BYTE_0 src1_sel:DWORD
	s_andn2_b64 s[4:5], s[4:5], exec
	s_and_b64 s[22:23], s[22:23], exec
	v_mov_b32_e32 v40, 0
	s_or_b64 s[4:5], s[4:5], s[22:23]
	s_or_b64 exec, exec, s[20:21]
	v_and_b32_e32 v4, 0xffff, v4
	s_and_saveexec_b64 s[20:21], s[4:5]
	s_cbranch_execnz .LBB256_232
	s_branch .LBB256_233
.LBB256_491:                            ;   in Loop: Header=BB256_9 Depth=1
	v_cmp_eq_u16_e64 s[4:5], s26, v4
	s_mov_b64 s[20:21], -1
                                        ; implicit-def: $sgpr28
	s_and_saveexec_b64 s[24:25], s[4:5]
; %bb.492:                              ;   in Loop: Header=BB256_9 Depth=1
	s_mov_b32 s28, 0x7fc02000
	s_xor_b64 s[20:21], exec, -1
; %bb.493:                              ;   in Loop: Header=BB256_9 Depth=1
	s_or_b64 exec, exec, s[24:25]
	s_and_b64 s[20:21], s[20:21], exec
	s_or_saveexec_b64 s[22:23], s[22:23]
	v_mov_b32_e32 v41, s28
	s_xor_b64 exec, exec, s[22:23]
	s_cbranch_execz .LBB256_235
.LBB256_494:                            ;   in Loop: Header=BB256_9 Depth=1
	v_cmp_ne_u16_e64 s[4:5], 0, v4
	s_andn2_b64 s[20:21], s[20:21], exec
	s_and_b64 s[4:5], s[4:5], exec
	v_mov_b32_e32 v41, 0
	s_or_b64 s[20:21], s[20:21], s[4:5]
	s_or_b64 exec, exec, s[22:23]
	s_and_saveexec_b64 s[22:23], s[20:21]
	s_cbranch_execnz .LBB256_236
	s_branch .LBB256_237
.LBB256_495:                            ;   in Loop: Header=BB256_9 Depth=1
	v_cmp_eq_u16_sdwa s[28:29], v4, s26 src0_sel:BYTE_0 src1_sel:DWORD
	s_mov_b64 s[4:5], -1
                                        ; implicit-def: $sgpr24
	s_and_saveexec_b64 s[22:23], s[28:29]
; %bb.496:                              ;   in Loop: Header=BB256_9 Depth=1
	s_mov_b32 s24, 0x7fc02000
	s_xor_b64 s[4:5], exec, -1
; %bb.497:                              ;   in Loop: Header=BB256_9 Depth=1
	s_or_b64 exec, exec, s[22:23]
	s_and_b64 s[4:5], s[4:5], exec
	s_or_saveexec_b64 s[20:21], s[20:21]
	v_mov_b32_e32 v42, s24
	s_xor_b64 exec, exec, s[20:21]
	s_cbranch_execz .LBB256_239
.LBB256_498:                            ;   in Loop: Header=BB256_9 Depth=1
	v_cmp_ne_u16_sdwa s[22:23], v4, v5 src0_sel:BYTE_0 src1_sel:DWORD
	s_andn2_b64 s[4:5], s[4:5], exec
	s_and_b64 s[22:23], s[22:23], exec
	v_mov_b32_e32 v42, 0
	s_or_b64 s[4:5], s[4:5], s[22:23]
	s_or_b64 exec, exec, s[20:21]
	v_and_b32_e32 v4, 0xffff, v4
	s_and_saveexec_b64 s[20:21], s[4:5]
	s_cbranch_execnz .LBB256_240
	s_branch .LBB256_241
.LBB256_499:                            ;   in Loop: Header=BB256_9 Depth=1
	v_cmp_eq_u16_e64 s[4:5], s26, v4
	s_mov_b64 s[20:21], -1
                                        ; implicit-def: $sgpr28
	s_and_saveexec_b64 s[24:25], s[4:5]
; %bb.500:                              ;   in Loop: Header=BB256_9 Depth=1
	s_mov_b32 s28, 0x7fc02000
	s_xor_b64 s[20:21], exec, -1
; %bb.501:                              ;   in Loop: Header=BB256_9 Depth=1
	s_or_b64 exec, exec, s[24:25]
	s_and_b64 s[20:21], s[20:21], exec
	s_or_saveexec_b64 s[22:23], s[22:23]
	v_mov_b32_e32 v43, s28
	s_xor_b64 exec, exec, s[22:23]
	s_cbranch_execz .LBB256_243
.LBB256_502:                            ;   in Loop: Header=BB256_9 Depth=1
	v_cmp_ne_u16_e64 s[4:5], 0, v4
	s_andn2_b64 s[20:21], s[20:21], exec
	s_and_b64 s[4:5], s[4:5], exec
	v_mov_b32_e32 v43, 0
	s_or_b64 s[20:21], s[20:21], s[4:5]
	s_or_b64 exec, exec, s[22:23]
	s_and_saveexec_b64 s[22:23], s[20:21]
	s_cbranch_execnz .LBB256_244
	s_branch .LBB256_245
.LBB256_503:                            ;   in Loop: Header=BB256_9 Depth=1
	v_cmp_eq_u16_sdwa s[28:29], v4, s26 src0_sel:BYTE_0 src1_sel:DWORD
	s_mov_b64 s[4:5], -1
                                        ; implicit-def: $sgpr24
	s_and_saveexec_b64 s[22:23], s[28:29]
; %bb.504:                              ;   in Loop: Header=BB256_9 Depth=1
	s_mov_b32 s24, 0x7fc02000
	s_xor_b64 s[4:5], exec, -1
; %bb.505:                              ;   in Loop: Header=BB256_9 Depth=1
	s_or_b64 exec, exec, s[22:23]
	s_and_b64 s[4:5], s[4:5], exec
	s_or_saveexec_b64 s[20:21], s[20:21]
	v_mov_b32_e32 v23, s24
	s_xor_b64 exec, exec, s[20:21]
	s_cbranch_execz .LBB256_247
.LBB256_506:                            ;   in Loop: Header=BB256_9 Depth=1
	v_cmp_ne_u16_sdwa s[22:23], v4, v5 src0_sel:BYTE_0 src1_sel:DWORD
	s_andn2_b64 s[4:5], s[4:5], exec
	s_and_b64 s[22:23], s[22:23], exec
	v_mov_b32_e32 v23, 0
	s_or_b64 s[4:5], s[4:5], s[22:23]
	s_or_b64 exec, exec, s[20:21]
	v_and_b32_e32 v4, 0xffff, v4
	s_and_saveexec_b64 s[20:21], s[4:5]
	s_cbranch_execnz .LBB256_248
	s_branch .LBB256_249
.LBB256_507:                            ;   in Loop: Header=BB256_9 Depth=1
	v_cmp_eq_u16_e64 s[4:5], s26, v4
	s_mov_b64 s[20:21], -1
                                        ; implicit-def: $sgpr28
	s_and_saveexec_b64 s[24:25], s[4:5]
; %bb.508:                              ;   in Loop: Header=BB256_9 Depth=1
	s_mov_b32 s28, 0x7fc02000
	s_xor_b64 s[20:21], exec, -1
; %bb.509:                              ;   in Loop: Header=BB256_9 Depth=1
	s_or_b64 exec, exec, s[24:25]
	s_and_b64 s[20:21], s[20:21], exec
	s_or_saveexec_b64 s[22:23], s[22:23]
	v_mov_b32_e32 v22, s28
	s_xor_b64 exec, exec, s[22:23]
	s_cbranch_execz .LBB256_251
.LBB256_510:                            ;   in Loop: Header=BB256_9 Depth=1
	v_cmp_ne_u16_e64 s[4:5], 0, v4
	s_andn2_b64 s[20:21], s[20:21], exec
	s_and_b64 s[4:5], s[4:5], exec
	v_mov_b32_e32 v22, 0
	s_or_b64 s[20:21], s[20:21], s[4:5]
	s_or_b64 exec, exec, s[22:23]
	s_and_saveexec_b64 s[22:23], s[20:21]
	s_cbranch_execnz .LBB256_252
	s_branch .LBB256_253
.LBB256_511:                            ;   in Loop: Header=BB256_9 Depth=1
	v_cmp_eq_u16_sdwa s[28:29], v4, s26 src0_sel:BYTE_0 src1_sel:DWORD
	s_mov_b64 s[4:5], -1
                                        ; implicit-def: $sgpr24
	s_and_saveexec_b64 s[22:23], s[28:29]
; %bb.512:                              ;   in Loop: Header=BB256_9 Depth=1
	s_mov_b32 s24, 0x7fc02000
	s_xor_b64 s[4:5], exec, -1
; %bb.513:                              ;   in Loop: Header=BB256_9 Depth=1
	s_or_b64 exec, exec, s[22:23]
	s_and_b64 s[4:5], s[4:5], exec
	s_or_saveexec_b64 s[20:21], s[20:21]
	v_mov_b32_e32 v44, s24
	s_xor_b64 exec, exec, s[20:21]
	s_cbranch_execz .LBB256_255
.LBB256_514:                            ;   in Loop: Header=BB256_9 Depth=1
	v_cmp_ne_u16_sdwa s[22:23], v4, v5 src0_sel:BYTE_0 src1_sel:DWORD
	s_andn2_b64 s[4:5], s[4:5], exec
	s_and_b64 s[22:23], s[22:23], exec
	v_mov_b32_e32 v44, 0
	s_or_b64 s[4:5], s[4:5], s[22:23]
	s_or_b64 exec, exec, s[20:21]
	v_and_b32_e32 v4, 0xffff, v4
	s_and_saveexec_b64 s[20:21], s[4:5]
	s_cbranch_execnz .LBB256_256
	s_branch .LBB256_257
.LBB256_515:                            ;   in Loop: Header=BB256_9 Depth=1
	v_cmp_eq_u16_e64 s[4:5], s26, v4
	s_mov_b64 s[20:21], -1
                                        ; implicit-def: $sgpr28
	s_and_saveexec_b64 s[24:25], s[4:5]
; %bb.516:                              ;   in Loop: Header=BB256_9 Depth=1
	s_mov_b32 s28, 0x7fc02000
	s_xor_b64 s[20:21], exec, -1
; %bb.517:                              ;   in Loop: Header=BB256_9 Depth=1
	s_or_b64 exec, exec, s[24:25]
	s_and_b64 s[20:21], s[20:21], exec
	s_or_saveexec_b64 s[22:23], s[22:23]
	v_mov_b32_e32 v45, s28
	s_xor_b64 exec, exec, s[22:23]
	s_cbranch_execz .LBB256_259
.LBB256_518:                            ;   in Loop: Header=BB256_9 Depth=1
	v_cmp_ne_u16_e64 s[4:5], 0, v4
	s_andn2_b64 s[20:21], s[20:21], exec
	s_and_b64 s[4:5], s[4:5], exec
	v_mov_b32_e32 v45, 0
	s_or_b64 s[20:21], s[20:21], s[4:5]
	s_or_b64 exec, exec, s[22:23]
	s_and_saveexec_b64 s[22:23], s[20:21]
	s_cbranch_execnz .LBB256_260
	s_branch .LBB256_261
.LBB256_519:                            ;   in Loop: Header=BB256_9 Depth=1
	v_cmp_eq_u16_sdwa s[28:29], v4, s26 src0_sel:BYTE_0 src1_sel:DWORD
	s_mov_b64 s[4:5], -1
                                        ; implicit-def: $sgpr24
	s_and_saveexec_b64 s[22:23], s[28:29]
; %bb.520:                              ;   in Loop: Header=BB256_9 Depth=1
	s_mov_b32 s24, 0x7fc02000
	s_xor_b64 s[4:5], exec, -1
; %bb.521:                              ;   in Loop: Header=BB256_9 Depth=1
	s_or_b64 exec, exec, s[22:23]
	s_and_b64 s[4:5], s[4:5], exec
	s_or_saveexec_b64 s[20:21], s[20:21]
	v_mov_b32_e32 v28, s24
	s_xor_b64 exec, exec, s[20:21]
	s_cbranch_execz .LBB256_263
.LBB256_522:                            ;   in Loop: Header=BB256_9 Depth=1
	v_cmp_ne_u16_sdwa s[22:23], v4, v5 src0_sel:BYTE_0 src1_sel:DWORD
	s_andn2_b64 s[4:5], s[4:5], exec
	s_and_b64 s[22:23], s[22:23], exec
	v_mov_b32_e32 v28, 0
	s_or_b64 s[4:5], s[4:5], s[22:23]
	s_or_b64 exec, exec, s[20:21]
	v_and_b32_e32 v4, 0xffff, v4
	s_and_saveexec_b64 s[20:21], s[4:5]
	s_cbranch_execnz .LBB256_264
	s_branch .LBB256_265
.LBB256_523:
	s_or_b64 exec, exec, s[18:19]
	scratch_load_dword v6, off, s32 offset:116 ; 4-byte Folded Reload
	v_accvgpr_read_b32 v11, a9
	v_accvgpr_read_b32 v23, a11
	;; [unrolled: 1-line block ×10, first 2 shown]
.LBB256_524:
	s_or_b64 exec, exec, s[6:7]
	v_accvgpr_read_b32 v7, a20
	v_xor_b32_e32 v0, 32, v7
	v_cmp_lt_i32_e32 vcc, v0, v1
	v_xor_b32_e32 v4, 16, v7
	s_waitcnt vmcnt(0)
	v_max_f32_e32 v3, v6, v6
	v_cndmask_b32_e32 v0, v7, v0, vcc
	v_lshlrev_b32_e32 v2, 2, v0
	ds_bpermute_b32 v0, v2, v6
	v_cmp_lt_i32_e32 vcc, v4, v1
	v_xor_b32_e32 v5, 8, v7
	v_and_b32_e32 v19, 63, v18
	s_waitcnt lgkmcnt(0)
	s_lshr_b32 s15, s15, 16
	v_max_f32_e32 v0, v0, v0
	v_max_f32_e32 v0, v3, v0
	v_cndmask_b32_e32 v3, v7, v4, vcc
	v_lshlrev_b32_e32 v3, 2, v3
	ds_bpermute_b32 v4, v3, v0
	v_cmp_lt_i32_e32 vcc, v5, v1
	s_waitcnt lgkmcnt(0)
	v_max_f32_e32 v4, v4, v4
	v_max_f32_e32 v0, v0, v4
	v_cndmask_b32_e32 v4, v7, v5, vcc
	v_lshlrev_b32_e32 v6, 2, v4
	ds_bpermute_b32 v4, v6, v0
	v_xor_b32_e32 v5, 4, v7
	v_cmp_lt_i32_e32 vcc, v5, v1
	s_waitcnt lgkmcnt(0)
	v_max_f32_e32 v4, v4, v4
	v_max_f32_e32 v0, v0, v4
	v_cndmask_b32_e32 v4, v7, v5, vcc
	v_lshlrev_b32_e32 v7, 2, v4
	ds_bpermute_b32 v5, v7, v0
	v_accvgpr_read_b32 v4, a7
	v_cmp_eq_u32_e32 vcc, 0, v19
	v_lshlrev_b32_e32 v4, 2, v4
	s_and_saveexec_b64 s[2:3], vcc
	s_cbranch_execz .LBB256_526
; %bb.525:
	s_waitcnt lgkmcnt(0)
	v_max_f32_e32 v5, v5, v5
	v_max_f32_e32 v0, v0, v0
	;; [unrolled: 1-line block ×3, first 2 shown]
	ds_write_b32 v4, v0 offset:512
.LBB256_526:
	s_or_b64 exec, exec, s[2:3]
	v_cmp_gt_u32_e64 s[2:3], 2, v19
	v_mov_b32_e32 v0, 0xff7fffff
	s_waitcnt lgkmcnt(0)
	v_lshlrev_b32_e32 v5, 2, v19
	s_barrier
	s_and_saveexec_b64 s[4:5], s[2:3]
	s_cbranch_execz .LBB256_528
; %bb.527:
	ds_read_b32 v0, v5 offset:512
.LBB256_528:
	s_or_b64 exec, exec, s[4:5]
	v_accvgpr_read_b32 v9, a20
	v_xor_b32_e32 v8, 1, v9
	v_cmp_lt_i32_e64 s[4:5], v8, v1
	v_mov_b32_e32 v15, 0
	s_nop 0
	v_cndmask_b32_e64 v8, v9, v8, s[4:5]
	v_lshlrev_b32_e32 v35, 2, v8
	s_waitcnt lgkmcnt(0)
	ds_bpermute_b32 v8, v35, v0
	v_max_f32_e32 v0, v0, v0
	v_lshlrev_b32_e32 v9, 2, v9
	s_waitcnt lgkmcnt(0)
	v_max_f32_e32 v8, v8, v8
	v_max_f32_e32 v0, v0, v8
	v_and_b32_e32 v8, 0xffffff00, v9
	ds_bpermute_b32 v9, v8, v0
	v_accvgpr_read_b32 v0, a3
	v_lshlrev_b32_e32 v0, 4, v0
	v_min_i32_e32 v0, v0, v12
	v_cmp_lt_i32_e64 s[4:5], v18, v0
	s_and_saveexec_b64 s[8:9], s[4:5]
	s_cbranch_execz .LBB256_532
; %bb.529:
	s_ashr_i32 s17, s16, 31
	s_lshl_b64 s[6:7], s[16:17], 2
	s_getpc_b64 s[18:19]
	s_add_u32 s18, s18, llvm.amdgcn.dynlds.offset.table@rel32@lo+4
	s_addc_u32 s19, s19, llvm.amdgcn.dynlds.offset.table@rel32@hi+12
	s_add_u32 s6, s6, s18
	s_addc_u32 s7, s7, s19
	s_load_dword s6, s[6:7], 0x0
	s_mov_b64 s[18:19], 0
	v_mov_b32_e32 v15, 0
	v_mov_b32_e32 v13, v18
	s_waitcnt lgkmcnt(0)
	v_lshl_add_u32 v16, v18, 2, s6
.LBB256_530:                            ; =>This Inner Loop Header: Depth=1
	ds_read_b32 v14, v16
	v_add_u32_e32 v13, 0x80, v13
	v_cmp_ge_i32_e64 s[6:7], v13, v0
	s_or_b64 s[18:19], s[6:7], s[18:19]
	s_waitcnt lgkmcnt(0)
	v_sub_f32_e32 v14, v14, v9
	v_mul_f32_e32 v14, 0x3fb8aa3b, v14
	v_exp_f32_e32 v14, v14
	ds_write_b32 v16, v14
	v_add_f32_e32 v15, v15, v14
	v_add_u32_e32 v16, 0x200, v16
	s_andn2_b64 exec, exec, s[18:19]
	s_cbranch_execnz .LBB256_530
; %bb.531:
	s_or_b64 exec, exec, s[18:19]
.LBB256_532:
	s_or_b64 exec, exec, s[8:9]
	ds_bpermute_b32 v2, v2, v15
	s_waitcnt lgkmcnt(0)
	v_add_f32_e32 v2, v15, v2
	ds_bpermute_b32 v3, v3, v2
	s_waitcnt lgkmcnt(0)
	v_add_f32_e32 v2, v2, v3
	;; [unrolled: 3-line block ×3, first 2 shown]
	ds_bpermute_b32 v3, v7, v2
	v_accvgpr_read_b32 v7, a20
	v_xor_b32_e32 v6, 2, v7
	v_cmp_lt_i32_e64 s[6:7], v6, v1
	s_waitcnt lgkmcnt(0)
	v_add_f32_e32 v2, v2, v3
	v_cndmask_b32_e64 v1, v7, v6, s[6:7]
	v_lshlrev_b32_e32 v1, 2, v1
	ds_bpermute_b32 v1, v1, v2
	s_waitcnt lgkmcnt(0)
	v_add_f32_e32 v1, v2, v1
	ds_bpermute_b32 v2, v35, v1
	s_waitcnt lgkmcnt(0)
	v_add_f32_e32 v1, v1, v2
	s_and_saveexec_b64 s[6:7], vcc
	s_cbranch_execz .LBB256_534
; %bb.533:
	ds_write_b32 v4, v1 offset:520
.LBB256_534:
	s_or_b64 exec, exec, s[6:7]
	s_waitcnt lgkmcnt(0)
	s_barrier
	s_and_saveexec_b64 s[6:7], s[2:3]
	s_cbranch_execz .LBB256_536
; %bb.535:
	ds_read_b32 v1, v5 offset:520
.LBB256_536:
	s_or_b64 exec, exec, s[6:7]
	s_waitcnt lgkmcnt(0)
	ds_bpermute_b32 v2, v35, v1
	s_waitcnt lgkmcnt(0)
	v_add_f32_e32 v1, v1, v2
	ds_bpermute_b32 v1, v8, v1
	s_and_saveexec_b64 s[2:3], s[4:5]
	s_cbranch_execz .LBB256_549
; %bb.537:
	s_waitcnt lgkmcnt(0)
	v_add_f32_e32 v1, 0x358637bd, v1
	v_div_scale_f32 v2, s[4:5], v1, v1, 1.0
	v_rcp_f32_e32 v3, v2
	v_div_scale_f32 v4, vcc, 1.0, v1, 1.0
	s_movk_i32 s4, 0x7f
	v_fma_f32 v5, -v2, v3, 1.0
	v_fmac_f32_e32 v3, v5, v3
	v_mul_f32_e32 v5, v4, v3
	v_fma_f32 v6, -v2, v5, v4
	v_fmac_f32_e32 v5, v6, v3
	v_fma_f32 v2, -v2, v5, v4
	v_div_fmas_f32 v2, v2, v3, v5
	v_div_fixup_f32 v4, v2, v1, 1.0
	v_xad_u32 v2, v18, -1, v0
	v_cmp_lt_u32_e32 vcc, s4, v2
	s_mov_b64 s[6:7], -1
	v_mov_b32_e32 v1, v18
	s_and_saveexec_b64 s[4:5], vcc
	s_cbranch_execz .LBB256_546
; %bb.538:
	v_lshrrev_b32_e32 v1, 7, v2
	v_add_u32_e32 v3, -1, v1
	v_lshrrev_b32_e32 v2, 1, v3
	v_mov_b32_e32 v5, v4
	v_add_u32_e32 v2, 1, v2
	v_cmp_lt_u32_e32 vcc, 13, v3
	v_mov_b32_e32 v7, 0
	s_and_saveexec_b64 s[6:7], vcc
	s_cbranch_execz .LBB256_542
; %bb.539:
	s_ashr_i32 s17, s16, 31
	s_lshl_b64 s[8:9], s[16:17], 2
	s_getpc_b64 s[18:19]
	s_add_u32 s18, s18, llvm.amdgcn.dynlds.offset.table@rel32@lo+4
	s_addc_u32 s19, s19, llvm.amdgcn.dynlds.offset.table@rel32@hi+12
	s_add_u32 s8, s8, s18
	s_addc_u32 s9, s9, s19
	s_load_dword s8, s[8:9], 0x0
	v_and_b32_e32 v3, -8, v2
	s_mov_b32 s17, 0
	s_waitcnt lgkmcnt(0)
	v_lshl_add_u32 v6, v18, 2, s8
	s_mov_b64 s[8:9], 0
.LBB256_540:                            ; =>This Inner Loop Header: Depth=1
	ds_read2st64_b32 v[8:9], v6 offset1:2
	ds_read2st64_b32 v[20:21], v6 offset0:4 offset1:6
	ds_read2st64_b32 v[14:15], v6 offset0:8 offset1:10
	;; [unrolled: 1-line block ×3, first 2 shown]
	v_add_u32_e32 v3, -8, v3
	s_waitcnt lgkmcnt(3)
	v_pk_mul_f32 v[8:9], v[4:5], v[8:9]
	s_waitcnt lgkmcnt(2)
	v_pk_mul_f32 v[20:21], v[4:5], v[20:21]
	ds_write2st64_b32 v6, v8, v9 offset1:2
	ds_write2st64_b32 v6, v20, v21 offset0:4 offset1:6
	s_waitcnt lgkmcnt(3)
	v_pk_mul_f32 v[8:9], v[4:5], v[14:15]
	ds_read2st64_b32 v[14:15], v6 offset0:16 offset1:18
	ds_write2st64_b32 v6, v8, v9 offset0:8 offset1:10
	s_waitcnt lgkmcnt(4)
	v_pk_mul_f32 v[8:9], v[4:5], v[16:17]
	ds_write2st64_b32 v6, v8, v9 offset0:12 offset1:14
	ds_read2st64_b32 v[8:9], v6 offset0:20 offset1:22
	s_waitcnt lgkmcnt(3)
	v_pk_mul_f32 v[16:17], v[4:5], v[14:15]
	ds_read2st64_b32 v[14:15], v6 offset0:24 offset1:26
	ds_write2st64_b32 v6, v16, v17 offset0:16 offset1:18
	ds_read2st64_b32 v[16:17], v6 offset0:28 offset1:30
	s_waitcnt lgkmcnt(3)
	v_pk_mul_f32 v[8:9], v[4:5], v[8:9]
	ds_write2st64_b32 v6, v8, v9 offset0:20 offset1:22
	s_waitcnt lgkmcnt(3)
	v_pk_mul_f32 v[8:9], v[4:5], v[14:15]
	ds_write2st64_b32 v6, v8, v9 offset0:24 offset1:26
	s_waitcnt lgkmcnt(2)
	v_pk_mul_f32 v[8:9], v[4:5], v[16:17]
	s_add_i32 s17, s17, 16
	v_cmp_eq_u32_e32 vcc, 0, v3
	ds_write2st64_b32 v6, v8, v9 offset0:28 offset1:30
	v_add_u32_e32 v6, 0x2000, v6
	s_or_b64 s[8:9], vcc, s[8:9]
	v_mov_b32_e32 v7, s17
	s_andn2_b64 exec, exec, s[8:9]
	s_cbranch_execnz .LBB256_540
; %bb.541:
	s_or_b64 exec, exec, s[8:9]
.LBB256_542:
	s_or_b64 exec, exec, s[6:7]
	v_and_b32_e32 v2, 7, v2
	v_cmp_ne_u32_e32 vcc, 0, v2
	s_and_saveexec_b64 s[6:7], vcc
	s_cbranch_execz .LBB256_545
; %bb.543:
	s_ashr_i32 s17, s16, 31
	s_lshl_b64 s[8:9], s[16:17], 2
	s_getpc_b64 s[18:19]
	s_add_u32 s18, s18, llvm.amdgcn.dynlds.offset.table@rel32@lo+4
	s_addc_u32 s19, s19, llvm.amdgcn.dynlds.offset.table@rel32@hi+12
	s_add_u32 s8, s8, s18
	s_addc_u32 s9, s9, s19
	s_load_dword s8, s[8:9], 0x0
	v_lshlrev_b32_e32 v3, 9, v7
	v_lshlrev_b32_e32 v6, 2, v18
	s_waitcnt lgkmcnt(0)
	v_add3_u32 v3, v3, v6, s8
	s_mov_b64 s[8:9], 0
.LBB256_544:                            ; =>This Inner Loop Header: Depth=1
	ds_read2st64_b32 v[6:7], v3 offset1:2
	v_add_u32_e32 v2, -1, v2
	v_cmp_eq_u32_e32 vcc, 0, v2
	s_or_b64 s[8:9], vcc, s[8:9]
	s_waitcnt lgkmcnt(0)
	v_pk_mul_f32 v[6:7], v[4:5], v[6:7]
	ds_write2st64_b32 v3, v6, v7 offset1:2
	v_add_u32_e32 v3, 0x400, v3
	s_andn2_b64 exec, exec, s[8:9]
	s_cbranch_execnz .LBB256_544
.LBB256_545:
	s_or_b64 exec, exec, s[6:7]
	v_add_u32_e32 v2, 1, v1
	v_and_b32_e32 v3, 0x3fffffe, v2
	v_cmp_ne_u32_e32 vcc, v2, v3
	v_lshl_add_u32 v1, v3, 7, v18
	s_orn2_b64 s[6:7], vcc, exec
.LBB256_546:
	s_or_b64 exec, exec, s[4:5]
	s_and_b64 exec, exec, s[6:7]
	s_cbranch_execz .LBB256_549
; %bb.547:
	s_ashr_i32 s17, s16, 31
	s_lshl_b64 s[4:5], s[16:17], 2
	s_getpc_b64 s[6:7]
	s_add_u32 s6, s6, llvm.amdgcn.dynlds.offset.table@rel32@lo+4
	s_addc_u32 s7, s7, llvm.amdgcn.dynlds.offset.table@rel32@hi+12
	s_add_u32 s4, s4, s6
	s_addc_u32 s5, s5, s7
	s_load_dword s4, s[4:5], 0x0
	s_waitcnt lgkmcnt(0)
	v_lshl_add_u32 v2, v1, 2, s4
	s_mov_b64 s[4:5], 0
.LBB256_548:                            ; =>This Inner Loop Header: Depth=1
	ds_read_b32 v3, v2
	v_add_u32_e32 v1, 0x80, v1
	v_cmp_ge_i32_e32 vcc, v1, v0
	s_or_b64 s[4:5], vcc, s[4:5]
	s_waitcnt lgkmcnt(0)
	v_mul_f32_e32 v3, v4, v3
	ds_write_b32 v2, v3
	v_add_u32_e32 v2, 0x200, v2
	s_andn2_b64 exec, exec, s[4:5]
	s_cbranch_execnz .LBB256_548
.LBB256_549:
	s_or_b64 exec, exec, s[2:3]
	v_mov_b32_e32 v5, 0
	v_and_b32_e32 v36, 1, v18
	v_mov_b32_e32 v4, 0
	v_mov_b32_e32 v17, 0
	;; [unrolled: 1-line block ×7, first 2 shown]
	s_waitcnt lgkmcnt(0)
	s_barrier
	s_and_saveexec_b64 s[2:3], s[0:1]
	s_cbranch_execz .LBB256_1081
; %bb.550:
	s_ashr_i32 s17, s16, 31
	s_lshl_b64 s[0:1], s[16:17], 2
	s_getpc_b64 s[4:5]
	s_add_u32 s4, s4, llvm.amdgcn.dynlds.offset.table@rel32@lo+4
	s_addc_u32 s5, s5, llvm.amdgcn.dynlds.offset.table@rel32@hi+12
	s_add_u32 s0, s0, s4
	v_lshlrev_b32_e32 v2, 3, v18
	s_addc_u32 s1, s1, s5
	v_lshl_add_u64 v[0:1], v[22:23], 0, v[30:31]
	v_and_b32_e32 v6, 0x1f8, v2
	v_mov_b32_e32 v7, 0
	s_load_dword s0, s[0:1], 0x0
	v_lshl_add_u64 v[14:15], v[0:1], 0, v[6:7]
	v_and_b32_e32 v6, 60, v28
	v_accvgpr_read_b32 v3, a3
	v_lshl_add_u64 v[0:1], v[26:27], 2, v[6:7]
	v_and_b32_e32 v4, 8, v2
	v_add_u32_e32 v37, -1, v3
	v_lshl_add_u64 v[2:3], v[10:11], 0, v[0:1]
	v_accvgpr_read_b32 v1, a7
	v_lshlrev_b32_e32 v0, 5, v36
	v_lshl_or_b32 v0, v1, 6, v0
	v_accvgpr_write_b32 a2, v18
	v_mov_b32_e32 v9, v12
	v_lshl_or_b32 v38, v1, 4, v4
	s_waitcnt lgkmcnt(0)
	v_add_u32_e32 v39, s0, v0
	s_mov_b64 s[4:5], 0
	s_movk_i32 s17, 0x7f
	s_movk_i32 s20, 0x80
	s_mov_b32 s21, 0x8000
	s_movk_i32 s22, 0x380
	s_mov_b32 s23, 0x3020706
	s_mov_b32 s24, 0x1000504
	;; [unrolled: 1-line block ×3, first 2 shown]
	v_mov_b32_e32 v48, 0x1c00
	v_mov_b32_e32 v24, 0
	;; [unrolled: 1-line block ×9, first 2 shown]
	s_branch .LBB256_552
.LBB256_551:                            ;   in Loop: Header=BB256_552 Depth=1
	s_or_b64 exec, exec, s[0:1]
	v_add_f32_e32 v0, v0, v1
	v_add_f32_e32 v21, v21, v0
	;; [unrolled: 1-line block ×8, first 2 shown]
	;;#ASMSTART
	v_pk_mul_f16 v0, v55, v27;

	;;#ASMEND
	;;#ASMSTART
	v_pk_mul_f16 v1, v40, v6;

	;;#ASMEND
	;; [unrolled: 4-line block ×4, first 2 shown]
	v_add_f32_e32 v26, v44, v45
	;;#ASMSTART
	v_pk_add_f16 v0, v0, v1;

	;;#ASMEND
	v_add_f32_e32 v24, v24, v26
	;;#ASMSTART
	v_pk_add_f16 v0, v0, v6;

	;;#ASMEND
	;; [unrolled: 5-line block ×3, first 2 shown]
	v_add_f32_e32 v25, v25, v26
	v_lshrrev_b32_e32 v1, 16, v0
	v_and_b32_e32 v0, 0xffff, v0
	;;#ASMSTART
	v_cvt_f32_f16 v0, v0;
	;;#ASMEND
	;;#ASMSTART
	v_cvt_f32_f16 v1, v1;
	;;#ASMEND
	v_add_f32_e32 v26, v56, v57
	v_add_f32_e32 v0, v0, v1
	v_accvgpr_read_b32 v1, a7
	v_add_f32_e32 v5, v5, v0
	v_add_u32_e32 v1, 2, v1
	v_accvgpr_read_b32 v0, a3
	v_cmp_ge_i32_e32 vcc, v1, v0
	v_add_f32_e32 v20, v20, v26
	v_lshl_add_u64 v[2:3], v[2:3], 0, 8
	v_add_u32_e32 v38, 32, v38
	v_accvgpr_write_b32 a7, v1
	s_or_b64 s[4:5], vcc, s[4:5]
	v_add_u32_e32 v39, 0x80, v39
	s_andn2_b64 exec, exec, s[4:5]
	s_cbranch_execz .LBB256_1080
.LBB256_552:                            ; =>This Inner Loop Header: Depth=1
	ds_read2_b64 v[26:29], v39 offset1:1
	ds_read2_b64 v[30:33], v39 offset0:2 offset1:3
	v_accvgpr_read_b32 v10, a6
                                        ; implicit-def: $sgpr18
	s_waitcnt lgkmcnt(1)
	;;#ASMSTART
	v_cvt_f16_f32 v0, v26;

	;;#ASMEND
	;;#ASMSTART
	v_cvt_f16_f32 v1, v27;

	;;#ASMEND
	;; [unrolled: 4-line block ×4, first 2 shown]
	s_waitcnt lgkmcnt(0)
	;;#ASMSTART
	v_cvt_f16_f32 v18, v30;

	;;#ASMEND
	;;#ASMSTART
	v_cvt_f16_f32 v22, v31;

	;;#ASMEND
	;; [unrolled: 4-line block ×4, first 2 shown]
	flat_load_dword v6, v[2:3]
	v_accvgpr_read_b32 v31, a5
	v_accvgpr_read_b32 v30, a4
	flat_load_dword v26, v[30:31]
	s_waitcnt vmcnt(0) lgkmcnt(0)
	v_mad_i64_i32 v[10:11], s[0:1], v6, v10, v[14:15]
	flat_load_dwordx2 v[28:29], v[10:11]
	s_mov_b64 s[0:1], 0
	s_waitcnt vmcnt(0) lgkmcnt(0)
	v_cmp_gt_i16_sdwa s[6:7], v28, s17 src0_sel:BYTE_0 src1_sel:DWORD
	s_and_saveexec_b64 s[8:9], s[6:7]
	s_xor_b64 s[6:7], exec, s[8:9]
	s_cbranch_execnz .LBB256_824
; %bb.553:                              ;   in Loop: Header=BB256_552 Depth=1
	s_or_saveexec_b64 s[6:7], s[6:7]
	v_mov_b32_e32 v30, s18
	s_xor_b64 exec, exec, s[6:7]
	s_cbranch_execnz .LBB256_827
.LBB256_554:                            ;   in Loop: Header=BB256_552 Depth=1
	s_or_b64 exec, exec, s[6:7]
	s_and_saveexec_b64 s[6:7], s[0:1]
	s_cbranch_execz .LBB256_556
.LBB256_555:                            ;   in Loop: Header=BB256_552 Depth=1
	v_and_b32_e32 v6, 7, v28
	v_ffbh_u32_e32 v6, v6
	v_bfe_u32 v30, v28, 3, 4
	v_min_u32_e32 v6, 32, v6
	v_subrev_u32_e32 v31, 28, v6
	v_sub_u32_e32 v6, 29, v6
	v_cmp_eq_u32_e32 vcc, 0, v30
	s_nop 1
	v_cndmask_b32_e32 v6, v30, v6, vcc
	v_cndmask_b32_e32 v30, 0, v31, vcc
	v_lshlrev_b64 v[30:31], v30, v[28:29]
	v_lshlrev_b32_e32 v31, 8, v28
	v_lshl_add_u32 v6, v6, 10, v48
	v_lshlrev_b32_e32 v30, 7, v30
	v_and_or_b32 v6, v31, s21, v6
	v_and_or_b32 v6, v30, s22, v6
	v_cvt_f32_f16_e32 v30, v6
.LBB256_556:                            ;   in Loop: Header=BB256_552 Depth=1
	s_or_b64 exec, exec, s[6:7]
	v_lshrrev_b16_e32 v6, 8, v28
	v_cmp_lt_i16_e32 vcc, s17, v6
	s_mov_b64 s[0:1], 0
                                        ; implicit-def: $sgpr18
	s_and_saveexec_b64 s[6:7], vcc
	s_xor_b64 s[6:7], exec, s[6:7]
	s_cbranch_execnz .LBB256_828
; %bb.557:                              ;   in Loop: Header=BB256_552 Depth=1
	s_or_saveexec_b64 s[6:7], s[6:7]
	v_mov_b32_e32 v32, s18
	s_xor_b64 exec, exec, s[6:7]
	s_cbranch_execnz .LBB256_831
.LBB256_558:                            ;   in Loop: Header=BB256_552 Depth=1
	s_or_b64 exec, exec, s[6:7]
	s_and_saveexec_b64 s[6:7], s[0:1]
	s_cbranch_execz .LBB256_560
.LBB256_559:                            ;   in Loop: Header=BB256_552 Depth=1
	v_and_b32_e32 v31, 7, v6
	v_ffbh_u32_e32 v32, v31
	v_min_u32_e32 v49, 32, v32
	v_subrev_u32_e32 v32, 28, v49
	v_bfe_u32 v34, v6, 3, 4
	v_lshlrev_b64 v[32:33], v32, v[6:7]
	v_sub_u32_e32 v33, 29, v49
	v_cmp_eq_u32_e32 vcc, 0, v34
	v_and_b32_e32 v32, 7, v32
	v_lshlrev_b32_e32 v6, 8, v6
	v_cndmask_b32_e32 v33, v34, v33, vcc
	v_cndmask_b32_e32 v31, v31, v32, vcc
	v_lshl_add_u32 v32, v33, 10, v48
	v_and_or_b32 v6, v6, s21, v32
	v_lshl_or_b32 v6, v31, 7, v6
	v_cvt_f32_f16_e32 v32, v6
.LBB256_560:                            ;   in Loop: Header=BB256_552 Depth=1
	s_or_b64 exec, exec, s[6:7]
	v_lshrrev_b32_e32 v6, 16, v28
	v_cmp_gt_i16_sdwa s[6:7], v6, s17 src0_sel:BYTE_0 src1_sel:DWORD
	s_mov_b64 s[0:1], 0
                                        ; implicit-def: $sgpr18
	s_and_saveexec_b64 s[8:9], s[6:7]
	s_xor_b64 s[6:7], exec, s[8:9]
	s_cbranch_execnz .LBB256_832
; %bb.561:                              ;   in Loop: Header=BB256_552 Depth=1
	s_or_saveexec_b64 s[6:7], s[6:7]
	v_mov_b32_e32 v31, s18
	s_xor_b64 exec, exec, s[6:7]
	s_cbranch_execnz .LBB256_835
.LBB256_562:                            ;   in Loop: Header=BB256_552 Depth=1
	s_or_b64 exec, exec, s[6:7]
	s_and_saveexec_b64 s[6:7], s[0:1]
	s_cbranch_execz .LBB256_564
.LBB256_563:                            ;   in Loop: Header=BB256_552 Depth=1
	v_bfe_u32 v31, v28, 16, 3
	v_ffbh_u32_e32 v34, v31
	v_bfe_u32 v33, v28, 19, 4
	v_min_u32_e32 v34, 32, v34
	v_subrev_u32_e32 v49, 28, v34
	v_sub_u32_e32 v34, 29, v34
	v_cmp_eq_u32_e32 vcc, 0, v33
	v_lshlrev_b64 v[50:51], v49, v[6:7]
	v_and_b32_e32 v49, 7, v50
	v_cndmask_b32_e32 v33, v33, v34, vcc
	v_lshlrev_b32_e32 v6, 8, v6
	v_lshl_add_u32 v33, v33, 10, v48
	v_cndmask_b32_e32 v31, v31, v49, vcc
	v_and_or_b32 v6, v6, s21, v33
	v_lshl_or_b32 v6, v31, 7, v6
	v_cvt_f32_f16_e32 v31, v6
.LBB256_564:                            ;   in Loop: Header=BB256_552 Depth=1
	s_or_b64 exec, exec, s[6:7]
	v_lshrrev_b32_e32 v6, 24, v28
	v_cmp_lt_i16_e32 vcc, s17, v6
	s_mov_b64 s[0:1], 0
                                        ; implicit-def: $sgpr18
	s_and_saveexec_b64 s[6:7], vcc
	s_xor_b64 s[6:7], exec, s[6:7]
	s_cbranch_execnz .LBB256_836
; %bb.565:                              ;   in Loop: Header=BB256_552 Depth=1
	s_or_saveexec_b64 s[6:7], s[6:7]
	v_mov_b32_e32 v33, s18
	s_xor_b64 exec, exec, s[6:7]
	s_cbranch_execnz .LBB256_839
.LBB256_566:                            ;   in Loop: Header=BB256_552 Depth=1
	s_or_b64 exec, exec, s[6:7]
	s_and_saveexec_b64 s[6:7], s[0:1]
	s_cbranch_execz .LBB256_568
.LBB256_567:                            ;   in Loop: Header=BB256_552 Depth=1
	v_bfe_u32 v33, v28, 24, 3
	v_ffbh_u32_e32 v34, v33
	v_bfe_u32 v28, v28, 27, 4
	v_min_u32_e32 v34, 32, v34
	v_subrev_u32_e32 v49, 28, v34
	v_sub_u32_e32 v34, 29, v34
	v_cmp_eq_u32_e32 vcc, 0, v28
	v_lshlrev_b64 v[50:51], v49, v[6:7]
	v_and_b32_e32 v49, 7, v50
	v_cndmask_b32_e32 v28, v28, v34, vcc
	v_lshlrev_b32_e32 v6, 8, v6
	v_lshl_add_u32 v28, v28, 10, v48
	v_cndmask_b32_e32 v33, v33, v49, vcc
	v_and_or_b32 v6, v6, s21, v28
	v_lshl_or_b32 v6, v33, 7, v6
	v_cvt_f32_f16_e32 v33, v6
.LBB256_568:                            ;   in Loop: Header=BB256_552 Depth=1
	s_or_b64 exec, exec, s[6:7]
	v_cmp_gt_i16_sdwa s[6:7], v29, s17 src0_sel:BYTE_0 src1_sel:DWORD
	s_mov_b64 s[0:1], 0
                                        ; implicit-def: $sgpr18
	s_and_saveexec_b64 s[8:9], s[6:7]
	s_xor_b64 s[6:7], exec, s[8:9]
	s_cbranch_execnz .LBB256_840
; %bb.569:                              ;   in Loop: Header=BB256_552 Depth=1
	s_or_saveexec_b64 s[6:7], s[6:7]
	v_mov_b32_e32 v28, s18
	s_xor_b64 exec, exec, s[6:7]
	s_cbranch_execnz .LBB256_843
.LBB256_570:                            ;   in Loop: Header=BB256_552 Depth=1
	s_or_b64 exec, exec, s[6:7]
	v_mov_b32_e32 v6, v29
	s_and_saveexec_b64 s[6:7], s[0:1]
	s_cbranch_execz .LBB256_572
.LBB256_571:                            ;   in Loop: Header=BB256_552 Depth=1
	v_and_b32_e32 v28, 7, v29
	v_ffbh_u32_e32 v28, v28
	v_bfe_u32 v34, v29, 3, 4
	v_min_u32_e32 v28, 32, v28
	v_subrev_u32_e32 v49, 28, v28
	v_sub_u32_e32 v28, 29, v28
	v_cmp_eq_u32_e32 vcc, 0, v34
	s_nop 1
	v_cndmask_b32_e32 v28, v34, v28, vcc
	v_cndmask_b32_e32 v34, 0, v49, vcc
	v_lshlrev_b64 v[50:51], v34, v[6:7]
	v_lshlrev_b32_e32 v49, 8, v29
	v_lshl_add_u32 v28, v28, 10, v48
	v_lshlrev_b32_e32 v34, 7, v50
	v_and_or_b32 v28, v49, s21, v28
	v_and_or_b32 v28, v34, s22, v28
	v_cvt_f32_f16_e32 v28, v28
.LBB256_572:                            ;   in Loop: Header=BB256_552 Depth=1
	s_or_b64 exec, exec, s[6:7]
	v_lshrrev_b16_e32 v6, 8, v6
	v_cmp_lt_i16_e32 vcc, s17, v6
	s_mov_b64 s[0:1], 0
                                        ; implicit-def: $sgpr18
	s_and_saveexec_b64 s[6:7], vcc
	s_xor_b64 s[6:7], exec, s[6:7]
	s_cbranch_execnz .LBB256_844
; %bb.573:                              ;   in Loop: Header=BB256_552 Depth=1
	s_or_saveexec_b64 s[6:7], s[6:7]
	v_mov_b32_e32 v34, s18
	s_xor_b64 exec, exec, s[6:7]
	s_cbranch_execnz .LBB256_847
.LBB256_574:                            ;   in Loop: Header=BB256_552 Depth=1
	s_or_b64 exec, exec, s[6:7]
	s_and_saveexec_b64 s[6:7], s[0:1]
	s_cbranch_execz .LBB256_576
.LBB256_575:                            ;   in Loop: Header=BB256_552 Depth=1
	v_and_b32_e32 v34, 7, v6
	v_ffbh_u32_e32 v50, v34
	v_min_u32_e32 v52, 32, v50
	v_subrev_u32_e32 v50, 28, v52
	v_bfe_u32 v49, v6, 3, 4
	v_lshlrev_b64 v[50:51], v50, v[6:7]
	v_sub_u32_e32 v51, 29, v52
	v_cmp_eq_u32_e32 vcc, 0, v49
	v_and_b32_e32 v50, 7, v50
	v_lshlrev_b32_e32 v6, 8, v6
	v_cndmask_b32_e32 v49, v49, v51, vcc
	v_lshl_add_u32 v49, v49, 10, v48
	v_cndmask_b32_e32 v34, v34, v50, vcc
	v_and_or_b32 v6, v6, s21, v49
	v_lshl_or_b32 v6, v34, 7, v6
	v_cvt_f32_f16_e32 v34, v6
.LBB256_576:                            ;   in Loop: Header=BB256_552 Depth=1
	s_or_b64 exec, exec, s[6:7]
	v_lshrrev_b32_e32 v6, 16, v29
	v_cmp_gt_i16_sdwa s[6:7], v6, s17 src0_sel:BYTE_0 src1_sel:DWORD
	s_mov_b64 s[0:1], 0
                                        ; implicit-def: $sgpr18
	s_and_saveexec_b64 s[8:9], s[6:7]
	s_xor_b64 s[6:7], exec, s[8:9]
	s_cbranch_execnz .LBB256_848
; %bb.577:                              ;   in Loop: Header=BB256_552 Depth=1
	s_or_saveexec_b64 s[6:7], s[6:7]
	v_mov_b32_e32 v49, s18
	s_xor_b64 exec, exec, s[6:7]
	s_cbranch_execnz .LBB256_851
.LBB256_578:                            ;   in Loop: Header=BB256_552 Depth=1
	s_or_b64 exec, exec, s[6:7]
	s_and_saveexec_b64 s[6:7], s[0:1]
	s_cbranch_execz .LBB256_580
.LBB256_579:                            ;   in Loop: Header=BB256_552 Depth=1
	v_bfe_u32 v49, v29, 16, 3
	v_ffbh_u32_e32 v50, v49
	v_min_u32_e32 v53, 32, v50
	v_subrev_u32_e32 v50, 28, v53
	v_bfe_u32 v52, v29, 19, 4
	v_lshlrev_b64 v[50:51], v50, v[6:7]
	v_sub_u32_e32 v51, 29, v53
	v_cmp_eq_u32_e32 vcc, 0, v52
	v_and_b32_e32 v50, 7, v50
	v_lshlrev_b32_e32 v6, 8, v6
	v_cndmask_b32_e32 v51, v52, v51, vcc
	v_cndmask_b32_e32 v49, v49, v50, vcc
	v_lshl_add_u32 v50, v51, 10, v48
	v_and_or_b32 v6, v6, s21, v50
	v_lshl_or_b32 v6, v49, 7, v6
	v_cvt_f32_f16_e32 v49, v6
.LBB256_580:                            ;   in Loop: Header=BB256_552 Depth=1
	s_or_b64 exec, exec, s[6:7]
	v_lshrrev_b32_e32 v6, 24, v29
	v_cmp_lt_i16_e32 vcc, s17, v6
	s_mov_b64 s[0:1], 0
                                        ; implicit-def: $sgpr18
	s_and_saveexec_b64 s[6:7], vcc
	s_xor_b64 s[6:7], exec, s[6:7]
	s_cbranch_execnz .LBB256_852
; %bb.581:                              ;   in Loop: Header=BB256_552 Depth=1
	s_or_saveexec_b64 s[6:7], s[6:7]
	v_mov_b32_e32 v50, s18
	s_xor_b64 exec, exec, s[6:7]
	s_cbranch_execnz .LBB256_855
.LBB256_582:                            ;   in Loop: Header=BB256_552 Depth=1
	s_or_b64 exec, exec, s[6:7]
	s_and_saveexec_b64 s[6:7], s[0:1]
	s_cbranch_execz .LBB256_584
.LBB256_583:                            ;   in Loop: Header=BB256_552 Depth=1
	v_bfe_u32 v52, v29, 24, 3
	v_ffbh_u32_e32 v50, v52
	v_min_u32_e32 v53, 32, v50
	v_subrev_u32_e32 v50, 28, v53
	v_bfe_u32 v29, v29, 27, 4
	v_lshlrev_b64 v[50:51], v50, v[6:7]
	v_sub_u32_e32 v51, 29, v53
	v_cmp_eq_u32_e32 vcc, 0, v29
	v_and_b32_e32 v50, 7, v50
	v_lshlrev_b32_e32 v6, 8, v6
	v_cndmask_b32_e32 v29, v29, v51, vcc
	v_lshl_add_u32 v29, v29, 10, v48
	v_cndmask_b32_e32 v50, v52, v50, vcc
	v_and_or_b32 v6, v6, s21, v29
	v_lshl_or_b32 v6, v50, 7, v6
	v_cvt_f32_f16_e32 v50, v6
.LBB256_584:                            ;   in Loop: Header=BB256_552 Depth=1
	s_or_b64 exec, exec, s[6:7]
	v_pk_mul_f32 v[32:33], v[26:27], v[32:33] op_sel_hi:[0,1]
	v_pk_mul_f32 v[30:31], v[26:27], v[30:31] op_sel_hi:[0,1]
	v_cvt_f16_f32_e32 v6, v33
	v_cvt_f16_f32_e32 v29, v32
	;; [unrolled: 1-line block ×4, first 2 shown]
	v_fma_mixlo_f16 v28, v26, v28, 0
	v_pack_b32_f16 v29, v29, v6
	v_accvgpr_read_b32 v32, a7
	v_pack_b32_f16 v30, v30, v31
	v_perm_b32 v6, v30, v29, s23
	v_perm_b32 v29, v30, v29, s24
	v_fma_mixlo_f16 v30, v26, v34, 0
	v_lshlrev_b32_e32 v30, 16, v30
	v_or_b32_sdwa v28, v30, v28 dst_sel:DWORD dst_unused:UNUSED_PAD src0_sel:DWORD src1_sel:WORD_0
	v_fma_mixlo_f16 v30, v26, v49, 0
	v_fma_mixlo_f16 v26, v26, v50, 0
	v_lshlrev_b32_e32 v26, 16, v26
	v_cmp_eq_u32_e32 vcc, v37, v32
	v_or_b32_sdwa v26, v26, v30 dst_sel:DWORD dst_unused:UNUSED_PAD src0_sel:DWORD src1_sel:WORD_0
	v_add_u32_e32 v43, 1, v38
	v_or_b32_e32 v54, 3, v38
	v_or_b32_e32 v53, 2, v38
	;; [unrolled: 1-line block ×6, first 2 shown]
	s_and_saveexec_b64 s[6:7], vcc
	s_cbranch_execz .LBB256_586
; %bb.585:                              ;   in Loop: Header=BB256_552 Depth=1
	v_lshrrev_b32_e32 v31, 16, v29
	v_cmp_lt_i32_e64 s[0:1], v43, v9
	v_lshrrev_b32_e32 v26, 16, v26
	s_nop 0
	v_cndmask_b32_e64 v31, 0, v31, s[0:1]
	v_cmp_lt_i32_e64 s[0:1], v38, v12
	s_nop 1
	v_cndmask_b32_e64 v29, 0, v29, s[0:1]
	v_perm_b32 v29, v31, v29, s25
	v_lshrrev_b32_e32 v31, 16, v6
	v_cmp_lt_i32_e64 s[0:1], v54, v9
	s_nop 1
	v_cndmask_b32_e64 v31, 0, v31, s[0:1]
	v_cmp_lt_i32_e64 s[0:1], v53, v12
	s_nop 1
	v_cndmask_b32_e64 v6, 0, v6, s[0:1]
	v_perm_b32 v6, v31, v6, s25
	v_lshrrev_b32_e32 v31, 16, v28
	v_cmp_lt_i32_e64 s[0:1], v52, v9
	s_nop 1
	v_cndmask_b32_e64 v31, 0, v31, s[0:1]
	v_cmp_lt_i32_e64 s[0:1], v51, v12
	s_nop 1
	v_cndmask_b32_e64 v28, 0, v28, s[0:1]
	v_cmp_lt_i32_e64 s[0:1], v50, v9
	v_perm_b32 v28, v31, v28, s25
	s_nop 0
	v_cndmask_b32_e64 v26, 0, v26, s[0:1]
	v_cmp_lt_i32_e64 s[0:1], v49, v12
	s_nop 1
	v_cndmask_b32_e64 v30, 0, v30, s[0:1]
	v_perm_b32 v26, v26, v30, s25
.LBB256_586:                            ;   in Loop: Header=BB256_552 Depth=1
	s_or_b64 exec, exec, s[6:7]
	v_and_b32_e32 v0, 0xffff, v0
	v_lshl_or_b32 v55, v1, 16, v0
	v_and_b32_e32 v0, 0xffff, v8
	v_lshl_or_b32 v40, v13, 16, v0
	;; [unrolled: 2-line block ×4, first 2 shown]
	;;#ASMSTART
	v_pk_mul_f16 v0, v55, v29;

	;;#ASMEND
	;;#ASMSTART
	v_pk_mul_f16 v1, v40, v6;

	;;#ASMEND
	;; [unrolled: 4-line block ×4, first 2 shown]
	s_mov_b64 s[0:1], 0
	;;#ASMSTART
	v_pk_add_f16 v0, v0, v1;

	;;#ASMEND
                                        ; implicit-def: $sgpr18
	s_nop 0
	;;#ASMSTART
	v_pk_add_f16 v0, v0, v6;

	;;#ASMEND
	s_nop 0
	;;#ASMSTART
	v_pk_add_f16 v0, v0, v8;

	;;#ASMEND
	s_nop 0
	v_lshrrev_b32_e32 v1, 16, v0
	v_and_b32_e32 v0, 0xffff, v0
	;;#ASMSTART
	v_cvt_f32_f16 v44, v0;
	;;#ASMEND
	;;#ASMSTART
	v_cvt_f32_f16 v45, v1;
	;;#ASMEND
	v_accvgpr_read_b32 v0, a4
	flat_load_dwordx2 v[28:29], v[10:11] offset:512
	v_accvgpr_read_b32 v1, a5
	flat_load_dword v26, v[0:1]
	s_waitcnt vmcnt(0) lgkmcnt(0)
	v_cmp_gt_i16_sdwa s[6:7], v28, s17 src0_sel:BYTE_0 src1_sel:DWORD
	s_and_saveexec_b64 s[8:9], s[6:7]
	s_xor_b64 s[6:7], exec, s[8:9]
	s_cbranch_execnz .LBB256_856
; %bb.587:                              ;   in Loop: Header=BB256_552 Depth=1
	s_or_saveexec_b64 s[6:7], s[6:7]
	v_mov_b32_e32 v30, s18
	s_xor_b64 exec, exec, s[6:7]
	s_cbranch_execnz .LBB256_859
.LBB256_588:                            ;   in Loop: Header=BB256_552 Depth=1
	s_or_b64 exec, exec, s[6:7]
	s_and_saveexec_b64 s[6:7], s[0:1]
	s_cbranch_execz .LBB256_590
.LBB256_589:                            ;   in Loop: Header=BB256_552 Depth=1
	v_and_b32_e32 v0, 7, v28
	v_ffbh_u32_e32 v0, v0
	v_bfe_u32 v1, v28, 3, 4
	v_min_u32_e32 v0, 32, v0
	v_subrev_u32_e32 v6, 28, v0
	v_sub_u32_e32 v0, 29, v0
	v_cmp_eq_u32_e64 s[0:1], 0, v1
	s_nop 1
	v_cndmask_b32_e64 v8, v1, v0, s[0:1]
	v_cndmask_b32_e64 v0, 0, v6, s[0:1]
	v_lshlrev_b64 v[0:1], v0, v[28:29]
	v_lshlrev_b32_e32 v1, 8, v28
	v_lshl_add_u32 v6, v8, 10, v48
	v_lshlrev_b32_e32 v0, 7, v0
	v_and_or_b32 v1, v1, s21, v6
	v_and_or_b32 v0, v0, s22, v1
	v_cvt_f32_f16_e32 v30, v0
.LBB256_590:                            ;   in Loop: Header=BB256_552 Depth=1
	s_or_b64 exec, exec, s[6:7]
	v_lshrrev_b16_e32 v6, 8, v28
	v_cmp_lt_i16_e64 s[0:1], s17, v6
	s_mov_b64 s[6:7], 0
                                        ; implicit-def: $sgpr26
	s_and_saveexec_b64 s[8:9], s[0:1]
	s_xor_b64 s[8:9], exec, s[8:9]
	s_cbranch_execnz .LBB256_860
; %bb.591:                              ;   in Loop: Header=BB256_552 Depth=1
	s_or_saveexec_b64 s[8:9], s[8:9]
	v_mov_b32_e32 v32, s26
	s_xor_b64 exec, exec, s[8:9]
	s_cbranch_execnz .LBB256_863
.LBB256_592:                            ;   in Loop: Header=BB256_552 Depth=1
	s_or_b64 exec, exec, s[8:9]
	s_and_saveexec_b64 s[8:9], s[6:7]
	s_cbranch_execz .LBB256_594
.LBB256_593:                            ;   in Loop: Header=BB256_552 Depth=1
	v_and_b32_e32 v8, 7, v6
	v_ffbh_u32_e32 v0, v8
	v_min_u32_e32 v18, 32, v0
	v_subrev_u32_e32 v0, 28, v18
	v_bfe_u32 v13, v6, 3, 4
	v_lshlrev_b64 v[0:1], v0, v[6:7]
	v_sub_u32_e32 v1, 29, v18
	v_cmp_eq_u32_e64 s[0:1], 0, v13
	v_and_b32_e32 v0, 7, v0
	v_lshlrev_b32_e32 v6, 8, v6
	v_cndmask_b32_e64 v1, v13, v1, s[0:1]
	v_lshl_add_u32 v1, v1, 10, v48
	v_cndmask_b32_e64 v0, v8, v0, s[0:1]
	v_and_or_b32 v1, v6, s21, v1
	v_lshl_or_b32 v0, v0, 7, v1
	v_cvt_f32_f16_e32 v32, v0
.LBB256_594:                            ;   in Loop: Header=BB256_552 Depth=1
	s_or_b64 exec, exec, s[8:9]
	v_lshrrev_b32_e32 v6, 16, v28
	v_cmp_gt_i16_sdwa s[6:7], v6, s17 src0_sel:BYTE_0 src1_sel:DWORD
	s_mov_b64 s[0:1], 0
                                        ; implicit-def: $sgpr18
	s_and_saveexec_b64 s[8:9], s[6:7]
	s_xor_b64 s[6:7], exec, s[8:9]
	s_cbranch_execnz .LBB256_864
; %bb.595:                              ;   in Loop: Header=BB256_552 Depth=1
	s_or_saveexec_b64 s[6:7], s[6:7]
	v_mov_b32_e32 v31, s18
	s_xor_b64 exec, exec, s[6:7]
	s_cbranch_execnz .LBB256_867
.LBB256_596:                            ;   in Loop: Header=BB256_552 Depth=1
	s_or_b64 exec, exec, s[6:7]
	s_and_saveexec_b64 s[6:7], s[0:1]
	s_cbranch_execz .LBB256_598
.LBB256_597:                            ;   in Loop: Header=BB256_552 Depth=1
	v_bfe_u32 v8, v28, 16, 3
	v_ffbh_u32_e32 v0, v8
	v_min_u32_e32 v18, 32, v0
	v_subrev_u32_e32 v0, 28, v18
	v_bfe_u32 v13, v28, 19, 4
	v_lshlrev_b64 v[0:1], v0, v[6:7]
	v_sub_u32_e32 v1, 29, v18
	v_cmp_eq_u32_e64 s[0:1], 0, v13
	v_and_b32_e32 v0, 7, v0
	v_lshlrev_b32_e32 v6, 8, v6
	v_cndmask_b32_e64 v1, v13, v1, s[0:1]
	v_lshl_add_u32 v1, v1, 10, v48
	v_cndmask_b32_e64 v0, v8, v0, s[0:1]
	v_and_or_b32 v1, v6, s21, v1
	v_lshl_or_b32 v0, v0, 7, v1
	v_cvt_f32_f16_e32 v31, v0
.LBB256_598:                            ;   in Loop: Header=BB256_552 Depth=1
	s_or_b64 exec, exec, s[6:7]
	v_lshrrev_b32_e32 v6, 24, v28
	v_cmp_lt_i16_e64 s[0:1], s17, v6
	s_mov_b64 s[6:7], 0
                                        ; implicit-def: $sgpr26
	s_and_saveexec_b64 s[8:9], s[0:1]
	s_xor_b64 s[8:9], exec, s[8:9]
	s_cbranch_execnz .LBB256_868
; %bb.599:                              ;   in Loop: Header=BB256_552 Depth=1
	s_or_saveexec_b64 s[8:9], s[8:9]
	v_mov_b32_e32 v33, s26
	s_xor_b64 exec, exec, s[8:9]
	s_cbranch_execnz .LBB256_871
.LBB256_600:                            ;   in Loop: Header=BB256_552 Depth=1
	s_or_b64 exec, exec, s[8:9]
	s_and_saveexec_b64 s[8:9], s[6:7]
	s_cbranch_execz .LBB256_602
.LBB256_601:                            ;   in Loop: Header=BB256_552 Depth=1
	v_bfe_u32 v8, v28, 24, 3
	v_ffbh_u32_e32 v0, v8
	v_min_u32_e32 v18, 32, v0
	v_subrev_u32_e32 v0, 28, v18
	v_bfe_u32 v13, v28, 27, 4
	v_lshlrev_b64 v[0:1], v0, v[6:7]
	v_sub_u32_e32 v1, 29, v18
	v_cmp_eq_u32_e64 s[0:1], 0, v13
	v_and_b32_e32 v0, 7, v0
	v_lshlrev_b32_e32 v6, 8, v6
	v_cndmask_b32_e64 v1, v13, v1, s[0:1]
	v_lshl_add_u32 v1, v1, 10, v48
	v_cndmask_b32_e64 v0, v8, v0, s[0:1]
	v_and_or_b32 v1, v6, s21, v1
	v_lshl_or_b32 v0, v0, 7, v1
	v_cvt_f32_f16_e32 v33, v0
.LBB256_602:                            ;   in Loop: Header=BB256_552 Depth=1
	s_or_b64 exec, exec, s[8:9]
	v_cmp_gt_i16_sdwa s[6:7], v29, s17 src0_sel:BYTE_0 src1_sel:DWORD
	s_mov_b64 s[0:1], 0
                                        ; implicit-def: $sgpr18
	s_and_saveexec_b64 s[8:9], s[6:7]
	s_xor_b64 s[6:7], exec, s[8:9]
	s_cbranch_execnz .LBB256_872
; %bb.603:                              ;   in Loop: Header=BB256_552 Depth=1
	s_or_saveexec_b64 s[6:7], s[6:7]
	v_mov_b32_e32 v0, s18
	s_xor_b64 exec, exec, s[6:7]
	s_cbranch_execnz .LBB256_875
.LBB256_604:                            ;   in Loop: Header=BB256_552 Depth=1
	s_or_b64 exec, exec, s[6:7]
	v_mov_b32_e32 v6, v29
	s_and_saveexec_b64 s[6:7], s[0:1]
	s_cbranch_execz .LBB256_606
.LBB256_605:                            ;   in Loop: Header=BB256_552 Depth=1
	v_and_b32_e32 v0, 7, v29
	v_ffbh_u32_e32 v0, v0
	v_bfe_u32 v1, v29, 3, 4
	v_min_u32_e32 v0, 32, v0
	v_subrev_u32_e32 v8, 28, v0
	v_sub_u32_e32 v0, 29, v0
	v_cmp_eq_u32_e64 s[0:1], 0, v1
	s_nop 1
	v_cndmask_b32_e64 v13, v1, v0, s[0:1]
	v_cndmask_b32_e64 v0, 0, v8, s[0:1]
	v_lshlrev_b64 v[0:1], v0, v[6:7]
	v_lshlrev_b32_e32 v1, 8, v29
	v_lshl_add_u32 v8, v13, 10, v48
	v_lshlrev_b32_e32 v0, 7, v0
	v_and_or_b32 v1, v1, s21, v8
	v_and_or_b32 v0, v0, s22, v1
	v_cvt_f32_f16_e32 v0, v0
.LBB256_606:                            ;   in Loop: Header=BB256_552 Depth=1
	s_or_b64 exec, exec, s[6:7]
	v_lshrrev_b16_e32 v6, 8, v6
	v_cmp_lt_i16_e64 s[0:1], s17, v6
	s_mov_b64 s[6:7], 0
                                        ; implicit-def: $sgpr26
	s_and_saveexec_b64 s[8:9], s[0:1]
	s_xor_b64 s[8:9], exec, s[8:9]
	s_cbranch_execnz .LBB256_876
; %bb.607:                              ;   in Loop: Header=BB256_552 Depth=1
	s_or_saveexec_b64 s[8:9], s[8:9]
	v_mov_b32_e32 v1, s26
	s_xor_b64 exec, exec, s[8:9]
	s_cbranch_execnz .LBB256_879
.LBB256_608:                            ;   in Loop: Header=BB256_552 Depth=1
	s_or_b64 exec, exec, s[8:9]
	s_and_saveexec_b64 s[8:9], s[6:7]
	s_cbranch_execz .LBB256_610
.LBB256_609:                            ;   in Loop: Header=BB256_552 Depth=1
	v_and_b32_e32 v1, 7, v6
	v_ffbh_u32_e32 v13, v1
	v_bfe_u32 v8, v6, 3, 4
	v_min_u32_e32 v13, 32, v13
	v_subrev_u32_e32 v18, 28, v13
	v_sub_u32_e32 v13, 29, v13
	v_cmp_eq_u32_e64 s[0:1], 0, v8
	v_lshlrev_b64 v[22:23], v18, v[6:7]
	v_and_b32_e32 v18, 7, v22
	v_cndmask_b32_e64 v8, v8, v13, s[0:1]
	v_lshlrev_b32_e32 v6, 8, v6
	v_lshl_add_u32 v8, v8, 10, v48
	v_cndmask_b32_e64 v1, v1, v18, s[0:1]
	v_and_or_b32 v6, v6, s21, v8
	v_lshl_or_b32 v1, v1, 7, v6
	v_cvt_f32_f16_e32 v1, v1
.LBB256_610:                            ;   in Loop: Header=BB256_552 Depth=1
	s_or_b64 exec, exec, s[8:9]
	v_lshrrev_b32_e32 v6, 16, v29
	v_cmp_gt_i16_sdwa s[6:7], v6, s17 src0_sel:BYTE_0 src1_sel:DWORD
	s_mov_b64 s[0:1], 0
                                        ; implicit-def: $sgpr18
	s_and_saveexec_b64 s[8:9], s[6:7]
	s_xor_b64 s[6:7], exec, s[8:9]
	s_cbranch_execnz .LBB256_880
; %bb.611:                              ;   in Loop: Header=BB256_552 Depth=1
	s_or_saveexec_b64 s[6:7], s[6:7]
	v_mov_b32_e32 v8, s18
	s_xor_b64 exec, exec, s[6:7]
	s_cbranch_execnz .LBB256_883
.LBB256_612:                            ;   in Loop: Header=BB256_552 Depth=1
	s_or_b64 exec, exec, s[6:7]
	s_and_saveexec_b64 s[6:7], s[0:1]
	s_cbranch_execz .LBB256_614
.LBB256_613:                            ;   in Loop: Header=BB256_552 Depth=1
	v_bfe_u32 v8, v29, 16, 3
	v_ffbh_u32_e32 v18, v8
	v_bfe_u32 v13, v29, 19, 4
	v_min_u32_e32 v18, 32, v18
	v_subrev_u32_e32 v22, 28, v18
	v_sub_u32_e32 v18, 29, v18
	v_cmp_eq_u32_e64 s[0:1], 0, v13
	v_lshlrev_b64 v[22:23], v22, v[6:7]
	v_and_b32_e32 v22, 7, v22
	v_cndmask_b32_e64 v13, v13, v18, s[0:1]
	v_lshlrev_b32_e32 v6, 8, v6
	v_lshl_add_u32 v13, v13, 10, v48
	v_cndmask_b32_e64 v8, v8, v22, s[0:1]
	v_and_or_b32 v6, v6, s21, v13
	v_lshl_or_b32 v6, v8, 7, v6
	v_cvt_f32_f16_e32 v8, v6
.LBB256_614:                            ;   in Loop: Header=BB256_552 Depth=1
	s_or_b64 exec, exec, s[6:7]
	v_lshrrev_b32_e32 v6, 24, v29
	v_cmp_lt_i16_e64 s[0:1], s17, v6
	s_mov_b64 s[6:7], 0
                                        ; implicit-def: $sgpr26
	s_and_saveexec_b64 s[8:9], s[0:1]
	s_xor_b64 s[8:9], exec, s[8:9]
	s_cbranch_execnz .LBB256_884
; %bb.615:                              ;   in Loop: Header=BB256_552 Depth=1
	s_or_saveexec_b64 s[8:9], s[8:9]
	v_mov_b32_e32 v18, s26
	s_xor_b64 exec, exec, s[8:9]
	s_cbranch_execnz .LBB256_887
.LBB256_616:                            ;   in Loop: Header=BB256_552 Depth=1
	s_or_b64 exec, exec, s[8:9]
	s_and_saveexec_b64 s[8:9], s[6:7]
	s_cbranch_execz .LBB256_618
.LBB256_617:                            ;   in Loop: Header=BB256_552 Depth=1
	v_bfe_u32 v13, v29, 24, 3
	v_ffbh_u32_e32 v22, v13
	v_min_u32_e32 v27, 32, v22
	v_subrev_u32_e32 v22, 28, v27
	v_bfe_u32 v18, v29, 27, 4
	v_lshlrev_b64 v[22:23], v22, v[6:7]
	v_sub_u32_e32 v23, 29, v27
	v_cmp_eq_u32_e64 s[0:1], 0, v18
	v_and_b32_e32 v22, 7, v22
	v_lshlrev_b32_e32 v6, 8, v6
	v_cndmask_b32_e64 v18, v18, v23, s[0:1]
	v_lshl_add_u32 v18, v18, 10, v48
	v_cndmask_b32_e64 v13, v13, v22, s[0:1]
	v_and_or_b32 v6, v6, s21, v18
	v_lshl_or_b32 v6, v13, 7, v6
	v_cvt_f32_f16_e32 v18, v6
.LBB256_618:                            ;   in Loop: Header=BB256_552 Depth=1
	s_or_b64 exec, exec, s[8:9]
	v_pk_mul_f32 v[22:23], v[26:27], v[32:33] op_sel_hi:[0,1]
	v_pk_mul_f32 v[28:29], v[26:27], v[30:31] op_sel_hi:[0,1]
	v_cvt_f16_f32_e32 v6, v23
	v_cvt_f16_f32_e32 v13, v22
	;; [unrolled: 1-line block ×4, first 2 shown]
	v_fma_mixlo_f16 v1, v26, v1, 0
	v_lshlrev_b32_e32 v1, 16, v1
	v_fma_mixlo_f16 v0, v26, v0, 0
	v_or_b32_sdwa v0, v1, v0 dst_sel:DWORD dst_unused:UNUSED_PAD src0_sel:DWORD src1_sel:WORD_0
	v_fma_mixlo_f16 v1, v26, v18, 0
	v_pack_b32_f16 v13, v13, v6
	v_pack_b32_f16 v22, v23, v22
	v_fma_mixlo_f16 v8, v26, v8, 0
	v_lshlrev_b32_e32 v1, 16, v1
	v_perm_b32 v6, v22, v13, s23
	v_perm_b32 v13, v22, v13, s24
	v_or_b32_sdwa v1, v1, v8 dst_sel:DWORD dst_unused:UNUSED_PAD src0_sel:DWORD src1_sel:WORD_0
	s_and_saveexec_b64 s[6:7], vcc
	s_cbranch_execz .LBB256_620
; %bb.619:                              ;   in Loop: Header=BB256_552 Depth=1
	v_lshrrev_b32_e32 v18, 16, v13
	v_cmp_lt_i32_e64 s[0:1], v43, v9
	v_lshrrev_b32_e32 v1, 16, v1
	s_nop 0
	v_cndmask_b32_e64 v18, 0, v18, s[0:1]
	v_cmp_lt_i32_e64 s[0:1], v38, v12
	s_nop 1
	v_cndmask_b32_e64 v13, 0, v13, s[0:1]
	v_perm_b32 v13, v18, v13, s25
	v_lshrrev_b32_e32 v18, 16, v6
	v_cmp_lt_i32_e64 s[0:1], v54, v9
	s_nop 1
	v_cndmask_b32_e64 v18, 0, v18, s[0:1]
	v_cmp_lt_i32_e64 s[0:1], v53, v12
	s_nop 1
	v_cndmask_b32_e64 v6, 0, v6, s[0:1]
	v_perm_b32 v6, v18, v6, s25
	v_lshrrev_b32_e32 v18, 16, v0
	v_cmp_lt_i32_e64 s[0:1], v52, v9
	s_nop 1
	v_cndmask_b32_e64 v18, 0, v18, s[0:1]
	v_cmp_lt_i32_e64 s[0:1], v51, v12
	s_nop 1
	v_cndmask_b32_e64 v0, 0, v0, s[0:1]
	v_cmp_lt_i32_e64 s[0:1], v50, v9
	v_perm_b32 v0, v18, v0, s25
	s_nop 0
	v_cndmask_b32_e64 v1, 0, v1, s[0:1]
	v_cmp_lt_i32_e64 s[0:1], v49, v12
	s_nop 1
	v_cndmask_b32_e64 v8, 0, v8, s[0:1]
	v_perm_b32 v1, v1, v8, s25
.LBB256_620:                            ;   in Loop: Header=BB256_552 Depth=1
	s_or_b64 exec, exec, s[6:7]
	;;#ASMSTART
	v_pk_mul_f16 v8, v55, v13;

	;;#ASMEND
	;;#ASMSTART
	v_pk_mul_f16 v6, v40, v6;

	;;#ASMEND
	;; [unrolled: 4-line block ×4, first 2 shown]
	s_mov_b64 s[0:1], 0
	;;#ASMSTART
	v_pk_add_f16 v6, v8, v6;

	;;#ASMEND
                                        ; implicit-def: $sgpr18
	s_nop 0
	;;#ASMSTART
	v_pk_add_f16 v0, v6, v0;

	;;#ASMEND
	s_nop 0
	;;#ASMSTART
	v_pk_add_f16 v0, v0, v1;

	;;#ASMEND
	s_nop 0
	v_lshrrev_b32_e32 v1, 16, v0
	v_and_b32_e32 v0, 0xffff, v0
	;;#ASMSTART
	v_cvt_f32_f16 v46, v0;
	;;#ASMEND
	;;#ASMSTART
	v_cvt_f32_f16 v47, v1;
	;;#ASMEND
	v_accvgpr_read_b32 v0, a4
	flat_load_dwordx2 v[28:29], v[10:11] offset:1024
	v_accvgpr_read_b32 v1, a5
	flat_load_dword v26, v[0:1]
	s_waitcnt vmcnt(0) lgkmcnt(0)
	v_cmp_gt_i16_sdwa s[6:7], v28, s17 src0_sel:BYTE_0 src1_sel:DWORD
	s_and_saveexec_b64 s[8:9], s[6:7]
	s_xor_b64 s[6:7], exec, s[8:9]
	s_cbranch_execnz .LBB256_888
; %bb.621:                              ;   in Loop: Header=BB256_552 Depth=1
	s_or_saveexec_b64 s[6:7], s[6:7]
	v_mov_b32_e32 v30, s18
	s_xor_b64 exec, exec, s[6:7]
	s_cbranch_execnz .LBB256_891
.LBB256_622:                            ;   in Loop: Header=BB256_552 Depth=1
	s_or_b64 exec, exec, s[6:7]
	s_and_saveexec_b64 s[6:7], s[0:1]
	s_cbranch_execz .LBB256_624
.LBB256_623:                            ;   in Loop: Header=BB256_552 Depth=1
	v_and_b32_e32 v0, 7, v28
	v_ffbh_u32_e32 v0, v0
	v_bfe_u32 v1, v28, 3, 4
	v_min_u32_e32 v0, 32, v0
	v_subrev_u32_e32 v6, 28, v0
	v_sub_u32_e32 v0, 29, v0
	v_cmp_eq_u32_e64 s[0:1], 0, v1
	s_nop 1
	v_cndmask_b32_e64 v8, v1, v0, s[0:1]
	v_cndmask_b32_e64 v0, 0, v6, s[0:1]
	v_lshlrev_b64 v[0:1], v0, v[28:29]
	v_lshlrev_b32_e32 v1, 8, v28
	v_lshl_add_u32 v6, v8, 10, v48
	v_lshlrev_b32_e32 v0, 7, v0
	v_and_or_b32 v1, v1, s21, v6
	v_and_or_b32 v0, v0, s22, v1
	v_cvt_f32_f16_e32 v30, v0
.LBB256_624:                            ;   in Loop: Header=BB256_552 Depth=1
	s_or_b64 exec, exec, s[6:7]
	v_lshrrev_b16_e32 v6, 8, v28
	v_cmp_lt_i16_e64 s[0:1], s17, v6
	s_mov_b64 s[6:7], 0
                                        ; implicit-def: $sgpr26
	s_and_saveexec_b64 s[8:9], s[0:1]
	s_xor_b64 s[8:9], exec, s[8:9]
	s_cbranch_execnz .LBB256_892
; %bb.625:                              ;   in Loop: Header=BB256_552 Depth=1
	s_or_saveexec_b64 s[8:9], s[8:9]
	v_mov_b32_e32 v32, s26
	s_xor_b64 exec, exec, s[8:9]
	s_cbranch_execnz .LBB256_895
.LBB256_626:                            ;   in Loop: Header=BB256_552 Depth=1
	s_or_b64 exec, exec, s[8:9]
	s_and_saveexec_b64 s[8:9], s[6:7]
	s_cbranch_execz .LBB256_628
.LBB256_627:                            ;   in Loop: Header=BB256_552 Depth=1
	v_and_b32_e32 v8, 7, v6
	v_ffbh_u32_e32 v0, v8
	v_min_u32_e32 v18, 32, v0
	v_subrev_u32_e32 v0, 28, v18
	v_bfe_u32 v13, v6, 3, 4
	v_lshlrev_b64 v[0:1], v0, v[6:7]
	v_sub_u32_e32 v1, 29, v18
	v_cmp_eq_u32_e64 s[0:1], 0, v13
	v_and_b32_e32 v0, 7, v0
	v_lshlrev_b32_e32 v6, 8, v6
	v_cndmask_b32_e64 v1, v13, v1, s[0:1]
	v_lshl_add_u32 v1, v1, 10, v48
	v_cndmask_b32_e64 v0, v8, v0, s[0:1]
	v_and_or_b32 v1, v6, s21, v1
	v_lshl_or_b32 v0, v0, 7, v1
	v_cvt_f32_f16_e32 v32, v0
.LBB256_628:                            ;   in Loop: Header=BB256_552 Depth=1
	s_or_b64 exec, exec, s[8:9]
	v_lshrrev_b32_e32 v6, 16, v28
	v_cmp_gt_i16_sdwa s[6:7], v6, s17 src0_sel:BYTE_0 src1_sel:DWORD
	s_mov_b64 s[0:1], 0
                                        ; implicit-def: $sgpr18
	s_and_saveexec_b64 s[8:9], s[6:7]
	s_xor_b64 s[6:7], exec, s[8:9]
	s_cbranch_execnz .LBB256_896
; %bb.629:                              ;   in Loop: Header=BB256_552 Depth=1
	s_or_saveexec_b64 s[6:7], s[6:7]
	v_mov_b32_e32 v31, s18
	s_xor_b64 exec, exec, s[6:7]
	s_cbranch_execnz .LBB256_899
.LBB256_630:                            ;   in Loop: Header=BB256_552 Depth=1
	s_or_b64 exec, exec, s[6:7]
	s_and_saveexec_b64 s[6:7], s[0:1]
	s_cbranch_execz .LBB256_632
.LBB256_631:                            ;   in Loop: Header=BB256_552 Depth=1
	v_bfe_u32 v8, v28, 16, 3
	v_ffbh_u32_e32 v0, v8
	v_min_u32_e32 v18, 32, v0
	v_subrev_u32_e32 v0, 28, v18
	v_bfe_u32 v13, v28, 19, 4
	v_lshlrev_b64 v[0:1], v0, v[6:7]
	v_sub_u32_e32 v1, 29, v18
	v_cmp_eq_u32_e64 s[0:1], 0, v13
	v_and_b32_e32 v0, 7, v0
	v_lshlrev_b32_e32 v6, 8, v6
	v_cndmask_b32_e64 v1, v13, v1, s[0:1]
	v_lshl_add_u32 v1, v1, 10, v48
	v_cndmask_b32_e64 v0, v8, v0, s[0:1]
	v_and_or_b32 v1, v6, s21, v1
	v_lshl_or_b32 v0, v0, 7, v1
	v_cvt_f32_f16_e32 v31, v0
.LBB256_632:                            ;   in Loop: Header=BB256_552 Depth=1
	s_or_b64 exec, exec, s[6:7]
	v_lshrrev_b32_e32 v6, 24, v28
	v_cmp_lt_i16_e64 s[0:1], s17, v6
	s_mov_b64 s[6:7], 0
                                        ; implicit-def: $sgpr26
	s_and_saveexec_b64 s[8:9], s[0:1]
	s_xor_b64 s[8:9], exec, s[8:9]
	s_cbranch_execnz .LBB256_900
; %bb.633:                              ;   in Loop: Header=BB256_552 Depth=1
	s_or_saveexec_b64 s[8:9], s[8:9]
	v_mov_b32_e32 v33, s26
	s_xor_b64 exec, exec, s[8:9]
	s_cbranch_execnz .LBB256_903
.LBB256_634:                            ;   in Loop: Header=BB256_552 Depth=1
	s_or_b64 exec, exec, s[8:9]
	s_and_saveexec_b64 s[8:9], s[6:7]
	s_cbranch_execz .LBB256_636
.LBB256_635:                            ;   in Loop: Header=BB256_552 Depth=1
	v_bfe_u32 v8, v28, 24, 3
	v_ffbh_u32_e32 v0, v8
	v_min_u32_e32 v18, 32, v0
	v_subrev_u32_e32 v0, 28, v18
	v_bfe_u32 v13, v28, 27, 4
	v_lshlrev_b64 v[0:1], v0, v[6:7]
	v_sub_u32_e32 v1, 29, v18
	v_cmp_eq_u32_e64 s[0:1], 0, v13
	v_and_b32_e32 v0, 7, v0
	v_lshlrev_b32_e32 v6, 8, v6
	v_cndmask_b32_e64 v1, v13, v1, s[0:1]
	v_lshl_add_u32 v1, v1, 10, v48
	v_cndmask_b32_e64 v0, v8, v0, s[0:1]
	v_and_or_b32 v1, v6, s21, v1
	v_lshl_or_b32 v0, v0, 7, v1
	v_cvt_f32_f16_e32 v33, v0
.LBB256_636:                            ;   in Loop: Header=BB256_552 Depth=1
	s_or_b64 exec, exec, s[8:9]
	v_cmp_gt_i16_sdwa s[6:7], v29, s17 src0_sel:BYTE_0 src1_sel:DWORD
	s_mov_b64 s[0:1], 0
                                        ; implicit-def: $sgpr18
	s_and_saveexec_b64 s[8:9], s[6:7]
	s_xor_b64 s[6:7], exec, s[8:9]
	s_cbranch_execnz .LBB256_904
; %bb.637:                              ;   in Loop: Header=BB256_552 Depth=1
	s_or_saveexec_b64 s[6:7], s[6:7]
	v_mov_b32_e32 v0, s18
	s_xor_b64 exec, exec, s[6:7]
	s_cbranch_execnz .LBB256_907
.LBB256_638:                            ;   in Loop: Header=BB256_552 Depth=1
	s_or_b64 exec, exec, s[6:7]
	v_mov_b32_e32 v6, v29
	s_and_saveexec_b64 s[6:7], s[0:1]
	s_cbranch_execz .LBB256_640
.LBB256_639:                            ;   in Loop: Header=BB256_552 Depth=1
	v_and_b32_e32 v0, 7, v29
	v_ffbh_u32_e32 v0, v0
	v_bfe_u32 v1, v29, 3, 4
	v_min_u32_e32 v0, 32, v0
	v_subrev_u32_e32 v8, 28, v0
	v_sub_u32_e32 v0, 29, v0
	v_cmp_eq_u32_e64 s[0:1], 0, v1
	s_nop 1
	v_cndmask_b32_e64 v13, v1, v0, s[0:1]
	v_cndmask_b32_e64 v0, 0, v8, s[0:1]
	v_lshlrev_b64 v[0:1], v0, v[6:7]
	v_lshlrev_b32_e32 v1, 8, v29
	v_lshl_add_u32 v8, v13, 10, v48
	v_lshlrev_b32_e32 v0, 7, v0
	v_and_or_b32 v1, v1, s21, v8
	v_and_or_b32 v0, v0, s22, v1
	v_cvt_f32_f16_e32 v0, v0
.LBB256_640:                            ;   in Loop: Header=BB256_552 Depth=1
	s_or_b64 exec, exec, s[6:7]
	v_lshrrev_b16_e32 v6, 8, v6
	v_cmp_lt_i16_e64 s[0:1], s17, v6
	s_mov_b64 s[6:7], 0
                                        ; implicit-def: $sgpr26
	s_and_saveexec_b64 s[8:9], s[0:1]
	s_xor_b64 s[8:9], exec, s[8:9]
	s_cbranch_execnz .LBB256_908
; %bb.641:                              ;   in Loop: Header=BB256_552 Depth=1
	s_or_saveexec_b64 s[8:9], s[8:9]
	v_mov_b32_e32 v1, s26
	s_xor_b64 exec, exec, s[8:9]
	s_cbranch_execnz .LBB256_911
.LBB256_642:                            ;   in Loop: Header=BB256_552 Depth=1
	s_or_b64 exec, exec, s[8:9]
	s_and_saveexec_b64 s[8:9], s[6:7]
	s_cbranch_execz .LBB256_644
.LBB256_643:                            ;   in Loop: Header=BB256_552 Depth=1
	v_and_b32_e32 v1, 7, v6
	v_ffbh_u32_e32 v13, v1
	v_bfe_u32 v8, v6, 3, 4
	v_min_u32_e32 v13, 32, v13
	v_subrev_u32_e32 v18, 28, v13
	v_sub_u32_e32 v13, 29, v13
	v_cmp_eq_u32_e64 s[0:1], 0, v8
	v_lshlrev_b64 v[22:23], v18, v[6:7]
	v_and_b32_e32 v18, 7, v22
	v_cndmask_b32_e64 v8, v8, v13, s[0:1]
	v_lshlrev_b32_e32 v6, 8, v6
	v_lshl_add_u32 v8, v8, 10, v48
	v_cndmask_b32_e64 v1, v1, v18, s[0:1]
	v_and_or_b32 v6, v6, s21, v8
	v_lshl_or_b32 v1, v1, 7, v6
	v_cvt_f32_f16_e32 v1, v1
.LBB256_644:                            ;   in Loop: Header=BB256_552 Depth=1
	s_or_b64 exec, exec, s[8:9]
	v_lshrrev_b32_e32 v6, 16, v29
	v_cmp_gt_i16_sdwa s[6:7], v6, s17 src0_sel:BYTE_0 src1_sel:DWORD
	s_mov_b64 s[0:1], 0
                                        ; implicit-def: $sgpr18
	s_and_saveexec_b64 s[8:9], s[6:7]
	s_xor_b64 s[6:7], exec, s[8:9]
	s_cbranch_execnz .LBB256_912
; %bb.645:                              ;   in Loop: Header=BB256_552 Depth=1
	s_or_saveexec_b64 s[6:7], s[6:7]
	v_mov_b32_e32 v8, s18
	s_xor_b64 exec, exec, s[6:7]
	s_cbranch_execnz .LBB256_915
.LBB256_646:                            ;   in Loop: Header=BB256_552 Depth=1
	s_or_b64 exec, exec, s[6:7]
	s_and_saveexec_b64 s[6:7], s[0:1]
	s_cbranch_execz .LBB256_648
.LBB256_647:                            ;   in Loop: Header=BB256_552 Depth=1
	v_bfe_u32 v8, v29, 16, 3
	v_ffbh_u32_e32 v18, v8
	v_bfe_u32 v13, v29, 19, 4
	v_min_u32_e32 v18, 32, v18
	v_subrev_u32_e32 v22, 28, v18
	v_sub_u32_e32 v18, 29, v18
	v_cmp_eq_u32_e64 s[0:1], 0, v13
	v_lshlrev_b64 v[22:23], v22, v[6:7]
	v_and_b32_e32 v22, 7, v22
	v_cndmask_b32_e64 v13, v13, v18, s[0:1]
	v_lshlrev_b32_e32 v6, 8, v6
	v_lshl_add_u32 v13, v13, 10, v48
	v_cndmask_b32_e64 v8, v8, v22, s[0:1]
	v_and_or_b32 v6, v6, s21, v13
	v_lshl_or_b32 v6, v8, 7, v6
	v_cvt_f32_f16_e32 v8, v6
.LBB256_648:                            ;   in Loop: Header=BB256_552 Depth=1
	s_or_b64 exec, exec, s[6:7]
	v_lshrrev_b32_e32 v6, 24, v29
	v_cmp_lt_i16_e64 s[0:1], s17, v6
	s_mov_b64 s[6:7], 0
                                        ; implicit-def: $sgpr26
	s_and_saveexec_b64 s[8:9], s[0:1]
	s_xor_b64 s[8:9], exec, s[8:9]
	s_cbranch_execnz .LBB256_916
; %bb.649:                              ;   in Loop: Header=BB256_552 Depth=1
	s_or_saveexec_b64 s[8:9], s[8:9]
	v_mov_b32_e32 v18, s26
	s_xor_b64 exec, exec, s[8:9]
	s_cbranch_execnz .LBB256_919
.LBB256_650:                            ;   in Loop: Header=BB256_552 Depth=1
	s_or_b64 exec, exec, s[8:9]
	s_and_saveexec_b64 s[8:9], s[6:7]
	s_cbranch_execz .LBB256_652
.LBB256_651:                            ;   in Loop: Header=BB256_552 Depth=1
	v_bfe_u32 v13, v29, 24, 3
	v_ffbh_u32_e32 v22, v13
	v_min_u32_e32 v27, 32, v22
	v_subrev_u32_e32 v22, 28, v27
	v_bfe_u32 v18, v29, 27, 4
	v_lshlrev_b64 v[22:23], v22, v[6:7]
	v_sub_u32_e32 v23, 29, v27
	v_cmp_eq_u32_e64 s[0:1], 0, v18
	v_and_b32_e32 v22, 7, v22
	v_lshlrev_b32_e32 v6, 8, v6
	v_cndmask_b32_e64 v18, v18, v23, s[0:1]
	v_lshl_add_u32 v18, v18, 10, v48
	v_cndmask_b32_e64 v13, v13, v22, s[0:1]
	v_and_or_b32 v6, v6, s21, v18
	v_lshl_or_b32 v6, v13, 7, v6
	v_cvt_f32_f16_e32 v18, v6
.LBB256_652:                            ;   in Loop: Header=BB256_552 Depth=1
	s_or_b64 exec, exec, s[8:9]
	v_pk_mul_f32 v[22:23], v[26:27], v[32:33] op_sel_hi:[0,1]
	v_pk_mul_f32 v[28:29], v[26:27], v[30:31] op_sel_hi:[0,1]
	v_cvt_f16_f32_e32 v6, v23
	v_cvt_f16_f32_e32 v13, v22
	;; [unrolled: 1-line block ×4, first 2 shown]
	v_fma_mixlo_f16 v1, v26, v1, 0
	v_lshlrev_b32_e32 v1, 16, v1
	v_fma_mixlo_f16 v0, v26, v0, 0
	v_or_b32_sdwa v0, v1, v0 dst_sel:DWORD dst_unused:UNUSED_PAD src0_sel:DWORD src1_sel:WORD_0
	v_fma_mixlo_f16 v1, v26, v18, 0
	v_pack_b32_f16 v13, v13, v6
	v_pack_b32_f16 v22, v23, v22
	v_fma_mixlo_f16 v8, v26, v8, 0
	v_lshlrev_b32_e32 v1, 16, v1
	v_perm_b32 v6, v22, v13, s23
	v_perm_b32 v13, v22, v13, s24
	v_or_b32_sdwa v1, v1, v8 dst_sel:DWORD dst_unused:UNUSED_PAD src0_sel:DWORD src1_sel:WORD_0
	s_and_saveexec_b64 s[6:7], vcc
	s_cbranch_execz .LBB256_654
; %bb.653:                              ;   in Loop: Header=BB256_552 Depth=1
	v_lshrrev_b32_e32 v18, 16, v13
	v_cmp_lt_i32_e64 s[0:1], v43, v9
	v_lshrrev_b32_e32 v1, 16, v1
	s_nop 0
	v_cndmask_b32_e64 v18, 0, v18, s[0:1]
	v_cmp_lt_i32_e64 s[0:1], v38, v12
	s_nop 1
	v_cndmask_b32_e64 v13, 0, v13, s[0:1]
	v_perm_b32 v13, v18, v13, s25
	v_lshrrev_b32_e32 v18, 16, v6
	v_cmp_lt_i32_e64 s[0:1], v54, v9
	s_nop 1
	v_cndmask_b32_e64 v18, 0, v18, s[0:1]
	v_cmp_lt_i32_e64 s[0:1], v53, v12
	s_nop 1
	v_cndmask_b32_e64 v6, 0, v6, s[0:1]
	v_perm_b32 v6, v18, v6, s25
	v_lshrrev_b32_e32 v18, 16, v0
	v_cmp_lt_i32_e64 s[0:1], v52, v9
	s_nop 1
	v_cndmask_b32_e64 v18, 0, v18, s[0:1]
	v_cmp_lt_i32_e64 s[0:1], v51, v12
	s_nop 1
	v_cndmask_b32_e64 v0, 0, v0, s[0:1]
	v_cmp_lt_i32_e64 s[0:1], v50, v9
	v_perm_b32 v0, v18, v0, s25
	s_nop 0
	v_cndmask_b32_e64 v1, 0, v1, s[0:1]
	v_cmp_lt_i32_e64 s[0:1], v49, v12
	s_nop 1
	v_cndmask_b32_e64 v8, 0, v8, s[0:1]
	v_perm_b32 v1, v1, v8, s25
.LBB256_654:                            ;   in Loop: Header=BB256_552 Depth=1
	s_or_b64 exec, exec, s[6:7]
	;;#ASMSTART
	v_pk_mul_f16 v8, v55, v13;

	;;#ASMEND
	;;#ASMSTART
	v_pk_mul_f16 v6, v40, v6;

	;;#ASMEND
	;; [unrolled: 4-line block ×4, first 2 shown]
	s_mov_b64 s[0:1], 0
	;;#ASMSTART
	v_pk_add_f16 v6, v8, v6;

	;;#ASMEND
                                        ; implicit-def: $sgpr18
	s_nop 0
	;;#ASMSTART
	v_pk_add_f16 v0, v6, v0;

	;;#ASMEND
	s_nop 0
	;;#ASMSTART
	v_pk_add_f16 v0, v0, v1;

	;;#ASMEND
	s_nop 0
	v_lshrrev_b32_e32 v1, 16, v0
	v_and_b32_e32 v0, 0xffff, v0
	;;#ASMSTART
	v_cvt_f32_f16 v56, v0;
	;;#ASMEND
	;;#ASMSTART
	v_cvt_f32_f16 v57, v1;
	;;#ASMEND
	v_accvgpr_read_b32 v0, a4
	flat_load_dwordx2 v[28:29], v[10:11] offset:1536
	v_accvgpr_read_b32 v1, a5
	flat_load_dword v26, v[0:1]
	s_waitcnt vmcnt(0) lgkmcnt(0)
	v_cmp_gt_i16_sdwa s[6:7], v28, s17 src0_sel:BYTE_0 src1_sel:DWORD
	s_and_saveexec_b64 s[8:9], s[6:7]
	s_xor_b64 s[6:7], exec, s[8:9]
	s_cbranch_execnz .LBB256_920
; %bb.655:                              ;   in Loop: Header=BB256_552 Depth=1
	s_or_saveexec_b64 s[6:7], s[6:7]
	v_mov_b32_e32 v30, s18
	s_xor_b64 exec, exec, s[6:7]
	s_cbranch_execnz .LBB256_923
.LBB256_656:                            ;   in Loop: Header=BB256_552 Depth=1
	s_or_b64 exec, exec, s[6:7]
	s_and_saveexec_b64 s[6:7], s[0:1]
	s_cbranch_execz .LBB256_658
.LBB256_657:                            ;   in Loop: Header=BB256_552 Depth=1
	v_and_b32_e32 v0, 7, v28
	v_ffbh_u32_e32 v0, v0
	v_bfe_u32 v1, v28, 3, 4
	v_min_u32_e32 v0, 32, v0
	v_subrev_u32_e32 v6, 28, v0
	v_sub_u32_e32 v0, 29, v0
	v_cmp_eq_u32_e64 s[0:1], 0, v1
	s_nop 1
	v_cndmask_b32_e64 v8, v1, v0, s[0:1]
	v_cndmask_b32_e64 v0, 0, v6, s[0:1]
	v_lshlrev_b64 v[0:1], v0, v[28:29]
	v_lshlrev_b32_e32 v1, 8, v28
	v_lshl_add_u32 v6, v8, 10, v48
	v_lshlrev_b32_e32 v0, 7, v0
	v_and_or_b32 v1, v1, s21, v6
	v_and_or_b32 v0, v0, s22, v1
	v_cvt_f32_f16_e32 v30, v0
.LBB256_658:                            ;   in Loop: Header=BB256_552 Depth=1
	s_or_b64 exec, exec, s[6:7]
	v_lshrrev_b16_e32 v6, 8, v28
	v_cmp_lt_i16_e64 s[0:1], s17, v6
	s_mov_b64 s[6:7], 0
                                        ; implicit-def: $sgpr26
	s_and_saveexec_b64 s[8:9], s[0:1]
	s_xor_b64 s[8:9], exec, s[8:9]
	s_cbranch_execnz .LBB256_924
; %bb.659:                              ;   in Loop: Header=BB256_552 Depth=1
	s_or_saveexec_b64 s[8:9], s[8:9]
	v_mov_b32_e32 v32, s26
	s_xor_b64 exec, exec, s[8:9]
	s_cbranch_execnz .LBB256_927
.LBB256_660:                            ;   in Loop: Header=BB256_552 Depth=1
	s_or_b64 exec, exec, s[8:9]
	s_and_saveexec_b64 s[8:9], s[6:7]
	s_cbranch_execz .LBB256_662
.LBB256_661:                            ;   in Loop: Header=BB256_552 Depth=1
	v_and_b32_e32 v8, 7, v6
	v_ffbh_u32_e32 v0, v8
	v_min_u32_e32 v18, 32, v0
	v_subrev_u32_e32 v0, 28, v18
	v_bfe_u32 v13, v6, 3, 4
	v_lshlrev_b64 v[0:1], v0, v[6:7]
	v_sub_u32_e32 v1, 29, v18
	v_cmp_eq_u32_e64 s[0:1], 0, v13
	v_and_b32_e32 v0, 7, v0
	v_lshlrev_b32_e32 v6, 8, v6
	v_cndmask_b32_e64 v1, v13, v1, s[0:1]
	v_lshl_add_u32 v1, v1, 10, v48
	v_cndmask_b32_e64 v0, v8, v0, s[0:1]
	v_and_or_b32 v1, v6, s21, v1
	v_lshl_or_b32 v0, v0, 7, v1
	v_cvt_f32_f16_e32 v32, v0
.LBB256_662:                            ;   in Loop: Header=BB256_552 Depth=1
	s_or_b64 exec, exec, s[8:9]
	v_lshrrev_b32_e32 v6, 16, v28
	v_cmp_gt_i16_sdwa s[6:7], v6, s17 src0_sel:BYTE_0 src1_sel:DWORD
	s_mov_b64 s[0:1], 0
                                        ; implicit-def: $sgpr18
	s_and_saveexec_b64 s[8:9], s[6:7]
	s_xor_b64 s[6:7], exec, s[8:9]
	s_cbranch_execnz .LBB256_928
; %bb.663:                              ;   in Loop: Header=BB256_552 Depth=1
	s_or_saveexec_b64 s[6:7], s[6:7]
	v_mov_b32_e32 v31, s18
	s_xor_b64 exec, exec, s[6:7]
	s_cbranch_execnz .LBB256_931
.LBB256_664:                            ;   in Loop: Header=BB256_552 Depth=1
	s_or_b64 exec, exec, s[6:7]
	s_and_saveexec_b64 s[6:7], s[0:1]
	s_cbranch_execz .LBB256_666
.LBB256_665:                            ;   in Loop: Header=BB256_552 Depth=1
	v_bfe_u32 v8, v28, 16, 3
	v_ffbh_u32_e32 v0, v8
	v_min_u32_e32 v18, 32, v0
	v_subrev_u32_e32 v0, 28, v18
	v_bfe_u32 v13, v28, 19, 4
	v_lshlrev_b64 v[0:1], v0, v[6:7]
	v_sub_u32_e32 v1, 29, v18
	v_cmp_eq_u32_e64 s[0:1], 0, v13
	v_and_b32_e32 v0, 7, v0
	v_lshlrev_b32_e32 v6, 8, v6
	v_cndmask_b32_e64 v1, v13, v1, s[0:1]
	v_lshl_add_u32 v1, v1, 10, v48
	v_cndmask_b32_e64 v0, v8, v0, s[0:1]
	v_and_or_b32 v1, v6, s21, v1
	v_lshl_or_b32 v0, v0, 7, v1
	v_cvt_f32_f16_e32 v31, v0
.LBB256_666:                            ;   in Loop: Header=BB256_552 Depth=1
	s_or_b64 exec, exec, s[6:7]
	v_lshrrev_b32_e32 v6, 24, v28
	v_cmp_lt_i16_e64 s[0:1], s17, v6
	s_mov_b64 s[6:7], 0
                                        ; implicit-def: $sgpr26
	s_and_saveexec_b64 s[8:9], s[0:1]
	s_xor_b64 s[8:9], exec, s[8:9]
	s_cbranch_execnz .LBB256_932
; %bb.667:                              ;   in Loop: Header=BB256_552 Depth=1
	s_or_saveexec_b64 s[8:9], s[8:9]
	v_mov_b32_e32 v33, s26
	s_xor_b64 exec, exec, s[8:9]
	s_cbranch_execnz .LBB256_935
.LBB256_668:                            ;   in Loop: Header=BB256_552 Depth=1
	s_or_b64 exec, exec, s[8:9]
	s_and_saveexec_b64 s[8:9], s[6:7]
	s_cbranch_execz .LBB256_670
.LBB256_669:                            ;   in Loop: Header=BB256_552 Depth=1
	v_bfe_u32 v8, v28, 24, 3
	v_ffbh_u32_e32 v0, v8
	v_min_u32_e32 v18, 32, v0
	v_subrev_u32_e32 v0, 28, v18
	v_bfe_u32 v13, v28, 27, 4
	v_lshlrev_b64 v[0:1], v0, v[6:7]
	v_sub_u32_e32 v1, 29, v18
	v_cmp_eq_u32_e64 s[0:1], 0, v13
	v_and_b32_e32 v0, 7, v0
	v_lshlrev_b32_e32 v6, 8, v6
	v_cndmask_b32_e64 v1, v13, v1, s[0:1]
	v_lshl_add_u32 v1, v1, 10, v48
	v_cndmask_b32_e64 v0, v8, v0, s[0:1]
	v_and_or_b32 v1, v6, s21, v1
	v_lshl_or_b32 v0, v0, 7, v1
	v_cvt_f32_f16_e32 v33, v0
.LBB256_670:                            ;   in Loop: Header=BB256_552 Depth=1
	s_or_b64 exec, exec, s[8:9]
	v_cmp_gt_i16_sdwa s[6:7], v29, s17 src0_sel:BYTE_0 src1_sel:DWORD
	s_mov_b64 s[0:1], 0
                                        ; implicit-def: $sgpr18
	s_and_saveexec_b64 s[8:9], s[6:7]
	s_xor_b64 s[6:7], exec, s[8:9]
	s_cbranch_execnz .LBB256_936
; %bb.671:                              ;   in Loop: Header=BB256_552 Depth=1
	s_or_saveexec_b64 s[6:7], s[6:7]
	v_mov_b32_e32 v0, s18
	s_xor_b64 exec, exec, s[6:7]
	s_cbranch_execnz .LBB256_939
.LBB256_672:                            ;   in Loop: Header=BB256_552 Depth=1
	s_or_b64 exec, exec, s[6:7]
	v_mov_b32_e32 v6, v29
	s_and_saveexec_b64 s[6:7], s[0:1]
	s_cbranch_execz .LBB256_674
.LBB256_673:                            ;   in Loop: Header=BB256_552 Depth=1
	v_and_b32_e32 v0, 7, v29
	v_ffbh_u32_e32 v0, v0
	v_bfe_u32 v1, v29, 3, 4
	v_min_u32_e32 v0, 32, v0
	v_subrev_u32_e32 v8, 28, v0
	v_sub_u32_e32 v0, 29, v0
	v_cmp_eq_u32_e64 s[0:1], 0, v1
	s_nop 1
	v_cndmask_b32_e64 v13, v1, v0, s[0:1]
	v_cndmask_b32_e64 v0, 0, v8, s[0:1]
	v_lshlrev_b64 v[0:1], v0, v[6:7]
	v_lshlrev_b32_e32 v1, 8, v29
	v_lshl_add_u32 v8, v13, 10, v48
	v_lshlrev_b32_e32 v0, 7, v0
	v_and_or_b32 v1, v1, s21, v8
	v_and_or_b32 v0, v0, s22, v1
	v_cvt_f32_f16_e32 v0, v0
.LBB256_674:                            ;   in Loop: Header=BB256_552 Depth=1
	s_or_b64 exec, exec, s[6:7]
	v_lshrrev_b16_e32 v6, 8, v6
	v_cmp_lt_i16_e64 s[0:1], s17, v6
	s_mov_b64 s[6:7], 0
                                        ; implicit-def: $sgpr26
	s_and_saveexec_b64 s[8:9], s[0:1]
	s_xor_b64 s[8:9], exec, s[8:9]
	s_cbranch_execnz .LBB256_940
; %bb.675:                              ;   in Loop: Header=BB256_552 Depth=1
	s_or_saveexec_b64 s[8:9], s[8:9]
	v_mov_b32_e32 v1, s26
	s_xor_b64 exec, exec, s[8:9]
	s_cbranch_execnz .LBB256_943
.LBB256_676:                            ;   in Loop: Header=BB256_552 Depth=1
	s_or_b64 exec, exec, s[8:9]
	s_and_saveexec_b64 s[8:9], s[6:7]
	s_cbranch_execz .LBB256_678
.LBB256_677:                            ;   in Loop: Header=BB256_552 Depth=1
	v_and_b32_e32 v1, 7, v6
	v_ffbh_u32_e32 v13, v1
	v_bfe_u32 v8, v6, 3, 4
	v_min_u32_e32 v13, 32, v13
	v_subrev_u32_e32 v18, 28, v13
	v_sub_u32_e32 v13, 29, v13
	v_cmp_eq_u32_e64 s[0:1], 0, v8
	v_lshlrev_b64 v[22:23], v18, v[6:7]
	v_and_b32_e32 v18, 7, v22
	v_cndmask_b32_e64 v8, v8, v13, s[0:1]
	v_lshlrev_b32_e32 v6, 8, v6
	v_lshl_add_u32 v8, v8, 10, v48
	v_cndmask_b32_e64 v1, v1, v18, s[0:1]
	v_and_or_b32 v6, v6, s21, v8
	v_lshl_or_b32 v1, v1, 7, v6
	v_cvt_f32_f16_e32 v1, v1
.LBB256_678:                            ;   in Loop: Header=BB256_552 Depth=1
	s_or_b64 exec, exec, s[8:9]
	v_lshrrev_b32_e32 v6, 16, v29
	v_cmp_gt_i16_sdwa s[6:7], v6, s17 src0_sel:BYTE_0 src1_sel:DWORD
	s_mov_b64 s[0:1], 0
                                        ; implicit-def: $sgpr18
	s_and_saveexec_b64 s[8:9], s[6:7]
	s_xor_b64 s[6:7], exec, s[8:9]
	s_cbranch_execnz .LBB256_944
; %bb.679:                              ;   in Loop: Header=BB256_552 Depth=1
	s_or_saveexec_b64 s[6:7], s[6:7]
	v_mov_b32_e32 v8, s18
	s_xor_b64 exec, exec, s[6:7]
	s_cbranch_execnz .LBB256_947
.LBB256_680:                            ;   in Loop: Header=BB256_552 Depth=1
	s_or_b64 exec, exec, s[6:7]
	s_and_saveexec_b64 s[6:7], s[0:1]
	s_cbranch_execz .LBB256_682
.LBB256_681:                            ;   in Loop: Header=BB256_552 Depth=1
	v_bfe_u32 v8, v29, 16, 3
	v_ffbh_u32_e32 v18, v8
	v_bfe_u32 v13, v29, 19, 4
	v_min_u32_e32 v18, 32, v18
	v_subrev_u32_e32 v22, 28, v18
	v_sub_u32_e32 v18, 29, v18
	v_cmp_eq_u32_e64 s[0:1], 0, v13
	v_lshlrev_b64 v[22:23], v22, v[6:7]
	v_and_b32_e32 v22, 7, v22
	v_cndmask_b32_e64 v13, v13, v18, s[0:1]
	v_lshlrev_b32_e32 v6, 8, v6
	v_lshl_add_u32 v13, v13, 10, v48
	v_cndmask_b32_e64 v8, v8, v22, s[0:1]
	v_and_or_b32 v6, v6, s21, v13
	v_lshl_or_b32 v6, v8, 7, v6
	v_cvt_f32_f16_e32 v8, v6
.LBB256_682:                            ;   in Loop: Header=BB256_552 Depth=1
	s_or_b64 exec, exec, s[6:7]
	v_lshrrev_b32_e32 v6, 24, v29
	v_cmp_lt_i16_e64 s[0:1], s17, v6
	s_mov_b64 s[6:7], 0
                                        ; implicit-def: $sgpr26
	s_and_saveexec_b64 s[8:9], s[0:1]
	s_xor_b64 s[8:9], exec, s[8:9]
	s_cbranch_execnz .LBB256_948
; %bb.683:                              ;   in Loop: Header=BB256_552 Depth=1
	s_or_saveexec_b64 s[8:9], s[8:9]
	v_mov_b32_e32 v18, s26
	s_xor_b64 exec, exec, s[8:9]
	s_cbranch_execnz .LBB256_951
.LBB256_684:                            ;   in Loop: Header=BB256_552 Depth=1
	s_or_b64 exec, exec, s[8:9]
	s_and_saveexec_b64 s[8:9], s[6:7]
	s_cbranch_execz .LBB256_686
.LBB256_685:                            ;   in Loop: Header=BB256_552 Depth=1
	v_bfe_u32 v13, v29, 24, 3
	v_ffbh_u32_e32 v22, v13
	v_min_u32_e32 v27, 32, v22
	v_subrev_u32_e32 v22, 28, v27
	v_bfe_u32 v18, v29, 27, 4
	v_lshlrev_b64 v[22:23], v22, v[6:7]
	v_sub_u32_e32 v23, 29, v27
	v_cmp_eq_u32_e64 s[0:1], 0, v18
	v_and_b32_e32 v22, 7, v22
	v_lshlrev_b32_e32 v6, 8, v6
	v_cndmask_b32_e64 v18, v18, v23, s[0:1]
	v_lshl_add_u32 v18, v18, 10, v48
	v_cndmask_b32_e64 v13, v13, v22, s[0:1]
	v_and_or_b32 v6, v6, s21, v18
	v_lshl_or_b32 v6, v13, 7, v6
	v_cvt_f32_f16_e32 v18, v6
.LBB256_686:                            ;   in Loop: Header=BB256_552 Depth=1
	s_or_b64 exec, exec, s[8:9]
	v_pk_mul_f32 v[22:23], v[26:27], v[32:33] op_sel_hi:[0,1]
	v_pk_mul_f32 v[28:29], v[26:27], v[30:31] op_sel_hi:[0,1]
	v_cvt_f16_f32_e32 v6, v23
	v_cvt_f16_f32_e32 v13, v22
	v_cvt_f16_f32_e32 v22, v29
	v_cvt_f16_f32_e32 v23, v28
	v_fma_mixlo_f16 v1, v26, v1, 0
	v_lshlrev_b32_e32 v1, 16, v1
	v_fma_mixlo_f16 v0, v26, v0, 0
	v_or_b32_sdwa v0, v1, v0 dst_sel:DWORD dst_unused:UNUSED_PAD src0_sel:DWORD src1_sel:WORD_0
	v_fma_mixlo_f16 v1, v26, v18, 0
	v_pack_b32_f16 v13, v13, v6
	v_pack_b32_f16 v22, v23, v22
	v_fma_mixlo_f16 v8, v26, v8, 0
	v_lshlrev_b32_e32 v1, 16, v1
	v_perm_b32 v6, v22, v13, s23
	v_perm_b32 v13, v22, v13, s24
	v_or_b32_sdwa v1, v1, v8 dst_sel:DWORD dst_unused:UNUSED_PAD src0_sel:DWORD src1_sel:WORD_0
	s_and_saveexec_b64 s[6:7], vcc
	s_cbranch_execz .LBB256_688
; %bb.687:                              ;   in Loop: Header=BB256_552 Depth=1
	v_lshrrev_b32_e32 v18, 16, v13
	v_cmp_lt_i32_e64 s[0:1], v43, v9
	v_lshrrev_b32_e32 v1, 16, v1
	s_nop 0
	v_cndmask_b32_e64 v18, 0, v18, s[0:1]
	v_cmp_lt_i32_e64 s[0:1], v38, v12
	s_nop 1
	v_cndmask_b32_e64 v13, 0, v13, s[0:1]
	v_perm_b32 v13, v18, v13, s25
	v_lshrrev_b32_e32 v18, 16, v6
	v_cmp_lt_i32_e64 s[0:1], v54, v9
	s_nop 1
	v_cndmask_b32_e64 v18, 0, v18, s[0:1]
	v_cmp_lt_i32_e64 s[0:1], v53, v12
	s_nop 1
	v_cndmask_b32_e64 v6, 0, v6, s[0:1]
	v_perm_b32 v6, v18, v6, s25
	v_lshrrev_b32_e32 v18, 16, v0
	v_cmp_lt_i32_e64 s[0:1], v52, v9
	s_nop 1
	v_cndmask_b32_e64 v18, 0, v18, s[0:1]
	v_cmp_lt_i32_e64 s[0:1], v51, v12
	s_nop 1
	v_cndmask_b32_e64 v0, 0, v0, s[0:1]
	v_cmp_lt_i32_e64 s[0:1], v50, v9
	v_perm_b32 v0, v18, v0, s25
	s_nop 0
	v_cndmask_b32_e64 v1, 0, v1, s[0:1]
	v_cmp_lt_i32_e64 s[0:1], v49, v12
	s_nop 1
	v_cndmask_b32_e64 v8, 0, v8, s[0:1]
	v_perm_b32 v1, v1, v8, s25
.LBB256_688:                            ;   in Loop: Header=BB256_552 Depth=1
	s_or_b64 exec, exec, s[6:7]
	;;#ASMSTART
	v_pk_mul_f16 v8, v55, v13;

	;;#ASMEND
	;;#ASMSTART
	v_pk_mul_f16 v6, v40, v6;

	;;#ASMEND
	;; [unrolled: 4-line block ×4, first 2 shown]
	v_accvgpr_read_b32 v23, a5
	;;#ASMSTART
	v_pk_add_f16 v6, v8, v6;

	;;#ASMEND
	v_accvgpr_read_b32 v22, a4
	;;#ASMSTART
	v_pk_add_f16 v0, v6, v0;

	;;#ASMEND
	s_mov_b64 s[0:1], 0
	;;#ASMSTART
	v_pk_add_f16 v0, v0, v1;

	;;#ASMEND
                                        ; implicit-def: $sgpr18
	s_nop 0
	v_lshrrev_b32_e32 v1, 16, v0
	v_and_b32_e32 v0, 0xffff, v0
	;;#ASMSTART
	v_cvt_f32_f16 v0, v0;
	;;#ASMEND
	;;#ASMSTART
	v_cvt_f32_f16 v1, v1;
	;;#ASMEND
	flat_load_dwordx2 v[28:29], v[10:11] offset:2048
	flat_load_dword v26, v[22:23]
	s_waitcnt vmcnt(0) lgkmcnt(0)
	v_cmp_gt_i16_sdwa s[6:7], v28, s17 src0_sel:BYTE_0 src1_sel:DWORD
	s_and_saveexec_b64 s[8:9], s[6:7]
	s_xor_b64 s[6:7], exec, s[8:9]
	s_cbranch_execnz .LBB256_952
; %bb.689:                              ;   in Loop: Header=BB256_552 Depth=1
	s_or_saveexec_b64 s[6:7], s[6:7]
	v_mov_b32_e32 v30, s18
	s_xor_b64 exec, exec, s[6:7]
	s_cbranch_execnz .LBB256_955
.LBB256_690:                            ;   in Loop: Header=BB256_552 Depth=1
	s_or_b64 exec, exec, s[6:7]
	s_and_saveexec_b64 s[6:7], s[0:1]
	s_cbranch_execz .LBB256_692
.LBB256_691:                            ;   in Loop: Header=BB256_552 Depth=1
	v_and_b32_e32 v6, 7, v28
	v_ffbh_u32_e32 v6, v6
	v_bfe_u32 v8, v28, 3, 4
	v_min_u32_e32 v6, 32, v6
	v_subrev_u32_e32 v13, 28, v6
	v_sub_u32_e32 v6, 29, v6
	v_cmp_eq_u32_e64 s[0:1], 0, v8
	s_nop 1
	v_cndmask_b32_e64 v6, v8, v6, s[0:1]
	v_cndmask_b32_e64 v8, 0, v13, s[0:1]
	v_lshlrev_b64 v[22:23], v8, v[28:29]
	v_lshlrev_b32_e32 v13, 8, v28
	v_lshl_add_u32 v6, v6, 10, v48
	v_lshlrev_b32_e32 v8, 7, v22
	v_and_or_b32 v6, v13, s21, v6
	v_and_or_b32 v6, v8, s22, v6
	v_cvt_f32_f16_e32 v30, v6
.LBB256_692:                            ;   in Loop: Header=BB256_552 Depth=1
	s_or_b64 exec, exec, s[6:7]
	v_lshrrev_b16_e32 v6, 8, v28
	v_cmp_lt_i16_e64 s[0:1], s17, v6
	s_mov_b64 s[6:7], 0
                                        ; implicit-def: $sgpr26
	s_and_saveexec_b64 s[8:9], s[0:1]
	s_xor_b64 s[8:9], exec, s[8:9]
	s_cbranch_execnz .LBB256_956
; %bb.693:                              ;   in Loop: Header=BB256_552 Depth=1
	s_or_saveexec_b64 s[8:9], s[8:9]
	v_mov_b32_e32 v32, s26
	s_xor_b64 exec, exec, s[8:9]
	s_cbranch_execnz .LBB256_959
.LBB256_694:                            ;   in Loop: Header=BB256_552 Depth=1
	s_or_b64 exec, exec, s[8:9]
	s_and_saveexec_b64 s[8:9], s[6:7]
	s_cbranch_execz .LBB256_696
.LBB256_695:                            ;   in Loop: Header=BB256_552 Depth=1
	v_and_b32_e32 v8, 7, v6
	v_ffbh_u32_e32 v18, v8
	v_bfe_u32 v13, v6, 3, 4
	v_min_u32_e32 v18, 32, v18
	v_subrev_u32_e32 v22, 28, v18
	v_sub_u32_e32 v18, 29, v18
	v_cmp_eq_u32_e64 s[0:1], 0, v13
	v_lshlrev_b64 v[22:23], v22, v[6:7]
	v_and_b32_e32 v22, 7, v22
	v_cndmask_b32_e64 v13, v13, v18, s[0:1]
	v_lshlrev_b32_e32 v6, 8, v6
	v_lshl_add_u32 v13, v13, 10, v48
	v_cndmask_b32_e64 v8, v8, v22, s[0:1]
	v_and_or_b32 v6, v6, s21, v13
	v_lshl_or_b32 v6, v8, 7, v6
	v_cvt_f32_f16_e32 v32, v6
.LBB256_696:                            ;   in Loop: Header=BB256_552 Depth=1
	s_or_b64 exec, exec, s[8:9]
	v_lshrrev_b32_e32 v6, 16, v28
	v_cmp_gt_i16_sdwa s[6:7], v6, s17 src0_sel:BYTE_0 src1_sel:DWORD
	s_mov_b64 s[0:1], 0
                                        ; implicit-def: $sgpr18
	s_and_saveexec_b64 s[8:9], s[6:7]
	s_xor_b64 s[6:7], exec, s[8:9]
	s_cbranch_execnz .LBB256_960
; %bb.697:                              ;   in Loop: Header=BB256_552 Depth=1
	s_or_saveexec_b64 s[6:7], s[6:7]
	v_mov_b32_e32 v31, s18
	s_xor_b64 exec, exec, s[6:7]
	s_cbranch_execnz .LBB256_963
.LBB256_698:                            ;   in Loop: Header=BB256_552 Depth=1
	s_or_b64 exec, exec, s[6:7]
	s_and_saveexec_b64 s[6:7], s[0:1]
	s_cbranch_execz .LBB256_700
.LBB256_699:                            ;   in Loop: Header=BB256_552 Depth=1
	v_bfe_u32 v8, v28, 16, 3
	v_ffbh_u32_e32 v18, v8
	v_bfe_u32 v13, v28, 19, 4
	v_min_u32_e32 v18, 32, v18
	v_subrev_u32_e32 v22, 28, v18
	v_sub_u32_e32 v18, 29, v18
	v_cmp_eq_u32_e64 s[0:1], 0, v13
	v_lshlrev_b64 v[22:23], v22, v[6:7]
	v_and_b32_e32 v22, 7, v22
	v_cndmask_b32_e64 v13, v13, v18, s[0:1]
	v_lshlrev_b32_e32 v6, 8, v6
	v_lshl_add_u32 v13, v13, 10, v48
	v_cndmask_b32_e64 v8, v8, v22, s[0:1]
	v_and_or_b32 v6, v6, s21, v13
	v_lshl_or_b32 v6, v8, 7, v6
	v_cvt_f32_f16_e32 v31, v6
.LBB256_700:                            ;   in Loop: Header=BB256_552 Depth=1
	s_or_b64 exec, exec, s[6:7]
	v_lshrrev_b32_e32 v6, 24, v28
	v_cmp_lt_i16_e64 s[0:1], s17, v6
	s_mov_b64 s[6:7], 0
                                        ; implicit-def: $sgpr26
	s_and_saveexec_b64 s[8:9], s[0:1]
	s_xor_b64 s[8:9], exec, s[8:9]
	s_cbranch_execnz .LBB256_964
; %bb.701:                              ;   in Loop: Header=BB256_552 Depth=1
	s_or_saveexec_b64 s[8:9], s[8:9]
	v_mov_b32_e32 v33, s26
	s_xor_b64 exec, exec, s[8:9]
	s_cbranch_execnz .LBB256_967
.LBB256_702:                            ;   in Loop: Header=BB256_552 Depth=1
	s_or_b64 exec, exec, s[8:9]
	s_and_saveexec_b64 s[8:9], s[6:7]
	s_cbranch_execz .LBB256_704
.LBB256_703:                            ;   in Loop: Header=BB256_552 Depth=1
	v_bfe_u32 v8, v28, 24, 3
	v_ffbh_u32_e32 v18, v8
	v_bfe_u32 v13, v28, 27, 4
	v_min_u32_e32 v18, 32, v18
	v_subrev_u32_e32 v22, 28, v18
	v_sub_u32_e32 v18, 29, v18
	v_cmp_eq_u32_e64 s[0:1], 0, v13
	v_lshlrev_b64 v[22:23], v22, v[6:7]
	v_and_b32_e32 v22, 7, v22
	v_cndmask_b32_e64 v13, v13, v18, s[0:1]
	v_lshlrev_b32_e32 v6, 8, v6
	v_lshl_add_u32 v13, v13, 10, v48
	v_cndmask_b32_e64 v8, v8, v22, s[0:1]
	v_and_or_b32 v6, v6, s21, v13
	v_lshl_or_b32 v6, v8, 7, v6
	v_cvt_f32_f16_e32 v33, v6
.LBB256_704:                            ;   in Loop: Header=BB256_552 Depth=1
	s_or_b64 exec, exec, s[8:9]
	v_cmp_gt_i16_sdwa s[6:7], v29, s17 src0_sel:BYTE_0 src1_sel:DWORD
	s_mov_b64 s[0:1], 0
                                        ; implicit-def: $sgpr18
	s_and_saveexec_b64 s[8:9], s[6:7]
	s_xor_b64 s[6:7], exec, s[8:9]
	s_cbranch_execnz .LBB256_968
; %bb.705:                              ;   in Loop: Header=BB256_552 Depth=1
	s_or_saveexec_b64 s[6:7], s[6:7]
	v_mov_b32_e32 v8, s18
	s_xor_b64 exec, exec, s[6:7]
	s_cbranch_execnz .LBB256_971
.LBB256_706:                            ;   in Loop: Header=BB256_552 Depth=1
	s_or_b64 exec, exec, s[6:7]
	v_mov_b32_e32 v6, v29
	s_and_saveexec_b64 s[6:7], s[0:1]
	s_cbranch_execz .LBB256_708
.LBB256_707:                            ;   in Loop: Header=BB256_552 Depth=1
	v_and_b32_e32 v8, 7, v29
	v_ffbh_u32_e32 v8, v8
	v_bfe_u32 v13, v29, 3, 4
	v_min_u32_e32 v8, 32, v8
	v_subrev_u32_e32 v18, 28, v8
	v_sub_u32_e32 v8, 29, v8
	v_cmp_eq_u32_e64 s[0:1], 0, v13
	s_nop 1
	v_cndmask_b32_e64 v8, v13, v8, s[0:1]
	v_cndmask_b32_e64 v13, 0, v18, s[0:1]
	v_lshlrev_b64 v[22:23], v13, v[6:7]
	v_lshlrev_b32_e32 v18, 8, v29
	v_lshl_add_u32 v8, v8, 10, v48
	v_lshlrev_b32_e32 v13, 7, v22
	v_and_or_b32 v8, v18, s21, v8
	v_and_or_b32 v8, v13, s22, v8
	v_cvt_f32_f16_e32 v8, v8
.LBB256_708:                            ;   in Loop: Header=BB256_552 Depth=1
	s_or_b64 exec, exec, s[6:7]
	v_lshrrev_b16_e32 v6, 8, v6
	v_cmp_lt_i16_e64 s[0:1], s17, v6
	s_mov_b64 s[6:7], 0
                                        ; implicit-def: $sgpr26
	s_and_saveexec_b64 s[8:9], s[0:1]
	s_xor_b64 s[8:9], exec, s[8:9]
	s_cbranch_execnz .LBB256_972
; %bb.709:                              ;   in Loop: Header=BB256_552 Depth=1
	s_or_saveexec_b64 s[8:9], s[8:9]
	v_mov_b32_e32 v13, s26
	s_xor_b64 exec, exec, s[8:9]
	s_cbranch_execnz .LBB256_975
.LBB256_710:                            ;   in Loop: Header=BB256_552 Depth=1
	s_or_b64 exec, exec, s[8:9]
	s_and_saveexec_b64 s[8:9], s[6:7]
	s_cbranch_execz .LBB256_712
.LBB256_711:                            ;   in Loop: Header=BB256_552 Depth=1
	v_and_b32_e32 v13, 7, v6
	v_ffbh_u32_e32 v22, v13
	v_min_u32_e32 v27, 32, v22
	v_subrev_u32_e32 v22, 28, v27
	v_bfe_u32 v18, v6, 3, 4
	v_lshlrev_b64 v[22:23], v22, v[6:7]
	v_sub_u32_e32 v23, 29, v27
	v_cmp_eq_u32_e64 s[0:1], 0, v18
	v_and_b32_e32 v22, 7, v22
	v_lshlrev_b32_e32 v6, 8, v6
	v_cndmask_b32_e64 v18, v18, v23, s[0:1]
	v_lshl_add_u32 v18, v18, 10, v48
	v_cndmask_b32_e64 v13, v13, v22, s[0:1]
	v_and_or_b32 v6, v6, s21, v18
	v_lshl_or_b32 v6, v13, 7, v6
	v_cvt_f32_f16_e32 v13, v6
.LBB256_712:                            ;   in Loop: Header=BB256_552 Depth=1
	s_or_b64 exec, exec, s[8:9]
	v_lshrrev_b32_e32 v6, 16, v29
	v_cmp_gt_i16_sdwa s[6:7], v6, s17 src0_sel:BYTE_0 src1_sel:DWORD
	s_mov_b64 s[0:1], 0
                                        ; implicit-def: $sgpr18
	s_and_saveexec_b64 s[8:9], s[6:7]
	s_xor_b64 s[6:7], exec, s[8:9]
	s_cbranch_execnz .LBB256_976
; %bb.713:                              ;   in Loop: Header=BB256_552 Depth=1
	s_or_saveexec_b64 s[6:7], s[6:7]
	v_mov_b32_e32 v18, s18
	s_xor_b64 exec, exec, s[6:7]
	s_cbranch_execnz .LBB256_979
.LBB256_714:                            ;   in Loop: Header=BB256_552 Depth=1
	s_or_b64 exec, exec, s[6:7]
	s_and_saveexec_b64 s[6:7], s[0:1]
	s_cbranch_execz .LBB256_716
.LBB256_715:                            ;   in Loop: Header=BB256_552 Depth=1
	v_bfe_u32 v18, v29, 16, 3
	v_ffbh_u32_e32 v22, v18
	v_min_u32_e32 v28, 32, v22
	v_subrev_u32_e32 v22, 28, v28
	v_bfe_u32 v27, v29, 19, 4
	v_lshlrev_b64 v[22:23], v22, v[6:7]
	v_sub_u32_e32 v23, 29, v28
	v_cmp_eq_u32_e64 s[0:1], 0, v27
	v_and_b32_e32 v22, 7, v22
	v_lshlrev_b32_e32 v6, 8, v6
	v_cndmask_b32_e64 v23, v27, v23, s[0:1]
	v_cndmask_b32_e64 v18, v18, v22, s[0:1]
	v_lshl_add_u32 v22, v23, 10, v48
	v_and_or_b32 v6, v6, s21, v22
	v_lshl_or_b32 v6, v18, 7, v6
	v_cvt_f32_f16_e32 v18, v6
.LBB256_716:                            ;   in Loop: Header=BB256_552 Depth=1
	s_or_b64 exec, exec, s[6:7]
	v_lshrrev_b32_e32 v6, 24, v29
	v_cmp_lt_i16_e64 s[0:1], s17, v6
	s_mov_b64 s[6:7], 0
                                        ; implicit-def: $sgpr26
	s_and_saveexec_b64 s[8:9], s[0:1]
	s_xor_b64 s[8:9], exec, s[8:9]
	s_cbranch_execnz .LBB256_980
; %bb.717:                              ;   in Loop: Header=BB256_552 Depth=1
	s_or_saveexec_b64 s[8:9], s[8:9]
	v_mov_b32_e32 v23, s26
	s_xor_b64 exec, exec, s[8:9]
	s_cbranch_execnz .LBB256_983
.LBB256_718:                            ;   in Loop: Header=BB256_552 Depth=1
	s_or_b64 exec, exec, s[8:9]
	s_and_saveexec_b64 s[8:9], s[6:7]
	s_cbranch_execz .LBB256_720
.LBB256_719:                            ;   in Loop: Header=BB256_552 Depth=1
	v_bfe_u32 v27, v29, 24, 3
	v_ffbh_u32_e32 v22, v27
	v_bfe_u32 v28, v29, 27, 4
	v_min_u32_e32 v29, 32, v22
	v_subrev_u32_e32 v22, 28, v29
	v_lshlrev_b64 v[22:23], v22, v[6:7]
	v_sub_u32_e32 v23, 29, v29
	v_cmp_eq_u32_e64 s[0:1], 0, v28
	v_and_b32_e32 v22, 7, v22
	v_lshlrev_b32_e32 v6, 8, v6
	v_cndmask_b32_e64 v23, v28, v23, s[0:1]
	v_lshl_add_u32 v23, v23, 10, v48
	v_cndmask_b32_e64 v22, v27, v22, s[0:1]
	v_and_or_b32 v6, v6, s21, v23
	v_lshl_or_b32 v6, v22, 7, v6
	v_cvt_f32_f16_e32 v23, v6
.LBB256_720:                            ;   in Loop: Header=BB256_552 Depth=1
	s_or_b64 exec, exec, s[8:9]
	v_pk_mul_f32 v[28:29], v[26:27], v[32:33] op_sel_hi:[0,1]
	v_pk_mul_f32 v[30:31], v[26:27], v[30:31] op_sel_hi:[0,1]
	v_cvt_f16_f32_e32 v6, v29
	v_cvt_f16_f32_e32 v22, v28
	;; [unrolled: 1-line block ×4, first 2 shown]
	v_fma_mixlo_f16 v13, v26, v13, 0
	v_lshlrev_b32_e32 v13, 16, v13
	v_fma_mixlo_f16 v8, v26, v8, 0
	v_or_b32_sdwa v8, v13, v8 dst_sel:DWORD dst_unused:UNUSED_PAD src0_sel:DWORD src1_sel:WORD_0
	v_fma_mixlo_f16 v13, v26, v23, 0
	v_pack_b32_f16 v22, v22, v6
	v_pack_b32_f16 v27, v28, v27
	v_fma_mixlo_f16 v18, v26, v18, 0
	v_lshlrev_b32_e32 v13, 16, v13
	v_perm_b32 v6, v27, v22, s23
	v_perm_b32 v22, v27, v22, s24
	v_or_b32_sdwa v13, v13, v18 dst_sel:DWORD dst_unused:UNUSED_PAD src0_sel:DWORD src1_sel:WORD_0
	s_and_saveexec_b64 s[6:7], vcc
	s_cbranch_execz .LBB256_722
; %bb.721:                              ;   in Loop: Header=BB256_552 Depth=1
	v_lshrrev_b32_e32 v23, 16, v22
	v_cmp_lt_i32_e64 s[0:1], v43, v9
	v_lshrrev_b32_e32 v13, 16, v13
	s_nop 0
	v_cndmask_b32_e64 v23, 0, v23, s[0:1]
	v_cmp_lt_i32_e64 s[0:1], v38, v12
	s_nop 1
	v_cndmask_b32_e64 v22, 0, v22, s[0:1]
	v_perm_b32 v22, v23, v22, s25
	v_lshrrev_b32_e32 v23, 16, v6
	v_cmp_lt_i32_e64 s[0:1], v54, v9
	s_nop 1
	v_cndmask_b32_e64 v23, 0, v23, s[0:1]
	v_cmp_lt_i32_e64 s[0:1], v53, v12
	s_nop 1
	v_cndmask_b32_e64 v6, 0, v6, s[0:1]
	v_perm_b32 v6, v23, v6, s25
	v_lshrrev_b32_e32 v23, 16, v8
	v_cmp_lt_i32_e64 s[0:1], v52, v9
	s_nop 1
	v_cndmask_b32_e64 v23, 0, v23, s[0:1]
	v_cmp_lt_i32_e64 s[0:1], v51, v12
	s_nop 1
	v_cndmask_b32_e64 v8, 0, v8, s[0:1]
	v_cmp_lt_i32_e64 s[0:1], v50, v9
	v_perm_b32 v8, v23, v8, s25
	s_nop 0
	v_cndmask_b32_e64 v13, 0, v13, s[0:1]
	v_cmp_lt_i32_e64 s[0:1], v49, v12
	s_nop 1
	v_cndmask_b32_e64 v18, 0, v18, s[0:1]
	v_perm_b32 v13, v13, v18, s25
.LBB256_722:                            ;   in Loop: Header=BB256_552 Depth=1
	s_or_b64 exec, exec, s[6:7]
	;;#ASMSTART
	v_pk_mul_f16 v18, v55, v22;

	;;#ASMEND
	;;#ASMSTART
	v_pk_mul_f16 v6, v40, v6;

	;;#ASMEND
	;; [unrolled: 4-line block ×4, first 2 shown]
	v_accvgpr_read_b32 v23, a5
	;;#ASMSTART
	v_pk_add_f16 v6, v18, v6;

	;;#ASMEND
	v_accvgpr_read_b32 v22, a4
	;;#ASMSTART
	v_pk_add_f16 v6, v6, v8;

	;;#ASMEND
	s_mov_b64 s[0:1], 0
	;;#ASMSTART
	v_pk_add_f16 v6, v6, v13;

	;;#ASMEND
                                        ; implicit-def: $sgpr18
	s_nop 0
	v_lshrrev_b32_e32 v13, 16, v6
	v_and_b32_e32 v6, 0xffff, v6
	;;#ASMSTART
	v_cvt_f32_f16 v8, v6;
	;;#ASMEND
	;;#ASMSTART
	v_cvt_f32_f16 v13, v13;
	;;#ASMEND
	flat_load_dwordx2 v[28:29], v[10:11] offset:2560
	flat_load_dword v26, v[22:23]
	s_waitcnt vmcnt(0) lgkmcnt(0)
	v_cmp_gt_i16_sdwa s[6:7], v28, s17 src0_sel:BYTE_0 src1_sel:DWORD
	s_and_saveexec_b64 s[8:9], s[6:7]
	s_xor_b64 s[6:7], exec, s[8:9]
	s_cbranch_execnz .LBB256_984
; %bb.723:                              ;   in Loop: Header=BB256_552 Depth=1
	s_or_saveexec_b64 s[6:7], s[6:7]
	v_mov_b32_e32 v30, s18
	s_xor_b64 exec, exec, s[6:7]
	s_cbranch_execnz .LBB256_987
.LBB256_724:                            ;   in Loop: Header=BB256_552 Depth=1
	s_or_b64 exec, exec, s[6:7]
	s_and_saveexec_b64 s[6:7], s[0:1]
	s_cbranch_execz .LBB256_726
.LBB256_725:                            ;   in Loop: Header=BB256_552 Depth=1
	v_and_b32_e32 v6, 7, v28
	v_ffbh_u32_e32 v6, v6
	v_bfe_u32 v18, v28, 3, 4
	v_min_u32_e32 v6, 32, v6
	v_subrev_u32_e32 v22, 28, v6
	v_sub_u32_e32 v6, 29, v6
	v_cmp_eq_u32_e64 s[0:1], 0, v18
	s_nop 1
	v_cndmask_b32_e64 v6, v18, v6, s[0:1]
	v_cndmask_b32_e64 v18, 0, v22, s[0:1]
	v_lshlrev_b64 v[22:23], v18, v[28:29]
	v_lshlrev_b32_e32 v18, 7, v22
	v_lshlrev_b32_e32 v22, 8, v28
	v_lshl_add_u32 v6, v6, 10, v48
	v_and_or_b32 v6, v22, s21, v6
	v_and_or_b32 v6, v18, s22, v6
	v_cvt_f32_f16_e32 v30, v6
.LBB256_726:                            ;   in Loop: Header=BB256_552 Depth=1
	s_or_b64 exec, exec, s[6:7]
	v_lshrrev_b16_e32 v6, 8, v28
	v_cmp_lt_i16_e64 s[0:1], s17, v6
	s_mov_b64 s[6:7], 0
                                        ; implicit-def: $sgpr26
	s_and_saveexec_b64 s[8:9], s[0:1]
	s_xor_b64 s[8:9], exec, s[8:9]
	s_cbranch_execnz .LBB256_988
; %bb.727:                              ;   in Loop: Header=BB256_552 Depth=1
	s_or_saveexec_b64 s[8:9], s[8:9]
	v_mov_b32_e32 v32, s26
	s_xor_b64 exec, exec, s[8:9]
	s_cbranch_execnz .LBB256_991
.LBB256_728:                            ;   in Loop: Header=BB256_552 Depth=1
	s_or_b64 exec, exec, s[8:9]
	s_and_saveexec_b64 s[8:9], s[6:7]
	s_cbranch_execz .LBB256_730
.LBB256_729:                            ;   in Loop: Header=BB256_552 Depth=1
	v_and_b32_e32 v18, 7, v6
	v_ffbh_u32_e32 v22, v18
	v_min_u32_e32 v31, 32, v22
	v_subrev_u32_e32 v22, 28, v31
	v_bfe_u32 v27, v6, 3, 4
	v_lshlrev_b64 v[22:23], v22, v[6:7]
	v_sub_u32_e32 v23, 29, v31
	v_cmp_eq_u32_e64 s[0:1], 0, v27
	v_and_b32_e32 v22, 7, v22
	v_lshlrev_b32_e32 v6, 8, v6
	v_cndmask_b32_e64 v23, v27, v23, s[0:1]
	v_cndmask_b32_e64 v18, v18, v22, s[0:1]
	v_lshl_add_u32 v22, v23, 10, v48
	v_and_or_b32 v6, v6, s21, v22
	v_lshl_or_b32 v6, v18, 7, v6
	v_cvt_f32_f16_e32 v32, v6
.LBB256_730:                            ;   in Loop: Header=BB256_552 Depth=1
	s_or_b64 exec, exec, s[8:9]
	v_lshrrev_b32_e32 v6, 16, v28
	v_cmp_gt_i16_sdwa s[6:7], v6, s17 src0_sel:BYTE_0 src1_sel:DWORD
	s_mov_b64 s[0:1], 0
                                        ; implicit-def: $sgpr18
	s_and_saveexec_b64 s[8:9], s[6:7]
	s_xor_b64 s[6:7], exec, s[8:9]
	s_cbranch_execnz .LBB256_992
; %bb.731:                              ;   in Loop: Header=BB256_552 Depth=1
	s_or_saveexec_b64 s[6:7], s[6:7]
	v_mov_b32_e32 v31, s18
	s_xor_b64 exec, exec, s[6:7]
	s_cbranch_execnz .LBB256_995
.LBB256_732:                            ;   in Loop: Header=BB256_552 Depth=1
	s_or_b64 exec, exec, s[6:7]
	s_and_saveexec_b64 s[6:7], s[0:1]
	s_cbranch_execz .LBB256_734
.LBB256_733:                            ;   in Loop: Header=BB256_552 Depth=1
	v_bfe_u32 v18, v28, 16, 3
	v_ffbh_u32_e32 v22, v18
	v_min_u32_e32 v31, 32, v22
	v_subrev_u32_e32 v22, 28, v31
	v_bfe_u32 v27, v28, 19, 4
	v_lshlrev_b64 v[22:23], v22, v[6:7]
	v_sub_u32_e32 v23, 29, v31
	v_cmp_eq_u32_e64 s[0:1], 0, v27
	v_and_b32_e32 v22, 7, v22
	v_lshlrev_b32_e32 v6, 8, v6
	v_cndmask_b32_e64 v23, v27, v23, s[0:1]
	v_cndmask_b32_e64 v18, v18, v22, s[0:1]
	v_lshl_add_u32 v22, v23, 10, v48
	v_and_or_b32 v6, v6, s21, v22
	v_lshl_or_b32 v6, v18, 7, v6
	v_cvt_f32_f16_e32 v31, v6
.LBB256_734:                            ;   in Loop: Header=BB256_552 Depth=1
	s_or_b64 exec, exec, s[6:7]
	v_lshrrev_b32_e32 v6, 24, v28
	v_cmp_lt_i16_e64 s[0:1], s17, v6
	s_mov_b64 s[6:7], 0
                                        ; implicit-def: $sgpr26
	s_and_saveexec_b64 s[8:9], s[0:1]
	s_xor_b64 s[8:9], exec, s[8:9]
	s_cbranch_execnz .LBB256_996
; %bb.735:                              ;   in Loop: Header=BB256_552 Depth=1
	s_or_saveexec_b64 s[8:9], s[8:9]
	v_mov_b32_e32 v33, s26
	s_xor_b64 exec, exec, s[8:9]
	s_cbranch_execnz .LBB256_999
.LBB256_736:                            ;   in Loop: Header=BB256_552 Depth=1
	s_or_b64 exec, exec, s[8:9]
	s_and_saveexec_b64 s[8:9], s[6:7]
	s_cbranch_execz .LBB256_738
.LBB256_737:                            ;   in Loop: Header=BB256_552 Depth=1
	v_bfe_u32 v18, v28, 24, 3
	v_ffbh_u32_e32 v22, v18
	v_bfe_u32 v27, v28, 27, 4
	v_min_u32_e32 v28, 32, v22
	v_subrev_u32_e32 v22, 28, v28
	v_lshlrev_b64 v[22:23], v22, v[6:7]
	v_sub_u32_e32 v23, 29, v28
	v_cmp_eq_u32_e64 s[0:1], 0, v27
	v_and_b32_e32 v22, 7, v22
	v_lshlrev_b32_e32 v6, 8, v6
	v_cndmask_b32_e64 v23, v27, v23, s[0:1]
	v_cndmask_b32_e64 v18, v18, v22, s[0:1]
	v_lshl_add_u32 v22, v23, 10, v48
	v_and_or_b32 v6, v6, s21, v22
	v_lshl_or_b32 v6, v18, 7, v6
	v_cvt_f32_f16_e32 v33, v6
.LBB256_738:                            ;   in Loop: Header=BB256_552 Depth=1
	s_or_b64 exec, exec, s[8:9]
	v_cmp_gt_i16_sdwa s[6:7], v29, s17 src0_sel:BYTE_0 src1_sel:DWORD
	s_mov_b64 s[0:1], 0
                                        ; implicit-def: $sgpr18
	s_and_saveexec_b64 s[8:9], s[6:7]
	s_xor_b64 s[6:7], exec, s[8:9]
	s_cbranch_execnz .LBB256_1000
; %bb.739:                              ;   in Loop: Header=BB256_552 Depth=1
	s_or_saveexec_b64 s[6:7], s[6:7]
	v_mov_b32_e32 v18, s18
	s_xor_b64 exec, exec, s[6:7]
	s_cbranch_execnz .LBB256_1003
.LBB256_740:                            ;   in Loop: Header=BB256_552 Depth=1
	s_or_b64 exec, exec, s[6:7]
	v_mov_b32_e32 v6, v29
	s_and_saveexec_b64 s[6:7], s[0:1]
	s_cbranch_execz .LBB256_742
.LBB256_741:                            ;   in Loop: Header=BB256_552 Depth=1
	v_and_b32_e32 v18, 7, v29
	v_ffbh_u32_e32 v18, v18
	v_bfe_u32 v22, v29, 3, 4
	v_min_u32_e32 v18, 32, v18
	v_subrev_u32_e32 v23, 28, v18
	v_sub_u32_e32 v18, 29, v18
	v_cmp_eq_u32_e64 s[0:1], 0, v22
	s_nop 1
	v_cndmask_b32_e64 v18, v22, v18, s[0:1]
	v_cndmask_b32_e64 v22, 0, v23, s[0:1]
	v_lshlrev_b64 v[22:23], v22, v[6:7]
	v_lshlrev_b32_e32 v23, 8, v29
	v_lshl_add_u32 v18, v18, 10, v48
	v_lshlrev_b32_e32 v22, 7, v22
	v_and_or_b32 v18, v23, s21, v18
	v_and_or_b32 v18, v22, s22, v18
	v_cvt_f32_f16_e32 v18, v18
.LBB256_742:                            ;   in Loop: Header=BB256_552 Depth=1
	s_or_b64 exec, exec, s[6:7]
	v_lshrrev_b16_e32 v6, 8, v6
	v_cmp_lt_i16_e64 s[0:1], s17, v6
	s_mov_b64 s[6:7], 0
                                        ; implicit-def: $sgpr26
	s_and_saveexec_b64 s[8:9], s[0:1]
	s_xor_b64 s[8:9], exec, s[8:9]
	s_cbranch_execnz .LBB256_1004
; %bb.743:                              ;   in Loop: Header=BB256_552 Depth=1
	s_or_saveexec_b64 s[8:9], s[8:9]
	v_mov_b32_e32 v22, s26
	s_xor_b64 exec, exec, s[8:9]
	s_cbranch_execnz .LBB256_1007
.LBB256_744:                            ;   in Loop: Header=BB256_552 Depth=1
	s_or_b64 exec, exec, s[8:9]
	s_and_saveexec_b64 s[8:9], s[6:7]
	s_cbranch_execz .LBB256_746
.LBB256_745:                            ;   in Loop: Header=BB256_552 Depth=1
	v_and_b32_e32 v27, 7, v6
	v_ffbh_u32_e32 v22, v27
	v_min_u32_e32 v34, 32, v22
	v_subrev_u32_e32 v22, 28, v34
	v_bfe_u32 v28, v6, 3, 4
	v_lshlrev_b64 v[22:23], v22, v[6:7]
	v_sub_u32_e32 v23, 29, v34
	v_cmp_eq_u32_e64 s[0:1], 0, v28
	v_and_b32_e32 v22, 7, v22
	v_lshlrev_b32_e32 v6, 8, v6
	v_cndmask_b32_e64 v23, v28, v23, s[0:1]
	v_lshl_add_u32 v23, v23, 10, v48
	v_cndmask_b32_e64 v22, v27, v22, s[0:1]
	v_and_or_b32 v6, v6, s21, v23
	v_lshl_or_b32 v6, v22, 7, v6
	v_cvt_f32_f16_e32 v22, v6
.LBB256_746:                            ;   in Loop: Header=BB256_552 Depth=1
	s_or_b64 exec, exec, s[8:9]
	v_lshrrev_b32_e32 v6, 16, v29
	v_cmp_gt_i16_sdwa s[6:7], v6, s17 src0_sel:BYTE_0 src1_sel:DWORD
	s_mov_b64 s[0:1], 0
                                        ; implicit-def: $sgpr18
	s_and_saveexec_b64 s[8:9], s[6:7]
	s_xor_b64 s[6:7], exec, s[8:9]
	s_cbranch_execnz .LBB256_1008
; %bb.747:                              ;   in Loop: Header=BB256_552 Depth=1
	s_or_saveexec_b64 s[6:7], s[6:7]
	v_mov_b32_e32 v23, s18
	s_xor_b64 exec, exec, s[6:7]
	s_cbranch_execnz .LBB256_1011
.LBB256_748:                            ;   in Loop: Header=BB256_552 Depth=1
	s_or_b64 exec, exec, s[6:7]
	s_and_saveexec_b64 s[6:7], s[0:1]
	s_cbranch_execz .LBB256_750
.LBB256_749:                            ;   in Loop: Header=BB256_552 Depth=1
	v_bfe_u32 v23, v29, 16, 3
	v_ffbh_u32_e32 v28, v23
	v_bfe_u32 v27, v29, 19, 4
	v_min_u32_e32 v28, 32, v28
	v_subrev_u32_e32 v34, 28, v28
	v_sub_u32_e32 v28, 29, v28
	v_cmp_eq_u32_e64 s[0:1], 0, v27
	v_lshlrev_b64 v[58:59], v34, v[6:7]
	v_and_b32_e32 v34, 7, v58
	v_cndmask_b32_e64 v27, v27, v28, s[0:1]
	v_lshlrev_b32_e32 v6, 8, v6
	v_lshl_add_u32 v27, v27, 10, v48
	v_cndmask_b32_e64 v23, v23, v34, s[0:1]
	v_and_or_b32 v6, v6, s21, v27
	v_lshl_or_b32 v6, v23, 7, v6
	v_cvt_f32_f16_e32 v23, v6
.LBB256_750:                            ;   in Loop: Header=BB256_552 Depth=1
	s_or_b64 exec, exec, s[6:7]
	v_lshrrev_b32_e32 v6, 24, v29
	v_cmp_lt_i16_e64 s[0:1], s17, v6
	s_mov_b64 s[6:7], 0
                                        ; implicit-def: $sgpr26
	s_and_saveexec_b64 s[8:9], s[0:1]
	s_xor_b64 s[8:9], exec, s[8:9]
	s_cbranch_execnz .LBB256_1012
; %bb.751:                              ;   in Loop: Header=BB256_552 Depth=1
	s_or_saveexec_b64 s[8:9], s[8:9]
	v_mov_b32_e32 v28, s26
	s_xor_b64 exec, exec, s[8:9]
	s_cbranch_execnz .LBB256_1015
.LBB256_752:                            ;   in Loop: Header=BB256_552 Depth=1
	s_or_b64 exec, exec, s[8:9]
	s_and_saveexec_b64 s[8:9], s[6:7]
	s_cbranch_execz .LBB256_754
.LBB256_753:                            ;   in Loop: Header=BB256_552 Depth=1
	v_bfe_u32 v27, v29, 24, 3
	v_ffbh_u32_e32 v28, v27
	v_min_u32_e32 v58, 32, v28
	v_subrev_u32_e32 v28, 28, v58
	v_bfe_u32 v34, v29, 27, 4
	v_lshlrev_b64 v[28:29], v28, v[6:7]
	v_sub_u32_e32 v29, 29, v58
	v_cmp_eq_u32_e64 s[0:1], 0, v34
	v_and_b32_e32 v28, 7, v28
	v_lshlrev_b32_e32 v6, 8, v6
	v_cndmask_b32_e64 v29, v34, v29, s[0:1]
	v_cndmask_b32_e64 v27, v27, v28, s[0:1]
	v_lshl_add_u32 v28, v29, 10, v48
	v_and_or_b32 v6, v6, s21, v28
	v_lshl_or_b32 v6, v27, 7, v6
	v_cvt_f32_f16_e32 v28, v6
.LBB256_754:                            ;   in Loop: Header=BB256_552 Depth=1
	s_or_b64 exec, exec, s[8:9]
	v_pk_mul_f32 v[32:33], v[26:27], v[32:33] op_sel_hi:[0,1]
	v_pk_mul_f32 v[30:31], v[26:27], v[30:31] op_sel_hi:[0,1]
	v_cvt_f16_f32_e32 v6, v33
	v_cvt_f16_f32_e32 v27, v32
	;; [unrolled: 1-line block ×4, first 2 shown]
	v_fma_mixlo_f16 v22, v26, v22, 0
	v_lshlrev_b32_e32 v22, 16, v22
	v_fma_mixlo_f16 v18, v26, v18, 0
	v_or_b32_sdwa v18, v22, v18 dst_sel:DWORD dst_unused:UNUSED_PAD src0_sel:DWORD src1_sel:WORD_0
	v_fma_mixlo_f16 v22, v26, v28, 0
	v_pack_b32_f16 v27, v27, v6
	v_pack_b32_f16 v29, v30, v29
	v_fma_mixlo_f16 v23, v26, v23, 0
	v_lshlrev_b32_e32 v22, 16, v22
	v_perm_b32 v6, v29, v27, s23
	v_perm_b32 v27, v29, v27, s24
	v_or_b32_sdwa v22, v22, v23 dst_sel:DWORD dst_unused:UNUSED_PAD src0_sel:DWORD src1_sel:WORD_0
	s_and_saveexec_b64 s[6:7], vcc
	s_cbranch_execz .LBB256_756
; %bb.755:                              ;   in Loop: Header=BB256_552 Depth=1
	v_lshrrev_b32_e32 v26, 16, v27
	v_cmp_lt_i32_e64 s[0:1], v43, v9
	v_lshrrev_b32_e32 v22, 16, v22
	s_nop 0
	v_cndmask_b32_e64 v26, 0, v26, s[0:1]
	v_cmp_lt_i32_e64 s[0:1], v38, v12
	s_nop 1
	v_cndmask_b32_e64 v27, 0, v27, s[0:1]
	v_perm_b32 v27, v26, v27, s25
	v_lshrrev_b32_e32 v26, 16, v6
	v_cmp_lt_i32_e64 s[0:1], v54, v9
	s_nop 1
	v_cndmask_b32_e64 v26, 0, v26, s[0:1]
	v_cmp_lt_i32_e64 s[0:1], v53, v12
	s_nop 1
	v_cndmask_b32_e64 v6, 0, v6, s[0:1]
	v_perm_b32 v6, v26, v6, s25
	v_lshrrev_b32_e32 v26, 16, v18
	v_cmp_lt_i32_e64 s[0:1], v52, v9
	s_nop 1
	v_cndmask_b32_e64 v26, 0, v26, s[0:1]
	v_cmp_lt_i32_e64 s[0:1], v51, v12
	s_nop 1
	v_cndmask_b32_e64 v18, 0, v18, s[0:1]
	v_cmp_lt_i32_e64 s[0:1], v50, v9
	v_perm_b32 v18, v26, v18, s25
	s_nop 0
	v_cndmask_b32_e64 v22, 0, v22, s[0:1]
	v_cmp_lt_i32_e64 s[0:1], v49, v12
	s_nop 1
	v_cndmask_b32_e64 v23, 0, v23, s[0:1]
	v_perm_b32 v22, v22, v23, s25
.LBB256_756:                            ;   in Loop: Header=BB256_552 Depth=1
	s_or_b64 exec, exec, s[6:7]
	;;#ASMSTART
	v_pk_mul_f16 v23, v55, v27;

	;;#ASMEND
	;;#ASMSTART
	v_pk_mul_f16 v6, v40, v6;

	;;#ASMEND
	;; [unrolled: 4-line block ×4, first 2 shown]
	s_mov_b64 s[0:1], 0
	;;#ASMSTART
	v_pk_add_f16 v6, v23, v6;

	;;#ASMEND
                                        ; implicit-def: $sgpr18
	s_nop 0
	;;#ASMSTART
	v_pk_add_f16 v6, v6, v18;

	;;#ASMEND
	s_nop 0
	;;#ASMSTART
	v_pk_add_f16 v6, v6, v22;

	;;#ASMEND
	s_nop 0
	v_lshrrev_b32_e32 v22, 16, v6
	v_and_b32_e32 v6, 0xffff, v6
	;;#ASMSTART
	v_cvt_f32_f16 v18, v6;
	;;#ASMEND
	;;#ASMSTART
	v_cvt_f32_f16 v58, v22;
	;;#ASMEND
	v_accvgpr_read_b32 v23, a5
	flat_load_dwordx2 v[28:29], v[10:11] offset:3072
	v_accvgpr_read_b32 v22, a4
	flat_load_dword v26, v[22:23]
	s_waitcnt vmcnt(0) lgkmcnt(0)
	v_cmp_gt_i16_sdwa s[6:7], v28, s17 src0_sel:BYTE_0 src1_sel:DWORD
	s_and_saveexec_b64 s[8:9], s[6:7]
	s_xor_b64 s[6:7], exec, s[8:9]
	s_cbranch_execnz .LBB256_1016
; %bb.757:                              ;   in Loop: Header=BB256_552 Depth=1
	s_or_saveexec_b64 s[6:7], s[6:7]
	v_mov_b32_e32 v30, s18
	s_xor_b64 exec, exec, s[6:7]
	s_cbranch_execnz .LBB256_1019
.LBB256_758:                            ;   in Loop: Header=BB256_552 Depth=1
	s_or_b64 exec, exec, s[6:7]
	s_and_saveexec_b64 s[6:7], s[0:1]
	s_cbranch_execz .LBB256_760
.LBB256_759:                            ;   in Loop: Header=BB256_552 Depth=1
	v_and_b32_e32 v6, 7, v28
	v_ffbh_u32_e32 v6, v6
	v_bfe_u32 v22, v28, 3, 4
	v_min_u32_e32 v6, 32, v6
	v_subrev_u32_e32 v23, 28, v6
	v_sub_u32_e32 v6, 29, v6
	v_cmp_eq_u32_e64 s[0:1], 0, v22
	s_nop 1
	v_cndmask_b32_e64 v6, v22, v6, s[0:1]
	v_cndmask_b32_e64 v22, 0, v23, s[0:1]
	v_lshlrev_b64 v[22:23], v22, v[28:29]
	v_lshlrev_b32_e32 v23, 8, v28
	v_lshl_add_u32 v6, v6, 10, v48
	v_lshlrev_b32_e32 v22, 7, v22
	v_and_or_b32 v6, v23, s21, v6
	v_and_or_b32 v6, v22, s22, v6
	v_cvt_f32_f16_e32 v30, v6
.LBB256_760:                            ;   in Loop: Header=BB256_552 Depth=1
	s_or_b64 exec, exec, s[6:7]
	v_lshrrev_b16_e32 v6, 8, v28
	v_cmp_lt_i16_e64 s[0:1], s17, v6
	s_mov_b64 s[6:7], 0
                                        ; implicit-def: $sgpr26
	s_and_saveexec_b64 s[8:9], s[0:1]
	s_xor_b64 s[8:9], exec, s[8:9]
	s_cbranch_execnz .LBB256_1020
; %bb.761:                              ;   in Loop: Header=BB256_552 Depth=1
	s_or_saveexec_b64 s[8:9], s[8:9]
	v_mov_b32_e32 v32, s26
	s_xor_b64 exec, exec, s[8:9]
	s_cbranch_execnz .LBB256_1023
.LBB256_762:                            ;   in Loop: Header=BB256_552 Depth=1
	s_or_b64 exec, exec, s[8:9]
	s_and_saveexec_b64 s[8:9], s[6:7]
	s_cbranch_execz .LBB256_764
.LBB256_763:                            ;   in Loop: Header=BB256_552 Depth=1
	v_and_b32_e32 v27, 7, v6
	v_ffbh_u32_e32 v22, v27
	v_min_u32_e32 v32, 32, v22
	v_subrev_u32_e32 v22, 28, v32
	v_bfe_u32 v31, v6, 3, 4
	v_lshlrev_b64 v[22:23], v22, v[6:7]
	v_sub_u32_e32 v23, 29, v32
	v_cmp_eq_u32_e64 s[0:1], 0, v31
	v_and_b32_e32 v22, 7, v22
	v_lshlrev_b32_e32 v6, 8, v6
	v_cndmask_b32_e64 v23, v31, v23, s[0:1]
	v_lshl_add_u32 v23, v23, 10, v48
	v_cndmask_b32_e64 v22, v27, v22, s[0:1]
	v_and_or_b32 v6, v6, s21, v23
	v_lshl_or_b32 v6, v22, 7, v6
	v_cvt_f32_f16_e32 v32, v6
.LBB256_764:                            ;   in Loop: Header=BB256_552 Depth=1
	s_or_b64 exec, exec, s[8:9]
	v_lshrrev_b32_e32 v6, 16, v28
	v_cmp_gt_i16_sdwa s[6:7], v6, s17 src0_sel:BYTE_0 src1_sel:DWORD
	s_mov_b64 s[0:1], 0
                                        ; implicit-def: $sgpr18
	s_and_saveexec_b64 s[8:9], s[6:7]
	s_xor_b64 s[6:7], exec, s[8:9]
	s_cbranch_execnz .LBB256_1024
; %bb.765:                              ;   in Loop: Header=BB256_552 Depth=1
	s_or_saveexec_b64 s[6:7], s[6:7]
	v_mov_b32_e32 v31, s18
	s_xor_b64 exec, exec, s[6:7]
	s_cbranch_execnz .LBB256_1027
.LBB256_766:                            ;   in Loop: Header=BB256_552 Depth=1
	s_or_b64 exec, exec, s[6:7]
	s_and_saveexec_b64 s[6:7], s[0:1]
	s_cbranch_execz .LBB256_768
.LBB256_767:                            ;   in Loop: Header=BB256_552 Depth=1
	v_bfe_u32 v27, v28, 16, 3
	v_ffbh_u32_e32 v22, v27
	v_min_u32_e32 v33, 32, v22
	v_subrev_u32_e32 v22, 28, v33
	v_bfe_u32 v31, v28, 19, 4
	v_lshlrev_b64 v[22:23], v22, v[6:7]
	v_sub_u32_e32 v23, 29, v33
	v_cmp_eq_u32_e64 s[0:1], 0, v31
	v_and_b32_e32 v22, 7, v22
	v_lshlrev_b32_e32 v6, 8, v6
	v_cndmask_b32_e64 v23, v31, v23, s[0:1]
	v_lshl_add_u32 v23, v23, 10, v48
	v_cndmask_b32_e64 v22, v27, v22, s[0:1]
	v_and_or_b32 v6, v6, s21, v23
	v_lshl_or_b32 v6, v22, 7, v6
	v_cvt_f32_f16_e32 v31, v6
.LBB256_768:                            ;   in Loop: Header=BB256_552 Depth=1
	s_or_b64 exec, exec, s[6:7]
	v_lshrrev_b32_e32 v6, 24, v28
	v_cmp_lt_i16_e64 s[0:1], s17, v6
	s_mov_b64 s[6:7], 0
                                        ; implicit-def: $sgpr26
	s_and_saveexec_b64 s[8:9], s[0:1]
	s_xor_b64 s[8:9], exec, s[8:9]
	s_cbranch_execnz .LBB256_1028
; %bb.769:                              ;   in Loop: Header=BB256_552 Depth=1
	s_or_saveexec_b64 s[8:9], s[8:9]
	v_mov_b32_e32 v33, s26
	s_xor_b64 exec, exec, s[8:9]
	s_cbranch_execnz .LBB256_1031
.LBB256_770:                            ;   in Loop: Header=BB256_552 Depth=1
	s_or_b64 exec, exec, s[8:9]
	s_and_saveexec_b64 s[8:9], s[6:7]
	s_cbranch_execz .LBB256_772
.LBB256_771:                            ;   in Loop: Header=BB256_552 Depth=1
	v_bfe_u32 v27, v28, 24, 3
	v_ffbh_u32_e32 v22, v27
	v_min_u32_e32 v33, 32, v22
	v_subrev_u32_e32 v22, 28, v33
	v_bfe_u32 v28, v28, 27, 4
	v_lshlrev_b64 v[22:23], v22, v[6:7]
	v_sub_u32_e32 v23, 29, v33
	v_cmp_eq_u32_e64 s[0:1], 0, v28
	v_and_b32_e32 v22, 7, v22
	v_lshlrev_b32_e32 v6, 8, v6
	v_cndmask_b32_e64 v23, v28, v23, s[0:1]
	v_lshl_add_u32 v23, v23, 10, v48
	v_cndmask_b32_e64 v22, v27, v22, s[0:1]
	v_and_or_b32 v6, v6, s21, v23
	v_lshl_or_b32 v6, v22, 7, v6
	v_cvt_f32_f16_e32 v33, v6
.LBB256_772:                            ;   in Loop: Header=BB256_552 Depth=1
	s_or_b64 exec, exec, s[8:9]
	v_cmp_gt_i16_sdwa s[6:7], v29, s17 src0_sel:BYTE_0 src1_sel:DWORD
	s_mov_b64 s[0:1], 0
                                        ; implicit-def: $sgpr18
	s_and_saveexec_b64 s[8:9], s[6:7]
	s_xor_b64 s[6:7], exec, s[8:9]
	s_cbranch_execnz .LBB256_1032
; %bb.773:                              ;   in Loop: Header=BB256_552 Depth=1
	s_or_saveexec_b64 s[6:7], s[6:7]
	v_mov_b32_e32 v22, s18
	s_xor_b64 exec, exec, s[6:7]
	s_cbranch_execnz .LBB256_1035
.LBB256_774:                            ;   in Loop: Header=BB256_552 Depth=1
	s_or_b64 exec, exec, s[6:7]
	v_mov_b32_e32 v6, v29
	s_and_saveexec_b64 s[6:7], s[0:1]
	s_cbranch_execz .LBB256_776
.LBB256_775:                            ;   in Loop: Header=BB256_552 Depth=1
	v_and_b32_e32 v22, 7, v29
	v_ffbh_u32_e32 v22, v22
	v_bfe_u32 v23, v29, 3, 4
	v_min_u32_e32 v22, 32, v22
	v_subrev_u32_e32 v27, 28, v22
	v_sub_u32_e32 v22, 29, v22
	v_cmp_eq_u32_e64 s[0:1], 0, v23
	s_nop 1
	v_cndmask_b32_e64 v28, v23, v22, s[0:1]
	v_cndmask_b32_e64 v22, 0, v27, s[0:1]
	v_lshlrev_b64 v[22:23], v22, v[6:7]
	v_lshlrev_b32_e32 v23, 8, v29
	v_lshl_add_u32 v27, v28, 10, v48
	v_lshlrev_b32_e32 v22, 7, v22
	v_and_or_b32 v23, v23, s21, v27
	v_and_or_b32 v22, v22, s22, v23
	v_cvt_f32_f16_e32 v22, v22
.LBB256_776:                            ;   in Loop: Header=BB256_552 Depth=1
	s_or_b64 exec, exec, s[6:7]
	v_lshrrev_b16_e32 v6, 8, v6
	v_cmp_lt_i16_e64 s[0:1], s17, v6
	s_mov_b64 s[6:7], 0
                                        ; implicit-def: $sgpr26
	s_and_saveexec_b64 s[8:9], s[0:1]
	s_xor_b64 s[8:9], exec, s[8:9]
	s_cbranch_execnz .LBB256_1036
; %bb.777:                              ;   in Loop: Header=BB256_552 Depth=1
	s_or_saveexec_b64 s[8:9], s[8:9]
	v_mov_b32_e32 v23, s26
	s_xor_b64 exec, exec, s[8:9]
	s_cbranch_execnz .LBB256_1039
.LBB256_778:                            ;   in Loop: Header=BB256_552 Depth=1
	s_or_b64 exec, exec, s[8:9]
	s_and_saveexec_b64 s[8:9], s[6:7]
	s_cbranch_execz .LBB256_780
.LBB256_779:                            ;   in Loop: Header=BB256_552 Depth=1
	v_and_b32_e32 v23, 7, v6
	v_ffbh_u32_e32 v28, v23
	v_bfe_u32 v27, v6, 3, 4
	v_min_u32_e32 v28, 32, v28
	v_subrev_u32_e32 v34, 28, v28
	v_sub_u32_e32 v28, 29, v28
	v_cmp_eq_u32_e64 s[0:1], 0, v27
	v_lshlrev_b64 v[60:61], v34, v[6:7]
	v_and_b32_e32 v34, 7, v60
	v_cndmask_b32_e64 v27, v27, v28, s[0:1]
	v_lshlrev_b32_e32 v6, 8, v6
	v_lshl_add_u32 v27, v27, 10, v48
	v_cndmask_b32_e64 v23, v23, v34, s[0:1]
	v_and_or_b32 v6, v6, s21, v27
	v_lshl_or_b32 v6, v23, 7, v6
	v_cvt_f32_f16_e32 v23, v6
.LBB256_780:                            ;   in Loop: Header=BB256_552 Depth=1
	s_or_b64 exec, exec, s[8:9]
	v_lshrrev_b32_e32 v6, 16, v29
	v_cmp_gt_i16_sdwa s[6:7], v6, s17 src0_sel:BYTE_0 src1_sel:DWORD
	s_mov_b64 s[0:1], 0
                                        ; implicit-def: $sgpr18
	s_and_saveexec_b64 s[8:9], s[6:7]
	s_xor_b64 s[6:7], exec, s[8:9]
	s_cbranch_execnz .LBB256_1040
; %bb.781:                              ;   in Loop: Header=BB256_552 Depth=1
	s_or_saveexec_b64 s[6:7], s[6:7]
	v_mov_b32_e32 v27, s18
	s_xor_b64 exec, exec, s[6:7]
	s_cbranch_execnz .LBB256_1043
.LBB256_782:                            ;   in Loop: Header=BB256_552 Depth=1
	s_or_b64 exec, exec, s[6:7]
	s_and_saveexec_b64 s[6:7], s[0:1]
	s_cbranch_execz .LBB256_784
.LBB256_783:                            ;   in Loop: Header=BB256_552 Depth=1
	v_bfe_u32 v27, v29, 16, 3
	v_ffbh_u32_e32 v34, v27
	v_bfe_u32 v28, v29, 19, 4
	v_min_u32_e32 v34, 32, v34
	v_subrev_u32_e32 v59, 28, v34
	v_sub_u32_e32 v34, 29, v34
	v_cmp_eq_u32_e64 s[0:1], 0, v28
	v_lshlrev_b64 v[60:61], v59, v[6:7]
	v_and_b32_e32 v59, 7, v60
	v_cndmask_b32_e64 v28, v28, v34, s[0:1]
	v_lshlrev_b32_e32 v6, 8, v6
	v_lshl_add_u32 v28, v28, 10, v48
	v_cndmask_b32_e64 v27, v27, v59, s[0:1]
	v_and_or_b32 v6, v6, s21, v28
	v_lshl_or_b32 v6, v27, 7, v6
	v_cvt_f32_f16_e32 v27, v6
.LBB256_784:                            ;   in Loop: Header=BB256_552 Depth=1
	s_or_b64 exec, exec, s[6:7]
	v_lshrrev_b32_e32 v6, 24, v29
	v_cmp_lt_i16_e64 s[0:1], s17, v6
	s_mov_b64 s[6:7], 0
                                        ; implicit-def: $sgpr26
	s_and_saveexec_b64 s[8:9], s[0:1]
	s_xor_b64 s[8:9], exec, s[8:9]
	s_cbranch_execnz .LBB256_1044
; %bb.785:                              ;   in Loop: Header=BB256_552 Depth=1
	s_or_saveexec_b64 s[8:9], s[8:9]
	v_mov_b32_e32 v34, s26
	s_xor_b64 exec, exec, s[8:9]
	s_cbranch_execnz .LBB256_1047
.LBB256_786:                            ;   in Loop: Header=BB256_552 Depth=1
	s_or_b64 exec, exec, s[8:9]
	s_and_saveexec_b64 s[8:9], s[6:7]
	s_cbranch_execz .LBB256_788
.LBB256_787:                            ;   in Loop: Header=BB256_552 Depth=1
	v_bfe_u32 v34, v29, 24, 3
	v_ffbh_u32_e32 v28, v34
	v_min_u32_e32 v60, 32, v28
	v_subrev_u32_e32 v28, 28, v60
	v_bfe_u32 v59, v29, 27, 4
	v_lshlrev_b64 v[28:29], v28, v[6:7]
	v_sub_u32_e32 v29, 29, v60
	v_cmp_eq_u32_e64 s[0:1], 0, v59
	v_and_b32_e32 v28, 7, v28
	v_lshlrev_b32_e32 v6, 8, v6
	v_cndmask_b32_e64 v29, v59, v29, s[0:1]
	v_lshl_add_u32 v29, v29, 10, v48
	v_cndmask_b32_e64 v28, v34, v28, s[0:1]
	v_and_or_b32 v6, v6, s21, v29
	v_lshl_or_b32 v6, v28, 7, v6
	v_cvt_f32_f16_e32 v34, v6
.LBB256_788:                            ;   in Loop: Header=BB256_552 Depth=1
	s_or_b64 exec, exec, s[8:9]
	v_pk_mul_f32 v[28:29], v[26:27], v[32:33] op_sel_hi:[0,1]
	v_pk_mul_f32 v[30:31], v[26:27], v[30:31] op_sel_hi:[0,1]
	v_cvt_f16_f32_e32 v6, v29
	v_cvt_f16_f32_e32 v28, v28
	;; [unrolled: 1-line block ×4, first 2 shown]
	v_fma_mixlo_f16 v23, v26, v23, 0
	v_lshlrev_b32_e32 v23, 16, v23
	v_fma_mixlo_f16 v22, v26, v22, 0
	v_or_b32_sdwa v22, v23, v22 dst_sel:DWORD dst_unused:UNUSED_PAD src0_sel:DWORD src1_sel:WORD_0
	v_fma_mixlo_f16 v23, v26, v34, 0
	v_pack_b32_f16 v28, v28, v6
	v_pack_b32_f16 v29, v30, v29
	v_fma_mixlo_f16 v27, v26, v27, 0
	v_lshlrev_b32_e32 v23, 16, v23
	v_perm_b32 v6, v29, v28, s23
	v_perm_b32 v28, v29, v28, s24
	v_or_b32_sdwa v23, v23, v27 dst_sel:DWORD dst_unused:UNUSED_PAD src0_sel:DWORD src1_sel:WORD_0
	s_and_saveexec_b64 s[6:7], vcc
	s_cbranch_execz .LBB256_790
; %bb.789:                              ;   in Loop: Header=BB256_552 Depth=1
	v_lshrrev_b32_e32 v26, 16, v28
	v_cmp_lt_i32_e64 s[0:1], v43, v9
	v_lshrrev_b32_e32 v23, 16, v23
	s_nop 0
	v_cndmask_b32_e64 v26, 0, v26, s[0:1]
	v_cmp_lt_i32_e64 s[0:1], v38, v12
	s_nop 1
	v_cndmask_b32_e64 v28, 0, v28, s[0:1]
	v_perm_b32 v28, v26, v28, s25
	v_lshrrev_b32_e32 v26, 16, v6
	v_cmp_lt_i32_e64 s[0:1], v54, v9
	s_nop 1
	v_cndmask_b32_e64 v26, 0, v26, s[0:1]
	v_cmp_lt_i32_e64 s[0:1], v53, v12
	s_nop 1
	v_cndmask_b32_e64 v6, 0, v6, s[0:1]
	v_perm_b32 v6, v26, v6, s25
	v_lshrrev_b32_e32 v26, 16, v22
	v_cmp_lt_i32_e64 s[0:1], v52, v9
	s_nop 1
	v_cndmask_b32_e64 v26, 0, v26, s[0:1]
	v_cmp_lt_i32_e64 s[0:1], v51, v12
	s_nop 1
	v_cndmask_b32_e64 v22, 0, v22, s[0:1]
	v_cmp_lt_i32_e64 s[0:1], v50, v9
	v_perm_b32 v22, v26, v22, s25
	s_nop 0
	v_cndmask_b32_e64 v23, 0, v23, s[0:1]
	v_cmp_lt_i32_e64 s[0:1], v49, v12
	s_nop 1
	v_cndmask_b32_e64 v26, 0, v27, s[0:1]
	v_perm_b32 v23, v23, v26, s25
.LBB256_790:                            ;   in Loop: Header=BB256_552 Depth=1
	s_or_b64 exec, exec, s[6:7]
	;;#ASMSTART
	v_pk_mul_f16 v26, v55, v28;

	;;#ASMEND
	;;#ASMSTART
	v_pk_mul_f16 v6, v40, v6;

	;;#ASMEND
	;; [unrolled: 4-line block ×4, first 2 shown]
	s_mov_b64 s[0:1], 0
	;;#ASMSTART
	v_pk_add_f16 v6, v26, v6;

	;;#ASMEND
                                        ; implicit-def: $sgpr18
	s_nop 0
	;;#ASMSTART
	v_pk_add_f16 v6, v6, v22;

	;;#ASMEND
	s_nop 0
	;;#ASMSTART
	v_pk_add_f16 v6, v6, v23;

	;;#ASMEND
	s_nop 0
	v_lshrrev_b32_e32 v23, 16, v6
	v_and_b32_e32 v6, 0xffff, v6
	;;#ASMSTART
	v_cvt_f32_f16 v22, v6;
	;;#ASMEND
	;;#ASMSTART
	v_cvt_f32_f16 v23, v23;
	;;#ASMEND
	flat_load_dwordx2 v[26:27], v[10:11] offset:3584
	v_accvgpr_read_b32 v11, a5
	v_accvgpr_read_b32 v10, a4
	flat_load_dword v10, v[10:11]
	s_waitcnt vmcnt(0) lgkmcnt(0)
	v_cmp_gt_i16_sdwa s[6:7], v26, s17 src0_sel:BYTE_0 src1_sel:DWORD
	s_and_saveexec_b64 s[8:9], s[6:7]
	s_xor_b64 s[6:7], exec, s[8:9]
	s_cbranch_execnz .LBB256_1048
; %bb.791:                              ;   in Loop: Header=BB256_552 Depth=1
	s_or_saveexec_b64 s[6:7], s[6:7]
	v_mov_b32_e32 v28, s18
	s_xor_b64 exec, exec, s[6:7]
	s_cbranch_execnz .LBB256_1051
.LBB256_792:                            ;   in Loop: Header=BB256_552 Depth=1
	s_or_b64 exec, exec, s[6:7]
	s_and_saveexec_b64 s[6:7], s[0:1]
	s_cbranch_execz .LBB256_794
.LBB256_793:                            ;   in Loop: Header=BB256_552 Depth=1
	v_and_b32_e32 v6, 7, v26
	v_ffbh_u32_e32 v6, v6
	v_bfe_u32 v11, v26, 3, 4
	v_min_u32_e32 v6, 32, v6
	v_subrev_u32_e32 v28, 28, v6
	v_sub_u32_e32 v6, 29, v6
	v_cmp_eq_u32_e64 s[0:1], 0, v11
	s_nop 1
	v_cndmask_b32_e64 v6, v11, v6, s[0:1]
	v_cndmask_b32_e64 v11, 0, v28, s[0:1]
	v_lshlrev_b64 v[28:29], v11, v[26:27]
	v_lshlrev_b32_e32 v11, 7, v28
	v_lshlrev_b32_e32 v28, 8, v26
	v_lshl_add_u32 v6, v6, 10, v48
	v_and_or_b32 v6, v28, s21, v6
	v_and_or_b32 v6, v11, s22, v6
	v_cvt_f32_f16_e32 v28, v6
.LBB256_794:                            ;   in Loop: Header=BB256_552 Depth=1
	s_or_b64 exec, exec, s[6:7]
	v_lshrrev_b16_e32 v6, 8, v26
	v_cmp_lt_i16_e64 s[0:1], s17, v6
	s_mov_b64 s[6:7], 0
                                        ; implicit-def: $sgpr26
	s_and_saveexec_b64 s[8:9], s[0:1]
	s_xor_b64 s[8:9], exec, s[8:9]
	s_cbranch_execnz .LBB256_1052
; %bb.795:                              ;   in Loop: Header=BB256_552 Depth=1
	s_or_saveexec_b64 s[8:9], s[8:9]
	v_mov_b32_e32 v30, s26
	s_xor_b64 exec, exec, s[8:9]
	s_cbranch_execnz .LBB256_1055
.LBB256_796:                            ;   in Loop: Header=BB256_552 Depth=1
	s_or_b64 exec, exec, s[8:9]
	s_and_saveexec_b64 s[8:9], s[6:7]
	s_cbranch_execz .LBB256_798
.LBB256_797:                            ;   in Loop: Header=BB256_552 Depth=1
	v_and_b32_e32 v11, 7, v6
	v_ffbh_u32_e32 v30, v11
	v_min_u32_e32 v32, 32, v30
	v_subrev_u32_e32 v30, 28, v32
	v_bfe_u32 v29, v6, 3, 4
	v_lshlrev_b64 v[30:31], v30, v[6:7]
	v_sub_u32_e32 v31, 29, v32
	v_cmp_eq_u32_e64 s[0:1], 0, v29
	v_and_b32_e32 v30, 7, v30
	v_lshlrev_b32_e32 v6, 8, v6
	v_cndmask_b32_e64 v29, v29, v31, s[0:1]
	v_lshl_add_u32 v29, v29, 10, v48
	v_cndmask_b32_e64 v11, v11, v30, s[0:1]
	v_and_or_b32 v6, v6, s21, v29
	v_lshl_or_b32 v6, v11, 7, v6
	v_cvt_f32_f16_e32 v30, v6
.LBB256_798:                            ;   in Loop: Header=BB256_552 Depth=1
	s_or_b64 exec, exec, s[8:9]
	v_lshrrev_b32_e32 v6, 16, v26
	v_cmp_gt_i16_sdwa s[6:7], v6, s17 src0_sel:BYTE_0 src1_sel:DWORD
	s_mov_b64 s[0:1], 0
                                        ; implicit-def: $sgpr18
	s_and_saveexec_b64 s[8:9], s[6:7]
	s_xor_b64 s[6:7], exec, s[8:9]
	s_cbranch_execnz .LBB256_1056
; %bb.799:                              ;   in Loop: Header=BB256_552 Depth=1
	s_or_saveexec_b64 s[6:7], s[6:7]
	v_mov_b32_e32 v29, s18
	s_xor_b64 exec, exec, s[6:7]
	s_cbranch_execnz .LBB256_1059
.LBB256_800:                            ;   in Loop: Header=BB256_552 Depth=1
	s_or_b64 exec, exec, s[6:7]
	s_and_saveexec_b64 s[6:7], s[0:1]
	s_cbranch_execz .LBB256_802
.LBB256_801:                            ;   in Loop: Header=BB256_552 Depth=1
	v_bfe_u32 v11, v26, 16, 3
	v_ffbh_u32_e32 v31, v11
	v_bfe_u32 v29, v26, 19, 4
	v_min_u32_e32 v31, 32, v31
	v_subrev_u32_e32 v32, 28, v31
	v_sub_u32_e32 v31, 29, v31
	v_cmp_eq_u32_e64 s[0:1], 0, v29
	v_lshlrev_b64 v[32:33], v32, v[6:7]
	v_and_b32_e32 v32, 7, v32
	v_cndmask_b32_e64 v29, v29, v31, s[0:1]
	v_lshlrev_b32_e32 v6, 8, v6
	v_lshl_add_u32 v29, v29, 10, v48
	v_cndmask_b32_e64 v11, v11, v32, s[0:1]
	v_and_or_b32 v6, v6, s21, v29
	v_lshl_or_b32 v6, v11, 7, v6
	v_cvt_f32_f16_e32 v29, v6
.LBB256_802:                            ;   in Loop: Header=BB256_552 Depth=1
	s_or_b64 exec, exec, s[6:7]
	v_lshrrev_b32_e32 v6, 24, v26
	v_cmp_lt_i16_e64 s[0:1], s17, v6
	s_mov_b64 s[6:7], 0
                                        ; implicit-def: $sgpr26
	s_and_saveexec_b64 s[8:9], s[0:1]
	s_xor_b64 s[8:9], exec, s[8:9]
	s_cbranch_execnz .LBB256_1060
; %bb.803:                              ;   in Loop: Header=BB256_552 Depth=1
	s_or_saveexec_b64 s[8:9], s[8:9]
	v_mov_b32_e32 v31, s26
	s_xor_b64 exec, exec, s[8:9]
	s_cbranch_execnz .LBB256_1063
.LBB256_804:                            ;   in Loop: Header=BB256_552 Depth=1
	s_or_b64 exec, exec, s[8:9]
	s_and_saveexec_b64 s[8:9], s[6:7]
	s_cbranch_execz .LBB256_806
.LBB256_805:                            ;   in Loop: Header=BB256_552 Depth=1
	v_bfe_u32 v11, v26, 24, 3
	v_ffbh_u32_e32 v31, v11
	v_bfe_u32 v26, v26, 27, 4
	v_min_u32_e32 v31, 32, v31
	v_subrev_u32_e32 v32, 28, v31
	v_sub_u32_e32 v31, 29, v31
	v_cmp_eq_u32_e64 s[0:1], 0, v26
	v_lshlrev_b64 v[32:33], v32, v[6:7]
	v_and_b32_e32 v32, 7, v32
	v_cndmask_b32_e64 v26, v26, v31, s[0:1]
	v_lshlrev_b32_e32 v6, 8, v6
	v_lshl_add_u32 v26, v26, 10, v48
	v_cndmask_b32_e64 v11, v11, v32, s[0:1]
	v_and_or_b32 v6, v6, s21, v26
	v_lshl_or_b32 v6, v11, 7, v6
	v_cvt_f32_f16_e32 v31, v6
.LBB256_806:                            ;   in Loop: Header=BB256_552 Depth=1
	s_or_b64 exec, exec, s[8:9]
	v_cmp_gt_i16_sdwa s[6:7], v27, s17 src0_sel:BYTE_0 src1_sel:DWORD
	s_mov_b64 s[0:1], 0
                                        ; implicit-def: $sgpr18
	s_and_saveexec_b64 s[8:9], s[6:7]
	s_xor_b64 s[6:7], exec, s[8:9]
	s_cbranch_execnz .LBB256_1064
; %bb.807:                              ;   in Loop: Header=BB256_552 Depth=1
	s_or_saveexec_b64 s[6:7], s[6:7]
	v_mov_b32_e32 v11, s18
	s_xor_b64 exec, exec, s[6:7]
	s_cbranch_execnz .LBB256_1067
.LBB256_808:                            ;   in Loop: Header=BB256_552 Depth=1
	s_or_b64 exec, exec, s[6:7]
	v_mov_b32_e32 v6, v27
	s_and_saveexec_b64 s[6:7], s[0:1]
	s_cbranch_execz .LBB256_810
.LBB256_809:                            ;   in Loop: Header=BB256_552 Depth=1
	v_and_b32_e32 v11, 7, v27
	v_ffbh_u32_e32 v11, v11
	v_bfe_u32 v26, v27, 3, 4
	v_min_u32_e32 v11, 32, v11
	v_subrev_u32_e32 v32, 28, v11
	v_sub_u32_e32 v11, 29, v11
	v_cmp_eq_u32_e64 s[0:1], 0, v26
	s_nop 1
	v_cndmask_b32_e64 v11, v26, v11, s[0:1]
	v_cndmask_b32_e64 v26, 0, v32, s[0:1]
	v_lshlrev_b64 v[32:33], v26, v[6:7]
	v_lshlrev_b32_e32 v26, 7, v32
	v_lshlrev_b32_e32 v32, 8, v27
	v_lshl_add_u32 v11, v11, 10, v48
	v_and_or_b32 v11, v32, s21, v11
	v_and_or_b32 v11, v26, s22, v11
	v_cvt_f32_f16_e32 v11, v11
.LBB256_810:                            ;   in Loop: Header=BB256_552 Depth=1
	s_or_b64 exec, exec, s[6:7]
	v_lshrrev_b16_e32 v6, 8, v6
	v_cmp_lt_i16_e64 s[0:1], s17, v6
	s_mov_b64 s[6:7], 0
                                        ; implicit-def: $sgpr26
	s_and_saveexec_b64 s[8:9], s[0:1]
	s_xor_b64 s[8:9], exec, s[8:9]
	s_cbranch_execnz .LBB256_1068
; %bb.811:                              ;   in Loop: Header=BB256_552 Depth=1
	s_or_saveexec_b64 s[8:9], s[8:9]
	v_mov_b32_e32 v26, s26
	s_xor_b64 exec, exec, s[8:9]
	s_cbranch_execnz .LBB256_1071
.LBB256_812:                            ;   in Loop: Header=BB256_552 Depth=1
	s_or_b64 exec, exec, s[8:9]
	s_and_saveexec_b64 s[8:9], s[6:7]
	s_cbranch_execz .LBB256_814
.LBB256_813:                            ;   in Loop: Header=BB256_552 Depth=1
	v_and_b32_e32 v26, 7, v6
	v_ffbh_u32_e32 v32, v26
	v_min_u32_e32 v59, 32, v32
	v_subrev_u32_e32 v32, 28, v59
	v_bfe_u32 v34, v6, 3, 4
	v_lshlrev_b64 v[32:33], v32, v[6:7]
	v_sub_u32_e32 v33, 29, v59
	v_cmp_eq_u32_e64 s[0:1], 0, v34
	v_and_b32_e32 v32, 7, v32
	v_lshlrev_b32_e32 v6, 8, v6
	v_cndmask_b32_e64 v33, v34, v33, s[0:1]
	v_cndmask_b32_e64 v26, v26, v32, s[0:1]
	v_lshl_add_u32 v32, v33, 10, v48
	v_and_or_b32 v6, v6, s21, v32
	v_lshl_or_b32 v6, v26, 7, v6
	v_cvt_f32_f16_e32 v26, v6
.LBB256_814:                            ;   in Loop: Header=BB256_552 Depth=1
	s_or_b64 exec, exec, s[8:9]
	v_lshrrev_b32_e32 v6, 16, v27
	v_cmp_gt_i16_sdwa s[6:7], v6, s17 src0_sel:BYTE_0 src1_sel:DWORD
	s_mov_b64 s[0:1], 0
                                        ; implicit-def: $sgpr18
	s_and_saveexec_b64 s[8:9], s[6:7]
	s_xor_b64 s[6:7], exec, s[8:9]
	s_cbranch_execnz .LBB256_1072
; %bb.815:                              ;   in Loop: Header=BB256_552 Depth=1
	s_or_saveexec_b64 s[6:7], s[6:7]
	v_mov_b32_e32 v32, s18
	s_xor_b64 exec, exec, s[6:7]
	s_cbranch_execnz .LBB256_1075
.LBB256_816:                            ;   in Loop: Header=BB256_552 Depth=1
	s_or_b64 exec, exec, s[6:7]
	s_and_saveexec_b64 s[6:7], s[0:1]
	s_cbranch_execz .LBB256_818
.LBB256_817:                            ;   in Loop: Header=BB256_552 Depth=1
	v_bfe_u32 v34, v27, 16, 3
	v_ffbh_u32_e32 v32, v34
	v_min_u32_e32 v60, 32, v32
	v_subrev_u32_e32 v32, 28, v60
	v_bfe_u32 v59, v27, 19, 4
	v_lshlrev_b64 v[32:33], v32, v[6:7]
	v_sub_u32_e32 v33, 29, v60
	v_cmp_eq_u32_e64 s[0:1], 0, v59
	v_and_b32_e32 v32, 7, v32
	v_lshlrev_b32_e32 v6, 8, v6
	v_cndmask_b32_e64 v33, v59, v33, s[0:1]
	v_lshl_add_u32 v33, v33, 10, v48
	v_cndmask_b32_e64 v32, v34, v32, s[0:1]
	v_and_or_b32 v6, v6, s21, v33
	v_lshl_or_b32 v6, v32, 7, v6
	v_cvt_f32_f16_e32 v32, v6
.LBB256_818:                            ;   in Loop: Header=BB256_552 Depth=1
	s_or_b64 exec, exec, s[6:7]
	v_lshrrev_b32_e32 v6, 24, v27
	v_cmp_lt_i16_e64 s[0:1], s17, v6
	s_mov_b64 s[6:7], 0
                                        ; implicit-def: $sgpr26
	s_and_saveexec_b64 s[8:9], s[0:1]
	s_xor_b64 s[8:9], exec, s[8:9]
	s_cbranch_execnz .LBB256_1076
; %bb.819:                              ;   in Loop: Header=BB256_552 Depth=1
	s_or_saveexec_b64 s[8:9], s[8:9]
	v_mov_b32_e32 v33, s26
	s_xor_b64 exec, exec, s[8:9]
	s_cbranch_execnz .LBB256_1079
.LBB256_820:                            ;   in Loop: Header=BB256_552 Depth=1
	s_or_b64 exec, exec, s[8:9]
	s_and_saveexec_b64 s[8:9], s[6:7]
	s_cbranch_execz .LBB256_822
.LBB256_821:                            ;   in Loop: Header=BB256_552 Depth=1
	v_bfe_u32 v33, v27, 24, 3
	v_ffbh_u32_e32 v34, v33
	v_bfe_u32 v27, v27, 27, 4
	v_min_u32_e32 v34, 32, v34
	v_subrev_u32_e32 v59, 28, v34
	v_sub_u32_e32 v34, 29, v34
	v_cmp_eq_u32_e64 s[0:1], 0, v27
	v_lshlrev_b64 v[60:61], v59, v[6:7]
	v_and_b32_e32 v59, 7, v60
	v_cndmask_b32_e64 v27, v27, v34, s[0:1]
	v_lshlrev_b32_e32 v6, 8, v6
	v_lshl_add_u32 v27, v27, 10, v48
	v_cndmask_b32_e64 v33, v33, v59, s[0:1]
	v_and_or_b32 v6, v6, s21, v27
	v_lshl_or_b32 v6, v33, 7, v6
	v_cvt_f32_f16_e32 v33, v6
.LBB256_822:                            ;   in Loop: Header=BB256_552 Depth=1
	s_or_b64 exec, exec, s[8:9]
	v_pk_mul_f32 v[30:31], v[10:11], v[30:31] op_sel_hi:[0,1]
	v_pk_mul_f32 v[28:29], v[10:11], v[28:29] op_sel_hi:[0,1]
	v_cvt_f16_f32_e32 v6, v31
	v_cvt_f16_f32_e32 v27, v30
	v_cvt_f16_f32_e32 v29, v29
	v_cvt_f16_f32_e32 v28, v28
	v_fma_mixlo_f16 v26, v10, v26, 0
	v_lshlrev_b32_e32 v26, 16, v26
	v_fma_mixlo_f16 v11, v10, v11, 0
	v_or_b32_sdwa v11, v26, v11 dst_sel:DWORD dst_unused:UNUSED_PAD src0_sel:DWORD src1_sel:WORD_0
	v_fma_mixlo_f16 v26, v10, v32, 0
	v_fma_mixlo_f16 v10, v10, v33, 0
	v_pack_b32_f16 v27, v27, v6
	v_pack_b32_f16 v28, v28, v29
	v_lshlrev_b32_e32 v10, 16, v10
	v_perm_b32 v6, v28, v27, s23
	v_perm_b32 v27, v28, v27, s24
	v_or_b32_sdwa v10, v10, v26 dst_sel:DWORD dst_unused:UNUSED_PAD src0_sel:DWORD src1_sel:WORD_0
	s_and_saveexec_b64 s[0:1], vcc
	s_cbranch_execz .LBB256_551
; %bb.823:                              ;   in Loop: Header=BB256_552 Depth=1
	v_lshrrev_b32_e32 v28, 16, v27
	v_cmp_lt_i32_e32 vcc, v43, v9
	v_lshrrev_b32_e32 v10, 16, v10
	s_nop 0
	v_cndmask_b32_e32 v28, 0, v28, vcc
	v_cmp_lt_i32_e32 vcc, v38, v12
	s_nop 1
	v_cndmask_b32_e32 v27, 0, v27, vcc
	v_perm_b32 v27, v28, v27, s25
	v_lshrrev_b32_e32 v28, 16, v6
	v_cmp_lt_i32_e32 vcc, v54, v9
	s_nop 1
	v_cndmask_b32_e32 v28, 0, v28, vcc
	v_cmp_lt_i32_e32 vcc, v53, v12
	s_nop 1
	v_cndmask_b32_e32 v6, 0, v6, vcc
	v_perm_b32 v6, v28, v6, s25
	v_lshrrev_b32_e32 v28, 16, v11
	v_cmp_lt_i32_e32 vcc, v52, v9
	s_nop 1
	v_cndmask_b32_e32 v28, 0, v28, vcc
	v_cmp_lt_i32_e32 vcc, v51, v12
	s_nop 1
	v_cndmask_b32_e32 v11, 0, v11, vcc
	v_cmp_lt_i32_e32 vcc, v50, v9
	v_perm_b32 v11, v28, v11, s25
	s_nop 0
	v_cndmask_b32_e32 v10, 0, v10, vcc
	v_cmp_lt_i32_e32 vcc, v49, v12
	s_nop 1
	v_cndmask_b32_e32 v26, 0, v26, vcc
	v_perm_b32 v10, v10, v26, s25
	s_branch .LBB256_551
.LBB256_824:                            ;   in Loop: Header=BB256_552 Depth=1
	v_cmp_eq_u16_sdwa s[26:27], v28, s20 src0_sel:BYTE_0 src1_sel:DWORD
	s_mov_b64 s[0:1], -1
                                        ; implicit-def: $sgpr18
	s_and_saveexec_b64 s[8:9], s[26:27]
; %bb.825:                              ;   in Loop: Header=BB256_552 Depth=1
	s_mov_b32 s18, 0x7fc02000
	s_xor_b64 s[0:1], exec, -1
; %bb.826:                              ;   in Loop: Header=BB256_552 Depth=1
	s_or_b64 exec, exec, s[8:9]
	s_and_b64 s[0:1], s[0:1], exec
	s_or_saveexec_b64 s[6:7], s[6:7]
	v_mov_b32_e32 v30, s18
	s_xor_b64 exec, exec, s[6:7]
	s_cbranch_execz .LBB256_554
.LBB256_827:                            ;   in Loop: Header=BB256_552 Depth=1
	v_cmp_ne_u16_sdwa s[8:9], v28, v7 src0_sel:BYTE_0 src1_sel:DWORD
	s_andn2_b64 s[0:1], s[0:1], exec
	s_and_b64 s[8:9], s[8:9], exec
	v_mov_b32_e32 v30, 0
	s_or_b64 s[0:1], s[0:1], s[8:9]
	s_or_b64 exec, exec, s[6:7]
	s_and_saveexec_b64 s[6:7], s[0:1]
	s_cbranch_execnz .LBB256_555
	s_branch .LBB256_556
.LBB256_828:                            ;   in Loop: Header=BB256_552 Depth=1
	v_cmp_eq_u16_e32 vcc, s20, v6
	s_mov_b64 s[0:1], -1
                                        ; implicit-def: $sgpr18
	s_and_saveexec_b64 s[8:9], vcc
; %bb.829:                              ;   in Loop: Header=BB256_552 Depth=1
	s_mov_b32 s18, 0x7fc02000
	s_xor_b64 s[0:1], exec, -1
; %bb.830:                              ;   in Loop: Header=BB256_552 Depth=1
	s_or_b64 exec, exec, s[8:9]
	s_and_b64 s[0:1], s[0:1], exec
	s_or_saveexec_b64 s[6:7], s[6:7]
	v_mov_b32_e32 v32, s18
	s_xor_b64 exec, exec, s[6:7]
	s_cbranch_execz .LBB256_558
.LBB256_831:                            ;   in Loop: Header=BB256_552 Depth=1
	v_cmp_ne_u16_e32 vcc, 0, v6
	s_andn2_b64 s[0:1], s[0:1], exec
	s_and_b64 s[8:9], vcc, exec
	v_mov_b32_e32 v32, 0
	s_or_b64 s[0:1], s[0:1], s[8:9]
	s_or_b64 exec, exec, s[6:7]
	s_and_saveexec_b64 s[6:7], s[0:1]
	s_cbranch_execnz .LBB256_559
	s_branch .LBB256_560
.LBB256_832:                            ;   in Loop: Header=BB256_552 Depth=1
	v_cmp_eq_u16_sdwa s[26:27], v6, s20 src0_sel:BYTE_0 src1_sel:DWORD
	s_mov_b64 s[0:1], -1
                                        ; implicit-def: $sgpr18
	s_and_saveexec_b64 s[8:9], s[26:27]
; %bb.833:                              ;   in Loop: Header=BB256_552 Depth=1
	s_mov_b32 s18, 0x7fc02000
	s_xor_b64 s[0:1], exec, -1
; %bb.834:                              ;   in Loop: Header=BB256_552 Depth=1
	s_or_b64 exec, exec, s[8:9]
	s_and_b64 s[0:1], s[0:1], exec
	s_or_saveexec_b64 s[6:7], s[6:7]
	v_mov_b32_e32 v31, s18
	s_xor_b64 exec, exec, s[6:7]
	s_cbranch_execz .LBB256_562
.LBB256_835:                            ;   in Loop: Header=BB256_552 Depth=1
	v_cmp_ne_u16_sdwa s[8:9], v6, v7 src0_sel:BYTE_0 src1_sel:DWORD
	s_andn2_b64 s[0:1], s[0:1], exec
	s_and_b64 s[8:9], s[8:9], exec
	v_mov_b32_e32 v31, 0
	s_or_b64 s[0:1], s[0:1], s[8:9]
	s_or_b64 exec, exec, s[6:7]
	s_and_saveexec_b64 s[6:7], s[0:1]
	s_cbranch_execnz .LBB256_563
	s_branch .LBB256_564
.LBB256_836:                            ;   in Loop: Header=BB256_552 Depth=1
	v_cmp_eq_u16_e32 vcc, s20, v6
	s_mov_b64 s[0:1], -1
                                        ; implicit-def: $sgpr18
	s_and_saveexec_b64 s[8:9], vcc
; %bb.837:                              ;   in Loop: Header=BB256_552 Depth=1
	s_mov_b32 s18, 0x7fc02000
	s_xor_b64 s[0:1], exec, -1
; %bb.838:                              ;   in Loop: Header=BB256_552 Depth=1
	s_or_b64 exec, exec, s[8:9]
	s_and_b64 s[0:1], s[0:1], exec
	s_or_saveexec_b64 s[6:7], s[6:7]
	v_mov_b32_e32 v33, s18
	s_xor_b64 exec, exec, s[6:7]
	s_cbranch_execz .LBB256_566
.LBB256_839:                            ;   in Loop: Header=BB256_552 Depth=1
	v_cmp_ne_u16_e32 vcc, 0, v6
	s_andn2_b64 s[0:1], s[0:1], exec
	s_and_b64 s[8:9], vcc, exec
	v_mov_b32_e32 v33, 0
	s_or_b64 s[0:1], s[0:1], s[8:9]
	s_or_b64 exec, exec, s[6:7]
	s_and_saveexec_b64 s[6:7], s[0:1]
	s_cbranch_execnz .LBB256_567
	s_branch .LBB256_568
.LBB256_840:                            ;   in Loop: Header=BB256_552 Depth=1
	v_cmp_eq_u16_sdwa s[26:27], v29, s20 src0_sel:BYTE_0 src1_sel:DWORD
	s_mov_b64 s[0:1], -1
                                        ; implicit-def: $sgpr18
	s_and_saveexec_b64 s[8:9], s[26:27]
; %bb.841:                              ;   in Loop: Header=BB256_552 Depth=1
	s_mov_b32 s18, 0x7fc02000
	s_xor_b64 s[0:1], exec, -1
; %bb.842:                              ;   in Loop: Header=BB256_552 Depth=1
	s_or_b64 exec, exec, s[8:9]
	s_and_b64 s[0:1], s[0:1], exec
	s_or_saveexec_b64 s[6:7], s[6:7]
	v_mov_b32_e32 v28, s18
	s_xor_b64 exec, exec, s[6:7]
	s_cbranch_execz .LBB256_570
.LBB256_843:                            ;   in Loop: Header=BB256_552 Depth=1
	v_cmp_ne_u16_sdwa s[8:9], v29, v7 src0_sel:BYTE_0 src1_sel:DWORD
	s_andn2_b64 s[0:1], s[0:1], exec
	s_and_b64 s[8:9], s[8:9], exec
	v_mov_b32_e32 v28, 0
	s_or_b64 s[0:1], s[0:1], s[8:9]
	s_or_b64 exec, exec, s[6:7]
	v_mov_b32_e32 v6, v29
	s_and_saveexec_b64 s[6:7], s[0:1]
	s_cbranch_execnz .LBB256_571
	s_branch .LBB256_572
.LBB256_844:                            ;   in Loop: Header=BB256_552 Depth=1
	v_cmp_eq_u16_e32 vcc, s20, v6
	s_mov_b64 s[0:1], -1
                                        ; implicit-def: $sgpr18
	s_and_saveexec_b64 s[8:9], vcc
; %bb.845:                              ;   in Loop: Header=BB256_552 Depth=1
	s_mov_b32 s18, 0x7fc02000
	s_xor_b64 s[0:1], exec, -1
; %bb.846:                              ;   in Loop: Header=BB256_552 Depth=1
	s_or_b64 exec, exec, s[8:9]
	s_and_b64 s[0:1], s[0:1], exec
	s_or_saveexec_b64 s[6:7], s[6:7]
	v_mov_b32_e32 v34, s18
	s_xor_b64 exec, exec, s[6:7]
	s_cbranch_execz .LBB256_574
.LBB256_847:                            ;   in Loop: Header=BB256_552 Depth=1
	v_cmp_ne_u16_e32 vcc, 0, v6
	s_andn2_b64 s[0:1], s[0:1], exec
	s_and_b64 s[8:9], vcc, exec
	v_mov_b32_e32 v34, 0
	s_or_b64 s[0:1], s[0:1], s[8:9]
	s_or_b64 exec, exec, s[6:7]
	s_and_saveexec_b64 s[6:7], s[0:1]
	s_cbranch_execnz .LBB256_575
	s_branch .LBB256_576
.LBB256_848:                            ;   in Loop: Header=BB256_552 Depth=1
	v_cmp_eq_u16_sdwa s[26:27], v6, s20 src0_sel:BYTE_0 src1_sel:DWORD
	s_mov_b64 s[0:1], -1
                                        ; implicit-def: $sgpr18
	s_and_saveexec_b64 s[8:9], s[26:27]
; %bb.849:                              ;   in Loop: Header=BB256_552 Depth=1
	s_mov_b32 s18, 0x7fc02000
	s_xor_b64 s[0:1], exec, -1
; %bb.850:                              ;   in Loop: Header=BB256_552 Depth=1
	s_or_b64 exec, exec, s[8:9]
	s_and_b64 s[0:1], s[0:1], exec
	s_or_saveexec_b64 s[6:7], s[6:7]
	v_mov_b32_e32 v49, s18
	s_xor_b64 exec, exec, s[6:7]
	s_cbranch_execz .LBB256_578
.LBB256_851:                            ;   in Loop: Header=BB256_552 Depth=1
	v_cmp_ne_u16_sdwa s[8:9], v6, v7 src0_sel:BYTE_0 src1_sel:DWORD
	s_andn2_b64 s[0:1], s[0:1], exec
	s_and_b64 s[8:9], s[8:9], exec
	v_mov_b32_e32 v49, 0
	s_or_b64 s[0:1], s[0:1], s[8:9]
	s_or_b64 exec, exec, s[6:7]
	s_and_saveexec_b64 s[6:7], s[0:1]
	s_cbranch_execnz .LBB256_579
	s_branch .LBB256_580
.LBB256_852:                            ;   in Loop: Header=BB256_552 Depth=1
	v_cmp_eq_u16_e32 vcc, s20, v6
	s_mov_b64 s[0:1], -1
                                        ; implicit-def: $sgpr18
	s_and_saveexec_b64 s[8:9], vcc
; %bb.853:                              ;   in Loop: Header=BB256_552 Depth=1
	s_mov_b32 s18, 0x7fc02000
	s_xor_b64 s[0:1], exec, -1
; %bb.854:                              ;   in Loop: Header=BB256_552 Depth=1
	s_or_b64 exec, exec, s[8:9]
	s_and_b64 s[0:1], s[0:1], exec
	s_or_saveexec_b64 s[6:7], s[6:7]
	v_mov_b32_e32 v50, s18
	s_xor_b64 exec, exec, s[6:7]
	s_cbranch_execz .LBB256_582
.LBB256_855:                            ;   in Loop: Header=BB256_552 Depth=1
	v_cmp_ne_u16_e32 vcc, 0, v6
	s_andn2_b64 s[0:1], s[0:1], exec
	s_and_b64 s[8:9], vcc, exec
	v_mov_b32_e32 v50, 0
	s_or_b64 s[0:1], s[0:1], s[8:9]
	s_or_b64 exec, exec, s[6:7]
	s_and_saveexec_b64 s[6:7], s[0:1]
	s_cbranch_execnz .LBB256_583
	s_branch .LBB256_584
.LBB256_856:                            ;   in Loop: Header=BB256_552 Depth=1
	v_cmp_eq_u16_sdwa s[26:27], v28, s20 src0_sel:BYTE_0 src1_sel:DWORD
	s_mov_b64 s[0:1], -1
                                        ; implicit-def: $sgpr18
	s_and_saveexec_b64 s[8:9], s[26:27]
; %bb.857:                              ;   in Loop: Header=BB256_552 Depth=1
	s_mov_b32 s18, 0x7fc02000
	s_xor_b64 s[0:1], exec, -1
; %bb.858:                              ;   in Loop: Header=BB256_552 Depth=1
	s_or_b64 exec, exec, s[8:9]
	s_and_b64 s[0:1], s[0:1], exec
	s_or_saveexec_b64 s[6:7], s[6:7]
	v_mov_b32_e32 v30, s18
	s_xor_b64 exec, exec, s[6:7]
	s_cbranch_execz .LBB256_588
.LBB256_859:                            ;   in Loop: Header=BB256_552 Depth=1
	v_cmp_ne_u16_sdwa s[8:9], v28, v7 src0_sel:BYTE_0 src1_sel:DWORD
	s_andn2_b64 s[0:1], s[0:1], exec
	s_and_b64 s[8:9], s[8:9], exec
	v_mov_b32_e32 v30, 0
	s_or_b64 s[0:1], s[0:1], s[8:9]
	s_or_b64 exec, exec, s[6:7]
	s_and_saveexec_b64 s[6:7], s[0:1]
	s_cbranch_execnz .LBB256_589
	s_branch .LBB256_590
.LBB256_860:                            ;   in Loop: Header=BB256_552 Depth=1
	v_cmp_eq_u16_e64 s[0:1], s20, v6
	s_mov_b64 s[6:7], -1
                                        ; implicit-def: $sgpr26
	s_and_saveexec_b64 s[18:19], s[0:1]
; %bb.861:                              ;   in Loop: Header=BB256_552 Depth=1
	s_mov_b32 s26, 0x7fc02000
	s_xor_b64 s[6:7], exec, -1
; %bb.862:                              ;   in Loop: Header=BB256_552 Depth=1
	s_or_b64 exec, exec, s[18:19]
	s_and_b64 s[6:7], s[6:7], exec
	s_or_saveexec_b64 s[8:9], s[8:9]
	v_mov_b32_e32 v32, s26
	s_xor_b64 exec, exec, s[8:9]
	s_cbranch_execz .LBB256_592
.LBB256_863:                            ;   in Loop: Header=BB256_552 Depth=1
	v_cmp_ne_u16_e64 s[0:1], 0, v6
	s_andn2_b64 s[6:7], s[6:7], exec
	s_and_b64 s[0:1], s[0:1], exec
	v_mov_b32_e32 v32, 0
	s_or_b64 s[6:7], s[6:7], s[0:1]
	s_or_b64 exec, exec, s[8:9]
	s_and_saveexec_b64 s[8:9], s[6:7]
	s_cbranch_execnz .LBB256_593
	s_branch .LBB256_594
.LBB256_864:                            ;   in Loop: Header=BB256_552 Depth=1
	v_cmp_eq_u16_sdwa s[26:27], v6, s20 src0_sel:BYTE_0 src1_sel:DWORD
	s_mov_b64 s[0:1], -1
                                        ; implicit-def: $sgpr18
	s_and_saveexec_b64 s[8:9], s[26:27]
; %bb.865:                              ;   in Loop: Header=BB256_552 Depth=1
	s_mov_b32 s18, 0x7fc02000
	s_xor_b64 s[0:1], exec, -1
; %bb.866:                              ;   in Loop: Header=BB256_552 Depth=1
	s_or_b64 exec, exec, s[8:9]
	s_and_b64 s[0:1], s[0:1], exec
	s_or_saveexec_b64 s[6:7], s[6:7]
	v_mov_b32_e32 v31, s18
	s_xor_b64 exec, exec, s[6:7]
	s_cbranch_execz .LBB256_596
.LBB256_867:                            ;   in Loop: Header=BB256_552 Depth=1
	v_cmp_ne_u16_sdwa s[8:9], v6, v7 src0_sel:BYTE_0 src1_sel:DWORD
	s_andn2_b64 s[0:1], s[0:1], exec
	s_and_b64 s[8:9], s[8:9], exec
	v_mov_b32_e32 v31, 0
	s_or_b64 s[0:1], s[0:1], s[8:9]
	s_or_b64 exec, exec, s[6:7]
	s_and_saveexec_b64 s[6:7], s[0:1]
	s_cbranch_execnz .LBB256_597
	s_branch .LBB256_598
.LBB256_868:                            ;   in Loop: Header=BB256_552 Depth=1
	v_cmp_eq_u16_e64 s[0:1], s20, v6
	s_mov_b64 s[6:7], -1
                                        ; implicit-def: $sgpr26
	s_and_saveexec_b64 s[18:19], s[0:1]
; %bb.869:                              ;   in Loop: Header=BB256_552 Depth=1
	s_mov_b32 s26, 0x7fc02000
	s_xor_b64 s[6:7], exec, -1
; %bb.870:                              ;   in Loop: Header=BB256_552 Depth=1
	s_or_b64 exec, exec, s[18:19]
	s_and_b64 s[6:7], s[6:7], exec
	s_or_saveexec_b64 s[8:9], s[8:9]
	v_mov_b32_e32 v33, s26
	s_xor_b64 exec, exec, s[8:9]
	s_cbranch_execz .LBB256_600
.LBB256_871:                            ;   in Loop: Header=BB256_552 Depth=1
	v_cmp_ne_u16_e64 s[0:1], 0, v6
	s_andn2_b64 s[6:7], s[6:7], exec
	s_and_b64 s[0:1], s[0:1], exec
	v_mov_b32_e32 v33, 0
	s_or_b64 s[6:7], s[6:7], s[0:1]
	s_or_b64 exec, exec, s[8:9]
	s_and_saveexec_b64 s[8:9], s[6:7]
	s_cbranch_execnz .LBB256_601
	s_branch .LBB256_602
.LBB256_872:                            ;   in Loop: Header=BB256_552 Depth=1
	v_cmp_eq_u16_sdwa s[26:27], v29, s20 src0_sel:BYTE_0 src1_sel:DWORD
	s_mov_b64 s[0:1], -1
                                        ; implicit-def: $sgpr18
	s_and_saveexec_b64 s[8:9], s[26:27]
; %bb.873:                              ;   in Loop: Header=BB256_552 Depth=1
	s_mov_b32 s18, 0x7fc02000
	s_xor_b64 s[0:1], exec, -1
; %bb.874:                              ;   in Loop: Header=BB256_552 Depth=1
	s_or_b64 exec, exec, s[8:9]
	s_and_b64 s[0:1], s[0:1], exec
	s_or_saveexec_b64 s[6:7], s[6:7]
	v_mov_b32_e32 v0, s18
	s_xor_b64 exec, exec, s[6:7]
	s_cbranch_execz .LBB256_604
.LBB256_875:                            ;   in Loop: Header=BB256_552 Depth=1
	v_cmp_ne_u16_sdwa s[8:9], v29, v7 src0_sel:BYTE_0 src1_sel:DWORD
	s_andn2_b64 s[0:1], s[0:1], exec
	s_and_b64 s[8:9], s[8:9], exec
	v_mov_b32_e32 v0, 0
	s_or_b64 s[0:1], s[0:1], s[8:9]
	s_or_b64 exec, exec, s[6:7]
	v_mov_b32_e32 v6, v29
	s_and_saveexec_b64 s[6:7], s[0:1]
	s_cbranch_execnz .LBB256_605
	s_branch .LBB256_606
.LBB256_876:                            ;   in Loop: Header=BB256_552 Depth=1
	v_cmp_eq_u16_e64 s[0:1], s20, v6
	s_mov_b64 s[6:7], -1
                                        ; implicit-def: $sgpr26
	s_and_saveexec_b64 s[18:19], s[0:1]
; %bb.877:                              ;   in Loop: Header=BB256_552 Depth=1
	s_mov_b32 s26, 0x7fc02000
	s_xor_b64 s[6:7], exec, -1
; %bb.878:                              ;   in Loop: Header=BB256_552 Depth=1
	s_or_b64 exec, exec, s[18:19]
	s_and_b64 s[6:7], s[6:7], exec
	s_or_saveexec_b64 s[8:9], s[8:9]
	v_mov_b32_e32 v1, s26
	s_xor_b64 exec, exec, s[8:9]
	s_cbranch_execz .LBB256_608
.LBB256_879:                            ;   in Loop: Header=BB256_552 Depth=1
	v_cmp_ne_u16_e64 s[0:1], 0, v6
	s_andn2_b64 s[6:7], s[6:7], exec
	s_and_b64 s[0:1], s[0:1], exec
	v_mov_b32_e32 v1, 0
	s_or_b64 s[6:7], s[6:7], s[0:1]
	s_or_b64 exec, exec, s[8:9]
	s_and_saveexec_b64 s[8:9], s[6:7]
	s_cbranch_execnz .LBB256_609
	s_branch .LBB256_610
.LBB256_880:                            ;   in Loop: Header=BB256_552 Depth=1
	v_cmp_eq_u16_sdwa s[26:27], v6, s20 src0_sel:BYTE_0 src1_sel:DWORD
	s_mov_b64 s[0:1], -1
                                        ; implicit-def: $sgpr18
	s_and_saveexec_b64 s[8:9], s[26:27]
; %bb.881:                              ;   in Loop: Header=BB256_552 Depth=1
	s_mov_b32 s18, 0x7fc02000
	s_xor_b64 s[0:1], exec, -1
; %bb.882:                              ;   in Loop: Header=BB256_552 Depth=1
	s_or_b64 exec, exec, s[8:9]
	s_and_b64 s[0:1], s[0:1], exec
	s_or_saveexec_b64 s[6:7], s[6:7]
	v_mov_b32_e32 v8, s18
	s_xor_b64 exec, exec, s[6:7]
	s_cbranch_execz .LBB256_612
.LBB256_883:                            ;   in Loop: Header=BB256_552 Depth=1
	v_cmp_ne_u16_sdwa s[8:9], v6, v7 src0_sel:BYTE_0 src1_sel:DWORD
	s_andn2_b64 s[0:1], s[0:1], exec
	s_and_b64 s[8:9], s[8:9], exec
	v_mov_b32_e32 v8, 0
	s_or_b64 s[0:1], s[0:1], s[8:9]
	s_or_b64 exec, exec, s[6:7]
	s_and_saveexec_b64 s[6:7], s[0:1]
	s_cbranch_execnz .LBB256_613
	s_branch .LBB256_614
.LBB256_884:                            ;   in Loop: Header=BB256_552 Depth=1
	v_cmp_eq_u16_e64 s[0:1], s20, v6
	s_mov_b64 s[6:7], -1
                                        ; implicit-def: $sgpr26
	s_and_saveexec_b64 s[18:19], s[0:1]
; %bb.885:                              ;   in Loop: Header=BB256_552 Depth=1
	s_mov_b32 s26, 0x7fc02000
	s_xor_b64 s[6:7], exec, -1
; %bb.886:                              ;   in Loop: Header=BB256_552 Depth=1
	s_or_b64 exec, exec, s[18:19]
	s_and_b64 s[6:7], s[6:7], exec
	s_or_saveexec_b64 s[8:9], s[8:9]
	v_mov_b32_e32 v18, s26
	s_xor_b64 exec, exec, s[8:9]
	s_cbranch_execz .LBB256_616
.LBB256_887:                            ;   in Loop: Header=BB256_552 Depth=1
	v_cmp_ne_u16_e64 s[0:1], 0, v6
	s_andn2_b64 s[6:7], s[6:7], exec
	s_and_b64 s[0:1], s[0:1], exec
	v_mov_b32_e32 v18, 0
	s_or_b64 s[6:7], s[6:7], s[0:1]
	s_or_b64 exec, exec, s[8:9]
	s_and_saveexec_b64 s[8:9], s[6:7]
	s_cbranch_execnz .LBB256_617
	s_branch .LBB256_618
.LBB256_888:                            ;   in Loop: Header=BB256_552 Depth=1
	v_cmp_eq_u16_sdwa s[26:27], v28, s20 src0_sel:BYTE_0 src1_sel:DWORD
	s_mov_b64 s[0:1], -1
                                        ; implicit-def: $sgpr18
	s_and_saveexec_b64 s[8:9], s[26:27]
; %bb.889:                              ;   in Loop: Header=BB256_552 Depth=1
	s_mov_b32 s18, 0x7fc02000
	s_xor_b64 s[0:1], exec, -1
; %bb.890:                              ;   in Loop: Header=BB256_552 Depth=1
	s_or_b64 exec, exec, s[8:9]
	s_and_b64 s[0:1], s[0:1], exec
	s_or_saveexec_b64 s[6:7], s[6:7]
	v_mov_b32_e32 v30, s18
	s_xor_b64 exec, exec, s[6:7]
	s_cbranch_execz .LBB256_622
.LBB256_891:                            ;   in Loop: Header=BB256_552 Depth=1
	v_cmp_ne_u16_sdwa s[8:9], v28, v7 src0_sel:BYTE_0 src1_sel:DWORD
	s_andn2_b64 s[0:1], s[0:1], exec
	s_and_b64 s[8:9], s[8:9], exec
	v_mov_b32_e32 v30, 0
	s_or_b64 s[0:1], s[0:1], s[8:9]
	s_or_b64 exec, exec, s[6:7]
	s_and_saveexec_b64 s[6:7], s[0:1]
	s_cbranch_execnz .LBB256_623
	s_branch .LBB256_624
.LBB256_892:                            ;   in Loop: Header=BB256_552 Depth=1
	v_cmp_eq_u16_e64 s[0:1], s20, v6
	s_mov_b64 s[6:7], -1
                                        ; implicit-def: $sgpr26
	s_and_saveexec_b64 s[18:19], s[0:1]
; %bb.893:                              ;   in Loop: Header=BB256_552 Depth=1
	s_mov_b32 s26, 0x7fc02000
	s_xor_b64 s[6:7], exec, -1
; %bb.894:                              ;   in Loop: Header=BB256_552 Depth=1
	s_or_b64 exec, exec, s[18:19]
	s_and_b64 s[6:7], s[6:7], exec
	s_or_saveexec_b64 s[8:9], s[8:9]
	v_mov_b32_e32 v32, s26
	s_xor_b64 exec, exec, s[8:9]
	s_cbranch_execz .LBB256_626
.LBB256_895:                            ;   in Loop: Header=BB256_552 Depth=1
	v_cmp_ne_u16_e64 s[0:1], 0, v6
	s_andn2_b64 s[6:7], s[6:7], exec
	s_and_b64 s[0:1], s[0:1], exec
	v_mov_b32_e32 v32, 0
	s_or_b64 s[6:7], s[6:7], s[0:1]
	s_or_b64 exec, exec, s[8:9]
	s_and_saveexec_b64 s[8:9], s[6:7]
	s_cbranch_execnz .LBB256_627
	s_branch .LBB256_628
.LBB256_896:                            ;   in Loop: Header=BB256_552 Depth=1
	v_cmp_eq_u16_sdwa s[26:27], v6, s20 src0_sel:BYTE_0 src1_sel:DWORD
	s_mov_b64 s[0:1], -1
                                        ; implicit-def: $sgpr18
	s_and_saveexec_b64 s[8:9], s[26:27]
; %bb.897:                              ;   in Loop: Header=BB256_552 Depth=1
	s_mov_b32 s18, 0x7fc02000
	s_xor_b64 s[0:1], exec, -1
; %bb.898:                              ;   in Loop: Header=BB256_552 Depth=1
	s_or_b64 exec, exec, s[8:9]
	s_and_b64 s[0:1], s[0:1], exec
	s_or_saveexec_b64 s[6:7], s[6:7]
	v_mov_b32_e32 v31, s18
	s_xor_b64 exec, exec, s[6:7]
	s_cbranch_execz .LBB256_630
.LBB256_899:                            ;   in Loop: Header=BB256_552 Depth=1
	v_cmp_ne_u16_sdwa s[8:9], v6, v7 src0_sel:BYTE_0 src1_sel:DWORD
	s_andn2_b64 s[0:1], s[0:1], exec
	s_and_b64 s[8:9], s[8:9], exec
	v_mov_b32_e32 v31, 0
	s_or_b64 s[0:1], s[0:1], s[8:9]
	s_or_b64 exec, exec, s[6:7]
	s_and_saveexec_b64 s[6:7], s[0:1]
	s_cbranch_execnz .LBB256_631
	s_branch .LBB256_632
.LBB256_900:                            ;   in Loop: Header=BB256_552 Depth=1
	v_cmp_eq_u16_e64 s[0:1], s20, v6
	s_mov_b64 s[6:7], -1
                                        ; implicit-def: $sgpr26
	s_and_saveexec_b64 s[18:19], s[0:1]
; %bb.901:                              ;   in Loop: Header=BB256_552 Depth=1
	s_mov_b32 s26, 0x7fc02000
	s_xor_b64 s[6:7], exec, -1
; %bb.902:                              ;   in Loop: Header=BB256_552 Depth=1
	s_or_b64 exec, exec, s[18:19]
	s_and_b64 s[6:7], s[6:7], exec
	s_or_saveexec_b64 s[8:9], s[8:9]
	v_mov_b32_e32 v33, s26
	s_xor_b64 exec, exec, s[8:9]
	s_cbranch_execz .LBB256_634
.LBB256_903:                            ;   in Loop: Header=BB256_552 Depth=1
	v_cmp_ne_u16_e64 s[0:1], 0, v6
	s_andn2_b64 s[6:7], s[6:7], exec
	s_and_b64 s[0:1], s[0:1], exec
	v_mov_b32_e32 v33, 0
	s_or_b64 s[6:7], s[6:7], s[0:1]
	s_or_b64 exec, exec, s[8:9]
	s_and_saveexec_b64 s[8:9], s[6:7]
	s_cbranch_execnz .LBB256_635
	s_branch .LBB256_636
.LBB256_904:                            ;   in Loop: Header=BB256_552 Depth=1
	v_cmp_eq_u16_sdwa s[26:27], v29, s20 src0_sel:BYTE_0 src1_sel:DWORD
	s_mov_b64 s[0:1], -1
                                        ; implicit-def: $sgpr18
	s_and_saveexec_b64 s[8:9], s[26:27]
; %bb.905:                              ;   in Loop: Header=BB256_552 Depth=1
	s_mov_b32 s18, 0x7fc02000
	s_xor_b64 s[0:1], exec, -1
; %bb.906:                              ;   in Loop: Header=BB256_552 Depth=1
	s_or_b64 exec, exec, s[8:9]
	s_and_b64 s[0:1], s[0:1], exec
	s_or_saveexec_b64 s[6:7], s[6:7]
	v_mov_b32_e32 v0, s18
	s_xor_b64 exec, exec, s[6:7]
	s_cbranch_execz .LBB256_638
.LBB256_907:                            ;   in Loop: Header=BB256_552 Depth=1
	v_cmp_ne_u16_sdwa s[8:9], v29, v7 src0_sel:BYTE_0 src1_sel:DWORD
	s_andn2_b64 s[0:1], s[0:1], exec
	s_and_b64 s[8:9], s[8:9], exec
	v_mov_b32_e32 v0, 0
	s_or_b64 s[0:1], s[0:1], s[8:9]
	s_or_b64 exec, exec, s[6:7]
	v_mov_b32_e32 v6, v29
	s_and_saveexec_b64 s[6:7], s[0:1]
	s_cbranch_execnz .LBB256_639
	s_branch .LBB256_640
.LBB256_908:                            ;   in Loop: Header=BB256_552 Depth=1
	v_cmp_eq_u16_e64 s[0:1], s20, v6
	s_mov_b64 s[6:7], -1
                                        ; implicit-def: $sgpr26
	s_and_saveexec_b64 s[18:19], s[0:1]
; %bb.909:                              ;   in Loop: Header=BB256_552 Depth=1
	s_mov_b32 s26, 0x7fc02000
	s_xor_b64 s[6:7], exec, -1
; %bb.910:                              ;   in Loop: Header=BB256_552 Depth=1
	s_or_b64 exec, exec, s[18:19]
	s_and_b64 s[6:7], s[6:7], exec
	s_or_saveexec_b64 s[8:9], s[8:9]
	v_mov_b32_e32 v1, s26
	s_xor_b64 exec, exec, s[8:9]
	s_cbranch_execz .LBB256_642
.LBB256_911:                            ;   in Loop: Header=BB256_552 Depth=1
	v_cmp_ne_u16_e64 s[0:1], 0, v6
	s_andn2_b64 s[6:7], s[6:7], exec
	s_and_b64 s[0:1], s[0:1], exec
	v_mov_b32_e32 v1, 0
	s_or_b64 s[6:7], s[6:7], s[0:1]
	s_or_b64 exec, exec, s[8:9]
	s_and_saveexec_b64 s[8:9], s[6:7]
	s_cbranch_execnz .LBB256_643
	s_branch .LBB256_644
.LBB256_912:                            ;   in Loop: Header=BB256_552 Depth=1
	v_cmp_eq_u16_sdwa s[26:27], v6, s20 src0_sel:BYTE_0 src1_sel:DWORD
	s_mov_b64 s[0:1], -1
                                        ; implicit-def: $sgpr18
	s_and_saveexec_b64 s[8:9], s[26:27]
; %bb.913:                              ;   in Loop: Header=BB256_552 Depth=1
	s_mov_b32 s18, 0x7fc02000
	s_xor_b64 s[0:1], exec, -1
; %bb.914:                              ;   in Loop: Header=BB256_552 Depth=1
	s_or_b64 exec, exec, s[8:9]
	s_and_b64 s[0:1], s[0:1], exec
	s_or_saveexec_b64 s[6:7], s[6:7]
	v_mov_b32_e32 v8, s18
	s_xor_b64 exec, exec, s[6:7]
	s_cbranch_execz .LBB256_646
.LBB256_915:                            ;   in Loop: Header=BB256_552 Depth=1
	v_cmp_ne_u16_sdwa s[8:9], v6, v7 src0_sel:BYTE_0 src1_sel:DWORD
	s_andn2_b64 s[0:1], s[0:1], exec
	s_and_b64 s[8:9], s[8:9], exec
	v_mov_b32_e32 v8, 0
	s_or_b64 s[0:1], s[0:1], s[8:9]
	s_or_b64 exec, exec, s[6:7]
	s_and_saveexec_b64 s[6:7], s[0:1]
	s_cbranch_execnz .LBB256_647
	s_branch .LBB256_648
.LBB256_916:                            ;   in Loop: Header=BB256_552 Depth=1
	v_cmp_eq_u16_e64 s[0:1], s20, v6
	s_mov_b64 s[6:7], -1
                                        ; implicit-def: $sgpr26
	s_and_saveexec_b64 s[18:19], s[0:1]
; %bb.917:                              ;   in Loop: Header=BB256_552 Depth=1
	s_mov_b32 s26, 0x7fc02000
	s_xor_b64 s[6:7], exec, -1
; %bb.918:                              ;   in Loop: Header=BB256_552 Depth=1
	s_or_b64 exec, exec, s[18:19]
	s_and_b64 s[6:7], s[6:7], exec
	s_or_saveexec_b64 s[8:9], s[8:9]
	v_mov_b32_e32 v18, s26
	s_xor_b64 exec, exec, s[8:9]
	s_cbranch_execz .LBB256_650
.LBB256_919:                            ;   in Loop: Header=BB256_552 Depth=1
	v_cmp_ne_u16_e64 s[0:1], 0, v6
	s_andn2_b64 s[6:7], s[6:7], exec
	s_and_b64 s[0:1], s[0:1], exec
	v_mov_b32_e32 v18, 0
	s_or_b64 s[6:7], s[6:7], s[0:1]
	s_or_b64 exec, exec, s[8:9]
	s_and_saveexec_b64 s[8:9], s[6:7]
	s_cbranch_execnz .LBB256_651
	s_branch .LBB256_652
.LBB256_920:                            ;   in Loop: Header=BB256_552 Depth=1
	v_cmp_eq_u16_sdwa s[26:27], v28, s20 src0_sel:BYTE_0 src1_sel:DWORD
	s_mov_b64 s[0:1], -1
                                        ; implicit-def: $sgpr18
	s_and_saveexec_b64 s[8:9], s[26:27]
; %bb.921:                              ;   in Loop: Header=BB256_552 Depth=1
	s_mov_b32 s18, 0x7fc02000
	s_xor_b64 s[0:1], exec, -1
; %bb.922:                              ;   in Loop: Header=BB256_552 Depth=1
	s_or_b64 exec, exec, s[8:9]
	s_and_b64 s[0:1], s[0:1], exec
	s_or_saveexec_b64 s[6:7], s[6:7]
	v_mov_b32_e32 v30, s18
	s_xor_b64 exec, exec, s[6:7]
	s_cbranch_execz .LBB256_656
.LBB256_923:                            ;   in Loop: Header=BB256_552 Depth=1
	v_cmp_ne_u16_sdwa s[8:9], v28, v7 src0_sel:BYTE_0 src1_sel:DWORD
	s_andn2_b64 s[0:1], s[0:1], exec
	s_and_b64 s[8:9], s[8:9], exec
	v_mov_b32_e32 v30, 0
	s_or_b64 s[0:1], s[0:1], s[8:9]
	s_or_b64 exec, exec, s[6:7]
	s_and_saveexec_b64 s[6:7], s[0:1]
	s_cbranch_execnz .LBB256_657
	s_branch .LBB256_658
.LBB256_924:                            ;   in Loop: Header=BB256_552 Depth=1
	v_cmp_eq_u16_e64 s[0:1], s20, v6
	s_mov_b64 s[6:7], -1
                                        ; implicit-def: $sgpr26
	s_and_saveexec_b64 s[18:19], s[0:1]
; %bb.925:                              ;   in Loop: Header=BB256_552 Depth=1
	s_mov_b32 s26, 0x7fc02000
	s_xor_b64 s[6:7], exec, -1
; %bb.926:                              ;   in Loop: Header=BB256_552 Depth=1
	s_or_b64 exec, exec, s[18:19]
	s_and_b64 s[6:7], s[6:7], exec
	s_or_saveexec_b64 s[8:9], s[8:9]
	v_mov_b32_e32 v32, s26
	s_xor_b64 exec, exec, s[8:9]
	s_cbranch_execz .LBB256_660
.LBB256_927:                            ;   in Loop: Header=BB256_552 Depth=1
	v_cmp_ne_u16_e64 s[0:1], 0, v6
	s_andn2_b64 s[6:7], s[6:7], exec
	s_and_b64 s[0:1], s[0:1], exec
	v_mov_b32_e32 v32, 0
	s_or_b64 s[6:7], s[6:7], s[0:1]
	s_or_b64 exec, exec, s[8:9]
	s_and_saveexec_b64 s[8:9], s[6:7]
	s_cbranch_execnz .LBB256_661
	s_branch .LBB256_662
.LBB256_928:                            ;   in Loop: Header=BB256_552 Depth=1
	v_cmp_eq_u16_sdwa s[26:27], v6, s20 src0_sel:BYTE_0 src1_sel:DWORD
	s_mov_b64 s[0:1], -1
                                        ; implicit-def: $sgpr18
	s_and_saveexec_b64 s[8:9], s[26:27]
; %bb.929:                              ;   in Loop: Header=BB256_552 Depth=1
	s_mov_b32 s18, 0x7fc02000
	s_xor_b64 s[0:1], exec, -1
; %bb.930:                              ;   in Loop: Header=BB256_552 Depth=1
	s_or_b64 exec, exec, s[8:9]
	s_and_b64 s[0:1], s[0:1], exec
	s_or_saveexec_b64 s[6:7], s[6:7]
	v_mov_b32_e32 v31, s18
	s_xor_b64 exec, exec, s[6:7]
	s_cbranch_execz .LBB256_664
.LBB256_931:                            ;   in Loop: Header=BB256_552 Depth=1
	v_cmp_ne_u16_sdwa s[8:9], v6, v7 src0_sel:BYTE_0 src1_sel:DWORD
	s_andn2_b64 s[0:1], s[0:1], exec
	s_and_b64 s[8:9], s[8:9], exec
	v_mov_b32_e32 v31, 0
	s_or_b64 s[0:1], s[0:1], s[8:9]
	s_or_b64 exec, exec, s[6:7]
	s_and_saveexec_b64 s[6:7], s[0:1]
	s_cbranch_execnz .LBB256_665
	s_branch .LBB256_666
.LBB256_932:                            ;   in Loop: Header=BB256_552 Depth=1
	v_cmp_eq_u16_e64 s[0:1], s20, v6
	s_mov_b64 s[6:7], -1
                                        ; implicit-def: $sgpr26
	s_and_saveexec_b64 s[18:19], s[0:1]
; %bb.933:                              ;   in Loop: Header=BB256_552 Depth=1
	s_mov_b32 s26, 0x7fc02000
	s_xor_b64 s[6:7], exec, -1
; %bb.934:                              ;   in Loop: Header=BB256_552 Depth=1
	s_or_b64 exec, exec, s[18:19]
	s_and_b64 s[6:7], s[6:7], exec
	s_or_saveexec_b64 s[8:9], s[8:9]
	v_mov_b32_e32 v33, s26
	s_xor_b64 exec, exec, s[8:9]
	s_cbranch_execz .LBB256_668
.LBB256_935:                            ;   in Loop: Header=BB256_552 Depth=1
	v_cmp_ne_u16_e64 s[0:1], 0, v6
	s_andn2_b64 s[6:7], s[6:7], exec
	s_and_b64 s[0:1], s[0:1], exec
	v_mov_b32_e32 v33, 0
	s_or_b64 s[6:7], s[6:7], s[0:1]
	s_or_b64 exec, exec, s[8:9]
	s_and_saveexec_b64 s[8:9], s[6:7]
	s_cbranch_execnz .LBB256_669
	s_branch .LBB256_670
.LBB256_936:                            ;   in Loop: Header=BB256_552 Depth=1
	v_cmp_eq_u16_sdwa s[26:27], v29, s20 src0_sel:BYTE_0 src1_sel:DWORD
	s_mov_b64 s[0:1], -1
                                        ; implicit-def: $sgpr18
	s_and_saveexec_b64 s[8:9], s[26:27]
; %bb.937:                              ;   in Loop: Header=BB256_552 Depth=1
	s_mov_b32 s18, 0x7fc02000
	s_xor_b64 s[0:1], exec, -1
; %bb.938:                              ;   in Loop: Header=BB256_552 Depth=1
	s_or_b64 exec, exec, s[8:9]
	s_and_b64 s[0:1], s[0:1], exec
	s_or_saveexec_b64 s[6:7], s[6:7]
	v_mov_b32_e32 v0, s18
	s_xor_b64 exec, exec, s[6:7]
	s_cbranch_execz .LBB256_672
.LBB256_939:                            ;   in Loop: Header=BB256_552 Depth=1
	v_cmp_ne_u16_sdwa s[8:9], v29, v7 src0_sel:BYTE_0 src1_sel:DWORD
	s_andn2_b64 s[0:1], s[0:1], exec
	s_and_b64 s[8:9], s[8:9], exec
	v_mov_b32_e32 v0, 0
	s_or_b64 s[0:1], s[0:1], s[8:9]
	s_or_b64 exec, exec, s[6:7]
	v_mov_b32_e32 v6, v29
	s_and_saveexec_b64 s[6:7], s[0:1]
	s_cbranch_execnz .LBB256_673
	s_branch .LBB256_674
.LBB256_940:                            ;   in Loop: Header=BB256_552 Depth=1
	v_cmp_eq_u16_e64 s[0:1], s20, v6
	s_mov_b64 s[6:7], -1
                                        ; implicit-def: $sgpr26
	s_and_saveexec_b64 s[18:19], s[0:1]
; %bb.941:                              ;   in Loop: Header=BB256_552 Depth=1
	s_mov_b32 s26, 0x7fc02000
	s_xor_b64 s[6:7], exec, -1
; %bb.942:                              ;   in Loop: Header=BB256_552 Depth=1
	s_or_b64 exec, exec, s[18:19]
	s_and_b64 s[6:7], s[6:7], exec
	s_or_saveexec_b64 s[8:9], s[8:9]
	v_mov_b32_e32 v1, s26
	s_xor_b64 exec, exec, s[8:9]
	s_cbranch_execz .LBB256_676
.LBB256_943:                            ;   in Loop: Header=BB256_552 Depth=1
	v_cmp_ne_u16_e64 s[0:1], 0, v6
	s_andn2_b64 s[6:7], s[6:7], exec
	s_and_b64 s[0:1], s[0:1], exec
	v_mov_b32_e32 v1, 0
	s_or_b64 s[6:7], s[6:7], s[0:1]
	s_or_b64 exec, exec, s[8:9]
	s_and_saveexec_b64 s[8:9], s[6:7]
	s_cbranch_execnz .LBB256_677
	s_branch .LBB256_678
.LBB256_944:                            ;   in Loop: Header=BB256_552 Depth=1
	v_cmp_eq_u16_sdwa s[26:27], v6, s20 src0_sel:BYTE_0 src1_sel:DWORD
	s_mov_b64 s[0:1], -1
                                        ; implicit-def: $sgpr18
	s_and_saveexec_b64 s[8:9], s[26:27]
; %bb.945:                              ;   in Loop: Header=BB256_552 Depth=1
	s_mov_b32 s18, 0x7fc02000
	s_xor_b64 s[0:1], exec, -1
; %bb.946:                              ;   in Loop: Header=BB256_552 Depth=1
	s_or_b64 exec, exec, s[8:9]
	s_and_b64 s[0:1], s[0:1], exec
	s_or_saveexec_b64 s[6:7], s[6:7]
	v_mov_b32_e32 v8, s18
	s_xor_b64 exec, exec, s[6:7]
	s_cbranch_execz .LBB256_680
.LBB256_947:                            ;   in Loop: Header=BB256_552 Depth=1
	v_cmp_ne_u16_sdwa s[8:9], v6, v7 src0_sel:BYTE_0 src1_sel:DWORD
	s_andn2_b64 s[0:1], s[0:1], exec
	s_and_b64 s[8:9], s[8:9], exec
	v_mov_b32_e32 v8, 0
	s_or_b64 s[0:1], s[0:1], s[8:9]
	s_or_b64 exec, exec, s[6:7]
	s_and_saveexec_b64 s[6:7], s[0:1]
	s_cbranch_execnz .LBB256_681
	s_branch .LBB256_682
.LBB256_948:                            ;   in Loop: Header=BB256_552 Depth=1
	v_cmp_eq_u16_e64 s[0:1], s20, v6
	s_mov_b64 s[6:7], -1
                                        ; implicit-def: $sgpr26
	s_and_saveexec_b64 s[18:19], s[0:1]
; %bb.949:                              ;   in Loop: Header=BB256_552 Depth=1
	s_mov_b32 s26, 0x7fc02000
	s_xor_b64 s[6:7], exec, -1
; %bb.950:                              ;   in Loop: Header=BB256_552 Depth=1
	s_or_b64 exec, exec, s[18:19]
	s_and_b64 s[6:7], s[6:7], exec
	s_or_saveexec_b64 s[8:9], s[8:9]
	v_mov_b32_e32 v18, s26
	s_xor_b64 exec, exec, s[8:9]
	s_cbranch_execz .LBB256_684
.LBB256_951:                            ;   in Loop: Header=BB256_552 Depth=1
	v_cmp_ne_u16_e64 s[0:1], 0, v6
	s_andn2_b64 s[6:7], s[6:7], exec
	s_and_b64 s[0:1], s[0:1], exec
	v_mov_b32_e32 v18, 0
	s_or_b64 s[6:7], s[6:7], s[0:1]
	s_or_b64 exec, exec, s[8:9]
	s_and_saveexec_b64 s[8:9], s[6:7]
	s_cbranch_execnz .LBB256_685
	s_branch .LBB256_686
.LBB256_952:                            ;   in Loop: Header=BB256_552 Depth=1
	v_cmp_eq_u16_sdwa s[26:27], v28, s20 src0_sel:BYTE_0 src1_sel:DWORD
	s_mov_b64 s[0:1], -1
                                        ; implicit-def: $sgpr18
	s_and_saveexec_b64 s[8:9], s[26:27]
; %bb.953:                              ;   in Loop: Header=BB256_552 Depth=1
	s_mov_b32 s18, 0x7fc02000
	s_xor_b64 s[0:1], exec, -1
; %bb.954:                              ;   in Loop: Header=BB256_552 Depth=1
	s_or_b64 exec, exec, s[8:9]
	s_and_b64 s[0:1], s[0:1], exec
	s_or_saveexec_b64 s[6:7], s[6:7]
	v_mov_b32_e32 v30, s18
	s_xor_b64 exec, exec, s[6:7]
	s_cbranch_execz .LBB256_690
.LBB256_955:                            ;   in Loop: Header=BB256_552 Depth=1
	v_cmp_ne_u16_sdwa s[8:9], v28, v7 src0_sel:BYTE_0 src1_sel:DWORD
	s_andn2_b64 s[0:1], s[0:1], exec
	s_and_b64 s[8:9], s[8:9], exec
	v_mov_b32_e32 v30, 0
	s_or_b64 s[0:1], s[0:1], s[8:9]
	s_or_b64 exec, exec, s[6:7]
	s_and_saveexec_b64 s[6:7], s[0:1]
	s_cbranch_execnz .LBB256_691
	s_branch .LBB256_692
.LBB256_956:                            ;   in Loop: Header=BB256_552 Depth=1
	v_cmp_eq_u16_e64 s[0:1], s20, v6
	s_mov_b64 s[6:7], -1
                                        ; implicit-def: $sgpr26
	s_and_saveexec_b64 s[18:19], s[0:1]
; %bb.957:                              ;   in Loop: Header=BB256_552 Depth=1
	s_mov_b32 s26, 0x7fc02000
	s_xor_b64 s[6:7], exec, -1
; %bb.958:                              ;   in Loop: Header=BB256_552 Depth=1
	s_or_b64 exec, exec, s[18:19]
	s_and_b64 s[6:7], s[6:7], exec
	s_or_saveexec_b64 s[8:9], s[8:9]
	v_mov_b32_e32 v32, s26
	s_xor_b64 exec, exec, s[8:9]
	s_cbranch_execz .LBB256_694
.LBB256_959:                            ;   in Loop: Header=BB256_552 Depth=1
	v_cmp_ne_u16_e64 s[0:1], 0, v6
	s_andn2_b64 s[6:7], s[6:7], exec
	s_and_b64 s[0:1], s[0:1], exec
	v_mov_b32_e32 v32, 0
	s_or_b64 s[6:7], s[6:7], s[0:1]
	s_or_b64 exec, exec, s[8:9]
	s_and_saveexec_b64 s[8:9], s[6:7]
	s_cbranch_execnz .LBB256_695
	s_branch .LBB256_696
.LBB256_960:                            ;   in Loop: Header=BB256_552 Depth=1
	v_cmp_eq_u16_sdwa s[26:27], v6, s20 src0_sel:BYTE_0 src1_sel:DWORD
	s_mov_b64 s[0:1], -1
                                        ; implicit-def: $sgpr18
	s_and_saveexec_b64 s[8:9], s[26:27]
; %bb.961:                              ;   in Loop: Header=BB256_552 Depth=1
	s_mov_b32 s18, 0x7fc02000
	s_xor_b64 s[0:1], exec, -1
; %bb.962:                              ;   in Loop: Header=BB256_552 Depth=1
	s_or_b64 exec, exec, s[8:9]
	s_and_b64 s[0:1], s[0:1], exec
	s_or_saveexec_b64 s[6:7], s[6:7]
	v_mov_b32_e32 v31, s18
	s_xor_b64 exec, exec, s[6:7]
	s_cbranch_execz .LBB256_698
.LBB256_963:                            ;   in Loop: Header=BB256_552 Depth=1
	v_cmp_ne_u16_sdwa s[8:9], v6, v7 src0_sel:BYTE_0 src1_sel:DWORD
	s_andn2_b64 s[0:1], s[0:1], exec
	s_and_b64 s[8:9], s[8:9], exec
	v_mov_b32_e32 v31, 0
	s_or_b64 s[0:1], s[0:1], s[8:9]
	s_or_b64 exec, exec, s[6:7]
	s_and_saveexec_b64 s[6:7], s[0:1]
	s_cbranch_execnz .LBB256_699
	s_branch .LBB256_700
.LBB256_964:                            ;   in Loop: Header=BB256_552 Depth=1
	v_cmp_eq_u16_e64 s[0:1], s20, v6
	s_mov_b64 s[6:7], -1
                                        ; implicit-def: $sgpr26
	s_and_saveexec_b64 s[18:19], s[0:1]
; %bb.965:                              ;   in Loop: Header=BB256_552 Depth=1
	s_mov_b32 s26, 0x7fc02000
	s_xor_b64 s[6:7], exec, -1
; %bb.966:                              ;   in Loop: Header=BB256_552 Depth=1
	s_or_b64 exec, exec, s[18:19]
	s_and_b64 s[6:7], s[6:7], exec
	s_or_saveexec_b64 s[8:9], s[8:9]
	v_mov_b32_e32 v33, s26
	s_xor_b64 exec, exec, s[8:9]
	s_cbranch_execz .LBB256_702
.LBB256_967:                            ;   in Loop: Header=BB256_552 Depth=1
	v_cmp_ne_u16_e64 s[0:1], 0, v6
	s_andn2_b64 s[6:7], s[6:7], exec
	s_and_b64 s[0:1], s[0:1], exec
	v_mov_b32_e32 v33, 0
	s_or_b64 s[6:7], s[6:7], s[0:1]
	s_or_b64 exec, exec, s[8:9]
	s_and_saveexec_b64 s[8:9], s[6:7]
	s_cbranch_execnz .LBB256_703
	s_branch .LBB256_704
.LBB256_968:                            ;   in Loop: Header=BB256_552 Depth=1
	v_cmp_eq_u16_sdwa s[26:27], v29, s20 src0_sel:BYTE_0 src1_sel:DWORD
	s_mov_b64 s[0:1], -1
                                        ; implicit-def: $sgpr18
	s_and_saveexec_b64 s[8:9], s[26:27]
; %bb.969:                              ;   in Loop: Header=BB256_552 Depth=1
	s_mov_b32 s18, 0x7fc02000
	s_xor_b64 s[0:1], exec, -1
; %bb.970:                              ;   in Loop: Header=BB256_552 Depth=1
	s_or_b64 exec, exec, s[8:9]
	s_and_b64 s[0:1], s[0:1], exec
	s_or_saveexec_b64 s[6:7], s[6:7]
	v_mov_b32_e32 v8, s18
	s_xor_b64 exec, exec, s[6:7]
	s_cbranch_execz .LBB256_706
.LBB256_971:                            ;   in Loop: Header=BB256_552 Depth=1
	v_cmp_ne_u16_sdwa s[8:9], v29, v7 src0_sel:BYTE_0 src1_sel:DWORD
	s_andn2_b64 s[0:1], s[0:1], exec
	s_and_b64 s[8:9], s[8:9], exec
	v_mov_b32_e32 v8, 0
	s_or_b64 s[0:1], s[0:1], s[8:9]
	s_or_b64 exec, exec, s[6:7]
	v_mov_b32_e32 v6, v29
	s_and_saveexec_b64 s[6:7], s[0:1]
	s_cbranch_execnz .LBB256_707
	s_branch .LBB256_708
.LBB256_972:                            ;   in Loop: Header=BB256_552 Depth=1
	v_cmp_eq_u16_e64 s[0:1], s20, v6
	s_mov_b64 s[6:7], -1
                                        ; implicit-def: $sgpr26
	s_and_saveexec_b64 s[18:19], s[0:1]
; %bb.973:                              ;   in Loop: Header=BB256_552 Depth=1
	s_mov_b32 s26, 0x7fc02000
	s_xor_b64 s[6:7], exec, -1
; %bb.974:                              ;   in Loop: Header=BB256_552 Depth=1
	s_or_b64 exec, exec, s[18:19]
	s_and_b64 s[6:7], s[6:7], exec
	s_or_saveexec_b64 s[8:9], s[8:9]
	v_mov_b32_e32 v13, s26
	s_xor_b64 exec, exec, s[8:9]
	s_cbranch_execz .LBB256_710
.LBB256_975:                            ;   in Loop: Header=BB256_552 Depth=1
	v_cmp_ne_u16_e64 s[0:1], 0, v6
	s_andn2_b64 s[6:7], s[6:7], exec
	s_and_b64 s[0:1], s[0:1], exec
	v_mov_b32_e32 v13, 0
	s_or_b64 s[6:7], s[6:7], s[0:1]
	s_or_b64 exec, exec, s[8:9]
	s_and_saveexec_b64 s[8:9], s[6:7]
	s_cbranch_execnz .LBB256_711
	s_branch .LBB256_712
.LBB256_976:                            ;   in Loop: Header=BB256_552 Depth=1
	v_cmp_eq_u16_sdwa s[26:27], v6, s20 src0_sel:BYTE_0 src1_sel:DWORD
	s_mov_b64 s[0:1], -1
                                        ; implicit-def: $sgpr18
	s_and_saveexec_b64 s[8:9], s[26:27]
; %bb.977:                              ;   in Loop: Header=BB256_552 Depth=1
	s_mov_b32 s18, 0x7fc02000
	s_xor_b64 s[0:1], exec, -1
; %bb.978:                              ;   in Loop: Header=BB256_552 Depth=1
	s_or_b64 exec, exec, s[8:9]
	s_and_b64 s[0:1], s[0:1], exec
	s_or_saveexec_b64 s[6:7], s[6:7]
	v_mov_b32_e32 v18, s18
	s_xor_b64 exec, exec, s[6:7]
	s_cbranch_execz .LBB256_714
.LBB256_979:                            ;   in Loop: Header=BB256_552 Depth=1
	v_cmp_ne_u16_sdwa s[8:9], v6, v7 src0_sel:BYTE_0 src1_sel:DWORD
	s_andn2_b64 s[0:1], s[0:1], exec
	s_and_b64 s[8:9], s[8:9], exec
	v_mov_b32_e32 v18, 0
	s_or_b64 s[0:1], s[0:1], s[8:9]
	s_or_b64 exec, exec, s[6:7]
	s_and_saveexec_b64 s[6:7], s[0:1]
	s_cbranch_execnz .LBB256_715
	s_branch .LBB256_716
.LBB256_980:                            ;   in Loop: Header=BB256_552 Depth=1
	v_cmp_eq_u16_e64 s[0:1], s20, v6
	s_mov_b64 s[6:7], -1
                                        ; implicit-def: $sgpr26
	s_and_saveexec_b64 s[18:19], s[0:1]
; %bb.981:                              ;   in Loop: Header=BB256_552 Depth=1
	s_mov_b32 s26, 0x7fc02000
	s_xor_b64 s[6:7], exec, -1
; %bb.982:                              ;   in Loop: Header=BB256_552 Depth=1
	s_or_b64 exec, exec, s[18:19]
	s_and_b64 s[6:7], s[6:7], exec
	s_or_saveexec_b64 s[8:9], s[8:9]
	v_mov_b32_e32 v23, s26
	s_xor_b64 exec, exec, s[8:9]
	s_cbranch_execz .LBB256_718
.LBB256_983:                            ;   in Loop: Header=BB256_552 Depth=1
	v_cmp_ne_u16_e64 s[0:1], 0, v6
	s_andn2_b64 s[6:7], s[6:7], exec
	s_and_b64 s[0:1], s[0:1], exec
	v_mov_b32_e32 v23, 0
	s_or_b64 s[6:7], s[6:7], s[0:1]
	s_or_b64 exec, exec, s[8:9]
	s_and_saveexec_b64 s[8:9], s[6:7]
	s_cbranch_execnz .LBB256_719
	s_branch .LBB256_720
.LBB256_984:                            ;   in Loop: Header=BB256_552 Depth=1
	v_cmp_eq_u16_sdwa s[26:27], v28, s20 src0_sel:BYTE_0 src1_sel:DWORD
	s_mov_b64 s[0:1], -1
                                        ; implicit-def: $sgpr18
	s_and_saveexec_b64 s[8:9], s[26:27]
; %bb.985:                              ;   in Loop: Header=BB256_552 Depth=1
	s_mov_b32 s18, 0x7fc02000
	s_xor_b64 s[0:1], exec, -1
; %bb.986:                              ;   in Loop: Header=BB256_552 Depth=1
	s_or_b64 exec, exec, s[8:9]
	s_and_b64 s[0:1], s[0:1], exec
	s_or_saveexec_b64 s[6:7], s[6:7]
	v_mov_b32_e32 v30, s18
	s_xor_b64 exec, exec, s[6:7]
	s_cbranch_execz .LBB256_724
.LBB256_987:                            ;   in Loop: Header=BB256_552 Depth=1
	v_cmp_ne_u16_sdwa s[8:9], v28, v7 src0_sel:BYTE_0 src1_sel:DWORD
	s_andn2_b64 s[0:1], s[0:1], exec
	s_and_b64 s[8:9], s[8:9], exec
	v_mov_b32_e32 v30, 0
	s_or_b64 s[0:1], s[0:1], s[8:9]
	s_or_b64 exec, exec, s[6:7]
	s_and_saveexec_b64 s[6:7], s[0:1]
	s_cbranch_execnz .LBB256_725
	s_branch .LBB256_726
.LBB256_988:                            ;   in Loop: Header=BB256_552 Depth=1
	v_cmp_eq_u16_e64 s[0:1], s20, v6
	s_mov_b64 s[6:7], -1
                                        ; implicit-def: $sgpr26
	s_and_saveexec_b64 s[18:19], s[0:1]
; %bb.989:                              ;   in Loop: Header=BB256_552 Depth=1
	s_mov_b32 s26, 0x7fc02000
	s_xor_b64 s[6:7], exec, -1
; %bb.990:                              ;   in Loop: Header=BB256_552 Depth=1
	s_or_b64 exec, exec, s[18:19]
	s_and_b64 s[6:7], s[6:7], exec
	s_or_saveexec_b64 s[8:9], s[8:9]
	v_mov_b32_e32 v32, s26
	s_xor_b64 exec, exec, s[8:9]
	s_cbranch_execz .LBB256_728
.LBB256_991:                            ;   in Loop: Header=BB256_552 Depth=1
	v_cmp_ne_u16_e64 s[0:1], 0, v6
	s_andn2_b64 s[6:7], s[6:7], exec
	s_and_b64 s[0:1], s[0:1], exec
	v_mov_b32_e32 v32, 0
	s_or_b64 s[6:7], s[6:7], s[0:1]
	s_or_b64 exec, exec, s[8:9]
	s_and_saveexec_b64 s[8:9], s[6:7]
	s_cbranch_execnz .LBB256_729
	s_branch .LBB256_730
.LBB256_992:                            ;   in Loop: Header=BB256_552 Depth=1
	v_cmp_eq_u16_sdwa s[26:27], v6, s20 src0_sel:BYTE_0 src1_sel:DWORD
	s_mov_b64 s[0:1], -1
                                        ; implicit-def: $sgpr18
	s_and_saveexec_b64 s[8:9], s[26:27]
; %bb.993:                              ;   in Loop: Header=BB256_552 Depth=1
	s_mov_b32 s18, 0x7fc02000
	s_xor_b64 s[0:1], exec, -1
; %bb.994:                              ;   in Loop: Header=BB256_552 Depth=1
	s_or_b64 exec, exec, s[8:9]
	s_and_b64 s[0:1], s[0:1], exec
	s_or_saveexec_b64 s[6:7], s[6:7]
	v_mov_b32_e32 v31, s18
	s_xor_b64 exec, exec, s[6:7]
	s_cbranch_execz .LBB256_732
.LBB256_995:                            ;   in Loop: Header=BB256_552 Depth=1
	v_cmp_ne_u16_sdwa s[8:9], v6, v7 src0_sel:BYTE_0 src1_sel:DWORD
	s_andn2_b64 s[0:1], s[0:1], exec
	s_and_b64 s[8:9], s[8:9], exec
	v_mov_b32_e32 v31, 0
	s_or_b64 s[0:1], s[0:1], s[8:9]
	s_or_b64 exec, exec, s[6:7]
	s_and_saveexec_b64 s[6:7], s[0:1]
	s_cbranch_execnz .LBB256_733
	s_branch .LBB256_734
.LBB256_996:                            ;   in Loop: Header=BB256_552 Depth=1
	v_cmp_eq_u16_e64 s[0:1], s20, v6
	s_mov_b64 s[6:7], -1
                                        ; implicit-def: $sgpr26
	s_and_saveexec_b64 s[18:19], s[0:1]
; %bb.997:                              ;   in Loop: Header=BB256_552 Depth=1
	s_mov_b32 s26, 0x7fc02000
	s_xor_b64 s[6:7], exec, -1
; %bb.998:                              ;   in Loop: Header=BB256_552 Depth=1
	s_or_b64 exec, exec, s[18:19]
	s_and_b64 s[6:7], s[6:7], exec
	s_or_saveexec_b64 s[8:9], s[8:9]
	v_mov_b32_e32 v33, s26
	s_xor_b64 exec, exec, s[8:9]
	s_cbranch_execz .LBB256_736
.LBB256_999:                            ;   in Loop: Header=BB256_552 Depth=1
	v_cmp_ne_u16_e64 s[0:1], 0, v6
	s_andn2_b64 s[6:7], s[6:7], exec
	s_and_b64 s[0:1], s[0:1], exec
	v_mov_b32_e32 v33, 0
	s_or_b64 s[6:7], s[6:7], s[0:1]
	s_or_b64 exec, exec, s[8:9]
	s_and_saveexec_b64 s[8:9], s[6:7]
	s_cbranch_execnz .LBB256_737
	s_branch .LBB256_738
.LBB256_1000:                           ;   in Loop: Header=BB256_552 Depth=1
	v_cmp_eq_u16_sdwa s[26:27], v29, s20 src0_sel:BYTE_0 src1_sel:DWORD
	s_mov_b64 s[0:1], -1
                                        ; implicit-def: $sgpr18
	s_and_saveexec_b64 s[8:9], s[26:27]
; %bb.1001:                             ;   in Loop: Header=BB256_552 Depth=1
	s_mov_b32 s18, 0x7fc02000
	s_xor_b64 s[0:1], exec, -1
; %bb.1002:                             ;   in Loop: Header=BB256_552 Depth=1
	s_or_b64 exec, exec, s[8:9]
	s_and_b64 s[0:1], s[0:1], exec
	s_or_saveexec_b64 s[6:7], s[6:7]
	v_mov_b32_e32 v18, s18
	s_xor_b64 exec, exec, s[6:7]
	s_cbranch_execz .LBB256_740
.LBB256_1003:                           ;   in Loop: Header=BB256_552 Depth=1
	v_cmp_ne_u16_sdwa s[8:9], v29, v7 src0_sel:BYTE_0 src1_sel:DWORD
	s_andn2_b64 s[0:1], s[0:1], exec
	s_and_b64 s[8:9], s[8:9], exec
	v_mov_b32_e32 v18, 0
	s_or_b64 s[0:1], s[0:1], s[8:9]
	s_or_b64 exec, exec, s[6:7]
	v_mov_b32_e32 v6, v29
	s_and_saveexec_b64 s[6:7], s[0:1]
	s_cbranch_execnz .LBB256_741
	s_branch .LBB256_742
.LBB256_1004:                           ;   in Loop: Header=BB256_552 Depth=1
	v_cmp_eq_u16_e64 s[0:1], s20, v6
	s_mov_b64 s[6:7], -1
                                        ; implicit-def: $sgpr26
	s_and_saveexec_b64 s[18:19], s[0:1]
; %bb.1005:                             ;   in Loop: Header=BB256_552 Depth=1
	s_mov_b32 s26, 0x7fc02000
	s_xor_b64 s[6:7], exec, -1
; %bb.1006:                             ;   in Loop: Header=BB256_552 Depth=1
	s_or_b64 exec, exec, s[18:19]
	s_and_b64 s[6:7], s[6:7], exec
	s_or_saveexec_b64 s[8:9], s[8:9]
	v_mov_b32_e32 v22, s26
	s_xor_b64 exec, exec, s[8:9]
	s_cbranch_execz .LBB256_744
.LBB256_1007:                           ;   in Loop: Header=BB256_552 Depth=1
	v_cmp_ne_u16_e64 s[0:1], 0, v6
	s_andn2_b64 s[6:7], s[6:7], exec
	s_and_b64 s[0:1], s[0:1], exec
	v_mov_b32_e32 v22, 0
	s_or_b64 s[6:7], s[6:7], s[0:1]
	s_or_b64 exec, exec, s[8:9]
	s_and_saveexec_b64 s[8:9], s[6:7]
	s_cbranch_execnz .LBB256_745
	s_branch .LBB256_746
.LBB256_1008:                           ;   in Loop: Header=BB256_552 Depth=1
	v_cmp_eq_u16_sdwa s[26:27], v6, s20 src0_sel:BYTE_0 src1_sel:DWORD
	s_mov_b64 s[0:1], -1
                                        ; implicit-def: $sgpr18
	s_and_saveexec_b64 s[8:9], s[26:27]
; %bb.1009:                             ;   in Loop: Header=BB256_552 Depth=1
	s_mov_b32 s18, 0x7fc02000
	s_xor_b64 s[0:1], exec, -1
; %bb.1010:                             ;   in Loop: Header=BB256_552 Depth=1
	s_or_b64 exec, exec, s[8:9]
	s_and_b64 s[0:1], s[0:1], exec
	s_or_saveexec_b64 s[6:7], s[6:7]
	v_mov_b32_e32 v23, s18
	s_xor_b64 exec, exec, s[6:7]
	s_cbranch_execz .LBB256_748
.LBB256_1011:                           ;   in Loop: Header=BB256_552 Depth=1
	v_cmp_ne_u16_sdwa s[8:9], v6, v7 src0_sel:BYTE_0 src1_sel:DWORD
	s_andn2_b64 s[0:1], s[0:1], exec
	s_and_b64 s[8:9], s[8:9], exec
	v_mov_b32_e32 v23, 0
	s_or_b64 s[0:1], s[0:1], s[8:9]
	s_or_b64 exec, exec, s[6:7]
	s_and_saveexec_b64 s[6:7], s[0:1]
	s_cbranch_execnz .LBB256_749
	s_branch .LBB256_750
.LBB256_1012:                           ;   in Loop: Header=BB256_552 Depth=1
	v_cmp_eq_u16_e64 s[0:1], s20, v6
	s_mov_b64 s[6:7], -1
                                        ; implicit-def: $sgpr26
	s_and_saveexec_b64 s[18:19], s[0:1]
; %bb.1013:                             ;   in Loop: Header=BB256_552 Depth=1
	s_mov_b32 s26, 0x7fc02000
	s_xor_b64 s[6:7], exec, -1
; %bb.1014:                             ;   in Loop: Header=BB256_552 Depth=1
	s_or_b64 exec, exec, s[18:19]
	s_and_b64 s[6:7], s[6:7], exec
	s_or_saveexec_b64 s[8:9], s[8:9]
	v_mov_b32_e32 v28, s26
	s_xor_b64 exec, exec, s[8:9]
	s_cbranch_execz .LBB256_752
.LBB256_1015:                           ;   in Loop: Header=BB256_552 Depth=1
	v_cmp_ne_u16_e64 s[0:1], 0, v6
	s_andn2_b64 s[6:7], s[6:7], exec
	s_and_b64 s[0:1], s[0:1], exec
	v_mov_b32_e32 v28, 0
	s_or_b64 s[6:7], s[6:7], s[0:1]
	s_or_b64 exec, exec, s[8:9]
	s_and_saveexec_b64 s[8:9], s[6:7]
	s_cbranch_execnz .LBB256_753
	s_branch .LBB256_754
.LBB256_1016:                           ;   in Loop: Header=BB256_552 Depth=1
	v_cmp_eq_u16_sdwa s[26:27], v28, s20 src0_sel:BYTE_0 src1_sel:DWORD
	s_mov_b64 s[0:1], -1
                                        ; implicit-def: $sgpr18
	s_and_saveexec_b64 s[8:9], s[26:27]
; %bb.1017:                             ;   in Loop: Header=BB256_552 Depth=1
	s_mov_b32 s18, 0x7fc02000
	s_xor_b64 s[0:1], exec, -1
; %bb.1018:                             ;   in Loop: Header=BB256_552 Depth=1
	s_or_b64 exec, exec, s[8:9]
	s_and_b64 s[0:1], s[0:1], exec
	s_or_saveexec_b64 s[6:7], s[6:7]
	v_mov_b32_e32 v30, s18
	s_xor_b64 exec, exec, s[6:7]
	s_cbranch_execz .LBB256_758
.LBB256_1019:                           ;   in Loop: Header=BB256_552 Depth=1
	v_cmp_ne_u16_sdwa s[8:9], v28, v7 src0_sel:BYTE_0 src1_sel:DWORD
	s_andn2_b64 s[0:1], s[0:1], exec
	s_and_b64 s[8:9], s[8:9], exec
	v_mov_b32_e32 v30, 0
	s_or_b64 s[0:1], s[0:1], s[8:9]
	s_or_b64 exec, exec, s[6:7]
	s_and_saveexec_b64 s[6:7], s[0:1]
	s_cbranch_execnz .LBB256_759
	s_branch .LBB256_760
.LBB256_1020:                           ;   in Loop: Header=BB256_552 Depth=1
	v_cmp_eq_u16_e64 s[0:1], s20, v6
	s_mov_b64 s[6:7], -1
                                        ; implicit-def: $sgpr26
	s_and_saveexec_b64 s[18:19], s[0:1]
; %bb.1021:                             ;   in Loop: Header=BB256_552 Depth=1
	s_mov_b32 s26, 0x7fc02000
	s_xor_b64 s[6:7], exec, -1
; %bb.1022:                             ;   in Loop: Header=BB256_552 Depth=1
	s_or_b64 exec, exec, s[18:19]
	s_and_b64 s[6:7], s[6:7], exec
	s_or_saveexec_b64 s[8:9], s[8:9]
	v_mov_b32_e32 v32, s26
	s_xor_b64 exec, exec, s[8:9]
	s_cbranch_execz .LBB256_762
.LBB256_1023:                           ;   in Loop: Header=BB256_552 Depth=1
	v_cmp_ne_u16_e64 s[0:1], 0, v6
	s_andn2_b64 s[6:7], s[6:7], exec
	s_and_b64 s[0:1], s[0:1], exec
	v_mov_b32_e32 v32, 0
	s_or_b64 s[6:7], s[6:7], s[0:1]
	s_or_b64 exec, exec, s[8:9]
	s_and_saveexec_b64 s[8:9], s[6:7]
	s_cbranch_execnz .LBB256_763
	s_branch .LBB256_764
.LBB256_1024:                           ;   in Loop: Header=BB256_552 Depth=1
	v_cmp_eq_u16_sdwa s[26:27], v6, s20 src0_sel:BYTE_0 src1_sel:DWORD
	s_mov_b64 s[0:1], -1
                                        ; implicit-def: $sgpr18
	s_and_saveexec_b64 s[8:9], s[26:27]
; %bb.1025:                             ;   in Loop: Header=BB256_552 Depth=1
	s_mov_b32 s18, 0x7fc02000
	s_xor_b64 s[0:1], exec, -1
; %bb.1026:                             ;   in Loop: Header=BB256_552 Depth=1
	s_or_b64 exec, exec, s[8:9]
	s_and_b64 s[0:1], s[0:1], exec
	s_or_saveexec_b64 s[6:7], s[6:7]
	v_mov_b32_e32 v31, s18
	s_xor_b64 exec, exec, s[6:7]
	s_cbranch_execz .LBB256_766
.LBB256_1027:                           ;   in Loop: Header=BB256_552 Depth=1
	v_cmp_ne_u16_sdwa s[8:9], v6, v7 src0_sel:BYTE_0 src1_sel:DWORD
	s_andn2_b64 s[0:1], s[0:1], exec
	s_and_b64 s[8:9], s[8:9], exec
	v_mov_b32_e32 v31, 0
	s_or_b64 s[0:1], s[0:1], s[8:9]
	s_or_b64 exec, exec, s[6:7]
	s_and_saveexec_b64 s[6:7], s[0:1]
	s_cbranch_execnz .LBB256_767
	s_branch .LBB256_768
.LBB256_1028:                           ;   in Loop: Header=BB256_552 Depth=1
	v_cmp_eq_u16_e64 s[0:1], s20, v6
	s_mov_b64 s[6:7], -1
                                        ; implicit-def: $sgpr26
	s_and_saveexec_b64 s[18:19], s[0:1]
; %bb.1029:                             ;   in Loop: Header=BB256_552 Depth=1
	s_mov_b32 s26, 0x7fc02000
	s_xor_b64 s[6:7], exec, -1
; %bb.1030:                             ;   in Loop: Header=BB256_552 Depth=1
	s_or_b64 exec, exec, s[18:19]
	s_and_b64 s[6:7], s[6:7], exec
	s_or_saveexec_b64 s[8:9], s[8:9]
	v_mov_b32_e32 v33, s26
	s_xor_b64 exec, exec, s[8:9]
	s_cbranch_execz .LBB256_770
.LBB256_1031:                           ;   in Loop: Header=BB256_552 Depth=1
	v_cmp_ne_u16_e64 s[0:1], 0, v6
	s_andn2_b64 s[6:7], s[6:7], exec
	s_and_b64 s[0:1], s[0:1], exec
	v_mov_b32_e32 v33, 0
	s_or_b64 s[6:7], s[6:7], s[0:1]
	s_or_b64 exec, exec, s[8:9]
	s_and_saveexec_b64 s[8:9], s[6:7]
	s_cbranch_execnz .LBB256_771
	s_branch .LBB256_772
.LBB256_1032:                           ;   in Loop: Header=BB256_552 Depth=1
	v_cmp_eq_u16_sdwa s[26:27], v29, s20 src0_sel:BYTE_0 src1_sel:DWORD
	s_mov_b64 s[0:1], -1
                                        ; implicit-def: $sgpr18
	s_and_saveexec_b64 s[8:9], s[26:27]
; %bb.1033:                             ;   in Loop: Header=BB256_552 Depth=1
	s_mov_b32 s18, 0x7fc02000
	s_xor_b64 s[0:1], exec, -1
; %bb.1034:                             ;   in Loop: Header=BB256_552 Depth=1
	s_or_b64 exec, exec, s[8:9]
	s_and_b64 s[0:1], s[0:1], exec
	s_or_saveexec_b64 s[6:7], s[6:7]
	v_mov_b32_e32 v22, s18
	s_xor_b64 exec, exec, s[6:7]
	s_cbranch_execz .LBB256_774
.LBB256_1035:                           ;   in Loop: Header=BB256_552 Depth=1
	v_cmp_ne_u16_sdwa s[8:9], v29, v7 src0_sel:BYTE_0 src1_sel:DWORD
	s_andn2_b64 s[0:1], s[0:1], exec
	s_and_b64 s[8:9], s[8:9], exec
	v_mov_b32_e32 v22, 0
	s_or_b64 s[0:1], s[0:1], s[8:9]
	s_or_b64 exec, exec, s[6:7]
	v_mov_b32_e32 v6, v29
	s_and_saveexec_b64 s[6:7], s[0:1]
	s_cbranch_execnz .LBB256_775
	s_branch .LBB256_776
.LBB256_1036:                           ;   in Loop: Header=BB256_552 Depth=1
	v_cmp_eq_u16_e64 s[0:1], s20, v6
	s_mov_b64 s[6:7], -1
                                        ; implicit-def: $sgpr26
	s_and_saveexec_b64 s[18:19], s[0:1]
; %bb.1037:                             ;   in Loop: Header=BB256_552 Depth=1
	s_mov_b32 s26, 0x7fc02000
	s_xor_b64 s[6:7], exec, -1
; %bb.1038:                             ;   in Loop: Header=BB256_552 Depth=1
	s_or_b64 exec, exec, s[18:19]
	s_and_b64 s[6:7], s[6:7], exec
	s_or_saveexec_b64 s[8:9], s[8:9]
	v_mov_b32_e32 v23, s26
	s_xor_b64 exec, exec, s[8:9]
	s_cbranch_execz .LBB256_778
.LBB256_1039:                           ;   in Loop: Header=BB256_552 Depth=1
	v_cmp_ne_u16_e64 s[0:1], 0, v6
	s_andn2_b64 s[6:7], s[6:7], exec
	s_and_b64 s[0:1], s[0:1], exec
	v_mov_b32_e32 v23, 0
	s_or_b64 s[6:7], s[6:7], s[0:1]
	s_or_b64 exec, exec, s[8:9]
	s_and_saveexec_b64 s[8:9], s[6:7]
	s_cbranch_execnz .LBB256_779
	s_branch .LBB256_780
.LBB256_1040:                           ;   in Loop: Header=BB256_552 Depth=1
	v_cmp_eq_u16_sdwa s[26:27], v6, s20 src0_sel:BYTE_0 src1_sel:DWORD
	s_mov_b64 s[0:1], -1
                                        ; implicit-def: $sgpr18
	s_and_saveexec_b64 s[8:9], s[26:27]
; %bb.1041:                             ;   in Loop: Header=BB256_552 Depth=1
	s_mov_b32 s18, 0x7fc02000
	s_xor_b64 s[0:1], exec, -1
; %bb.1042:                             ;   in Loop: Header=BB256_552 Depth=1
	s_or_b64 exec, exec, s[8:9]
	s_and_b64 s[0:1], s[0:1], exec
	s_or_saveexec_b64 s[6:7], s[6:7]
	v_mov_b32_e32 v27, s18
	s_xor_b64 exec, exec, s[6:7]
	s_cbranch_execz .LBB256_782
.LBB256_1043:                           ;   in Loop: Header=BB256_552 Depth=1
	v_cmp_ne_u16_sdwa s[8:9], v6, v7 src0_sel:BYTE_0 src1_sel:DWORD
	s_andn2_b64 s[0:1], s[0:1], exec
	s_and_b64 s[8:9], s[8:9], exec
	v_mov_b32_e32 v27, 0
	s_or_b64 s[0:1], s[0:1], s[8:9]
	s_or_b64 exec, exec, s[6:7]
	s_and_saveexec_b64 s[6:7], s[0:1]
	s_cbranch_execnz .LBB256_783
	s_branch .LBB256_784
.LBB256_1044:                           ;   in Loop: Header=BB256_552 Depth=1
	v_cmp_eq_u16_e64 s[0:1], s20, v6
	s_mov_b64 s[6:7], -1
                                        ; implicit-def: $sgpr26
	s_and_saveexec_b64 s[18:19], s[0:1]
; %bb.1045:                             ;   in Loop: Header=BB256_552 Depth=1
	s_mov_b32 s26, 0x7fc02000
	s_xor_b64 s[6:7], exec, -1
; %bb.1046:                             ;   in Loop: Header=BB256_552 Depth=1
	s_or_b64 exec, exec, s[18:19]
	s_and_b64 s[6:7], s[6:7], exec
	s_or_saveexec_b64 s[8:9], s[8:9]
	v_mov_b32_e32 v34, s26
	s_xor_b64 exec, exec, s[8:9]
	s_cbranch_execz .LBB256_786
.LBB256_1047:                           ;   in Loop: Header=BB256_552 Depth=1
	v_cmp_ne_u16_e64 s[0:1], 0, v6
	s_andn2_b64 s[6:7], s[6:7], exec
	s_and_b64 s[0:1], s[0:1], exec
	v_mov_b32_e32 v34, 0
	s_or_b64 s[6:7], s[6:7], s[0:1]
	s_or_b64 exec, exec, s[8:9]
	s_and_saveexec_b64 s[8:9], s[6:7]
	s_cbranch_execnz .LBB256_787
	s_branch .LBB256_788
.LBB256_1048:                           ;   in Loop: Header=BB256_552 Depth=1
	v_cmp_eq_u16_sdwa s[26:27], v26, s20 src0_sel:BYTE_0 src1_sel:DWORD
	s_mov_b64 s[0:1], -1
                                        ; implicit-def: $sgpr18
	s_and_saveexec_b64 s[8:9], s[26:27]
; %bb.1049:                             ;   in Loop: Header=BB256_552 Depth=1
	s_mov_b32 s18, 0x7fc02000
	s_xor_b64 s[0:1], exec, -1
; %bb.1050:                             ;   in Loop: Header=BB256_552 Depth=1
	s_or_b64 exec, exec, s[8:9]
	s_and_b64 s[0:1], s[0:1], exec
	s_or_saveexec_b64 s[6:7], s[6:7]
	v_mov_b32_e32 v28, s18
	s_xor_b64 exec, exec, s[6:7]
	s_cbranch_execz .LBB256_792
.LBB256_1051:                           ;   in Loop: Header=BB256_552 Depth=1
	v_cmp_ne_u16_sdwa s[8:9], v26, v7 src0_sel:BYTE_0 src1_sel:DWORD
	s_andn2_b64 s[0:1], s[0:1], exec
	s_and_b64 s[8:9], s[8:9], exec
	v_mov_b32_e32 v28, 0
	s_or_b64 s[0:1], s[0:1], s[8:9]
	s_or_b64 exec, exec, s[6:7]
	s_and_saveexec_b64 s[6:7], s[0:1]
	s_cbranch_execnz .LBB256_793
	s_branch .LBB256_794
.LBB256_1052:                           ;   in Loop: Header=BB256_552 Depth=1
	v_cmp_eq_u16_e64 s[0:1], s20, v6
	s_mov_b64 s[6:7], -1
                                        ; implicit-def: $sgpr26
	s_and_saveexec_b64 s[18:19], s[0:1]
; %bb.1053:                             ;   in Loop: Header=BB256_552 Depth=1
	s_mov_b32 s26, 0x7fc02000
	s_xor_b64 s[6:7], exec, -1
; %bb.1054:                             ;   in Loop: Header=BB256_552 Depth=1
	s_or_b64 exec, exec, s[18:19]
	s_and_b64 s[6:7], s[6:7], exec
	s_or_saveexec_b64 s[8:9], s[8:9]
	v_mov_b32_e32 v30, s26
	s_xor_b64 exec, exec, s[8:9]
	s_cbranch_execz .LBB256_796
.LBB256_1055:                           ;   in Loop: Header=BB256_552 Depth=1
	v_cmp_ne_u16_e64 s[0:1], 0, v6
	s_andn2_b64 s[6:7], s[6:7], exec
	s_and_b64 s[0:1], s[0:1], exec
	v_mov_b32_e32 v30, 0
	s_or_b64 s[6:7], s[6:7], s[0:1]
	s_or_b64 exec, exec, s[8:9]
	s_and_saveexec_b64 s[8:9], s[6:7]
	s_cbranch_execnz .LBB256_797
	s_branch .LBB256_798
.LBB256_1056:                           ;   in Loop: Header=BB256_552 Depth=1
	v_cmp_eq_u16_sdwa s[26:27], v6, s20 src0_sel:BYTE_0 src1_sel:DWORD
	s_mov_b64 s[0:1], -1
                                        ; implicit-def: $sgpr18
	s_and_saveexec_b64 s[8:9], s[26:27]
; %bb.1057:                             ;   in Loop: Header=BB256_552 Depth=1
	s_mov_b32 s18, 0x7fc02000
	s_xor_b64 s[0:1], exec, -1
; %bb.1058:                             ;   in Loop: Header=BB256_552 Depth=1
	s_or_b64 exec, exec, s[8:9]
	s_and_b64 s[0:1], s[0:1], exec
	s_or_saveexec_b64 s[6:7], s[6:7]
	v_mov_b32_e32 v29, s18
	s_xor_b64 exec, exec, s[6:7]
	s_cbranch_execz .LBB256_800
.LBB256_1059:                           ;   in Loop: Header=BB256_552 Depth=1
	v_cmp_ne_u16_sdwa s[8:9], v6, v7 src0_sel:BYTE_0 src1_sel:DWORD
	s_andn2_b64 s[0:1], s[0:1], exec
	s_and_b64 s[8:9], s[8:9], exec
	v_mov_b32_e32 v29, 0
	s_or_b64 s[0:1], s[0:1], s[8:9]
	s_or_b64 exec, exec, s[6:7]
	s_and_saveexec_b64 s[6:7], s[0:1]
	s_cbranch_execnz .LBB256_801
	s_branch .LBB256_802
.LBB256_1060:                           ;   in Loop: Header=BB256_552 Depth=1
	v_cmp_eq_u16_e64 s[0:1], s20, v6
	s_mov_b64 s[6:7], -1
                                        ; implicit-def: $sgpr26
	s_and_saveexec_b64 s[18:19], s[0:1]
; %bb.1061:                             ;   in Loop: Header=BB256_552 Depth=1
	s_mov_b32 s26, 0x7fc02000
	s_xor_b64 s[6:7], exec, -1
; %bb.1062:                             ;   in Loop: Header=BB256_552 Depth=1
	s_or_b64 exec, exec, s[18:19]
	s_and_b64 s[6:7], s[6:7], exec
	s_or_saveexec_b64 s[8:9], s[8:9]
	v_mov_b32_e32 v31, s26
	s_xor_b64 exec, exec, s[8:9]
	s_cbranch_execz .LBB256_804
.LBB256_1063:                           ;   in Loop: Header=BB256_552 Depth=1
	v_cmp_ne_u16_e64 s[0:1], 0, v6
	s_andn2_b64 s[6:7], s[6:7], exec
	s_and_b64 s[0:1], s[0:1], exec
	v_mov_b32_e32 v31, 0
	s_or_b64 s[6:7], s[6:7], s[0:1]
	s_or_b64 exec, exec, s[8:9]
	s_and_saveexec_b64 s[8:9], s[6:7]
	s_cbranch_execnz .LBB256_805
	s_branch .LBB256_806
.LBB256_1064:                           ;   in Loop: Header=BB256_552 Depth=1
	v_cmp_eq_u16_sdwa s[26:27], v27, s20 src0_sel:BYTE_0 src1_sel:DWORD
	s_mov_b64 s[0:1], -1
                                        ; implicit-def: $sgpr18
	s_and_saveexec_b64 s[8:9], s[26:27]
; %bb.1065:                             ;   in Loop: Header=BB256_552 Depth=1
	s_mov_b32 s18, 0x7fc02000
	s_xor_b64 s[0:1], exec, -1
; %bb.1066:                             ;   in Loop: Header=BB256_552 Depth=1
	s_or_b64 exec, exec, s[8:9]
	s_and_b64 s[0:1], s[0:1], exec
	s_or_saveexec_b64 s[6:7], s[6:7]
	v_mov_b32_e32 v11, s18
	s_xor_b64 exec, exec, s[6:7]
	s_cbranch_execz .LBB256_808
.LBB256_1067:                           ;   in Loop: Header=BB256_552 Depth=1
	v_cmp_ne_u16_sdwa s[8:9], v27, v7 src0_sel:BYTE_0 src1_sel:DWORD
	s_andn2_b64 s[0:1], s[0:1], exec
	s_and_b64 s[8:9], s[8:9], exec
	v_mov_b32_e32 v11, 0
	s_or_b64 s[0:1], s[0:1], s[8:9]
	s_or_b64 exec, exec, s[6:7]
	v_mov_b32_e32 v6, v27
	s_and_saveexec_b64 s[6:7], s[0:1]
	s_cbranch_execnz .LBB256_809
	s_branch .LBB256_810
.LBB256_1068:                           ;   in Loop: Header=BB256_552 Depth=1
	v_cmp_eq_u16_e64 s[0:1], s20, v6
	s_mov_b64 s[6:7], -1
                                        ; implicit-def: $sgpr26
	s_and_saveexec_b64 s[18:19], s[0:1]
; %bb.1069:                             ;   in Loop: Header=BB256_552 Depth=1
	s_mov_b32 s26, 0x7fc02000
	s_xor_b64 s[6:7], exec, -1
; %bb.1070:                             ;   in Loop: Header=BB256_552 Depth=1
	s_or_b64 exec, exec, s[18:19]
	s_and_b64 s[6:7], s[6:7], exec
	s_or_saveexec_b64 s[8:9], s[8:9]
	v_mov_b32_e32 v26, s26
	s_xor_b64 exec, exec, s[8:9]
	s_cbranch_execz .LBB256_812
.LBB256_1071:                           ;   in Loop: Header=BB256_552 Depth=1
	v_cmp_ne_u16_e64 s[0:1], 0, v6
	s_andn2_b64 s[6:7], s[6:7], exec
	s_and_b64 s[0:1], s[0:1], exec
	v_mov_b32_e32 v26, 0
	s_or_b64 s[6:7], s[6:7], s[0:1]
	s_or_b64 exec, exec, s[8:9]
	s_and_saveexec_b64 s[8:9], s[6:7]
	s_cbranch_execnz .LBB256_813
	s_branch .LBB256_814
.LBB256_1072:                           ;   in Loop: Header=BB256_552 Depth=1
	v_cmp_eq_u16_sdwa s[26:27], v6, s20 src0_sel:BYTE_0 src1_sel:DWORD
	s_mov_b64 s[0:1], -1
                                        ; implicit-def: $sgpr18
	s_and_saveexec_b64 s[8:9], s[26:27]
; %bb.1073:                             ;   in Loop: Header=BB256_552 Depth=1
	s_mov_b32 s18, 0x7fc02000
	s_xor_b64 s[0:1], exec, -1
; %bb.1074:                             ;   in Loop: Header=BB256_552 Depth=1
	s_or_b64 exec, exec, s[8:9]
	s_and_b64 s[0:1], s[0:1], exec
	s_or_saveexec_b64 s[6:7], s[6:7]
	v_mov_b32_e32 v32, s18
	s_xor_b64 exec, exec, s[6:7]
	s_cbranch_execz .LBB256_816
.LBB256_1075:                           ;   in Loop: Header=BB256_552 Depth=1
	v_cmp_ne_u16_sdwa s[8:9], v6, v7 src0_sel:BYTE_0 src1_sel:DWORD
	s_andn2_b64 s[0:1], s[0:1], exec
	s_and_b64 s[8:9], s[8:9], exec
	v_mov_b32_e32 v32, 0
	s_or_b64 s[0:1], s[0:1], s[8:9]
	s_or_b64 exec, exec, s[6:7]
	s_and_saveexec_b64 s[6:7], s[0:1]
	s_cbranch_execnz .LBB256_817
	s_branch .LBB256_818
.LBB256_1076:                           ;   in Loop: Header=BB256_552 Depth=1
	v_cmp_eq_u16_e64 s[0:1], s20, v6
	s_mov_b64 s[6:7], -1
                                        ; implicit-def: $sgpr26
	s_and_saveexec_b64 s[18:19], s[0:1]
; %bb.1077:                             ;   in Loop: Header=BB256_552 Depth=1
	s_mov_b32 s26, 0x7fc02000
	s_xor_b64 s[6:7], exec, -1
; %bb.1078:                             ;   in Loop: Header=BB256_552 Depth=1
	s_or_b64 exec, exec, s[18:19]
	s_and_b64 s[6:7], s[6:7], exec
	s_or_saveexec_b64 s[8:9], s[8:9]
	v_mov_b32_e32 v33, s26
	s_xor_b64 exec, exec, s[8:9]
	s_cbranch_execz .LBB256_820
.LBB256_1079:                           ;   in Loop: Header=BB256_552 Depth=1
	v_cmp_ne_u16_e64 s[0:1], 0, v6
	s_andn2_b64 s[6:7], s[6:7], exec
	s_and_b64 s[0:1], s[0:1], exec
	v_mov_b32_e32 v33, 0
	s_or_b64 s[6:7], s[6:7], s[0:1]
	s_or_b64 exec, exec, s[8:9]
	s_and_saveexec_b64 s[8:9], s[6:7]
	s_cbranch_execnz .LBB256_821
	s_branch .LBB256_822
.LBB256_1080:
	s_or_b64 exec, exec, s[4:5]
	v_accvgpr_read_b32 v18, a2
.LBB256_1081:
	s_or_b64 exec, exec, s[2:3]
	ds_bpermute_b32 v0, v35, v24
	ds_bpermute_b32 v1, v35, v25
	;; [unrolled: 1-line block ×8, first 2 shown]
	s_waitcnt lgkmcnt(6)
	v_pk_add_f32 v[12:13], v[24:25], v[0:1]
	v_and_b32_e32 v0, 0x3c1, v18
	s_waitcnt lgkmcnt(4)
	v_pk_add_f32 v[10:11], v[20:21], v[2:3]
	s_waitcnt lgkmcnt(2)
	v_pk_add_f32 v[6:7], v[16:17], v[6:7]
	;; [unrolled: 2-line block ×3, first 2 shown]
	v_cmp_eq_u32_e32 vcc, 64, v0
	s_barrier
	s_and_saveexec_b64 s[0:1], vcc
	s_cbranch_execz .LBB256_1083
; %bb.1082:
	s_ashr_i32 s17, s16, 31
	s_lshl_b64 s[2:3], s[16:17], 2
	s_getpc_b64 s[4:5]
	s_add_u32 s4, s4, llvm.amdgcn.dynlds.offset.table@rel32@lo+4
	s_addc_u32 s5, s5, llvm.amdgcn.dynlds.offset.table@rel32@hi+12
	s_add_u32 s2, s2, s4
	s_addc_u32 s3, s3, s5
	s_load_dword s2, s[2:3], 0x0
	s_waitcnt lgkmcnt(0)
	v_lshl_add_u32 v1, v19, 1, s2
	ds_write2_b32 v1, v12, v13 offset1:32
	ds_write2_b32 v1, v10, v11 offset0:64 offset1:96
	ds_write2_b32 v1, v6, v7 offset0:128 offset1:160
	ds_write2_b32 v1, v2, v3 offset0:192 offset1:224
.LBB256_1083:
	s_or_b64 exec, exec, s[0:1]
	v_cmp_gt_u32_e32 vcc, 64, v18
	s_waitcnt lgkmcnt(0)
	s_barrier
	s_and_saveexec_b64 s[0:1], vcc
	s_cbranch_execz .LBB256_1094
; %bb.1084:
	v_cmp_eq_u32_e32 vcc, 0, v36
	v_lshrrev_b32_e32 v1, 1, v18
	s_and_saveexec_b64 s[2:3], vcc
	s_cbranch_execnz .LBB256_1097
; %bb.1085:
	s_or_b64 exec, exec, s[2:3]
	s_and_saveexec_b64 s[2:3], vcc
	s_cbranch_execnz .LBB256_1098
.LBB256_1086:
	s_or_b64 exec, exec, s[2:3]
	s_and_saveexec_b64 s[2:3], vcc
	s_cbranch_execnz .LBB256_1099
.LBB256_1087:
	s_or_b64 exec, exec, s[2:3]
	s_and_saveexec_b64 s[2:3], vcc
	s_cbranch_execnz .LBB256_1100
.LBB256_1088:
	s_or_b64 exec, exec, s[2:3]
	s_and_saveexec_b64 s[2:3], vcc
	s_cbranch_execnz .LBB256_1101
.LBB256_1089:
	s_or_b64 exec, exec, s[2:3]
	s_and_saveexec_b64 s[2:3], vcc
	s_cbranch_execnz .LBB256_1102
.LBB256_1090:
	s_or_b64 exec, exec, s[2:3]
	s_and_saveexec_b64 s[2:3], vcc
	s_cbranch_execnz .LBB256_1103
.LBB256_1091:
	s_or_b64 exec, exec, s[2:3]
	s_and_saveexec_b64 s[2:3], vcc
	s_cbranch_execz .LBB256_1093
.LBB256_1092:
	s_ashr_i32 s17, s16, 31
	s_lshl_b64 s[4:5], s[16:17], 2
	s_getpc_b64 s[6:7]
	s_add_u32 s6, s6, llvm.amdgcn.dynlds.offset.table@rel32@lo+4
	s_addc_u32 s7, s7, llvm.amdgcn.dynlds.offset.table@rel32@hi+12
	s_add_u32 s4, s4, s6
	s_addc_u32 s5, s5, s7
	s_load_dword s4, s[4:5], 0x0
	s_waitcnt lgkmcnt(0)
	v_lshl_add_u32 v1, v1, 2, s4
	ds_read_b32 v1, v1 offset:896
	s_waitcnt lgkmcnt(0)
	v_add_f32_e32 v3, v3, v1
.LBB256_1093:
	s_or_b64 exec, exec, s[2:3]
.LBB256_1094:
	s_or_b64 exec, exec, s[0:1]
	v_cmp_eq_u32_e32 vcc, 0, v0
	s_barrier
	s_and_saveexec_b64 s[0:1], vcc
	s_cbranch_execz .LBB256_1096
; %bb.1095:
	v_cmp_ne_u16_e64 s[2:3], s15, 0
	s_cmp_lg_u64 s[2:3], 0
	s_addc_u32 s4, s13, 0
	s_mul_i32 s2, s10, s4
	s_mul_i32 s2, s2, s11
	s_lshl_b32 s2, s2, 8
	s_mul_i32 s4, s12, s4
	s_lshl_b32 s6, s14, 8
	s_ashr_i32 s3, s2, 31
	s_ashr_i32 s5, s4, 31
	;; [unrolled: 1-line block ×3, first 2 shown]
	s_lshl_b64 s[2:3], s[2:3], 1
	s_lshl_b64 s[4:5], s[4:5], 1
	;; [unrolled: 1-line block ×3, first 2 shown]
	s_add_u32 s4, s6, s4
	s_addc_u32 s5, s7, s5
	s_add_u32 s2, s4, s2
	v_accvgpr_read_b32 v0, a0
	s_addc_u32 s3, s5, s3
	v_accvgpr_read_b32 v1, a1
	v_lshl_add_u64 v[0:1], s[2:3], 0, v[0:1]
	v_mov_b32_e32 v19, 0
	v_lshl_add_u64 v[0:1], v[0:1], 0, v[18:19]
	;;#ASMSTART
	v_cvt_f16_f32 v4, v12;

	;;#ASMEND
	flat_store_short v[0:1], v4
	;;#ASMSTART
	v_cvt_f16_f32 v4, v13;

	;;#ASMEND
	flat_store_short v[0:1], v4 offset:64
	;;#ASMSTART
	v_cvt_f16_f32 v4, v10;

	;;#ASMEND
	flat_store_short v[0:1], v4 offset:128
	;; [unrolled: 5-line block ×7, first 2 shown]
.LBB256_1096:
	s_or_b64 exec, exec, s[0:1]
	scratch_load_dword a43, off, s32        ; 4-byte Folded Reload
	scratch_load_dword a42, off, s32 offset:4 ; 4-byte Folded Reload
	scratch_load_dword a41, off, s32 offset:8 ; 4-byte Folded Reload
	;; [unrolled: 1-line block ×27, first 2 shown]
	s_waitcnt vmcnt(0) lgkmcnt(0)
	s_setpc_b64 s[30:31]
.LBB256_1097:
	s_ashr_i32 s17, s16, 31
	s_lshl_b64 s[4:5], s[16:17], 2
	s_getpc_b64 s[6:7]
	s_add_u32 s6, s6, llvm.amdgcn.dynlds.offset.table@rel32@lo+4
	s_addc_u32 s7, s7, llvm.amdgcn.dynlds.offset.table@rel32@hi+12
	s_add_u32 s4, s4, s6
	s_addc_u32 s5, s5, s7
	s_load_dword s4, s[4:5], 0x0
	s_waitcnt lgkmcnt(0)
	v_lshl_add_u32 v4, v1, 2, s4
	ds_read_b32 v4, v4
	s_waitcnt lgkmcnt(0)
	v_add_f32_e32 v12, v12, v4
	s_or_b64 exec, exec, s[2:3]
	s_and_saveexec_b64 s[2:3], vcc
	s_cbranch_execz .LBB256_1086
.LBB256_1098:
	s_ashr_i32 s17, s16, 31
	s_lshl_b64 s[4:5], s[16:17], 2
	s_getpc_b64 s[6:7]
	s_add_u32 s6, s6, llvm.amdgcn.dynlds.offset.table@rel32@lo+4
	s_addc_u32 s7, s7, llvm.amdgcn.dynlds.offset.table@rel32@hi+12
	s_add_u32 s4, s4, s6
	s_addc_u32 s5, s5, s7
	s_load_dword s4, s[4:5], 0x0
	s_waitcnt lgkmcnt(0)
	v_lshl_add_u32 v4, v1, 2, s4
	ds_read_b32 v4, v4 offset:128
	s_waitcnt lgkmcnt(0)
	v_add_f32_e32 v13, v13, v4
	s_or_b64 exec, exec, s[2:3]
	s_and_saveexec_b64 s[2:3], vcc
	s_cbranch_execz .LBB256_1087
.LBB256_1099:
	s_ashr_i32 s17, s16, 31
	s_lshl_b64 s[4:5], s[16:17], 2
	s_getpc_b64 s[6:7]
	s_add_u32 s6, s6, llvm.amdgcn.dynlds.offset.table@rel32@lo+4
	s_addc_u32 s7, s7, llvm.amdgcn.dynlds.offset.table@rel32@hi+12
	s_add_u32 s4, s4, s6
	s_addc_u32 s5, s5, s7
	s_load_dword s4, s[4:5], 0x0
	s_waitcnt lgkmcnt(0)
	v_lshl_add_u32 v4, v1, 2, s4
	ds_read_b32 v4, v4 offset:256
	s_waitcnt lgkmcnt(0)
	v_add_f32_e32 v10, v10, v4
	s_or_b64 exec, exec, s[2:3]
	s_and_saveexec_b64 s[2:3], vcc
	s_cbranch_execz .LBB256_1088
.LBB256_1100:
	s_ashr_i32 s17, s16, 31
	s_lshl_b64 s[4:5], s[16:17], 2
	s_getpc_b64 s[6:7]
	s_add_u32 s6, s6, llvm.amdgcn.dynlds.offset.table@rel32@lo+4
	s_addc_u32 s7, s7, llvm.amdgcn.dynlds.offset.table@rel32@hi+12
	s_add_u32 s4, s4, s6
	s_addc_u32 s5, s5, s7
	s_load_dword s4, s[4:5], 0x0
	s_waitcnt lgkmcnt(0)
	v_lshl_add_u32 v4, v1, 2, s4
	ds_read_b32 v4, v4 offset:384
	s_waitcnt lgkmcnt(0)
	v_add_f32_e32 v11, v11, v4
	s_or_b64 exec, exec, s[2:3]
	s_and_saveexec_b64 s[2:3], vcc
	s_cbranch_execz .LBB256_1089
.LBB256_1101:
	s_ashr_i32 s17, s16, 31
	s_lshl_b64 s[4:5], s[16:17], 2
	s_getpc_b64 s[6:7]
	s_add_u32 s6, s6, llvm.amdgcn.dynlds.offset.table@rel32@lo+4
	s_addc_u32 s7, s7, llvm.amdgcn.dynlds.offset.table@rel32@hi+12
	s_add_u32 s4, s4, s6
	s_addc_u32 s5, s5, s7
	s_load_dword s4, s[4:5], 0x0
	s_waitcnt lgkmcnt(0)
	v_lshl_add_u32 v4, v1, 2, s4
	ds_read_b32 v4, v4 offset:512
	s_waitcnt lgkmcnt(0)
	v_add_f32_e32 v6, v6, v4
	s_or_b64 exec, exec, s[2:3]
	s_and_saveexec_b64 s[2:3], vcc
	s_cbranch_execz .LBB256_1090
.LBB256_1102:
	s_ashr_i32 s17, s16, 31
	s_lshl_b64 s[4:5], s[16:17], 2
	s_getpc_b64 s[6:7]
	s_add_u32 s6, s6, llvm.amdgcn.dynlds.offset.table@rel32@lo+4
	s_addc_u32 s7, s7, llvm.amdgcn.dynlds.offset.table@rel32@hi+12
	s_add_u32 s4, s4, s6
	s_addc_u32 s5, s5, s7
	s_load_dword s4, s[4:5], 0x0
	s_waitcnt lgkmcnt(0)
	v_lshl_add_u32 v4, v1, 2, s4
	ds_read_b32 v4, v4 offset:640
	s_waitcnt lgkmcnt(0)
	v_add_f32_e32 v7, v7, v4
	s_or_b64 exec, exec, s[2:3]
	s_and_saveexec_b64 s[2:3], vcc
	s_cbranch_execz .LBB256_1091
.LBB256_1103:
	s_ashr_i32 s17, s16, 31
	s_lshl_b64 s[4:5], s[16:17], 2
	s_getpc_b64 s[6:7]
	s_add_u32 s6, s6, llvm.amdgcn.dynlds.offset.table@rel32@lo+4
	s_addc_u32 s7, s7, llvm.amdgcn.dynlds.offset.table@rel32@hi+12
	s_add_u32 s4, s4, s6
	s_addc_u32 s5, s5, s7
	s_load_dword s4, s[4:5], 0x0
	s_waitcnt lgkmcnt(0)
	v_lshl_add_u32 v4, v1, 2, s4
	ds_read_b32 v4, v4 offset:768
	s_waitcnt lgkmcnt(0)
	v_add_f32_e32 v2, v2, v4
	s_or_b64 exec, exec, s[2:3]
	s_and_saveexec_b64 s[2:3], vcc
	s_cbranch_execnz .LBB256_1092
	s_branch .LBB256_1093
.Lfunc_end256:
	.size	_ZN4vllm22paged_attention_kernelIthLi256ELi16ELi128ELNS_18Fp8KVCacheDataTypeE1ELb0ELi0EEEvPfS2_PT_PKS3_PKT0_S9_ifPKiSB_iPKfiiiSD_SD_iiiii, .Lfunc_end256-_ZN4vllm22paged_attention_kernelIthLi256ELi16ELi128ELNS_18Fp8KVCacheDataTypeE1ELb0ELi0EEEvPfS2_PT_PKS3_PKT0_S9_ifPKiSB_iPKfiiiSD_SD_iiiii
                                        ; -- End function
	.section	.AMDGPU.csdata,"",@progbits
; Function info:
; codeLenInByte = 45404
; NumSgprs: 39
; NumVgprs: 64
; NumAgprs: 44
; TotalNumVgprs: 108
; ScratchSize: 128
; MemoryBound: 0
	.section	.text._ZN4vllm25paged_attention_v1_kernelIthLi256ELi16ELi128ELNS_18Fp8KVCacheDataTypeE1ELb0EEEvPT_PKS2_PKT0_S8_ifPKiSA_iPKfiiiSC_SC_iiiii,"axG",@progbits,_ZN4vllm25paged_attention_v1_kernelIthLi256ELi16ELi128ELNS_18Fp8KVCacheDataTypeE1ELb0EEEvPT_PKS2_PKT0_S8_ifPKiSA_iPKfiiiSC_SC_iiiii,comdat
	.protected	_ZN4vllm25paged_attention_v1_kernelIthLi256ELi16ELi128ELNS_18Fp8KVCacheDataTypeE1ELb0EEEvPT_PKS2_PKT0_S8_ifPKiSA_iPKfiiiSC_SC_iiiii ; -- Begin function _ZN4vllm25paged_attention_v1_kernelIthLi256ELi16ELi128ELNS_18Fp8KVCacheDataTypeE1ELb0EEEvPT_PKS2_PKT0_S8_ifPKiSA_iPKfiiiSC_SC_iiiii
	.globl	_ZN4vllm25paged_attention_v1_kernelIthLi256ELi16ELi128ELNS_18Fp8KVCacheDataTypeE1ELb0EEEvPT_PKS2_PKT0_S8_ifPKiSA_iPKfiiiSC_SC_iiiii
	.p2align	8
	.type	_ZN4vllm25paged_attention_v1_kernelIthLi256ELi16ELi128ELNS_18Fp8KVCacheDataTypeE1ELb0EEEvPT_PKS2_PKT0_S8_ifPKiSA_iPKfiiiSC_SC_iiiii,@function
_ZN4vllm25paged_attention_v1_kernelIthLi256ELi16ELi128ELNS_18Fp8KVCacheDataTypeE1ELb0EEEvPT_PKS2_PKT0_S8_ifPKiSA_iPKfiiiSC_SC_iiiii: ; @_ZN4vllm25paged_attention_v1_kernelIthLi256ELi16ELi128ELNS_18Fp8KVCacheDataTypeE1ELb0EEEvPT_PKS2_PKT0_S8_ifPKiSA_iPKfiiiSC_SC_iiiii
; %bb.0:
	s_load_dwordx8 s[16:23], s[0:1], 0x0
	s_load_dwordx4 s[36:39], s[0:1], 0x20
	s_load_dwordx2 s[6:7], s[0:1], 0x30
	s_load_dword s5, s[0:1], 0x38
	s_load_dwordx2 s[10:11], s[0:1], 0x40
	s_load_dwordx8 s[24:31], s[0:1], 0x48
	s_add_u32 s8, s0, 0x80
	s_addc_u32 s9, s1, 0
	s_mov_b32 s12, s2
	s_mov_b32 s13, s3
	;; [unrolled: 1-line block ×4, first 2 shown]
	v_mov_b32_e32 v31, v0
	s_waitcnt lgkmcnt(0)
	v_mov_b32_e32 v0, s16
	v_mov_b32_e32 v1, s17
	;; [unrolled: 1-line block ×24, first 2 shown]
	s_mov_b32 s32, 0
	s_getpc_b64 s[0:1]
	s_add_u32 s0, s0, _ZN4vllm22paged_attention_kernelIthLi256ELi16ELi128ELNS_18Fp8KVCacheDataTypeE1ELb0ELi0EEEvPfS2_PT_PKS3_PKT0_S9_ifPKiSB_iPKfiiiSD_SD_iiiii@rel32@lo+4
	s_addc_u32 s1, s1, _ZN4vllm22paged_attention_kernelIthLi256ELi16ELi128ELNS_18Fp8KVCacheDataTypeE1ELb0ELi0EEEvPfS2_PT_PKS3_PKT0_S9_ifPKiSB_iPKfiiiSD_SD_iiiii@rel32@hi+12
	s_swappc_b64 s[30:31], s[0:1]
	s_endpgm
	.section	.rodata,"a",@progbits
	.p2align	6, 0x0
	.amdhsa_kernel _ZN4vllm25paged_attention_v1_kernelIthLi256ELi16ELi128ELNS_18Fp8KVCacheDataTypeE1ELb0EEEvPT_PKS2_PKT0_S8_ifPKiSA_iPKfiiiSC_SC_iiiii
		.amdhsa_group_segment_fixed_size 528
		.amdhsa_private_segment_fixed_size 128
		.amdhsa_kernarg_size 384
		.amdhsa_user_sgpr_count 2
		.amdhsa_user_sgpr_dispatch_ptr 0
		.amdhsa_user_sgpr_queue_ptr 0
		.amdhsa_user_sgpr_kernarg_segment_ptr 1
		.amdhsa_user_sgpr_dispatch_id 0
		.amdhsa_user_sgpr_kernarg_preload_length 0
		.amdhsa_user_sgpr_kernarg_preload_offset 0
		.amdhsa_user_sgpr_private_segment_size 0
		.amdhsa_uses_dynamic_stack 0
		.amdhsa_enable_private_segment 1
		.amdhsa_system_sgpr_workgroup_id_x 1
		.amdhsa_system_sgpr_workgroup_id_y 1
		.amdhsa_system_sgpr_workgroup_id_z 1
		.amdhsa_system_sgpr_workgroup_info 0
		.amdhsa_system_vgpr_workitem_id 0
		.amdhsa_next_free_vgpr 108
		.amdhsa_next_free_sgpr 40
		.amdhsa_accum_offset 64
		.amdhsa_reserve_vcc 1
		.amdhsa_float_round_mode_32 0
		.amdhsa_float_round_mode_16_64 0
		.amdhsa_float_denorm_mode_32 3
		.amdhsa_float_denorm_mode_16_64 3
		.amdhsa_dx10_clamp 1
		.amdhsa_ieee_mode 1
		.amdhsa_fp16_overflow 0
		.amdhsa_tg_split 0
		.amdhsa_exception_fp_ieee_invalid_op 0
		.amdhsa_exception_fp_denorm_src 0
		.amdhsa_exception_fp_ieee_div_zero 0
		.amdhsa_exception_fp_ieee_overflow 0
		.amdhsa_exception_fp_ieee_underflow 0
		.amdhsa_exception_fp_ieee_inexact 0
		.amdhsa_exception_int_div_zero 0
	.end_amdhsa_kernel
	.section	.text._ZN4vllm25paged_attention_v1_kernelIthLi256ELi16ELi128ELNS_18Fp8KVCacheDataTypeE1ELb0EEEvPT_PKS2_PKT0_S8_ifPKiSA_iPKfiiiSC_SC_iiiii,"axG",@progbits,_ZN4vllm25paged_attention_v1_kernelIthLi256ELi16ELi128ELNS_18Fp8KVCacheDataTypeE1ELb0EEEvPT_PKS2_PKT0_S8_ifPKiSA_iPKfiiiSC_SC_iiiii,comdat
.Lfunc_end257:
	.size	_ZN4vllm25paged_attention_v1_kernelIthLi256ELi16ELi128ELNS_18Fp8KVCacheDataTypeE1ELb0EEEvPT_PKS2_PKT0_S8_ifPKiSA_iPKfiiiSC_SC_iiiii, .Lfunc_end257-_ZN4vllm25paged_attention_v1_kernelIthLi256ELi16ELi128ELNS_18Fp8KVCacheDataTypeE1ELb0EEEvPT_PKS2_PKT0_S8_ifPKiSA_iPKfiiiSC_SC_iiiii
                                        ; -- End function
	.section	.AMDGPU.csdata,"",@progbits
; Kernel info:
; codeLenInByte = 212
; NumSgprs: 46
; NumVgprs: 64
; NumAgprs: 44
; TotalNumVgprs: 108
; ScratchSize: 128
; MemoryBound: 0
; FloatMode: 240
; IeeeMode: 1
; LDSByteSize: 528 bytes/workgroup (compile time only)
; SGPRBlocks: 5
; VGPRBlocks: 13
; NumSGPRsForWavesPerEU: 46
; NumVGPRsForWavesPerEU: 108
; AccumOffset: 64
; Occupancy: 4
; WaveLimiterHint : 1
; COMPUTE_PGM_RSRC2:SCRATCH_EN: 1
; COMPUTE_PGM_RSRC2:USER_SGPR: 2
; COMPUTE_PGM_RSRC2:TRAP_HANDLER: 0
; COMPUTE_PGM_RSRC2:TGID_X_EN: 1
; COMPUTE_PGM_RSRC2:TGID_Y_EN: 1
; COMPUTE_PGM_RSRC2:TGID_Z_EN: 1
; COMPUTE_PGM_RSRC2:TIDIG_COMP_CNT: 0
; COMPUTE_PGM_RSRC3_GFX90A:ACCUM_OFFSET: 15
; COMPUTE_PGM_RSRC3_GFX90A:TG_SPLIT: 0
	.section	.text._ZN4vllm25paged_attention_v1_kernelIthLi32ELi32ELi128ELNS_18Fp8KVCacheDataTypeE1ELb1EEEvPT_PKS2_PKT0_S8_ifPKiSA_iPKfiiiSC_SC_iiiii,"axG",@progbits,_ZN4vllm25paged_attention_v1_kernelIthLi32ELi32ELi128ELNS_18Fp8KVCacheDataTypeE1ELb1EEEvPT_PKS2_PKT0_S8_ifPKiSA_iPKfiiiSC_SC_iiiii,comdat
	.protected	_ZN4vllm25paged_attention_v1_kernelIthLi32ELi32ELi128ELNS_18Fp8KVCacheDataTypeE1ELb1EEEvPT_PKS2_PKT0_S8_ifPKiSA_iPKfiiiSC_SC_iiiii ; -- Begin function _ZN4vllm25paged_attention_v1_kernelIthLi32ELi32ELi128ELNS_18Fp8KVCacheDataTypeE1ELb1EEEvPT_PKS2_PKT0_S8_ifPKiSA_iPKfiiiSC_SC_iiiii
	.globl	_ZN4vllm25paged_attention_v1_kernelIthLi32ELi32ELi128ELNS_18Fp8KVCacheDataTypeE1ELb1EEEvPT_PKS2_PKT0_S8_ifPKiSA_iPKfiiiSC_SC_iiiii
	.p2align	8
	.type	_ZN4vllm25paged_attention_v1_kernelIthLi32ELi32ELi128ELNS_18Fp8KVCacheDataTypeE1ELb1EEEvPT_PKS2_PKT0_S8_ifPKiSA_iPKfiiiSC_SC_iiiii,@function
_ZN4vllm25paged_attention_v1_kernelIthLi32ELi32ELi128ELNS_18Fp8KVCacheDataTypeE1ELb1EEEvPT_PKS2_PKT0_S8_ifPKiSA_iPKfiiiSC_SC_iiiii: ; @_ZN4vllm25paged_attention_v1_kernelIthLi32ELi32ELi128ELNS_18Fp8KVCacheDataTypeE1ELb1EEEvPT_PKS2_PKT0_S8_ifPKiSA_iPKfiiiSC_SC_iiiii
; %bb.0:
	s_load_dword s5, s[0:1], 0x80
	s_load_dwordx2 s[6:7], s[0:1], 0x30
	s_load_dwordx2 s[36:37], s[0:1], 0x20
	s_mov_b32 s10, s3
	s_ashr_i32 s11, s3, 31
	s_lshl_b64 s[8:9], s[10:11], 2
	s_waitcnt lgkmcnt(0)
	s_add_u32 s6, s6, s8
	s_addc_u32 s7, s7, s9
	s_abs_i32 s3, s36
	v_cvt_f32_u32_e32 v1, s3
	s_sub_i32 s11, 0, s3
	s_abs_i32 s9, s5
	s_xor_b32 s8, s5, s36
	v_rcp_iflag_f32_e32 v1, v1
	s_ashr_i32 s8, s8, 31
	s_mov_b32 s48, 0
	v_mul_f32_e32 v1, 0x4f7ffffe, v1
	v_cvt_u32_f32_e32 v1, v1
	s_nop 0
	v_readfirstlane_b32 s12, v1
	s_mul_i32 s11, s11, s12
	s_mul_hi_u32 s11, s12, s11
	s_add_i32 s12, s12, s11
	s_mul_hi_u32 s11, s9, s12
	s_mul_i32 s12, s11, s3
	s_sub_i32 s9, s9, s12
	s_add_i32 s12, s11, 1
	s_sub_i32 s13, s9, s3
	s_cmp_ge_u32 s9, s3
	s_cselect_b32 s11, s12, s11
	s_cselect_b32 s9, s13, s9
	s_add_i32 s12, s11, 1
	s_cmp_ge_u32 s9, s3
	s_cselect_b32 s3, s12, s11
	s_xor_b32 s3, s3, s8
	s_sub_i32 s15, s3, s8
	s_abs_i32 s12, s15
	v_cvt_f32_u32_e32 v1, s12
	s_load_dwordx2 s[8:9], s[0:1], 0x40
	s_sub_i32 s3, 0, s12
	s_abs_i32 s13, s2
	v_rcp_iflag_f32_e32 v1, v1
	s_nop 0
	v_mul_f32_e32 v1, 0x4f7ffffe, v1
	v_cvt_u32_f32_e32 v1, v1
	s_nop 0
	v_readfirstlane_b32 s11, v1
	s_mul_i32 s3, s3, s11
	s_mul_hi_u32 s3, s11, s3
	s_add_i32 s11, s11, s3
	s_waitcnt lgkmcnt(0)
	s_cmp_eq_u64 s[8:9], 0
	s_mul_hi_u32 s14, s13, s11
	s_cbranch_scc1 .LBB258_2
; %bb.1:
	s_ashr_i32 s3, s2, 31
	s_lshl_b64 s[16:17], s[2:3], 2
	s_add_u32 s8, s8, s16
	s_addc_u32 s9, s9, s17
	s_load_dword s48, s[8:9], 0x0
.LBB258_2:
	s_load_dword s11, s[6:7], 0x0
	s_load_dwordx4 s[16:19], s[0:1], 0x48
	s_ashr_i32 s8, s2, 31
	s_ashr_i32 s9, s15, 31
	v_and_b32_e32 v7, 1, v0
	s_lshl_b32 s24, s2, 5
	v_cmp_gt_u32_e32 vcc, 8, v0
	v_lshlrev_b32_e32 v14, 3, v0
	s_and_saveexec_b64 s[6:7], vcc
	s_cbranch_execz .LBB258_4
; %bb.3:
	s_load_dwordx2 s[20:21], s[0:1], 0x8
	s_waitcnt lgkmcnt(0)
	s_mul_i32 s22, s10, s16
	s_ashr_i32 s23, s22, 31
	s_lshl_b64 s[22:23], s[22:23], 1
	v_lshlrev_b32_e32 v1, 2, v0
	s_add_u32 s3, s20, s22
	s_addc_u32 s15, s21, s23
	s_ashr_i32 s25, s24, 31
	s_lshl_b64 s[20:21], s[24:25], 1
	s_add_u32 s20, s3, s20
	s_addc_u32 s21, s15, s21
	global_load_dwordx2 v[2:3], v14, s[20:21]
	v_and_b32_e32 v1, 0xff8, v1
	v_lshl_add_u32 v1, v7, 5, v1
	s_waitcnt vmcnt(0)
	ds_write_b64 v1, v[2:3]
.LBB258_4:
	s_or_b64 exec, exec, s[6:7]
	s_mul_i32 s7, s14, s12
	s_sub_i32 s7, s13, s7
	s_xor_b32 s6, s8, s9
	s_add_i32 s8, s14, 1
	s_sub_i32 s9, s7, s12
	s_load_dwordx4 s[20:23], s[0:1], 0x68
	s_load_dword s3, s[0:1], 0x78
	s_cmp_ge_u32 s7, s12
	s_cselect_b32 s8, s8, s14
	s_cselect_b32 s7, s9, s7
	s_add_i32 s9, s8, 1
	s_cmp_ge_u32 s7, s12
	s_cselect_b32 s7, s9, s8
	s_waitcnt lgkmcnt(0)
	s_abs_i32 s25, s23
	v_cvt_f32_u32_e32 v1, s25
	s_xor_b32 s7, s7, s6
	s_sub_i32 s47, s7, s6
	s_sub_i32 s6, 0, s25
	v_rcp_iflag_f32_e32 v1, v1
	s_add_i32 s12, s11, -1
	s_abs_i32 s8, s12
	v_mul_f32_e32 v1, 0x4f7ffffe, v1
	v_cvt_u32_f32_e32 v1, v1
	s_barrier
	v_readfirstlane_b32 s33, v1
	s_mul_i32 s6, s6, s33
	s_mul_hi_u32 s6, s33, s6
	s_add_i32 s33, s33, s6
	s_cmp_lt_i32 s3, 0
	s_mul_hi_u32 s9, s8, s33
	s_cbranch_scc0 .LBB258_6
; %bb.5:
	s_mul_i32 s6, s20, s36
	s_add_i32 s6, s47, s6
	s_mul_i32 s6, s6, s3
	s_sub_i32 s36, 1, s6
	s_mov_b64 s[6:7], 0
	s_branch .LBB258_7
.LBB258_6:
	s_mov_b64 s[6:7], -1
                                        ; implicit-def: $sgpr36
.LBB258_7:
	s_load_dwordx2 s[28:29], s[0:1], 0x28
	s_ashr_i32 s16, s12, 31
	s_andn2_b64 vcc, exec, s[6:7]
	s_ashr_i32 s23, s23, 31
	s_cbranch_vccnz .LBB258_9
; %bb.8:
	s_mul_i32 s6, s5, s20
	s_add_i32 s2, s6, s2
	s_mul_i32 s2, s2, s3
	s_add_i32 s36, s2, 1
.LBB258_9:
	s_load_dword s2, s[0:1], 0x38
	s_load_dwordx2 s[26:27], s[0:1], 0x0
	s_load_dwordx2 s[34:35], s[0:1], 0x18
	s_load_dword s20, s[0:1], 0x88
	s_load_dwordx4 s[12:15], s[0:1], 0x58
	s_mul_i32 s3, s9, s25
	s_waitcnt lgkmcnt(0)
	s_mul_i32 s30, s10, s2
	s_sub_i32 s3, s8, s3
	s_ashr_i32 s31, s30, 31
	s_xor_b32 s2, s16, s23
	s_add_i32 s6, s9, 1
	s_sub_i32 s7, s3, s25
	s_cmp_ge_u32 s3, s25
	s_cselect_b32 s6, s6, s9
	s_cselect_b32 s3, s7, s3
	s_add_i32 s7, s6, 1
	s_cmp_ge_u32 s3, s25
	s_cselect_b32 s3, s7, s6
	s_xor_b32 s3, s3, s2
	s_sub_i32 s16, s3, s2
	s_add_i32 s2, s11, 31
	s_ashr_i32 s3, s2, 31
	s_lshr_b32 s3, s3, 27
	s_add_i32 s2, s2, s3
	s_ashr_i32 s46, s2, 5
	v_lshrrev_b32_e32 v1, 6, v0
	v_cmp_gt_i32_e64 s[6:7], s46, v1
	v_mov_b32_e32 v19, 0xff7fffff
	s_mul_i32 s47, s47, s18
	v_lshrrev_b32_e32 v15, 4, v0
	v_lshlrev_b32_e32 v13, 5, v1
	v_mbcnt_lo_u32_b32 v16, -1, 0
	s_and_saveexec_b64 s[18:19], s[6:7]
	s_cbranch_execz .LBB258_147
; %bb.10:
	s_load_dwordx2 s[0:1], s[0:1], 0x10
	s_sub_i32 s49, s16, s21
	s_ashr_i32 s2, s47, 31
	v_bfe_u32 v17, v0, 1, 5
	v_lshlrev_b32_e32 v2, 4, v17
	s_waitcnt lgkmcnt(0)
	s_add_u32 s0, s0, s47
	s_addc_u32 s1, s1, s2
	s_abs_i32 s50, s22
	v_cvt_f32_u32_e32 v4, s50
	v_mov_b32_e32 v3, 0
	v_cmp_eq_u32_e32 vcc, 0, v7
	s_mov_b32 s51, s17
	v_rcp_iflag_f32_e32 v8, v4
	v_lshl_add_u64 v[4:5], s[0:1], 0, v[2:3]
	s_sub_i32 s0, 0, s50
	v_lshlrev_b32_e32 v6, 2, v7
	v_mul_f32_e32 v2, 0x4f7ffffe, v8
	v_cvt_u32_f32_e32 v2, v2
	v_lshlrev_b32_e32 v18, 5, v7
	v_cmp_neq_f32_e64 s[2:3], s48, 0
	v_mov_b32_e32 v7, v3
	v_mul_lo_u32 v8, s0, v2
	s_lshl_b64 s[0:1], s[30:31], 2
	v_mul_hi_u32 v8, v2, v8
	s_add_u32 s0, s28, s0
	v_add_u32_e32 v20, v2, v8
	v_and_b32_e32 v2, 60, v15
	s_addc_u32 s1, s29, s1
	v_lshl_add_u64 v[8:9], s[0:1], 0, v[2:3]
	v_lshlrev_b32_e32 v2, 2, v17
	v_lshl_or_b32 v2, v1, 7, v2
	v_add_u32_e32 v22, 0x50, v2
	v_subrev_u32_e32 v2, s11, v17
	v_lshlrev_b32_e32 v21, 5, v1
	v_add_u32_e32 v23, 1, v2
	s_mov_b64 s[38:39], 0
	v_mov_b32_e32 v24, 0xff7fffff
	s_movk_i32 s52, 0x7f
	s_movk_i32 s53, 0x80
	s_mov_b32 s54, 0x8000
	v_mov_b32_e32 v25, 0x1c00
	v_mbcnt_hi_u32_b32 v26, -1, v16
	v_mov_b32_e32 v19, 0xff7fffff
	v_mov_b32_e32 v27, v1
	s_branch .LBB258_13
.LBB258_11:                             ;   in Loop: Header=BB258_13 Depth=1
	s_or_b64 exec, exec, s[40:41]
.LBB258_12:                             ;   in Loop: Header=BB258_13 Depth=1
	s_or_b64 exec, exec, s[8:9]
	v_add_u32_e32 v27, 2, v27
	v_cmp_le_i32_e64 s[0:1], s46, v27
	v_lshl_add_u64 v[8:9], v[8:9], 0, 8
	v_add_u32_e32 v21, 64, v21
	s_or_b64 s[38:39], s[0:1], s[38:39]
	v_add_u32_e32 v22, 0x100, v22
	s_andn2_b64 exec, exec, s[38:39]
	s_cbranch_execz .LBB258_146
.LBB258_13:                             ; =>This Inner Loop Header: Depth=1
	v_mul_hi_u32 v2, v21, s33
	s_waitcnt lgkmcnt(0)
	v_mul_lo_u32 v10, v2, s25
	v_sub_u32_e32 v10, v21, v10
	v_add_u32_e32 v11, 1, v2
	v_cmp_le_u32_e64 s[0:1], s25, v10
	s_nop 1
	v_cndmask_b32_e64 v2, v2, v11, s[0:1]
	v_subrev_u32_e32 v11, s25, v10
	v_cndmask_b32_e64 v10, v10, v11, s[0:1]
	v_add_u32_e32 v11, 1, v2
	v_cmp_le_u32_e64 s[0:1], s25, v10
	s_nop 1
	v_cndmask_b32_e64 v2, v2, v11, s[0:1]
	v_xor_b32_e32 v2, s23, v2
	v_subrev_u32_e32 v2, s23, v2
	v_add_u32_e32 v10, s36, v2
	v_sub_u32_e32 v12, 0, v10
	v_ashrrev_i32_e32 v11, 31, v10
	v_max_i32_e32 v10, v10, v12
	v_mul_hi_u32 v12, v10, v20
	v_mul_lo_u32 v12, v12, s50
	v_sub_u32_e32 v10, v10, v12
	v_subrev_u32_e32 v12, s50, v10
	v_cmp_le_u32_e64 s[0:1], s50, v10
	v_cmp_ge_i32_e64 s[8:9], s49, v2
	s_nop 0
	v_cndmask_b32_e64 v10, v10, v12, s[0:1]
	v_subrev_u32_e32 v12, s50, v10
	v_cmp_le_u32_e64 s[0:1], s50, v10
	s_nop 1
	v_cndmask_b32_e64 v10, v10, v12, s[0:1]
	v_xor_b32_e32 v10, v10, v11
	v_sub_u32_e32 v10, v10, v11
	v_cmp_ne_u32_e64 s[0:1], 0, v10
	s_and_b64 s[0:1], s[0:1], s[8:9]
	s_and_b64 s[40:41], vcc, s[0:1]
	s_and_saveexec_b64 s[8:9], s[40:41]
	s_cbranch_execz .LBB258_15
; %bb.14:                               ;   in Loop: Header=BB258_13 Depth=1
	ds_write_b32 v22, v24
.LBB258_15:                             ;   in Loop: Header=BB258_13 Depth=1
	s_or_b64 exec, exec, s[8:9]
	s_xor_b64 s[0:1], s[0:1], -1
	s_and_saveexec_b64 s[8:9], s[0:1]
	s_cbranch_execz .LBB258_12
; %bb.16:                               ;   in Loop: Header=BB258_13 Depth=1
	global_load_dword v2, v[8:9], off
                                        ; implicit-def: $sgpr44
	s_waitcnt vmcnt(0)
	v_mad_i64_i32 v[10:11], s[0:1], v2, s51, v[4:5]
	v_lshl_add_u64 v[10:11], v[10:11], 0, v[6:7]
	global_load_dword v12, v[10:11], off
	global_load_dword v28, v3, s[12:13]
	s_mov_b64 s[0:1], 0
	s_waitcnt vmcnt(1)
	v_cmp_gt_i16_sdwa s[40:41], v12, s52 src0_sel:BYTE_0 src1_sel:DWORD
	s_and_saveexec_b64 s[42:43], s[40:41]
	s_xor_b64 s[40:41], exec, s[42:43]
	s_cbranch_execnz .LBB258_82
; %bb.17:                               ;   in Loop: Header=BB258_13 Depth=1
	s_or_saveexec_b64 s[40:41], s[40:41]
	v_mov_b32_e32 v29, s44
	s_xor_b64 exec, exec, s[40:41]
	s_cbranch_execnz .LBB258_85
.LBB258_18:                             ;   in Loop: Header=BB258_13 Depth=1
	s_or_b64 exec, exec, s[40:41]
	s_and_saveexec_b64 s[40:41], s[0:1]
	s_cbranch_execz .LBB258_20
.LBB258_19:                             ;   in Loop: Header=BB258_13 Depth=1
	v_and_b32_e32 v2, 7, v12
	v_ffbh_u32_e32 v30, v2
	v_min_u32_e32 v32, 32, v30
	v_subrev_u32_e32 v30, 28, v32
	v_bfe_u32 v29, v12, 3, 4
	v_lshlrev_b64 v[30:31], v30, v[12:13]
	v_sub_u32_e32 v31, 29, v32
	v_cmp_eq_u32_e64 s[0:1], 0, v29
	v_and_b32_e32 v30, 7, v30
	s_nop 0
	v_cndmask_b32_e64 v29, v29, v31, s[0:1]
	v_cndmask_b32_e64 v2, v2, v30, s[0:1]
	v_lshlrev_b32_e32 v30, 8, v12
	v_lshl_add_u32 v29, v29, 10, v25
	v_and_or_b32 v29, v30, s54, v29
	v_lshl_or_b32 v2, v2, 7, v29
	v_cvt_f32_f16_e32 v29, v2
.LBB258_20:                             ;   in Loop: Header=BB258_13 Depth=1
	s_or_b64 exec, exec, s[40:41]
	v_lshrrev_b16_e32 v2, 8, v12
	v_cmp_lt_i16_e64 s[0:1], s52, v2
	s_mov_b64 s[40:41], 0
                                        ; implicit-def: $sgpr55
	s_and_saveexec_b64 s[42:43], s[0:1]
	s_xor_b64 s[42:43], exec, s[42:43]
	s_cbranch_execnz .LBB258_86
; %bb.21:                               ;   in Loop: Header=BB258_13 Depth=1
	s_or_saveexec_b64 s[42:43], s[42:43]
	v_mov_b32_e32 v30, s55
	s_xor_b64 exec, exec, s[42:43]
	s_cbranch_execnz .LBB258_89
.LBB258_22:                             ;   in Loop: Header=BB258_13 Depth=1
	s_or_b64 exec, exec, s[42:43]
	s_and_saveexec_b64 s[42:43], s[40:41]
	s_cbranch_execz .LBB258_24
.LBB258_23:                             ;   in Loop: Header=BB258_13 Depth=1
	v_and_b32_e32 v32, 7, v2
	v_ffbh_u32_e32 v30, v32
	v_min_u32_e32 v34, 32, v30
	v_subrev_u32_e32 v30, 28, v34
	v_bfe_u32 v33, v2, 3, 4
	v_lshlrev_b64 v[30:31], v30, v[2:3]
	v_sub_u32_e32 v31, 29, v34
	v_cmp_eq_u32_e64 s[0:1], 0, v33
	v_and_b32_e32 v30, 7, v30
	v_lshlrev_b32_e32 v2, 8, v2
	v_cndmask_b32_e64 v31, v33, v31, s[0:1]
	v_lshl_add_u32 v31, v31, 10, v25
	v_cndmask_b32_e64 v30, v32, v30, s[0:1]
	v_and_or_b32 v2, v2, s54, v31
	v_lshl_or_b32 v2, v30, 7, v2
	v_cvt_f32_f16_e32 v30, v2
.LBB258_24:                             ;   in Loop: Header=BB258_13 Depth=1
	s_or_b64 exec, exec, s[42:43]
	v_lshrrev_b32_e32 v2, 16, v12
	v_cmp_gt_i16_sdwa s[40:41], v2, s52 src0_sel:BYTE_0 src1_sel:DWORD
	s_mov_b64 s[0:1], 0
                                        ; implicit-def: $sgpr44
	s_and_saveexec_b64 s[42:43], s[40:41]
	s_xor_b64 s[40:41], exec, s[42:43]
	s_cbranch_execnz .LBB258_90
; %bb.25:                               ;   in Loop: Header=BB258_13 Depth=1
	s_or_saveexec_b64 s[40:41], s[40:41]
	v_mov_b32_e32 v31, s44
	s_xor_b64 exec, exec, s[40:41]
	s_cbranch_execnz .LBB258_93
.LBB258_26:                             ;   in Loop: Header=BB258_13 Depth=1
	s_or_b64 exec, exec, s[40:41]
	s_and_saveexec_b64 s[40:41], s[0:1]
	s_cbranch_execz .LBB258_28
.LBB258_27:                             ;   in Loop: Header=BB258_13 Depth=1
	v_bfe_u32 v31, v12, 16, 3
	v_ffbh_u32_e32 v32, v31
	v_min_u32_e32 v35, 32, v32
	v_subrev_u32_e32 v32, 28, v35
	v_bfe_u32 v34, v12, 19, 4
	v_lshlrev_b64 v[32:33], v32, v[2:3]
	v_sub_u32_e32 v33, 29, v35
	v_cmp_eq_u32_e64 s[0:1], 0, v34
	v_and_b32_e32 v32, 7, v32
	v_lshlrev_b32_e32 v2, 8, v2
	v_cndmask_b32_e64 v33, v34, v33, s[0:1]
	v_cndmask_b32_e64 v31, v31, v32, s[0:1]
	v_lshl_add_u32 v32, v33, 10, v25
	v_and_or_b32 v2, v2, s54, v32
	v_lshl_or_b32 v2, v31, 7, v2
	v_cvt_f32_f16_e32 v31, v2
.LBB258_28:                             ;   in Loop: Header=BB258_13 Depth=1
	s_or_b64 exec, exec, s[40:41]
	v_lshrrev_b32_e32 v2, 24, v12
	v_cmp_lt_i16_e64 s[0:1], s52, v2
	s_mov_b64 s[40:41], 0
                                        ; implicit-def: $sgpr55
	s_and_saveexec_b64 s[42:43], s[0:1]
	s_xor_b64 s[42:43], exec, s[42:43]
	s_cbranch_execnz .LBB258_94
; %bb.29:                               ;   in Loop: Header=BB258_13 Depth=1
	s_or_saveexec_b64 s[42:43], s[42:43]
	v_mov_b32_e32 v32, s55
	s_xor_b64 exec, exec, s[42:43]
	s_cbranch_execnz .LBB258_97
.LBB258_30:                             ;   in Loop: Header=BB258_13 Depth=1
	s_or_b64 exec, exec, s[42:43]
	s_and_saveexec_b64 s[42:43], s[40:41]
	s_cbranch_execz .LBB258_32
.LBB258_31:                             ;   in Loop: Header=BB258_13 Depth=1
	v_bfe_u32 v34, v12, 24, 3
	v_ffbh_u32_e32 v32, v34
	v_min_u32_e32 v35, 32, v32
	v_subrev_u32_e32 v32, 28, v35
	v_bfe_u32 v12, v12, 27, 4
	v_lshlrev_b64 v[32:33], v32, v[2:3]
	v_sub_u32_e32 v33, 29, v35
	v_cmp_eq_u32_e64 s[0:1], 0, v12
	v_and_b32_e32 v32, 7, v32
	v_lshlrev_b32_e32 v2, 8, v2
	v_cndmask_b32_e64 v12, v12, v33, s[0:1]
	v_lshl_add_u32 v12, v12, 10, v25
	v_cndmask_b32_e64 v32, v34, v32, s[0:1]
	v_and_or_b32 v2, v2, s54, v12
	v_lshl_or_b32 v2, v32, 7, v2
	v_cvt_f32_f16_e32 v32, v2
.LBB258_32:                             ;   in Loop: Header=BB258_13 Depth=1
	s_or_b64 exec, exec, s[42:43]
	global_load_dword v12, v[10:11], off offset:8
	s_mov_b64 s[0:1], 0
                                        ; implicit-def: $sgpr44
	s_waitcnt vmcnt(0)
	v_cmp_gt_i16_sdwa s[40:41], v12, s52 src0_sel:BYTE_0 src1_sel:DWORD
	s_and_saveexec_b64 s[42:43], s[40:41]
	s_xor_b64 s[40:41], exec, s[42:43]
	s_cbranch_execnz .LBB258_98
; %bb.33:                               ;   in Loop: Header=BB258_13 Depth=1
	s_or_saveexec_b64 s[40:41], s[40:41]
	v_mov_b32_e32 v33, s44
	s_xor_b64 exec, exec, s[40:41]
	s_cbranch_execnz .LBB258_101
.LBB258_34:                             ;   in Loop: Header=BB258_13 Depth=1
	s_or_b64 exec, exec, s[40:41]
	s_and_saveexec_b64 s[40:41], s[0:1]
	s_cbranch_execz .LBB258_36
.LBB258_35:                             ;   in Loop: Header=BB258_13 Depth=1
	v_and_b32_e32 v2, 7, v12
	v_ffbh_u32_e32 v34, v2
	v_min_u32_e32 v36, 32, v34
	v_subrev_u32_e32 v34, 28, v36
	v_bfe_u32 v33, v12, 3, 4
	v_lshlrev_b64 v[34:35], v34, v[12:13]
	v_sub_u32_e32 v35, 29, v36
	v_cmp_eq_u32_e64 s[0:1], 0, v33
	v_and_b32_e32 v34, 7, v34
	s_nop 0
	v_cndmask_b32_e64 v33, v33, v35, s[0:1]
	v_cndmask_b32_e64 v2, v2, v34, s[0:1]
	v_lshlrev_b32_e32 v34, 8, v12
	v_lshl_add_u32 v33, v33, 10, v25
	v_and_or_b32 v33, v34, s54, v33
	v_lshl_or_b32 v2, v2, 7, v33
	v_cvt_f32_f16_e32 v33, v2
.LBB258_36:                             ;   in Loop: Header=BB258_13 Depth=1
	s_or_b64 exec, exec, s[40:41]
	v_lshrrev_b16_e32 v2, 8, v12
	v_cmp_lt_i16_e64 s[0:1], s52, v2
	s_mov_b64 s[40:41], 0
                                        ; implicit-def: $sgpr55
	s_and_saveexec_b64 s[42:43], s[0:1]
	s_xor_b64 s[42:43], exec, s[42:43]
	s_cbranch_execnz .LBB258_102
; %bb.37:                               ;   in Loop: Header=BB258_13 Depth=1
	s_or_saveexec_b64 s[42:43], s[42:43]
	v_mov_b32_e32 v34, s55
	s_xor_b64 exec, exec, s[42:43]
	s_cbranch_execnz .LBB258_105
.LBB258_38:                             ;   in Loop: Header=BB258_13 Depth=1
	s_or_b64 exec, exec, s[42:43]
	s_and_saveexec_b64 s[42:43], s[40:41]
	s_cbranch_execz .LBB258_40
.LBB258_39:                             ;   in Loop: Header=BB258_13 Depth=1
	v_and_b32_e32 v36, 7, v2
	v_ffbh_u32_e32 v34, v36
	v_min_u32_e32 v38, 32, v34
	v_subrev_u32_e32 v34, 28, v38
	v_bfe_u32 v37, v2, 3, 4
	v_lshlrev_b64 v[34:35], v34, v[2:3]
	v_sub_u32_e32 v35, 29, v38
	v_cmp_eq_u32_e64 s[0:1], 0, v37
	v_and_b32_e32 v34, 7, v34
	v_lshlrev_b32_e32 v2, 8, v2
	v_cndmask_b32_e64 v35, v37, v35, s[0:1]
	v_lshl_add_u32 v35, v35, 10, v25
	v_cndmask_b32_e64 v34, v36, v34, s[0:1]
	v_and_or_b32 v2, v2, s54, v35
	v_lshl_or_b32 v2, v34, 7, v2
	v_cvt_f32_f16_e32 v34, v2
.LBB258_40:                             ;   in Loop: Header=BB258_13 Depth=1
	s_or_b64 exec, exec, s[42:43]
	v_lshrrev_b32_e32 v2, 16, v12
	v_cmp_gt_i16_sdwa s[40:41], v2, s52 src0_sel:BYTE_0 src1_sel:DWORD
	s_mov_b64 s[0:1], 0
                                        ; implicit-def: $sgpr44
	s_and_saveexec_b64 s[42:43], s[40:41]
	s_xor_b64 s[40:41], exec, s[42:43]
	s_cbranch_execnz .LBB258_106
; %bb.41:                               ;   in Loop: Header=BB258_13 Depth=1
	s_or_saveexec_b64 s[40:41], s[40:41]
	v_mov_b32_e32 v35, s44
	s_xor_b64 exec, exec, s[40:41]
	s_cbranch_execnz .LBB258_109
.LBB258_42:                             ;   in Loop: Header=BB258_13 Depth=1
	s_or_b64 exec, exec, s[40:41]
	s_and_saveexec_b64 s[40:41], s[0:1]
	s_cbranch_execz .LBB258_44
.LBB258_43:                             ;   in Loop: Header=BB258_13 Depth=1
	v_bfe_u32 v35, v12, 16, 3
	v_ffbh_u32_e32 v36, v35
	v_min_u32_e32 v39, 32, v36
	v_subrev_u32_e32 v36, 28, v39
	v_bfe_u32 v38, v12, 19, 4
	v_lshlrev_b64 v[36:37], v36, v[2:3]
	v_sub_u32_e32 v37, 29, v39
	v_cmp_eq_u32_e64 s[0:1], 0, v38
	v_and_b32_e32 v36, 7, v36
	v_lshlrev_b32_e32 v2, 8, v2
	v_cndmask_b32_e64 v37, v38, v37, s[0:1]
	v_cndmask_b32_e64 v35, v35, v36, s[0:1]
	v_lshl_add_u32 v36, v37, 10, v25
	v_and_or_b32 v2, v2, s54, v36
	v_lshl_or_b32 v2, v35, 7, v2
	v_cvt_f32_f16_e32 v35, v2
.LBB258_44:                             ;   in Loop: Header=BB258_13 Depth=1
	s_or_b64 exec, exec, s[40:41]
	v_lshrrev_b32_e32 v2, 24, v12
	v_cmp_lt_i16_e64 s[0:1], s52, v2
	s_mov_b64 s[40:41], 0
                                        ; implicit-def: $sgpr55
	s_and_saveexec_b64 s[42:43], s[0:1]
	s_xor_b64 s[42:43], exec, s[42:43]
	s_cbranch_execnz .LBB258_110
; %bb.45:                               ;   in Loop: Header=BB258_13 Depth=1
	s_or_saveexec_b64 s[42:43], s[42:43]
	v_mov_b32_e32 v36, s55
	s_xor_b64 exec, exec, s[42:43]
	s_cbranch_execnz .LBB258_113
.LBB258_46:                             ;   in Loop: Header=BB258_13 Depth=1
	s_or_b64 exec, exec, s[42:43]
	s_and_saveexec_b64 s[42:43], s[40:41]
	s_cbranch_execz .LBB258_48
.LBB258_47:                             ;   in Loop: Header=BB258_13 Depth=1
	v_bfe_u32 v38, v12, 24, 3
	v_ffbh_u32_e32 v36, v38
	v_min_u32_e32 v39, 32, v36
	v_subrev_u32_e32 v36, 28, v39
	v_bfe_u32 v12, v12, 27, 4
	v_lshlrev_b64 v[36:37], v36, v[2:3]
	v_sub_u32_e32 v37, 29, v39
	v_cmp_eq_u32_e64 s[0:1], 0, v12
	v_and_b32_e32 v36, 7, v36
	v_lshlrev_b32_e32 v2, 8, v2
	v_cndmask_b32_e64 v12, v12, v37, s[0:1]
	v_lshl_add_u32 v12, v12, 10, v25
	v_cndmask_b32_e64 v36, v38, v36, s[0:1]
	v_and_or_b32 v2, v2, s54, v12
	v_lshl_or_b32 v2, v36, 7, v2
	v_cvt_f32_f16_e32 v36, v2
.LBB258_48:                             ;   in Loop: Header=BB258_13 Depth=1
	s_or_b64 exec, exec, s[42:43]
	global_load_dword v12, v[10:11], off offset:512
	s_mov_b64 s[0:1], 0
                                        ; implicit-def: $sgpr44
	s_waitcnt vmcnt(0)
	v_cmp_gt_i16_sdwa s[40:41], v12, s52 src0_sel:BYTE_0 src1_sel:DWORD
	s_and_saveexec_b64 s[42:43], s[40:41]
	s_xor_b64 s[40:41], exec, s[42:43]
	s_cbranch_execnz .LBB258_114
; %bb.49:                               ;   in Loop: Header=BB258_13 Depth=1
	s_or_saveexec_b64 s[40:41], s[40:41]
	v_mov_b32_e32 v37, s44
	s_xor_b64 exec, exec, s[40:41]
	s_cbranch_execnz .LBB258_117
.LBB258_50:                             ;   in Loop: Header=BB258_13 Depth=1
	s_or_b64 exec, exec, s[40:41]
	s_and_saveexec_b64 s[40:41], s[0:1]
	s_cbranch_execz .LBB258_52
.LBB258_51:                             ;   in Loop: Header=BB258_13 Depth=1
	v_and_b32_e32 v2, 7, v12
	v_ffbh_u32_e32 v38, v2
	v_min_u32_e32 v40, 32, v38
	v_subrev_u32_e32 v38, 28, v40
	v_bfe_u32 v37, v12, 3, 4
	v_lshlrev_b64 v[38:39], v38, v[12:13]
	v_sub_u32_e32 v39, 29, v40
	v_cmp_eq_u32_e64 s[0:1], 0, v37
	v_and_b32_e32 v38, 7, v38
	s_nop 0
	v_cndmask_b32_e64 v37, v37, v39, s[0:1]
	v_cndmask_b32_e64 v2, v2, v38, s[0:1]
	v_lshlrev_b32_e32 v38, 8, v12
	v_lshl_add_u32 v37, v37, 10, v25
	v_and_or_b32 v37, v38, s54, v37
	v_lshl_or_b32 v2, v2, 7, v37
	v_cvt_f32_f16_e32 v37, v2
.LBB258_52:                             ;   in Loop: Header=BB258_13 Depth=1
	s_or_b64 exec, exec, s[40:41]
	v_lshrrev_b16_e32 v2, 8, v12
	v_cmp_lt_i16_e64 s[0:1], s52, v2
	s_mov_b64 s[40:41], 0
                                        ; implicit-def: $sgpr55
	s_and_saveexec_b64 s[42:43], s[0:1]
	s_xor_b64 s[42:43], exec, s[42:43]
	s_cbranch_execnz .LBB258_118
; %bb.53:                               ;   in Loop: Header=BB258_13 Depth=1
	s_or_saveexec_b64 s[42:43], s[42:43]
	v_mov_b32_e32 v38, s55
	s_xor_b64 exec, exec, s[42:43]
	s_cbranch_execnz .LBB258_121
.LBB258_54:                             ;   in Loop: Header=BB258_13 Depth=1
	s_or_b64 exec, exec, s[42:43]
	s_and_saveexec_b64 s[42:43], s[40:41]
	s_cbranch_execz .LBB258_56
.LBB258_55:                             ;   in Loop: Header=BB258_13 Depth=1
	v_and_b32_e32 v40, 7, v2
	v_ffbh_u32_e32 v38, v40
	v_min_u32_e32 v42, 32, v38
	v_subrev_u32_e32 v38, 28, v42
	v_bfe_u32 v41, v2, 3, 4
	v_lshlrev_b64 v[38:39], v38, v[2:3]
	v_sub_u32_e32 v39, 29, v42
	v_cmp_eq_u32_e64 s[0:1], 0, v41
	v_and_b32_e32 v38, 7, v38
	v_lshlrev_b32_e32 v2, 8, v2
	v_cndmask_b32_e64 v39, v41, v39, s[0:1]
	v_lshl_add_u32 v39, v39, 10, v25
	v_cndmask_b32_e64 v38, v40, v38, s[0:1]
	v_and_or_b32 v2, v2, s54, v39
	v_lshl_or_b32 v2, v38, 7, v2
	v_cvt_f32_f16_e32 v38, v2
.LBB258_56:                             ;   in Loop: Header=BB258_13 Depth=1
	s_or_b64 exec, exec, s[42:43]
	v_lshrrev_b32_e32 v2, 16, v12
	v_cmp_gt_i16_sdwa s[40:41], v2, s52 src0_sel:BYTE_0 src1_sel:DWORD
	s_mov_b64 s[0:1], 0
                                        ; implicit-def: $sgpr44
	s_and_saveexec_b64 s[42:43], s[40:41]
	s_xor_b64 s[40:41], exec, s[42:43]
	s_cbranch_execnz .LBB258_122
; %bb.57:                               ;   in Loop: Header=BB258_13 Depth=1
	s_or_saveexec_b64 s[40:41], s[40:41]
	v_mov_b32_e32 v39, s44
	s_xor_b64 exec, exec, s[40:41]
	s_cbranch_execnz .LBB258_125
.LBB258_58:                             ;   in Loop: Header=BB258_13 Depth=1
	s_or_b64 exec, exec, s[40:41]
	s_and_saveexec_b64 s[40:41], s[0:1]
	s_cbranch_execz .LBB258_60
.LBB258_59:                             ;   in Loop: Header=BB258_13 Depth=1
	v_bfe_u32 v39, v12, 16, 3
	v_ffbh_u32_e32 v40, v39
	v_min_u32_e32 v43, 32, v40
	v_subrev_u32_e32 v40, 28, v43
	v_bfe_u32 v42, v12, 19, 4
	v_lshlrev_b64 v[40:41], v40, v[2:3]
	v_sub_u32_e32 v41, 29, v43
	v_cmp_eq_u32_e64 s[0:1], 0, v42
	v_and_b32_e32 v40, 7, v40
	v_lshlrev_b32_e32 v2, 8, v2
	v_cndmask_b32_e64 v41, v42, v41, s[0:1]
	v_cndmask_b32_e64 v39, v39, v40, s[0:1]
	v_lshl_add_u32 v40, v41, 10, v25
	v_and_or_b32 v2, v2, s54, v40
	v_lshl_or_b32 v2, v39, 7, v2
	v_cvt_f32_f16_e32 v39, v2
.LBB258_60:                             ;   in Loop: Header=BB258_13 Depth=1
	s_or_b64 exec, exec, s[40:41]
	v_lshrrev_b32_e32 v2, 24, v12
	v_cmp_lt_i16_e64 s[0:1], s52, v2
	s_mov_b64 s[40:41], 0
                                        ; implicit-def: $sgpr55
	s_and_saveexec_b64 s[42:43], s[0:1]
	s_xor_b64 s[42:43], exec, s[42:43]
	s_cbranch_execnz .LBB258_126
; %bb.61:                               ;   in Loop: Header=BB258_13 Depth=1
	s_or_saveexec_b64 s[42:43], s[42:43]
	v_mov_b32_e32 v40, s55
	s_xor_b64 exec, exec, s[42:43]
	s_cbranch_execnz .LBB258_129
.LBB258_62:                             ;   in Loop: Header=BB258_13 Depth=1
	s_or_b64 exec, exec, s[42:43]
	s_and_saveexec_b64 s[42:43], s[40:41]
	s_cbranch_execz .LBB258_64
.LBB258_63:                             ;   in Loop: Header=BB258_13 Depth=1
	v_bfe_u32 v42, v12, 24, 3
	v_ffbh_u32_e32 v40, v42
	v_min_u32_e32 v43, 32, v40
	v_subrev_u32_e32 v40, 28, v43
	v_bfe_u32 v12, v12, 27, 4
	v_lshlrev_b64 v[40:41], v40, v[2:3]
	v_sub_u32_e32 v41, 29, v43
	v_cmp_eq_u32_e64 s[0:1], 0, v12
	v_and_b32_e32 v40, 7, v40
	v_lshlrev_b32_e32 v2, 8, v2
	v_cndmask_b32_e64 v12, v12, v41, s[0:1]
	v_lshl_add_u32 v12, v12, 10, v25
	v_cndmask_b32_e64 v40, v42, v40, s[0:1]
	v_and_or_b32 v2, v2, s54, v12
	v_lshl_or_b32 v2, v40, 7, v2
	v_cvt_f32_f16_e32 v40, v2
.LBB258_64:                             ;   in Loop: Header=BB258_13 Depth=1
	s_or_b64 exec, exec, s[42:43]
	global_load_dword v10, v[10:11], off offset:520
	s_mov_b64 s[0:1], 0
                                        ; implicit-def: $sgpr44
	s_waitcnt vmcnt(0)
	v_cmp_gt_i16_sdwa s[40:41], v10, s52 src0_sel:BYTE_0 src1_sel:DWORD
	s_and_saveexec_b64 s[42:43], s[40:41]
	s_xor_b64 s[40:41], exec, s[42:43]
	s_cbranch_execnz .LBB258_130
; %bb.65:                               ;   in Loop: Header=BB258_13 Depth=1
	s_or_saveexec_b64 s[40:41], s[40:41]
	v_mov_b32_e32 v11, s44
	s_xor_b64 exec, exec, s[40:41]
	s_cbranch_execnz .LBB258_133
.LBB258_66:                             ;   in Loop: Header=BB258_13 Depth=1
	s_or_b64 exec, exec, s[40:41]
	s_and_saveexec_b64 s[40:41], s[0:1]
	s_cbranch_execz .LBB258_68
.LBB258_67:                             ;   in Loop: Header=BB258_13 Depth=1
	v_and_b32_e32 v2, 7, v10
	v_ffbh_u32_e32 v12, v2
	v_bfe_u32 v11, v10, 3, 4
	v_min_u32_e32 v12, 32, v12
	v_subrev_u32_e32 v41, 28, v12
	v_sub_u32_e32 v12, 29, v12
	v_cmp_eq_u32_e64 s[0:1], 0, v11
	v_lshlrev_b64 v[42:43], v41, v[10:11]
	v_and_b32_e32 v41, 7, v42
	v_cndmask_b32_e64 v11, v11, v12, s[0:1]
	v_lshlrev_b32_e32 v12, 8, v10
	v_lshl_add_u32 v11, v11, 10, v25
	v_cndmask_b32_e64 v2, v2, v41, s[0:1]
	v_and_or_b32 v11, v12, s54, v11
	v_lshl_or_b32 v2, v2, 7, v11
	v_cvt_f32_f16_e32 v11, v2
.LBB258_68:                             ;   in Loop: Header=BB258_13 Depth=1
	s_or_b64 exec, exec, s[40:41]
	v_lshrrev_b16_e32 v2, 8, v10
	v_cmp_lt_i16_e64 s[0:1], s52, v2
	s_mov_b64 s[40:41], 0
                                        ; implicit-def: $sgpr55
	s_and_saveexec_b64 s[42:43], s[0:1]
	s_xor_b64 s[42:43], exec, s[42:43]
	s_cbranch_execnz .LBB258_134
; %bb.69:                               ;   in Loop: Header=BB258_13 Depth=1
	s_or_saveexec_b64 s[42:43], s[42:43]
	v_mov_b32_e32 v12, s55
	s_xor_b64 exec, exec, s[42:43]
	s_cbranch_execnz .LBB258_137
.LBB258_70:                             ;   in Loop: Header=BB258_13 Depth=1
	s_or_b64 exec, exec, s[42:43]
	s_and_saveexec_b64 s[42:43], s[40:41]
	s_cbranch_execz .LBB258_72
.LBB258_71:                             ;   in Loop: Header=BB258_13 Depth=1
	v_and_b32_e32 v12, 7, v2
	v_ffbh_u32_e32 v42, v12
	v_min_u32_e32 v44, 32, v42
	v_subrev_u32_e32 v42, 28, v44
	v_bfe_u32 v41, v2, 3, 4
	v_lshlrev_b64 v[42:43], v42, v[2:3]
	v_sub_u32_e32 v43, 29, v44
	v_cmp_eq_u32_e64 s[0:1], 0, v41
	v_and_b32_e32 v42, 7, v42
	v_lshlrev_b32_e32 v2, 8, v2
	v_cndmask_b32_e64 v41, v41, v43, s[0:1]
	v_lshl_add_u32 v41, v41, 10, v25
	v_cndmask_b32_e64 v12, v12, v42, s[0:1]
	v_and_or_b32 v2, v2, s54, v41
	v_lshl_or_b32 v2, v12, 7, v2
	v_cvt_f32_f16_e32 v12, v2
.LBB258_72:                             ;   in Loop: Header=BB258_13 Depth=1
	s_or_b64 exec, exec, s[42:43]
	v_lshrrev_b32_e32 v2, 16, v10
	v_cmp_gt_i16_sdwa s[40:41], v2, s52 src0_sel:BYTE_0 src1_sel:DWORD
	s_mov_b64 s[0:1], 0
                                        ; implicit-def: $sgpr44
	s_and_saveexec_b64 s[42:43], s[40:41]
	s_xor_b64 s[40:41], exec, s[42:43]
	s_cbranch_execnz .LBB258_138
; %bb.73:                               ;   in Loop: Header=BB258_13 Depth=1
	s_or_saveexec_b64 s[40:41], s[40:41]
	v_mov_b32_e32 v41, s44
	s_xor_b64 exec, exec, s[40:41]
	s_cbranch_execnz .LBB258_141
.LBB258_74:                             ;   in Loop: Header=BB258_13 Depth=1
	s_or_b64 exec, exec, s[40:41]
	s_and_saveexec_b64 s[40:41], s[0:1]
	s_cbranch_execz .LBB258_76
.LBB258_75:                             ;   in Loop: Header=BB258_13 Depth=1
	v_bfe_u32 v41, v10, 16, 3
	v_ffbh_u32_e32 v42, v41
	v_min_u32_e32 v45, 32, v42
	v_subrev_u32_e32 v42, 28, v45
	v_bfe_u32 v44, v10, 19, 4
	v_lshlrev_b64 v[42:43], v42, v[2:3]
	v_sub_u32_e32 v43, 29, v45
	v_cmp_eq_u32_e64 s[0:1], 0, v44
	v_and_b32_e32 v42, 7, v42
	v_lshlrev_b32_e32 v2, 8, v2
	v_cndmask_b32_e64 v43, v44, v43, s[0:1]
	v_cndmask_b32_e64 v41, v41, v42, s[0:1]
	v_lshl_add_u32 v42, v43, 10, v25
	v_and_or_b32 v2, v2, s54, v42
	v_lshl_or_b32 v2, v41, 7, v2
	v_cvt_f32_f16_e32 v41, v2
.LBB258_76:                             ;   in Loop: Header=BB258_13 Depth=1
	s_or_b64 exec, exec, s[40:41]
	v_lshrrev_b32_e32 v2, 24, v10
	v_cmp_lt_i16_e64 s[0:1], s52, v2
	s_mov_b64 s[40:41], 0
                                        ; implicit-def: $sgpr55
	s_and_saveexec_b64 s[42:43], s[0:1]
	s_xor_b64 s[42:43], exec, s[42:43]
	s_cbranch_execnz .LBB258_142
; %bb.77:                               ;   in Loop: Header=BB258_13 Depth=1
	s_or_saveexec_b64 s[42:43], s[42:43]
	v_mov_b32_e32 v42, s55
	s_xor_b64 exec, exec, s[42:43]
	s_cbranch_execnz .LBB258_145
.LBB258_78:                             ;   in Loop: Header=BB258_13 Depth=1
	s_or_b64 exec, exec, s[42:43]
	s_and_saveexec_b64 s[42:43], s[40:41]
	s_cbranch_execz .LBB258_80
.LBB258_79:                             ;   in Loop: Header=BB258_13 Depth=1
	v_bfe_u32 v44, v10, 24, 3
	v_ffbh_u32_e32 v42, v44
	v_min_u32_e32 v45, 32, v42
	v_subrev_u32_e32 v42, 28, v45
	v_bfe_u32 v10, v10, 27, 4
	v_lshlrev_b64 v[42:43], v42, v[2:3]
	v_sub_u32_e32 v43, 29, v45
	v_cmp_eq_u32_e64 s[0:1], 0, v10
	v_and_b32_e32 v42, 7, v42
	v_lshlrev_b32_e32 v2, 8, v2
	v_cndmask_b32_e64 v10, v10, v43, s[0:1]
	v_lshl_add_u32 v10, v10, 10, v25
	v_cndmask_b32_e64 v42, v44, v42, s[0:1]
	v_and_or_b32 v2, v2, s54, v10
	v_lshl_or_b32 v2, v42, 7, v2
	v_cvt_f32_f16_e32 v42, v2
.LBB258_80:                             ;   in Loop: Header=BB258_13 Depth=1
	s_or_b64 exec, exec, s[42:43]
	v_fma_mixlo_f16 v2, v28, v38, 0
	v_fma_mixlo_f16 v38, v28, v39, 0
	;; [unrolled: 1-line block ×5, first 2 shown]
	ds_read_b64 v[34:35], v18
	v_fma_mixlo_f16 v30, v28, v30, 0
	v_fma_mixlo_f16 v29, v28, v29, 0
	v_and_b32_e32 v29, 0xffff, v29
	v_and_b32_e32 v30, 0xffff, v30
	s_waitcnt lgkmcnt(0)
	v_lshrrev_b32_e32 v43, 16, v34
	v_and_b32_e32 v34, 0xffff, v34
	v_fma_mixlo_f16 v31, v28, v31, 0
	;;#ASMSTART
	v_cvt_f32_f16 v34, v34;
	;;#ASMEND
	;;#ASMSTART
	v_cvt_f32_f16 v43, v43;
	;;#ASMEND
	;; [unrolled: 3-line block ×4, first 2 shown]
	v_lshrrev_b32_e32 v30, 16, v35
	v_and_b32_e32 v35, 0xffff, v35
	v_fma_mixlo_f16 v32, v28, v32, 0
	;;#ASMSTART
	v_cvt_f32_f16 v35, v35;
	;;#ASMEND
	;;#ASMSTART
	v_cvt_f32_f16 v45, v30;
	;;#ASMEND
	v_and_b32_e32 v30, 0xffff, v31
	;;#ASMSTART
	v_cvt_f32_f16 v46, v30;
	;;#ASMEND
	v_and_b32_e32 v30, 0xffff, v32
	;;#ASMSTART
	v_cvt_f32_f16 v32, v30;
	;;#ASMEND
	ds_read_b64 v[30:31], v18 offset:8
	v_fma_mixlo_f16 v33, v28, v33, 0
	v_fma_mixlo_f16 v47, v28, v11, 0
	v_and_b32_e32 v33, 0xffff, v33
	v_and_b32_e32 v10, 0xffff, v10
	s_waitcnt lgkmcnt(0)
	v_lshrrev_b32_e32 v11, 16, v30
	v_and_b32_e32 v30, 0xffff, v30
	;;#ASMSTART
	v_cvt_f32_f16 v30, v30;
	;;#ASMEND
	;;#ASMSTART
	v_cvt_f32_f16 v11, v11;
	;;#ASMEND
	;; [unrolled: 3-line block ×4, first 2 shown]
	v_fma_mixlo_f16 v36, v28, v36, 0
	v_mul_f32_e32 v30, v30, v33
	v_fmac_f32_e32 v30, v34, v29
	v_mul_f32_e32 v29, v11, v10
	v_lshrrev_b32_e32 v10, 16, v31
	v_and_b32_e32 v11, 0xffff, v31
	;;#ASMSTART
	v_cvt_f32_f16 v31, v11;
	;;#ASMEND
	;;#ASMSTART
	v_cvt_f32_f16 v33, v10;
	;;#ASMEND
	v_and_b32_e32 v10, 0xffff, v40
	;;#ASMSTART
	v_cvt_f32_f16 v34, v10;
	;;#ASMEND
	v_and_b32_e32 v10, 0xffff, v36
	;;#ASMSTART
	v_cvt_f32_f16 v36, v10;
	;;#ASMEND
	ds_read_b64 v[10:11], v18 offset:16
	v_mul_f32_e32 v33, v33, v36
	v_fma_mixlo_f16 v37, v28, v37, 0
	v_fmac_f32_e32 v33, v45, v32
	v_mul_f32_e32 v31, v31, v34
	s_waitcnt lgkmcnt(0)
	v_lshrrev_b32_e32 v32, 16, v10
	v_and_b32_e32 v10, 0xffff, v10
	;;#ASMSTART
	v_cvt_f32_f16 v34, v10;
	;;#ASMEND
	v_and_b32_e32 v10, 0xffff, v37
	v_fmac_f32_e32 v31, v35, v46
	;;#ASMSTART
	v_cvt_f32_f16 v32, v32;
	;;#ASMEND
	;;#ASMSTART
	v_cvt_f32_f16 v35, v10;
	;;#ASMEND
	v_and_b32_e32 v2, 0xffff, v2
	v_lshrrev_b32_e32 v10, 16, v11
	;;#ASMSTART
	v_cvt_f32_f16 v2, v2;
	;;#ASMEND
	v_and_b32_e32 v11, 0xffff, v11
	;;#ASMSTART
	v_cvt_f32_f16 v36, v11;
	;;#ASMEND
	;;#ASMSTART
	v_cvt_f32_f16 v37, v10;
	;;#ASMEND
	v_and_b32_e32 v10, 0xffff, v38
	;;#ASMSTART
	v_cvt_f32_f16 v38, v10;
	;;#ASMEND
	v_and_b32_e32 v10, 0xffff, v39
	;;#ASMSTART
	v_cvt_f32_f16 v39, v10;
	;;#ASMEND
	ds_read_b64 v[10:11], v18 offset:24
	v_fmac_f32_e32 v29, v43, v44
	v_fma_mixlo_f16 v12, v28, v12, 0
	v_fmac_f32_e32 v29, v32, v2
	v_fma_mixlo_f16 v41, v28, v41, 0
	s_waitcnt lgkmcnt(0)
	v_lshrrev_b32_e32 v2, 16, v10
	v_and_b32_e32 v10, 0xffff, v10
	v_fmac_f32_e32 v30, v34, v35
	;;#ASMSTART
	v_cvt_f32_f16 v10, v10;
	;;#ASMEND
	;;#ASMSTART
	v_cvt_f32_f16 v2, v2;
	;;#ASMEND
	v_and_b32_e32 v32, 0xffff, v47
	v_and_b32_e32 v12, 0xffff, v12
	;;#ASMSTART
	v_cvt_f32_f16 v32, v32;
	;;#ASMEND
	;;#ASMSTART
	v_cvt_f32_f16 v12, v12;
	;;#ASMEND
	v_fmac_f32_e32 v31, v36, v38
	v_fmac_f32_e32 v30, v10, v32
	v_fmac_f32_e32 v29, v2, v12
	v_lshrrev_b32_e32 v2, 16, v11
	v_and_b32_e32 v10, 0xffff, v11
	v_and_b32_e32 v11, 0xffff, v41
	;;#ASMSTART
	v_cvt_f32_f16 v10, v10;
	;;#ASMEND
	;;#ASMSTART
	v_cvt_f32_f16 v2, v2;
	;;#ASMEND
	;; [unrolled: 3-line block ×3, first 2 shown]
	v_fma_mixlo_f16 v28, v28, v42, 0
	v_fmac_f32_e32 v31, v10, v11
	v_and_b32_e32 v11, 64, v26
	v_fmac_f32_e32 v33, v37, v39
	v_and_b32_e32 v12, 0xffff, v28
	v_xor_b32_e32 v10, 1, v26
	v_add_u32_e32 v11, 64, v11
	;;#ASMSTART
	v_cvt_f32_f16 v12, v12;
	;;#ASMEND
	v_cmp_lt_i32_e64 s[0:1], v10, v11
	v_fmac_f32_e32 v33, v2, v12
	v_add_f32_e32 v2, v30, v29
	v_add_f32_e32 v2, v2, v31
	v_cndmask_b32_e64 v10, v26, v10, s[0:1]
	v_add_f32_e32 v2, v33, v2
	v_lshlrev_b32_e32 v10, 2, v10
	ds_bpermute_b32 v10, v10, v2
	s_and_saveexec_b64 s[40:41], vcc
	s_cbranch_execz .LBB258_11
; %bb.81:                               ;   in Loop: Header=BB258_13 Depth=1
	v_add_u32_e32 v11, v23, v21
	v_cvt_f32_i32_e32 v11, v11
	s_waitcnt lgkmcnt(0)
	v_add_f32_e32 v2, v2, v10
	v_add_u32_e32 v12, v17, v21
	v_cmp_gt_i32_e64 s[0:1], s11, v12
	v_mul_f32_e32 v10, s48, v11
	v_cndmask_b32_e64 v10, 0, v10, s[2:3]
	v_fmac_f32_e32 v10, s37, v2
	v_cndmask_b32_e64 v2, 0, v10, s[0:1]
	ds_write_b32 v22, v2
	v_max_f32_e32 v2, v19, v19
	v_max_f32_e32 v2, v2, v10
	v_cndmask_b32_e64 v19, v19, v2, s[0:1]
	s_branch .LBB258_11
.LBB258_82:                             ;   in Loop: Header=BB258_13 Depth=1
	v_cmp_eq_u16_sdwa s[56:57], v12, s53 src0_sel:BYTE_0 src1_sel:DWORD
	s_mov_b64 s[0:1], -1
                                        ; implicit-def: $sgpr44
	s_and_saveexec_b64 s[42:43], s[56:57]
; %bb.83:                               ;   in Loop: Header=BB258_13 Depth=1
	s_mov_b32 s44, 0x7fc02000
	s_xor_b64 s[0:1], exec, -1
; %bb.84:                               ;   in Loop: Header=BB258_13 Depth=1
	s_or_b64 exec, exec, s[42:43]
	s_and_b64 s[0:1], s[0:1], exec
	s_or_saveexec_b64 s[40:41], s[40:41]
	v_mov_b32_e32 v29, s44
	s_xor_b64 exec, exec, s[40:41]
	s_cbranch_execz .LBB258_18
.LBB258_85:                             ;   in Loop: Header=BB258_13 Depth=1
	v_cmp_ne_u16_sdwa s[42:43], v12, v3 src0_sel:BYTE_0 src1_sel:DWORD
	s_andn2_b64 s[0:1], s[0:1], exec
	s_and_b64 s[42:43], s[42:43], exec
	v_mov_b32_e32 v29, 0
	s_or_b64 s[0:1], s[0:1], s[42:43]
	s_or_b64 exec, exec, s[40:41]
	s_and_saveexec_b64 s[40:41], s[0:1]
	s_cbranch_execnz .LBB258_19
	s_branch .LBB258_20
.LBB258_86:                             ;   in Loop: Header=BB258_13 Depth=1
	v_cmp_eq_u16_e64 s[0:1], s53, v2
	s_mov_b64 s[40:41], -1
                                        ; implicit-def: $sgpr55
	s_and_saveexec_b64 s[44:45], s[0:1]
; %bb.87:                               ;   in Loop: Header=BB258_13 Depth=1
	s_mov_b32 s55, 0x7fc02000
	s_xor_b64 s[40:41], exec, -1
; %bb.88:                               ;   in Loop: Header=BB258_13 Depth=1
	s_or_b64 exec, exec, s[44:45]
	s_and_b64 s[40:41], s[40:41], exec
	s_or_saveexec_b64 s[42:43], s[42:43]
	v_mov_b32_e32 v30, s55
	s_xor_b64 exec, exec, s[42:43]
	s_cbranch_execz .LBB258_22
.LBB258_89:                             ;   in Loop: Header=BB258_13 Depth=1
	v_cmp_ne_u16_e64 s[0:1], 0, v2
	s_andn2_b64 s[40:41], s[40:41], exec
	s_and_b64 s[0:1], s[0:1], exec
	v_mov_b32_e32 v30, 0
	s_or_b64 s[40:41], s[40:41], s[0:1]
	s_or_b64 exec, exec, s[42:43]
	s_and_saveexec_b64 s[42:43], s[40:41]
	s_cbranch_execnz .LBB258_23
	s_branch .LBB258_24
.LBB258_90:                             ;   in Loop: Header=BB258_13 Depth=1
	v_cmp_eq_u16_sdwa s[56:57], v2, s53 src0_sel:BYTE_0 src1_sel:DWORD
	s_mov_b64 s[0:1], -1
                                        ; implicit-def: $sgpr44
	s_and_saveexec_b64 s[42:43], s[56:57]
; %bb.91:                               ;   in Loop: Header=BB258_13 Depth=1
	s_mov_b32 s44, 0x7fc02000
	s_xor_b64 s[0:1], exec, -1
; %bb.92:                               ;   in Loop: Header=BB258_13 Depth=1
	s_or_b64 exec, exec, s[42:43]
	s_and_b64 s[0:1], s[0:1], exec
	s_or_saveexec_b64 s[40:41], s[40:41]
	v_mov_b32_e32 v31, s44
	s_xor_b64 exec, exec, s[40:41]
	s_cbranch_execz .LBB258_26
.LBB258_93:                             ;   in Loop: Header=BB258_13 Depth=1
	v_cmp_ne_u16_sdwa s[42:43], v2, v3 src0_sel:BYTE_0 src1_sel:DWORD
	s_andn2_b64 s[0:1], s[0:1], exec
	s_and_b64 s[42:43], s[42:43], exec
	v_mov_b32_e32 v31, 0
	s_or_b64 s[0:1], s[0:1], s[42:43]
	s_or_b64 exec, exec, s[40:41]
	s_and_saveexec_b64 s[40:41], s[0:1]
	s_cbranch_execnz .LBB258_27
	s_branch .LBB258_28
.LBB258_94:                             ;   in Loop: Header=BB258_13 Depth=1
	v_cmp_eq_u16_e64 s[0:1], s53, v2
	s_mov_b64 s[40:41], -1
                                        ; implicit-def: $sgpr55
	s_and_saveexec_b64 s[44:45], s[0:1]
; %bb.95:                               ;   in Loop: Header=BB258_13 Depth=1
	s_mov_b32 s55, 0x7fc02000
	s_xor_b64 s[40:41], exec, -1
; %bb.96:                               ;   in Loop: Header=BB258_13 Depth=1
	s_or_b64 exec, exec, s[44:45]
	s_and_b64 s[40:41], s[40:41], exec
	s_or_saveexec_b64 s[42:43], s[42:43]
	v_mov_b32_e32 v32, s55
	s_xor_b64 exec, exec, s[42:43]
	s_cbranch_execz .LBB258_30
.LBB258_97:                             ;   in Loop: Header=BB258_13 Depth=1
	v_cmp_ne_u16_e64 s[0:1], 0, v2
	s_andn2_b64 s[40:41], s[40:41], exec
	s_and_b64 s[0:1], s[0:1], exec
	v_mov_b32_e32 v32, 0
	s_or_b64 s[40:41], s[40:41], s[0:1]
	s_or_b64 exec, exec, s[42:43]
	s_and_saveexec_b64 s[42:43], s[40:41]
	s_cbranch_execnz .LBB258_31
	s_branch .LBB258_32
.LBB258_98:                             ;   in Loop: Header=BB258_13 Depth=1
	v_cmp_eq_u16_sdwa s[56:57], v12, s53 src0_sel:BYTE_0 src1_sel:DWORD
	s_mov_b64 s[0:1], -1
                                        ; implicit-def: $sgpr44
	s_and_saveexec_b64 s[42:43], s[56:57]
; %bb.99:                               ;   in Loop: Header=BB258_13 Depth=1
	s_mov_b32 s44, 0x7fc02000
	s_xor_b64 s[0:1], exec, -1
; %bb.100:                              ;   in Loop: Header=BB258_13 Depth=1
	s_or_b64 exec, exec, s[42:43]
	s_and_b64 s[0:1], s[0:1], exec
	s_or_saveexec_b64 s[40:41], s[40:41]
	v_mov_b32_e32 v33, s44
	s_xor_b64 exec, exec, s[40:41]
	s_cbranch_execz .LBB258_34
.LBB258_101:                            ;   in Loop: Header=BB258_13 Depth=1
	v_cmp_ne_u16_sdwa s[42:43], v12, v3 src0_sel:BYTE_0 src1_sel:DWORD
	s_andn2_b64 s[0:1], s[0:1], exec
	s_and_b64 s[42:43], s[42:43], exec
	v_mov_b32_e32 v33, 0
	s_or_b64 s[0:1], s[0:1], s[42:43]
	s_or_b64 exec, exec, s[40:41]
	s_and_saveexec_b64 s[40:41], s[0:1]
	s_cbranch_execnz .LBB258_35
	s_branch .LBB258_36
.LBB258_102:                            ;   in Loop: Header=BB258_13 Depth=1
	v_cmp_eq_u16_e64 s[0:1], s53, v2
	s_mov_b64 s[40:41], -1
                                        ; implicit-def: $sgpr55
	s_and_saveexec_b64 s[44:45], s[0:1]
; %bb.103:                              ;   in Loop: Header=BB258_13 Depth=1
	s_mov_b32 s55, 0x7fc02000
	s_xor_b64 s[40:41], exec, -1
; %bb.104:                              ;   in Loop: Header=BB258_13 Depth=1
	s_or_b64 exec, exec, s[44:45]
	s_and_b64 s[40:41], s[40:41], exec
	s_or_saveexec_b64 s[42:43], s[42:43]
	v_mov_b32_e32 v34, s55
	s_xor_b64 exec, exec, s[42:43]
	s_cbranch_execz .LBB258_38
.LBB258_105:                            ;   in Loop: Header=BB258_13 Depth=1
	v_cmp_ne_u16_e64 s[0:1], 0, v2
	s_andn2_b64 s[40:41], s[40:41], exec
	s_and_b64 s[0:1], s[0:1], exec
	v_mov_b32_e32 v34, 0
	s_or_b64 s[40:41], s[40:41], s[0:1]
	s_or_b64 exec, exec, s[42:43]
	s_and_saveexec_b64 s[42:43], s[40:41]
	s_cbranch_execnz .LBB258_39
	s_branch .LBB258_40
.LBB258_106:                            ;   in Loop: Header=BB258_13 Depth=1
	v_cmp_eq_u16_sdwa s[56:57], v2, s53 src0_sel:BYTE_0 src1_sel:DWORD
	s_mov_b64 s[0:1], -1
                                        ; implicit-def: $sgpr44
	s_and_saveexec_b64 s[42:43], s[56:57]
; %bb.107:                              ;   in Loop: Header=BB258_13 Depth=1
	s_mov_b32 s44, 0x7fc02000
	s_xor_b64 s[0:1], exec, -1
; %bb.108:                              ;   in Loop: Header=BB258_13 Depth=1
	s_or_b64 exec, exec, s[42:43]
	s_and_b64 s[0:1], s[0:1], exec
	s_or_saveexec_b64 s[40:41], s[40:41]
	v_mov_b32_e32 v35, s44
	s_xor_b64 exec, exec, s[40:41]
	s_cbranch_execz .LBB258_42
.LBB258_109:                            ;   in Loop: Header=BB258_13 Depth=1
	v_cmp_ne_u16_sdwa s[42:43], v2, v3 src0_sel:BYTE_0 src1_sel:DWORD
	s_andn2_b64 s[0:1], s[0:1], exec
	s_and_b64 s[42:43], s[42:43], exec
	v_mov_b32_e32 v35, 0
	s_or_b64 s[0:1], s[0:1], s[42:43]
	s_or_b64 exec, exec, s[40:41]
	s_and_saveexec_b64 s[40:41], s[0:1]
	s_cbranch_execnz .LBB258_43
	s_branch .LBB258_44
.LBB258_110:                            ;   in Loop: Header=BB258_13 Depth=1
	v_cmp_eq_u16_e64 s[0:1], s53, v2
	s_mov_b64 s[40:41], -1
                                        ; implicit-def: $sgpr55
	s_and_saveexec_b64 s[44:45], s[0:1]
; %bb.111:                              ;   in Loop: Header=BB258_13 Depth=1
	s_mov_b32 s55, 0x7fc02000
	s_xor_b64 s[40:41], exec, -1
; %bb.112:                              ;   in Loop: Header=BB258_13 Depth=1
	s_or_b64 exec, exec, s[44:45]
	s_and_b64 s[40:41], s[40:41], exec
	s_or_saveexec_b64 s[42:43], s[42:43]
	v_mov_b32_e32 v36, s55
	s_xor_b64 exec, exec, s[42:43]
	s_cbranch_execz .LBB258_46
.LBB258_113:                            ;   in Loop: Header=BB258_13 Depth=1
	v_cmp_ne_u16_e64 s[0:1], 0, v2
	s_andn2_b64 s[40:41], s[40:41], exec
	s_and_b64 s[0:1], s[0:1], exec
	v_mov_b32_e32 v36, 0
	s_or_b64 s[40:41], s[40:41], s[0:1]
	s_or_b64 exec, exec, s[42:43]
	s_and_saveexec_b64 s[42:43], s[40:41]
	s_cbranch_execnz .LBB258_47
	s_branch .LBB258_48
.LBB258_114:                            ;   in Loop: Header=BB258_13 Depth=1
	v_cmp_eq_u16_sdwa s[56:57], v12, s53 src0_sel:BYTE_0 src1_sel:DWORD
	s_mov_b64 s[0:1], -1
                                        ; implicit-def: $sgpr44
	s_and_saveexec_b64 s[42:43], s[56:57]
; %bb.115:                              ;   in Loop: Header=BB258_13 Depth=1
	s_mov_b32 s44, 0x7fc02000
	s_xor_b64 s[0:1], exec, -1
; %bb.116:                              ;   in Loop: Header=BB258_13 Depth=1
	s_or_b64 exec, exec, s[42:43]
	s_and_b64 s[0:1], s[0:1], exec
	s_or_saveexec_b64 s[40:41], s[40:41]
	v_mov_b32_e32 v37, s44
	s_xor_b64 exec, exec, s[40:41]
	s_cbranch_execz .LBB258_50
.LBB258_117:                            ;   in Loop: Header=BB258_13 Depth=1
	v_cmp_ne_u16_sdwa s[42:43], v12, v3 src0_sel:BYTE_0 src1_sel:DWORD
	s_andn2_b64 s[0:1], s[0:1], exec
	s_and_b64 s[42:43], s[42:43], exec
	v_mov_b32_e32 v37, 0
	s_or_b64 s[0:1], s[0:1], s[42:43]
	s_or_b64 exec, exec, s[40:41]
	s_and_saveexec_b64 s[40:41], s[0:1]
	s_cbranch_execnz .LBB258_51
	s_branch .LBB258_52
.LBB258_118:                            ;   in Loop: Header=BB258_13 Depth=1
	v_cmp_eq_u16_e64 s[0:1], s53, v2
	s_mov_b64 s[40:41], -1
                                        ; implicit-def: $sgpr55
	s_and_saveexec_b64 s[44:45], s[0:1]
; %bb.119:                              ;   in Loop: Header=BB258_13 Depth=1
	s_mov_b32 s55, 0x7fc02000
	s_xor_b64 s[40:41], exec, -1
; %bb.120:                              ;   in Loop: Header=BB258_13 Depth=1
	s_or_b64 exec, exec, s[44:45]
	s_and_b64 s[40:41], s[40:41], exec
	s_or_saveexec_b64 s[42:43], s[42:43]
	v_mov_b32_e32 v38, s55
	s_xor_b64 exec, exec, s[42:43]
	s_cbranch_execz .LBB258_54
.LBB258_121:                            ;   in Loop: Header=BB258_13 Depth=1
	v_cmp_ne_u16_e64 s[0:1], 0, v2
	s_andn2_b64 s[40:41], s[40:41], exec
	s_and_b64 s[0:1], s[0:1], exec
	v_mov_b32_e32 v38, 0
	s_or_b64 s[40:41], s[40:41], s[0:1]
	s_or_b64 exec, exec, s[42:43]
	s_and_saveexec_b64 s[42:43], s[40:41]
	s_cbranch_execnz .LBB258_55
	s_branch .LBB258_56
.LBB258_122:                            ;   in Loop: Header=BB258_13 Depth=1
	v_cmp_eq_u16_sdwa s[56:57], v2, s53 src0_sel:BYTE_0 src1_sel:DWORD
	s_mov_b64 s[0:1], -1
                                        ; implicit-def: $sgpr44
	s_and_saveexec_b64 s[42:43], s[56:57]
; %bb.123:                              ;   in Loop: Header=BB258_13 Depth=1
	s_mov_b32 s44, 0x7fc02000
	s_xor_b64 s[0:1], exec, -1
; %bb.124:                              ;   in Loop: Header=BB258_13 Depth=1
	s_or_b64 exec, exec, s[42:43]
	s_and_b64 s[0:1], s[0:1], exec
	s_or_saveexec_b64 s[40:41], s[40:41]
	v_mov_b32_e32 v39, s44
	s_xor_b64 exec, exec, s[40:41]
	s_cbranch_execz .LBB258_58
.LBB258_125:                            ;   in Loop: Header=BB258_13 Depth=1
	v_cmp_ne_u16_sdwa s[42:43], v2, v3 src0_sel:BYTE_0 src1_sel:DWORD
	s_andn2_b64 s[0:1], s[0:1], exec
	s_and_b64 s[42:43], s[42:43], exec
	v_mov_b32_e32 v39, 0
	s_or_b64 s[0:1], s[0:1], s[42:43]
	s_or_b64 exec, exec, s[40:41]
	s_and_saveexec_b64 s[40:41], s[0:1]
	s_cbranch_execnz .LBB258_59
	s_branch .LBB258_60
.LBB258_126:                            ;   in Loop: Header=BB258_13 Depth=1
	v_cmp_eq_u16_e64 s[0:1], s53, v2
	s_mov_b64 s[40:41], -1
                                        ; implicit-def: $sgpr55
	s_and_saveexec_b64 s[44:45], s[0:1]
; %bb.127:                              ;   in Loop: Header=BB258_13 Depth=1
	s_mov_b32 s55, 0x7fc02000
	s_xor_b64 s[40:41], exec, -1
; %bb.128:                              ;   in Loop: Header=BB258_13 Depth=1
	s_or_b64 exec, exec, s[44:45]
	s_and_b64 s[40:41], s[40:41], exec
	s_or_saveexec_b64 s[42:43], s[42:43]
	v_mov_b32_e32 v40, s55
	s_xor_b64 exec, exec, s[42:43]
	s_cbranch_execz .LBB258_62
.LBB258_129:                            ;   in Loop: Header=BB258_13 Depth=1
	v_cmp_ne_u16_e64 s[0:1], 0, v2
	s_andn2_b64 s[40:41], s[40:41], exec
	s_and_b64 s[0:1], s[0:1], exec
	v_mov_b32_e32 v40, 0
	s_or_b64 s[40:41], s[40:41], s[0:1]
	s_or_b64 exec, exec, s[42:43]
	s_and_saveexec_b64 s[42:43], s[40:41]
	s_cbranch_execnz .LBB258_63
	s_branch .LBB258_64
.LBB258_130:                            ;   in Loop: Header=BB258_13 Depth=1
	v_cmp_eq_u16_sdwa s[56:57], v10, s53 src0_sel:BYTE_0 src1_sel:DWORD
	s_mov_b64 s[0:1], -1
                                        ; implicit-def: $sgpr44
	s_and_saveexec_b64 s[42:43], s[56:57]
; %bb.131:                              ;   in Loop: Header=BB258_13 Depth=1
	s_mov_b32 s44, 0x7fc02000
	s_xor_b64 s[0:1], exec, -1
; %bb.132:                              ;   in Loop: Header=BB258_13 Depth=1
	s_or_b64 exec, exec, s[42:43]
	s_and_b64 s[0:1], s[0:1], exec
	s_or_saveexec_b64 s[40:41], s[40:41]
	v_mov_b32_e32 v11, s44
	s_xor_b64 exec, exec, s[40:41]
	s_cbranch_execz .LBB258_66
.LBB258_133:                            ;   in Loop: Header=BB258_13 Depth=1
	v_cmp_ne_u16_sdwa s[42:43], v10, v3 src0_sel:BYTE_0 src1_sel:DWORD
	s_andn2_b64 s[0:1], s[0:1], exec
	s_and_b64 s[42:43], s[42:43], exec
	v_mov_b32_e32 v11, 0
	s_or_b64 s[0:1], s[0:1], s[42:43]
	s_or_b64 exec, exec, s[40:41]
	s_and_saveexec_b64 s[40:41], s[0:1]
	s_cbranch_execnz .LBB258_67
	s_branch .LBB258_68
.LBB258_134:                            ;   in Loop: Header=BB258_13 Depth=1
	v_cmp_eq_u16_e64 s[0:1], s53, v2
	s_mov_b64 s[40:41], -1
                                        ; implicit-def: $sgpr55
	s_and_saveexec_b64 s[44:45], s[0:1]
; %bb.135:                              ;   in Loop: Header=BB258_13 Depth=1
	s_mov_b32 s55, 0x7fc02000
	s_xor_b64 s[40:41], exec, -1
; %bb.136:                              ;   in Loop: Header=BB258_13 Depth=1
	s_or_b64 exec, exec, s[44:45]
	s_and_b64 s[40:41], s[40:41], exec
	s_or_saveexec_b64 s[42:43], s[42:43]
	v_mov_b32_e32 v12, s55
	s_xor_b64 exec, exec, s[42:43]
	s_cbranch_execz .LBB258_70
.LBB258_137:                            ;   in Loop: Header=BB258_13 Depth=1
	v_cmp_ne_u16_e64 s[0:1], 0, v2
	s_andn2_b64 s[40:41], s[40:41], exec
	s_and_b64 s[0:1], s[0:1], exec
	v_mov_b32_e32 v12, 0
	s_or_b64 s[40:41], s[40:41], s[0:1]
	s_or_b64 exec, exec, s[42:43]
	s_and_saveexec_b64 s[42:43], s[40:41]
	s_cbranch_execnz .LBB258_71
	s_branch .LBB258_72
.LBB258_138:                            ;   in Loop: Header=BB258_13 Depth=1
	v_cmp_eq_u16_sdwa s[56:57], v2, s53 src0_sel:BYTE_0 src1_sel:DWORD
	s_mov_b64 s[0:1], -1
                                        ; implicit-def: $sgpr44
	s_and_saveexec_b64 s[42:43], s[56:57]
; %bb.139:                              ;   in Loop: Header=BB258_13 Depth=1
	s_mov_b32 s44, 0x7fc02000
	s_xor_b64 s[0:1], exec, -1
; %bb.140:                              ;   in Loop: Header=BB258_13 Depth=1
	s_or_b64 exec, exec, s[42:43]
	s_and_b64 s[0:1], s[0:1], exec
	s_or_saveexec_b64 s[40:41], s[40:41]
	v_mov_b32_e32 v41, s44
	s_xor_b64 exec, exec, s[40:41]
	s_cbranch_execz .LBB258_74
.LBB258_141:                            ;   in Loop: Header=BB258_13 Depth=1
	v_cmp_ne_u16_sdwa s[42:43], v2, v3 src0_sel:BYTE_0 src1_sel:DWORD
	s_andn2_b64 s[0:1], s[0:1], exec
	s_and_b64 s[42:43], s[42:43], exec
	v_mov_b32_e32 v41, 0
	s_or_b64 s[0:1], s[0:1], s[42:43]
	s_or_b64 exec, exec, s[40:41]
	s_and_saveexec_b64 s[40:41], s[0:1]
	s_cbranch_execnz .LBB258_75
	s_branch .LBB258_76
.LBB258_142:                            ;   in Loop: Header=BB258_13 Depth=1
	v_cmp_eq_u16_e64 s[0:1], s53, v2
	s_mov_b64 s[40:41], -1
                                        ; implicit-def: $sgpr55
	s_and_saveexec_b64 s[44:45], s[0:1]
; %bb.143:                              ;   in Loop: Header=BB258_13 Depth=1
	s_mov_b32 s55, 0x7fc02000
	s_xor_b64 s[40:41], exec, -1
; %bb.144:                              ;   in Loop: Header=BB258_13 Depth=1
	s_or_b64 exec, exec, s[44:45]
	s_and_b64 s[40:41], s[40:41], exec
	s_or_saveexec_b64 s[42:43], s[42:43]
	v_mov_b32_e32 v42, s55
	s_xor_b64 exec, exec, s[42:43]
	s_cbranch_execz .LBB258_78
.LBB258_145:                            ;   in Loop: Header=BB258_13 Depth=1
	v_cmp_ne_u16_e64 s[0:1], 0, v2
	s_andn2_b64 s[40:41], s[40:41], exec
	s_and_b64 s[0:1], s[0:1], exec
	v_mov_b32_e32 v42, 0
	s_or_b64 s[40:41], s[40:41], s[0:1]
	s_or_b64 exec, exec, s[42:43]
	s_and_saveexec_b64 s[42:43], s[40:41]
	s_cbranch_execnz .LBB258_79
	s_branch .LBB258_80
.LBB258_146:
	s_or_b64 exec, exec, s[38:39]
.LBB258_147:
	s_or_b64 exec, exec, s[18:19]
	v_mbcnt_hi_u32_b32 v8, -1, v16
	v_and_b32_e32 v2, 64, v8
	v_add_u32_e32 v9, 64, v2
	v_xor_b32_e32 v2, 32, v8
	v_cmp_lt_i32_e32 vcc, v2, v9
	v_xor_b32_e32 v5, 16, v8
	v_max_f32_e32 v4, v19, v19
	v_cndmask_b32_e32 v2, v8, v2, vcc
	v_lshlrev_b32_e32 v2, 2, v2
	ds_bpermute_b32 v3, v2, v19
	v_cmp_lt_i32_e32 vcc, v5, v9
	v_xor_b32_e32 v6, 8, v8
	v_xor_b32_e32 v7, 4, v8
	s_waitcnt lgkmcnt(1)
	v_xor_b32_e32 v10, 2, v8
	s_waitcnt lgkmcnt(0)
	v_max_f32_e32 v3, v3, v3
	v_max_f32_e32 v4, v4, v3
	v_cndmask_b32_e32 v3, v8, v5, vcc
	v_lshlrev_b32_e32 v3, 2, v3
	ds_bpermute_b32 v5, v3, v4
	v_cmp_lt_i32_e32 vcc, v6, v9
	v_and_b32_e32 v20, 63, v0
	s_waitcnt lgkmcnt(0)
	v_max_f32_e32 v5, v5, v5
	v_max_f32_e32 v5, v4, v5
	v_cndmask_b32_e32 v4, v8, v6, vcc
	v_lshlrev_b32_e32 v4, 2, v4
	ds_bpermute_b32 v6, v4, v5
	v_cmp_lt_i32_e32 vcc, v7, v9
	s_waitcnt lgkmcnt(0)
	v_max_f32_e32 v6, v6, v6
	v_max_f32_e32 v6, v5, v6
	v_cndmask_b32_e32 v5, v8, v7, vcc
	v_lshlrev_b32_e32 v5, 2, v5
	ds_bpermute_b32 v7, v5, v6
	v_cmp_lt_i32_e32 vcc, v10, v9
	s_waitcnt lgkmcnt(0)
	v_max_f32_e32 v7, v7, v7
	v_max_f32_e32 v7, v6, v7
	v_cndmask_b32_e32 v6, v8, v10, vcc
	v_lshlrev_b32_e32 v21, 2, v6
	ds_bpermute_b32 v10, v21, v7
	v_cmp_eq_u32_e32 vcc, 0, v20
	v_lshlrev_b32_e32 v6, 2, v1
	s_and_saveexec_b64 s[0:1], vcc
	s_cbranch_execz .LBB258_149
; %bb.148:
	s_waitcnt lgkmcnt(0)
	v_max_f32_e32 v10, v10, v10
	v_max_f32_e32 v7, v7, v7
	;; [unrolled: 1-line block ×3, first 2 shown]
	ds_write_b32 v6, v7 offset:64
.LBB258_149:
	s_or_b64 exec, exec, s[0:1]
	v_cmp_gt_u32_e64 s[0:1], 2, v20
	s_waitcnt lgkmcnt(0)
	v_mov_b32_e32 v10, 0xff7fffff
	v_lshlrev_b32_e32 v7, 2, v20
	s_barrier
	s_and_saveexec_b64 s[2:3], s[0:1]
	s_cbranch_execz .LBB258_151
; %bb.150:
	ds_read_b32 v10, v7 offset:64
.LBB258_151:
	s_or_b64 exec, exec, s[2:3]
	v_xor_b32_e32 v11, 1, v8
	v_cmp_lt_i32_e64 s[2:3], v11, v9
	s_nop 1
	v_cndmask_b32_e64 v9, v8, v11, s[2:3]
	v_lshlrev_b32_e32 v22, 2, v9
	s_waitcnt lgkmcnt(0)
	ds_bpermute_b32 v9, v22, v10
	v_max_f32_e32 v10, v10, v10
	v_lshlrev_b32_e32 v8, 2, v8
	v_and_b32_e32 v8, 0x100, v8
	s_lshl_b32 s2, s46, 5
	s_waitcnt lgkmcnt(0)
	v_max_f32_e32 v9, v9, v9
	v_max_f32_e32 v9, v10, v9
	ds_bpermute_b32 v10, v8, v9
	s_min_i32 s37, s2, s11
	v_cmp_gt_i32_e64 s[2:3], s37, v0
	v_mov_b32_e32 v9, 0
	s_and_saveexec_b64 s[12:13], s[2:3]
	s_cbranch_execz .LBB258_155
; %bb.152:
	v_mov_b32_e32 v9, 0x50
	v_lshl_add_u32 v11, v0, 2, v9
	s_mov_b64 s[18:19], 0
	v_mov_b32_e32 v9, 0
	v_mov_b32_e32 v12, v0
.LBB258_153:                            ; =>This Inner Loop Header: Depth=1
	ds_read_b32 v16, v11
	v_add_u32_e32 v12, 0x80, v12
	v_cmp_le_i32_e64 s[8:9], s37, v12
	s_or_b64 s[18:19], s[8:9], s[18:19]
	s_waitcnt lgkmcnt(0)
	v_sub_f32_e32 v16, v16, v10
	v_mul_f32_e32 v16, 0x3fb8aa3b, v16
	v_exp_f32_e32 v16, v16
	ds_write_b32 v11, v16
	v_add_f32_e32 v9, v9, v16
	v_add_u32_e32 v11, 0x200, v11
	s_andn2_b64 exec, exec, s[18:19]
	s_cbranch_execnz .LBB258_153
; %bb.154:
	s_or_b64 exec, exec, s[18:19]
.LBB258_155:
	s_or_b64 exec, exec, s[12:13]
	ds_bpermute_b32 v2, v2, v9
	s_waitcnt lgkmcnt(0)
	v_add_f32_e32 v2, v9, v2
	ds_bpermute_b32 v3, v3, v2
	s_waitcnt lgkmcnt(0)
	v_add_f32_e32 v2, v2, v3
	ds_bpermute_b32 v3, v4, v2
	s_waitcnt lgkmcnt(0)
	v_add_f32_e32 v2, v2, v3
	ds_bpermute_b32 v3, v5, v2
	s_waitcnt lgkmcnt(0)
	v_add_f32_e32 v2, v2, v3
	ds_bpermute_b32 v3, v21, v2
	s_waitcnt lgkmcnt(0)
	v_add_f32_e32 v2, v2, v3
	ds_bpermute_b32 v3, v22, v2
	s_waitcnt lgkmcnt(0)
	v_add_f32_e32 v2, v2, v3
	s_and_saveexec_b64 s[8:9], vcc
	s_cbranch_execz .LBB258_157
; %bb.156:
	ds_write_b32 v6, v2 offset:72
.LBB258_157:
	s_or_b64 exec, exec, s[8:9]
	s_waitcnt lgkmcnt(0)
	s_barrier
	s_and_saveexec_b64 s[8:9], s[0:1]
	s_cbranch_execz .LBB258_159
; %bb.158:
	ds_read_b32 v2, v7 offset:72
.LBB258_159:
	s_or_b64 exec, exec, s[8:9]
	s_waitcnt lgkmcnt(0)
	ds_bpermute_b32 v3, v22, v2
	s_waitcnt lgkmcnt(0)
	v_add_f32_e32 v2, v2, v3
	ds_bpermute_b32 v2, v8, v2
	s_and_saveexec_b64 s[0:1], s[2:3]
	s_cbranch_execz .LBB258_172
; %bb.160:
	s_waitcnt lgkmcnt(0)
	v_add_f32_e32 v2, 0x358637bd, v2
	v_div_scale_f32 v3, s[2:3], v2, v2, 1.0
	v_rcp_f32_e32 v4, v3
	v_div_scale_f32 v5, vcc, 1.0, v2, 1.0
	s_movk_i32 s2, 0x7f
	v_fma_f32 v6, -v3, v4, 1.0
	v_fmac_f32_e32 v4, v6, v4
	v_mul_f32_e32 v6, v5, v4
	v_fma_f32 v7, -v3, v6, v5
	v_fmac_f32_e32 v6, v7, v4
	v_fma_f32 v3, -v3, v6, v5
	v_div_fmas_f32 v3, v3, v4, v6
	v_xad_u32 v4, v0, -1, s37
	v_div_fixup_f32 v2, v3, v2, 1.0
	v_cmp_lt_u32_e32 vcc, s2, v4
	s_mov_b64 s[8:9], -1
	v_mov_b32_e32 v3, v0
	s_and_saveexec_b64 s[2:3], vcc
	s_cbranch_execz .LBB258_169
; %bb.161:
	v_lshrrev_b32_e32 v4, 7, v4
	v_add_u32_e32 v6, -1, v4
	v_lshrrev_b32_e32 v5, 1, v6
	v_mov_b32_e32 v3, v2
	v_add_u32_e32 v5, 1, v5
	v_cmp_lt_u32_e32 vcc, 13, v6
	v_mov_b32_e32 v8, 0
	s_and_saveexec_b64 s[8:9], vcc
	s_cbranch_execz .LBB258_165
; %bb.162:
	v_mov_b32_e32 v7, 0x50
	v_and_b32_e32 v6, -8, v5
	v_lshl_add_u32 v7, v0, 2, v7
	s_mov_b32 s18, 0
	s_mov_b64 s[12:13], 0
.LBB258_163:                            ; =>This Inner Loop Header: Depth=1
	ds_read2st64_b32 v[8:9], v7 offset1:2
	ds_read2st64_b32 v[10:11], v7 offset0:4 offset1:6
	ds_read2st64_b32 v[16:17], v7 offset0:8 offset1:10
	;; [unrolled: 1-line block ×3, first 2 shown]
	v_add_u32_e32 v6, -8, v6
	s_waitcnt lgkmcnt(3)
	v_pk_mul_f32 v[8:9], v[2:3], v[8:9]
	s_waitcnt lgkmcnt(2)
	v_pk_mul_f32 v[10:11], v[2:3], v[10:11]
	ds_write2st64_b32 v7, v8, v9 offset1:2
	ds_write2st64_b32 v7, v10, v11 offset0:4 offset1:6
	ds_read2st64_b32 v[10:11], v7 offset0:16 offset1:18
	s_waitcnt lgkmcnt(4)
	v_pk_mul_f32 v[8:9], v[2:3], v[16:17]
	ds_write2st64_b32 v7, v8, v9 offset0:8 offset1:10
	s_waitcnt lgkmcnt(4)
	v_pk_mul_f32 v[8:9], v[2:3], v[18:19]
	ds_write2st64_b32 v7, v8, v9 offset0:12 offset1:14
	ds_read2st64_b32 v[8:9], v7 offset0:20 offset1:22
	s_waitcnt lgkmcnt(3)
	v_pk_mul_f32 v[10:11], v[2:3], v[10:11]
	ds_read2st64_b32 v[16:17], v7 offset0:24 offset1:26
	ds_write2st64_b32 v7, v10, v11 offset0:16 offset1:18
	ds_read2st64_b32 v[10:11], v7 offset0:28 offset1:30
	s_waitcnt lgkmcnt(3)
	v_pk_mul_f32 v[8:9], v[2:3], v[8:9]
	ds_write2st64_b32 v7, v8, v9 offset0:20 offset1:22
	s_waitcnt lgkmcnt(3)
	v_pk_mul_f32 v[8:9], v[2:3], v[16:17]
	ds_write2st64_b32 v7, v8, v9 offset0:24 offset1:26
	s_waitcnt lgkmcnt(2)
	v_pk_mul_f32 v[8:9], v[2:3], v[10:11]
	s_add_i32 s18, s18, 16
	v_cmp_eq_u32_e32 vcc, 0, v6
	ds_write2st64_b32 v7, v8, v9 offset0:28 offset1:30
	v_add_u32_e32 v7, 0x2000, v7
	s_or_b64 s[12:13], vcc, s[12:13]
	v_mov_b32_e32 v8, s18
	s_andn2_b64 exec, exec, s[12:13]
	s_cbranch_execnz .LBB258_163
; %bb.164:
	s_or_b64 exec, exec, s[12:13]
.LBB258_165:
	s_or_b64 exec, exec, s[8:9]
	v_and_b32_e32 v5, 7, v5
	v_cmp_ne_u32_e32 vcc, 0, v5
	s_and_saveexec_b64 s[8:9], vcc
	s_cbranch_execz .LBB258_168
; %bb.166:
	v_lshlrev_b32_e32 v6, 9, v8
	v_lshlrev_b32_e32 v7, 2, v0
	s_movk_i32 s12, 0x50
	v_add3_u32 v6, v6, v7, s12
	s_mov_b64 s[12:13], 0
.LBB258_167:                            ; =>This Inner Loop Header: Depth=1
	ds_read2st64_b32 v[8:9], v6 offset1:2
	v_add_u32_e32 v5, -1, v5
	v_cmp_eq_u32_e32 vcc, 0, v5
	s_or_b64 s[12:13], vcc, s[12:13]
	s_waitcnt lgkmcnt(0)
	v_pk_mul_f32 v[8:9], v[2:3], v[8:9]
	ds_write2st64_b32 v6, v8, v9 offset1:2
	v_add_u32_e32 v6, 0x400, v6
	s_andn2_b64 exec, exec, s[12:13]
	s_cbranch_execnz .LBB258_167
.LBB258_168:
	s_or_b64 exec, exec, s[8:9]
	v_add_u32_e32 v4, 1, v4
	v_and_b32_e32 v5, 0x3fffffe, v4
	v_cmp_ne_u32_e32 vcc, v4, v5
	v_lshl_add_u32 v3, v5, 7, v0
	s_orn2_b64 s[8:9], vcc, exec
.LBB258_169:
	s_or_b64 exec, exec, s[2:3]
	s_and_b64 exec, exec, s[8:9]
	s_cbranch_execz .LBB258_172
; %bb.170:
	v_mov_b32_e32 v4, 0x50
	v_lshl_add_u32 v4, v3, 2, v4
	s_mov_b64 s[2:3], 0
.LBB258_171:                            ; =>This Inner Loop Header: Depth=1
	ds_read_b32 v5, v4
	v_add_u32_e32 v3, 0x80, v3
	v_cmp_le_i32_e32 vcc, s37, v3
	s_or_b64 s[2:3], vcc, s[2:3]
	s_waitcnt lgkmcnt(0)
	v_mul_f32_e32 v5, v2, v5
	ds_write_b32 v4, v5
	v_add_u32_e32 v4, 0x200, v4
	s_andn2_b64 exec, exec, s[2:3]
	s_cbranch_execnz .LBB258_171
.LBB258_172:
	s_or_b64 exec, exec, s[0:1]
	s_mov_b32 s0, 0
	v_mov_b32_e32 v3, 0
	v_and_b32_e32 v23, 3, v0
	s_waitcnt lgkmcnt(0)
	v_mov_b32_e32 v2, 0
	s_barrier
	s_and_saveexec_b64 s[2:3], s[6:7]
	s_cbranch_execz .LBB258_310
; %bb.173:
	s_sub_i32 s21, s16, s21
	s_ashr_i32 s1, s47, 31
	s_add_u32 s6, s34, s47
	s_addc_u32 s7, s35, s1
	s_abs_i32 s22, s22
	v_cvt_f32_u32_e32 v2, s22
	s_sub_i32 s1, 0, s22
	v_and_b32_e32 v4, 0x1f8, v14
	v_mov_b32_e32 v5, 0
	v_rcp_iflag_f32_e32 v2, v2
	s_add_i32 s37, s46, -1
	v_lshl_add_u64 v[6:7], s[6:7], 0, v[4:5]
	s_lshl_b64 s[6:7], s[30:31], 2
	v_mul_f32_e32 v2, 0x4f7ffffe, v2
	v_cvt_u32_f32_e32 v2, v2
	s_add_u32 s6, s28, s6
	v_and_b32_e32 v4, 60, v15
	s_addc_u32 s7, s29, s7
	v_mul_lo_u32 v3, s1, v2
	v_mul_hi_u32 v3, v2, v3
	v_add_u32_e32 v25, v2, v3
	v_lshlrev_b32_e32 v2, 5, v23
	v_lshl_or_b32 v2, v1, 7, v2
	s_mov_b32 s1, s0
	v_and_b32_e32 v24, 24, v14
	s_mov_b32 s34, s17
	s_mov_b32 s35, s11
	v_lshl_add_u64 v[8:9], s[6:7], 0, v[4:5]
	v_add_u32_e32 v26, 0x50, v2
	s_mov_b64 s[6:7], 0
	v_mov_b64_e32 v[2:3], s[0:1]
	s_movk_i32 s28, 0x7f
	s_movk_i32 s29, 0x80
	s_mov_b32 s30, 0x8000
	s_movk_i32 s31, 0x380
	s_mov_b32 s38, 0x3020706
	s_mov_b32 s39, 0x1000504
	;; [unrolled: 1-line block ×3, first 2 shown]
	v_mov_b32_e32 v27, 0x1c00
	s_branch .LBB258_176
.LBB258_174:                            ;   in Loop: Header=BB258_176 Depth=1
	s_or_b64 exec, exec, s[0:1]
	;;#ASMSTART
	v_pk_mul_f16 v11, v37, v11;

	;;#ASMEND
	;;#ASMSTART
	v_pk_mul_f16 v4, v36, v4;

	;;#ASMEND
	;; [unrolled: 4-line block ×4, first 2 shown]
	v_add_f32_e32 v14, v38, v39
	;;#ASMSTART
	v_pk_add_f16 v4, v11, v4;

	;;#ASMEND
	v_add_f32_e32 v2, v2, v14
	;;#ASMSTART
	v_pk_add_f16 v4, v4, v10;

	;;#ASMEND
	s_nop 0
	;;#ASMSTART
	v_pk_add_f16 v4, v4, v12;

	;;#ASMEND
	s_nop 0
	v_lshrrev_b32_e32 v10, 16, v4
	v_and_b32_e32 v4, 0xffff, v4
	;;#ASMSTART
	v_cvt_f32_f16 v4, v4;
	;;#ASMEND
	;;#ASMSTART
	v_cvt_f32_f16 v10, v10;
	;;#ASMEND
	s_nop 0
	v_add_f32_e32 v4, v4, v10
	v_add_f32_e32 v3, v3, v4
.LBB258_175:                            ;   in Loop: Header=BB258_176 Depth=1
	s_or_b64 exec, exec, s[8:9]
	v_add_u32_e32 v1, 2, v1
	v_cmp_le_i32_e32 vcc, s46, v1
	v_lshl_add_u64 v[8:9], v[8:9], 0, 8
	v_add_u32_e32 v13, 64, v13
	s_or_b64 s[6:7], vcc, s[6:7]
	v_add_u32_e32 v26, 0x100, v26
	s_andn2_b64 exec, exec, s[6:7]
	s_cbranch_execz .LBB258_309
.LBB258_176:                            ; =>This Inner Loop Header: Depth=1
	v_mul_hi_u32 v4, v13, s33
	v_mul_lo_u32 v10, v4, s25
	v_sub_u32_e32 v10, v13, v10
	v_add_u32_e32 v11, 1, v4
	v_cmp_le_u32_e32 vcc, s25, v10
	s_nop 1
	v_cndmask_b32_e32 v4, v4, v11, vcc
	v_subrev_u32_e32 v11, s25, v10
	v_cndmask_b32_e32 v10, v10, v11, vcc
	v_add_u32_e32 v11, 1, v4
	v_cmp_le_u32_e32 vcc, s25, v10
	s_nop 1
	v_cndmask_b32_e32 v4, v4, v11, vcc
	v_xor_b32_e32 v4, s23, v4
	v_subrev_u32_e32 v4, s23, v4
	v_add_u32_e32 v10, s36, v4
	v_sub_u32_e32 v12, 0, v10
	v_ashrrev_i32_e32 v11, 31, v10
	v_max_i32_e32 v10, v10, v12
	v_mul_hi_u32 v12, v10, v25
	v_mul_lo_u32 v12, v12, s22
	v_sub_u32_e32 v10, v10, v12
	v_subrev_u32_e32 v12, s22, v10
	v_cmp_le_u32_e32 vcc, s22, v10
	v_cmp_lt_i32_e64 s[0:1], s21, v4
	s_nop 0
	v_cndmask_b32_e32 v10, v10, v12, vcc
	v_subrev_u32_e32 v12, s22, v10
	v_cmp_le_u32_e32 vcc, s22, v10
	s_nop 1
	v_cndmask_b32_e32 v10, v10, v12, vcc
	v_xor_b32_e32 v10, v10, v11
	v_sub_u32_e32 v10, v10, v11
	v_cmp_eq_u32_e32 vcc, 0, v10
	s_or_b64 s[0:1], vcc, s[0:1]
	s_and_saveexec_b64 s[8:9], s[0:1]
	s_cbranch_execz .LBB258_175
; %bb.177:                              ;   in Loop: Header=BB258_176 Depth=1
	ds_read2_b64 v[14:17], v26 offset1:1
	ds_read2_b64 v[28:31], v26 offset0:2 offset1:3
                                        ; implicit-def: $sgpr18
	s_waitcnt lgkmcnt(1)
	;;#ASMSTART
	v_cvt_f16_f32 v34, v14;

	;;#ASMEND
	;;#ASMSTART
	v_cvt_f16_f32 v35, v15;

	;;#ASMEND
	;; [unrolled: 4-line block ×4, first 2 shown]
	s_waitcnt lgkmcnt(0)
	;;#ASMSTART
	v_cvt_f16_f32 v39, v28;

	;;#ASMEND
	;;#ASMSTART
	v_cvt_f16_f32 v40, v29;

	;;#ASMEND
	;;#ASMSTART
	v_cvt_f16_f32 v41, v30;

	;;#ASMEND
	;;#ASMSTART
	v_cvt_f16_f32 v42, v31;

	;;#ASMEND
	global_load_dword v4, v[8:9], off
	s_waitcnt vmcnt(0)
	v_mad_i64_i32 v[10:11], s[0:1], v4, s34, v[6:7]
	global_load_dwordx2 v[14:15], v[10:11], off
	global_load_dword v12, v5, s[14:15]
	s_mov_b64 s[0:1], 0
	s_waitcnt vmcnt(1)
	v_cmp_gt_i16_sdwa s[12:13], v14, s28 src0_sel:BYTE_0 src1_sel:DWORD
	s_and_saveexec_b64 s[16:17], s[12:13]
	s_xor_b64 s[12:13], exec, s[16:17]
	s_cbranch_execnz .LBB258_245
; %bb.178:                              ;   in Loop: Header=BB258_176 Depth=1
	s_or_saveexec_b64 s[12:13], s[12:13]
	v_mov_b32_e32 v16, s18
	s_xor_b64 exec, exec, s[12:13]
	s_cbranch_execnz .LBB258_248
.LBB258_179:                            ;   in Loop: Header=BB258_176 Depth=1
	s_or_b64 exec, exec, s[12:13]
	s_and_saveexec_b64 s[12:13], s[0:1]
	s_cbranch_execz .LBB258_181
.LBB258_180:                            ;   in Loop: Header=BB258_176 Depth=1
	v_and_b32_e32 v4, 7, v14
	v_ffbh_u32_e32 v4, v4
	v_bfe_u32 v16, v14, 3, 4
	v_min_u32_e32 v4, 32, v4
	v_subrev_u32_e32 v17, 28, v4
	v_sub_u32_e32 v4, 29, v4
	v_cmp_eq_u32_e32 vcc, 0, v16
	s_nop 1
	v_cndmask_b32_e32 v4, v16, v4, vcc
	v_cndmask_b32_e32 v16, 0, v17, vcc
	v_lshlrev_b64 v[16:17], v16, v[14:15]
	v_lshlrev_b32_e32 v17, 8, v14
	v_lshl_add_u32 v4, v4, 10, v27
	v_lshlrev_b32_e32 v16, 7, v16
	v_and_or_b32 v4, v17, s30, v4
	v_and_or_b32 v4, v16, s31, v4
	v_cvt_f32_f16_e32 v16, v4
.LBB258_181:                            ;   in Loop: Header=BB258_176 Depth=1
	s_or_b64 exec, exec, s[12:13]
	v_lshrrev_b16_e32 v4, 8, v14
	v_cmp_lt_i16_e32 vcc, s28, v4
	s_mov_b64 s[0:1], 0
                                        ; implicit-def: $sgpr18
	s_and_saveexec_b64 s[12:13], vcc
	s_xor_b64 s[12:13], exec, s[12:13]
	s_cbranch_execnz .LBB258_249
; %bb.182:                              ;   in Loop: Header=BB258_176 Depth=1
	s_or_saveexec_b64 s[12:13], s[12:13]
	v_mov_b32_e32 v18, s18
	s_xor_b64 exec, exec, s[12:13]
	s_cbranch_execnz .LBB258_252
.LBB258_183:                            ;   in Loop: Header=BB258_176 Depth=1
	s_or_b64 exec, exec, s[12:13]
	s_and_saveexec_b64 s[12:13], s[0:1]
	s_cbranch_execz .LBB258_185
.LBB258_184:                            ;   in Loop: Header=BB258_176 Depth=1
	v_and_b32_e32 v17, 7, v4
	v_ffbh_u32_e32 v18, v17
	v_min_u32_e32 v29, 32, v18
	v_subrev_u32_e32 v18, 28, v29
	v_bfe_u32 v28, v4, 3, 4
	v_lshlrev_b64 v[18:19], v18, v[4:5]
	v_sub_u32_e32 v19, 29, v29
	v_cmp_eq_u32_e32 vcc, 0, v28
	v_and_b32_e32 v18, 7, v18
	v_lshlrev_b32_e32 v4, 8, v4
	v_cndmask_b32_e32 v19, v28, v19, vcc
	v_cndmask_b32_e32 v17, v17, v18, vcc
	v_lshl_add_u32 v18, v19, 10, v27
	v_and_or_b32 v4, v4, s30, v18
	v_lshl_or_b32 v4, v17, 7, v4
	v_cvt_f32_f16_e32 v18, v4
.LBB258_185:                            ;   in Loop: Header=BB258_176 Depth=1
	s_or_b64 exec, exec, s[12:13]
	v_lshrrev_b32_e32 v4, 16, v14
	v_cmp_gt_i16_sdwa s[12:13], v4, s28 src0_sel:BYTE_0 src1_sel:DWORD
	s_mov_b64 s[0:1], 0
                                        ; implicit-def: $sgpr18
	s_and_saveexec_b64 s[16:17], s[12:13]
	s_xor_b64 s[12:13], exec, s[16:17]
	s_cbranch_execnz .LBB258_253
; %bb.186:                              ;   in Loop: Header=BB258_176 Depth=1
	s_or_saveexec_b64 s[12:13], s[12:13]
	v_mov_b32_e32 v17, s18
	s_xor_b64 exec, exec, s[12:13]
	s_cbranch_execnz .LBB258_256
.LBB258_187:                            ;   in Loop: Header=BB258_176 Depth=1
	s_or_b64 exec, exec, s[12:13]
	s_and_saveexec_b64 s[12:13], s[0:1]
	s_cbranch_execz .LBB258_189
.LBB258_188:                            ;   in Loop: Header=BB258_176 Depth=1
	v_bfe_u32 v17, v14, 16, 3
	v_ffbh_u32_e32 v28, v17
	v_min_u32_e32 v30, 32, v28
	v_subrev_u32_e32 v28, 28, v30
	v_bfe_u32 v19, v14, 19, 4
	v_lshlrev_b64 v[28:29], v28, v[4:5]
	v_sub_u32_e32 v29, 29, v30
	v_cmp_eq_u32_e32 vcc, 0, v19
	v_and_b32_e32 v28, 7, v28
	v_lshlrev_b32_e32 v4, 8, v4
	v_cndmask_b32_e32 v19, v19, v29, vcc
	v_lshl_add_u32 v19, v19, 10, v27
	v_cndmask_b32_e32 v17, v17, v28, vcc
	v_and_or_b32 v4, v4, s30, v19
	v_lshl_or_b32 v4, v17, 7, v4
	v_cvt_f32_f16_e32 v17, v4
.LBB258_189:                            ;   in Loop: Header=BB258_176 Depth=1
	s_or_b64 exec, exec, s[12:13]
	v_lshrrev_b32_e32 v4, 24, v14
	v_cmp_lt_i16_e32 vcc, s28, v4
	s_mov_b64 s[0:1], 0
                                        ; implicit-def: $sgpr18
	s_and_saveexec_b64 s[12:13], vcc
	s_xor_b64 s[12:13], exec, s[12:13]
	s_cbranch_execnz .LBB258_257
; %bb.190:                              ;   in Loop: Header=BB258_176 Depth=1
	s_or_saveexec_b64 s[12:13], s[12:13]
	v_mov_b32_e32 v19, s18
	s_xor_b64 exec, exec, s[12:13]
	s_cbranch_execnz .LBB258_260
.LBB258_191:                            ;   in Loop: Header=BB258_176 Depth=1
	s_or_b64 exec, exec, s[12:13]
	s_and_saveexec_b64 s[12:13], s[0:1]
	s_cbranch_execz .LBB258_193
.LBB258_192:                            ;   in Loop: Header=BB258_176 Depth=1
	v_bfe_u32 v19, v14, 24, 3
	v_ffbh_u32_e32 v28, v19
	v_min_u32_e32 v30, 32, v28
	v_subrev_u32_e32 v28, 28, v30
	v_bfe_u32 v14, v14, 27, 4
	v_lshlrev_b64 v[28:29], v28, v[4:5]
	v_sub_u32_e32 v29, 29, v30
	v_cmp_eq_u32_e32 vcc, 0, v14
	v_and_b32_e32 v28, 7, v28
	v_lshlrev_b32_e32 v4, 8, v4
	v_cndmask_b32_e32 v14, v14, v29, vcc
	v_lshl_add_u32 v14, v14, 10, v27
	v_cndmask_b32_e32 v19, v19, v28, vcc
	v_and_or_b32 v4, v4, s30, v14
	v_lshl_or_b32 v4, v19, 7, v4
	v_cvt_f32_f16_e32 v19, v4
.LBB258_193:                            ;   in Loop: Header=BB258_176 Depth=1
	s_or_b64 exec, exec, s[12:13]
	v_cmp_gt_i16_sdwa s[12:13], v15, s28 src0_sel:BYTE_0 src1_sel:DWORD
	s_mov_b64 s[0:1], 0
                                        ; implicit-def: $sgpr18
	s_and_saveexec_b64 s[16:17], s[12:13]
	s_xor_b64 s[12:13], exec, s[16:17]
	s_cbranch_execnz .LBB258_261
; %bb.194:                              ;   in Loop: Header=BB258_176 Depth=1
	s_or_saveexec_b64 s[12:13], s[12:13]
	v_mov_b32_e32 v14, s18
	s_xor_b64 exec, exec, s[12:13]
	s_cbranch_execnz .LBB258_264
.LBB258_195:                            ;   in Loop: Header=BB258_176 Depth=1
	s_or_b64 exec, exec, s[12:13]
	v_mov_b32_e32 v4, v15
	s_and_saveexec_b64 s[12:13], s[0:1]
	s_cbranch_execz .LBB258_197
.LBB258_196:                            ;   in Loop: Header=BB258_176 Depth=1
	v_and_b32_e32 v14, 7, v15
	v_ffbh_u32_e32 v14, v14
	v_bfe_u32 v28, v15, 3, 4
	v_min_u32_e32 v14, 32, v14
	v_subrev_u32_e32 v29, 28, v14
	v_sub_u32_e32 v14, 29, v14
	v_cmp_eq_u32_e32 vcc, 0, v28
	s_nop 1
	v_cndmask_b32_e32 v14, v28, v14, vcc
	v_cndmask_b32_e32 v28, 0, v29, vcc
	v_lshlrev_b64 v[28:29], v28, v[4:5]
	v_lshlrev_b32_e32 v29, 8, v15
	v_lshl_add_u32 v14, v14, 10, v27
	v_lshlrev_b32_e32 v28, 7, v28
	v_and_or_b32 v14, v29, s30, v14
	v_and_or_b32 v14, v28, s31, v14
	v_cvt_f32_f16_e32 v14, v14
.LBB258_197:                            ;   in Loop: Header=BB258_176 Depth=1
	s_or_b64 exec, exec, s[12:13]
	v_lshrrev_b16_e32 v4, 8, v4
	v_cmp_lt_i16_e32 vcc, s28, v4
	s_mov_b64 s[0:1], 0
                                        ; implicit-def: $sgpr18
	s_and_saveexec_b64 s[12:13], vcc
	s_xor_b64 s[12:13], exec, s[12:13]
	s_cbranch_execnz .LBB258_265
; %bb.198:                              ;   in Loop: Header=BB258_176 Depth=1
	s_or_saveexec_b64 s[12:13], s[12:13]
	v_mov_b32_e32 v29, s18
	s_xor_b64 exec, exec, s[12:13]
	s_cbranch_execnz .LBB258_268
.LBB258_199:                            ;   in Loop: Header=BB258_176 Depth=1
	s_or_b64 exec, exec, s[12:13]
	s_and_saveexec_b64 s[12:13], s[0:1]
	s_cbranch_execz .LBB258_201
.LBB258_200:                            ;   in Loop: Header=BB258_176 Depth=1
	v_and_b32_e32 v30, 7, v4
	v_ffbh_u32_e32 v28, v30
	v_min_u32_e32 v32, 32, v28
	v_subrev_u32_e32 v28, 28, v32
	v_bfe_u32 v31, v4, 3, 4
	v_lshlrev_b64 v[28:29], v28, v[4:5]
	v_sub_u32_e32 v29, 29, v32
	v_cmp_eq_u32_e32 vcc, 0, v31
	v_and_b32_e32 v28, 7, v28
	v_lshlrev_b32_e32 v4, 8, v4
	v_cndmask_b32_e32 v29, v31, v29, vcc
	v_lshl_add_u32 v29, v29, 10, v27
	v_cndmask_b32_e32 v28, v30, v28, vcc
	v_and_or_b32 v4, v4, s30, v29
	v_lshl_or_b32 v4, v28, 7, v4
	v_cvt_f32_f16_e32 v29, v4
.LBB258_201:                            ;   in Loop: Header=BB258_176 Depth=1
	s_or_b64 exec, exec, s[12:13]
	v_lshrrev_b32_e32 v4, 16, v15
	v_cmp_gt_i16_sdwa s[12:13], v4, s28 src0_sel:BYTE_0 src1_sel:DWORD
	s_mov_b64 s[0:1], 0
                                        ; implicit-def: $sgpr18
	s_and_saveexec_b64 s[16:17], s[12:13]
	s_xor_b64 s[12:13], exec, s[16:17]
	s_cbranch_execnz .LBB258_269
; %bb.202:                              ;   in Loop: Header=BB258_176 Depth=1
	s_or_saveexec_b64 s[12:13], s[12:13]
	v_mov_b32_e32 v30, s18
	s_xor_b64 exec, exec, s[12:13]
	s_cbranch_execnz .LBB258_272
.LBB258_203:                            ;   in Loop: Header=BB258_176 Depth=1
	s_or_b64 exec, exec, s[12:13]
	s_and_saveexec_b64 s[12:13], s[0:1]
	s_cbranch_execz .LBB258_205
.LBB258_204:                            ;   in Loop: Header=BB258_176 Depth=1
	v_bfe_u32 v28, v15, 16, 3
	v_ffbh_u32_e32 v30, v28
	v_min_u32_e32 v33, 32, v30
	v_subrev_u32_e32 v30, 28, v33
	v_bfe_u32 v32, v15, 19, 4
	v_lshlrev_b64 v[30:31], v30, v[4:5]
	v_sub_u32_e32 v31, 29, v33
	v_cmp_eq_u32_e32 vcc, 0, v32
	v_and_b32_e32 v30, 7, v30
	v_lshlrev_b32_e32 v4, 8, v4
	v_cndmask_b32_e32 v31, v32, v31, vcc
	v_cndmask_b32_e32 v28, v28, v30, vcc
	v_lshl_add_u32 v30, v31, 10, v27
	v_and_or_b32 v4, v4, s30, v30
	v_lshl_or_b32 v4, v28, 7, v4
	v_cvt_f32_f16_e32 v30, v4
.LBB258_205:                            ;   in Loop: Header=BB258_176 Depth=1
	s_or_b64 exec, exec, s[12:13]
	v_lshrrev_b32_e32 v4, 24, v15
	v_cmp_lt_i16_e32 vcc, s28, v4
	s_mov_b64 s[0:1], 0
                                        ; implicit-def: $sgpr18
	s_and_saveexec_b64 s[12:13], vcc
	s_xor_b64 s[12:13], exec, s[12:13]
	s_cbranch_execnz .LBB258_273
; %bb.206:                              ;   in Loop: Header=BB258_176 Depth=1
	s_or_saveexec_b64 s[12:13], s[12:13]
	v_mov_b32_e32 v31, s18
	s_xor_b64 exec, exec, s[12:13]
	s_cbranch_execnz .LBB258_276
.LBB258_207:                            ;   in Loop: Header=BB258_176 Depth=1
	s_or_b64 exec, exec, s[12:13]
	s_and_saveexec_b64 s[12:13], s[0:1]
	s_cbranch_execz .LBB258_209
.LBB258_208:                            ;   in Loop: Header=BB258_176 Depth=1
	v_bfe_u32 v28, v15, 24, 3
	v_ffbh_u32_e32 v31, v28
	v_bfe_u32 v15, v15, 27, 4
	v_min_u32_e32 v31, 32, v31
	v_subrev_u32_e32 v32, 28, v31
	v_sub_u32_e32 v31, 29, v31
	v_cmp_eq_u32_e32 vcc, 0, v15
	v_lshlrev_b64 v[32:33], v32, v[4:5]
	v_and_b32_e32 v32, 7, v32
	v_cndmask_b32_e32 v15, v15, v31, vcc
	v_lshlrev_b32_e32 v4, 8, v4
	v_lshl_add_u32 v15, v15, 10, v27
	v_cndmask_b32_e32 v28, v28, v32, vcc
	v_and_or_b32 v4, v4, s30, v15
	v_lshl_or_b32 v4, v28, 7, v4
	v_cvt_f32_f16_e32 v31, v4
.LBB258_209:                            ;   in Loop: Header=BB258_176 Depth=1
	s_or_b64 exec, exec, s[12:13]
	s_waitcnt vmcnt(0)
	v_pk_mul_f32 v[18:19], v[12:13], v[18:19] op_sel_hi:[0,1]
	v_pk_mul_f32 v[16:17], v[12:13], v[16:17] op_sel_hi:[0,1]
	v_cvt_f16_f32_e32 v4, v19
	v_cvt_f16_f32_e32 v15, v18
	;; [unrolled: 1-line block ×4, first 2 shown]
	v_fma_mixlo_f16 v14, v12, v14, 0
	v_pack_b32_f16 v15, v15, v4
	v_add_u32_e32 v28, v24, v13
	v_pack_b32_f16 v16, v16, v17
	v_perm_b32 v4, v16, v15, s38
	v_perm_b32 v15, v16, v15, s39
	v_fma_mixlo_f16 v16, v12, v29, 0
	v_lshlrev_b32_e32 v16, 16, v16
	v_or_b32_sdwa v14, v16, v14 dst_sel:DWORD dst_unused:UNUSED_PAD src0_sel:DWORD src1_sel:WORD_0
	v_fma_mixlo_f16 v16, v12, v30, 0
	v_fma_mixlo_f16 v12, v12, v31, 0
	v_lshlrev_b32_e32 v12, 16, v12
	v_cmp_eq_u32_e32 vcc, s37, v1
	v_or_b32_sdwa v12, v12, v16 dst_sel:DWORD dst_unused:UNUSED_PAD src0_sel:DWORD src1_sel:WORD_0
	v_add_u32_e32 v33, 1, v28
	v_or_b32_e32 v32, 3, v28
	v_or_b32_e32 v31, 2, v28
	;; [unrolled: 1-line block ×6, first 2 shown]
	s_and_saveexec_b64 s[12:13], vcc
	s_cbranch_execz .LBB258_211
; %bb.210:                              ;   in Loop: Header=BB258_176 Depth=1
	v_lshrrev_b32_e32 v17, 16, v15
	v_cmp_gt_i32_e64 s[0:1], s35, v33
	v_lshrrev_b32_e32 v12, 16, v12
	s_nop 0
	v_cndmask_b32_e64 v17, 0, v17, s[0:1]
	v_cmp_gt_i32_e64 s[0:1], s11, v28
	s_nop 1
	v_cndmask_b32_e64 v15, 0, v15, s[0:1]
	v_perm_b32 v15, v17, v15, s40
	v_lshrrev_b32_e32 v17, 16, v4
	v_cmp_gt_i32_e64 s[0:1], s35, v32
	s_nop 1
	v_cndmask_b32_e64 v17, 0, v17, s[0:1]
	v_cmp_gt_i32_e64 s[0:1], s11, v31
	s_nop 1
	v_cndmask_b32_e64 v4, 0, v4, s[0:1]
	v_perm_b32 v4, v17, v4, s40
	v_lshrrev_b32_e32 v17, 16, v14
	v_cmp_gt_i32_e64 s[0:1], s35, v30
	s_nop 1
	v_cndmask_b32_e64 v17, 0, v17, s[0:1]
	v_cmp_gt_i32_e64 s[0:1], s11, v29
	s_nop 1
	v_cndmask_b32_e64 v14, 0, v14, s[0:1]
	v_cmp_gt_i32_e64 s[0:1], s35, v19
	v_perm_b32 v14, v17, v14, s40
	s_nop 0
	v_cndmask_b32_e64 v12, 0, v12, s[0:1]
	v_cmp_gt_i32_e64 s[0:1], s11, v18
	s_nop 1
	v_cndmask_b32_e64 v16, 0, v16, s[0:1]
	v_perm_b32 v12, v12, v16, s40
.LBB258_211:                            ;   in Loop: Header=BB258_176 Depth=1
	s_or_b64 exec, exec, s[12:13]
	v_and_b32_e32 v16, 0xffff, v34
	v_lshl_or_b32 v37, v35, 16, v16
	v_and_b32_e32 v16, 0xffff, v36
	v_lshl_or_b32 v36, v38, 16, v16
	;; [unrolled: 2-line block ×3, first 2 shown]
	v_and_b32_e32 v16, 0xffff, v41
	;;#ASMSTART
	v_pk_mul_f16 v15, v37, v15;

	;;#ASMEND
	;;#ASMSTART
	v_pk_mul_f16 v4, v36, v4;

	;;#ASMEND
	v_lshl_or_b32 v34, v42, 16, v16
	;;#ASMSTART
	v_pk_mul_f16 v14, v35, v14;

	;;#ASMEND
	;;#ASMSTART
	v_pk_mul_f16 v12, v34, v12;

	;;#ASMEND
	;;#ASMSTART
	v_pk_add_f16 v4, v15, v4;

	;;#ASMEND
	s_mov_b64 s[0:1], 0
	;;#ASMSTART
	v_pk_add_f16 v4, v4, v14;

	;;#ASMEND
                                        ; implicit-def: $sgpr18
	s_nop 0
	;;#ASMSTART
	v_pk_add_f16 v4, v4, v12;

	;;#ASMEND
	s_nop 0
	v_lshrrev_b32_e32 v12, 16, v4
	v_and_b32_e32 v4, 0xffff, v4
	;;#ASMSTART
	v_cvt_f32_f16 v38, v4;
	;;#ASMEND
	;;#ASMSTART
	v_cvt_f32_f16 v39, v12;
	;;#ASMEND
	global_load_dwordx2 v[14:15], v[10:11], off offset:512
	global_load_dword v12, v5, s[14:15]
	s_waitcnt vmcnt(1)
	v_cmp_gt_i16_sdwa s[12:13], v14, s28 src0_sel:BYTE_0 src1_sel:DWORD
	s_and_saveexec_b64 s[16:17], s[12:13]
	s_xor_b64 s[12:13], exec, s[16:17]
	s_cbranch_execnz .LBB258_277
; %bb.212:                              ;   in Loop: Header=BB258_176 Depth=1
	s_or_saveexec_b64 s[12:13], s[12:13]
	v_mov_b32_e32 v10, s18
	s_xor_b64 exec, exec, s[12:13]
	s_cbranch_execnz .LBB258_280
.LBB258_213:                            ;   in Loop: Header=BB258_176 Depth=1
	s_or_b64 exec, exec, s[12:13]
	s_and_saveexec_b64 s[12:13], s[0:1]
	s_cbranch_execz .LBB258_215
.LBB258_214:                            ;   in Loop: Header=BB258_176 Depth=1
	v_and_b32_e32 v4, 7, v14
	v_ffbh_u32_e32 v4, v4
	v_bfe_u32 v10, v14, 3, 4
	v_min_u32_e32 v4, 32, v4
	v_subrev_u32_e32 v11, 28, v4
	v_sub_u32_e32 v4, 29, v4
	v_cmp_eq_u32_e64 s[0:1], 0, v10
	s_nop 1
	v_cndmask_b32_e64 v4, v10, v4, s[0:1]
	v_cndmask_b32_e64 v10, 0, v11, s[0:1]
	v_lshlrev_b64 v[10:11], v10, v[14:15]
	v_lshlrev_b32_e32 v11, 8, v14
	v_lshl_add_u32 v4, v4, 10, v27
	v_lshlrev_b32_e32 v10, 7, v10
	v_and_or_b32 v4, v11, s30, v4
	v_and_or_b32 v4, v10, s31, v4
	v_cvt_f32_f16_e32 v10, v4
.LBB258_215:                            ;   in Loop: Header=BB258_176 Depth=1
	s_or_b64 exec, exec, s[12:13]
	v_lshrrev_b16_e32 v4, 8, v14
	v_cmp_lt_i16_e64 s[0:1], s28, v4
	s_mov_b64 s[12:13], 0
                                        ; implicit-def: $sgpr41
	s_and_saveexec_b64 s[16:17], s[0:1]
	s_xor_b64 s[16:17], exec, s[16:17]
	s_cbranch_execnz .LBB258_281
; %bb.216:                              ;   in Loop: Header=BB258_176 Depth=1
	s_or_saveexec_b64 s[16:17], s[16:17]
	v_mov_b32_e32 v16, s41
	s_xor_b64 exec, exec, s[16:17]
	s_cbranch_execnz .LBB258_284
.LBB258_217:                            ;   in Loop: Header=BB258_176 Depth=1
	s_or_b64 exec, exec, s[16:17]
	s_and_saveexec_b64 s[16:17], s[12:13]
	s_cbranch_execz .LBB258_219
.LBB258_218:                            ;   in Loop: Header=BB258_176 Depth=1
	v_and_b32_e32 v11, 7, v4
	v_ffbh_u32_e32 v16, v11
	v_min_u32_e32 v41, 32, v16
	v_subrev_u32_e32 v16, 28, v41
	v_bfe_u32 v40, v4, 3, 4
	v_lshlrev_b64 v[16:17], v16, v[4:5]
	v_sub_u32_e32 v17, 29, v41
	v_cmp_eq_u32_e64 s[0:1], 0, v40
	v_and_b32_e32 v16, 7, v16
	v_lshlrev_b32_e32 v4, 8, v4
	v_cndmask_b32_e64 v17, v40, v17, s[0:1]
	v_cndmask_b32_e64 v11, v11, v16, s[0:1]
	v_lshl_add_u32 v16, v17, 10, v27
	v_and_or_b32 v4, v4, s30, v16
	v_lshl_or_b32 v4, v11, 7, v4
	v_cvt_f32_f16_e32 v16, v4
.LBB258_219:                            ;   in Loop: Header=BB258_176 Depth=1
	s_or_b64 exec, exec, s[16:17]
	v_lshrrev_b32_e32 v4, 16, v14
	v_cmp_gt_i16_sdwa s[12:13], v4, s28 src0_sel:BYTE_0 src1_sel:DWORD
	s_mov_b64 s[0:1], 0
                                        ; implicit-def: $sgpr18
	s_and_saveexec_b64 s[16:17], s[12:13]
	s_xor_b64 s[12:13], exec, s[16:17]
	s_cbranch_execnz .LBB258_285
; %bb.220:                              ;   in Loop: Header=BB258_176 Depth=1
	s_or_saveexec_b64 s[12:13], s[12:13]
	v_mov_b32_e32 v11, s18
	s_xor_b64 exec, exec, s[12:13]
	s_cbranch_execnz .LBB258_288
.LBB258_221:                            ;   in Loop: Header=BB258_176 Depth=1
	s_or_b64 exec, exec, s[12:13]
	s_and_saveexec_b64 s[12:13], s[0:1]
	s_cbranch_execz .LBB258_223
.LBB258_222:                            ;   in Loop: Header=BB258_176 Depth=1
	v_bfe_u32 v11, v14, 16, 3
	v_ffbh_u32_e32 v40, v11
	v_min_u32_e32 v42, 32, v40
	v_subrev_u32_e32 v40, 28, v42
	v_bfe_u32 v17, v14, 19, 4
	v_lshlrev_b64 v[40:41], v40, v[4:5]
	v_sub_u32_e32 v41, 29, v42
	v_cmp_eq_u32_e64 s[0:1], 0, v17
	v_and_b32_e32 v40, 7, v40
	v_lshlrev_b32_e32 v4, 8, v4
	v_cndmask_b32_e64 v17, v17, v41, s[0:1]
	v_lshl_add_u32 v17, v17, 10, v27
	v_cndmask_b32_e64 v11, v11, v40, s[0:1]
	v_and_or_b32 v4, v4, s30, v17
	v_lshl_or_b32 v4, v11, 7, v4
	v_cvt_f32_f16_e32 v11, v4
.LBB258_223:                            ;   in Loop: Header=BB258_176 Depth=1
	s_or_b64 exec, exec, s[12:13]
	v_lshrrev_b32_e32 v4, 24, v14
	v_cmp_lt_i16_e64 s[0:1], s28, v4
	s_mov_b64 s[12:13], 0
                                        ; implicit-def: $sgpr41
	s_and_saveexec_b64 s[16:17], s[0:1]
	s_xor_b64 s[16:17], exec, s[16:17]
	s_cbranch_execnz .LBB258_289
; %bb.224:                              ;   in Loop: Header=BB258_176 Depth=1
	s_or_saveexec_b64 s[16:17], s[16:17]
	v_mov_b32_e32 v17, s41
	s_xor_b64 exec, exec, s[16:17]
	s_cbranch_execnz .LBB258_292
.LBB258_225:                            ;   in Loop: Header=BB258_176 Depth=1
	s_or_b64 exec, exec, s[16:17]
	s_and_saveexec_b64 s[16:17], s[12:13]
	s_cbranch_execz .LBB258_227
.LBB258_226:                            ;   in Loop: Header=BB258_176 Depth=1
	v_bfe_u32 v17, v14, 24, 3
	v_ffbh_u32_e32 v40, v17
	v_min_u32_e32 v42, 32, v40
	v_subrev_u32_e32 v40, 28, v42
	v_bfe_u32 v14, v14, 27, 4
	v_lshlrev_b64 v[40:41], v40, v[4:5]
	v_sub_u32_e32 v41, 29, v42
	v_cmp_eq_u32_e64 s[0:1], 0, v14
	v_and_b32_e32 v40, 7, v40
	v_lshlrev_b32_e32 v4, 8, v4
	v_cndmask_b32_e64 v14, v14, v41, s[0:1]
	v_lshl_add_u32 v14, v14, 10, v27
	v_cndmask_b32_e64 v17, v17, v40, s[0:1]
	v_and_or_b32 v4, v4, s30, v14
	v_lshl_or_b32 v4, v17, 7, v4
	v_cvt_f32_f16_e32 v17, v4
.LBB258_227:                            ;   in Loop: Header=BB258_176 Depth=1
	s_or_b64 exec, exec, s[16:17]
	v_cmp_gt_i16_sdwa s[12:13], v15, s28 src0_sel:BYTE_0 src1_sel:DWORD
	s_mov_b64 s[0:1], 0
                                        ; implicit-def: $sgpr18
	s_and_saveexec_b64 s[16:17], s[12:13]
	s_xor_b64 s[12:13], exec, s[16:17]
	s_cbranch_execnz .LBB258_293
; %bb.228:                              ;   in Loop: Header=BB258_176 Depth=1
	s_or_saveexec_b64 s[12:13], s[12:13]
	v_mov_b32_e32 v14, s18
	s_xor_b64 exec, exec, s[12:13]
	s_cbranch_execnz .LBB258_296
.LBB258_229:                            ;   in Loop: Header=BB258_176 Depth=1
	s_or_b64 exec, exec, s[12:13]
	v_mov_b32_e32 v4, v15
	s_and_saveexec_b64 s[12:13], s[0:1]
	s_cbranch_execz .LBB258_231
.LBB258_230:                            ;   in Loop: Header=BB258_176 Depth=1
	v_and_b32_e32 v14, 7, v15
	v_ffbh_u32_e32 v14, v14
	v_bfe_u32 v40, v15, 3, 4
	v_min_u32_e32 v14, 32, v14
	v_subrev_u32_e32 v41, 28, v14
	v_sub_u32_e32 v14, 29, v14
	v_cmp_eq_u32_e64 s[0:1], 0, v40
	s_nop 1
	v_cndmask_b32_e64 v14, v40, v14, s[0:1]
	v_cndmask_b32_e64 v40, 0, v41, s[0:1]
	v_lshlrev_b64 v[40:41], v40, v[4:5]
	v_lshlrev_b32_e32 v41, 8, v15
	v_lshl_add_u32 v14, v14, 10, v27
	v_lshlrev_b32_e32 v40, 7, v40
	v_and_or_b32 v14, v41, s30, v14
	v_and_or_b32 v14, v40, s31, v14
	v_cvt_f32_f16_e32 v14, v14
.LBB258_231:                            ;   in Loop: Header=BB258_176 Depth=1
	s_or_b64 exec, exec, s[12:13]
	v_lshrrev_b16_e32 v4, 8, v4
	v_cmp_lt_i16_e64 s[0:1], s28, v4
	s_mov_b64 s[12:13], 0
                                        ; implicit-def: $sgpr41
	s_and_saveexec_b64 s[16:17], s[0:1]
	s_xor_b64 s[16:17], exec, s[16:17]
	s_cbranch_execnz .LBB258_297
; %bb.232:                              ;   in Loop: Header=BB258_176 Depth=1
	s_or_saveexec_b64 s[16:17], s[16:17]
	v_mov_b32_e32 v40, s41
	s_xor_b64 exec, exec, s[16:17]
	s_cbranch_execnz .LBB258_300
.LBB258_233:                            ;   in Loop: Header=BB258_176 Depth=1
	s_or_b64 exec, exec, s[16:17]
	s_and_saveexec_b64 s[16:17], s[12:13]
	s_cbranch_execz .LBB258_235
.LBB258_234:                            ;   in Loop: Header=BB258_176 Depth=1
	v_and_b32_e32 v42, 7, v4
	v_ffbh_u32_e32 v40, v42
	v_min_u32_e32 v44, 32, v40
	v_subrev_u32_e32 v40, 28, v44
	v_bfe_u32 v43, v4, 3, 4
	v_lshlrev_b64 v[40:41], v40, v[4:5]
	v_sub_u32_e32 v41, 29, v44
	v_cmp_eq_u32_e64 s[0:1], 0, v43
	v_and_b32_e32 v40, 7, v40
	v_lshlrev_b32_e32 v4, 8, v4
	v_cndmask_b32_e64 v41, v43, v41, s[0:1]
	v_lshl_add_u32 v41, v41, 10, v27
	v_cndmask_b32_e64 v40, v42, v40, s[0:1]
	v_and_or_b32 v4, v4, s30, v41
	v_lshl_or_b32 v4, v40, 7, v4
	v_cvt_f32_f16_e32 v40, v4
.LBB258_235:                            ;   in Loop: Header=BB258_176 Depth=1
	s_or_b64 exec, exec, s[16:17]
	v_lshrrev_b32_e32 v4, 16, v15
	v_cmp_gt_i16_sdwa s[12:13], v4, s28 src0_sel:BYTE_0 src1_sel:DWORD
	s_mov_b64 s[0:1], 0
                                        ; implicit-def: $sgpr18
	s_and_saveexec_b64 s[16:17], s[12:13]
	s_xor_b64 s[12:13], exec, s[16:17]
	s_cbranch_execnz .LBB258_301
; %bb.236:                              ;   in Loop: Header=BB258_176 Depth=1
	s_or_saveexec_b64 s[12:13], s[12:13]
	v_mov_b32_e32 v41, s18
	s_xor_b64 exec, exec, s[12:13]
	s_cbranch_execnz .LBB258_304
.LBB258_237:                            ;   in Loop: Header=BB258_176 Depth=1
	s_or_b64 exec, exec, s[12:13]
	s_and_saveexec_b64 s[12:13], s[0:1]
	s_cbranch_execz .LBB258_239
.LBB258_238:                            ;   in Loop: Header=BB258_176 Depth=1
	v_bfe_u32 v41, v15, 16, 3
	v_ffbh_u32_e32 v42, v41
	v_min_u32_e32 v45, 32, v42
	v_subrev_u32_e32 v42, 28, v45
	v_bfe_u32 v44, v15, 19, 4
	v_lshlrev_b64 v[42:43], v42, v[4:5]
	v_sub_u32_e32 v43, 29, v45
	v_cmp_eq_u32_e64 s[0:1], 0, v44
	v_and_b32_e32 v42, 7, v42
	v_lshlrev_b32_e32 v4, 8, v4
	v_cndmask_b32_e64 v43, v44, v43, s[0:1]
	v_cndmask_b32_e64 v41, v41, v42, s[0:1]
	v_lshl_add_u32 v42, v43, 10, v27
	v_and_or_b32 v4, v4, s30, v42
	v_lshl_or_b32 v4, v41, 7, v4
	v_cvt_f32_f16_e32 v41, v4
.LBB258_239:                            ;   in Loop: Header=BB258_176 Depth=1
	s_or_b64 exec, exec, s[12:13]
	v_lshrrev_b32_e32 v4, 24, v15
	v_cmp_lt_i16_e64 s[0:1], s28, v4
	s_mov_b64 s[12:13], 0
                                        ; implicit-def: $sgpr41
	s_and_saveexec_b64 s[16:17], s[0:1]
	s_xor_b64 s[16:17], exec, s[16:17]
	s_cbranch_execnz .LBB258_305
; %bb.240:                              ;   in Loop: Header=BB258_176 Depth=1
	s_or_saveexec_b64 s[16:17], s[16:17]
	v_mov_b32_e32 v42, s41
	s_xor_b64 exec, exec, s[16:17]
	s_cbranch_execnz .LBB258_308
.LBB258_241:                            ;   in Loop: Header=BB258_176 Depth=1
	s_or_b64 exec, exec, s[16:17]
	s_and_saveexec_b64 s[16:17], s[12:13]
	s_cbranch_execz .LBB258_243
.LBB258_242:                            ;   in Loop: Header=BB258_176 Depth=1
	v_bfe_u32 v44, v15, 24, 3
	v_ffbh_u32_e32 v42, v44
	v_min_u32_e32 v45, 32, v42
	v_subrev_u32_e32 v42, 28, v45
	v_bfe_u32 v15, v15, 27, 4
	v_lshlrev_b64 v[42:43], v42, v[4:5]
	v_sub_u32_e32 v43, 29, v45
	v_cmp_eq_u32_e64 s[0:1], 0, v15
	v_and_b32_e32 v42, 7, v42
	v_lshlrev_b32_e32 v4, 8, v4
	v_cndmask_b32_e64 v15, v15, v43, s[0:1]
	v_lshl_add_u32 v15, v15, 10, v27
	v_cndmask_b32_e64 v42, v44, v42, s[0:1]
	v_and_or_b32 v4, v4, s30, v15
	v_lshl_or_b32 v4, v42, 7, v4
	v_cvt_f32_f16_e32 v42, v4
.LBB258_243:                            ;   in Loop: Header=BB258_176 Depth=1
	s_or_b64 exec, exec, s[16:17]
	s_waitcnt vmcnt(0)
	v_pk_mul_f32 v[16:17], v[12:13], v[16:17] op_sel_hi:[0,1]
	v_pk_mul_f32 v[10:11], v[12:13], v[10:11] op_sel_hi:[0,1]
	v_cvt_f16_f32_e32 v4, v17
	v_cvt_f16_f32_e32 v15, v16
	;; [unrolled: 1-line block ×4, first 2 shown]
	v_fma_mixlo_f16 v14, v12, v14, 0
	v_pack_b32_f16 v15, v15, v4
	v_pack_b32_f16 v10, v10, v11
	v_perm_b32 v4, v10, v15, s38
	v_perm_b32 v11, v10, v15, s39
	v_fma_mixlo_f16 v10, v12, v40, 0
	v_lshlrev_b32_e32 v10, 16, v10
	v_or_b32_sdwa v10, v10, v14 dst_sel:DWORD dst_unused:UNUSED_PAD src0_sel:DWORD src1_sel:WORD_0
	v_fma_mixlo_f16 v14, v12, v41, 0
	v_fma_mixlo_f16 v12, v12, v42, 0
	v_lshlrev_b32_e32 v12, 16, v12
	v_or_b32_sdwa v12, v12, v14 dst_sel:DWORD dst_unused:UNUSED_PAD src0_sel:DWORD src1_sel:WORD_0
	s_and_saveexec_b64 s[0:1], vcc
	s_cbranch_execz .LBB258_174
; %bb.244:                              ;   in Loop: Header=BB258_176 Depth=1
	v_lshrrev_b32_e32 v15, 16, v11
	v_cmp_gt_i32_e32 vcc, s35, v33
	v_lshrrev_b32_e32 v12, 16, v12
	s_nop 0
	v_cndmask_b32_e32 v15, 0, v15, vcc
	v_cmp_gt_i32_e32 vcc, s11, v28
	s_nop 1
	v_cndmask_b32_e32 v11, 0, v11, vcc
	v_perm_b32 v11, v15, v11, s40
	v_lshrrev_b32_e32 v15, 16, v4
	v_cmp_gt_i32_e32 vcc, s35, v32
	s_nop 1
	v_cndmask_b32_e32 v15, 0, v15, vcc
	v_cmp_gt_i32_e32 vcc, s11, v31
	s_nop 1
	v_cndmask_b32_e32 v4, 0, v4, vcc
	v_perm_b32 v4, v15, v4, s40
	v_lshrrev_b32_e32 v15, 16, v10
	v_cmp_gt_i32_e32 vcc, s35, v30
	s_nop 1
	v_cndmask_b32_e32 v15, 0, v15, vcc
	v_cmp_gt_i32_e32 vcc, s11, v29
	s_nop 1
	v_cndmask_b32_e32 v10, 0, v10, vcc
	v_cmp_gt_i32_e32 vcc, s35, v19
	v_perm_b32 v10, v15, v10, s40
	s_nop 0
	v_cndmask_b32_e32 v12, 0, v12, vcc
	v_cmp_gt_i32_e32 vcc, s11, v18
	s_nop 1
	v_cndmask_b32_e32 v14, 0, v14, vcc
	v_perm_b32 v12, v12, v14, s40
	s_branch .LBB258_174
.LBB258_245:                            ;   in Loop: Header=BB258_176 Depth=1
	v_cmp_eq_u16_sdwa s[42:43], v14, s29 src0_sel:BYTE_0 src1_sel:DWORD
	s_mov_b64 s[0:1], -1
                                        ; implicit-def: $sgpr18
	s_and_saveexec_b64 s[16:17], s[42:43]
; %bb.246:                              ;   in Loop: Header=BB258_176 Depth=1
	s_mov_b32 s18, 0x7fc02000
	s_xor_b64 s[0:1], exec, -1
; %bb.247:                              ;   in Loop: Header=BB258_176 Depth=1
	s_or_b64 exec, exec, s[16:17]
	s_and_b64 s[0:1], s[0:1], exec
	s_or_saveexec_b64 s[12:13], s[12:13]
	v_mov_b32_e32 v16, s18
	s_xor_b64 exec, exec, s[12:13]
	s_cbranch_execz .LBB258_179
.LBB258_248:                            ;   in Loop: Header=BB258_176 Depth=1
	v_cmp_ne_u16_sdwa s[16:17], v14, v5 src0_sel:BYTE_0 src1_sel:DWORD
	s_andn2_b64 s[0:1], s[0:1], exec
	s_and_b64 s[16:17], s[16:17], exec
	v_mov_b32_e32 v16, 0
	s_or_b64 s[0:1], s[0:1], s[16:17]
	s_or_b64 exec, exec, s[12:13]
	s_and_saveexec_b64 s[12:13], s[0:1]
	s_cbranch_execnz .LBB258_180
	s_branch .LBB258_181
.LBB258_249:                            ;   in Loop: Header=BB258_176 Depth=1
	v_cmp_eq_u16_e32 vcc, s29, v4
	s_mov_b64 s[0:1], -1
                                        ; implicit-def: $sgpr18
	s_and_saveexec_b64 s[16:17], vcc
; %bb.250:                              ;   in Loop: Header=BB258_176 Depth=1
	s_mov_b32 s18, 0x7fc02000
	s_xor_b64 s[0:1], exec, -1
; %bb.251:                              ;   in Loop: Header=BB258_176 Depth=1
	s_or_b64 exec, exec, s[16:17]
	s_and_b64 s[0:1], s[0:1], exec
	s_or_saveexec_b64 s[12:13], s[12:13]
	v_mov_b32_e32 v18, s18
	s_xor_b64 exec, exec, s[12:13]
	s_cbranch_execz .LBB258_183
.LBB258_252:                            ;   in Loop: Header=BB258_176 Depth=1
	v_cmp_ne_u16_e32 vcc, 0, v4
	s_andn2_b64 s[0:1], s[0:1], exec
	s_and_b64 s[16:17], vcc, exec
	v_mov_b32_e32 v18, 0
	s_or_b64 s[0:1], s[0:1], s[16:17]
	s_or_b64 exec, exec, s[12:13]
	s_and_saveexec_b64 s[12:13], s[0:1]
	s_cbranch_execnz .LBB258_184
	s_branch .LBB258_185
.LBB258_253:                            ;   in Loop: Header=BB258_176 Depth=1
	v_cmp_eq_u16_sdwa s[42:43], v4, s29 src0_sel:BYTE_0 src1_sel:DWORD
	s_mov_b64 s[0:1], -1
                                        ; implicit-def: $sgpr18
	s_and_saveexec_b64 s[16:17], s[42:43]
; %bb.254:                              ;   in Loop: Header=BB258_176 Depth=1
	s_mov_b32 s18, 0x7fc02000
	s_xor_b64 s[0:1], exec, -1
; %bb.255:                              ;   in Loop: Header=BB258_176 Depth=1
	s_or_b64 exec, exec, s[16:17]
	s_and_b64 s[0:1], s[0:1], exec
	s_or_saveexec_b64 s[12:13], s[12:13]
	v_mov_b32_e32 v17, s18
	s_xor_b64 exec, exec, s[12:13]
	s_cbranch_execz .LBB258_187
.LBB258_256:                            ;   in Loop: Header=BB258_176 Depth=1
	v_cmp_ne_u16_sdwa s[16:17], v4, v5 src0_sel:BYTE_0 src1_sel:DWORD
	s_andn2_b64 s[0:1], s[0:1], exec
	s_and_b64 s[16:17], s[16:17], exec
	v_mov_b32_e32 v17, 0
	s_or_b64 s[0:1], s[0:1], s[16:17]
	s_or_b64 exec, exec, s[12:13]
	s_and_saveexec_b64 s[12:13], s[0:1]
	s_cbranch_execnz .LBB258_188
	s_branch .LBB258_189
.LBB258_257:                            ;   in Loop: Header=BB258_176 Depth=1
	v_cmp_eq_u16_e32 vcc, s29, v4
	s_mov_b64 s[0:1], -1
                                        ; implicit-def: $sgpr18
	s_and_saveexec_b64 s[16:17], vcc
; %bb.258:                              ;   in Loop: Header=BB258_176 Depth=1
	s_mov_b32 s18, 0x7fc02000
	s_xor_b64 s[0:1], exec, -1
; %bb.259:                              ;   in Loop: Header=BB258_176 Depth=1
	s_or_b64 exec, exec, s[16:17]
	s_and_b64 s[0:1], s[0:1], exec
	s_or_saveexec_b64 s[12:13], s[12:13]
	v_mov_b32_e32 v19, s18
	s_xor_b64 exec, exec, s[12:13]
	s_cbranch_execz .LBB258_191
.LBB258_260:                            ;   in Loop: Header=BB258_176 Depth=1
	v_cmp_ne_u16_e32 vcc, 0, v4
	s_andn2_b64 s[0:1], s[0:1], exec
	s_and_b64 s[16:17], vcc, exec
	v_mov_b32_e32 v19, 0
	s_or_b64 s[0:1], s[0:1], s[16:17]
	s_or_b64 exec, exec, s[12:13]
	s_and_saveexec_b64 s[12:13], s[0:1]
	s_cbranch_execnz .LBB258_192
	s_branch .LBB258_193
.LBB258_261:                            ;   in Loop: Header=BB258_176 Depth=1
	v_cmp_eq_u16_sdwa s[42:43], v15, s29 src0_sel:BYTE_0 src1_sel:DWORD
	s_mov_b64 s[0:1], -1
                                        ; implicit-def: $sgpr18
	s_and_saveexec_b64 s[16:17], s[42:43]
; %bb.262:                              ;   in Loop: Header=BB258_176 Depth=1
	s_mov_b32 s18, 0x7fc02000
	s_xor_b64 s[0:1], exec, -1
; %bb.263:                              ;   in Loop: Header=BB258_176 Depth=1
	s_or_b64 exec, exec, s[16:17]
	s_and_b64 s[0:1], s[0:1], exec
	s_or_saveexec_b64 s[12:13], s[12:13]
	v_mov_b32_e32 v14, s18
	s_xor_b64 exec, exec, s[12:13]
	s_cbranch_execz .LBB258_195
.LBB258_264:                            ;   in Loop: Header=BB258_176 Depth=1
	v_cmp_ne_u16_sdwa s[16:17], v15, v5 src0_sel:BYTE_0 src1_sel:DWORD
	s_andn2_b64 s[0:1], s[0:1], exec
	s_and_b64 s[16:17], s[16:17], exec
	v_mov_b32_e32 v14, 0
	s_or_b64 s[0:1], s[0:1], s[16:17]
	s_or_b64 exec, exec, s[12:13]
	v_mov_b32_e32 v4, v15
	s_and_saveexec_b64 s[12:13], s[0:1]
	s_cbranch_execnz .LBB258_196
	s_branch .LBB258_197
.LBB258_265:                            ;   in Loop: Header=BB258_176 Depth=1
	v_cmp_eq_u16_e32 vcc, s29, v4
	s_mov_b64 s[0:1], -1
                                        ; implicit-def: $sgpr18
	s_and_saveexec_b64 s[16:17], vcc
; %bb.266:                              ;   in Loop: Header=BB258_176 Depth=1
	s_mov_b32 s18, 0x7fc02000
	s_xor_b64 s[0:1], exec, -1
; %bb.267:                              ;   in Loop: Header=BB258_176 Depth=1
	s_or_b64 exec, exec, s[16:17]
	s_and_b64 s[0:1], s[0:1], exec
	s_or_saveexec_b64 s[12:13], s[12:13]
	v_mov_b32_e32 v29, s18
	s_xor_b64 exec, exec, s[12:13]
	s_cbranch_execz .LBB258_199
.LBB258_268:                            ;   in Loop: Header=BB258_176 Depth=1
	v_cmp_ne_u16_e32 vcc, 0, v4
	s_andn2_b64 s[0:1], s[0:1], exec
	s_and_b64 s[16:17], vcc, exec
	v_mov_b32_e32 v29, 0
	s_or_b64 s[0:1], s[0:1], s[16:17]
	s_or_b64 exec, exec, s[12:13]
	s_and_saveexec_b64 s[12:13], s[0:1]
	s_cbranch_execnz .LBB258_200
	s_branch .LBB258_201
.LBB258_269:                            ;   in Loop: Header=BB258_176 Depth=1
	v_cmp_eq_u16_sdwa s[42:43], v4, s29 src0_sel:BYTE_0 src1_sel:DWORD
	s_mov_b64 s[0:1], -1
                                        ; implicit-def: $sgpr18
	s_and_saveexec_b64 s[16:17], s[42:43]
; %bb.270:                              ;   in Loop: Header=BB258_176 Depth=1
	s_mov_b32 s18, 0x7fc02000
	s_xor_b64 s[0:1], exec, -1
; %bb.271:                              ;   in Loop: Header=BB258_176 Depth=1
	s_or_b64 exec, exec, s[16:17]
	s_and_b64 s[0:1], s[0:1], exec
	s_or_saveexec_b64 s[12:13], s[12:13]
	v_mov_b32_e32 v30, s18
	s_xor_b64 exec, exec, s[12:13]
	s_cbranch_execz .LBB258_203
.LBB258_272:                            ;   in Loop: Header=BB258_176 Depth=1
	v_cmp_ne_u16_sdwa s[16:17], v4, v5 src0_sel:BYTE_0 src1_sel:DWORD
	s_andn2_b64 s[0:1], s[0:1], exec
	s_and_b64 s[16:17], s[16:17], exec
	v_mov_b32_e32 v30, 0
	s_or_b64 s[0:1], s[0:1], s[16:17]
	s_or_b64 exec, exec, s[12:13]
	s_and_saveexec_b64 s[12:13], s[0:1]
	s_cbranch_execnz .LBB258_204
	s_branch .LBB258_205
.LBB258_273:                            ;   in Loop: Header=BB258_176 Depth=1
	v_cmp_eq_u16_e32 vcc, s29, v4
	s_mov_b64 s[0:1], -1
                                        ; implicit-def: $sgpr18
	s_and_saveexec_b64 s[16:17], vcc
; %bb.274:                              ;   in Loop: Header=BB258_176 Depth=1
	s_mov_b32 s18, 0x7fc02000
	s_xor_b64 s[0:1], exec, -1
; %bb.275:                              ;   in Loop: Header=BB258_176 Depth=1
	s_or_b64 exec, exec, s[16:17]
	s_and_b64 s[0:1], s[0:1], exec
	s_or_saveexec_b64 s[12:13], s[12:13]
	v_mov_b32_e32 v31, s18
	s_xor_b64 exec, exec, s[12:13]
	s_cbranch_execz .LBB258_207
.LBB258_276:                            ;   in Loop: Header=BB258_176 Depth=1
	v_cmp_ne_u16_e32 vcc, 0, v4
	s_andn2_b64 s[0:1], s[0:1], exec
	s_and_b64 s[16:17], vcc, exec
	v_mov_b32_e32 v31, 0
	s_or_b64 s[0:1], s[0:1], s[16:17]
	s_or_b64 exec, exec, s[12:13]
	s_and_saveexec_b64 s[12:13], s[0:1]
	s_cbranch_execnz .LBB258_208
	s_branch .LBB258_209
.LBB258_277:                            ;   in Loop: Header=BB258_176 Depth=1
	v_cmp_eq_u16_sdwa s[42:43], v14, s29 src0_sel:BYTE_0 src1_sel:DWORD
	s_mov_b64 s[0:1], -1
                                        ; implicit-def: $sgpr18
	s_and_saveexec_b64 s[16:17], s[42:43]
; %bb.278:                              ;   in Loop: Header=BB258_176 Depth=1
	s_mov_b32 s18, 0x7fc02000
	s_xor_b64 s[0:1], exec, -1
; %bb.279:                              ;   in Loop: Header=BB258_176 Depth=1
	s_or_b64 exec, exec, s[16:17]
	s_and_b64 s[0:1], s[0:1], exec
	s_or_saveexec_b64 s[12:13], s[12:13]
	v_mov_b32_e32 v10, s18
	s_xor_b64 exec, exec, s[12:13]
	s_cbranch_execz .LBB258_213
.LBB258_280:                            ;   in Loop: Header=BB258_176 Depth=1
	v_cmp_ne_u16_sdwa s[16:17], v14, v5 src0_sel:BYTE_0 src1_sel:DWORD
	s_andn2_b64 s[0:1], s[0:1], exec
	s_and_b64 s[16:17], s[16:17], exec
	v_mov_b32_e32 v10, 0
	s_or_b64 s[0:1], s[0:1], s[16:17]
	s_or_b64 exec, exec, s[12:13]
	s_and_saveexec_b64 s[12:13], s[0:1]
	s_cbranch_execnz .LBB258_214
	s_branch .LBB258_215
.LBB258_281:                            ;   in Loop: Header=BB258_176 Depth=1
	v_cmp_eq_u16_e64 s[0:1], s29, v4
	s_mov_b64 s[12:13], -1
                                        ; implicit-def: $sgpr41
	s_and_saveexec_b64 s[18:19], s[0:1]
; %bb.282:                              ;   in Loop: Header=BB258_176 Depth=1
	s_mov_b32 s41, 0x7fc02000
	s_xor_b64 s[12:13], exec, -1
; %bb.283:                              ;   in Loop: Header=BB258_176 Depth=1
	s_or_b64 exec, exec, s[18:19]
	s_and_b64 s[12:13], s[12:13], exec
	s_or_saveexec_b64 s[16:17], s[16:17]
	v_mov_b32_e32 v16, s41
	s_xor_b64 exec, exec, s[16:17]
	s_cbranch_execz .LBB258_217
.LBB258_284:                            ;   in Loop: Header=BB258_176 Depth=1
	v_cmp_ne_u16_e64 s[0:1], 0, v4
	s_andn2_b64 s[12:13], s[12:13], exec
	s_and_b64 s[0:1], s[0:1], exec
	v_mov_b32_e32 v16, 0
	s_or_b64 s[12:13], s[12:13], s[0:1]
	s_or_b64 exec, exec, s[16:17]
	s_and_saveexec_b64 s[16:17], s[12:13]
	s_cbranch_execnz .LBB258_218
	s_branch .LBB258_219
.LBB258_285:                            ;   in Loop: Header=BB258_176 Depth=1
	v_cmp_eq_u16_sdwa s[42:43], v4, s29 src0_sel:BYTE_0 src1_sel:DWORD
	s_mov_b64 s[0:1], -1
                                        ; implicit-def: $sgpr18
	s_and_saveexec_b64 s[16:17], s[42:43]
; %bb.286:                              ;   in Loop: Header=BB258_176 Depth=1
	s_mov_b32 s18, 0x7fc02000
	s_xor_b64 s[0:1], exec, -1
; %bb.287:                              ;   in Loop: Header=BB258_176 Depth=1
	s_or_b64 exec, exec, s[16:17]
	s_and_b64 s[0:1], s[0:1], exec
	s_or_saveexec_b64 s[12:13], s[12:13]
	v_mov_b32_e32 v11, s18
	s_xor_b64 exec, exec, s[12:13]
	s_cbranch_execz .LBB258_221
.LBB258_288:                            ;   in Loop: Header=BB258_176 Depth=1
	v_cmp_ne_u16_sdwa s[16:17], v4, v5 src0_sel:BYTE_0 src1_sel:DWORD
	s_andn2_b64 s[0:1], s[0:1], exec
	s_and_b64 s[16:17], s[16:17], exec
	v_mov_b32_e32 v11, 0
	s_or_b64 s[0:1], s[0:1], s[16:17]
	s_or_b64 exec, exec, s[12:13]
	s_and_saveexec_b64 s[12:13], s[0:1]
	s_cbranch_execnz .LBB258_222
	s_branch .LBB258_223
.LBB258_289:                            ;   in Loop: Header=BB258_176 Depth=1
	v_cmp_eq_u16_e64 s[0:1], s29, v4
	s_mov_b64 s[12:13], -1
                                        ; implicit-def: $sgpr41
	s_and_saveexec_b64 s[18:19], s[0:1]
; %bb.290:                              ;   in Loop: Header=BB258_176 Depth=1
	s_mov_b32 s41, 0x7fc02000
	s_xor_b64 s[12:13], exec, -1
; %bb.291:                              ;   in Loop: Header=BB258_176 Depth=1
	s_or_b64 exec, exec, s[18:19]
	s_and_b64 s[12:13], s[12:13], exec
	s_or_saveexec_b64 s[16:17], s[16:17]
	v_mov_b32_e32 v17, s41
	s_xor_b64 exec, exec, s[16:17]
	s_cbranch_execz .LBB258_225
.LBB258_292:                            ;   in Loop: Header=BB258_176 Depth=1
	v_cmp_ne_u16_e64 s[0:1], 0, v4
	s_andn2_b64 s[12:13], s[12:13], exec
	s_and_b64 s[0:1], s[0:1], exec
	v_mov_b32_e32 v17, 0
	s_or_b64 s[12:13], s[12:13], s[0:1]
	s_or_b64 exec, exec, s[16:17]
	s_and_saveexec_b64 s[16:17], s[12:13]
	s_cbranch_execnz .LBB258_226
	s_branch .LBB258_227
.LBB258_293:                            ;   in Loop: Header=BB258_176 Depth=1
	v_cmp_eq_u16_sdwa s[42:43], v15, s29 src0_sel:BYTE_0 src1_sel:DWORD
	s_mov_b64 s[0:1], -1
                                        ; implicit-def: $sgpr18
	s_and_saveexec_b64 s[16:17], s[42:43]
; %bb.294:                              ;   in Loop: Header=BB258_176 Depth=1
	s_mov_b32 s18, 0x7fc02000
	s_xor_b64 s[0:1], exec, -1
; %bb.295:                              ;   in Loop: Header=BB258_176 Depth=1
	s_or_b64 exec, exec, s[16:17]
	s_and_b64 s[0:1], s[0:1], exec
	s_or_saveexec_b64 s[12:13], s[12:13]
	v_mov_b32_e32 v14, s18
	s_xor_b64 exec, exec, s[12:13]
	s_cbranch_execz .LBB258_229
.LBB258_296:                            ;   in Loop: Header=BB258_176 Depth=1
	v_cmp_ne_u16_sdwa s[16:17], v15, v5 src0_sel:BYTE_0 src1_sel:DWORD
	s_andn2_b64 s[0:1], s[0:1], exec
	s_and_b64 s[16:17], s[16:17], exec
	v_mov_b32_e32 v14, 0
	s_or_b64 s[0:1], s[0:1], s[16:17]
	s_or_b64 exec, exec, s[12:13]
	v_mov_b32_e32 v4, v15
	s_and_saveexec_b64 s[12:13], s[0:1]
	s_cbranch_execnz .LBB258_230
	s_branch .LBB258_231
.LBB258_297:                            ;   in Loop: Header=BB258_176 Depth=1
	v_cmp_eq_u16_e64 s[0:1], s29, v4
	s_mov_b64 s[12:13], -1
                                        ; implicit-def: $sgpr41
	s_and_saveexec_b64 s[18:19], s[0:1]
; %bb.298:                              ;   in Loop: Header=BB258_176 Depth=1
	s_mov_b32 s41, 0x7fc02000
	s_xor_b64 s[12:13], exec, -1
; %bb.299:                              ;   in Loop: Header=BB258_176 Depth=1
	s_or_b64 exec, exec, s[18:19]
	s_and_b64 s[12:13], s[12:13], exec
	s_or_saveexec_b64 s[16:17], s[16:17]
	v_mov_b32_e32 v40, s41
	s_xor_b64 exec, exec, s[16:17]
	s_cbranch_execz .LBB258_233
.LBB258_300:                            ;   in Loop: Header=BB258_176 Depth=1
	v_cmp_ne_u16_e64 s[0:1], 0, v4
	s_andn2_b64 s[12:13], s[12:13], exec
	s_and_b64 s[0:1], s[0:1], exec
	v_mov_b32_e32 v40, 0
	s_or_b64 s[12:13], s[12:13], s[0:1]
	s_or_b64 exec, exec, s[16:17]
	s_and_saveexec_b64 s[16:17], s[12:13]
	s_cbranch_execnz .LBB258_234
	s_branch .LBB258_235
.LBB258_301:                            ;   in Loop: Header=BB258_176 Depth=1
	v_cmp_eq_u16_sdwa s[42:43], v4, s29 src0_sel:BYTE_0 src1_sel:DWORD
	s_mov_b64 s[0:1], -1
                                        ; implicit-def: $sgpr18
	s_and_saveexec_b64 s[16:17], s[42:43]
; %bb.302:                              ;   in Loop: Header=BB258_176 Depth=1
	s_mov_b32 s18, 0x7fc02000
	s_xor_b64 s[0:1], exec, -1
; %bb.303:                              ;   in Loop: Header=BB258_176 Depth=1
	s_or_b64 exec, exec, s[16:17]
	s_and_b64 s[0:1], s[0:1], exec
	s_or_saveexec_b64 s[12:13], s[12:13]
	v_mov_b32_e32 v41, s18
	s_xor_b64 exec, exec, s[12:13]
	s_cbranch_execz .LBB258_237
.LBB258_304:                            ;   in Loop: Header=BB258_176 Depth=1
	v_cmp_ne_u16_sdwa s[16:17], v4, v5 src0_sel:BYTE_0 src1_sel:DWORD
	s_andn2_b64 s[0:1], s[0:1], exec
	s_and_b64 s[16:17], s[16:17], exec
	v_mov_b32_e32 v41, 0
	s_or_b64 s[0:1], s[0:1], s[16:17]
	s_or_b64 exec, exec, s[12:13]
	s_and_saveexec_b64 s[12:13], s[0:1]
	s_cbranch_execnz .LBB258_238
	s_branch .LBB258_239
.LBB258_305:                            ;   in Loop: Header=BB258_176 Depth=1
	v_cmp_eq_u16_e64 s[0:1], s29, v4
	s_mov_b64 s[12:13], -1
                                        ; implicit-def: $sgpr41
	s_and_saveexec_b64 s[18:19], s[0:1]
; %bb.306:                              ;   in Loop: Header=BB258_176 Depth=1
	s_mov_b32 s41, 0x7fc02000
	s_xor_b64 s[12:13], exec, -1
; %bb.307:                              ;   in Loop: Header=BB258_176 Depth=1
	s_or_b64 exec, exec, s[18:19]
	s_and_b64 s[12:13], s[12:13], exec
	s_or_saveexec_b64 s[16:17], s[16:17]
	v_mov_b32_e32 v42, s41
	s_xor_b64 exec, exec, s[16:17]
	s_cbranch_execz .LBB258_241
.LBB258_308:                            ;   in Loop: Header=BB258_176 Depth=1
	v_cmp_ne_u16_e64 s[0:1], 0, v4
	s_andn2_b64 s[12:13], s[12:13], exec
	s_and_b64 s[0:1], s[0:1], exec
	v_mov_b32_e32 v42, 0
	s_or_b64 s[12:13], s[12:13], s[0:1]
	s_or_b64 exec, exec, s[16:17]
	s_and_saveexec_b64 s[16:17], s[12:13]
	s_cbranch_execnz .LBB258_242
	s_branch .LBB258_243
.LBB258_309:
	s_or_b64 exec, exec, s[6:7]
.LBB258_310:
	s_or_b64 exec, exec, s[2:3]
	ds_bpermute_b32 v4, v21, v2
	ds_bpermute_b32 v5, v21, v3
	v_and_b32_e32 v1, 0x3c3, v0
	v_cmp_eq_u32_e32 vcc, 64, v1
	s_waitcnt lgkmcnt(0)
	s_barrier
	v_pk_add_f32 v[2:3], v[2:3], v[4:5]
	ds_bpermute_b32 v4, v22, v2
	ds_bpermute_b32 v5, v22, v3
	s_waitcnt lgkmcnt(0)
	v_pk_add_f32 v[2:3], v[2:3], v[4:5]
	s_and_saveexec_b64 s[0:1], vcc
	s_cbranch_execz .LBB258_312
; %bb.311:
	v_add_u32_e32 v5, 0x50, v20
	v_add_u32_e32 v4, 0x50, v0
	ds_write_b32 v5, v2
	ds_write_b32 v4, v3
.LBB258_312:
	s_or_b64 exec, exec, s[0:1]
	v_cmp_gt_u32_e32 vcc, 64, v0
	s_waitcnt lgkmcnt(0)
	s_barrier
	s_and_saveexec_b64 s[0:1], vcc
	s_cbranch_execz .LBB258_318
; %bb.313:
	v_cmp_eq_u32_e32 vcc, 0, v23
	v_lshrrev_b32_e32 v4, 2, v0
	s_and_saveexec_b64 s[2:3], vcc
	s_cbranch_execz .LBB258_315
; %bb.314:
	v_mov_b32_e32 v5, 0x50
	v_lshl_add_u32 v5, v4, 2, v5
	ds_read_b32 v5, v5
	s_waitcnt lgkmcnt(0)
	v_add_f32_e32 v2, v2, v5
.LBB258_315:
	s_or_b64 exec, exec, s[2:3]
	s_and_saveexec_b64 s[2:3], vcc
	s_cbranch_execz .LBB258_317
; %bb.316:
	v_mov_b32_e32 v5, 0x50
	v_lshl_add_u32 v4, v4, 2, v5
	ds_read_b32 v4, v4 offset:64
	s_waitcnt lgkmcnt(0)
	v_add_f32_e32 v3, v3, v4
.LBB258_317:
	s_or_b64 exec, exec, s[2:3]
.LBB258_318:
	s_or_b64 exec, exec, s[0:1]
	v_cmp_eq_u32_e32 vcc, 0, v1
	s_barrier
	s_and_saveexec_b64 s[0:1], vcc
	s_cbranch_execz .LBB258_320
; %bb.319:
	s_mul_i32 s0, s10, s20
	s_mul_i32 s0, s0, s5
	s_lshl_b32 s0, s0, 5
	s_ashr_i32 s1, s0, 31
	s_lshl_b64 s[0:1], s[0:1], 1
	s_add_u32 s2, s26, s0
	s_mul_i32 s0, s20, s24
	s_addc_u32 s3, s27, s1
	s_ashr_i32 s1, s0, 31
	s_lshl_b64 s[0:1], s[0:1], 1
	s_add_u32 s2, s2, s0
	s_addc_u32 s3, s3, s1
	s_lshl_b32 s0, s4, 5
	s_ashr_i32 s1, s0, 31
	s_lshl_b64 s[0:1], s[0:1], 1
	s_add_u32 s0, s2, s0
	s_addc_u32 s1, s3, s1
	v_lshrrev_b32_e32 v0, 1, v0
	;;#ASMSTART
	v_cvt_f16_f32 v1, v2;

	;;#ASMEND
	global_store_short v0, v1, s[0:1]
	;;#ASMSTART
	v_cvt_f16_f32 v1, v3;

	;;#ASMEND
	global_store_short v0, v1, s[0:1] offset:32
.LBB258_320:
	s_endpgm
	.section	.rodata,"a",@progbits
	.p2align	6, 0x0
	.amdhsa_kernel _ZN4vllm25paged_attention_v1_kernelIthLi32ELi32ELi128ELNS_18Fp8KVCacheDataTypeE1ELb1EEEvPT_PKS2_PKT0_S8_ifPKiSA_iPKfiiiSC_SC_iiiii
		.amdhsa_group_segment_fixed_size 80
		.amdhsa_private_segment_fixed_size 0
		.amdhsa_kernarg_size 384
		.amdhsa_user_sgpr_count 2
		.amdhsa_user_sgpr_dispatch_ptr 0
		.amdhsa_user_sgpr_queue_ptr 0
		.amdhsa_user_sgpr_kernarg_segment_ptr 1
		.amdhsa_user_sgpr_dispatch_id 0
		.amdhsa_user_sgpr_kernarg_preload_length 0
		.amdhsa_user_sgpr_kernarg_preload_offset 0
		.amdhsa_user_sgpr_private_segment_size 0
		.amdhsa_uses_dynamic_stack 0
		.amdhsa_enable_private_segment 0
		.amdhsa_system_sgpr_workgroup_id_x 1
		.amdhsa_system_sgpr_workgroup_id_y 1
		.amdhsa_system_sgpr_workgroup_id_z 1
		.amdhsa_system_sgpr_workgroup_info 0
		.amdhsa_system_vgpr_workitem_id 0
		.amdhsa_next_free_vgpr 48
		.amdhsa_next_free_sgpr 58
		.amdhsa_accum_offset 48
		.amdhsa_reserve_vcc 1
		.amdhsa_float_round_mode_32 0
		.amdhsa_float_round_mode_16_64 0
		.amdhsa_float_denorm_mode_32 3
		.amdhsa_float_denorm_mode_16_64 3
		.amdhsa_dx10_clamp 1
		.amdhsa_ieee_mode 1
		.amdhsa_fp16_overflow 0
		.amdhsa_tg_split 0
		.amdhsa_exception_fp_ieee_invalid_op 0
		.amdhsa_exception_fp_denorm_src 0
		.amdhsa_exception_fp_ieee_div_zero 0
		.amdhsa_exception_fp_ieee_overflow 0
		.amdhsa_exception_fp_ieee_underflow 0
		.amdhsa_exception_fp_ieee_inexact 0
		.amdhsa_exception_int_div_zero 0
	.end_amdhsa_kernel
	.section	.text._ZN4vllm25paged_attention_v1_kernelIthLi32ELi32ELi128ELNS_18Fp8KVCacheDataTypeE1ELb1EEEvPT_PKS2_PKT0_S8_ifPKiSA_iPKfiiiSC_SC_iiiii,"axG",@progbits,_ZN4vllm25paged_attention_v1_kernelIthLi32ELi32ELi128ELNS_18Fp8KVCacheDataTypeE1ELb1EEEvPT_PKS2_PKT0_S8_ifPKiSA_iPKfiiiSC_SC_iiiii,comdat
.Lfunc_end258:
	.size	_ZN4vllm25paged_attention_v1_kernelIthLi32ELi32ELi128ELNS_18Fp8KVCacheDataTypeE1ELb1EEEvPT_PKS2_PKT0_S8_ifPKiSA_iPKfiiiSC_SC_iiiii, .Lfunc_end258-_ZN4vllm25paged_attention_v1_kernelIthLi32ELi32ELi128ELNS_18Fp8KVCacheDataTypeE1ELb1EEEvPT_PKS2_PKT0_S8_ifPKiSA_iPKfiiiSC_SC_iiiii
                                        ; -- End function
	.section	.AMDGPU.csdata,"",@progbits
; Kernel info:
; codeLenInByte = 13400
; NumSgprs: 64
; NumVgprs: 48
; NumAgprs: 0
; TotalNumVgprs: 48
; ScratchSize: 0
; MemoryBound: 0
; FloatMode: 240
; IeeeMode: 1
; LDSByteSize: 80 bytes/workgroup (compile time only)
; SGPRBlocks: 7
; VGPRBlocks: 5
; NumSGPRsForWavesPerEU: 64
; NumVGPRsForWavesPerEU: 48
; AccumOffset: 48
; Occupancy: 8
; WaveLimiterHint : 1
; COMPUTE_PGM_RSRC2:SCRATCH_EN: 0
; COMPUTE_PGM_RSRC2:USER_SGPR: 2
; COMPUTE_PGM_RSRC2:TRAP_HANDLER: 0
; COMPUTE_PGM_RSRC2:TGID_X_EN: 1
; COMPUTE_PGM_RSRC2:TGID_Y_EN: 1
; COMPUTE_PGM_RSRC2:TGID_Z_EN: 1
; COMPUTE_PGM_RSRC2:TIDIG_COMP_CNT: 0
; COMPUTE_PGM_RSRC3_GFX90A:ACCUM_OFFSET: 11
; COMPUTE_PGM_RSRC3_GFX90A:TG_SPLIT: 0
	.section	.text._ZN4vllm25paged_attention_v1_kernelIthLi64ELi32ELi128ELNS_18Fp8KVCacheDataTypeE1ELb1EEEvPT_PKS2_PKT0_S8_ifPKiSA_iPKfiiiSC_SC_iiiii,"axG",@progbits,_ZN4vllm25paged_attention_v1_kernelIthLi64ELi32ELi128ELNS_18Fp8KVCacheDataTypeE1ELb1EEEvPT_PKS2_PKT0_S8_ifPKiSA_iPKfiiiSC_SC_iiiii,comdat
	.protected	_ZN4vllm25paged_attention_v1_kernelIthLi64ELi32ELi128ELNS_18Fp8KVCacheDataTypeE1ELb1EEEvPT_PKS2_PKT0_S8_ifPKiSA_iPKfiiiSC_SC_iiiii ; -- Begin function _ZN4vllm25paged_attention_v1_kernelIthLi64ELi32ELi128ELNS_18Fp8KVCacheDataTypeE1ELb1EEEvPT_PKS2_PKT0_S8_ifPKiSA_iPKfiiiSC_SC_iiiii
	.globl	_ZN4vllm25paged_attention_v1_kernelIthLi64ELi32ELi128ELNS_18Fp8KVCacheDataTypeE1ELb1EEEvPT_PKS2_PKT0_S8_ifPKiSA_iPKfiiiSC_SC_iiiii
	.p2align	8
	.type	_ZN4vllm25paged_attention_v1_kernelIthLi64ELi32ELi128ELNS_18Fp8KVCacheDataTypeE1ELb1EEEvPT_PKS2_PKT0_S8_ifPKiSA_iPKfiiiSC_SC_iiiii,@function
_ZN4vllm25paged_attention_v1_kernelIthLi64ELi32ELi128ELNS_18Fp8KVCacheDataTypeE1ELb1EEEvPT_PKS2_PKT0_S8_ifPKiSA_iPKfiiiSC_SC_iiiii: ; @_ZN4vllm25paged_attention_v1_kernelIthLi64ELi32ELi128ELNS_18Fp8KVCacheDataTypeE1ELb1EEEvPT_PKS2_PKT0_S8_ifPKiSA_iPKfiiiSC_SC_iiiii
; %bb.0:
	s_load_dword s5, s[0:1], 0x80
	s_load_dwordx2 s[6:7], s[0:1], 0x30
	s_load_dwordx2 s[36:37], s[0:1], 0x20
	s_mov_b32 s10, s3
	s_ashr_i32 s11, s3, 31
	s_lshl_b64 s[8:9], s[10:11], 2
	s_waitcnt lgkmcnt(0)
	s_add_u32 s6, s6, s8
	s_addc_u32 s7, s7, s9
	s_abs_i32 s3, s36
	v_cvt_f32_u32_e32 v1, s3
	s_sub_i32 s11, 0, s3
	s_abs_i32 s9, s5
	s_xor_b32 s8, s5, s36
	v_rcp_iflag_f32_e32 v1, v1
	s_ashr_i32 s8, s8, 31
	s_mov_b32 s48, 0
	v_mul_f32_e32 v1, 0x4f7ffffe, v1
	v_cvt_u32_f32_e32 v1, v1
	s_nop 0
	v_readfirstlane_b32 s12, v1
	s_mul_i32 s11, s11, s12
	s_mul_hi_u32 s11, s12, s11
	s_add_i32 s12, s12, s11
	s_mul_hi_u32 s11, s9, s12
	s_mul_i32 s12, s11, s3
	s_sub_i32 s9, s9, s12
	s_add_i32 s12, s11, 1
	s_sub_i32 s13, s9, s3
	s_cmp_ge_u32 s9, s3
	s_cselect_b32 s11, s12, s11
	s_cselect_b32 s9, s13, s9
	s_add_i32 s12, s11, 1
	s_cmp_ge_u32 s9, s3
	s_cselect_b32 s3, s12, s11
	s_xor_b32 s3, s3, s8
	s_sub_i32 s14, s3, s8
	s_abs_i32 s11, s14
	v_cvt_f32_u32_e32 v1, s11
	s_load_dwordx2 s[8:9], s[0:1], 0x40
	s_sub_i32 s3, 0, s11
	s_abs_i32 s12, s2
	v_rcp_iflag_f32_e32 v1, v1
	s_nop 0
	v_mul_f32_e32 v1, 0x4f7ffffe, v1
	v_cvt_u32_f32_e32 v1, v1
	s_nop 0
	v_readfirstlane_b32 s13, v1
	s_mul_i32 s3, s3, s13
	s_mul_hi_u32 s3, s13, s3
	s_add_i32 s13, s13, s3
	s_waitcnt lgkmcnt(0)
	s_cmp_eq_u64 s[8:9], 0
	s_mul_hi_u32 s13, s12, s13
	s_cbranch_scc1 .LBB259_2
; %bb.1:
	s_ashr_i32 s3, s2, 31
	s_lshl_b64 s[16:17], s[2:3], 2
	s_add_u32 s8, s8, s16
	s_addc_u32 s9, s9, s17
	s_load_dword s48, s[8:9], 0x0
.LBB259_2:
	s_load_dword s33, s[6:7], 0x0
	s_load_dwordx4 s[16:19], s[0:1], 0x48
	s_ashr_i32 s8, s2, 31
	s_ashr_i32 s9, s14, 31
	v_and_b32_e32 v7, 1, v0
	s_lshl_b32 s24, s2, 6
	v_cmp_gt_u32_e32 vcc, 16, v0
	v_lshlrev_b32_e32 v13, 3, v0
	s_and_saveexec_b64 s[6:7], vcc
	s_cbranch_execz .LBB259_4
; %bb.3:
	s_load_dwordx2 s[14:15], s[0:1], 0x8
	s_waitcnt lgkmcnt(0)
	s_mul_i32 s20, s10, s16
	s_ashr_i32 s21, s20, 31
	s_lshl_b64 s[20:21], s[20:21], 1
	v_lshlrev_b32_e32 v1, 2, v0
	s_add_u32 s3, s14, s20
	s_addc_u32 s16, s15, s21
	s_ashr_i32 s25, s24, 31
	s_lshl_b64 s[14:15], s[24:25], 1
	s_add_u32 s14, s3, s14
	s_addc_u32 s15, s16, s15
	global_load_dwordx2 v[2:3], v13, s[14:15]
	v_and_b32_e32 v1, 0xff8, v1
	v_lshl_add_u32 v1, v7, 6, v1
	s_waitcnt vmcnt(0)
	ds_write_b64 v1, v[2:3]
.LBB259_4:
	s_or_b64 exec, exec, s[6:7]
	s_mul_i32 s7, s13, s11
	s_sub_i32 s7, s12, s7
	s_xor_b32 s6, s8, s9
	s_add_i32 s8, s13, 1
	s_sub_i32 s9, s7, s11
	s_load_dwordx4 s[20:23], s[0:1], 0x68
	s_load_dword s3, s[0:1], 0x78
	s_cmp_ge_u32 s7, s11
	s_cselect_b32 s8, s8, s13
	s_cselect_b32 s7, s9, s7
	s_add_i32 s9, s8, 1
	s_cmp_ge_u32 s7, s11
	s_cselect_b32 s7, s9, s8
	s_waitcnt lgkmcnt(0)
	s_abs_i32 s25, s23
	v_cvt_f32_u32_e32 v1, s25
	s_xor_b32 s7, s7, s6
	s_sub_i32 s47, s7, s6
	s_sub_i32 s6, 0, s25
	v_rcp_iflag_f32_e32 v1, v1
	s_add_i32 s11, s33, -1
	s_abs_i32 s8, s11
	v_mul_f32_e32 v1, 0x4f7ffffe, v1
	v_cvt_u32_f32_e32 v1, v1
	s_barrier
	v_readfirstlane_b32 s46, v1
	s_mul_i32 s6, s6, s46
	s_mul_hi_u32 s6, s46, s6
	s_add_i32 s46, s46, s6
	s_cmp_lt_i32 s3, 0
	s_mul_hi_u32 s9, s8, s46
	s_cbranch_scc0 .LBB259_6
; %bb.5:
	s_mul_i32 s6, s20, s36
	s_add_i32 s6, s47, s6
	s_mul_i32 s6, s6, s3
	s_sub_i32 s36, 1, s6
	s_mov_b64 s[6:7], 0
	s_branch .LBB259_7
.LBB259_6:
	s_mov_b64 s[6:7], -1
                                        ; implicit-def: $sgpr36
.LBB259_7:
	s_load_dwordx2 s[28:29], s[0:1], 0x28
	s_ashr_i32 s16, s11, 31
	s_andn2_b64 vcc, exec, s[6:7]
	s_ashr_i32 s23, s23, 31
	s_cbranch_vccnz .LBB259_9
; %bb.8:
	s_mul_i32 s6, s5, s20
	s_add_i32 s2, s6, s2
	s_mul_i32 s2, s2, s3
	s_add_i32 s36, s2, 1
.LBB259_9:
	s_load_dword s2, s[0:1], 0x38
	s_load_dwordx2 s[26:27], s[0:1], 0x0
	s_load_dwordx2 s[34:35], s[0:1], 0x18
	s_load_dword s11, s[0:1], 0x88
	s_load_dwordx4 s[12:15], s[0:1], 0x58
	s_mul_i32 s3, s9, s25
	s_waitcnt lgkmcnt(0)
	s_mul_i32 s30, s10, s2
	s_sub_i32 s3, s8, s3
	s_ashr_i32 s31, s30, 31
	s_xor_b32 s2, s16, s23
	s_add_i32 s6, s9, 1
	s_sub_i32 s7, s3, s25
	s_cmp_ge_u32 s3, s25
	s_cselect_b32 s6, s6, s9
	s_cselect_b32 s3, s7, s3
	s_add_i32 s7, s6, 1
	s_cmp_ge_u32 s3, s25
	s_cselect_b32 s3, s7, s6
	s_xor_b32 s3, s3, s2
	s_sub_i32 s16, s3, s2
	s_add_i32 s2, s33, 31
	s_ashr_i32 s3, s2, 31
	s_lshr_b32 s3, s3, 27
	s_add_i32 s2, s2, s3
	s_ashr_i32 s20, s2, 5
	v_lshrrev_b32_e32 v1, 6, v0
	v_cmp_gt_i32_e64 s[6:7], s20, v1
	v_mov_b32_e32 v19, 0xff7fffff
	s_mul_i32 s47, s47, s18
	v_lshrrev_b32_e32 v14, 4, v0
	v_lshlrev_b32_e32 v15, 5, v1
	v_mbcnt_lo_u32_b32 v16, -1, 0
	s_and_saveexec_b64 s[18:19], s[6:7]
	s_cbranch_execz .LBB259_275
; %bb.10:
	s_load_dwordx2 s[0:1], s[0:1], 0x10
	s_sub_i32 s49, s16, s21
	s_ashr_i32 s2, s47, 31
	v_bfe_u32 v17, v0, 1, 5
	v_lshlrev_b32_e32 v2, 4, v17
	s_waitcnt lgkmcnt(0)
	s_add_u32 s0, s0, s47
	s_addc_u32 s1, s1, s2
	s_abs_i32 s50, s22
	v_cvt_f32_u32_e32 v4, s50
	v_mov_b32_e32 v3, 0
	v_cmp_eq_u32_e32 vcc, 0, v7
	s_mov_b32 s51, s17
	v_rcp_iflag_f32_e32 v8, v4
	v_lshl_add_u64 v[4:5], s[0:1], 0, v[2:3]
	s_sub_i32 s0, 0, s50
	v_lshlrev_b32_e32 v6, 2, v7
	v_mul_f32_e32 v2, 0x4f7ffffe, v8
	v_cvt_u32_f32_e32 v2, v2
	v_lshlrev_b32_e32 v18, 6, v7
	v_cmp_neq_f32_e64 s[2:3], s48, 0
	v_mov_b32_e32 v7, v3
	v_mul_lo_u32 v8, s0, v2
	s_lshl_b64 s[0:1], s[30:31], 2
	v_mul_hi_u32 v8, v2, v8
	s_add_u32 s0, s28, s0
	v_add_u32_e32 v20, v2, v8
	v_and_b32_e32 v2, 60, v14
	s_addc_u32 s1, s29, s1
	v_lshl_add_u64 v[8:9], s[0:1], 0, v[2:3]
	v_lshlrev_b32_e32 v2, 2, v17
	v_lshl_or_b32 v2, v1, 7, v2
	v_add_u32_e32 v22, 0x90, v2
	v_subrev_u32_e32 v2, s33, v17
	v_lshlrev_b32_e32 v21, 5, v1
	v_add_u32_e32 v23, 1, v2
	s_mov_b64 s[38:39], 0
	v_mov_b32_e32 v24, 0xff7fffff
	s_movk_i32 s52, 0x7f
	s_movk_i32 s53, 0x80
	s_mov_b32 s54, 0x8000
	v_mov_b32_e32 v25, 0x1c00
	v_mbcnt_hi_u32_b32 v26, -1, v16
	v_mov_b32_e32 v19, 0xff7fffff
	v_mov_b32_e32 v27, v1
	s_branch .LBB259_13
.LBB259_11:                             ;   in Loop: Header=BB259_13 Depth=1
	s_or_b64 exec, exec, s[40:41]
.LBB259_12:                             ;   in Loop: Header=BB259_13 Depth=1
	s_or_b64 exec, exec, s[8:9]
	v_add_u32_e32 v27, 2, v27
	v_cmp_le_i32_e64 s[0:1], s20, v27
	v_lshl_add_u64 v[8:9], v[8:9], 0, 8
	v_add_u32_e32 v21, 64, v21
	s_or_b64 s[38:39], s[0:1], s[38:39]
	v_add_u32_e32 v22, 0x100, v22
	s_andn2_b64 exec, exec, s[38:39]
	s_cbranch_execz .LBB259_274
.LBB259_13:                             ; =>This Inner Loop Header: Depth=1
	v_mul_hi_u32 v2, v21, s46
	s_waitcnt lgkmcnt(0)
	v_mul_lo_u32 v10, v2, s25
	v_sub_u32_e32 v10, v21, v10
	v_add_u32_e32 v11, 1, v2
	v_cmp_le_u32_e64 s[0:1], s25, v10
	s_nop 1
	v_cndmask_b32_e64 v2, v2, v11, s[0:1]
	v_subrev_u32_e32 v11, s25, v10
	v_cndmask_b32_e64 v10, v10, v11, s[0:1]
	v_add_u32_e32 v11, 1, v2
	v_cmp_le_u32_e64 s[0:1], s25, v10
	s_nop 1
	v_cndmask_b32_e64 v2, v2, v11, s[0:1]
	v_xor_b32_e32 v2, s23, v2
	v_subrev_u32_e32 v2, s23, v2
	v_add_u32_e32 v10, s36, v2
	v_sub_u32_e32 v12, 0, v10
	v_ashrrev_i32_e32 v11, 31, v10
	v_max_i32_e32 v10, v10, v12
	v_mul_hi_u32 v12, v10, v20
	v_mul_lo_u32 v12, v12, s50
	v_sub_u32_e32 v10, v10, v12
	v_subrev_u32_e32 v12, s50, v10
	v_cmp_le_u32_e64 s[0:1], s50, v10
	v_cmp_ge_i32_e64 s[8:9], s49, v2
	s_nop 0
	v_cndmask_b32_e64 v10, v10, v12, s[0:1]
	v_subrev_u32_e32 v12, s50, v10
	v_cmp_le_u32_e64 s[0:1], s50, v10
	s_nop 1
	v_cndmask_b32_e64 v10, v10, v12, s[0:1]
	v_xor_b32_e32 v10, v10, v11
	v_sub_u32_e32 v10, v10, v11
	v_cmp_ne_u32_e64 s[0:1], 0, v10
	s_and_b64 s[0:1], s[0:1], s[8:9]
	s_and_b64 s[40:41], vcc, s[0:1]
	s_and_saveexec_b64 s[8:9], s[40:41]
	s_cbranch_execz .LBB259_15
; %bb.14:                               ;   in Loop: Header=BB259_13 Depth=1
	ds_write_b32 v22, v24
.LBB259_15:                             ;   in Loop: Header=BB259_13 Depth=1
	s_or_b64 exec, exec, s[8:9]
	s_xor_b64 s[0:1], s[0:1], -1
	s_and_saveexec_b64 s[8:9], s[0:1]
	s_cbranch_execz .LBB259_12
; %bb.16:                               ;   in Loop: Header=BB259_13 Depth=1
	global_load_dword v2, v[8:9], off
                                        ; implicit-def: $sgpr44
	s_waitcnt vmcnt(0)
	v_mad_i64_i32 v[10:11], s[0:1], v2, s51, v[4:5]
	v_lshl_add_u64 v[10:11], v[10:11], 0, v[6:7]
	global_load_dword v12, v[10:11], off
	global_load_dword v28, v3, s[12:13]
	s_mov_b64 s[0:1], 0
	s_waitcnt vmcnt(1)
	v_cmp_gt_i16_sdwa s[40:41], v12, s52 src0_sel:BYTE_0 src1_sel:DWORD
	s_and_saveexec_b64 s[42:43], s[40:41]
	s_xor_b64 s[40:41], exec, s[42:43]
	s_cbranch_execnz .LBB259_146
; %bb.17:                               ;   in Loop: Header=BB259_13 Depth=1
	s_or_saveexec_b64 s[40:41], s[40:41]
	v_mov_b32_e32 v29, s44
	s_xor_b64 exec, exec, s[40:41]
	s_cbranch_execnz .LBB259_149
.LBB259_18:                             ;   in Loop: Header=BB259_13 Depth=1
	s_or_b64 exec, exec, s[40:41]
	s_and_saveexec_b64 s[40:41], s[0:1]
	s_cbranch_execz .LBB259_20
.LBB259_19:                             ;   in Loop: Header=BB259_13 Depth=1
	v_and_b32_e32 v2, 7, v12
	v_ffbh_u32_e32 v30, v2
	v_min_u32_e32 v32, 32, v30
	v_subrev_u32_e32 v30, 28, v32
	v_bfe_u32 v29, v12, 3, 4
	v_lshlrev_b64 v[30:31], v30, v[12:13]
	v_sub_u32_e32 v31, 29, v32
	v_cmp_eq_u32_e64 s[0:1], 0, v29
	v_and_b32_e32 v30, 7, v30
	s_nop 0
	v_cndmask_b32_e64 v29, v29, v31, s[0:1]
	v_cndmask_b32_e64 v2, v2, v30, s[0:1]
	v_lshlrev_b32_e32 v30, 8, v12
	v_lshl_add_u32 v29, v29, 10, v25
	v_and_or_b32 v29, v30, s54, v29
	v_lshl_or_b32 v2, v2, 7, v29
	v_cvt_f32_f16_e32 v29, v2
.LBB259_20:                             ;   in Loop: Header=BB259_13 Depth=1
	s_or_b64 exec, exec, s[40:41]
	v_lshrrev_b16_e32 v2, 8, v12
	v_cmp_lt_i16_e64 s[0:1], s52, v2
	s_mov_b64 s[40:41], 0
                                        ; implicit-def: $sgpr55
	s_and_saveexec_b64 s[42:43], s[0:1]
	s_xor_b64 s[42:43], exec, s[42:43]
	s_cbranch_execnz .LBB259_150
; %bb.21:                               ;   in Loop: Header=BB259_13 Depth=1
	s_or_saveexec_b64 s[42:43], s[42:43]
	v_mov_b32_e32 v30, s55
	s_xor_b64 exec, exec, s[42:43]
	s_cbranch_execnz .LBB259_153
.LBB259_22:                             ;   in Loop: Header=BB259_13 Depth=1
	s_or_b64 exec, exec, s[42:43]
	s_and_saveexec_b64 s[42:43], s[40:41]
	s_cbranch_execz .LBB259_24
.LBB259_23:                             ;   in Loop: Header=BB259_13 Depth=1
	v_and_b32_e32 v32, 7, v2
	v_ffbh_u32_e32 v30, v32
	v_min_u32_e32 v34, 32, v30
	v_subrev_u32_e32 v30, 28, v34
	v_bfe_u32 v33, v2, 3, 4
	v_lshlrev_b64 v[30:31], v30, v[2:3]
	v_sub_u32_e32 v31, 29, v34
	v_cmp_eq_u32_e64 s[0:1], 0, v33
	v_and_b32_e32 v30, 7, v30
	v_lshlrev_b32_e32 v2, 8, v2
	v_cndmask_b32_e64 v31, v33, v31, s[0:1]
	v_lshl_add_u32 v31, v31, 10, v25
	v_cndmask_b32_e64 v30, v32, v30, s[0:1]
	v_and_or_b32 v2, v2, s54, v31
	v_lshl_or_b32 v2, v30, 7, v2
	v_cvt_f32_f16_e32 v30, v2
.LBB259_24:                             ;   in Loop: Header=BB259_13 Depth=1
	s_or_b64 exec, exec, s[42:43]
	v_lshrrev_b32_e32 v2, 16, v12
	v_cmp_gt_i16_sdwa s[40:41], v2, s52 src0_sel:BYTE_0 src1_sel:DWORD
	s_mov_b64 s[0:1], 0
                                        ; implicit-def: $sgpr44
	s_and_saveexec_b64 s[42:43], s[40:41]
	s_xor_b64 s[40:41], exec, s[42:43]
	s_cbranch_execnz .LBB259_154
; %bb.25:                               ;   in Loop: Header=BB259_13 Depth=1
	s_or_saveexec_b64 s[40:41], s[40:41]
	v_mov_b32_e32 v31, s44
	s_xor_b64 exec, exec, s[40:41]
	s_cbranch_execnz .LBB259_157
.LBB259_26:                             ;   in Loop: Header=BB259_13 Depth=1
	s_or_b64 exec, exec, s[40:41]
	s_and_saveexec_b64 s[40:41], s[0:1]
	s_cbranch_execz .LBB259_28
.LBB259_27:                             ;   in Loop: Header=BB259_13 Depth=1
	v_bfe_u32 v31, v12, 16, 3
	v_ffbh_u32_e32 v32, v31
	v_min_u32_e32 v35, 32, v32
	v_subrev_u32_e32 v32, 28, v35
	v_bfe_u32 v34, v12, 19, 4
	v_lshlrev_b64 v[32:33], v32, v[2:3]
	v_sub_u32_e32 v33, 29, v35
	v_cmp_eq_u32_e64 s[0:1], 0, v34
	v_and_b32_e32 v32, 7, v32
	v_lshlrev_b32_e32 v2, 8, v2
	v_cndmask_b32_e64 v33, v34, v33, s[0:1]
	v_cndmask_b32_e64 v31, v31, v32, s[0:1]
	v_lshl_add_u32 v32, v33, 10, v25
	v_and_or_b32 v2, v2, s54, v32
	v_lshl_or_b32 v2, v31, 7, v2
	v_cvt_f32_f16_e32 v31, v2
.LBB259_28:                             ;   in Loop: Header=BB259_13 Depth=1
	s_or_b64 exec, exec, s[40:41]
	v_lshrrev_b32_e32 v2, 24, v12
	v_cmp_lt_i16_e64 s[0:1], s52, v2
	s_mov_b64 s[40:41], 0
                                        ; implicit-def: $sgpr55
	s_and_saveexec_b64 s[42:43], s[0:1]
	s_xor_b64 s[42:43], exec, s[42:43]
	s_cbranch_execnz .LBB259_158
; %bb.29:                               ;   in Loop: Header=BB259_13 Depth=1
	s_or_saveexec_b64 s[42:43], s[42:43]
	v_mov_b32_e32 v32, s55
	s_xor_b64 exec, exec, s[42:43]
	s_cbranch_execnz .LBB259_161
.LBB259_30:                             ;   in Loop: Header=BB259_13 Depth=1
	s_or_b64 exec, exec, s[42:43]
	s_and_saveexec_b64 s[42:43], s[40:41]
	s_cbranch_execz .LBB259_32
.LBB259_31:                             ;   in Loop: Header=BB259_13 Depth=1
	v_bfe_u32 v34, v12, 24, 3
	v_ffbh_u32_e32 v32, v34
	v_min_u32_e32 v35, 32, v32
	v_subrev_u32_e32 v32, 28, v35
	v_bfe_u32 v12, v12, 27, 4
	v_lshlrev_b64 v[32:33], v32, v[2:3]
	v_sub_u32_e32 v33, 29, v35
	v_cmp_eq_u32_e64 s[0:1], 0, v12
	v_and_b32_e32 v32, 7, v32
	v_lshlrev_b32_e32 v2, 8, v2
	v_cndmask_b32_e64 v12, v12, v33, s[0:1]
	v_lshl_add_u32 v12, v12, 10, v25
	v_cndmask_b32_e64 v32, v34, v32, s[0:1]
	v_and_or_b32 v2, v2, s54, v12
	v_lshl_or_b32 v2, v32, 7, v2
	v_cvt_f32_f16_e32 v32, v2
.LBB259_32:                             ;   in Loop: Header=BB259_13 Depth=1
	s_or_b64 exec, exec, s[42:43]
	global_load_dword v12, v[10:11], off offset:8
	s_mov_b64 s[0:1], 0
                                        ; implicit-def: $sgpr44
	s_waitcnt vmcnt(0)
	v_cmp_gt_i16_sdwa s[40:41], v12, s52 src0_sel:BYTE_0 src1_sel:DWORD
	s_and_saveexec_b64 s[42:43], s[40:41]
	s_xor_b64 s[40:41], exec, s[42:43]
	s_cbranch_execnz .LBB259_162
; %bb.33:                               ;   in Loop: Header=BB259_13 Depth=1
	s_or_saveexec_b64 s[40:41], s[40:41]
	v_mov_b32_e32 v33, s44
	s_xor_b64 exec, exec, s[40:41]
	s_cbranch_execnz .LBB259_165
.LBB259_34:                             ;   in Loop: Header=BB259_13 Depth=1
	s_or_b64 exec, exec, s[40:41]
	s_and_saveexec_b64 s[40:41], s[0:1]
	s_cbranch_execz .LBB259_36
.LBB259_35:                             ;   in Loop: Header=BB259_13 Depth=1
	v_and_b32_e32 v2, 7, v12
	v_ffbh_u32_e32 v34, v2
	v_min_u32_e32 v36, 32, v34
	v_subrev_u32_e32 v34, 28, v36
	v_bfe_u32 v33, v12, 3, 4
	v_lshlrev_b64 v[34:35], v34, v[12:13]
	v_sub_u32_e32 v35, 29, v36
	v_cmp_eq_u32_e64 s[0:1], 0, v33
	v_and_b32_e32 v34, 7, v34
	s_nop 0
	v_cndmask_b32_e64 v33, v33, v35, s[0:1]
	v_cndmask_b32_e64 v2, v2, v34, s[0:1]
	v_lshlrev_b32_e32 v34, 8, v12
	v_lshl_add_u32 v33, v33, 10, v25
	v_and_or_b32 v33, v34, s54, v33
	v_lshl_or_b32 v2, v2, 7, v33
	v_cvt_f32_f16_e32 v33, v2
.LBB259_36:                             ;   in Loop: Header=BB259_13 Depth=1
	s_or_b64 exec, exec, s[40:41]
	v_lshrrev_b16_e32 v2, 8, v12
	v_cmp_lt_i16_e64 s[0:1], s52, v2
	s_mov_b64 s[40:41], 0
                                        ; implicit-def: $sgpr55
	s_and_saveexec_b64 s[42:43], s[0:1]
	s_xor_b64 s[42:43], exec, s[42:43]
	s_cbranch_execnz .LBB259_166
; %bb.37:                               ;   in Loop: Header=BB259_13 Depth=1
	s_or_saveexec_b64 s[42:43], s[42:43]
	v_mov_b32_e32 v34, s55
	s_xor_b64 exec, exec, s[42:43]
	s_cbranch_execnz .LBB259_169
.LBB259_38:                             ;   in Loop: Header=BB259_13 Depth=1
	s_or_b64 exec, exec, s[42:43]
	s_and_saveexec_b64 s[42:43], s[40:41]
	s_cbranch_execz .LBB259_40
.LBB259_39:                             ;   in Loop: Header=BB259_13 Depth=1
	v_and_b32_e32 v36, 7, v2
	v_ffbh_u32_e32 v34, v36
	v_min_u32_e32 v38, 32, v34
	v_subrev_u32_e32 v34, 28, v38
	v_bfe_u32 v37, v2, 3, 4
	v_lshlrev_b64 v[34:35], v34, v[2:3]
	v_sub_u32_e32 v35, 29, v38
	v_cmp_eq_u32_e64 s[0:1], 0, v37
	v_and_b32_e32 v34, 7, v34
	v_lshlrev_b32_e32 v2, 8, v2
	v_cndmask_b32_e64 v35, v37, v35, s[0:1]
	v_lshl_add_u32 v35, v35, 10, v25
	v_cndmask_b32_e64 v34, v36, v34, s[0:1]
	v_and_or_b32 v2, v2, s54, v35
	v_lshl_or_b32 v2, v34, 7, v2
	v_cvt_f32_f16_e32 v34, v2
.LBB259_40:                             ;   in Loop: Header=BB259_13 Depth=1
	s_or_b64 exec, exec, s[42:43]
	v_lshrrev_b32_e32 v2, 16, v12
	v_cmp_gt_i16_sdwa s[40:41], v2, s52 src0_sel:BYTE_0 src1_sel:DWORD
	s_mov_b64 s[0:1], 0
                                        ; implicit-def: $sgpr44
	s_and_saveexec_b64 s[42:43], s[40:41]
	s_xor_b64 s[40:41], exec, s[42:43]
	s_cbranch_execnz .LBB259_170
; %bb.41:                               ;   in Loop: Header=BB259_13 Depth=1
	s_or_saveexec_b64 s[40:41], s[40:41]
	v_mov_b32_e32 v35, s44
	s_xor_b64 exec, exec, s[40:41]
	s_cbranch_execnz .LBB259_173
.LBB259_42:                             ;   in Loop: Header=BB259_13 Depth=1
	s_or_b64 exec, exec, s[40:41]
	s_and_saveexec_b64 s[40:41], s[0:1]
	s_cbranch_execz .LBB259_44
.LBB259_43:                             ;   in Loop: Header=BB259_13 Depth=1
	v_bfe_u32 v35, v12, 16, 3
	v_ffbh_u32_e32 v36, v35
	v_min_u32_e32 v39, 32, v36
	v_subrev_u32_e32 v36, 28, v39
	v_bfe_u32 v38, v12, 19, 4
	v_lshlrev_b64 v[36:37], v36, v[2:3]
	v_sub_u32_e32 v37, 29, v39
	v_cmp_eq_u32_e64 s[0:1], 0, v38
	v_and_b32_e32 v36, 7, v36
	v_lshlrev_b32_e32 v2, 8, v2
	v_cndmask_b32_e64 v37, v38, v37, s[0:1]
	v_cndmask_b32_e64 v35, v35, v36, s[0:1]
	v_lshl_add_u32 v36, v37, 10, v25
	v_and_or_b32 v2, v2, s54, v36
	v_lshl_or_b32 v2, v35, 7, v2
	v_cvt_f32_f16_e32 v35, v2
.LBB259_44:                             ;   in Loop: Header=BB259_13 Depth=1
	s_or_b64 exec, exec, s[40:41]
	v_lshrrev_b32_e32 v2, 24, v12
	v_cmp_lt_i16_e64 s[0:1], s52, v2
	s_mov_b64 s[40:41], 0
                                        ; implicit-def: $sgpr55
	s_and_saveexec_b64 s[42:43], s[0:1]
	s_xor_b64 s[42:43], exec, s[42:43]
	s_cbranch_execnz .LBB259_174
; %bb.45:                               ;   in Loop: Header=BB259_13 Depth=1
	s_or_saveexec_b64 s[42:43], s[42:43]
	v_mov_b32_e32 v36, s55
	s_xor_b64 exec, exec, s[42:43]
	s_cbranch_execnz .LBB259_177
.LBB259_46:                             ;   in Loop: Header=BB259_13 Depth=1
	s_or_b64 exec, exec, s[42:43]
	s_and_saveexec_b64 s[42:43], s[40:41]
	s_cbranch_execz .LBB259_48
.LBB259_47:                             ;   in Loop: Header=BB259_13 Depth=1
	v_bfe_u32 v38, v12, 24, 3
	v_ffbh_u32_e32 v36, v38
	v_min_u32_e32 v39, 32, v36
	v_subrev_u32_e32 v36, 28, v39
	v_bfe_u32 v12, v12, 27, 4
	v_lshlrev_b64 v[36:37], v36, v[2:3]
	v_sub_u32_e32 v37, 29, v39
	v_cmp_eq_u32_e64 s[0:1], 0, v12
	v_and_b32_e32 v36, 7, v36
	v_lshlrev_b32_e32 v2, 8, v2
	v_cndmask_b32_e64 v12, v12, v37, s[0:1]
	v_lshl_add_u32 v12, v12, 10, v25
	v_cndmask_b32_e64 v36, v38, v36, s[0:1]
	v_and_or_b32 v2, v2, s54, v12
	v_lshl_or_b32 v2, v36, 7, v2
	v_cvt_f32_f16_e32 v36, v2
.LBB259_48:                             ;   in Loop: Header=BB259_13 Depth=1
	s_or_b64 exec, exec, s[42:43]
	global_load_dword v12, v[10:11], off offset:512
	s_mov_b64 s[0:1], 0
                                        ; implicit-def: $sgpr44
	s_waitcnt vmcnt(0)
	v_cmp_gt_i16_sdwa s[40:41], v12, s52 src0_sel:BYTE_0 src1_sel:DWORD
	s_and_saveexec_b64 s[42:43], s[40:41]
	s_xor_b64 s[40:41], exec, s[42:43]
	s_cbranch_execnz .LBB259_178
; %bb.49:                               ;   in Loop: Header=BB259_13 Depth=1
	s_or_saveexec_b64 s[40:41], s[40:41]
	v_mov_b32_e32 v37, s44
	s_xor_b64 exec, exec, s[40:41]
	s_cbranch_execnz .LBB259_181
.LBB259_50:                             ;   in Loop: Header=BB259_13 Depth=1
	s_or_b64 exec, exec, s[40:41]
	s_and_saveexec_b64 s[40:41], s[0:1]
	s_cbranch_execz .LBB259_52
.LBB259_51:                             ;   in Loop: Header=BB259_13 Depth=1
	v_and_b32_e32 v2, 7, v12
	v_ffbh_u32_e32 v38, v2
	v_min_u32_e32 v40, 32, v38
	v_subrev_u32_e32 v38, 28, v40
	v_bfe_u32 v37, v12, 3, 4
	v_lshlrev_b64 v[38:39], v38, v[12:13]
	v_sub_u32_e32 v39, 29, v40
	v_cmp_eq_u32_e64 s[0:1], 0, v37
	v_and_b32_e32 v38, 7, v38
	s_nop 0
	v_cndmask_b32_e64 v37, v37, v39, s[0:1]
	v_cndmask_b32_e64 v2, v2, v38, s[0:1]
	v_lshlrev_b32_e32 v38, 8, v12
	v_lshl_add_u32 v37, v37, 10, v25
	v_and_or_b32 v37, v38, s54, v37
	v_lshl_or_b32 v2, v2, 7, v37
	v_cvt_f32_f16_e32 v37, v2
.LBB259_52:                             ;   in Loop: Header=BB259_13 Depth=1
	s_or_b64 exec, exec, s[40:41]
	v_lshrrev_b16_e32 v2, 8, v12
	v_cmp_lt_i16_e64 s[0:1], s52, v2
	s_mov_b64 s[40:41], 0
                                        ; implicit-def: $sgpr55
	s_and_saveexec_b64 s[42:43], s[0:1]
	s_xor_b64 s[42:43], exec, s[42:43]
	s_cbranch_execnz .LBB259_182
; %bb.53:                               ;   in Loop: Header=BB259_13 Depth=1
	s_or_saveexec_b64 s[42:43], s[42:43]
	v_mov_b32_e32 v38, s55
	s_xor_b64 exec, exec, s[42:43]
	s_cbranch_execnz .LBB259_185
.LBB259_54:                             ;   in Loop: Header=BB259_13 Depth=1
	s_or_b64 exec, exec, s[42:43]
	s_and_saveexec_b64 s[42:43], s[40:41]
	s_cbranch_execz .LBB259_56
.LBB259_55:                             ;   in Loop: Header=BB259_13 Depth=1
	v_and_b32_e32 v40, 7, v2
	v_ffbh_u32_e32 v38, v40
	v_min_u32_e32 v42, 32, v38
	v_subrev_u32_e32 v38, 28, v42
	v_bfe_u32 v41, v2, 3, 4
	v_lshlrev_b64 v[38:39], v38, v[2:3]
	v_sub_u32_e32 v39, 29, v42
	v_cmp_eq_u32_e64 s[0:1], 0, v41
	v_and_b32_e32 v38, 7, v38
	v_lshlrev_b32_e32 v2, 8, v2
	v_cndmask_b32_e64 v39, v41, v39, s[0:1]
	v_lshl_add_u32 v39, v39, 10, v25
	v_cndmask_b32_e64 v38, v40, v38, s[0:1]
	v_and_or_b32 v2, v2, s54, v39
	v_lshl_or_b32 v2, v38, 7, v2
	v_cvt_f32_f16_e32 v38, v2
.LBB259_56:                             ;   in Loop: Header=BB259_13 Depth=1
	s_or_b64 exec, exec, s[42:43]
	v_lshrrev_b32_e32 v2, 16, v12
	v_cmp_gt_i16_sdwa s[40:41], v2, s52 src0_sel:BYTE_0 src1_sel:DWORD
	s_mov_b64 s[0:1], 0
                                        ; implicit-def: $sgpr44
	s_and_saveexec_b64 s[42:43], s[40:41]
	s_xor_b64 s[40:41], exec, s[42:43]
	s_cbranch_execnz .LBB259_186
; %bb.57:                               ;   in Loop: Header=BB259_13 Depth=1
	s_or_saveexec_b64 s[40:41], s[40:41]
	v_mov_b32_e32 v39, s44
	s_xor_b64 exec, exec, s[40:41]
	s_cbranch_execnz .LBB259_189
.LBB259_58:                             ;   in Loop: Header=BB259_13 Depth=1
	s_or_b64 exec, exec, s[40:41]
	s_and_saveexec_b64 s[40:41], s[0:1]
	s_cbranch_execz .LBB259_60
.LBB259_59:                             ;   in Loop: Header=BB259_13 Depth=1
	v_bfe_u32 v39, v12, 16, 3
	v_ffbh_u32_e32 v40, v39
	v_min_u32_e32 v43, 32, v40
	v_subrev_u32_e32 v40, 28, v43
	v_bfe_u32 v42, v12, 19, 4
	v_lshlrev_b64 v[40:41], v40, v[2:3]
	v_sub_u32_e32 v41, 29, v43
	v_cmp_eq_u32_e64 s[0:1], 0, v42
	v_and_b32_e32 v40, 7, v40
	v_lshlrev_b32_e32 v2, 8, v2
	v_cndmask_b32_e64 v41, v42, v41, s[0:1]
	v_cndmask_b32_e64 v39, v39, v40, s[0:1]
	v_lshl_add_u32 v40, v41, 10, v25
	v_and_or_b32 v2, v2, s54, v40
	v_lshl_or_b32 v2, v39, 7, v2
	v_cvt_f32_f16_e32 v39, v2
.LBB259_60:                             ;   in Loop: Header=BB259_13 Depth=1
	s_or_b64 exec, exec, s[40:41]
	v_lshrrev_b32_e32 v2, 24, v12
	v_cmp_lt_i16_e64 s[0:1], s52, v2
	s_mov_b64 s[40:41], 0
                                        ; implicit-def: $sgpr55
	s_and_saveexec_b64 s[42:43], s[0:1]
	s_xor_b64 s[42:43], exec, s[42:43]
	s_cbranch_execnz .LBB259_190
; %bb.61:                               ;   in Loop: Header=BB259_13 Depth=1
	s_or_saveexec_b64 s[42:43], s[42:43]
	v_mov_b32_e32 v40, s55
	s_xor_b64 exec, exec, s[42:43]
	s_cbranch_execnz .LBB259_193
.LBB259_62:                             ;   in Loop: Header=BB259_13 Depth=1
	s_or_b64 exec, exec, s[42:43]
	s_and_saveexec_b64 s[42:43], s[40:41]
	s_cbranch_execz .LBB259_64
.LBB259_63:                             ;   in Loop: Header=BB259_13 Depth=1
	v_bfe_u32 v42, v12, 24, 3
	v_ffbh_u32_e32 v40, v42
	v_min_u32_e32 v43, 32, v40
	v_subrev_u32_e32 v40, 28, v43
	v_bfe_u32 v12, v12, 27, 4
	v_lshlrev_b64 v[40:41], v40, v[2:3]
	v_sub_u32_e32 v41, 29, v43
	v_cmp_eq_u32_e64 s[0:1], 0, v12
	v_and_b32_e32 v40, 7, v40
	v_lshlrev_b32_e32 v2, 8, v2
	v_cndmask_b32_e64 v12, v12, v41, s[0:1]
	v_lshl_add_u32 v12, v12, 10, v25
	v_cndmask_b32_e64 v40, v42, v40, s[0:1]
	v_and_or_b32 v2, v2, s54, v12
	v_lshl_or_b32 v2, v40, 7, v2
	v_cvt_f32_f16_e32 v40, v2
.LBB259_64:                             ;   in Loop: Header=BB259_13 Depth=1
	s_or_b64 exec, exec, s[42:43]
	global_load_dword v12, v[10:11], off offset:520
	s_mov_b64 s[0:1], 0
                                        ; implicit-def: $sgpr44
	s_waitcnt vmcnt(0)
	v_cmp_gt_i16_sdwa s[40:41], v12, s52 src0_sel:BYTE_0 src1_sel:DWORD
	s_and_saveexec_b64 s[42:43], s[40:41]
	s_xor_b64 s[40:41], exec, s[42:43]
	s_cbranch_execnz .LBB259_194
; %bb.65:                               ;   in Loop: Header=BB259_13 Depth=1
	s_or_saveexec_b64 s[40:41], s[40:41]
	v_mov_b32_e32 v41, s44
	s_xor_b64 exec, exec, s[40:41]
	s_cbranch_execnz .LBB259_197
.LBB259_66:                             ;   in Loop: Header=BB259_13 Depth=1
	s_or_b64 exec, exec, s[40:41]
	s_and_saveexec_b64 s[40:41], s[0:1]
	s_cbranch_execz .LBB259_68
.LBB259_67:                             ;   in Loop: Header=BB259_13 Depth=1
	v_and_b32_e32 v2, 7, v12
	v_ffbh_u32_e32 v42, v2
	v_min_u32_e32 v44, 32, v42
	v_subrev_u32_e32 v42, 28, v44
	v_bfe_u32 v41, v12, 3, 4
	v_lshlrev_b64 v[42:43], v42, v[12:13]
	v_sub_u32_e32 v43, 29, v44
	v_cmp_eq_u32_e64 s[0:1], 0, v41
	v_and_b32_e32 v42, 7, v42
	s_nop 0
	v_cndmask_b32_e64 v41, v41, v43, s[0:1]
	v_cndmask_b32_e64 v2, v2, v42, s[0:1]
	v_lshlrev_b32_e32 v42, 8, v12
	v_lshl_add_u32 v41, v41, 10, v25
	v_and_or_b32 v41, v42, s54, v41
	v_lshl_or_b32 v2, v2, 7, v41
	v_cvt_f32_f16_e32 v41, v2
.LBB259_68:                             ;   in Loop: Header=BB259_13 Depth=1
	s_or_b64 exec, exec, s[40:41]
	v_lshrrev_b16_e32 v2, 8, v12
	v_cmp_lt_i16_e64 s[0:1], s52, v2
	s_mov_b64 s[40:41], 0
                                        ; implicit-def: $sgpr55
	s_and_saveexec_b64 s[42:43], s[0:1]
	s_xor_b64 s[42:43], exec, s[42:43]
	s_cbranch_execnz .LBB259_198
; %bb.69:                               ;   in Loop: Header=BB259_13 Depth=1
	s_or_saveexec_b64 s[42:43], s[42:43]
	v_mov_b32_e32 v42, s55
	s_xor_b64 exec, exec, s[42:43]
	s_cbranch_execnz .LBB259_201
.LBB259_70:                             ;   in Loop: Header=BB259_13 Depth=1
	s_or_b64 exec, exec, s[42:43]
	s_and_saveexec_b64 s[42:43], s[40:41]
	s_cbranch_execz .LBB259_72
.LBB259_71:                             ;   in Loop: Header=BB259_13 Depth=1
	v_and_b32_e32 v44, 7, v2
	v_ffbh_u32_e32 v42, v44
	v_min_u32_e32 v46, 32, v42
	v_subrev_u32_e32 v42, 28, v46
	v_bfe_u32 v45, v2, 3, 4
	v_lshlrev_b64 v[42:43], v42, v[2:3]
	v_sub_u32_e32 v43, 29, v46
	v_cmp_eq_u32_e64 s[0:1], 0, v45
	v_and_b32_e32 v42, 7, v42
	v_lshlrev_b32_e32 v2, 8, v2
	v_cndmask_b32_e64 v43, v45, v43, s[0:1]
	v_lshl_add_u32 v43, v43, 10, v25
	v_cndmask_b32_e64 v42, v44, v42, s[0:1]
	v_and_or_b32 v2, v2, s54, v43
	v_lshl_or_b32 v2, v42, 7, v2
	v_cvt_f32_f16_e32 v42, v2
.LBB259_72:                             ;   in Loop: Header=BB259_13 Depth=1
	s_or_b64 exec, exec, s[42:43]
	v_lshrrev_b32_e32 v2, 16, v12
	v_cmp_gt_i16_sdwa s[40:41], v2, s52 src0_sel:BYTE_0 src1_sel:DWORD
	s_mov_b64 s[0:1], 0
                                        ; implicit-def: $sgpr44
	s_and_saveexec_b64 s[42:43], s[40:41]
	s_xor_b64 s[40:41], exec, s[42:43]
	s_cbranch_execnz .LBB259_202
; %bb.73:                               ;   in Loop: Header=BB259_13 Depth=1
	s_or_saveexec_b64 s[40:41], s[40:41]
	v_mov_b32_e32 v43, s44
	s_xor_b64 exec, exec, s[40:41]
	s_cbranch_execnz .LBB259_205
.LBB259_74:                             ;   in Loop: Header=BB259_13 Depth=1
	s_or_b64 exec, exec, s[40:41]
	s_and_saveexec_b64 s[40:41], s[0:1]
	s_cbranch_execz .LBB259_76
.LBB259_75:                             ;   in Loop: Header=BB259_13 Depth=1
	v_bfe_u32 v43, v12, 16, 3
	v_ffbh_u32_e32 v44, v43
	v_min_u32_e32 v47, 32, v44
	v_subrev_u32_e32 v44, 28, v47
	v_bfe_u32 v46, v12, 19, 4
	v_lshlrev_b64 v[44:45], v44, v[2:3]
	v_sub_u32_e32 v45, 29, v47
	v_cmp_eq_u32_e64 s[0:1], 0, v46
	v_and_b32_e32 v44, 7, v44
	v_lshlrev_b32_e32 v2, 8, v2
	v_cndmask_b32_e64 v45, v46, v45, s[0:1]
	v_cndmask_b32_e64 v43, v43, v44, s[0:1]
	v_lshl_add_u32 v44, v45, 10, v25
	v_and_or_b32 v2, v2, s54, v44
	v_lshl_or_b32 v2, v43, 7, v2
	v_cvt_f32_f16_e32 v43, v2
.LBB259_76:                             ;   in Loop: Header=BB259_13 Depth=1
	s_or_b64 exec, exec, s[40:41]
	v_lshrrev_b32_e32 v2, 24, v12
	v_cmp_lt_i16_e64 s[0:1], s52, v2
	s_mov_b64 s[40:41], 0
                                        ; implicit-def: $sgpr55
	s_and_saveexec_b64 s[42:43], s[0:1]
	s_xor_b64 s[42:43], exec, s[42:43]
	s_cbranch_execnz .LBB259_206
; %bb.77:                               ;   in Loop: Header=BB259_13 Depth=1
	s_or_saveexec_b64 s[42:43], s[42:43]
	v_mov_b32_e32 v44, s55
	s_xor_b64 exec, exec, s[42:43]
	s_cbranch_execnz .LBB259_209
.LBB259_78:                             ;   in Loop: Header=BB259_13 Depth=1
	s_or_b64 exec, exec, s[42:43]
	s_and_saveexec_b64 s[42:43], s[40:41]
	s_cbranch_execz .LBB259_80
.LBB259_79:                             ;   in Loop: Header=BB259_13 Depth=1
	v_bfe_u32 v46, v12, 24, 3
	v_ffbh_u32_e32 v44, v46
	v_min_u32_e32 v47, 32, v44
	v_subrev_u32_e32 v44, 28, v47
	v_bfe_u32 v12, v12, 27, 4
	v_lshlrev_b64 v[44:45], v44, v[2:3]
	v_sub_u32_e32 v45, 29, v47
	v_cmp_eq_u32_e64 s[0:1], 0, v12
	v_and_b32_e32 v44, 7, v44
	v_lshlrev_b32_e32 v2, 8, v2
	v_cndmask_b32_e64 v12, v12, v45, s[0:1]
	v_lshl_add_u32 v12, v12, 10, v25
	v_cndmask_b32_e64 v44, v46, v44, s[0:1]
	v_and_or_b32 v2, v2, s54, v12
	v_lshl_or_b32 v2, v44, 7, v2
	v_cvt_f32_f16_e32 v44, v2
.LBB259_80:                             ;   in Loop: Header=BB259_13 Depth=1
	s_or_b64 exec, exec, s[42:43]
	global_load_dword v12, v[10:11], off offset:1024
	s_mov_b64 s[0:1], 0
                                        ; implicit-def: $sgpr44
	s_waitcnt vmcnt(0)
	v_cmp_gt_i16_sdwa s[40:41], v12, s52 src0_sel:BYTE_0 src1_sel:DWORD
	s_and_saveexec_b64 s[42:43], s[40:41]
	s_xor_b64 s[40:41], exec, s[42:43]
	s_cbranch_execnz .LBB259_210
; %bb.81:                               ;   in Loop: Header=BB259_13 Depth=1
	s_or_saveexec_b64 s[40:41], s[40:41]
	v_mov_b32_e32 v45, s44
	s_xor_b64 exec, exec, s[40:41]
	s_cbranch_execnz .LBB259_213
.LBB259_82:                             ;   in Loop: Header=BB259_13 Depth=1
	s_or_b64 exec, exec, s[40:41]
	s_and_saveexec_b64 s[40:41], s[0:1]
	s_cbranch_execz .LBB259_84
.LBB259_83:                             ;   in Loop: Header=BB259_13 Depth=1
	v_and_b32_e32 v2, 7, v12
	v_ffbh_u32_e32 v46, v2
	v_min_u32_e32 v48, 32, v46
	v_subrev_u32_e32 v46, 28, v48
	v_bfe_u32 v45, v12, 3, 4
	v_lshlrev_b64 v[46:47], v46, v[12:13]
	v_sub_u32_e32 v47, 29, v48
	v_cmp_eq_u32_e64 s[0:1], 0, v45
	v_and_b32_e32 v46, 7, v46
	s_nop 0
	v_cndmask_b32_e64 v45, v45, v47, s[0:1]
	v_cndmask_b32_e64 v2, v2, v46, s[0:1]
	v_lshlrev_b32_e32 v46, 8, v12
	v_lshl_add_u32 v45, v45, 10, v25
	v_and_or_b32 v45, v46, s54, v45
	v_lshl_or_b32 v2, v2, 7, v45
	v_cvt_f32_f16_e32 v45, v2
.LBB259_84:                             ;   in Loop: Header=BB259_13 Depth=1
	s_or_b64 exec, exec, s[40:41]
	v_lshrrev_b16_e32 v2, 8, v12
	v_cmp_lt_i16_e64 s[0:1], s52, v2
	s_mov_b64 s[40:41], 0
                                        ; implicit-def: $sgpr55
	s_and_saveexec_b64 s[42:43], s[0:1]
	s_xor_b64 s[42:43], exec, s[42:43]
	s_cbranch_execnz .LBB259_214
; %bb.85:                               ;   in Loop: Header=BB259_13 Depth=1
	s_or_saveexec_b64 s[42:43], s[42:43]
	v_mov_b32_e32 v46, s55
	s_xor_b64 exec, exec, s[42:43]
	s_cbranch_execnz .LBB259_217
.LBB259_86:                             ;   in Loop: Header=BB259_13 Depth=1
	s_or_b64 exec, exec, s[42:43]
	s_and_saveexec_b64 s[42:43], s[40:41]
	s_cbranch_execz .LBB259_88
.LBB259_87:                             ;   in Loop: Header=BB259_13 Depth=1
	v_and_b32_e32 v48, 7, v2
	v_ffbh_u32_e32 v46, v48
	v_min_u32_e32 v50, 32, v46
	v_subrev_u32_e32 v46, 28, v50
	v_bfe_u32 v49, v2, 3, 4
	v_lshlrev_b64 v[46:47], v46, v[2:3]
	v_sub_u32_e32 v47, 29, v50
	v_cmp_eq_u32_e64 s[0:1], 0, v49
	v_and_b32_e32 v46, 7, v46
	v_lshlrev_b32_e32 v2, 8, v2
	v_cndmask_b32_e64 v47, v49, v47, s[0:1]
	v_lshl_add_u32 v47, v47, 10, v25
	v_cndmask_b32_e64 v46, v48, v46, s[0:1]
	v_and_or_b32 v2, v2, s54, v47
	v_lshl_or_b32 v2, v46, 7, v2
	v_cvt_f32_f16_e32 v46, v2
.LBB259_88:                             ;   in Loop: Header=BB259_13 Depth=1
	s_or_b64 exec, exec, s[42:43]
	v_lshrrev_b32_e32 v2, 16, v12
	v_cmp_gt_i16_sdwa s[40:41], v2, s52 src0_sel:BYTE_0 src1_sel:DWORD
	s_mov_b64 s[0:1], 0
                                        ; implicit-def: $sgpr44
	s_and_saveexec_b64 s[42:43], s[40:41]
	s_xor_b64 s[40:41], exec, s[42:43]
	s_cbranch_execnz .LBB259_218
; %bb.89:                               ;   in Loop: Header=BB259_13 Depth=1
	s_or_saveexec_b64 s[40:41], s[40:41]
	v_mov_b32_e32 v47, s44
	s_xor_b64 exec, exec, s[40:41]
	s_cbranch_execnz .LBB259_221
.LBB259_90:                             ;   in Loop: Header=BB259_13 Depth=1
	s_or_b64 exec, exec, s[40:41]
	s_and_saveexec_b64 s[40:41], s[0:1]
	s_cbranch_execz .LBB259_92
.LBB259_91:                             ;   in Loop: Header=BB259_13 Depth=1
	v_bfe_u32 v47, v12, 16, 3
	v_ffbh_u32_e32 v48, v47
	v_min_u32_e32 v51, 32, v48
	v_subrev_u32_e32 v48, 28, v51
	v_bfe_u32 v50, v12, 19, 4
	v_lshlrev_b64 v[48:49], v48, v[2:3]
	v_sub_u32_e32 v49, 29, v51
	v_cmp_eq_u32_e64 s[0:1], 0, v50
	v_and_b32_e32 v48, 7, v48
	v_lshlrev_b32_e32 v2, 8, v2
	v_cndmask_b32_e64 v49, v50, v49, s[0:1]
	v_cndmask_b32_e64 v47, v47, v48, s[0:1]
	v_lshl_add_u32 v48, v49, 10, v25
	v_and_or_b32 v2, v2, s54, v48
	v_lshl_or_b32 v2, v47, 7, v2
	v_cvt_f32_f16_e32 v47, v2
.LBB259_92:                             ;   in Loop: Header=BB259_13 Depth=1
	s_or_b64 exec, exec, s[40:41]
	v_lshrrev_b32_e32 v2, 24, v12
	v_cmp_lt_i16_e64 s[0:1], s52, v2
	s_mov_b64 s[40:41], 0
                                        ; implicit-def: $sgpr55
	s_and_saveexec_b64 s[42:43], s[0:1]
	s_xor_b64 s[42:43], exec, s[42:43]
	s_cbranch_execnz .LBB259_222
; %bb.93:                               ;   in Loop: Header=BB259_13 Depth=1
	s_or_saveexec_b64 s[42:43], s[42:43]
	v_mov_b32_e32 v48, s55
	s_xor_b64 exec, exec, s[42:43]
	s_cbranch_execnz .LBB259_225
.LBB259_94:                             ;   in Loop: Header=BB259_13 Depth=1
	s_or_b64 exec, exec, s[42:43]
	s_and_saveexec_b64 s[42:43], s[40:41]
	s_cbranch_execz .LBB259_96
.LBB259_95:                             ;   in Loop: Header=BB259_13 Depth=1
	v_bfe_u32 v50, v12, 24, 3
	v_ffbh_u32_e32 v48, v50
	v_min_u32_e32 v51, 32, v48
	v_subrev_u32_e32 v48, 28, v51
	v_bfe_u32 v12, v12, 27, 4
	v_lshlrev_b64 v[48:49], v48, v[2:3]
	v_sub_u32_e32 v49, 29, v51
	v_cmp_eq_u32_e64 s[0:1], 0, v12
	v_and_b32_e32 v48, 7, v48
	v_lshlrev_b32_e32 v2, 8, v2
	v_cndmask_b32_e64 v12, v12, v49, s[0:1]
	v_lshl_add_u32 v12, v12, 10, v25
	v_cndmask_b32_e64 v48, v50, v48, s[0:1]
	v_and_or_b32 v2, v2, s54, v12
	v_lshl_or_b32 v2, v48, 7, v2
	v_cvt_f32_f16_e32 v48, v2
.LBB259_96:                             ;   in Loop: Header=BB259_13 Depth=1
	s_or_b64 exec, exec, s[42:43]
	global_load_dword v12, v[10:11], off offset:1032
	s_mov_b64 s[0:1], 0
                                        ; implicit-def: $sgpr44
	s_waitcnt vmcnt(0)
	v_cmp_gt_i16_sdwa s[40:41], v12, s52 src0_sel:BYTE_0 src1_sel:DWORD
	s_and_saveexec_b64 s[42:43], s[40:41]
	s_xor_b64 s[40:41], exec, s[42:43]
	s_cbranch_execnz .LBB259_226
; %bb.97:                               ;   in Loop: Header=BB259_13 Depth=1
	s_or_saveexec_b64 s[40:41], s[40:41]
	v_mov_b32_e32 v49, s44
	s_xor_b64 exec, exec, s[40:41]
	s_cbranch_execnz .LBB259_229
.LBB259_98:                             ;   in Loop: Header=BB259_13 Depth=1
	s_or_b64 exec, exec, s[40:41]
	s_and_saveexec_b64 s[40:41], s[0:1]
	s_cbranch_execz .LBB259_100
.LBB259_99:                             ;   in Loop: Header=BB259_13 Depth=1
	v_and_b32_e32 v2, 7, v12
	v_ffbh_u32_e32 v50, v2
	v_min_u32_e32 v52, 32, v50
	v_subrev_u32_e32 v50, 28, v52
	v_bfe_u32 v49, v12, 3, 4
	v_lshlrev_b64 v[50:51], v50, v[12:13]
	v_sub_u32_e32 v51, 29, v52
	v_cmp_eq_u32_e64 s[0:1], 0, v49
	v_and_b32_e32 v50, 7, v50
	s_nop 0
	v_cndmask_b32_e64 v49, v49, v51, s[0:1]
	v_cndmask_b32_e64 v2, v2, v50, s[0:1]
	v_lshlrev_b32_e32 v50, 8, v12
	v_lshl_add_u32 v49, v49, 10, v25
	v_and_or_b32 v49, v50, s54, v49
	v_lshl_or_b32 v2, v2, 7, v49
	v_cvt_f32_f16_e32 v49, v2
.LBB259_100:                            ;   in Loop: Header=BB259_13 Depth=1
	s_or_b64 exec, exec, s[40:41]
	v_lshrrev_b16_e32 v2, 8, v12
	v_cmp_lt_i16_e64 s[0:1], s52, v2
	s_mov_b64 s[40:41], 0
                                        ; implicit-def: $sgpr55
	s_and_saveexec_b64 s[42:43], s[0:1]
	s_xor_b64 s[42:43], exec, s[42:43]
	s_cbranch_execnz .LBB259_230
; %bb.101:                              ;   in Loop: Header=BB259_13 Depth=1
	s_or_saveexec_b64 s[42:43], s[42:43]
	v_mov_b32_e32 v50, s55
	s_xor_b64 exec, exec, s[42:43]
	s_cbranch_execnz .LBB259_233
.LBB259_102:                            ;   in Loop: Header=BB259_13 Depth=1
	s_or_b64 exec, exec, s[42:43]
	s_and_saveexec_b64 s[42:43], s[40:41]
	s_cbranch_execz .LBB259_104
.LBB259_103:                            ;   in Loop: Header=BB259_13 Depth=1
	v_and_b32_e32 v52, 7, v2
	v_ffbh_u32_e32 v50, v52
	v_min_u32_e32 v54, 32, v50
	v_subrev_u32_e32 v50, 28, v54
	v_bfe_u32 v53, v2, 3, 4
	v_lshlrev_b64 v[50:51], v50, v[2:3]
	v_sub_u32_e32 v51, 29, v54
	v_cmp_eq_u32_e64 s[0:1], 0, v53
	v_and_b32_e32 v50, 7, v50
	v_lshlrev_b32_e32 v2, 8, v2
	v_cndmask_b32_e64 v51, v53, v51, s[0:1]
	v_lshl_add_u32 v51, v51, 10, v25
	v_cndmask_b32_e64 v50, v52, v50, s[0:1]
	v_and_or_b32 v2, v2, s54, v51
	v_lshl_or_b32 v2, v50, 7, v2
	v_cvt_f32_f16_e32 v50, v2
.LBB259_104:                            ;   in Loop: Header=BB259_13 Depth=1
	s_or_b64 exec, exec, s[42:43]
	v_lshrrev_b32_e32 v2, 16, v12
	v_cmp_gt_i16_sdwa s[40:41], v2, s52 src0_sel:BYTE_0 src1_sel:DWORD
	s_mov_b64 s[0:1], 0
                                        ; implicit-def: $sgpr44
	s_and_saveexec_b64 s[42:43], s[40:41]
	s_xor_b64 s[40:41], exec, s[42:43]
	s_cbranch_execnz .LBB259_234
; %bb.105:                              ;   in Loop: Header=BB259_13 Depth=1
	s_or_saveexec_b64 s[40:41], s[40:41]
	v_mov_b32_e32 v51, s44
	s_xor_b64 exec, exec, s[40:41]
	s_cbranch_execnz .LBB259_237
.LBB259_106:                            ;   in Loop: Header=BB259_13 Depth=1
	s_or_b64 exec, exec, s[40:41]
	s_and_saveexec_b64 s[40:41], s[0:1]
	s_cbranch_execz .LBB259_108
.LBB259_107:                            ;   in Loop: Header=BB259_13 Depth=1
	v_bfe_u32 v51, v12, 16, 3
	v_ffbh_u32_e32 v52, v51
	v_min_u32_e32 v55, 32, v52
	v_subrev_u32_e32 v52, 28, v55
	v_bfe_u32 v54, v12, 19, 4
	v_lshlrev_b64 v[52:53], v52, v[2:3]
	v_sub_u32_e32 v53, 29, v55
	v_cmp_eq_u32_e64 s[0:1], 0, v54
	v_and_b32_e32 v52, 7, v52
	v_lshlrev_b32_e32 v2, 8, v2
	v_cndmask_b32_e64 v53, v54, v53, s[0:1]
	v_cndmask_b32_e64 v51, v51, v52, s[0:1]
	v_lshl_add_u32 v52, v53, 10, v25
	v_and_or_b32 v2, v2, s54, v52
	v_lshl_or_b32 v2, v51, 7, v2
	v_cvt_f32_f16_e32 v51, v2
.LBB259_108:                            ;   in Loop: Header=BB259_13 Depth=1
	s_or_b64 exec, exec, s[40:41]
	v_lshrrev_b32_e32 v2, 24, v12
	v_cmp_lt_i16_e64 s[0:1], s52, v2
	s_mov_b64 s[40:41], 0
                                        ; implicit-def: $sgpr55
	s_and_saveexec_b64 s[42:43], s[0:1]
	s_xor_b64 s[42:43], exec, s[42:43]
	s_cbranch_execnz .LBB259_238
; %bb.109:                              ;   in Loop: Header=BB259_13 Depth=1
	s_or_saveexec_b64 s[42:43], s[42:43]
	v_mov_b32_e32 v52, s55
	s_xor_b64 exec, exec, s[42:43]
	s_cbranch_execnz .LBB259_241
.LBB259_110:                            ;   in Loop: Header=BB259_13 Depth=1
	s_or_b64 exec, exec, s[42:43]
	s_and_saveexec_b64 s[42:43], s[40:41]
	s_cbranch_execz .LBB259_112
.LBB259_111:                            ;   in Loop: Header=BB259_13 Depth=1
	v_bfe_u32 v54, v12, 24, 3
	v_ffbh_u32_e32 v52, v54
	v_min_u32_e32 v55, 32, v52
	v_subrev_u32_e32 v52, 28, v55
	v_bfe_u32 v12, v12, 27, 4
	v_lshlrev_b64 v[52:53], v52, v[2:3]
	v_sub_u32_e32 v53, 29, v55
	v_cmp_eq_u32_e64 s[0:1], 0, v12
	v_and_b32_e32 v52, 7, v52
	v_lshlrev_b32_e32 v2, 8, v2
	v_cndmask_b32_e64 v12, v12, v53, s[0:1]
	v_lshl_add_u32 v12, v12, 10, v25
	v_cndmask_b32_e64 v52, v54, v52, s[0:1]
	v_and_or_b32 v2, v2, s54, v12
	v_lshl_or_b32 v2, v52, 7, v2
	v_cvt_f32_f16_e32 v52, v2
.LBB259_112:                            ;   in Loop: Header=BB259_13 Depth=1
	s_or_b64 exec, exec, s[42:43]
	global_load_dword v12, v[10:11], off offset:1536
	s_mov_b64 s[0:1], 0
                                        ; implicit-def: $sgpr44
	s_waitcnt vmcnt(0)
	v_cmp_gt_i16_sdwa s[40:41], v12, s52 src0_sel:BYTE_0 src1_sel:DWORD
	s_and_saveexec_b64 s[42:43], s[40:41]
	s_xor_b64 s[40:41], exec, s[42:43]
	s_cbranch_execnz .LBB259_242
; %bb.113:                              ;   in Loop: Header=BB259_13 Depth=1
	s_or_saveexec_b64 s[40:41], s[40:41]
	v_mov_b32_e32 v53, s44
	s_xor_b64 exec, exec, s[40:41]
	s_cbranch_execnz .LBB259_245
.LBB259_114:                            ;   in Loop: Header=BB259_13 Depth=1
	s_or_b64 exec, exec, s[40:41]
	s_and_saveexec_b64 s[40:41], s[0:1]
	s_cbranch_execz .LBB259_116
.LBB259_115:                            ;   in Loop: Header=BB259_13 Depth=1
	v_and_b32_e32 v2, 7, v12
	v_ffbh_u32_e32 v54, v2
	v_min_u32_e32 v56, 32, v54
	v_subrev_u32_e32 v54, 28, v56
	v_bfe_u32 v53, v12, 3, 4
	v_lshlrev_b64 v[54:55], v54, v[12:13]
	v_sub_u32_e32 v55, 29, v56
	v_cmp_eq_u32_e64 s[0:1], 0, v53
	v_and_b32_e32 v54, 7, v54
	s_nop 0
	v_cndmask_b32_e64 v53, v53, v55, s[0:1]
	v_cndmask_b32_e64 v2, v2, v54, s[0:1]
	v_lshlrev_b32_e32 v54, 8, v12
	v_lshl_add_u32 v53, v53, 10, v25
	v_and_or_b32 v53, v54, s54, v53
	v_lshl_or_b32 v2, v2, 7, v53
	v_cvt_f32_f16_e32 v53, v2
.LBB259_116:                            ;   in Loop: Header=BB259_13 Depth=1
	s_or_b64 exec, exec, s[40:41]
	v_lshrrev_b16_e32 v2, 8, v12
	v_cmp_lt_i16_e64 s[0:1], s52, v2
	s_mov_b64 s[40:41], 0
                                        ; implicit-def: $sgpr55
	s_and_saveexec_b64 s[42:43], s[0:1]
	s_xor_b64 s[42:43], exec, s[42:43]
	s_cbranch_execnz .LBB259_246
; %bb.117:                              ;   in Loop: Header=BB259_13 Depth=1
	s_or_saveexec_b64 s[42:43], s[42:43]
	v_mov_b32_e32 v54, s55
	s_xor_b64 exec, exec, s[42:43]
	s_cbranch_execnz .LBB259_249
.LBB259_118:                            ;   in Loop: Header=BB259_13 Depth=1
	s_or_b64 exec, exec, s[42:43]
	s_and_saveexec_b64 s[42:43], s[40:41]
	s_cbranch_execz .LBB259_120
.LBB259_119:                            ;   in Loop: Header=BB259_13 Depth=1
	v_and_b32_e32 v56, 7, v2
	v_ffbh_u32_e32 v54, v56
	v_min_u32_e32 v58, 32, v54
	v_subrev_u32_e32 v54, 28, v58
	v_bfe_u32 v57, v2, 3, 4
	v_lshlrev_b64 v[54:55], v54, v[2:3]
	v_sub_u32_e32 v55, 29, v58
	v_cmp_eq_u32_e64 s[0:1], 0, v57
	v_and_b32_e32 v54, 7, v54
	v_lshlrev_b32_e32 v2, 8, v2
	v_cndmask_b32_e64 v55, v57, v55, s[0:1]
	v_lshl_add_u32 v55, v55, 10, v25
	v_cndmask_b32_e64 v54, v56, v54, s[0:1]
	v_and_or_b32 v2, v2, s54, v55
	v_lshl_or_b32 v2, v54, 7, v2
	v_cvt_f32_f16_e32 v54, v2
.LBB259_120:                            ;   in Loop: Header=BB259_13 Depth=1
	s_or_b64 exec, exec, s[42:43]
	v_lshrrev_b32_e32 v2, 16, v12
	v_cmp_gt_i16_sdwa s[40:41], v2, s52 src0_sel:BYTE_0 src1_sel:DWORD
	s_mov_b64 s[0:1], 0
                                        ; implicit-def: $sgpr44
	s_and_saveexec_b64 s[42:43], s[40:41]
	s_xor_b64 s[40:41], exec, s[42:43]
	s_cbranch_execnz .LBB259_250
; %bb.121:                              ;   in Loop: Header=BB259_13 Depth=1
	s_or_saveexec_b64 s[40:41], s[40:41]
	v_mov_b32_e32 v55, s44
	s_xor_b64 exec, exec, s[40:41]
	s_cbranch_execnz .LBB259_253
.LBB259_122:                            ;   in Loop: Header=BB259_13 Depth=1
	s_or_b64 exec, exec, s[40:41]
	s_and_saveexec_b64 s[40:41], s[0:1]
	s_cbranch_execz .LBB259_124
.LBB259_123:                            ;   in Loop: Header=BB259_13 Depth=1
	v_bfe_u32 v55, v12, 16, 3
	v_ffbh_u32_e32 v56, v55
	v_min_u32_e32 v59, 32, v56
	v_subrev_u32_e32 v56, 28, v59
	v_bfe_u32 v58, v12, 19, 4
	v_lshlrev_b64 v[56:57], v56, v[2:3]
	v_sub_u32_e32 v57, 29, v59
	v_cmp_eq_u32_e64 s[0:1], 0, v58
	v_and_b32_e32 v56, 7, v56
	v_lshlrev_b32_e32 v2, 8, v2
	v_cndmask_b32_e64 v57, v58, v57, s[0:1]
	v_cndmask_b32_e64 v55, v55, v56, s[0:1]
	v_lshl_add_u32 v56, v57, 10, v25
	v_and_or_b32 v2, v2, s54, v56
	v_lshl_or_b32 v2, v55, 7, v2
	v_cvt_f32_f16_e32 v55, v2
.LBB259_124:                            ;   in Loop: Header=BB259_13 Depth=1
	s_or_b64 exec, exec, s[40:41]
	v_lshrrev_b32_e32 v2, 24, v12
	v_cmp_lt_i16_e64 s[0:1], s52, v2
	s_mov_b64 s[40:41], 0
                                        ; implicit-def: $sgpr55
	s_and_saveexec_b64 s[42:43], s[0:1]
	s_xor_b64 s[42:43], exec, s[42:43]
	s_cbranch_execnz .LBB259_254
; %bb.125:                              ;   in Loop: Header=BB259_13 Depth=1
	s_or_saveexec_b64 s[42:43], s[42:43]
	v_mov_b32_e32 v56, s55
	s_xor_b64 exec, exec, s[42:43]
	s_cbranch_execnz .LBB259_257
.LBB259_126:                            ;   in Loop: Header=BB259_13 Depth=1
	s_or_b64 exec, exec, s[42:43]
	s_and_saveexec_b64 s[42:43], s[40:41]
	s_cbranch_execz .LBB259_128
.LBB259_127:                            ;   in Loop: Header=BB259_13 Depth=1
	v_bfe_u32 v58, v12, 24, 3
	v_ffbh_u32_e32 v56, v58
	v_min_u32_e32 v59, 32, v56
	v_subrev_u32_e32 v56, 28, v59
	v_bfe_u32 v12, v12, 27, 4
	v_lshlrev_b64 v[56:57], v56, v[2:3]
	v_sub_u32_e32 v57, 29, v59
	v_cmp_eq_u32_e64 s[0:1], 0, v12
	v_and_b32_e32 v56, 7, v56
	v_lshlrev_b32_e32 v2, 8, v2
	v_cndmask_b32_e64 v12, v12, v57, s[0:1]
	v_lshl_add_u32 v12, v12, 10, v25
	v_cndmask_b32_e64 v56, v58, v56, s[0:1]
	v_and_or_b32 v2, v2, s54, v12
	v_lshl_or_b32 v2, v56, 7, v2
	v_cvt_f32_f16_e32 v56, v2
.LBB259_128:                            ;   in Loop: Header=BB259_13 Depth=1
	s_or_b64 exec, exec, s[42:43]
	global_load_dword v10, v[10:11], off offset:1544
	s_mov_b64 s[0:1], 0
                                        ; implicit-def: $sgpr44
	s_waitcnt vmcnt(0)
	v_cmp_gt_i16_sdwa s[40:41], v10, s52 src0_sel:BYTE_0 src1_sel:DWORD
	s_and_saveexec_b64 s[42:43], s[40:41]
	s_xor_b64 s[40:41], exec, s[42:43]
	s_cbranch_execnz .LBB259_258
; %bb.129:                              ;   in Loop: Header=BB259_13 Depth=1
	s_or_saveexec_b64 s[40:41], s[40:41]
	v_mov_b32_e32 v11, s44
	s_xor_b64 exec, exec, s[40:41]
	s_cbranch_execnz .LBB259_261
.LBB259_130:                            ;   in Loop: Header=BB259_13 Depth=1
	s_or_b64 exec, exec, s[40:41]
	s_and_saveexec_b64 s[40:41], s[0:1]
	s_cbranch_execz .LBB259_132
.LBB259_131:                            ;   in Loop: Header=BB259_13 Depth=1
	v_and_b32_e32 v2, 7, v10
	v_ffbh_u32_e32 v12, v2
	v_bfe_u32 v11, v10, 3, 4
	v_min_u32_e32 v12, 32, v12
	v_subrev_u32_e32 v57, 28, v12
	v_sub_u32_e32 v12, 29, v12
	v_cmp_eq_u32_e64 s[0:1], 0, v11
	v_lshlrev_b64 v[58:59], v57, v[10:11]
	v_and_b32_e32 v57, 7, v58
	v_cndmask_b32_e64 v11, v11, v12, s[0:1]
	v_lshlrev_b32_e32 v12, 8, v10
	v_lshl_add_u32 v11, v11, 10, v25
	v_cndmask_b32_e64 v2, v2, v57, s[0:1]
	v_and_or_b32 v11, v12, s54, v11
	v_lshl_or_b32 v2, v2, 7, v11
	v_cvt_f32_f16_e32 v11, v2
.LBB259_132:                            ;   in Loop: Header=BB259_13 Depth=1
	s_or_b64 exec, exec, s[40:41]
	v_lshrrev_b16_e32 v2, 8, v10
	v_cmp_lt_i16_e64 s[0:1], s52, v2
	s_mov_b64 s[40:41], 0
                                        ; implicit-def: $sgpr55
	s_and_saveexec_b64 s[42:43], s[0:1]
	s_xor_b64 s[42:43], exec, s[42:43]
	s_cbranch_execnz .LBB259_262
; %bb.133:                              ;   in Loop: Header=BB259_13 Depth=1
	s_or_saveexec_b64 s[42:43], s[42:43]
	v_mov_b32_e32 v12, s55
	s_xor_b64 exec, exec, s[42:43]
	s_cbranch_execnz .LBB259_265
.LBB259_134:                            ;   in Loop: Header=BB259_13 Depth=1
	s_or_b64 exec, exec, s[42:43]
	s_and_saveexec_b64 s[42:43], s[40:41]
	s_cbranch_execz .LBB259_136
.LBB259_135:                            ;   in Loop: Header=BB259_13 Depth=1
	v_and_b32_e32 v12, 7, v2
	v_ffbh_u32_e32 v58, v12
	v_min_u32_e32 v60, 32, v58
	v_subrev_u32_e32 v58, 28, v60
	v_bfe_u32 v57, v2, 3, 4
	v_lshlrev_b64 v[58:59], v58, v[2:3]
	v_sub_u32_e32 v59, 29, v60
	v_cmp_eq_u32_e64 s[0:1], 0, v57
	v_and_b32_e32 v58, 7, v58
	v_lshlrev_b32_e32 v2, 8, v2
	v_cndmask_b32_e64 v57, v57, v59, s[0:1]
	v_lshl_add_u32 v57, v57, 10, v25
	v_cndmask_b32_e64 v12, v12, v58, s[0:1]
	v_and_or_b32 v2, v2, s54, v57
	v_lshl_or_b32 v2, v12, 7, v2
	v_cvt_f32_f16_e32 v12, v2
.LBB259_136:                            ;   in Loop: Header=BB259_13 Depth=1
	s_or_b64 exec, exec, s[42:43]
	v_lshrrev_b32_e32 v2, 16, v10
	v_cmp_gt_i16_sdwa s[40:41], v2, s52 src0_sel:BYTE_0 src1_sel:DWORD
	s_mov_b64 s[0:1], 0
                                        ; implicit-def: $sgpr44
	s_and_saveexec_b64 s[42:43], s[40:41]
	s_xor_b64 s[40:41], exec, s[42:43]
	s_cbranch_execnz .LBB259_266
; %bb.137:                              ;   in Loop: Header=BB259_13 Depth=1
	s_or_saveexec_b64 s[40:41], s[40:41]
	v_mov_b32_e32 v57, s44
	s_xor_b64 exec, exec, s[40:41]
	s_cbranch_execnz .LBB259_269
.LBB259_138:                            ;   in Loop: Header=BB259_13 Depth=1
	s_or_b64 exec, exec, s[40:41]
	s_and_saveexec_b64 s[40:41], s[0:1]
	s_cbranch_execz .LBB259_140
.LBB259_139:                            ;   in Loop: Header=BB259_13 Depth=1
	v_bfe_u32 v57, v10, 16, 3
	v_ffbh_u32_e32 v58, v57
	v_min_u32_e32 v61, 32, v58
	v_subrev_u32_e32 v58, 28, v61
	v_bfe_u32 v60, v10, 19, 4
	v_lshlrev_b64 v[58:59], v58, v[2:3]
	v_sub_u32_e32 v59, 29, v61
	v_cmp_eq_u32_e64 s[0:1], 0, v60
	v_and_b32_e32 v58, 7, v58
	v_lshlrev_b32_e32 v2, 8, v2
	v_cndmask_b32_e64 v59, v60, v59, s[0:1]
	v_cndmask_b32_e64 v57, v57, v58, s[0:1]
	v_lshl_add_u32 v58, v59, 10, v25
	v_and_or_b32 v2, v2, s54, v58
	v_lshl_or_b32 v2, v57, 7, v2
	v_cvt_f32_f16_e32 v57, v2
.LBB259_140:                            ;   in Loop: Header=BB259_13 Depth=1
	s_or_b64 exec, exec, s[40:41]
	v_lshrrev_b32_e32 v2, 24, v10
	v_cmp_lt_i16_e64 s[0:1], s52, v2
	s_mov_b64 s[40:41], 0
                                        ; implicit-def: $sgpr55
	s_and_saveexec_b64 s[42:43], s[0:1]
	s_xor_b64 s[42:43], exec, s[42:43]
	s_cbranch_execnz .LBB259_270
; %bb.141:                              ;   in Loop: Header=BB259_13 Depth=1
	s_or_saveexec_b64 s[42:43], s[42:43]
	v_mov_b32_e32 v58, s55
	s_xor_b64 exec, exec, s[42:43]
	s_cbranch_execnz .LBB259_273
.LBB259_142:                            ;   in Loop: Header=BB259_13 Depth=1
	s_or_b64 exec, exec, s[42:43]
	s_and_saveexec_b64 s[42:43], s[40:41]
	s_cbranch_execz .LBB259_144
.LBB259_143:                            ;   in Loop: Header=BB259_13 Depth=1
	v_bfe_u32 v60, v10, 24, 3
	v_ffbh_u32_e32 v58, v60
	v_min_u32_e32 v61, 32, v58
	v_subrev_u32_e32 v58, 28, v61
	v_bfe_u32 v10, v10, 27, 4
	v_lshlrev_b64 v[58:59], v58, v[2:3]
	v_sub_u32_e32 v59, 29, v61
	v_cmp_eq_u32_e64 s[0:1], 0, v10
	v_and_b32_e32 v58, 7, v58
	v_lshlrev_b32_e32 v2, 8, v2
	v_cndmask_b32_e64 v10, v10, v59, s[0:1]
	v_lshl_add_u32 v10, v10, 10, v25
	v_cndmask_b32_e64 v58, v60, v58, s[0:1]
	v_and_or_b32 v2, v2, s54, v10
	v_lshl_or_b32 v2, v58, 7, v2
	v_cvt_f32_f16_e32 v58, v2
.LBB259_144:                            ;   in Loop: Header=BB259_13 Depth=1
	s_or_b64 exec, exec, s[42:43]
	v_fma_mixlo_f16 v2, v28, v54, 0
	v_fma_mixlo_f16 v54, v28, v55, 0
	;; [unrolled: 1-line block ×5, first 2 shown]
	ds_read_b64 v[34:35], v18
	v_fma_mixlo_f16 v30, v28, v30, 0
	v_fma_mixlo_f16 v29, v28, v29, 0
	v_and_b32_e32 v29, 0xffff, v29
	v_and_b32_e32 v30, 0xffff, v30
	s_waitcnt lgkmcnt(0)
	v_lshrrev_b32_e32 v59, 16, v34
	v_and_b32_e32 v34, 0xffff, v34
	v_fma_mixlo_f16 v31, v28, v31, 0
	;;#ASMSTART
	v_cvt_f32_f16 v34, v34;
	;;#ASMEND
	;;#ASMSTART
	v_cvt_f32_f16 v59, v59;
	;;#ASMEND
	;; [unrolled: 3-line block ×4, first 2 shown]
	v_lshrrev_b32_e32 v30, 16, v35
	v_and_b32_e32 v35, 0xffff, v35
	v_fma_mixlo_f16 v32, v28, v32, 0
	;;#ASMSTART
	v_cvt_f32_f16 v35, v35;
	;;#ASMEND
	;;#ASMSTART
	v_cvt_f32_f16 v61, v30;
	;;#ASMEND
	v_and_b32_e32 v30, 0xffff, v31
	;;#ASMSTART
	v_cvt_f32_f16 v62, v30;
	;;#ASMEND
	v_and_b32_e32 v30, 0xffff, v32
	;;#ASMSTART
	v_cvt_f32_f16 v32, v30;
	;;#ASMEND
	ds_read_b64 v[30:31], v18 offset:8
	v_fma_mixlo_f16 v33, v28, v33, 0
	v_fma_mixlo_f16 v63, v28, v11, 0
	v_and_b32_e32 v33, 0xffff, v33
	v_and_b32_e32 v10, 0xffff, v10
	s_waitcnt lgkmcnt(0)
	v_lshrrev_b32_e32 v11, 16, v30
	v_and_b32_e32 v30, 0xffff, v30
	;;#ASMSTART
	v_cvt_f32_f16 v30, v30;
	;;#ASMEND
	;;#ASMSTART
	v_cvt_f32_f16 v11, v11;
	;;#ASMEND
	;; [unrolled: 3-line block ×4, first 2 shown]
	v_fma_mixlo_f16 v36, v28, v36, 0
	v_mul_f32_e32 v30, v30, v33
	v_fmac_f32_e32 v30, v34, v29
	v_mul_f32_e32 v29, v11, v10
	v_lshrrev_b32_e32 v10, 16, v31
	v_and_b32_e32 v11, 0xffff, v31
	;;#ASMSTART
	v_cvt_f32_f16 v31, v11;
	;;#ASMEND
	;;#ASMSTART
	v_cvt_f32_f16 v33, v10;
	;;#ASMEND
	v_and_b32_e32 v10, 0xffff, v56
	;;#ASMSTART
	v_cvt_f32_f16 v34, v10;
	;;#ASMEND
	v_and_b32_e32 v10, 0xffff, v36
	;;#ASMSTART
	v_cvt_f32_f16 v36, v10;
	;;#ASMEND
	ds_read_b64 v[10:11], v18 offset:16
	v_mul_f32_e32 v33, v33, v36
	v_fma_mixlo_f16 v37, v28, v37, 0
	v_fmac_f32_e32 v33, v61, v32
	v_fma_mixlo_f16 v38, v28, v38, 0
	s_waitcnt lgkmcnt(0)
	v_lshrrev_b32_e32 v32, 16, v10
	v_and_b32_e32 v10, 0xffff, v10
	v_mul_f32_e32 v31, v31, v34
	;;#ASMSTART
	v_cvt_f32_f16 v34, v10;
	;;#ASMEND
	v_and_b32_e32 v10, 0xffff, v37
	v_fmac_f32_e32 v31, v35, v62
	;;#ASMSTART
	v_cvt_f32_f16 v32, v32;
	;;#ASMEND
	;;#ASMSTART
	v_cvt_f32_f16 v35, v10;
	;;#ASMEND
	v_and_b32_e32 v10, 0xffff, v38
	v_fma_mixlo_f16 v39, v28, v39, 0
	;;#ASMSTART
	v_cvt_f32_f16 v36, v10;
	;;#ASMEND
	v_lshrrev_b32_e32 v10, 16, v11
	v_fma_mixlo_f16 v40, v28, v40, 0
	v_and_b32_e32 v11, 0xffff, v11
	;;#ASMSTART
	v_cvt_f32_f16 v37, v11;
	;;#ASMEND
	;;#ASMSTART
	v_cvt_f32_f16 v38, v10;
	;;#ASMEND
	v_and_b32_e32 v10, 0xffff, v39
	;;#ASMSTART
	v_cvt_f32_f16 v39, v10;
	;;#ASMEND
	v_and_b32_e32 v10, 0xffff, v40
	;;#ASMSTART
	v_cvt_f32_f16 v40, v10;
	;;#ASMEND
	ds_read_b64 v[10:11], v18 offset:24
	v_fmac_f32_e32 v29, v59, v60
	v_fma_mixlo_f16 v41, v28, v41, 0
	v_fmac_f32_e32 v29, v32, v36
	v_fma_mixlo_f16 v42, v28, v42, 0
	s_waitcnt lgkmcnt(0)
	v_lshrrev_b32_e32 v32, 16, v10
	v_and_b32_e32 v10, 0xffff, v10
	v_fmac_f32_e32 v30, v34, v35
	;;#ASMSTART
	v_cvt_f32_f16 v34, v10;
	;;#ASMEND
	v_and_b32_e32 v10, 0xffff, v41
	;;#ASMSTART
	v_cvt_f32_f16 v32, v32;
	;;#ASMEND
	;;#ASMSTART
	v_cvt_f32_f16 v35, v10;
	;;#ASMEND
	v_and_b32_e32 v10, 0xffff, v42
	v_fma_mixlo_f16 v43, v28, v43, 0
	;;#ASMSTART
	v_cvt_f32_f16 v36, v10;
	;;#ASMEND
	v_lshrrev_b32_e32 v10, 16, v11
	v_fma_mixlo_f16 v44, v28, v44, 0
	v_fmac_f32_e32 v31, v37, v39
	v_fmac_f32_e32 v33, v38, v40
	v_and_b32_e32 v11, 0xffff, v11
	;;#ASMSTART
	v_cvt_f32_f16 v37, v11;
	;;#ASMEND
	;;#ASMSTART
	v_cvt_f32_f16 v38, v10;
	;;#ASMEND
	v_and_b32_e32 v10, 0xffff, v43
	;;#ASMSTART
	v_cvt_f32_f16 v39, v10;
	;;#ASMEND
	v_and_b32_e32 v10, 0xffff, v44
	;;#ASMSTART
	v_cvt_f32_f16 v40, v10;
	;;#ASMEND
	ds_read_b64 v[10:11], v18 offset:32
	v_fma_mixlo_f16 v45, v28, v45, 0
	v_fmac_f32_e32 v29, v32, v36
	v_fma_mixlo_f16 v46, v28, v46, 0
	v_fmac_f32_e32 v30, v34, v35
	s_waitcnt lgkmcnt(0)
	v_lshrrev_b32_e32 v32, 16, v10
	v_and_b32_e32 v10, 0xffff, v10
	;;#ASMSTART
	v_cvt_f32_f16 v34, v10;
	;;#ASMEND
	v_and_b32_e32 v10, 0xffff, v45
	;;#ASMSTART
	v_cvt_f32_f16 v32, v32;
	;;#ASMEND
	;;#ASMSTART
	v_cvt_f32_f16 v35, v10;
	;;#ASMEND
	v_and_b32_e32 v10, 0xffff, v46
	v_fma_mixlo_f16 v47, v28, v47, 0
	;;#ASMSTART
	v_cvt_f32_f16 v36, v10;
	;;#ASMEND
	v_lshrrev_b32_e32 v10, 16, v11
	v_fma_mixlo_f16 v48, v28, v48, 0
	v_fmac_f32_e32 v31, v37, v39
	v_fmac_f32_e32 v33, v38, v40
	v_and_b32_e32 v11, 0xffff, v11
	;;#ASMSTART
	v_cvt_f32_f16 v37, v11;
	;;#ASMEND
	;;#ASMSTART
	v_cvt_f32_f16 v38, v10;
	;;#ASMEND
	v_and_b32_e32 v10, 0xffff, v47
	;;#ASMSTART
	v_cvt_f32_f16 v39, v10;
	;;#ASMEND
	v_and_b32_e32 v10, 0xffff, v48
	;;#ASMSTART
	v_cvt_f32_f16 v40, v10;
	;;#ASMEND
	ds_read_b64 v[10:11], v18 offset:40
	v_fma_mixlo_f16 v49, v28, v49, 0
	v_fmac_f32_e32 v29, v32, v36
	v_fma_mixlo_f16 v50, v28, v50, 0
	v_fmac_f32_e32 v30, v34, v35
	s_waitcnt lgkmcnt(0)
	v_lshrrev_b32_e32 v32, 16, v10
	v_and_b32_e32 v10, 0xffff, v10
	;;#ASMSTART
	v_cvt_f32_f16 v34, v10;
	;;#ASMEND
	v_and_b32_e32 v10, 0xffff, v49
	;;#ASMSTART
	v_cvt_f32_f16 v32, v32;
	;;#ASMEND
	;;#ASMSTART
	v_cvt_f32_f16 v35, v10;
	;;#ASMEND
	v_and_b32_e32 v10, 0xffff, v50
	v_fma_mixlo_f16 v51, v28, v51, 0
	;;#ASMSTART
	v_cvt_f32_f16 v36, v10;
	;;#ASMEND
	v_lshrrev_b32_e32 v10, 16, v11
	v_fma_mixlo_f16 v52, v28, v52, 0
	v_fmac_f32_e32 v31, v37, v39
	v_fmac_f32_e32 v33, v38, v40
	v_and_b32_e32 v11, 0xffff, v11
	;;#ASMSTART
	v_cvt_f32_f16 v37, v11;
	;;#ASMEND
	;;#ASMSTART
	v_cvt_f32_f16 v38, v10;
	;;#ASMEND
	v_and_b32_e32 v10, 0xffff, v51
	;;#ASMSTART
	v_cvt_f32_f16 v39, v10;
	;;#ASMEND
	v_and_b32_e32 v10, 0xffff, v52
	;;#ASMSTART
	v_cvt_f32_f16 v40, v10;
	;;#ASMEND
	ds_read_b64 v[10:11], v18 offset:48
	v_fma_mixlo_f16 v53, v28, v53, 0
	v_fmac_f32_e32 v29, v32, v36
	v_fmac_f32_e32 v30, v34, v35
	v_and_b32_e32 v2, 0xffff, v2
	s_waitcnt lgkmcnt(0)
	v_lshrrev_b32_e32 v32, 16, v10
	v_and_b32_e32 v10, 0xffff, v10
	;;#ASMSTART
	v_cvt_f32_f16 v34, v10;
	;;#ASMEND
	v_and_b32_e32 v10, 0xffff, v53
	;;#ASMSTART
	v_cvt_f32_f16 v32, v32;
	;;#ASMEND
	;;#ASMSTART
	v_cvt_f32_f16 v35, v10;
	;;#ASMEND
	v_lshrrev_b32_e32 v10, 16, v11
	v_fmac_f32_e32 v31, v37, v39
	;;#ASMSTART
	v_cvt_f32_f16 v2, v2;
	;;#ASMEND
	v_and_b32_e32 v11, 0xffff, v11
	;;#ASMSTART
	v_cvt_f32_f16 v36, v11;
	;;#ASMEND
	;;#ASMSTART
	v_cvt_f32_f16 v37, v10;
	;;#ASMEND
	v_and_b32_e32 v10, 0xffff, v54
	v_fmac_f32_e32 v33, v38, v40
	;;#ASMSTART
	v_cvt_f32_f16 v38, v10;
	;;#ASMEND
	v_and_b32_e32 v10, 0xffff, v55
	;;#ASMSTART
	v_cvt_f32_f16 v39, v10;
	;;#ASMEND
	ds_read_b64 v[10:11], v18 offset:56
	v_fma_mixlo_f16 v12, v28, v12, 0
	v_fmac_f32_e32 v29, v32, v2
	v_fma_mixlo_f16 v57, v28, v57, 0
	v_fmac_f32_e32 v30, v34, v35
	s_waitcnt lgkmcnt(0)
	v_lshrrev_b32_e32 v2, 16, v10
	v_and_b32_e32 v10, 0xffff, v10
	;;#ASMSTART
	v_cvt_f32_f16 v10, v10;
	;;#ASMEND
	;;#ASMSTART
	v_cvt_f32_f16 v2, v2;
	;;#ASMEND
	v_and_b32_e32 v32, 0xffff, v63
	v_and_b32_e32 v12, 0xffff, v12
	;;#ASMSTART
	v_cvt_f32_f16 v32, v32;
	;;#ASMEND
	;;#ASMSTART
	v_cvt_f32_f16 v12, v12;
	;;#ASMEND
	v_fmac_f32_e32 v31, v36, v38
	v_fmac_f32_e32 v30, v10, v32
	;; [unrolled: 1-line block ×3, first 2 shown]
	v_lshrrev_b32_e32 v2, 16, v11
	v_and_b32_e32 v10, 0xffff, v11
	v_and_b32_e32 v11, 0xffff, v57
	;;#ASMSTART
	v_cvt_f32_f16 v10, v10;
	;;#ASMEND
	;;#ASMSTART
	v_cvt_f32_f16 v2, v2;
	;;#ASMEND
	;; [unrolled: 3-line block ×3, first 2 shown]
	v_fma_mixlo_f16 v28, v28, v58, 0
	v_fmac_f32_e32 v31, v10, v11
	v_and_b32_e32 v11, 64, v26
	v_fmac_f32_e32 v33, v37, v39
	v_and_b32_e32 v12, 0xffff, v28
	v_xor_b32_e32 v10, 1, v26
	v_add_u32_e32 v11, 64, v11
	;;#ASMSTART
	v_cvt_f32_f16 v12, v12;
	;;#ASMEND
	v_cmp_lt_i32_e64 s[0:1], v10, v11
	v_fmac_f32_e32 v33, v2, v12
	v_add_f32_e32 v2, v30, v29
	v_add_f32_e32 v2, v2, v31
	v_cndmask_b32_e64 v10, v26, v10, s[0:1]
	v_add_f32_e32 v2, v33, v2
	v_lshlrev_b32_e32 v10, 2, v10
	ds_bpermute_b32 v10, v10, v2
	s_and_saveexec_b64 s[40:41], vcc
	s_cbranch_execz .LBB259_11
; %bb.145:                              ;   in Loop: Header=BB259_13 Depth=1
	v_add_u32_e32 v11, v23, v21
	v_cvt_f32_i32_e32 v11, v11
	s_waitcnt lgkmcnt(0)
	v_add_f32_e32 v2, v2, v10
	v_add_u32_e32 v12, v17, v21
	v_cmp_gt_i32_e64 s[0:1], s33, v12
	v_mul_f32_e32 v10, s48, v11
	v_cndmask_b32_e64 v10, 0, v10, s[2:3]
	v_fmac_f32_e32 v10, s37, v2
	v_cndmask_b32_e64 v2, 0, v10, s[0:1]
	ds_write_b32 v22, v2
	v_max_f32_e32 v2, v19, v19
	v_max_f32_e32 v2, v2, v10
	v_cndmask_b32_e64 v19, v19, v2, s[0:1]
	s_branch .LBB259_11
.LBB259_146:                            ;   in Loop: Header=BB259_13 Depth=1
	v_cmp_eq_u16_sdwa s[56:57], v12, s53 src0_sel:BYTE_0 src1_sel:DWORD
	s_mov_b64 s[0:1], -1
                                        ; implicit-def: $sgpr44
	s_and_saveexec_b64 s[42:43], s[56:57]
; %bb.147:                              ;   in Loop: Header=BB259_13 Depth=1
	s_mov_b32 s44, 0x7fc02000
	s_xor_b64 s[0:1], exec, -1
; %bb.148:                              ;   in Loop: Header=BB259_13 Depth=1
	s_or_b64 exec, exec, s[42:43]
	s_and_b64 s[0:1], s[0:1], exec
	s_or_saveexec_b64 s[40:41], s[40:41]
	v_mov_b32_e32 v29, s44
	s_xor_b64 exec, exec, s[40:41]
	s_cbranch_execz .LBB259_18
.LBB259_149:                            ;   in Loop: Header=BB259_13 Depth=1
	v_cmp_ne_u16_sdwa s[42:43], v12, v3 src0_sel:BYTE_0 src1_sel:DWORD
	s_andn2_b64 s[0:1], s[0:1], exec
	s_and_b64 s[42:43], s[42:43], exec
	v_mov_b32_e32 v29, 0
	s_or_b64 s[0:1], s[0:1], s[42:43]
	s_or_b64 exec, exec, s[40:41]
	s_and_saveexec_b64 s[40:41], s[0:1]
	s_cbranch_execnz .LBB259_19
	s_branch .LBB259_20
.LBB259_150:                            ;   in Loop: Header=BB259_13 Depth=1
	v_cmp_eq_u16_e64 s[0:1], s53, v2
	s_mov_b64 s[40:41], -1
                                        ; implicit-def: $sgpr55
	s_and_saveexec_b64 s[44:45], s[0:1]
; %bb.151:                              ;   in Loop: Header=BB259_13 Depth=1
	s_mov_b32 s55, 0x7fc02000
	s_xor_b64 s[40:41], exec, -1
; %bb.152:                              ;   in Loop: Header=BB259_13 Depth=1
	s_or_b64 exec, exec, s[44:45]
	s_and_b64 s[40:41], s[40:41], exec
	s_or_saveexec_b64 s[42:43], s[42:43]
	v_mov_b32_e32 v30, s55
	s_xor_b64 exec, exec, s[42:43]
	s_cbranch_execz .LBB259_22
.LBB259_153:                            ;   in Loop: Header=BB259_13 Depth=1
	v_cmp_ne_u16_e64 s[0:1], 0, v2
	s_andn2_b64 s[40:41], s[40:41], exec
	s_and_b64 s[0:1], s[0:1], exec
	v_mov_b32_e32 v30, 0
	s_or_b64 s[40:41], s[40:41], s[0:1]
	s_or_b64 exec, exec, s[42:43]
	s_and_saveexec_b64 s[42:43], s[40:41]
	s_cbranch_execnz .LBB259_23
	s_branch .LBB259_24
.LBB259_154:                            ;   in Loop: Header=BB259_13 Depth=1
	v_cmp_eq_u16_sdwa s[56:57], v2, s53 src0_sel:BYTE_0 src1_sel:DWORD
	s_mov_b64 s[0:1], -1
                                        ; implicit-def: $sgpr44
	s_and_saveexec_b64 s[42:43], s[56:57]
; %bb.155:                              ;   in Loop: Header=BB259_13 Depth=1
	s_mov_b32 s44, 0x7fc02000
	s_xor_b64 s[0:1], exec, -1
; %bb.156:                              ;   in Loop: Header=BB259_13 Depth=1
	s_or_b64 exec, exec, s[42:43]
	s_and_b64 s[0:1], s[0:1], exec
	s_or_saveexec_b64 s[40:41], s[40:41]
	v_mov_b32_e32 v31, s44
	s_xor_b64 exec, exec, s[40:41]
	s_cbranch_execz .LBB259_26
.LBB259_157:                            ;   in Loop: Header=BB259_13 Depth=1
	v_cmp_ne_u16_sdwa s[42:43], v2, v3 src0_sel:BYTE_0 src1_sel:DWORD
	s_andn2_b64 s[0:1], s[0:1], exec
	s_and_b64 s[42:43], s[42:43], exec
	v_mov_b32_e32 v31, 0
	s_or_b64 s[0:1], s[0:1], s[42:43]
	s_or_b64 exec, exec, s[40:41]
	s_and_saveexec_b64 s[40:41], s[0:1]
	s_cbranch_execnz .LBB259_27
	s_branch .LBB259_28
.LBB259_158:                            ;   in Loop: Header=BB259_13 Depth=1
	v_cmp_eq_u16_e64 s[0:1], s53, v2
	s_mov_b64 s[40:41], -1
                                        ; implicit-def: $sgpr55
	s_and_saveexec_b64 s[44:45], s[0:1]
; %bb.159:                              ;   in Loop: Header=BB259_13 Depth=1
	s_mov_b32 s55, 0x7fc02000
	s_xor_b64 s[40:41], exec, -1
; %bb.160:                              ;   in Loop: Header=BB259_13 Depth=1
	s_or_b64 exec, exec, s[44:45]
	s_and_b64 s[40:41], s[40:41], exec
	s_or_saveexec_b64 s[42:43], s[42:43]
	v_mov_b32_e32 v32, s55
	s_xor_b64 exec, exec, s[42:43]
	s_cbranch_execz .LBB259_30
.LBB259_161:                            ;   in Loop: Header=BB259_13 Depth=1
	v_cmp_ne_u16_e64 s[0:1], 0, v2
	s_andn2_b64 s[40:41], s[40:41], exec
	s_and_b64 s[0:1], s[0:1], exec
	v_mov_b32_e32 v32, 0
	s_or_b64 s[40:41], s[40:41], s[0:1]
	s_or_b64 exec, exec, s[42:43]
	s_and_saveexec_b64 s[42:43], s[40:41]
	s_cbranch_execnz .LBB259_31
	s_branch .LBB259_32
.LBB259_162:                            ;   in Loop: Header=BB259_13 Depth=1
	v_cmp_eq_u16_sdwa s[56:57], v12, s53 src0_sel:BYTE_0 src1_sel:DWORD
	s_mov_b64 s[0:1], -1
                                        ; implicit-def: $sgpr44
	s_and_saveexec_b64 s[42:43], s[56:57]
; %bb.163:                              ;   in Loop: Header=BB259_13 Depth=1
	s_mov_b32 s44, 0x7fc02000
	s_xor_b64 s[0:1], exec, -1
; %bb.164:                              ;   in Loop: Header=BB259_13 Depth=1
	s_or_b64 exec, exec, s[42:43]
	s_and_b64 s[0:1], s[0:1], exec
	s_or_saveexec_b64 s[40:41], s[40:41]
	v_mov_b32_e32 v33, s44
	s_xor_b64 exec, exec, s[40:41]
	s_cbranch_execz .LBB259_34
.LBB259_165:                            ;   in Loop: Header=BB259_13 Depth=1
	v_cmp_ne_u16_sdwa s[42:43], v12, v3 src0_sel:BYTE_0 src1_sel:DWORD
	s_andn2_b64 s[0:1], s[0:1], exec
	s_and_b64 s[42:43], s[42:43], exec
	v_mov_b32_e32 v33, 0
	s_or_b64 s[0:1], s[0:1], s[42:43]
	s_or_b64 exec, exec, s[40:41]
	s_and_saveexec_b64 s[40:41], s[0:1]
	s_cbranch_execnz .LBB259_35
	s_branch .LBB259_36
.LBB259_166:                            ;   in Loop: Header=BB259_13 Depth=1
	v_cmp_eq_u16_e64 s[0:1], s53, v2
	s_mov_b64 s[40:41], -1
                                        ; implicit-def: $sgpr55
	s_and_saveexec_b64 s[44:45], s[0:1]
; %bb.167:                              ;   in Loop: Header=BB259_13 Depth=1
	s_mov_b32 s55, 0x7fc02000
	s_xor_b64 s[40:41], exec, -1
; %bb.168:                              ;   in Loop: Header=BB259_13 Depth=1
	s_or_b64 exec, exec, s[44:45]
	s_and_b64 s[40:41], s[40:41], exec
	s_or_saveexec_b64 s[42:43], s[42:43]
	v_mov_b32_e32 v34, s55
	s_xor_b64 exec, exec, s[42:43]
	s_cbranch_execz .LBB259_38
.LBB259_169:                            ;   in Loop: Header=BB259_13 Depth=1
	v_cmp_ne_u16_e64 s[0:1], 0, v2
	s_andn2_b64 s[40:41], s[40:41], exec
	s_and_b64 s[0:1], s[0:1], exec
	v_mov_b32_e32 v34, 0
	s_or_b64 s[40:41], s[40:41], s[0:1]
	s_or_b64 exec, exec, s[42:43]
	s_and_saveexec_b64 s[42:43], s[40:41]
	s_cbranch_execnz .LBB259_39
	s_branch .LBB259_40
.LBB259_170:                            ;   in Loop: Header=BB259_13 Depth=1
	v_cmp_eq_u16_sdwa s[56:57], v2, s53 src0_sel:BYTE_0 src1_sel:DWORD
	s_mov_b64 s[0:1], -1
                                        ; implicit-def: $sgpr44
	s_and_saveexec_b64 s[42:43], s[56:57]
; %bb.171:                              ;   in Loop: Header=BB259_13 Depth=1
	s_mov_b32 s44, 0x7fc02000
	s_xor_b64 s[0:1], exec, -1
; %bb.172:                              ;   in Loop: Header=BB259_13 Depth=1
	s_or_b64 exec, exec, s[42:43]
	s_and_b64 s[0:1], s[0:1], exec
	s_or_saveexec_b64 s[40:41], s[40:41]
	v_mov_b32_e32 v35, s44
	s_xor_b64 exec, exec, s[40:41]
	s_cbranch_execz .LBB259_42
.LBB259_173:                            ;   in Loop: Header=BB259_13 Depth=1
	v_cmp_ne_u16_sdwa s[42:43], v2, v3 src0_sel:BYTE_0 src1_sel:DWORD
	s_andn2_b64 s[0:1], s[0:1], exec
	s_and_b64 s[42:43], s[42:43], exec
	v_mov_b32_e32 v35, 0
	s_or_b64 s[0:1], s[0:1], s[42:43]
	s_or_b64 exec, exec, s[40:41]
	s_and_saveexec_b64 s[40:41], s[0:1]
	s_cbranch_execnz .LBB259_43
	s_branch .LBB259_44
.LBB259_174:                            ;   in Loop: Header=BB259_13 Depth=1
	v_cmp_eq_u16_e64 s[0:1], s53, v2
	s_mov_b64 s[40:41], -1
                                        ; implicit-def: $sgpr55
	s_and_saveexec_b64 s[44:45], s[0:1]
; %bb.175:                              ;   in Loop: Header=BB259_13 Depth=1
	s_mov_b32 s55, 0x7fc02000
	s_xor_b64 s[40:41], exec, -1
; %bb.176:                              ;   in Loop: Header=BB259_13 Depth=1
	s_or_b64 exec, exec, s[44:45]
	s_and_b64 s[40:41], s[40:41], exec
	s_or_saveexec_b64 s[42:43], s[42:43]
	v_mov_b32_e32 v36, s55
	s_xor_b64 exec, exec, s[42:43]
	s_cbranch_execz .LBB259_46
.LBB259_177:                            ;   in Loop: Header=BB259_13 Depth=1
	v_cmp_ne_u16_e64 s[0:1], 0, v2
	s_andn2_b64 s[40:41], s[40:41], exec
	s_and_b64 s[0:1], s[0:1], exec
	v_mov_b32_e32 v36, 0
	s_or_b64 s[40:41], s[40:41], s[0:1]
	s_or_b64 exec, exec, s[42:43]
	s_and_saveexec_b64 s[42:43], s[40:41]
	s_cbranch_execnz .LBB259_47
	s_branch .LBB259_48
.LBB259_178:                            ;   in Loop: Header=BB259_13 Depth=1
	v_cmp_eq_u16_sdwa s[56:57], v12, s53 src0_sel:BYTE_0 src1_sel:DWORD
	s_mov_b64 s[0:1], -1
                                        ; implicit-def: $sgpr44
	s_and_saveexec_b64 s[42:43], s[56:57]
; %bb.179:                              ;   in Loop: Header=BB259_13 Depth=1
	s_mov_b32 s44, 0x7fc02000
	s_xor_b64 s[0:1], exec, -1
; %bb.180:                              ;   in Loop: Header=BB259_13 Depth=1
	s_or_b64 exec, exec, s[42:43]
	s_and_b64 s[0:1], s[0:1], exec
	s_or_saveexec_b64 s[40:41], s[40:41]
	v_mov_b32_e32 v37, s44
	s_xor_b64 exec, exec, s[40:41]
	s_cbranch_execz .LBB259_50
.LBB259_181:                            ;   in Loop: Header=BB259_13 Depth=1
	v_cmp_ne_u16_sdwa s[42:43], v12, v3 src0_sel:BYTE_0 src1_sel:DWORD
	s_andn2_b64 s[0:1], s[0:1], exec
	s_and_b64 s[42:43], s[42:43], exec
	v_mov_b32_e32 v37, 0
	s_or_b64 s[0:1], s[0:1], s[42:43]
	s_or_b64 exec, exec, s[40:41]
	s_and_saveexec_b64 s[40:41], s[0:1]
	s_cbranch_execnz .LBB259_51
	s_branch .LBB259_52
.LBB259_182:                            ;   in Loop: Header=BB259_13 Depth=1
	v_cmp_eq_u16_e64 s[0:1], s53, v2
	s_mov_b64 s[40:41], -1
                                        ; implicit-def: $sgpr55
	s_and_saveexec_b64 s[44:45], s[0:1]
; %bb.183:                              ;   in Loop: Header=BB259_13 Depth=1
	s_mov_b32 s55, 0x7fc02000
	s_xor_b64 s[40:41], exec, -1
; %bb.184:                              ;   in Loop: Header=BB259_13 Depth=1
	s_or_b64 exec, exec, s[44:45]
	s_and_b64 s[40:41], s[40:41], exec
	s_or_saveexec_b64 s[42:43], s[42:43]
	v_mov_b32_e32 v38, s55
	s_xor_b64 exec, exec, s[42:43]
	s_cbranch_execz .LBB259_54
.LBB259_185:                            ;   in Loop: Header=BB259_13 Depth=1
	v_cmp_ne_u16_e64 s[0:1], 0, v2
	s_andn2_b64 s[40:41], s[40:41], exec
	s_and_b64 s[0:1], s[0:1], exec
	v_mov_b32_e32 v38, 0
	s_or_b64 s[40:41], s[40:41], s[0:1]
	s_or_b64 exec, exec, s[42:43]
	s_and_saveexec_b64 s[42:43], s[40:41]
	s_cbranch_execnz .LBB259_55
	s_branch .LBB259_56
.LBB259_186:                            ;   in Loop: Header=BB259_13 Depth=1
	v_cmp_eq_u16_sdwa s[56:57], v2, s53 src0_sel:BYTE_0 src1_sel:DWORD
	s_mov_b64 s[0:1], -1
                                        ; implicit-def: $sgpr44
	s_and_saveexec_b64 s[42:43], s[56:57]
; %bb.187:                              ;   in Loop: Header=BB259_13 Depth=1
	s_mov_b32 s44, 0x7fc02000
	s_xor_b64 s[0:1], exec, -1
; %bb.188:                              ;   in Loop: Header=BB259_13 Depth=1
	s_or_b64 exec, exec, s[42:43]
	s_and_b64 s[0:1], s[0:1], exec
	s_or_saveexec_b64 s[40:41], s[40:41]
	v_mov_b32_e32 v39, s44
	s_xor_b64 exec, exec, s[40:41]
	s_cbranch_execz .LBB259_58
.LBB259_189:                            ;   in Loop: Header=BB259_13 Depth=1
	v_cmp_ne_u16_sdwa s[42:43], v2, v3 src0_sel:BYTE_0 src1_sel:DWORD
	s_andn2_b64 s[0:1], s[0:1], exec
	s_and_b64 s[42:43], s[42:43], exec
	v_mov_b32_e32 v39, 0
	s_or_b64 s[0:1], s[0:1], s[42:43]
	s_or_b64 exec, exec, s[40:41]
	s_and_saveexec_b64 s[40:41], s[0:1]
	s_cbranch_execnz .LBB259_59
	s_branch .LBB259_60
.LBB259_190:                            ;   in Loop: Header=BB259_13 Depth=1
	v_cmp_eq_u16_e64 s[0:1], s53, v2
	s_mov_b64 s[40:41], -1
                                        ; implicit-def: $sgpr55
	s_and_saveexec_b64 s[44:45], s[0:1]
; %bb.191:                              ;   in Loop: Header=BB259_13 Depth=1
	s_mov_b32 s55, 0x7fc02000
	s_xor_b64 s[40:41], exec, -1
; %bb.192:                              ;   in Loop: Header=BB259_13 Depth=1
	s_or_b64 exec, exec, s[44:45]
	s_and_b64 s[40:41], s[40:41], exec
	s_or_saveexec_b64 s[42:43], s[42:43]
	v_mov_b32_e32 v40, s55
	s_xor_b64 exec, exec, s[42:43]
	s_cbranch_execz .LBB259_62
.LBB259_193:                            ;   in Loop: Header=BB259_13 Depth=1
	v_cmp_ne_u16_e64 s[0:1], 0, v2
	s_andn2_b64 s[40:41], s[40:41], exec
	s_and_b64 s[0:1], s[0:1], exec
	v_mov_b32_e32 v40, 0
	s_or_b64 s[40:41], s[40:41], s[0:1]
	s_or_b64 exec, exec, s[42:43]
	s_and_saveexec_b64 s[42:43], s[40:41]
	s_cbranch_execnz .LBB259_63
	s_branch .LBB259_64
.LBB259_194:                            ;   in Loop: Header=BB259_13 Depth=1
	v_cmp_eq_u16_sdwa s[56:57], v12, s53 src0_sel:BYTE_0 src1_sel:DWORD
	s_mov_b64 s[0:1], -1
                                        ; implicit-def: $sgpr44
	s_and_saveexec_b64 s[42:43], s[56:57]
; %bb.195:                              ;   in Loop: Header=BB259_13 Depth=1
	s_mov_b32 s44, 0x7fc02000
	s_xor_b64 s[0:1], exec, -1
; %bb.196:                              ;   in Loop: Header=BB259_13 Depth=1
	s_or_b64 exec, exec, s[42:43]
	s_and_b64 s[0:1], s[0:1], exec
	s_or_saveexec_b64 s[40:41], s[40:41]
	v_mov_b32_e32 v41, s44
	s_xor_b64 exec, exec, s[40:41]
	s_cbranch_execz .LBB259_66
.LBB259_197:                            ;   in Loop: Header=BB259_13 Depth=1
	v_cmp_ne_u16_sdwa s[42:43], v12, v3 src0_sel:BYTE_0 src1_sel:DWORD
	s_andn2_b64 s[0:1], s[0:1], exec
	s_and_b64 s[42:43], s[42:43], exec
	v_mov_b32_e32 v41, 0
	s_or_b64 s[0:1], s[0:1], s[42:43]
	s_or_b64 exec, exec, s[40:41]
	s_and_saveexec_b64 s[40:41], s[0:1]
	s_cbranch_execnz .LBB259_67
	s_branch .LBB259_68
.LBB259_198:                            ;   in Loop: Header=BB259_13 Depth=1
	v_cmp_eq_u16_e64 s[0:1], s53, v2
	s_mov_b64 s[40:41], -1
                                        ; implicit-def: $sgpr55
	s_and_saveexec_b64 s[44:45], s[0:1]
; %bb.199:                              ;   in Loop: Header=BB259_13 Depth=1
	s_mov_b32 s55, 0x7fc02000
	s_xor_b64 s[40:41], exec, -1
; %bb.200:                              ;   in Loop: Header=BB259_13 Depth=1
	s_or_b64 exec, exec, s[44:45]
	s_and_b64 s[40:41], s[40:41], exec
	s_or_saveexec_b64 s[42:43], s[42:43]
	v_mov_b32_e32 v42, s55
	s_xor_b64 exec, exec, s[42:43]
	s_cbranch_execz .LBB259_70
.LBB259_201:                            ;   in Loop: Header=BB259_13 Depth=1
	v_cmp_ne_u16_e64 s[0:1], 0, v2
	s_andn2_b64 s[40:41], s[40:41], exec
	s_and_b64 s[0:1], s[0:1], exec
	v_mov_b32_e32 v42, 0
	s_or_b64 s[40:41], s[40:41], s[0:1]
	s_or_b64 exec, exec, s[42:43]
	s_and_saveexec_b64 s[42:43], s[40:41]
	s_cbranch_execnz .LBB259_71
	s_branch .LBB259_72
.LBB259_202:                            ;   in Loop: Header=BB259_13 Depth=1
	v_cmp_eq_u16_sdwa s[56:57], v2, s53 src0_sel:BYTE_0 src1_sel:DWORD
	s_mov_b64 s[0:1], -1
                                        ; implicit-def: $sgpr44
	s_and_saveexec_b64 s[42:43], s[56:57]
; %bb.203:                              ;   in Loop: Header=BB259_13 Depth=1
	s_mov_b32 s44, 0x7fc02000
	s_xor_b64 s[0:1], exec, -1
; %bb.204:                              ;   in Loop: Header=BB259_13 Depth=1
	s_or_b64 exec, exec, s[42:43]
	s_and_b64 s[0:1], s[0:1], exec
	s_or_saveexec_b64 s[40:41], s[40:41]
	v_mov_b32_e32 v43, s44
	s_xor_b64 exec, exec, s[40:41]
	s_cbranch_execz .LBB259_74
.LBB259_205:                            ;   in Loop: Header=BB259_13 Depth=1
	v_cmp_ne_u16_sdwa s[42:43], v2, v3 src0_sel:BYTE_0 src1_sel:DWORD
	s_andn2_b64 s[0:1], s[0:1], exec
	s_and_b64 s[42:43], s[42:43], exec
	v_mov_b32_e32 v43, 0
	s_or_b64 s[0:1], s[0:1], s[42:43]
	s_or_b64 exec, exec, s[40:41]
	s_and_saveexec_b64 s[40:41], s[0:1]
	s_cbranch_execnz .LBB259_75
	s_branch .LBB259_76
.LBB259_206:                            ;   in Loop: Header=BB259_13 Depth=1
	v_cmp_eq_u16_e64 s[0:1], s53, v2
	s_mov_b64 s[40:41], -1
                                        ; implicit-def: $sgpr55
	s_and_saveexec_b64 s[44:45], s[0:1]
; %bb.207:                              ;   in Loop: Header=BB259_13 Depth=1
	s_mov_b32 s55, 0x7fc02000
	s_xor_b64 s[40:41], exec, -1
; %bb.208:                              ;   in Loop: Header=BB259_13 Depth=1
	s_or_b64 exec, exec, s[44:45]
	s_and_b64 s[40:41], s[40:41], exec
	s_or_saveexec_b64 s[42:43], s[42:43]
	v_mov_b32_e32 v44, s55
	s_xor_b64 exec, exec, s[42:43]
	s_cbranch_execz .LBB259_78
.LBB259_209:                            ;   in Loop: Header=BB259_13 Depth=1
	v_cmp_ne_u16_e64 s[0:1], 0, v2
	s_andn2_b64 s[40:41], s[40:41], exec
	s_and_b64 s[0:1], s[0:1], exec
	v_mov_b32_e32 v44, 0
	s_or_b64 s[40:41], s[40:41], s[0:1]
	s_or_b64 exec, exec, s[42:43]
	s_and_saveexec_b64 s[42:43], s[40:41]
	s_cbranch_execnz .LBB259_79
	s_branch .LBB259_80
.LBB259_210:                            ;   in Loop: Header=BB259_13 Depth=1
	v_cmp_eq_u16_sdwa s[56:57], v12, s53 src0_sel:BYTE_0 src1_sel:DWORD
	s_mov_b64 s[0:1], -1
                                        ; implicit-def: $sgpr44
	s_and_saveexec_b64 s[42:43], s[56:57]
; %bb.211:                              ;   in Loop: Header=BB259_13 Depth=1
	s_mov_b32 s44, 0x7fc02000
	s_xor_b64 s[0:1], exec, -1
; %bb.212:                              ;   in Loop: Header=BB259_13 Depth=1
	s_or_b64 exec, exec, s[42:43]
	s_and_b64 s[0:1], s[0:1], exec
	s_or_saveexec_b64 s[40:41], s[40:41]
	v_mov_b32_e32 v45, s44
	s_xor_b64 exec, exec, s[40:41]
	s_cbranch_execz .LBB259_82
.LBB259_213:                            ;   in Loop: Header=BB259_13 Depth=1
	v_cmp_ne_u16_sdwa s[42:43], v12, v3 src0_sel:BYTE_0 src1_sel:DWORD
	s_andn2_b64 s[0:1], s[0:1], exec
	s_and_b64 s[42:43], s[42:43], exec
	v_mov_b32_e32 v45, 0
	s_or_b64 s[0:1], s[0:1], s[42:43]
	s_or_b64 exec, exec, s[40:41]
	s_and_saveexec_b64 s[40:41], s[0:1]
	s_cbranch_execnz .LBB259_83
	s_branch .LBB259_84
.LBB259_214:                            ;   in Loop: Header=BB259_13 Depth=1
	v_cmp_eq_u16_e64 s[0:1], s53, v2
	s_mov_b64 s[40:41], -1
                                        ; implicit-def: $sgpr55
	s_and_saveexec_b64 s[44:45], s[0:1]
; %bb.215:                              ;   in Loop: Header=BB259_13 Depth=1
	s_mov_b32 s55, 0x7fc02000
	s_xor_b64 s[40:41], exec, -1
; %bb.216:                              ;   in Loop: Header=BB259_13 Depth=1
	s_or_b64 exec, exec, s[44:45]
	s_and_b64 s[40:41], s[40:41], exec
	s_or_saveexec_b64 s[42:43], s[42:43]
	v_mov_b32_e32 v46, s55
	s_xor_b64 exec, exec, s[42:43]
	s_cbranch_execz .LBB259_86
.LBB259_217:                            ;   in Loop: Header=BB259_13 Depth=1
	v_cmp_ne_u16_e64 s[0:1], 0, v2
	s_andn2_b64 s[40:41], s[40:41], exec
	s_and_b64 s[0:1], s[0:1], exec
	v_mov_b32_e32 v46, 0
	s_or_b64 s[40:41], s[40:41], s[0:1]
	s_or_b64 exec, exec, s[42:43]
	s_and_saveexec_b64 s[42:43], s[40:41]
	s_cbranch_execnz .LBB259_87
	s_branch .LBB259_88
.LBB259_218:                            ;   in Loop: Header=BB259_13 Depth=1
	v_cmp_eq_u16_sdwa s[56:57], v2, s53 src0_sel:BYTE_0 src1_sel:DWORD
	s_mov_b64 s[0:1], -1
                                        ; implicit-def: $sgpr44
	s_and_saveexec_b64 s[42:43], s[56:57]
; %bb.219:                              ;   in Loop: Header=BB259_13 Depth=1
	s_mov_b32 s44, 0x7fc02000
	s_xor_b64 s[0:1], exec, -1
; %bb.220:                              ;   in Loop: Header=BB259_13 Depth=1
	s_or_b64 exec, exec, s[42:43]
	s_and_b64 s[0:1], s[0:1], exec
	s_or_saveexec_b64 s[40:41], s[40:41]
	v_mov_b32_e32 v47, s44
	s_xor_b64 exec, exec, s[40:41]
	s_cbranch_execz .LBB259_90
.LBB259_221:                            ;   in Loop: Header=BB259_13 Depth=1
	v_cmp_ne_u16_sdwa s[42:43], v2, v3 src0_sel:BYTE_0 src1_sel:DWORD
	s_andn2_b64 s[0:1], s[0:1], exec
	s_and_b64 s[42:43], s[42:43], exec
	v_mov_b32_e32 v47, 0
	s_or_b64 s[0:1], s[0:1], s[42:43]
	s_or_b64 exec, exec, s[40:41]
	s_and_saveexec_b64 s[40:41], s[0:1]
	s_cbranch_execnz .LBB259_91
	s_branch .LBB259_92
.LBB259_222:                            ;   in Loop: Header=BB259_13 Depth=1
	v_cmp_eq_u16_e64 s[0:1], s53, v2
	s_mov_b64 s[40:41], -1
                                        ; implicit-def: $sgpr55
	s_and_saveexec_b64 s[44:45], s[0:1]
; %bb.223:                              ;   in Loop: Header=BB259_13 Depth=1
	s_mov_b32 s55, 0x7fc02000
	s_xor_b64 s[40:41], exec, -1
; %bb.224:                              ;   in Loop: Header=BB259_13 Depth=1
	s_or_b64 exec, exec, s[44:45]
	s_and_b64 s[40:41], s[40:41], exec
	s_or_saveexec_b64 s[42:43], s[42:43]
	v_mov_b32_e32 v48, s55
	s_xor_b64 exec, exec, s[42:43]
	s_cbranch_execz .LBB259_94
.LBB259_225:                            ;   in Loop: Header=BB259_13 Depth=1
	v_cmp_ne_u16_e64 s[0:1], 0, v2
	s_andn2_b64 s[40:41], s[40:41], exec
	s_and_b64 s[0:1], s[0:1], exec
	v_mov_b32_e32 v48, 0
	s_or_b64 s[40:41], s[40:41], s[0:1]
	s_or_b64 exec, exec, s[42:43]
	s_and_saveexec_b64 s[42:43], s[40:41]
	s_cbranch_execnz .LBB259_95
	s_branch .LBB259_96
.LBB259_226:                            ;   in Loop: Header=BB259_13 Depth=1
	v_cmp_eq_u16_sdwa s[56:57], v12, s53 src0_sel:BYTE_0 src1_sel:DWORD
	s_mov_b64 s[0:1], -1
                                        ; implicit-def: $sgpr44
	s_and_saveexec_b64 s[42:43], s[56:57]
; %bb.227:                              ;   in Loop: Header=BB259_13 Depth=1
	s_mov_b32 s44, 0x7fc02000
	s_xor_b64 s[0:1], exec, -1
; %bb.228:                              ;   in Loop: Header=BB259_13 Depth=1
	s_or_b64 exec, exec, s[42:43]
	s_and_b64 s[0:1], s[0:1], exec
	s_or_saveexec_b64 s[40:41], s[40:41]
	v_mov_b32_e32 v49, s44
	s_xor_b64 exec, exec, s[40:41]
	s_cbranch_execz .LBB259_98
.LBB259_229:                            ;   in Loop: Header=BB259_13 Depth=1
	v_cmp_ne_u16_sdwa s[42:43], v12, v3 src0_sel:BYTE_0 src1_sel:DWORD
	s_andn2_b64 s[0:1], s[0:1], exec
	s_and_b64 s[42:43], s[42:43], exec
	v_mov_b32_e32 v49, 0
	s_or_b64 s[0:1], s[0:1], s[42:43]
	s_or_b64 exec, exec, s[40:41]
	s_and_saveexec_b64 s[40:41], s[0:1]
	s_cbranch_execnz .LBB259_99
	s_branch .LBB259_100
.LBB259_230:                            ;   in Loop: Header=BB259_13 Depth=1
	v_cmp_eq_u16_e64 s[0:1], s53, v2
	s_mov_b64 s[40:41], -1
                                        ; implicit-def: $sgpr55
	s_and_saveexec_b64 s[44:45], s[0:1]
; %bb.231:                              ;   in Loop: Header=BB259_13 Depth=1
	s_mov_b32 s55, 0x7fc02000
	s_xor_b64 s[40:41], exec, -1
; %bb.232:                              ;   in Loop: Header=BB259_13 Depth=1
	s_or_b64 exec, exec, s[44:45]
	s_and_b64 s[40:41], s[40:41], exec
	s_or_saveexec_b64 s[42:43], s[42:43]
	v_mov_b32_e32 v50, s55
	s_xor_b64 exec, exec, s[42:43]
	s_cbranch_execz .LBB259_102
.LBB259_233:                            ;   in Loop: Header=BB259_13 Depth=1
	v_cmp_ne_u16_e64 s[0:1], 0, v2
	s_andn2_b64 s[40:41], s[40:41], exec
	s_and_b64 s[0:1], s[0:1], exec
	v_mov_b32_e32 v50, 0
	s_or_b64 s[40:41], s[40:41], s[0:1]
	s_or_b64 exec, exec, s[42:43]
	s_and_saveexec_b64 s[42:43], s[40:41]
	s_cbranch_execnz .LBB259_103
	s_branch .LBB259_104
.LBB259_234:                            ;   in Loop: Header=BB259_13 Depth=1
	v_cmp_eq_u16_sdwa s[56:57], v2, s53 src0_sel:BYTE_0 src1_sel:DWORD
	s_mov_b64 s[0:1], -1
                                        ; implicit-def: $sgpr44
	s_and_saveexec_b64 s[42:43], s[56:57]
; %bb.235:                              ;   in Loop: Header=BB259_13 Depth=1
	s_mov_b32 s44, 0x7fc02000
	s_xor_b64 s[0:1], exec, -1
; %bb.236:                              ;   in Loop: Header=BB259_13 Depth=1
	s_or_b64 exec, exec, s[42:43]
	s_and_b64 s[0:1], s[0:1], exec
	s_or_saveexec_b64 s[40:41], s[40:41]
	v_mov_b32_e32 v51, s44
	s_xor_b64 exec, exec, s[40:41]
	s_cbranch_execz .LBB259_106
.LBB259_237:                            ;   in Loop: Header=BB259_13 Depth=1
	v_cmp_ne_u16_sdwa s[42:43], v2, v3 src0_sel:BYTE_0 src1_sel:DWORD
	s_andn2_b64 s[0:1], s[0:1], exec
	s_and_b64 s[42:43], s[42:43], exec
	v_mov_b32_e32 v51, 0
	s_or_b64 s[0:1], s[0:1], s[42:43]
	s_or_b64 exec, exec, s[40:41]
	s_and_saveexec_b64 s[40:41], s[0:1]
	s_cbranch_execnz .LBB259_107
	s_branch .LBB259_108
.LBB259_238:                            ;   in Loop: Header=BB259_13 Depth=1
	v_cmp_eq_u16_e64 s[0:1], s53, v2
	s_mov_b64 s[40:41], -1
                                        ; implicit-def: $sgpr55
	s_and_saveexec_b64 s[44:45], s[0:1]
; %bb.239:                              ;   in Loop: Header=BB259_13 Depth=1
	s_mov_b32 s55, 0x7fc02000
	s_xor_b64 s[40:41], exec, -1
; %bb.240:                              ;   in Loop: Header=BB259_13 Depth=1
	s_or_b64 exec, exec, s[44:45]
	s_and_b64 s[40:41], s[40:41], exec
	s_or_saveexec_b64 s[42:43], s[42:43]
	v_mov_b32_e32 v52, s55
	s_xor_b64 exec, exec, s[42:43]
	s_cbranch_execz .LBB259_110
.LBB259_241:                            ;   in Loop: Header=BB259_13 Depth=1
	v_cmp_ne_u16_e64 s[0:1], 0, v2
	s_andn2_b64 s[40:41], s[40:41], exec
	s_and_b64 s[0:1], s[0:1], exec
	v_mov_b32_e32 v52, 0
	s_or_b64 s[40:41], s[40:41], s[0:1]
	s_or_b64 exec, exec, s[42:43]
	s_and_saveexec_b64 s[42:43], s[40:41]
	s_cbranch_execnz .LBB259_111
	s_branch .LBB259_112
.LBB259_242:                            ;   in Loop: Header=BB259_13 Depth=1
	v_cmp_eq_u16_sdwa s[56:57], v12, s53 src0_sel:BYTE_0 src1_sel:DWORD
	s_mov_b64 s[0:1], -1
                                        ; implicit-def: $sgpr44
	s_and_saveexec_b64 s[42:43], s[56:57]
; %bb.243:                              ;   in Loop: Header=BB259_13 Depth=1
	s_mov_b32 s44, 0x7fc02000
	s_xor_b64 s[0:1], exec, -1
; %bb.244:                              ;   in Loop: Header=BB259_13 Depth=1
	s_or_b64 exec, exec, s[42:43]
	s_and_b64 s[0:1], s[0:1], exec
	s_or_saveexec_b64 s[40:41], s[40:41]
	v_mov_b32_e32 v53, s44
	s_xor_b64 exec, exec, s[40:41]
	s_cbranch_execz .LBB259_114
.LBB259_245:                            ;   in Loop: Header=BB259_13 Depth=1
	v_cmp_ne_u16_sdwa s[42:43], v12, v3 src0_sel:BYTE_0 src1_sel:DWORD
	s_andn2_b64 s[0:1], s[0:1], exec
	s_and_b64 s[42:43], s[42:43], exec
	v_mov_b32_e32 v53, 0
	s_or_b64 s[0:1], s[0:1], s[42:43]
	s_or_b64 exec, exec, s[40:41]
	s_and_saveexec_b64 s[40:41], s[0:1]
	s_cbranch_execnz .LBB259_115
	s_branch .LBB259_116
.LBB259_246:                            ;   in Loop: Header=BB259_13 Depth=1
	v_cmp_eq_u16_e64 s[0:1], s53, v2
	s_mov_b64 s[40:41], -1
                                        ; implicit-def: $sgpr55
	s_and_saveexec_b64 s[44:45], s[0:1]
; %bb.247:                              ;   in Loop: Header=BB259_13 Depth=1
	s_mov_b32 s55, 0x7fc02000
	s_xor_b64 s[40:41], exec, -1
; %bb.248:                              ;   in Loop: Header=BB259_13 Depth=1
	s_or_b64 exec, exec, s[44:45]
	s_and_b64 s[40:41], s[40:41], exec
	s_or_saveexec_b64 s[42:43], s[42:43]
	v_mov_b32_e32 v54, s55
	s_xor_b64 exec, exec, s[42:43]
	s_cbranch_execz .LBB259_118
.LBB259_249:                            ;   in Loop: Header=BB259_13 Depth=1
	v_cmp_ne_u16_e64 s[0:1], 0, v2
	s_andn2_b64 s[40:41], s[40:41], exec
	s_and_b64 s[0:1], s[0:1], exec
	v_mov_b32_e32 v54, 0
	s_or_b64 s[40:41], s[40:41], s[0:1]
	s_or_b64 exec, exec, s[42:43]
	s_and_saveexec_b64 s[42:43], s[40:41]
	s_cbranch_execnz .LBB259_119
	s_branch .LBB259_120
.LBB259_250:                            ;   in Loop: Header=BB259_13 Depth=1
	v_cmp_eq_u16_sdwa s[56:57], v2, s53 src0_sel:BYTE_0 src1_sel:DWORD
	s_mov_b64 s[0:1], -1
                                        ; implicit-def: $sgpr44
	s_and_saveexec_b64 s[42:43], s[56:57]
; %bb.251:                              ;   in Loop: Header=BB259_13 Depth=1
	s_mov_b32 s44, 0x7fc02000
	s_xor_b64 s[0:1], exec, -1
; %bb.252:                              ;   in Loop: Header=BB259_13 Depth=1
	s_or_b64 exec, exec, s[42:43]
	s_and_b64 s[0:1], s[0:1], exec
	s_or_saveexec_b64 s[40:41], s[40:41]
	v_mov_b32_e32 v55, s44
	s_xor_b64 exec, exec, s[40:41]
	s_cbranch_execz .LBB259_122
.LBB259_253:                            ;   in Loop: Header=BB259_13 Depth=1
	v_cmp_ne_u16_sdwa s[42:43], v2, v3 src0_sel:BYTE_0 src1_sel:DWORD
	s_andn2_b64 s[0:1], s[0:1], exec
	s_and_b64 s[42:43], s[42:43], exec
	v_mov_b32_e32 v55, 0
	s_or_b64 s[0:1], s[0:1], s[42:43]
	s_or_b64 exec, exec, s[40:41]
	s_and_saveexec_b64 s[40:41], s[0:1]
	s_cbranch_execnz .LBB259_123
	s_branch .LBB259_124
.LBB259_254:                            ;   in Loop: Header=BB259_13 Depth=1
	v_cmp_eq_u16_e64 s[0:1], s53, v2
	s_mov_b64 s[40:41], -1
                                        ; implicit-def: $sgpr55
	s_and_saveexec_b64 s[44:45], s[0:1]
; %bb.255:                              ;   in Loop: Header=BB259_13 Depth=1
	s_mov_b32 s55, 0x7fc02000
	s_xor_b64 s[40:41], exec, -1
; %bb.256:                              ;   in Loop: Header=BB259_13 Depth=1
	s_or_b64 exec, exec, s[44:45]
	s_and_b64 s[40:41], s[40:41], exec
	s_or_saveexec_b64 s[42:43], s[42:43]
	v_mov_b32_e32 v56, s55
	s_xor_b64 exec, exec, s[42:43]
	s_cbranch_execz .LBB259_126
.LBB259_257:                            ;   in Loop: Header=BB259_13 Depth=1
	v_cmp_ne_u16_e64 s[0:1], 0, v2
	s_andn2_b64 s[40:41], s[40:41], exec
	s_and_b64 s[0:1], s[0:1], exec
	v_mov_b32_e32 v56, 0
	s_or_b64 s[40:41], s[40:41], s[0:1]
	s_or_b64 exec, exec, s[42:43]
	s_and_saveexec_b64 s[42:43], s[40:41]
	s_cbranch_execnz .LBB259_127
	s_branch .LBB259_128
.LBB259_258:                            ;   in Loop: Header=BB259_13 Depth=1
	v_cmp_eq_u16_sdwa s[56:57], v10, s53 src0_sel:BYTE_0 src1_sel:DWORD
	s_mov_b64 s[0:1], -1
                                        ; implicit-def: $sgpr44
	s_and_saveexec_b64 s[42:43], s[56:57]
; %bb.259:                              ;   in Loop: Header=BB259_13 Depth=1
	s_mov_b32 s44, 0x7fc02000
	s_xor_b64 s[0:1], exec, -1
; %bb.260:                              ;   in Loop: Header=BB259_13 Depth=1
	s_or_b64 exec, exec, s[42:43]
	s_and_b64 s[0:1], s[0:1], exec
	s_or_saveexec_b64 s[40:41], s[40:41]
	v_mov_b32_e32 v11, s44
	s_xor_b64 exec, exec, s[40:41]
	s_cbranch_execz .LBB259_130
.LBB259_261:                            ;   in Loop: Header=BB259_13 Depth=1
	v_cmp_ne_u16_sdwa s[42:43], v10, v3 src0_sel:BYTE_0 src1_sel:DWORD
	s_andn2_b64 s[0:1], s[0:1], exec
	s_and_b64 s[42:43], s[42:43], exec
	v_mov_b32_e32 v11, 0
	s_or_b64 s[0:1], s[0:1], s[42:43]
	s_or_b64 exec, exec, s[40:41]
	s_and_saveexec_b64 s[40:41], s[0:1]
	s_cbranch_execnz .LBB259_131
	s_branch .LBB259_132
.LBB259_262:                            ;   in Loop: Header=BB259_13 Depth=1
	v_cmp_eq_u16_e64 s[0:1], s53, v2
	s_mov_b64 s[40:41], -1
                                        ; implicit-def: $sgpr55
	s_and_saveexec_b64 s[44:45], s[0:1]
; %bb.263:                              ;   in Loop: Header=BB259_13 Depth=1
	s_mov_b32 s55, 0x7fc02000
	s_xor_b64 s[40:41], exec, -1
; %bb.264:                              ;   in Loop: Header=BB259_13 Depth=1
	s_or_b64 exec, exec, s[44:45]
	s_and_b64 s[40:41], s[40:41], exec
	s_or_saveexec_b64 s[42:43], s[42:43]
	v_mov_b32_e32 v12, s55
	s_xor_b64 exec, exec, s[42:43]
	s_cbranch_execz .LBB259_134
.LBB259_265:                            ;   in Loop: Header=BB259_13 Depth=1
	v_cmp_ne_u16_e64 s[0:1], 0, v2
	s_andn2_b64 s[40:41], s[40:41], exec
	s_and_b64 s[0:1], s[0:1], exec
	v_mov_b32_e32 v12, 0
	s_or_b64 s[40:41], s[40:41], s[0:1]
	s_or_b64 exec, exec, s[42:43]
	s_and_saveexec_b64 s[42:43], s[40:41]
	s_cbranch_execnz .LBB259_135
	s_branch .LBB259_136
.LBB259_266:                            ;   in Loop: Header=BB259_13 Depth=1
	v_cmp_eq_u16_sdwa s[56:57], v2, s53 src0_sel:BYTE_0 src1_sel:DWORD
	s_mov_b64 s[0:1], -1
                                        ; implicit-def: $sgpr44
	s_and_saveexec_b64 s[42:43], s[56:57]
; %bb.267:                              ;   in Loop: Header=BB259_13 Depth=1
	s_mov_b32 s44, 0x7fc02000
	s_xor_b64 s[0:1], exec, -1
; %bb.268:                              ;   in Loop: Header=BB259_13 Depth=1
	s_or_b64 exec, exec, s[42:43]
	s_and_b64 s[0:1], s[0:1], exec
	s_or_saveexec_b64 s[40:41], s[40:41]
	v_mov_b32_e32 v57, s44
	s_xor_b64 exec, exec, s[40:41]
	s_cbranch_execz .LBB259_138
.LBB259_269:                            ;   in Loop: Header=BB259_13 Depth=1
	v_cmp_ne_u16_sdwa s[42:43], v2, v3 src0_sel:BYTE_0 src1_sel:DWORD
	s_andn2_b64 s[0:1], s[0:1], exec
	s_and_b64 s[42:43], s[42:43], exec
	v_mov_b32_e32 v57, 0
	s_or_b64 s[0:1], s[0:1], s[42:43]
	s_or_b64 exec, exec, s[40:41]
	s_and_saveexec_b64 s[40:41], s[0:1]
	s_cbranch_execnz .LBB259_139
	s_branch .LBB259_140
.LBB259_270:                            ;   in Loop: Header=BB259_13 Depth=1
	v_cmp_eq_u16_e64 s[0:1], s53, v2
	s_mov_b64 s[40:41], -1
                                        ; implicit-def: $sgpr55
	s_and_saveexec_b64 s[44:45], s[0:1]
; %bb.271:                              ;   in Loop: Header=BB259_13 Depth=1
	s_mov_b32 s55, 0x7fc02000
	s_xor_b64 s[40:41], exec, -1
; %bb.272:                              ;   in Loop: Header=BB259_13 Depth=1
	s_or_b64 exec, exec, s[44:45]
	s_and_b64 s[40:41], s[40:41], exec
	s_or_saveexec_b64 s[42:43], s[42:43]
	v_mov_b32_e32 v58, s55
	s_xor_b64 exec, exec, s[42:43]
	s_cbranch_execz .LBB259_142
.LBB259_273:                            ;   in Loop: Header=BB259_13 Depth=1
	v_cmp_ne_u16_e64 s[0:1], 0, v2
	s_andn2_b64 s[40:41], s[40:41], exec
	s_and_b64 s[0:1], s[0:1], exec
	v_mov_b32_e32 v58, 0
	s_or_b64 s[40:41], s[40:41], s[0:1]
	s_or_b64 exec, exec, s[42:43]
	s_and_saveexec_b64 s[42:43], s[40:41]
	s_cbranch_execnz .LBB259_143
	s_branch .LBB259_144
.LBB259_274:
	s_or_b64 exec, exec, s[38:39]
.LBB259_275:
	s_or_b64 exec, exec, s[18:19]
	v_mbcnt_hi_u32_b32 v8, -1, v16
	v_and_b32_e32 v2, 64, v8
	v_add_u32_e32 v9, 64, v2
	v_xor_b32_e32 v2, 32, v8
	v_cmp_lt_i32_e32 vcc, v2, v9
	v_xor_b32_e32 v5, 16, v8
	v_max_f32_e32 v4, v19, v19
	v_cndmask_b32_e32 v2, v8, v2, vcc
	v_lshlrev_b32_e32 v2, 2, v2
	ds_bpermute_b32 v3, v2, v19
	v_cmp_lt_i32_e32 vcc, v5, v9
	v_xor_b32_e32 v6, 8, v8
	v_xor_b32_e32 v7, 4, v8
	s_waitcnt lgkmcnt(1)
	v_xor_b32_e32 v10, 2, v8
	s_waitcnt lgkmcnt(0)
	v_max_f32_e32 v3, v3, v3
	v_max_f32_e32 v4, v4, v3
	v_cndmask_b32_e32 v3, v8, v5, vcc
	v_lshlrev_b32_e32 v3, 2, v3
	ds_bpermute_b32 v5, v3, v4
	v_cmp_lt_i32_e32 vcc, v6, v9
	v_and_b32_e32 v22, 63, v0
	s_waitcnt lgkmcnt(0)
	v_max_f32_e32 v5, v5, v5
	v_max_f32_e32 v5, v4, v5
	v_cndmask_b32_e32 v4, v8, v6, vcc
	v_lshlrev_b32_e32 v4, 2, v4
	ds_bpermute_b32 v6, v4, v5
	v_cmp_lt_i32_e32 vcc, v7, v9
	s_waitcnt lgkmcnt(0)
	v_max_f32_e32 v6, v6, v6
	v_max_f32_e32 v6, v5, v6
	v_cndmask_b32_e32 v5, v8, v7, vcc
	v_lshlrev_b32_e32 v5, 2, v5
	ds_bpermute_b32 v7, v5, v6
	v_cmp_lt_i32_e32 vcc, v10, v9
	s_waitcnt lgkmcnt(0)
	v_max_f32_e32 v7, v7, v7
	v_max_f32_e32 v7, v6, v7
	v_cndmask_b32_e32 v6, v8, v10, vcc
	v_lshlrev_b32_e32 v23, 2, v6
	ds_bpermute_b32 v10, v23, v7
	v_cmp_eq_u32_e32 vcc, 0, v22
	v_lshlrev_b32_e32 v6, 2, v1
	s_and_saveexec_b64 s[0:1], vcc
	s_cbranch_execz .LBB259_277
; %bb.276:
	s_waitcnt lgkmcnt(0)
	v_max_f32_e32 v10, v10, v10
	v_max_f32_e32 v7, v7, v7
	;; [unrolled: 1-line block ×3, first 2 shown]
	ds_write_b32 v6, v7 offset:128
.LBB259_277:
	s_or_b64 exec, exec, s[0:1]
	v_cmp_gt_u32_e64 s[0:1], 2, v22
	s_waitcnt lgkmcnt(0)
	v_mov_b32_e32 v10, 0xff7fffff
	v_lshlrev_b32_e32 v7, 2, v22
	s_barrier
	s_and_saveexec_b64 s[2:3], s[0:1]
	s_cbranch_execz .LBB259_279
; %bb.278:
	ds_read_b32 v10, v7 offset:128
.LBB259_279:
	s_or_b64 exec, exec, s[2:3]
	v_xor_b32_e32 v11, 1, v8
	v_cmp_lt_i32_e64 s[2:3], v11, v9
	s_nop 1
	v_cndmask_b32_e64 v9, v8, v11, s[2:3]
	v_lshlrev_b32_e32 v24, 2, v9
	s_waitcnt lgkmcnt(0)
	ds_bpermute_b32 v9, v24, v10
	v_max_f32_e32 v10, v10, v10
	v_lshlrev_b32_e32 v8, 2, v8
	v_and_b32_e32 v8, 0x100, v8
	s_lshl_b32 s2, s20, 5
	s_waitcnt lgkmcnt(0)
	v_max_f32_e32 v9, v9, v9
	v_max_f32_e32 v9, v10, v9
	ds_bpermute_b32 v10, v8, v9
	s_min_i32 s37, s2, s33
	v_cmp_gt_i32_e64 s[2:3], s37, v0
	v_mov_b32_e32 v9, 0
	s_and_saveexec_b64 s[12:13], s[2:3]
	s_cbranch_execz .LBB259_283
; %bb.280:
	v_mov_b32_e32 v9, 0x90
	v_lshl_add_u32 v11, v0, 2, v9
	s_mov_b64 s[18:19], 0
	v_mov_b32_e32 v9, 0
	v_mov_b32_e32 v12, v0
.LBB259_281:                            ; =>This Inner Loop Header: Depth=1
	ds_read_b32 v16, v11
	v_add_u32_e32 v12, 0x80, v12
	v_cmp_le_i32_e64 s[8:9], s37, v12
	s_or_b64 s[18:19], s[8:9], s[18:19]
	s_waitcnt lgkmcnt(0)
	v_sub_f32_e32 v16, v16, v10
	v_mul_f32_e32 v16, 0x3fb8aa3b, v16
	v_exp_f32_e32 v16, v16
	ds_write_b32 v11, v16
	v_add_f32_e32 v9, v9, v16
	v_add_u32_e32 v11, 0x200, v11
	s_andn2_b64 exec, exec, s[18:19]
	s_cbranch_execnz .LBB259_281
; %bb.282:
	s_or_b64 exec, exec, s[18:19]
.LBB259_283:
	s_or_b64 exec, exec, s[12:13]
	ds_bpermute_b32 v2, v2, v9
	s_waitcnt lgkmcnt(0)
	v_add_f32_e32 v2, v9, v2
	ds_bpermute_b32 v3, v3, v2
	s_waitcnt lgkmcnt(0)
	v_add_f32_e32 v2, v2, v3
	ds_bpermute_b32 v3, v4, v2
	s_waitcnt lgkmcnt(0)
	v_add_f32_e32 v2, v2, v3
	ds_bpermute_b32 v3, v5, v2
	s_waitcnt lgkmcnt(0)
	v_add_f32_e32 v2, v2, v3
	ds_bpermute_b32 v3, v23, v2
	s_waitcnt lgkmcnt(0)
	v_add_f32_e32 v2, v2, v3
	ds_bpermute_b32 v3, v24, v2
	s_waitcnt lgkmcnt(0)
	v_add_f32_e32 v2, v2, v3
	s_and_saveexec_b64 s[8:9], vcc
	s_cbranch_execz .LBB259_285
; %bb.284:
	ds_write_b32 v6, v2 offset:136
.LBB259_285:
	s_or_b64 exec, exec, s[8:9]
	s_waitcnt lgkmcnt(0)
	s_barrier
	s_and_saveexec_b64 s[8:9], s[0:1]
	s_cbranch_execz .LBB259_287
; %bb.286:
	ds_read_b32 v2, v7 offset:136
.LBB259_287:
	s_or_b64 exec, exec, s[8:9]
	s_waitcnt lgkmcnt(0)
	ds_bpermute_b32 v3, v24, v2
	s_waitcnt lgkmcnt(0)
	v_add_f32_e32 v2, v2, v3
	ds_bpermute_b32 v2, v8, v2
	s_and_saveexec_b64 s[0:1], s[2:3]
	s_cbranch_execz .LBB259_300
; %bb.288:
	s_waitcnt lgkmcnt(0)
	v_add_f32_e32 v2, 0x358637bd, v2
	v_div_scale_f32 v3, s[2:3], v2, v2, 1.0
	v_rcp_f32_e32 v4, v3
	v_div_scale_f32 v5, vcc, 1.0, v2, 1.0
	s_movk_i32 s2, 0x7f
	v_fma_f32 v6, -v3, v4, 1.0
	v_fmac_f32_e32 v4, v6, v4
	v_mul_f32_e32 v6, v5, v4
	v_fma_f32 v7, -v3, v6, v5
	v_fmac_f32_e32 v6, v7, v4
	v_fma_f32 v3, -v3, v6, v5
	v_div_fmas_f32 v3, v3, v4, v6
	v_xad_u32 v4, v0, -1, s37
	v_div_fixup_f32 v2, v3, v2, 1.0
	v_cmp_lt_u32_e32 vcc, s2, v4
	s_mov_b64 s[8:9], -1
	v_mov_b32_e32 v3, v0
	s_and_saveexec_b64 s[2:3], vcc
	s_cbranch_execz .LBB259_297
; %bb.289:
	v_lshrrev_b32_e32 v4, 7, v4
	v_add_u32_e32 v6, -1, v4
	v_lshrrev_b32_e32 v5, 1, v6
	v_mov_b32_e32 v3, v2
	v_add_u32_e32 v5, 1, v5
	v_cmp_lt_u32_e32 vcc, 13, v6
	v_mov_b32_e32 v8, 0
	s_and_saveexec_b64 s[8:9], vcc
	s_cbranch_execz .LBB259_293
; %bb.290:
	v_mov_b32_e32 v7, 0x90
	v_and_b32_e32 v6, -8, v5
	v_lshl_add_u32 v7, v0, 2, v7
	s_mov_b32 s18, 0
	s_mov_b64 s[12:13], 0
.LBB259_291:                            ; =>This Inner Loop Header: Depth=1
	ds_read2st64_b32 v[8:9], v7 offset1:2
	ds_read2st64_b32 v[10:11], v7 offset0:4 offset1:6
	ds_read2st64_b32 v[16:17], v7 offset0:8 offset1:10
	;; [unrolled: 1-line block ×3, first 2 shown]
	v_add_u32_e32 v6, -8, v6
	s_waitcnt lgkmcnt(3)
	v_pk_mul_f32 v[8:9], v[2:3], v[8:9]
	s_waitcnt lgkmcnt(2)
	v_pk_mul_f32 v[10:11], v[2:3], v[10:11]
	ds_write2st64_b32 v7, v8, v9 offset1:2
	ds_write2st64_b32 v7, v10, v11 offset0:4 offset1:6
	ds_read2st64_b32 v[10:11], v7 offset0:16 offset1:18
	s_waitcnt lgkmcnt(4)
	v_pk_mul_f32 v[8:9], v[2:3], v[16:17]
	ds_write2st64_b32 v7, v8, v9 offset0:8 offset1:10
	s_waitcnt lgkmcnt(4)
	v_pk_mul_f32 v[8:9], v[2:3], v[18:19]
	ds_write2st64_b32 v7, v8, v9 offset0:12 offset1:14
	ds_read2st64_b32 v[8:9], v7 offset0:20 offset1:22
	s_waitcnt lgkmcnt(3)
	v_pk_mul_f32 v[10:11], v[2:3], v[10:11]
	ds_read2st64_b32 v[16:17], v7 offset0:24 offset1:26
	ds_write2st64_b32 v7, v10, v11 offset0:16 offset1:18
	ds_read2st64_b32 v[10:11], v7 offset0:28 offset1:30
	s_waitcnt lgkmcnt(3)
	v_pk_mul_f32 v[8:9], v[2:3], v[8:9]
	ds_write2st64_b32 v7, v8, v9 offset0:20 offset1:22
	s_waitcnt lgkmcnt(3)
	v_pk_mul_f32 v[8:9], v[2:3], v[16:17]
	ds_write2st64_b32 v7, v8, v9 offset0:24 offset1:26
	s_waitcnt lgkmcnt(2)
	v_pk_mul_f32 v[8:9], v[2:3], v[10:11]
	s_add_i32 s18, s18, 16
	v_cmp_eq_u32_e32 vcc, 0, v6
	ds_write2st64_b32 v7, v8, v9 offset0:28 offset1:30
	v_add_u32_e32 v7, 0x2000, v7
	s_or_b64 s[12:13], vcc, s[12:13]
	v_mov_b32_e32 v8, s18
	s_andn2_b64 exec, exec, s[12:13]
	s_cbranch_execnz .LBB259_291
; %bb.292:
	s_or_b64 exec, exec, s[12:13]
.LBB259_293:
	s_or_b64 exec, exec, s[8:9]
	v_and_b32_e32 v5, 7, v5
	v_cmp_ne_u32_e32 vcc, 0, v5
	s_and_saveexec_b64 s[8:9], vcc
	s_cbranch_execz .LBB259_296
; %bb.294:
	v_lshlrev_b32_e32 v6, 9, v8
	v_lshlrev_b32_e32 v7, 2, v0
	s_movk_i32 s12, 0x90
	v_add3_u32 v6, v6, v7, s12
	s_mov_b64 s[12:13], 0
.LBB259_295:                            ; =>This Inner Loop Header: Depth=1
	ds_read2st64_b32 v[8:9], v6 offset1:2
	v_add_u32_e32 v5, -1, v5
	v_cmp_eq_u32_e32 vcc, 0, v5
	s_or_b64 s[12:13], vcc, s[12:13]
	s_waitcnt lgkmcnt(0)
	v_pk_mul_f32 v[8:9], v[2:3], v[8:9]
	ds_write2st64_b32 v6, v8, v9 offset1:2
	v_add_u32_e32 v6, 0x400, v6
	s_andn2_b64 exec, exec, s[12:13]
	s_cbranch_execnz .LBB259_295
.LBB259_296:
	s_or_b64 exec, exec, s[8:9]
	v_add_u32_e32 v4, 1, v4
	v_and_b32_e32 v5, 0x3fffffe, v4
	v_cmp_ne_u32_e32 vcc, v4, v5
	v_lshl_add_u32 v3, v5, 7, v0
	s_orn2_b64 s[8:9], vcc, exec
.LBB259_297:
	s_or_b64 exec, exec, s[2:3]
	s_and_b64 exec, exec, s[8:9]
	s_cbranch_execz .LBB259_300
; %bb.298:
	v_mov_b32_e32 v4, 0x90
	v_lshl_add_u32 v4, v3, 2, v4
	s_mov_b64 s[2:3], 0
.LBB259_299:                            ; =>This Inner Loop Header: Depth=1
	ds_read_b32 v5, v4
	v_add_u32_e32 v3, 0x80, v3
	v_cmp_le_i32_e32 vcc, s37, v3
	s_or_b64 s[2:3], vcc, s[2:3]
	s_waitcnt lgkmcnt(0)
	v_mul_f32_e32 v5, v2, v5
	ds_write_b32 v4, v5
	v_add_u32_e32 v4, 0x200, v4
	s_andn2_b64 exec, exec, s[2:3]
	s_cbranch_execnz .LBB259_299
.LBB259_300:
	s_or_b64 exec, exec, s[0:1]
	s_mov_b32 s0, 0
	v_mov_b32_e32 v5, 0
	v_and_b32_e32 v25, 3, v0
	v_mov_b32_e32 v4, 0
	v_mov_b32_e32 v3, 0
	s_waitcnt lgkmcnt(0)
	v_mov_b32_e32 v2, 0
	s_barrier
	s_and_saveexec_b64 s[8:9], s[6:7]
	s_cbranch_execz .LBB259_570
; %bb.301:
	s_sub_i32 s21, s16, s21
	s_ashr_i32 s1, s47, 31
	s_add_u32 s2, s34, s47
	s_addc_u32 s3, s35, s1
	s_abs_i32 s22, s22
	v_cvt_f32_u32_e32 v2, s22
	v_and_b32_e32 v6, 0x1f8, v13
	v_mov_b32_e32 v7, 0
	s_sub_i32 s1, 0, s22
	v_rcp_iflag_f32_e32 v2, v2
	s_add_i32 s37, s20, -1
	v_lshl_add_u64 v[8:9], s[2:3], 0, v[6:7]
	s_lshl_b64 s[2:3], s[30:31], 2
	v_mul_f32_e32 v2, 0x4f7ffffe, v2
	v_cvt_u32_f32_e32 v2, v2
	s_add_u32 s2, s28, s2
	v_and_b32_e32 v6, 60, v14
	s_addc_u32 s3, s29, s3
	v_mul_lo_u32 v3, s1, v2
	v_mul_hi_u32 v3, v2, v3
	v_add_u32_e32 v27, v2, v3
	v_lshlrev_b32_e32 v2, 5, v25
	v_lshl_add_u64 v[10:11], s[2:3], 0, v[6:7]
	v_lshl_or_b32 v2, v1, 7, v2
	s_mov_b32 s2, s0
	s_mov_b32 s3, s0
	v_add_u32_e32 v28, 0x90, v2
	s_mov_b32 s1, s0
	v_mov_b64_e32 v[4:5], s[2:3]
	v_and_b32_e32 v26, 24, v13
	s_mov_b32 s34, s17
	s_mov_b32 s35, s33
	s_mov_b64 s[6:7], 0
	v_mov_b64_e32 v[2:3], s[0:1]
	s_movk_i32 s28, 0x7f
	s_movk_i32 s29, 0x80
	s_mov_b32 s30, 0x8000
	s_movk_i32 s31, 0x380
	s_mov_b32 s38, 0x3020706
	s_mov_b32 s39, 0x1000504
	;; [unrolled: 1-line block ×3, first 2 shown]
	v_mov_b32_e32 v29, 0x1c00
	s_branch .LBB259_304
.LBB259_302:                            ;   in Loop: Header=BB259_304 Depth=1
	s_or_b64 exec, exec, s[0:1]
	;;#ASMSTART
	v_pk_mul_f16 v13, v41, v13;

	;;#ASMEND
	;;#ASMSTART
	v_pk_mul_f16 v6, v40, v6;

	;;#ASMEND
	;; [unrolled: 4-line block ×4, first 2 shown]
	v_add_f32_e32 v16, v42, v43
	;;#ASMSTART
	v_pk_add_f16 v6, v13, v6;

	;;#ASMEND
	v_add_f32_e32 v2, v2, v16
	;;#ASMSTART
	v_pk_add_f16 v6, v6, v12;

	;;#ASMEND
	;; [unrolled: 5-line block ×3, first 2 shown]
	v_add_f32_e32 v3, v3, v16
	v_lshrrev_b32_e32 v12, 16, v6
	v_and_b32_e32 v6, 0xffff, v6
	;;#ASMSTART
	v_cvt_f32_f16 v6, v6;
	;;#ASMEND
	v_add_f32_e32 v16, v20, v21
	;;#ASMSTART
	v_cvt_f32_f16 v12, v12;
	;;#ASMEND
	v_add_f32_e32 v4, v4, v16
	v_add_f32_e32 v6, v6, v12
	;; [unrolled: 1-line block ×3, first 2 shown]
.LBB259_303:                            ;   in Loop: Header=BB259_304 Depth=1
	s_or_b64 exec, exec, s[2:3]
	v_add_u32_e32 v1, 2, v1
	v_cmp_le_i32_e32 vcc, s20, v1
	v_lshl_add_u64 v[10:11], v[10:11], 0, 8
	v_add_u32_e32 v15, 64, v15
	s_or_b64 s[6:7], vcc, s[6:7]
	v_add_u32_e32 v28, 0x100, v28
	s_andn2_b64 exec, exec, s[6:7]
	s_cbranch_execz .LBB259_569
.LBB259_304:                            ; =>This Inner Loop Header: Depth=1
	v_mul_hi_u32 v6, v15, s46
	v_mul_lo_u32 v12, v6, s25
	v_sub_u32_e32 v12, v15, v12
	v_add_u32_e32 v13, 1, v6
	v_cmp_le_u32_e32 vcc, s25, v12
	s_nop 1
	v_cndmask_b32_e32 v6, v6, v13, vcc
	v_subrev_u32_e32 v13, s25, v12
	v_cndmask_b32_e32 v12, v12, v13, vcc
	v_add_u32_e32 v13, 1, v6
	v_cmp_le_u32_e32 vcc, s25, v12
	s_nop 1
	v_cndmask_b32_e32 v6, v6, v13, vcc
	v_xor_b32_e32 v6, s23, v6
	v_subrev_u32_e32 v6, s23, v6
	v_add_u32_e32 v12, s36, v6
	v_sub_u32_e32 v14, 0, v12
	v_ashrrev_i32_e32 v13, 31, v12
	v_max_i32_e32 v12, v12, v14
	v_mul_hi_u32 v14, v12, v27
	v_mul_lo_u32 v14, v14, s22
	v_sub_u32_e32 v12, v12, v14
	v_subrev_u32_e32 v14, s22, v12
	v_cmp_le_u32_e32 vcc, s22, v12
	v_cmp_lt_i32_e64 s[0:1], s21, v6
	s_nop 0
	v_cndmask_b32_e32 v12, v12, v14, vcc
	v_subrev_u32_e32 v14, s22, v12
	v_cmp_le_u32_e32 vcc, s22, v12
	s_nop 1
	v_cndmask_b32_e32 v12, v12, v14, vcc
	v_xor_b32_e32 v12, v12, v13
	v_sub_u32_e32 v12, v12, v13
	v_cmp_eq_u32_e32 vcc, 0, v12
	s_or_b64 s[0:1], vcc, s[0:1]
	s_and_saveexec_b64 s[2:3], s[0:1]
	s_cbranch_execz .LBB259_303
; %bb.305:                              ;   in Loop: Header=BB259_304 Depth=1
	ds_read2_b64 v[16:19], v28 offset1:1
	ds_read2_b64 v[30:33], v28 offset0:2 offset1:3
                                        ; implicit-def: $sgpr18
	s_waitcnt lgkmcnt(1)
	;;#ASMSTART
	v_cvt_f16_f32 v38, v16;

	;;#ASMEND
	;;#ASMSTART
	v_cvt_f16_f32 v39, v17;

	;;#ASMEND
	;; [unrolled: 4-line block ×4, first 2 shown]
	s_waitcnt lgkmcnt(0)
	;;#ASMSTART
	v_cvt_f16_f32 v43, v30;

	;;#ASMEND
	;;#ASMSTART
	v_cvt_f16_f32 v44, v31;

	;;#ASMEND
	;; [unrolled: 4-line block ×4, first 2 shown]
	global_load_dword v6, v[10:11], off
	s_waitcnt vmcnt(0)
	v_mad_i64_i32 v[12:13], s[0:1], v6, s34, v[8:9]
	global_load_dwordx2 v[16:17], v[12:13], off
	global_load_dword v14, v7, s[14:15]
	s_mov_b64 s[0:1], 0
	s_waitcnt vmcnt(1)
	v_cmp_gt_i16_sdwa s[12:13], v16, s28 src0_sel:BYTE_0 src1_sel:DWORD
	s_and_saveexec_b64 s[16:17], s[12:13]
	s_xor_b64 s[12:13], exec, s[16:17]
	s_cbranch_execnz .LBB259_441
; %bb.306:                              ;   in Loop: Header=BB259_304 Depth=1
	s_or_saveexec_b64 s[12:13], s[12:13]
	v_mov_b32_e32 v18, s18
	s_xor_b64 exec, exec, s[12:13]
	s_cbranch_execnz .LBB259_444
.LBB259_307:                            ;   in Loop: Header=BB259_304 Depth=1
	s_or_b64 exec, exec, s[12:13]
	s_and_saveexec_b64 s[12:13], s[0:1]
	s_cbranch_execz .LBB259_309
.LBB259_308:                            ;   in Loop: Header=BB259_304 Depth=1
	v_and_b32_e32 v6, 7, v16
	v_ffbh_u32_e32 v6, v6
	v_bfe_u32 v18, v16, 3, 4
	v_min_u32_e32 v6, 32, v6
	v_subrev_u32_e32 v19, 28, v6
	v_sub_u32_e32 v6, 29, v6
	v_cmp_eq_u32_e32 vcc, 0, v18
	s_nop 1
	v_cndmask_b32_e32 v6, v18, v6, vcc
	v_cndmask_b32_e32 v18, 0, v19, vcc
	v_lshlrev_b64 v[18:19], v18, v[16:17]
	v_lshlrev_b32_e32 v19, 8, v16
	v_lshl_add_u32 v6, v6, 10, v29
	v_lshlrev_b32_e32 v18, 7, v18
	v_and_or_b32 v6, v19, s30, v6
	v_and_or_b32 v6, v18, s31, v6
	v_cvt_f32_f16_e32 v18, v6
.LBB259_309:                            ;   in Loop: Header=BB259_304 Depth=1
	s_or_b64 exec, exec, s[12:13]
	v_lshrrev_b16_e32 v6, 8, v16
	v_cmp_lt_i16_e32 vcc, s28, v6
	s_mov_b64 s[0:1], 0
                                        ; implicit-def: $sgpr18
	s_and_saveexec_b64 s[12:13], vcc
	s_xor_b64 s[12:13], exec, s[12:13]
	s_cbranch_execnz .LBB259_445
; %bb.310:                              ;   in Loop: Header=BB259_304 Depth=1
	s_or_saveexec_b64 s[12:13], s[12:13]
	v_mov_b32_e32 v20, s18
	s_xor_b64 exec, exec, s[12:13]
	s_cbranch_execnz .LBB259_448
.LBB259_311:                            ;   in Loop: Header=BB259_304 Depth=1
	s_or_b64 exec, exec, s[12:13]
	s_and_saveexec_b64 s[12:13], s[0:1]
	s_cbranch_execz .LBB259_313
.LBB259_312:                            ;   in Loop: Header=BB259_304 Depth=1
	v_and_b32_e32 v19, 7, v6
	v_ffbh_u32_e32 v20, v19
	v_min_u32_e32 v31, 32, v20
	v_subrev_u32_e32 v20, 28, v31
	v_bfe_u32 v30, v6, 3, 4
	v_lshlrev_b64 v[20:21], v20, v[6:7]
	v_sub_u32_e32 v21, 29, v31
	v_cmp_eq_u32_e32 vcc, 0, v30
	v_and_b32_e32 v20, 7, v20
	v_lshlrev_b32_e32 v6, 8, v6
	v_cndmask_b32_e32 v21, v30, v21, vcc
	v_cndmask_b32_e32 v19, v19, v20, vcc
	v_lshl_add_u32 v20, v21, 10, v29
	v_and_or_b32 v6, v6, s30, v20
	v_lshl_or_b32 v6, v19, 7, v6
	v_cvt_f32_f16_e32 v20, v6
.LBB259_313:                            ;   in Loop: Header=BB259_304 Depth=1
	s_or_b64 exec, exec, s[12:13]
	v_lshrrev_b32_e32 v6, 16, v16
	v_cmp_gt_i16_sdwa s[12:13], v6, s28 src0_sel:BYTE_0 src1_sel:DWORD
	s_mov_b64 s[0:1], 0
                                        ; implicit-def: $sgpr18
	s_and_saveexec_b64 s[16:17], s[12:13]
	s_xor_b64 s[12:13], exec, s[16:17]
	s_cbranch_execnz .LBB259_449
; %bb.314:                              ;   in Loop: Header=BB259_304 Depth=1
	s_or_saveexec_b64 s[12:13], s[12:13]
	v_mov_b32_e32 v19, s18
	s_xor_b64 exec, exec, s[12:13]
	s_cbranch_execnz .LBB259_452
.LBB259_315:                            ;   in Loop: Header=BB259_304 Depth=1
	s_or_b64 exec, exec, s[12:13]
	s_and_saveexec_b64 s[12:13], s[0:1]
	s_cbranch_execz .LBB259_317
.LBB259_316:                            ;   in Loop: Header=BB259_304 Depth=1
	v_bfe_u32 v19, v16, 16, 3
	v_ffbh_u32_e32 v30, v19
	v_min_u32_e32 v32, 32, v30
	v_subrev_u32_e32 v30, 28, v32
	v_bfe_u32 v21, v16, 19, 4
	v_lshlrev_b64 v[30:31], v30, v[6:7]
	v_sub_u32_e32 v31, 29, v32
	v_cmp_eq_u32_e32 vcc, 0, v21
	v_and_b32_e32 v30, 7, v30
	v_lshlrev_b32_e32 v6, 8, v6
	v_cndmask_b32_e32 v21, v21, v31, vcc
	v_lshl_add_u32 v21, v21, 10, v29
	v_cndmask_b32_e32 v19, v19, v30, vcc
	v_and_or_b32 v6, v6, s30, v21
	v_lshl_or_b32 v6, v19, 7, v6
	v_cvt_f32_f16_e32 v19, v6
.LBB259_317:                            ;   in Loop: Header=BB259_304 Depth=1
	s_or_b64 exec, exec, s[12:13]
	v_lshrrev_b32_e32 v6, 24, v16
	v_cmp_lt_i16_e32 vcc, s28, v6
	s_mov_b64 s[0:1], 0
                                        ; implicit-def: $sgpr18
	s_and_saveexec_b64 s[12:13], vcc
	s_xor_b64 s[12:13], exec, s[12:13]
	s_cbranch_execnz .LBB259_453
; %bb.318:                              ;   in Loop: Header=BB259_304 Depth=1
	s_or_saveexec_b64 s[12:13], s[12:13]
	v_mov_b32_e32 v21, s18
	s_xor_b64 exec, exec, s[12:13]
	s_cbranch_execnz .LBB259_456
.LBB259_319:                            ;   in Loop: Header=BB259_304 Depth=1
	s_or_b64 exec, exec, s[12:13]
	s_and_saveexec_b64 s[12:13], s[0:1]
	s_cbranch_execz .LBB259_321
.LBB259_320:                            ;   in Loop: Header=BB259_304 Depth=1
	v_bfe_u32 v21, v16, 24, 3
	v_ffbh_u32_e32 v30, v21
	v_min_u32_e32 v32, 32, v30
	v_subrev_u32_e32 v30, 28, v32
	v_bfe_u32 v16, v16, 27, 4
	v_lshlrev_b64 v[30:31], v30, v[6:7]
	v_sub_u32_e32 v31, 29, v32
	v_cmp_eq_u32_e32 vcc, 0, v16
	v_and_b32_e32 v30, 7, v30
	v_lshlrev_b32_e32 v6, 8, v6
	v_cndmask_b32_e32 v16, v16, v31, vcc
	v_lshl_add_u32 v16, v16, 10, v29
	v_cndmask_b32_e32 v21, v21, v30, vcc
	v_and_or_b32 v6, v6, s30, v16
	v_lshl_or_b32 v6, v21, 7, v6
	v_cvt_f32_f16_e32 v21, v6
.LBB259_321:                            ;   in Loop: Header=BB259_304 Depth=1
	s_or_b64 exec, exec, s[12:13]
	v_cmp_gt_i16_sdwa s[12:13], v17, s28 src0_sel:BYTE_0 src1_sel:DWORD
	s_mov_b64 s[0:1], 0
                                        ; implicit-def: $sgpr18
	s_and_saveexec_b64 s[16:17], s[12:13]
	s_xor_b64 s[12:13], exec, s[16:17]
	s_cbranch_execnz .LBB259_457
; %bb.322:                              ;   in Loop: Header=BB259_304 Depth=1
	s_or_saveexec_b64 s[12:13], s[12:13]
	v_mov_b32_e32 v16, s18
	s_xor_b64 exec, exec, s[12:13]
	s_cbranch_execnz .LBB259_460
.LBB259_323:                            ;   in Loop: Header=BB259_304 Depth=1
	s_or_b64 exec, exec, s[12:13]
	v_mov_b32_e32 v6, v17
	s_and_saveexec_b64 s[12:13], s[0:1]
	s_cbranch_execz .LBB259_325
.LBB259_324:                            ;   in Loop: Header=BB259_304 Depth=1
	v_and_b32_e32 v16, 7, v17
	v_ffbh_u32_e32 v16, v16
	v_bfe_u32 v30, v17, 3, 4
	v_min_u32_e32 v16, 32, v16
	v_subrev_u32_e32 v31, 28, v16
	v_sub_u32_e32 v16, 29, v16
	v_cmp_eq_u32_e32 vcc, 0, v30
	s_nop 1
	v_cndmask_b32_e32 v16, v30, v16, vcc
	v_cndmask_b32_e32 v30, 0, v31, vcc
	v_lshlrev_b64 v[30:31], v30, v[6:7]
	v_lshlrev_b32_e32 v31, 8, v17
	v_lshl_add_u32 v16, v16, 10, v29
	v_lshlrev_b32_e32 v30, 7, v30
	v_and_or_b32 v16, v31, s30, v16
	v_and_or_b32 v16, v30, s31, v16
	v_cvt_f32_f16_e32 v16, v16
.LBB259_325:                            ;   in Loop: Header=BB259_304 Depth=1
	s_or_b64 exec, exec, s[12:13]
	v_lshrrev_b16_e32 v6, 8, v6
	v_cmp_lt_i16_e32 vcc, s28, v6
	s_mov_b64 s[0:1], 0
                                        ; implicit-def: $sgpr18
	s_and_saveexec_b64 s[12:13], vcc
	s_xor_b64 s[12:13], exec, s[12:13]
	s_cbranch_execnz .LBB259_461
; %bb.326:                              ;   in Loop: Header=BB259_304 Depth=1
	s_or_saveexec_b64 s[12:13], s[12:13]
	v_mov_b32_e32 v30, s18
	s_xor_b64 exec, exec, s[12:13]
	s_cbranch_execnz .LBB259_464
.LBB259_327:                            ;   in Loop: Header=BB259_304 Depth=1
	s_or_b64 exec, exec, s[12:13]
	s_and_saveexec_b64 s[12:13], s[0:1]
	s_cbranch_execz .LBB259_329
.LBB259_328:                            ;   in Loop: Header=BB259_304 Depth=1
	v_and_b32_e32 v32, 7, v6
	v_ffbh_u32_e32 v30, v32
	v_min_u32_e32 v34, 32, v30
	v_subrev_u32_e32 v30, 28, v34
	v_bfe_u32 v33, v6, 3, 4
	v_lshlrev_b64 v[30:31], v30, v[6:7]
	v_sub_u32_e32 v31, 29, v34
	v_cmp_eq_u32_e32 vcc, 0, v33
	v_and_b32_e32 v30, 7, v30
	v_lshlrev_b32_e32 v6, 8, v6
	v_cndmask_b32_e32 v31, v33, v31, vcc
	v_lshl_add_u32 v31, v31, 10, v29
	v_cndmask_b32_e32 v30, v32, v30, vcc
	v_and_or_b32 v6, v6, s30, v31
	v_lshl_or_b32 v6, v30, 7, v6
	v_cvt_f32_f16_e32 v30, v6
.LBB259_329:                            ;   in Loop: Header=BB259_304 Depth=1
	s_or_b64 exec, exec, s[12:13]
	v_lshrrev_b32_e32 v6, 16, v17
	v_cmp_gt_i16_sdwa s[12:13], v6, s28 src0_sel:BYTE_0 src1_sel:DWORD
	s_mov_b64 s[0:1], 0
                                        ; implicit-def: $sgpr18
	s_and_saveexec_b64 s[16:17], s[12:13]
	s_xor_b64 s[12:13], exec, s[16:17]
	s_cbranch_execnz .LBB259_465
; %bb.330:                              ;   in Loop: Header=BB259_304 Depth=1
	s_or_saveexec_b64 s[12:13], s[12:13]
	v_mov_b32_e32 v31, s18
	s_xor_b64 exec, exec, s[12:13]
	s_cbranch_execnz .LBB259_468
.LBB259_331:                            ;   in Loop: Header=BB259_304 Depth=1
	s_or_b64 exec, exec, s[12:13]
	s_and_saveexec_b64 s[12:13], s[0:1]
	s_cbranch_execz .LBB259_333
.LBB259_332:                            ;   in Loop: Header=BB259_304 Depth=1
	v_bfe_u32 v31, v17, 16, 3
	v_ffbh_u32_e32 v32, v31
	v_min_u32_e32 v35, 32, v32
	v_subrev_u32_e32 v32, 28, v35
	v_bfe_u32 v34, v17, 19, 4
	v_lshlrev_b64 v[32:33], v32, v[6:7]
	v_sub_u32_e32 v33, 29, v35
	v_cmp_eq_u32_e32 vcc, 0, v34
	v_and_b32_e32 v32, 7, v32
	v_lshlrev_b32_e32 v6, 8, v6
	v_cndmask_b32_e32 v33, v34, v33, vcc
	v_cndmask_b32_e32 v31, v31, v32, vcc
	v_lshl_add_u32 v32, v33, 10, v29
	v_and_or_b32 v6, v6, s30, v32
	v_lshl_or_b32 v6, v31, 7, v6
	v_cvt_f32_f16_e32 v31, v6
.LBB259_333:                            ;   in Loop: Header=BB259_304 Depth=1
	s_or_b64 exec, exec, s[12:13]
	v_lshrrev_b32_e32 v6, 24, v17
	v_cmp_lt_i16_e32 vcc, s28, v6
	s_mov_b64 s[0:1], 0
                                        ; implicit-def: $sgpr18
	s_and_saveexec_b64 s[12:13], vcc
	s_xor_b64 s[12:13], exec, s[12:13]
	s_cbranch_execnz .LBB259_469
; %bb.334:                              ;   in Loop: Header=BB259_304 Depth=1
	s_or_saveexec_b64 s[12:13], s[12:13]
	v_mov_b32_e32 v33, s18
	s_xor_b64 exec, exec, s[12:13]
	s_cbranch_execnz .LBB259_472
.LBB259_335:                            ;   in Loop: Header=BB259_304 Depth=1
	s_or_b64 exec, exec, s[12:13]
	s_and_saveexec_b64 s[12:13], s[0:1]
	s_cbranch_execz .LBB259_337
.LBB259_336:                            ;   in Loop: Header=BB259_304 Depth=1
	v_bfe_u32 v34, v17, 24, 3
	v_ffbh_u32_e32 v32, v34
	v_min_u32_e32 v35, 32, v32
	v_subrev_u32_e32 v32, 28, v35
	v_bfe_u32 v17, v17, 27, 4
	v_lshlrev_b64 v[32:33], v32, v[6:7]
	v_sub_u32_e32 v33, 29, v35
	v_cmp_eq_u32_e32 vcc, 0, v17
	v_and_b32_e32 v32, 7, v32
	v_lshlrev_b32_e32 v6, 8, v6
	v_cndmask_b32_e32 v17, v17, v33, vcc
	v_lshl_add_u32 v17, v17, 10, v29
	v_cndmask_b32_e32 v32, v34, v32, vcc
	v_and_or_b32 v6, v6, s30, v17
	v_lshl_or_b32 v6, v32, 7, v6
	v_cvt_f32_f16_e32 v33, v6
.LBB259_337:                            ;   in Loop: Header=BB259_304 Depth=1
	s_or_b64 exec, exec, s[12:13]
	s_waitcnt vmcnt(0)
	v_pk_mul_f32 v[20:21], v[14:15], v[20:21] op_sel_hi:[0,1]
	v_pk_mul_f32 v[18:19], v[14:15], v[18:19] op_sel_hi:[0,1]
	v_cvt_f16_f32_e32 v6, v21
	v_cvt_f16_f32_e32 v17, v20
	;; [unrolled: 1-line block ×4, first 2 shown]
	v_fma_mixlo_f16 v16, v14, v16, 0
	v_pack_b32_f16 v17, v17, v6
	v_add_u32_e32 v32, v26, v15
	v_pack_b32_f16 v18, v18, v19
	v_perm_b32 v6, v18, v17, s38
	v_perm_b32 v17, v18, v17, s39
	v_fma_mixlo_f16 v18, v14, v30, 0
	v_lshlrev_b32_e32 v18, 16, v18
	v_or_b32_sdwa v16, v18, v16 dst_sel:DWORD dst_unused:UNUSED_PAD src0_sel:DWORD src1_sel:WORD_0
	v_fma_mixlo_f16 v18, v14, v31, 0
	v_fma_mixlo_f16 v14, v14, v33, 0
	v_lshlrev_b32_e32 v14, 16, v14
	v_cmp_eq_u32_e32 vcc, s37, v1
	v_or_b32_sdwa v14, v14, v18 dst_sel:DWORD dst_unused:UNUSED_PAD src0_sel:DWORD src1_sel:WORD_0
	v_add_u32_e32 v37, 1, v32
	v_or_b32_e32 v36, 3, v32
	v_or_b32_e32 v35, 2, v32
	;; [unrolled: 1-line block ×6, first 2 shown]
	s_and_saveexec_b64 s[12:13], vcc
	s_cbranch_execz .LBB259_339
; %bb.338:                              ;   in Loop: Header=BB259_304 Depth=1
	v_lshrrev_b32_e32 v19, 16, v17
	v_cmp_gt_i32_e64 s[0:1], s35, v37
	v_lshrrev_b32_e32 v14, 16, v14
	s_nop 0
	v_cndmask_b32_e64 v19, 0, v19, s[0:1]
	v_cmp_gt_i32_e64 s[0:1], s33, v32
	s_nop 1
	v_cndmask_b32_e64 v17, 0, v17, s[0:1]
	v_perm_b32 v17, v19, v17, s40
	v_lshrrev_b32_e32 v19, 16, v6
	v_cmp_gt_i32_e64 s[0:1], s35, v36
	s_nop 1
	v_cndmask_b32_e64 v19, 0, v19, s[0:1]
	v_cmp_gt_i32_e64 s[0:1], s33, v35
	s_nop 1
	v_cndmask_b32_e64 v6, 0, v6, s[0:1]
	v_perm_b32 v6, v19, v6, s40
	v_lshrrev_b32_e32 v19, 16, v16
	v_cmp_gt_i32_e64 s[0:1], s35, v34
	s_nop 1
	v_cndmask_b32_e64 v19, 0, v19, s[0:1]
	v_cmp_gt_i32_e64 s[0:1], s33, v33
	s_nop 1
	v_cndmask_b32_e64 v16, 0, v16, s[0:1]
	v_cmp_gt_i32_e64 s[0:1], s35, v31
	v_perm_b32 v16, v19, v16, s40
	s_nop 0
	v_cndmask_b32_e64 v14, 0, v14, s[0:1]
	v_cmp_gt_i32_e64 s[0:1], s33, v30
	s_nop 1
	v_cndmask_b32_e64 v18, 0, v18, s[0:1]
	v_perm_b32 v14, v14, v18, s40
.LBB259_339:                            ;   in Loop: Header=BB259_304 Depth=1
	s_or_b64 exec, exec, s[12:13]
	v_and_b32_e32 v18, 0xffff, v38
	v_lshl_or_b32 v41, v39, 16, v18
	v_and_b32_e32 v18, 0xffff, v40
	v_lshl_or_b32 v40, v42, 16, v18
	;; [unrolled: 2-line block ×3, first 2 shown]
	v_and_b32_e32 v18, 0xffff, v45
	;;#ASMSTART
	v_pk_mul_f16 v17, v41, v17;

	;;#ASMEND
	;;#ASMSTART
	v_pk_mul_f16 v6, v40, v6;

	;;#ASMEND
	v_lshl_or_b32 v38, v46, 16, v18
	;;#ASMSTART
	v_pk_mul_f16 v16, v39, v16;

	;;#ASMEND
	;;#ASMSTART
	v_pk_mul_f16 v14, v38, v14;

	;;#ASMEND
	;;#ASMSTART
	v_pk_add_f16 v6, v17, v6;

	;;#ASMEND
	s_mov_b64 s[0:1], 0
	;;#ASMSTART
	v_pk_add_f16 v6, v6, v16;

	;;#ASMEND
                                        ; implicit-def: $sgpr18
	s_nop 0
	;;#ASMSTART
	v_pk_add_f16 v6, v6, v14;

	;;#ASMEND
	s_nop 0
	v_lshrrev_b32_e32 v14, 16, v6
	v_and_b32_e32 v6, 0xffff, v6
	;;#ASMSTART
	v_cvt_f32_f16 v42, v6;
	;;#ASMEND
	;;#ASMSTART
	v_cvt_f32_f16 v43, v14;
	;;#ASMEND
	global_load_dwordx2 v[16:17], v[12:13], off offset:512
	global_load_dword v14, v7, s[14:15]
	s_waitcnt vmcnt(1)
	v_cmp_gt_i16_sdwa s[12:13], v16, s28 src0_sel:BYTE_0 src1_sel:DWORD
	s_and_saveexec_b64 s[16:17], s[12:13]
	s_xor_b64 s[12:13], exec, s[16:17]
	s_cbranch_execnz .LBB259_473
; %bb.340:                              ;   in Loop: Header=BB259_304 Depth=1
	s_or_saveexec_b64 s[12:13], s[12:13]
	v_mov_b32_e32 v18, s18
	s_xor_b64 exec, exec, s[12:13]
	s_cbranch_execnz .LBB259_476
.LBB259_341:                            ;   in Loop: Header=BB259_304 Depth=1
	s_or_b64 exec, exec, s[12:13]
	s_and_saveexec_b64 s[12:13], s[0:1]
	s_cbranch_execz .LBB259_343
.LBB259_342:                            ;   in Loop: Header=BB259_304 Depth=1
	v_and_b32_e32 v6, 7, v16
	v_ffbh_u32_e32 v6, v6
	v_bfe_u32 v18, v16, 3, 4
	v_min_u32_e32 v6, 32, v6
	v_subrev_u32_e32 v19, 28, v6
	v_sub_u32_e32 v6, 29, v6
	v_cmp_eq_u32_e64 s[0:1], 0, v18
	s_nop 1
	v_cndmask_b32_e64 v6, v18, v6, s[0:1]
	v_cndmask_b32_e64 v18, 0, v19, s[0:1]
	v_lshlrev_b64 v[18:19], v18, v[16:17]
	v_lshlrev_b32_e32 v19, 8, v16
	v_lshl_add_u32 v6, v6, 10, v29
	v_lshlrev_b32_e32 v18, 7, v18
	v_and_or_b32 v6, v19, s30, v6
	v_and_or_b32 v6, v18, s31, v6
	v_cvt_f32_f16_e32 v18, v6
.LBB259_343:                            ;   in Loop: Header=BB259_304 Depth=1
	s_or_b64 exec, exec, s[12:13]
	v_lshrrev_b16_e32 v6, 8, v16
	v_cmp_lt_i16_e64 s[0:1], s28, v6
	s_mov_b64 s[12:13], 0
                                        ; implicit-def: $sgpr41
	s_and_saveexec_b64 s[16:17], s[0:1]
	s_xor_b64 s[16:17], exec, s[16:17]
	s_cbranch_execnz .LBB259_477
; %bb.344:                              ;   in Loop: Header=BB259_304 Depth=1
	s_or_saveexec_b64 s[16:17], s[16:17]
	v_mov_b32_e32 v20, s41
	s_xor_b64 exec, exec, s[16:17]
	s_cbranch_execnz .LBB259_480
.LBB259_345:                            ;   in Loop: Header=BB259_304 Depth=1
	s_or_b64 exec, exec, s[16:17]
	s_and_saveexec_b64 s[16:17], s[12:13]
	s_cbranch_execz .LBB259_347
.LBB259_346:                            ;   in Loop: Header=BB259_304 Depth=1
	v_and_b32_e32 v19, 7, v6
	v_ffbh_u32_e32 v20, v19
	v_min_u32_e32 v45, 32, v20
	v_subrev_u32_e32 v20, 28, v45
	v_bfe_u32 v44, v6, 3, 4
	v_lshlrev_b64 v[20:21], v20, v[6:7]
	v_sub_u32_e32 v21, 29, v45
	v_cmp_eq_u32_e64 s[0:1], 0, v44
	v_and_b32_e32 v20, 7, v20
	v_lshlrev_b32_e32 v6, 8, v6
	v_cndmask_b32_e64 v21, v44, v21, s[0:1]
	v_cndmask_b32_e64 v19, v19, v20, s[0:1]
	v_lshl_add_u32 v20, v21, 10, v29
	v_and_or_b32 v6, v6, s30, v20
	v_lshl_or_b32 v6, v19, 7, v6
	v_cvt_f32_f16_e32 v20, v6
.LBB259_347:                            ;   in Loop: Header=BB259_304 Depth=1
	s_or_b64 exec, exec, s[16:17]
	v_lshrrev_b32_e32 v6, 16, v16
	v_cmp_gt_i16_sdwa s[12:13], v6, s28 src0_sel:BYTE_0 src1_sel:DWORD
	s_mov_b64 s[0:1], 0
                                        ; implicit-def: $sgpr18
	s_and_saveexec_b64 s[16:17], s[12:13]
	s_xor_b64 s[12:13], exec, s[16:17]
	s_cbranch_execnz .LBB259_481
; %bb.348:                              ;   in Loop: Header=BB259_304 Depth=1
	s_or_saveexec_b64 s[12:13], s[12:13]
	v_mov_b32_e32 v19, s18
	s_xor_b64 exec, exec, s[12:13]
	s_cbranch_execnz .LBB259_484
.LBB259_349:                            ;   in Loop: Header=BB259_304 Depth=1
	s_or_b64 exec, exec, s[12:13]
	s_and_saveexec_b64 s[12:13], s[0:1]
	s_cbranch_execz .LBB259_351
.LBB259_350:                            ;   in Loop: Header=BB259_304 Depth=1
	v_bfe_u32 v19, v16, 16, 3
	v_ffbh_u32_e32 v44, v19
	v_min_u32_e32 v46, 32, v44
	v_subrev_u32_e32 v44, 28, v46
	v_bfe_u32 v21, v16, 19, 4
	v_lshlrev_b64 v[44:45], v44, v[6:7]
	v_sub_u32_e32 v45, 29, v46
	v_cmp_eq_u32_e64 s[0:1], 0, v21
	v_and_b32_e32 v44, 7, v44
	v_lshlrev_b32_e32 v6, 8, v6
	v_cndmask_b32_e64 v21, v21, v45, s[0:1]
	v_lshl_add_u32 v21, v21, 10, v29
	v_cndmask_b32_e64 v19, v19, v44, s[0:1]
	v_and_or_b32 v6, v6, s30, v21
	v_lshl_or_b32 v6, v19, 7, v6
	v_cvt_f32_f16_e32 v19, v6
.LBB259_351:                            ;   in Loop: Header=BB259_304 Depth=1
	s_or_b64 exec, exec, s[12:13]
	v_lshrrev_b32_e32 v6, 24, v16
	v_cmp_lt_i16_e64 s[0:1], s28, v6
	s_mov_b64 s[12:13], 0
                                        ; implicit-def: $sgpr41
	s_and_saveexec_b64 s[16:17], s[0:1]
	s_xor_b64 s[16:17], exec, s[16:17]
	s_cbranch_execnz .LBB259_485
; %bb.352:                              ;   in Loop: Header=BB259_304 Depth=1
	s_or_saveexec_b64 s[16:17], s[16:17]
	v_mov_b32_e32 v21, s41
	s_xor_b64 exec, exec, s[16:17]
	s_cbranch_execnz .LBB259_488
.LBB259_353:                            ;   in Loop: Header=BB259_304 Depth=1
	s_or_b64 exec, exec, s[16:17]
	s_and_saveexec_b64 s[16:17], s[12:13]
	s_cbranch_execz .LBB259_355
.LBB259_354:                            ;   in Loop: Header=BB259_304 Depth=1
	v_bfe_u32 v21, v16, 24, 3
	v_ffbh_u32_e32 v44, v21
	v_min_u32_e32 v46, 32, v44
	v_subrev_u32_e32 v44, 28, v46
	v_bfe_u32 v16, v16, 27, 4
	v_lshlrev_b64 v[44:45], v44, v[6:7]
	v_sub_u32_e32 v45, 29, v46
	v_cmp_eq_u32_e64 s[0:1], 0, v16
	v_and_b32_e32 v44, 7, v44
	v_lshlrev_b32_e32 v6, 8, v6
	v_cndmask_b32_e64 v16, v16, v45, s[0:1]
	v_lshl_add_u32 v16, v16, 10, v29
	v_cndmask_b32_e64 v21, v21, v44, s[0:1]
	v_and_or_b32 v6, v6, s30, v16
	v_lshl_or_b32 v6, v21, 7, v6
	v_cvt_f32_f16_e32 v21, v6
.LBB259_355:                            ;   in Loop: Header=BB259_304 Depth=1
	s_or_b64 exec, exec, s[16:17]
	v_cmp_gt_i16_sdwa s[12:13], v17, s28 src0_sel:BYTE_0 src1_sel:DWORD
	s_mov_b64 s[0:1], 0
                                        ; implicit-def: $sgpr18
	s_and_saveexec_b64 s[16:17], s[12:13]
	s_xor_b64 s[12:13], exec, s[16:17]
	s_cbranch_execnz .LBB259_489
; %bb.356:                              ;   in Loop: Header=BB259_304 Depth=1
	s_or_saveexec_b64 s[12:13], s[12:13]
	v_mov_b32_e32 v16, s18
	s_xor_b64 exec, exec, s[12:13]
	s_cbranch_execnz .LBB259_492
.LBB259_357:                            ;   in Loop: Header=BB259_304 Depth=1
	s_or_b64 exec, exec, s[12:13]
	v_mov_b32_e32 v6, v17
	s_and_saveexec_b64 s[12:13], s[0:1]
	s_cbranch_execz .LBB259_359
.LBB259_358:                            ;   in Loop: Header=BB259_304 Depth=1
	v_and_b32_e32 v16, 7, v17
	v_ffbh_u32_e32 v16, v16
	v_bfe_u32 v44, v17, 3, 4
	v_min_u32_e32 v16, 32, v16
	v_subrev_u32_e32 v45, 28, v16
	v_sub_u32_e32 v16, 29, v16
	v_cmp_eq_u32_e64 s[0:1], 0, v44
	s_nop 1
	v_cndmask_b32_e64 v16, v44, v16, s[0:1]
	v_cndmask_b32_e64 v44, 0, v45, s[0:1]
	v_lshlrev_b64 v[44:45], v44, v[6:7]
	v_lshlrev_b32_e32 v45, 8, v17
	v_lshl_add_u32 v16, v16, 10, v29
	v_lshlrev_b32_e32 v44, 7, v44
	v_and_or_b32 v16, v45, s30, v16
	v_and_or_b32 v16, v44, s31, v16
	v_cvt_f32_f16_e32 v16, v16
.LBB259_359:                            ;   in Loop: Header=BB259_304 Depth=1
	s_or_b64 exec, exec, s[12:13]
	v_lshrrev_b16_e32 v6, 8, v6
	v_cmp_lt_i16_e64 s[0:1], s28, v6
	s_mov_b64 s[12:13], 0
                                        ; implicit-def: $sgpr41
	s_and_saveexec_b64 s[16:17], s[0:1]
	s_xor_b64 s[16:17], exec, s[16:17]
	s_cbranch_execnz .LBB259_493
; %bb.360:                              ;   in Loop: Header=BB259_304 Depth=1
	s_or_saveexec_b64 s[16:17], s[16:17]
	v_mov_b32_e32 v44, s41
	s_xor_b64 exec, exec, s[16:17]
	s_cbranch_execnz .LBB259_496
.LBB259_361:                            ;   in Loop: Header=BB259_304 Depth=1
	s_or_b64 exec, exec, s[16:17]
	s_and_saveexec_b64 s[16:17], s[12:13]
	s_cbranch_execz .LBB259_363
.LBB259_362:                            ;   in Loop: Header=BB259_304 Depth=1
	v_and_b32_e32 v46, 7, v6
	v_ffbh_u32_e32 v44, v46
	v_min_u32_e32 v48, 32, v44
	v_subrev_u32_e32 v44, 28, v48
	v_bfe_u32 v47, v6, 3, 4
	v_lshlrev_b64 v[44:45], v44, v[6:7]
	v_sub_u32_e32 v45, 29, v48
	v_cmp_eq_u32_e64 s[0:1], 0, v47
	v_and_b32_e32 v44, 7, v44
	v_lshlrev_b32_e32 v6, 8, v6
	v_cndmask_b32_e64 v45, v47, v45, s[0:1]
	v_lshl_add_u32 v45, v45, 10, v29
	v_cndmask_b32_e64 v44, v46, v44, s[0:1]
	v_and_or_b32 v6, v6, s30, v45
	v_lshl_or_b32 v6, v44, 7, v6
	v_cvt_f32_f16_e32 v44, v6
.LBB259_363:                            ;   in Loop: Header=BB259_304 Depth=1
	s_or_b64 exec, exec, s[16:17]
	v_lshrrev_b32_e32 v6, 16, v17
	v_cmp_gt_i16_sdwa s[12:13], v6, s28 src0_sel:BYTE_0 src1_sel:DWORD
	s_mov_b64 s[0:1], 0
                                        ; implicit-def: $sgpr18
	s_and_saveexec_b64 s[16:17], s[12:13]
	s_xor_b64 s[12:13], exec, s[16:17]
	s_cbranch_execnz .LBB259_497
; %bb.364:                              ;   in Loop: Header=BB259_304 Depth=1
	s_or_saveexec_b64 s[12:13], s[12:13]
	v_mov_b32_e32 v45, s18
	s_xor_b64 exec, exec, s[12:13]
	s_cbranch_execnz .LBB259_500
.LBB259_365:                            ;   in Loop: Header=BB259_304 Depth=1
	s_or_b64 exec, exec, s[12:13]
	s_and_saveexec_b64 s[12:13], s[0:1]
	s_cbranch_execz .LBB259_367
.LBB259_366:                            ;   in Loop: Header=BB259_304 Depth=1
	v_bfe_u32 v45, v17, 16, 3
	v_ffbh_u32_e32 v46, v45
	v_min_u32_e32 v49, 32, v46
	v_subrev_u32_e32 v46, 28, v49
	v_bfe_u32 v48, v17, 19, 4
	v_lshlrev_b64 v[46:47], v46, v[6:7]
	v_sub_u32_e32 v47, 29, v49
	v_cmp_eq_u32_e64 s[0:1], 0, v48
	v_and_b32_e32 v46, 7, v46
	v_lshlrev_b32_e32 v6, 8, v6
	v_cndmask_b32_e64 v47, v48, v47, s[0:1]
	v_cndmask_b32_e64 v45, v45, v46, s[0:1]
	v_lshl_add_u32 v46, v47, 10, v29
	v_and_or_b32 v6, v6, s30, v46
	v_lshl_or_b32 v6, v45, 7, v6
	v_cvt_f32_f16_e32 v45, v6
.LBB259_367:                            ;   in Loop: Header=BB259_304 Depth=1
	s_or_b64 exec, exec, s[12:13]
	v_lshrrev_b32_e32 v6, 24, v17
	v_cmp_lt_i16_e64 s[0:1], s28, v6
	s_mov_b64 s[12:13], 0
                                        ; implicit-def: $sgpr41
	s_and_saveexec_b64 s[16:17], s[0:1]
	s_xor_b64 s[16:17], exec, s[16:17]
	s_cbranch_execnz .LBB259_501
; %bb.368:                              ;   in Loop: Header=BB259_304 Depth=1
	s_or_saveexec_b64 s[16:17], s[16:17]
	v_mov_b32_e32 v46, s41
	s_xor_b64 exec, exec, s[16:17]
	s_cbranch_execnz .LBB259_504
.LBB259_369:                            ;   in Loop: Header=BB259_304 Depth=1
	s_or_b64 exec, exec, s[16:17]
	s_and_saveexec_b64 s[16:17], s[12:13]
	s_cbranch_execz .LBB259_371
.LBB259_370:                            ;   in Loop: Header=BB259_304 Depth=1
	v_bfe_u32 v48, v17, 24, 3
	v_ffbh_u32_e32 v46, v48
	v_min_u32_e32 v49, 32, v46
	v_subrev_u32_e32 v46, 28, v49
	v_bfe_u32 v17, v17, 27, 4
	v_lshlrev_b64 v[46:47], v46, v[6:7]
	v_sub_u32_e32 v47, 29, v49
	v_cmp_eq_u32_e64 s[0:1], 0, v17
	v_and_b32_e32 v46, 7, v46
	v_lshlrev_b32_e32 v6, 8, v6
	v_cndmask_b32_e64 v17, v17, v47, s[0:1]
	v_lshl_add_u32 v17, v17, 10, v29
	v_cndmask_b32_e64 v46, v48, v46, s[0:1]
	v_and_or_b32 v6, v6, s30, v17
	v_lshl_or_b32 v6, v46, 7, v6
	v_cvt_f32_f16_e32 v46, v6
.LBB259_371:                            ;   in Loop: Header=BB259_304 Depth=1
	s_or_b64 exec, exec, s[16:17]
	s_waitcnt vmcnt(0)
	v_pk_mul_f32 v[20:21], v[14:15], v[20:21] op_sel_hi:[0,1]
	v_pk_mul_f32 v[18:19], v[14:15], v[18:19] op_sel_hi:[0,1]
	v_cvt_f16_f32_e32 v6, v21
	v_cvt_f16_f32_e32 v17, v20
	v_cvt_f16_f32_e32 v19, v19
	v_cvt_f16_f32_e32 v18, v18
	v_fma_mixlo_f16 v16, v14, v16, 0
	v_pack_b32_f16 v17, v17, v6
	v_pack_b32_f16 v18, v18, v19
	v_perm_b32 v6, v18, v17, s38
	v_perm_b32 v17, v18, v17, s39
	v_fma_mixlo_f16 v18, v14, v44, 0
	v_lshlrev_b32_e32 v18, 16, v18
	v_or_b32_sdwa v16, v18, v16 dst_sel:DWORD dst_unused:UNUSED_PAD src0_sel:DWORD src1_sel:WORD_0
	v_fma_mixlo_f16 v18, v14, v45, 0
	v_fma_mixlo_f16 v14, v14, v46, 0
	v_lshlrev_b32_e32 v14, 16, v14
	v_or_b32_sdwa v14, v14, v18 dst_sel:DWORD dst_unused:UNUSED_PAD src0_sel:DWORD src1_sel:WORD_0
	s_and_saveexec_b64 s[12:13], vcc
	s_cbranch_execz .LBB259_373
; %bb.372:                              ;   in Loop: Header=BB259_304 Depth=1
	v_lshrrev_b32_e32 v19, 16, v17
	v_cmp_gt_i32_e64 s[0:1], s35, v37
	v_lshrrev_b32_e32 v14, 16, v14
	s_nop 0
	v_cndmask_b32_e64 v19, 0, v19, s[0:1]
	v_cmp_gt_i32_e64 s[0:1], s33, v32
	s_nop 1
	v_cndmask_b32_e64 v17, 0, v17, s[0:1]
	v_perm_b32 v17, v19, v17, s40
	v_lshrrev_b32_e32 v19, 16, v6
	v_cmp_gt_i32_e64 s[0:1], s35, v36
	s_nop 1
	v_cndmask_b32_e64 v19, 0, v19, s[0:1]
	v_cmp_gt_i32_e64 s[0:1], s33, v35
	s_nop 1
	v_cndmask_b32_e64 v6, 0, v6, s[0:1]
	v_perm_b32 v6, v19, v6, s40
	v_lshrrev_b32_e32 v19, 16, v16
	v_cmp_gt_i32_e64 s[0:1], s35, v34
	s_nop 1
	v_cndmask_b32_e64 v19, 0, v19, s[0:1]
	v_cmp_gt_i32_e64 s[0:1], s33, v33
	s_nop 1
	v_cndmask_b32_e64 v16, 0, v16, s[0:1]
	v_cmp_gt_i32_e64 s[0:1], s35, v31
	v_perm_b32 v16, v19, v16, s40
	s_nop 0
	v_cndmask_b32_e64 v14, 0, v14, s[0:1]
	v_cmp_gt_i32_e64 s[0:1], s33, v30
	s_nop 1
	v_cndmask_b32_e64 v18, 0, v18, s[0:1]
	v_perm_b32 v14, v14, v18, s40
.LBB259_373:                            ;   in Loop: Header=BB259_304 Depth=1
	s_or_b64 exec, exec, s[12:13]
	;;#ASMSTART
	v_pk_mul_f16 v17, v41, v17;

	;;#ASMEND
	;;#ASMSTART
	v_pk_mul_f16 v6, v40, v6;

	;;#ASMEND
	;; [unrolled: 4-line block ×4, first 2 shown]
	s_mov_b64 s[0:1], 0
	;;#ASMSTART
	v_pk_add_f16 v6, v17, v6;

	;;#ASMEND
                                        ; implicit-def: $sgpr18
	s_nop 0
	;;#ASMSTART
	v_pk_add_f16 v6, v6, v16;

	;;#ASMEND
	s_nop 0
	;;#ASMSTART
	v_pk_add_f16 v6, v6, v14;

	;;#ASMEND
	s_nop 0
	v_lshrrev_b32_e32 v14, 16, v6
	v_and_b32_e32 v6, 0xffff, v6
	;;#ASMSTART
	v_cvt_f32_f16 v44, v6;
	;;#ASMEND
	;;#ASMSTART
	v_cvt_f32_f16 v45, v14;
	;;#ASMEND
	global_load_dwordx2 v[16:17], v[12:13], off offset:1024
	global_load_dword v14, v7, s[14:15]
	s_waitcnt vmcnt(1)
	v_cmp_gt_i16_sdwa s[12:13], v16, s28 src0_sel:BYTE_0 src1_sel:DWORD
	s_and_saveexec_b64 s[16:17], s[12:13]
	s_xor_b64 s[12:13], exec, s[16:17]
	s_cbranch_execnz .LBB259_505
; %bb.374:                              ;   in Loop: Header=BB259_304 Depth=1
	s_or_saveexec_b64 s[12:13], s[12:13]
	v_mov_b32_e32 v18, s18
	s_xor_b64 exec, exec, s[12:13]
	s_cbranch_execnz .LBB259_508
.LBB259_375:                            ;   in Loop: Header=BB259_304 Depth=1
	s_or_b64 exec, exec, s[12:13]
	s_and_saveexec_b64 s[12:13], s[0:1]
	s_cbranch_execz .LBB259_377
.LBB259_376:                            ;   in Loop: Header=BB259_304 Depth=1
	v_and_b32_e32 v6, 7, v16
	v_ffbh_u32_e32 v6, v6
	v_bfe_u32 v18, v16, 3, 4
	v_min_u32_e32 v6, 32, v6
	v_subrev_u32_e32 v19, 28, v6
	v_sub_u32_e32 v6, 29, v6
	v_cmp_eq_u32_e64 s[0:1], 0, v18
	s_nop 1
	v_cndmask_b32_e64 v6, v18, v6, s[0:1]
	v_cndmask_b32_e64 v18, 0, v19, s[0:1]
	v_lshlrev_b64 v[18:19], v18, v[16:17]
	v_lshlrev_b32_e32 v19, 8, v16
	v_lshl_add_u32 v6, v6, 10, v29
	v_lshlrev_b32_e32 v18, 7, v18
	v_and_or_b32 v6, v19, s30, v6
	v_and_or_b32 v6, v18, s31, v6
	v_cvt_f32_f16_e32 v18, v6
.LBB259_377:                            ;   in Loop: Header=BB259_304 Depth=1
	s_or_b64 exec, exec, s[12:13]
	v_lshrrev_b16_e32 v6, 8, v16
	v_cmp_lt_i16_e64 s[0:1], s28, v6
	s_mov_b64 s[12:13], 0
                                        ; implicit-def: $sgpr41
	s_and_saveexec_b64 s[16:17], s[0:1]
	s_xor_b64 s[16:17], exec, s[16:17]
	s_cbranch_execnz .LBB259_509
; %bb.378:                              ;   in Loop: Header=BB259_304 Depth=1
	s_or_saveexec_b64 s[16:17], s[16:17]
	v_mov_b32_e32 v20, s41
	s_xor_b64 exec, exec, s[16:17]
	s_cbranch_execnz .LBB259_512
.LBB259_379:                            ;   in Loop: Header=BB259_304 Depth=1
	s_or_b64 exec, exec, s[16:17]
	s_and_saveexec_b64 s[16:17], s[12:13]
	s_cbranch_execz .LBB259_381
.LBB259_380:                            ;   in Loop: Header=BB259_304 Depth=1
	v_and_b32_e32 v19, 7, v6
	v_ffbh_u32_e32 v20, v19
	v_min_u32_e32 v47, 32, v20
	v_subrev_u32_e32 v20, 28, v47
	v_bfe_u32 v46, v6, 3, 4
	v_lshlrev_b64 v[20:21], v20, v[6:7]
	v_sub_u32_e32 v21, 29, v47
	v_cmp_eq_u32_e64 s[0:1], 0, v46
	v_and_b32_e32 v20, 7, v20
	v_lshlrev_b32_e32 v6, 8, v6
	v_cndmask_b32_e64 v21, v46, v21, s[0:1]
	v_cndmask_b32_e64 v19, v19, v20, s[0:1]
	v_lshl_add_u32 v20, v21, 10, v29
	v_and_or_b32 v6, v6, s30, v20
	v_lshl_or_b32 v6, v19, 7, v6
	v_cvt_f32_f16_e32 v20, v6
.LBB259_381:                            ;   in Loop: Header=BB259_304 Depth=1
	s_or_b64 exec, exec, s[16:17]
	v_lshrrev_b32_e32 v6, 16, v16
	v_cmp_gt_i16_sdwa s[12:13], v6, s28 src0_sel:BYTE_0 src1_sel:DWORD
	s_mov_b64 s[0:1], 0
                                        ; implicit-def: $sgpr18
	s_and_saveexec_b64 s[16:17], s[12:13]
	s_xor_b64 s[12:13], exec, s[16:17]
	s_cbranch_execnz .LBB259_513
; %bb.382:                              ;   in Loop: Header=BB259_304 Depth=1
	s_or_saveexec_b64 s[12:13], s[12:13]
	v_mov_b32_e32 v19, s18
	s_xor_b64 exec, exec, s[12:13]
	s_cbranch_execnz .LBB259_516
.LBB259_383:                            ;   in Loop: Header=BB259_304 Depth=1
	s_or_b64 exec, exec, s[12:13]
	s_and_saveexec_b64 s[12:13], s[0:1]
	s_cbranch_execz .LBB259_385
.LBB259_384:                            ;   in Loop: Header=BB259_304 Depth=1
	v_bfe_u32 v19, v16, 16, 3
	v_ffbh_u32_e32 v46, v19
	v_min_u32_e32 v48, 32, v46
	v_subrev_u32_e32 v46, 28, v48
	v_bfe_u32 v21, v16, 19, 4
	v_lshlrev_b64 v[46:47], v46, v[6:7]
	v_sub_u32_e32 v47, 29, v48
	v_cmp_eq_u32_e64 s[0:1], 0, v21
	v_and_b32_e32 v46, 7, v46
	v_lshlrev_b32_e32 v6, 8, v6
	v_cndmask_b32_e64 v21, v21, v47, s[0:1]
	v_lshl_add_u32 v21, v21, 10, v29
	v_cndmask_b32_e64 v19, v19, v46, s[0:1]
	v_and_or_b32 v6, v6, s30, v21
	v_lshl_or_b32 v6, v19, 7, v6
	v_cvt_f32_f16_e32 v19, v6
.LBB259_385:                            ;   in Loop: Header=BB259_304 Depth=1
	s_or_b64 exec, exec, s[12:13]
	v_lshrrev_b32_e32 v6, 24, v16
	v_cmp_lt_i16_e64 s[0:1], s28, v6
	s_mov_b64 s[12:13], 0
                                        ; implicit-def: $sgpr41
	s_and_saveexec_b64 s[16:17], s[0:1]
	s_xor_b64 s[16:17], exec, s[16:17]
	s_cbranch_execnz .LBB259_517
; %bb.386:                              ;   in Loop: Header=BB259_304 Depth=1
	s_or_saveexec_b64 s[16:17], s[16:17]
	v_mov_b32_e32 v21, s41
	s_xor_b64 exec, exec, s[16:17]
	s_cbranch_execnz .LBB259_520
.LBB259_387:                            ;   in Loop: Header=BB259_304 Depth=1
	s_or_b64 exec, exec, s[16:17]
	s_and_saveexec_b64 s[16:17], s[12:13]
	s_cbranch_execz .LBB259_389
.LBB259_388:                            ;   in Loop: Header=BB259_304 Depth=1
	v_bfe_u32 v21, v16, 24, 3
	v_ffbh_u32_e32 v46, v21
	v_min_u32_e32 v48, 32, v46
	v_subrev_u32_e32 v46, 28, v48
	v_bfe_u32 v16, v16, 27, 4
	v_lshlrev_b64 v[46:47], v46, v[6:7]
	v_sub_u32_e32 v47, 29, v48
	v_cmp_eq_u32_e64 s[0:1], 0, v16
	v_and_b32_e32 v46, 7, v46
	v_lshlrev_b32_e32 v6, 8, v6
	v_cndmask_b32_e64 v16, v16, v47, s[0:1]
	v_lshl_add_u32 v16, v16, 10, v29
	v_cndmask_b32_e64 v21, v21, v46, s[0:1]
	v_and_or_b32 v6, v6, s30, v16
	v_lshl_or_b32 v6, v21, 7, v6
	v_cvt_f32_f16_e32 v21, v6
.LBB259_389:                            ;   in Loop: Header=BB259_304 Depth=1
	s_or_b64 exec, exec, s[16:17]
	v_cmp_gt_i16_sdwa s[12:13], v17, s28 src0_sel:BYTE_0 src1_sel:DWORD
	s_mov_b64 s[0:1], 0
                                        ; implicit-def: $sgpr18
	s_and_saveexec_b64 s[16:17], s[12:13]
	s_xor_b64 s[12:13], exec, s[16:17]
	s_cbranch_execnz .LBB259_521
; %bb.390:                              ;   in Loop: Header=BB259_304 Depth=1
	s_or_saveexec_b64 s[12:13], s[12:13]
	v_mov_b32_e32 v16, s18
	s_xor_b64 exec, exec, s[12:13]
	s_cbranch_execnz .LBB259_524
.LBB259_391:                            ;   in Loop: Header=BB259_304 Depth=1
	s_or_b64 exec, exec, s[12:13]
	v_mov_b32_e32 v6, v17
	s_and_saveexec_b64 s[12:13], s[0:1]
	s_cbranch_execz .LBB259_393
.LBB259_392:                            ;   in Loop: Header=BB259_304 Depth=1
	v_and_b32_e32 v16, 7, v17
	v_ffbh_u32_e32 v16, v16
	v_bfe_u32 v46, v17, 3, 4
	v_min_u32_e32 v16, 32, v16
	v_subrev_u32_e32 v47, 28, v16
	v_sub_u32_e32 v16, 29, v16
	v_cmp_eq_u32_e64 s[0:1], 0, v46
	s_nop 1
	v_cndmask_b32_e64 v16, v46, v16, s[0:1]
	v_cndmask_b32_e64 v46, 0, v47, s[0:1]
	v_lshlrev_b64 v[46:47], v46, v[6:7]
	v_lshlrev_b32_e32 v47, 8, v17
	v_lshl_add_u32 v16, v16, 10, v29
	v_lshlrev_b32_e32 v46, 7, v46
	v_and_or_b32 v16, v47, s30, v16
	v_and_or_b32 v16, v46, s31, v16
	v_cvt_f32_f16_e32 v16, v16
.LBB259_393:                            ;   in Loop: Header=BB259_304 Depth=1
	s_or_b64 exec, exec, s[12:13]
	v_lshrrev_b16_e32 v6, 8, v6
	v_cmp_lt_i16_e64 s[0:1], s28, v6
	s_mov_b64 s[12:13], 0
                                        ; implicit-def: $sgpr41
	s_and_saveexec_b64 s[16:17], s[0:1]
	s_xor_b64 s[16:17], exec, s[16:17]
	s_cbranch_execnz .LBB259_525
; %bb.394:                              ;   in Loop: Header=BB259_304 Depth=1
	s_or_saveexec_b64 s[16:17], s[16:17]
	v_mov_b32_e32 v46, s41
	s_xor_b64 exec, exec, s[16:17]
	s_cbranch_execnz .LBB259_528
.LBB259_395:                            ;   in Loop: Header=BB259_304 Depth=1
	s_or_b64 exec, exec, s[16:17]
	s_and_saveexec_b64 s[16:17], s[12:13]
	s_cbranch_execz .LBB259_397
.LBB259_396:                            ;   in Loop: Header=BB259_304 Depth=1
	v_and_b32_e32 v48, 7, v6
	v_ffbh_u32_e32 v46, v48
	v_min_u32_e32 v50, 32, v46
	v_subrev_u32_e32 v46, 28, v50
	v_bfe_u32 v49, v6, 3, 4
	v_lshlrev_b64 v[46:47], v46, v[6:7]
	v_sub_u32_e32 v47, 29, v50
	v_cmp_eq_u32_e64 s[0:1], 0, v49
	v_and_b32_e32 v46, 7, v46
	v_lshlrev_b32_e32 v6, 8, v6
	v_cndmask_b32_e64 v47, v49, v47, s[0:1]
	v_lshl_add_u32 v47, v47, 10, v29
	v_cndmask_b32_e64 v46, v48, v46, s[0:1]
	v_and_or_b32 v6, v6, s30, v47
	v_lshl_or_b32 v6, v46, 7, v6
	v_cvt_f32_f16_e32 v46, v6
.LBB259_397:                            ;   in Loop: Header=BB259_304 Depth=1
	s_or_b64 exec, exec, s[16:17]
	v_lshrrev_b32_e32 v6, 16, v17
	v_cmp_gt_i16_sdwa s[12:13], v6, s28 src0_sel:BYTE_0 src1_sel:DWORD
	s_mov_b64 s[0:1], 0
                                        ; implicit-def: $sgpr18
	s_and_saveexec_b64 s[16:17], s[12:13]
	s_xor_b64 s[12:13], exec, s[16:17]
	s_cbranch_execnz .LBB259_529
; %bb.398:                              ;   in Loop: Header=BB259_304 Depth=1
	s_or_saveexec_b64 s[12:13], s[12:13]
	v_mov_b32_e32 v47, s18
	s_xor_b64 exec, exec, s[12:13]
	s_cbranch_execnz .LBB259_532
.LBB259_399:                            ;   in Loop: Header=BB259_304 Depth=1
	s_or_b64 exec, exec, s[12:13]
	s_and_saveexec_b64 s[12:13], s[0:1]
	s_cbranch_execz .LBB259_401
.LBB259_400:                            ;   in Loop: Header=BB259_304 Depth=1
	v_bfe_u32 v47, v17, 16, 3
	v_ffbh_u32_e32 v48, v47
	v_min_u32_e32 v51, 32, v48
	v_subrev_u32_e32 v48, 28, v51
	v_bfe_u32 v50, v17, 19, 4
	v_lshlrev_b64 v[48:49], v48, v[6:7]
	v_sub_u32_e32 v49, 29, v51
	v_cmp_eq_u32_e64 s[0:1], 0, v50
	v_and_b32_e32 v48, 7, v48
	v_lshlrev_b32_e32 v6, 8, v6
	v_cndmask_b32_e64 v49, v50, v49, s[0:1]
	v_cndmask_b32_e64 v47, v47, v48, s[0:1]
	v_lshl_add_u32 v48, v49, 10, v29
	v_and_or_b32 v6, v6, s30, v48
	v_lshl_or_b32 v6, v47, 7, v6
	v_cvt_f32_f16_e32 v47, v6
.LBB259_401:                            ;   in Loop: Header=BB259_304 Depth=1
	s_or_b64 exec, exec, s[12:13]
	v_lshrrev_b32_e32 v6, 24, v17
	v_cmp_lt_i16_e64 s[0:1], s28, v6
	s_mov_b64 s[12:13], 0
                                        ; implicit-def: $sgpr41
	s_and_saveexec_b64 s[16:17], s[0:1]
	s_xor_b64 s[16:17], exec, s[16:17]
	s_cbranch_execnz .LBB259_533
; %bb.402:                              ;   in Loop: Header=BB259_304 Depth=1
	s_or_saveexec_b64 s[16:17], s[16:17]
	v_mov_b32_e32 v48, s41
	s_xor_b64 exec, exec, s[16:17]
	s_cbranch_execnz .LBB259_536
.LBB259_403:                            ;   in Loop: Header=BB259_304 Depth=1
	s_or_b64 exec, exec, s[16:17]
	s_and_saveexec_b64 s[16:17], s[12:13]
	s_cbranch_execz .LBB259_405
.LBB259_404:                            ;   in Loop: Header=BB259_304 Depth=1
	v_bfe_u32 v50, v17, 24, 3
	v_ffbh_u32_e32 v48, v50
	v_min_u32_e32 v51, 32, v48
	v_subrev_u32_e32 v48, 28, v51
	v_bfe_u32 v17, v17, 27, 4
	v_lshlrev_b64 v[48:49], v48, v[6:7]
	v_sub_u32_e32 v49, 29, v51
	v_cmp_eq_u32_e64 s[0:1], 0, v17
	v_and_b32_e32 v48, 7, v48
	v_lshlrev_b32_e32 v6, 8, v6
	v_cndmask_b32_e64 v17, v17, v49, s[0:1]
	v_lshl_add_u32 v17, v17, 10, v29
	v_cndmask_b32_e64 v48, v50, v48, s[0:1]
	v_and_or_b32 v6, v6, s30, v17
	v_lshl_or_b32 v6, v48, 7, v6
	v_cvt_f32_f16_e32 v48, v6
.LBB259_405:                            ;   in Loop: Header=BB259_304 Depth=1
	s_or_b64 exec, exec, s[16:17]
	s_waitcnt vmcnt(0)
	v_pk_mul_f32 v[20:21], v[14:15], v[20:21] op_sel_hi:[0,1]
	v_pk_mul_f32 v[18:19], v[14:15], v[18:19] op_sel_hi:[0,1]
	v_cvt_f16_f32_e32 v6, v21
	v_cvt_f16_f32_e32 v17, v20
	;; [unrolled: 1-line block ×4, first 2 shown]
	v_fma_mixlo_f16 v16, v14, v16, 0
	v_pack_b32_f16 v17, v17, v6
	v_pack_b32_f16 v18, v18, v19
	v_perm_b32 v6, v18, v17, s38
	v_perm_b32 v17, v18, v17, s39
	v_fma_mixlo_f16 v18, v14, v46, 0
	v_lshlrev_b32_e32 v18, 16, v18
	v_or_b32_sdwa v16, v18, v16 dst_sel:DWORD dst_unused:UNUSED_PAD src0_sel:DWORD src1_sel:WORD_0
	v_fma_mixlo_f16 v18, v14, v47, 0
	v_fma_mixlo_f16 v14, v14, v48, 0
	v_lshlrev_b32_e32 v14, 16, v14
	v_or_b32_sdwa v14, v14, v18 dst_sel:DWORD dst_unused:UNUSED_PAD src0_sel:DWORD src1_sel:WORD_0
	s_and_saveexec_b64 s[12:13], vcc
	s_cbranch_execz .LBB259_407
; %bb.406:                              ;   in Loop: Header=BB259_304 Depth=1
	v_lshrrev_b32_e32 v19, 16, v17
	v_cmp_gt_i32_e64 s[0:1], s35, v37
	v_lshrrev_b32_e32 v14, 16, v14
	s_nop 0
	v_cndmask_b32_e64 v19, 0, v19, s[0:1]
	v_cmp_gt_i32_e64 s[0:1], s33, v32
	s_nop 1
	v_cndmask_b32_e64 v17, 0, v17, s[0:1]
	v_perm_b32 v17, v19, v17, s40
	v_lshrrev_b32_e32 v19, 16, v6
	v_cmp_gt_i32_e64 s[0:1], s35, v36
	s_nop 1
	v_cndmask_b32_e64 v19, 0, v19, s[0:1]
	v_cmp_gt_i32_e64 s[0:1], s33, v35
	s_nop 1
	v_cndmask_b32_e64 v6, 0, v6, s[0:1]
	v_perm_b32 v6, v19, v6, s40
	v_lshrrev_b32_e32 v19, 16, v16
	v_cmp_gt_i32_e64 s[0:1], s35, v34
	s_nop 1
	v_cndmask_b32_e64 v19, 0, v19, s[0:1]
	v_cmp_gt_i32_e64 s[0:1], s33, v33
	s_nop 1
	v_cndmask_b32_e64 v16, 0, v16, s[0:1]
	v_cmp_gt_i32_e64 s[0:1], s35, v31
	v_perm_b32 v16, v19, v16, s40
	s_nop 0
	v_cndmask_b32_e64 v14, 0, v14, s[0:1]
	v_cmp_gt_i32_e64 s[0:1], s33, v30
	s_nop 1
	v_cndmask_b32_e64 v18, 0, v18, s[0:1]
	v_perm_b32 v14, v14, v18, s40
.LBB259_407:                            ;   in Loop: Header=BB259_304 Depth=1
	s_or_b64 exec, exec, s[12:13]
	;;#ASMSTART
	v_pk_mul_f16 v17, v41, v17;

	;;#ASMEND
	;;#ASMSTART
	v_pk_mul_f16 v6, v40, v6;

	;;#ASMEND
	;; [unrolled: 4-line block ×4, first 2 shown]
	s_mov_b64 s[0:1], 0
	;;#ASMSTART
	v_pk_add_f16 v6, v17, v6;

	;;#ASMEND
                                        ; implicit-def: $sgpr18
	s_nop 0
	;;#ASMSTART
	v_pk_add_f16 v6, v6, v16;

	;;#ASMEND
	s_nop 0
	;;#ASMSTART
	v_pk_add_f16 v6, v6, v14;

	;;#ASMEND
	s_nop 0
	v_lshrrev_b32_e32 v14, 16, v6
	v_and_b32_e32 v6, 0xffff, v6
	;;#ASMSTART
	v_cvt_f32_f16 v20, v6;
	;;#ASMEND
	;;#ASMSTART
	v_cvt_f32_f16 v21, v14;
	;;#ASMEND
	global_load_dwordx2 v[16:17], v[12:13], off offset:1536
	global_load_dword v14, v7, s[14:15]
	s_waitcnt vmcnt(1)
	v_cmp_gt_i16_sdwa s[12:13], v16, s28 src0_sel:BYTE_0 src1_sel:DWORD
	s_and_saveexec_b64 s[16:17], s[12:13]
	s_xor_b64 s[12:13], exec, s[16:17]
	s_cbranch_execnz .LBB259_537
; %bb.408:                              ;   in Loop: Header=BB259_304 Depth=1
	s_or_saveexec_b64 s[12:13], s[12:13]
	v_mov_b32_e32 v12, s18
	s_xor_b64 exec, exec, s[12:13]
	s_cbranch_execnz .LBB259_540
.LBB259_409:                            ;   in Loop: Header=BB259_304 Depth=1
	s_or_b64 exec, exec, s[12:13]
	s_and_saveexec_b64 s[12:13], s[0:1]
	s_cbranch_execz .LBB259_411
.LBB259_410:                            ;   in Loop: Header=BB259_304 Depth=1
	v_and_b32_e32 v6, 7, v16
	v_ffbh_u32_e32 v6, v6
	v_bfe_u32 v12, v16, 3, 4
	v_min_u32_e32 v6, 32, v6
	v_subrev_u32_e32 v13, 28, v6
	v_sub_u32_e32 v6, 29, v6
	v_cmp_eq_u32_e64 s[0:1], 0, v12
	s_nop 1
	v_cndmask_b32_e64 v6, v12, v6, s[0:1]
	v_cndmask_b32_e64 v12, 0, v13, s[0:1]
	v_lshlrev_b64 v[12:13], v12, v[16:17]
	v_lshlrev_b32_e32 v13, 8, v16
	v_lshl_add_u32 v6, v6, 10, v29
	v_lshlrev_b32_e32 v12, 7, v12
	v_and_or_b32 v6, v13, s30, v6
	v_and_or_b32 v6, v12, s31, v6
	v_cvt_f32_f16_e32 v12, v6
.LBB259_411:                            ;   in Loop: Header=BB259_304 Depth=1
	s_or_b64 exec, exec, s[12:13]
	v_lshrrev_b16_e32 v6, 8, v16
	v_cmp_lt_i16_e64 s[0:1], s28, v6
	s_mov_b64 s[12:13], 0
                                        ; implicit-def: $sgpr41
	s_and_saveexec_b64 s[16:17], s[0:1]
	s_xor_b64 s[16:17], exec, s[16:17]
	s_cbranch_execnz .LBB259_541
; %bb.412:                              ;   in Loop: Header=BB259_304 Depth=1
	s_or_saveexec_b64 s[16:17], s[16:17]
	v_mov_b32_e32 v18, s41
	s_xor_b64 exec, exec, s[16:17]
	s_cbranch_execnz .LBB259_544
.LBB259_413:                            ;   in Loop: Header=BB259_304 Depth=1
	s_or_b64 exec, exec, s[16:17]
	s_and_saveexec_b64 s[16:17], s[12:13]
	s_cbranch_execz .LBB259_415
.LBB259_414:                            ;   in Loop: Header=BB259_304 Depth=1
	v_and_b32_e32 v13, 7, v6
	v_ffbh_u32_e32 v18, v13
	v_min_u32_e32 v47, 32, v18
	v_subrev_u32_e32 v18, 28, v47
	v_bfe_u32 v46, v6, 3, 4
	v_lshlrev_b64 v[18:19], v18, v[6:7]
	v_sub_u32_e32 v19, 29, v47
	v_cmp_eq_u32_e64 s[0:1], 0, v46
	v_and_b32_e32 v18, 7, v18
	v_lshlrev_b32_e32 v6, 8, v6
	v_cndmask_b32_e64 v19, v46, v19, s[0:1]
	v_cndmask_b32_e64 v13, v13, v18, s[0:1]
	v_lshl_add_u32 v18, v19, 10, v29
	v_and_or_b32 v6, v6, s30, v18
	v_lshl_or_b32 v6, v13, 7, v6
	v_cvt_f32_f16_e32 v18, v6
.LBB259_415:                            ;   in Loop: Header=BB259_304 Depth=1
	s_or_b64 exec, exec, s[16:17]
	v_lshrrev_b32_e32 v6, 16, v16
	v_cmp_gt_i16_sdwa s[12:13], v6, s28 src0_sel:BYTE_0 src1_sel:DWORD
	s_mov_b64 s[0:1], 0
                                        ; implicit-def: $sgpr18
	s_and_saveexec_b64 s[16:17], s[12:13]
	s_xor_b64 s[12:13], exec, s[16:17]
	s_cbranch_execnz .LBB259_545
; %bb.416:                              ;   in Loop: Header=BB259_304 Depth=1
	s_or_saveexec_b64 s[12:13], s[12:13]
	v_mov_b32_e32 v13, s18
	s_xor_b64 exec, exec, s[12:13]
	s_cbranch_execnz .LBB259_548
.LBB259_417:                            ;   in Loop: Header=BB259_304 Depth=1
	s_or_b64 exec, exec, s[12:13]
	s_and_saveexec_b64 s[12:13], s[0:1]
	s_cbranch_execz .LBB259_419
.LBB259_418:                            ;   in Loop: Header=BB259_304 Depth=1
	v_bfe_u32 v13, v16, 16, 3
	v_ffbh_u32_e32 v46, v13
	v_min_u32_e32 v48, 32, v46
	v_subrev_u32_e32 v46, 28, v48
	v_bfe_u32 v19, v16, 19, 4
	v_lshlrev_b64 v[46:47], v46, v[6:7]
	v_sub_u32_e32 v47, 29, v48
	v_cmp_eq_u32_e64 s[0:1], 0, v19
	v_and_b32_e32 v46, 7, v46
	v_lshlrev_b32_e32 v6, 8, v6
	v_cndmask_b32_e64 v19, v19, v47, s[0:1]
	v_lshl_add_u32 v19, v19, 10, v29
	v_cndmask_b32_e64 v13, v13, v46, s[0:1]
	v_and_or_b32 v6, v6, s30, v19
	v_lshl_or_b32 v6, v13, 7, v6
	v_cvt_f32_f16_e32 v13, v6
.LBB259_419:                            ;   in Loop: Header=BB259_304 Depth=1
	s_or_b64 exec, exec, s[12:13]
	v_lshrrev_b32_e32 v6, 24, v16
	v_cmp_lt_i16_e64 s[0:1], s28, v6
	s_mov_b64 s[12:13], 0
                                        ; implicit-def: $sgpr41
	s_and_saveexec_b64 s[16:17], s[0:1]
	s_xor_b64 s[16:17], exec, s[16:17]
	s_cbranch_execnz .LBB259_549
; %bb.420:                              ;   in Loop: Header=BB259_304 Depth=1
	s_or_saveexec_b64 s[16:17], s[16:17]
	v_mov_b32_e32 v19, s41
	s_xor_b64 exec, exec, s[16:17]
	s_cbranch_execnz .LBB259_552
.LBB259_421:                            ;   in Loop: Header=BB259_304 Depth=1
	s_or_b64 exec, exec, s[16:17]
	s_and_saveexec_b64 s[16:17], s[12:13]
	s_cbranch_execz .LBB259_423
.LBB259_422:                            ;   in Loop: Header=BB259_304 Depth=1
	v_bfe_u32 v19, v16, 24, 3
	v_ffbh_u32_e32 v46, v19
	v_min_u32_e32 v48, 32, v46
	v_subrev_u32_e32 v46, 28, v48
	v_bfe_u32 v16, v16, 27, 4
	v_lshlrev_b64 v[46:47], v46, v[6:7]
	v_sub_u32_e32 v47, 29, v48
	v_cmp_eq_u32_e64 s[0:1], 0, v16
	v_and_b32_e32 v46, 7, v46
	v_lshlrev_b32_e32 v6, 8, v6
	v_cndmask_b32_e64 v16, v16, v47, s[0:1]
	v_lshl_add_u32 v16, v16, 10, v29
	v_cndmask_b32_e64 v19, v19, v46, s[0:1]
	v_and_or_b32 v6, v6, s30, v16
	v_lshl_or_b32 v6, v19, 7, v6
	v_cvt_f32_f16_e32 v19, v6
.LBB259_423:                            ;   in Loop: Header=BB259_304 Depth=1
	s_or_b64 exec, exec, s[16:17]
	v_cmp_gt_i16_sdwa s[12:13], v17, s28 src0_sel:BYTE_0 src1_sel:DWORD
	s_mov_b64 s[0:1], 0
                                        ; implicit-def: $sgpr18
	s_and_saveexec_b64 s[16:17], s[12:13]
	s_xor_b64 s[12:13], exec, s[16:17]
	s_cbranch_execnz .LBB259_553
; %bb.424:                              ;   in Loop: Header=BB259_304 Depth=1
	s_or_saveexec_b64 s[12:13], s[12:13]
	v_mov_b32_e32 v16, s18
	s_xor_b64 exec, exec, s[12:13]
	s_cbranch_execnz .LBB259_556
.LBB259_425:                            ;   in Loop: Header=BB259_304 Depth=1
	s_or_b64 exec, exec, s[12:13]
	v_mov_b32_e32 v6, v17
	s_and_saveexec_b64 s[12:13], s[0:1]
	s_cbranch_execz .LBB259_427
.LBB259_426:                            ;   in Loop: Header=BB259_304 Depth=1
	v_and_b32_e32 v16, 7, v17
	v_ffbh_u32_e32 v16, v16
	v_bfe_u32 v46, v17, 3, 4
	v_min_u32_e32 v16, 32, v16
	v_subrev_u32_e32 v47, 28, v16
	v_sub_u32_e32 v16, 29, v16
	v_cmp_eq_u32_e64 s[0:1], 0, v46
	s_nop 1
	v_cndmask_b32_e64 v16, v46, v16, s[0:1]
	v_cndmask_b32_e64 v46, 0, v47, s[0:1]
	v_lshlrev_b64 v[46:47], v46, v[6:7]
	v_lshlrev_b32_e32 v47, 8, v17
	v_lshl_add_u32 v16, v16, 10, v29
	v_lshlrev_b32_e32 v46, 7, v46
	v_and_or_b32 v16, v47, s30, v16
	v_and_or_b32 v16, v46, s31, v16
	v_cvt_f32_f16_e32 v16, v16
.LBB259_427:                            ;   in Loop: Header=BB259_304 Depth=1
	s_or_b64 exec, exec, s[12:13]
	v_lshrrev_b16_e32 v6, 8, v6
	v_cmp_lt_i16_e64 s[0:1], s28, v6
	s_mov_b64 s[12:13], 0
                                        ; implicit-def: $sgpr41
	s_and_saveexec_b64 s[16:17], s[0:1]
	s_xor_b64 s[16:17], exec, s[16:17]
	s_cbranch_execnz .LBB259_557
; %bb.428:                              ;   in Loop: Header=BB259_304 Depth=1
	s_or_saveexec_b64 s[16:17], s[16:17]
	v_mov_b32_e32 v46, s41
	s_xor_b64 exec, exec, s[16:17]
	s_cbranch_execnz .LBB259_560
.LBB259_429:                            ;   in Loop: Header=BB259_304 Depth=1
	s_or_b64 exec, exec, s[16:17]
	s_and_saveexec_b64 s[16:17], s[12:13]
	s_cbranch_execz .LBB259_431
.LBB259_430:                            ;   in Loop: Header=BB259_304 Depth=1
	v_and_b32_e32 v48, 7, v6
	v_ffbh_u32_e32 v46, v48
	v_min_u32_e32 v50, 32, v46
	v_subrev_u32_e32 v46, 28, v50
	v_bfe_u32 v49, v6, 3, 4
	v_lshlrev_b64 v[46:47], v46, v[6:7]
	v_sub_u32_e32 v47, 29, v50
	v_cmp_eq_u32_e64 s[0:1], 0, v49
	v_and_b32_e32 v46, 7, v46
	v_lshlrev_b32_e32 v6, 8, v6
	v_cndmask_b32_e64 v47, v49, v47, s[0:1]
	v_lshl_add_u32 v47, v47, 10, v29
	v_cndmask_b32_e64 v46, v48, v46, s[0:1]
	v_and_or_b32 v6, v6, s30, v47
	v_lshl_or_b32 v6, v46, 7, v6
	v_cvt_f32_f16_e32 v46, v6
.LBB259_431:                            ;   in Loop: Header=BB259_304 Depth=1
	s_or_b64 exec, exec, s[16:17]
	v_lshrrev_b32_e32 v6, 16, v17
	v_cmp_gt_i16_sdwa s[12:13], v6, s28 src0_sel:BYTE_0 src1_sel:DWORD
	s_mov_b64 s[0:1], 0
                                        ; implicit-def: $sgpr18
	s_and_saveexec_b64 s[16:17], s[12:13]
	s_xor_b64 s[12:13], exec, s[16:17]
	s_cbranch_execnz .LBB259_561
; %bb.432:                              ;   in Loop: Header=BB259_304 Depth=1
	s_or_saveexec_b64 s[12:13], s[12:13]
	v_mov_b32_e32 v47, s18
	s_xor_b64 exec, exec, s[12:13]
	s_cbranch_execnz .LBB259_564
.LBB259_433:                            ;   in Loop: Header=BB259_304 Depth=1
	s_or_b64 exec, exec, s[12:13]
	s_and_saveexec_b64 s[12:13], s[0:1]
	s_cbranch_execz .LBB259_435
.LBB259_434:                            ;   in Loop: Header=BB259_304 Depth=1
	v_bfe_u32 v47, v17, 16, 3
	v_ffbh_u32_e32 v48, v47
	v_min_u32_e32 v51, 32, v48
	v_subrev_u32_e32 v48, 28, v51
	v_bfe_u32 v50, v17, 19, 4
	v_lshlrev_b64 v[48:49], v48, v[6:7]
	v_sub_u32_e32 v49, 29, v51
	v_cmp_eq_u32_e64 s[0:1], 0, v50
	v_and_b32_e32 v48, 7, v48
	v_lshlrev_b32_e32 v6, 8, v6
	v_cndmask_b32_e64 v49, v50, v49, s[0:1]
	v_cndmask_b32_e64 v47, v47, v48, s[0:1]
	v_lshl_add_u32 v48, v49, 10, v29
	v_and_or_b32 v6, v6, s30, v48
	v_lshl_or_b32 v6, v47, 7, v6
	v_cvt_f32_f16_e32 v47, v6
.LBB259_435:                            ;   in Loop: Header=BB259_304 Depth=1
	s_or_b64 exec, exec, s[12:13]
	v_lshrrev_b32_e32 v6, 24, v17
	v_cmp_lt_i16_e64 s[0:1], s28, v6
	s_mov_b64 s[12:13], 0
                                        ; implicit-def: $sgpr41
	s_and_saveexec_b64 s[16:17], s[0:1]
	s_xor_b64 s[16:17], exec, s[16:17]
	s_cbranch_execnz .LBB259_565
; %bb.436:                              ;   in Loop: Header=BB259_304 Depth=1
	s_or_saveexec_b64 s[16:17], s[16:17]
	v_mov_b32_e32 v48, s41
	s_xor_b64 exec, exec, s[16:17]
	s_cbranch_execnz .LBB259_568
.LBB259_437:                            ;   in Loop: Header=BB259_304 Depth=1
	s_or_b64 exec, exec, s[16:17]
	s_and_saveexec_b64 s[16:17], s[12:13]
	s_cbranch_execz .LBB259_439
.LBB259_438:                            ;   in Loop: Header=BB259_304 Depth=1
	v_bfe_u32 v50, v17, 24, 3
	v_ffbh_u32_e32 v48, v50
	v_min_u32_e32 v51, 32, v48
	v_subrev_u32_e32 v48, 28, v51
	v_bfe_u32 v17, v17, 27, 4
	v_lshlrev_b64 v[48:49], v48, v[6:7]
	v_sub_u32_e32 v49, 29, v51
	v_cmp_eq_u32_e64 s[0:1], 0, v17
	v_and_b32_e32 v48, 7, v48
	v_lshlrev_b32_e32 v6, 8, v6
	v_cndmask_b32_e64 v17, v17, v49, s[0:1]
	v_lshl_add_u32 v17, v17, 10, v29
	v_cndmask_b32_e64 v48, v50, v48, s[0:1]
	v_and_or_b32 v6, v6, s30, v17
	v_lshl_or_b32 v6, v48, 7, v6
	v_cvt_f32_f16_e32 v48, v6
.LBB259_439:                            ;   in Loop: Header=BB259_304 Depth=1
	s_or_b64 exec, exec, s[16:17]
	s_waitcnt vmcnt(0)
	v_pk_mul_f32 v[18:19], v[14:15], v[18:19] op_sel_hi:[0,1]
	v_pk_mul_f32 v[12:13], v[14:15], v[12:13] op_sel_hi:[0,1]
	v_cvt_f16_f32_e32 v6, v19
	v_cvt_f16_f32_e32 v17, v18
	v_cvt_f16_f32_e32 v13, v13
	v_cvt_f16_f32_e32 v12, v12
	v_fma_mixlo_f16 v16, v14, v16, 0
	v_pack_b32_f16 v17, v17, v6
	v_pack_b32_f16 v12, v12, v13
	v_perm_b32 v6, v12, v17, s38
	v_perm_b32 v13, v12, v17, s39
	v_fma_mixlo_f16 v12, v14, v46, 0
	v_lshlrev_b32_e32 v12, 16, v12
	v_or_b32_sdwa v12, v12, v16 dst_sel:DWORD dst_unused:UNUSED_PAD src0_sel:DWORD src1_sel:WORD_0
	v_fma_mixlo_f16 v16, v14, v47, 0
	v_fma_mixlo_f16 v14, v14, v48, 0
	v_lshlrev_b32_e32 v14, 16, v14
	v_or_b32_sdwa v14, v14, v16 dst_sel:DWORD dst_unused:UNUSED_PAD src0_sel:DWORD src1_sel:WORD_0
	s_and_saveexec_b64 s[0:1], vcc
	s_cbranch_execz .LBB259_302
; %bb.440:                              ;   in Loop: Header=BB259_304 Depth=1
	v_lshrrev_b32_e32 v17, 16, v13
	v_cmp_gt_i32_e32 vcc, s35, v37
	v_lshrrev_b32_e32 v14, 16, v14
	s_nop 0
	v_cndmask_b32_e32 v17, 0, v17, vcc
	v_cmp_gt_i32_e32 vcc, s33, v32
	s_nop 1
	v_cndmask_b32_e32 v13, 0, v13, vcc
	v_perm_b32 v13, v17, v13, s40
	v_lshrrev_b32_e32 v17, 16, v6
	v_cmp_gt_i32_e32 vcc, s35, v36
	s_nop 1
	v_cndmask_b32_e32 v17, 0, v17, vcc
	v_cmp_gt_i32_e32 vcc, s33, v35
	s_nop 1
	v_cndmask_b32_e32 v6, 0, v6, vcc
	v_perm_b32 v6, v17, v6, s40
	v_lshrrev_b32_e32 v17, 16, v12
	v_cmp_gt_i32_e32 vcc, s35, v34
	s_nop 1
	v_cndmask_b32_e32 v17, 0, v17, vcc
	v_cmp_gt_i32_e32 vcc, s33, v33
	s_nop 1
	v_cndmask_b32_e32 v12, 0, v12, vcc
	v_cmp_gt_i32_e32 vcc, s35, v31
	v_perm_b32 v12, v17, v12, s40
	s_nop 0
	v_cndmask_b32_e32 v14, 0, v14, vcc
	v_cmp_gt_i32_e32 vcc, s33, v30
	s_nop 1
	v_cndmask_b32_e32 v16, 0, v16, vcc
	v_perm_b32 v14, v14, v16, s40
	s_branch .LBB259_302
.LBB259_441:                            ;   in Loop: Header=BB259_304 Depth=1
	v_cmp_eq_u16_sdwa s[42:43], v16, s29 src0_sel:BYTE_0 src1_sel:DWORD
	s_mov_b64 s[0:1], -1
                                        ; implicit-def: $sgpr18
	s_and_saveexec_b64 s[16:17], s[42:43]
; %bb.442:                              ;   in Loop: Header=BB259_304 Depth=1
	s_mov_b32 s18, 0x7fc02000
	s_xor_b64 s[0:1], exec, -1
; %bb.443:                              ;   in Loop: Header=BB259_304 Depth=1
	s_or_b64 exec, exec, s[16:17]
	s_and_b64 s[0:1], s[0:1], exec
	s_or_saveexec_b64 s[12:13], s[12:13]
	v_mov_b32_e32 v18, s18
	s_xor_b64 exec, exec, s[12:13]
	s_cbranch_execz .LBB259_307
.LBB259_444:                            ;   in Loop: Header=BB259_304 Depth=1
	v_cmp_ne_u16_sdwa s[16:17], v16, v7 src0_sel:BYTE_0 src1_sel:DWORD
	s_andn2_b64 s[0:1], s[0:1], exec
	s_and_b64 s[16:17], s[16:17], exec
	v_mov_b32_e32 v18, 0
	s_or_b64 s[0:1], s[0:1], s[16:17]
	s_or_b64 exec, exec, s[12:13]
	s_and_saveexec_b64 s[12:13], s[0:1]
	s_cbranch_execnz .LBB259_308
	s_branch .LBB259_309
.LBB259_445:                            ;   in Loop: Header=BB259_304 Depth=1
	v_cmp_eq_u16_e32 vcc, s29, v6
	s_mov_b64 s[0:1], -1
                                        ; implicit-def: $sgpr18
	s_and_saveexec_b64 s[16:17], vcc
; %bb.446:                              ;   in Loop: Header=BB259_304 Depth=1
	s_mov_b32 s18, 0x7fc02000
	s_xor_b64 s[0:1], exec, -1
; %bb.447:                              ;   in Loop: Header=BB259_304 Depth=1
	s_or_b64 exec, exec, s[16:17]
	s_and_b64 s[0:1], s[0:1], exec
	s_or_saveexec_b64 s[12:13], s[12:13]
	v_mov_b32_e32 v20, s18
	s_xor_b64 exec, exec, s[12:13]
	s_cbranch_execz .LBB259_311
.LBB259_448:                            ;   in Loop: Header=BB259_304 Depth=1
	v_cmp_ne_u16_e32 vcc, 0, v6
	s_andn2_b64 s[0:1], s[0:1], exec
	s_and_b64 s[16:17], vcc, exec
	v_mov_b32_e32 v20, 0
	s_or_b64 s[0:1], s[0:1], s[16:17]
	s_or_b64 exec, exec, s[12:13]
	s_and_saveexec_b64 s[12:13], s[0:1]
	s_cbranch_execnz .LBB259_312
	s_branch .LBB259_313
.LBB259_449:                            ;   in Loop: Header=BB259_304 Depth=1
	v_cmp_eq_u16_sdwa s[42:43], v6, s29 src0_sel:BYTE_0 src1_sel:DWORD
	s_mov_b64 s[0:1], -1
                                        ; implicit-def: $sgpr18
	s_and_saveexec_b64 s[16:17], s[42:43]
; %bb.450:                              ;   in Loop: Header=BB259_304 Depth=1
	s_mov_b32 s18, 0x7fc02000
	s_xor_b64 s[0:1], exec, -1
; %bb.451:                              ;   in Loop: Header=BB259_304 Depth=1
	s_or_b64 exec, exec, s[16:17]
	s_and_b64 s[0:1], s[0:1], exec
	s_or_saveexec_b64 s[12:13], s[12:13]
	v_mov_b32_e32 v19, s18
	s_xor_b64 exec, exec, s[12:13]
	s_cbranch_execz .LBB259_315
.LBB259_452:                            ;   in Loop: Header=BB259_304 Depth=1
	v_cmp_ne_u16_sdwa s[16:17], v6, v7 src0_sel:BYTE_0 src1_sel:DWORD
	s_andn2_b64 s[0:1], s[0:1], exec
	s_and_b64 s[16:17], s[16:17], exec
	v_mov_b32_e32 v19, 0
	s_or_b64 s[0:1], s[0:1], s[16:17]
	s_or_b64 exec, exec, s[12:13]
	s_and_saveexec_b64 s[12:13], s[0:1]
	s_cbranch_execnz .LBB259_316
	s_branch .LBB259_317
.LBB259_453:                            ;   in Loop: Header=BB259_304 Depth=1
	v_cmp_eq_u16_e32 vcc, s29, v6
	s_mov_b64 s[0:1], -1
                                        ; implicit-def: $sgpr18
	s_and_saveexec_b64 s[16:17], vcc
; %bb.454:                              ;   in Loop: Header=BB259_304 Depth=1
	s_mov_b32 s18, 0x7fc02000
	s_xor_b64 s[0:1], exec, -1
; %bb.455:                              ;   in Loop: Header=BB259_304 Depth=1
	s_or_b64 exec, exec, s[16:17]
	s_and_b64 s[0:1], s[0:1], exec
	s_or_saveexec_b64 s[12:13], s[12:13]
	v_mov_b32_e32 v21, s18
	s_xor_b64 exec, exec, s[12:13]
	s_cbranch_execz .LBB259_319
.LBB259_456:                            ;   in Loop: Header=BB259_304 Depth=1
	v_cmp_ne_u16_e32 vcc, 0, v6
	s_andn2_b64 s[0:1], s[0:1], exec
	s_and_b64 s[16:17], vcc, exec
	v_mov_b32_e32 v21, 0
	s_or_b64 s[0:1], s[0:1], s[16:17]
	s_or_b64 exec, exec, s[12:13]
	s_and_saveexec_b64 s[12:13], s[0:1]
	s_cbranch_execnz .LBB259_320
	s_branch .LBB259_321
.LBB259_457:                            ;   in Loop: Header=BB259_304 Depth=1
	v_cmp_eq_u16_sdwa s[42:43], v17, s29 src0_sel:BYTE_0 src1_sel:DWORD
	s_mov_b64 s[0:1], -1
                                        ; implicit-def: $sgpr18
	s_and_saveexec_b64 s[16:17], s[42:43]
; %bb.458:                              ;   in Loop: Header=BB259_304 Depth=1
	s_mov_b32 s18, 0x7fc02000
	s_xor_b64 s[0:1], exec, -1
; %bb.459:                              ;   in Loop: Header=BB259_304 Depth=1
	s_or_b64 exec, exec, s[16:17]
	s_and_b64 s[0:1], s[0:1], exec
	s_or_saveexec_b64 s[12:13], s[12:13]
	v_mov_b32_e32 v16, s18
	s_xor_b64 exec, exec, s[12:13]
	s_cbranch_execz .LBB259_323
.LBB259_460:                            ;   in Loop: Header=BB259_304 Depth=1
	v_cmp_ne_u16_sdwa s[16:17], v17, v7 src0_sel:BYTE_0 src1_sel:DWORD
	s_andn2_b64 s[0:1], s[0:1], exec
	s_and_b64 s[16:17], s[16:17], exec
	v_mov_b32_e32 v16, 0
	s_or_b64 s[0:1], s[0:1], s[16:17]
	s_or_b64 exec, exec, s[12:13]
	v_mov_b32_e32 v6, v17
	s_and_saveexec_b64 s[12:13], s[0:1]
	s_cbranch_execnz .LBB259_324
	s_branch .LBB259_325
.LBB259_461:                            ;   in Loop: Header=BB259_304 Depth=1
	v_cmp_eq_u16_e32 vcc, s29, v6
	s_mov_b64 s[0:1], -1
                                        ; implicit-def: $sgpr18
	s_and_saveexec_b64 s[16:17], vcc
; %bb.462:                              ;   in Loop: Header=BB259_304 Depth=1
	s_mov_b32 s18, 0x7fc02000
	s_xor_b64 s[0:1], exec, -1
; %bb.463:                              ;   in Loop: Header=BB259_304 Depth=1
	s_or_b64 exec, exec, s[16:17]
	s_and_b64 s[0:1], s[0:1], exec
	s_or_saveexec_b64 s[12:13], s[12:13]
	v_mov_b32_e32 v30, s18
	s_xor_b64 exec, exec, s[12:13]
	s_cbranch_execz .LBB259_327
.LBB259_464:                            ;   in Loop: Header=BB259_304 Depth=1
	v_cmp_ne_u16_e32 vcc, 0, v6
	s_andn2_b64 s[0:1], s[0:1], exec
	s_and_b64 s[16:17], vcc, exec
	v_mov_b32_e32 v30, 0
	s_or_b64 s[0:1], s[0:1], s[16:17]
	s_or_b64 exec, exec, s[12:13]
	s_and_saveexec_b64 s[12:13], s[0:1]
	s_cbranch_execnz .LBB259_328
	s_branch .LBB259_329
.LBB259_465:                            ;   in Loop: Header=BB259_304 Depth=1
	v_cmp_eq_u16_sdwa s[42:43], v6, s29 src0_sel:BYTE_0 src1_sel:DWORD
	s_mov_b64 s[0:1], -1
                                        ; implicit-def: $sgpr18
	s_and_saveexec_b64 s[16:17], s[42:43]
; %bb.466:                              ;   in Loop: Header=BB259_304 Depth=1
	s_mov_b32 s18, 0x7fc02000
	s_xor_b64 s[0:1], exec, -1
; %bb.467:                              ;   in Loop: Header=BB259_304 Depth=1
	s_or_b64 exec, exec, s[16:17]
	s_and_b64 s[0:1], s[0:1], exec
	s_or_saveexec_b64 s[12:13], s[12:13]
	v_mov_b32_e32 v31, s18
	s_xor_b64 exec, exec, s[12:13]
	s_cbranch_execz .LBB259_331
.LBB259_468:                            ;   in Loop: Header=BB259_304 Depth=1
	v_cmp_ne_u16_sdwa s[16:17], v6, v7 src0_sel:BYTE_0 src1_sel:DWORD
	s_andn2_b64 s[0:1], s[0:1], exec
	s_and_b64 s[16:17], s[16:17], exec
	v_mov_b32_e32 v31, 0
	s_or_b64 s[0:1], s[0:1], s[16:17]
	s_or_b64 exec, exec, s[12:13]
	s_and_saveexec_b64 s[12:13], s[0:1]
	s_cbranch_execnz .LBB259_332
	s_branch .LBB259_333
.LBB259_469:                            ;   in Loop: Header=BB259_304 Depth=1
	v_cmp_eq_u16_e32 vcc, s29, v6
	s_mov_b64 s[0:1], -1
                                        ; implicit-def: $sgpr18
	s_and_saveexec_b64 s[16:17], vcc
; %bb.470:                              ;   in Loop: Header=BB259_304 Depth=1
	s_mov_b32 s18, 0x7fc02000
	s_xor_b64 s[0:1], exec, -1
; %bb.471:                              ;   in Loop: Header=BB259_304 Depth=1
	s_or_b64 exec, exec, s[16:17]
	s_and_b64 s[0:1], s[0:1], exec
	s_or_saveexec_b64 s[12:13], s[12:13]
	v_mov_b32_e32 v33, s18
	s_xor_b64 exec, exec, s[12:13]
	s_cbranch_execz .LBB259_335
.LBB259_472:                            ;   in Loop: Header=BB259_304 Depth=1
	v_cmp_ne_u16_e32 vcc, 0, v6
	s_andn2_b64 s[0:1], s[0:1], exec
	s_and_b64 s[16:17], vcc, exec
	v_mov_b32_e32 v33, 0
	s_or_b64 s[0:1], s[0:1], s[16:17]
	s_or_b64 exec, exec, s[12:13]
	s_and_saveexec_b64 s[12:13], s[0:1]
	s_cbranch_execnz .LBB259_336
	s_branch .LBB259_337
.LBB259_473:                            ;   in Loop: Header=BB259_304 Depth=1
	v_cmp_eq_u16_sdwa s[42:43], v16, s29 src0_sel:BYTE_0 src1_sel:DWORD
	s_mov_b64 s[0:1], -1
                                        ; implicit-def: $sgpr18
	s_and_saveexec_b64 s[16:17], s[42:43]
; %bb.474:                              ;   in Loop: Header=BB259_304 Depth=1
	s_mov_b32 s18, 0x7fc02000
	s_xor_b64 s[0:1], exec, -1
; %bb.475:                              ;   in Loop: Header=BB259_304 Depth=1
	s_or_b64 exec, exec, s[16:17]
	s_and_b64 s[0:1], s[0:1], exec
	s_or_saveexec_b64 s[12:13], s[12:13]
	v_mov_b32_e32 v18, s18
	s_xor_b64 exec, exec, s[12:13]
	s_cbranch_execz .LBB259_341
.LBB259_476:                            ;   in Loop: Header=BB259_304 Depth=1
	v_cmp_ne_u16_sdwa s[16:17], v16, v7 src0_sel:BYTE_0 src1_sel:DWORD
	s_andn2_b64 s[0:1], s[0:1], exec
	s_and_b64 s[16:17], s[16:17], exec
	v_mov_b32_e32 v18, 0
	s_or_b64 s[0:1], s[0:1], s[16:17]
	s_or_b64 exec, exec, s[12:13]
	s_and_saveexec_b64 s[12:13], s[0:1]
	s_cbranch_execnz .LBB259_342
	s_branch .LBB259_343
.LBB259_477:                            ;   in Loop: Header=BB259_304 Depth=1
	v_cmp_eq_u16_e64 s[0:1], s29, v6
	s_mov_b64 s[12:13], -1
                                        ; implicit-def: $sgpr41
	s_and_saveexec_b64 s[18:19], s[0:1]
; %bb.478:                              ;   in Loop: Header=BB259_304 Depth=1
	s_mov_b32 s41, 0x7fc02000
	s_xor_b64 s[12:13], exec, -1
; %bb.479:                              ;   in Loop: Header=BB259_304 Depth=1
	s_or_b64 exec, exec, s[18:19]
	s_and_b64 s[12:13], s[12:13], exec
	s_or_saveexec_b64 s[16:17], s[16:17]
	v_mov_b32_e32 v20, s41
	s_xor_b64 exec, exec, s[16:17]
	s_cbranch_execz .LBB259_345
.LBB259_480:                            ;   in Loop: Header=BB259_304 Depth=1
	v_cmp_ne_u16_e64 s[0:1], 0, v6
	s_andn2_b64 s[12:13], s[12:13], exec
	s_and_b64 s[0:1], s[0:1], exec
	v_mov_b32_e32 v20, 0
	s_or_b64 s[12:13], s[12:13], s[0:1]
	s_or_b64 exec, exec, s[16:17]
	s_and_saveexec_b64 s[16:17], s[12:13]
	s_cbranch_execnz .LBB259_346
	s_branch .LBB259_347
.LBB259_481:                            ;   in Loop: Header=BB259_304 Depth=1
	v_cmp_eq_u16_sdwa s[42:43], v6, s29 src0_sel:BYTE_0 src1_sel:DWORD
	s_mov_b64 s[0:1], -1
                                        ; implicit-def: $sgpr18
	s_and_saveexec_b64 s[16:17], s[42:43]
; %bb.482:                              ;   in Loop: Header=BB259_304 Depth=1
	s_mov_b32 s18, 0x7fc02000
	s_xor_b64 s[0:1], exec, -1
; %bb.483:                              ;   in Loop: Header=BB259_304 Depth=1
	s_or_b64 exec, exec, s[16:17]
	s_and_b64 s[0:1], s[0:1], exec
	s_or_saveexec_b64 s[12:13], s[12:13]
	v_mov_b32_e32 v19, s18
	s_xor_b64 exec, exec, s[12:13]
	s_cbranch_execz .LBB259_349
.LBB259_484:                            ;   in Loop: Header=BB259_304 Depth=1
	v_cmp_ne_u16_sdwa s[16:17], v6, v7 src0_sel:BYTE_0 src1_sel:DWORD
	s_andn2_b64 s[0:1], s[0:1], exec
	s_and_b64 s[16:17], s[16:17], exec
	v_mov_b32_e32 v19, 0
	s_or_b64 s[0:1], s[0:1], s[16:17]
	s_or_b64 exec, exec, s[12:13]
	s_and_saveexec_b64 s[12:13], s[0:1]
	s_cbranch_execnz .LBB259_350
	s_branch .LBB259_351
.LBB259_485:                            ;   in Loop: Header=BB259_304 Depth=1
	v_cmp_eq_u16_e64 s[0:1], s29, v6
	s_mov_b64 s[12:13], -1
                                        ; implicit-def: $sgpr41
	s_and_saveexec_b64 s[18:19], s[0:1]
; %bb.486:                              ;   in Loop: Header=BB259_304 Depth=1
	s_mov_b32 s41, 0x7fc02000
	s_xor_b64 s[12:13], exec, -1
; %bb.487:                              ;   in Loop: Header=BB259_304 Depth=1
	s_or_b64 exec, exec, s[18:19]
	s_and_b64 s[12:13], s[12:13], exec
	s_or_saveexec_b64 s[16:17], s[16:17]
	v_mov_b32_e32 v21, s41
	s_xor_b64 exec, exec, s[16:17]
	s_cbranch_execz .LBB259_353
.LBB259_488:                            ;   in Loop: Header=BB259_304 Depth=1
	v_cmp_ne_u16_e64 s[0:1], 0, v6
	s_andn2_b64 s[12:13], s[12:13], exec
	s_and_b64 s[0:1], s[0:1], exec
	v_mov_b32_e32 v21, 0
	s_or_b64 s[12:13], s[12:13], s[0:1]
	s_or_b64 exec, exec, s[16:17]
	s_and_saveexec_b64 s[16:17], s[12:13]
	s_cbranch_execnz .LBB259_354
	s_branch .LBB259_355
.LBB259_489:                            ;   in Loop: Header=BB259_304 Depth=1
	v_cmp_eq_u16_sdwa s[42:43], v17, s29 src0_sel:BYTE_0 src1_sel:DWORD
	s_mov_b64 s[0:1], -1
                                        ; implicit-def: $sgpr18
	s_and_saveexec_b64 s[16:17], s[42:43]
; %bb.490:                              ;   in Loop: Header=BB259_304 Depth=1
	s_mov_b32 s18, 0x7fc02000
	s_xor_b64 s[0:1], exec, -1
; %bb.491:                              ;   in Loop: Header=BB259_304 Depth=1
	s_or_b64 exec, exec, s[16:17]
	s_and_b64 s[0:1], s[0:1], exec
	s_or_saveexec_b64 s[12:13], s[12:13]
	v_mov_b32_e32 v16, s18
	s_xor_b64 exec, exec, s[12:13]
	s_cbranch_execz .LBB259_357
.LBB259_492:                            ;   in Loop: Header=BB259_304 Depth=1
	v_cmp_ne_u16_sdwa s[16:17], v17, v7 src0_sel:BYTE_0 src1_sel:DWORD
	s_andn2_b64 s[0:1], s[0:1], exec
	s_and_b64 s[16:17], s[16:17], exec
	v_mov_b32_e32 v16, 0
	s_or_b64 s[0:1], s[0:1], s[16:17]
	s_or_b64 exec, exec, s[12:13]
	v_mov_b32_e32 v6, v17
	s_and_saveexec_b64 s[12:13], s[0:1]
	s_cbranch_execnz .LBB259_358
	s_branch .LBB259_359
.LBB259_493:                            ;   in Loop: Header=BB259_304 Depth=1
	v_cmp_eq_u16_e64 s[0:1], s29, v6
	s_mov_b64 s[12:13], -1
                                        ; implicit-def: $sgpr41
	s_and_saveexec_b64 s[18:19], s[0:1]
; %bb.494:                              ;   in Loop: Header=BB259_304 Depth=1
	s_mov_b32 s41, 0x7fc02000
	s_xor_b64 s[12:13], exec, -1
; %bb.495:                              ;   in Loop: Header=BB259_304 Depth=1
	s_or_b64 exec, exec, s[18:19]
	s_and_b64 s[12:13], s[12:13], exec
	s_or_saveexec_b64 s[16:17], s[16:17]
	v_mov_b32_e32 v44, s41
	s_xor_b64 exec, exec, s[16:17]
	s_cbranch_execz .LBB259_361
.LBB259_496:                            ;   in Loop: Header=BB259_304 Depth=1
	v_cmp_ne_u16_e64 s[0:1], 0, v6
	s_andn2_b64 s[12:13], s[12:13], exec
	s_and_b64 s[0:1], s[0:1], exec
	v_mov_b32_e32 v44, 0
	s_or_b64 s[12:13], s[12:13], s[0:1]
	s_or_b64 exec, exec, s[16:17]
	s_and_saveexec_b64 s[16:17], s[12:13]
	s_cbranch_execnz .LBB259_362
	s_branch .LBB259_363
.LBB259_497:                            ;   in Loop: Header=BB259_304 Depth=1
	v_cmp_eq_u16_sdwa s[42:43], v6, s29 src0_sel:BYTE_0 src1_sel:DWORD
	s_mov_b64 s[0:1], -1
                                        ; implicit-def: $sgpr18
	s_and_saveexec_b64 s[16:17], s[42:43]
; %bb.498:                              ;   in Loop: Header=BB259_304 Depth=1
	s_mov_b32 s18, 0x7fc02000
	s_xor_b64 s[0:1], exec, -1
; %bb.499:                              ;   in Loop: Header=BB259_304 Depth=1
	s_or_b64 exec, exec, s[16:17]
	s_and_b64 s[0:1], s[0:1], exec
	s_or_saveexec_b64 s[12:13], s[12:13]
	v_mov_b32_e32 v45, s18
	s_xor_b64 exec, exec, s[12:13]
	s_cbranch_execz .LBB259_365
.LBB259_500:                            ;   in Loop: Header=BB259_304 Depth=1
	v_cmp_ne_u16_sdwa s[16:17], v6, v7 src0_sel:BYTE_0 src1_sel:DWORD
	s_andn2_b64 s[0:1], s[0:1], exec
	s_and_b64 s[16:17], s[16:17], exec
	v_mov_b32_e32 v45, 0
	s_or_b64 s[0:1], s[0:1], s[16:17]
	s_or_b64 exec, exec, s[12:13]
	s_and_saveexec_b64 s[12:13], s[0:1]
	s_cbranch_execnz .LBB259_366
	s_branch .LBB259_367
.LBB259_501:                            ;   in Loop: Header=BB259_304 Depth=1
	v_cmp_eq_u16_e64 s[0:1], s29, v6
	s_mov_b64 s[12:13], -1
                                        ; implicit-def: $sgpr41
	s_and_saveexec_b64 s[18:19], s[0:1]
; %bb.502:                              ;   in Loop: Header=BB259_304 Depth=1
	s_mov_b32 s41, 0x7fc02000
	s_xor_b64 s[12:13], exec, -1
; %bb.503:                              ;   in Loop: Header=BB259_304 Depth=1
	s_or_b64 exec, exec, s[18:19]
	s_and_b64 s[12:13], s[12:13], exec
	s_or_saveexec_b64 s[16:17], s[16:17]
	v_mov_b32_e32 v46, s41
	s_xor_b64 exec, exec, s[16:17]
	s_cbranch_execz .LBB259_369
.LBB259_504:                            ;   in Loop: Header=BB259_304 Depth=1
	v_cmp_ne_u16_e64 s[0:1], 0, v6
	s_andn2_b64 s[12:13], s[12:13], exec
	s_and_b64 s[0:1], s[0:1], exec
	v_mov_b32_e32 v46, 0
	s_or_b64 s[12:13], s[12:13], s[0:1]
	s_or_b64 exec, exec, s[16:17]
	s_and_saveexec_b64 s[16:17], s[12:13]
	s_cbranch_execnz .LBB259_370
	s_branch .LBB259_371
.LBB259_505:                            ;   in Loop: Header=BB259_304 Depth=1
	v_cmp_eq_u16_sdwa s[42:43], v16, s29 src0_sel:BYTE_0 src1_sel:DWORD
	s_mov_b64 s[0:1], -1
                                        ; implicit-def: $sgpr18
	s_and_saveexec_b64 s[16:17], s[42:43]
; %bb.506:                              ;   in Loop: Header=BB259_304 Depth=1
	s_mov_b32 s18, 0x7fc02000
	s_xor_b64 s[0:1], exec, -1
; %bb.507:                              ;   in Loop: Header=BB259_304 Depth=1
	s_or_b64 exec, exec, s[16:17]
	s_and_b64 s[0:1], s[0:1], exec
	s_or_saveexec_b64 s[12:13], s[12:13]
	v_mov_b32_e32 v18, s18
	s_xor_b64 exec, exec, s[12:13]
	s_cbranch_execz .LBB259_375
.LBB259_508:                            ;   in Loop: Header=BB259_304 Depth=1
	v_cmp_ne_u16_sdwa s[16:17], v16, v7 src0_sel:BYTE_0 src1_sel:DWORD
	s_andn2_b64 s[0:1], s[0:1], exec
	s_and_b64 s[16:17], s[16:17], exec
	v_mov_b32_e32 v18, 0
	s_or_b64 s[0:1], s[0:1], s[16:17]
	s_or_b64 exec, exec, s[12:13]
	s_and_saveexec_b64 s[12:13], s[0:1]
	s_cbranch_execnz .LBB259_376
	s_branch .LBB259_377
.LBB259_509:                            ;   in Loop: Header=BB259_304 Depth=1
	v_cmp_eq_u16_e64 s[0:1], s29, v6
	s_mov_b64 s[12:13], -1
                                        ; implicit-def: $sgpr41
	s_and_saveexec_b64 s[18:19], s[0:1]
; %bb.510:                              ;   in Loop: Header=BB259_304 Depth=1
	s_mov_b32 s41, 0x7fc02000
	s_xor_b64 s[12:13], exec, -1
; %bb.511:                              ;   in Loop: Header=BB259_304 Depth=1
	s_or_b64 exec, exec, s[18:19]
	s_and_b64 s[12:13], s[12:13], exec
	s_or_saveexec_b64 s[16:17], s[16:17]
	v_mov_b32_e32 v20, s41
	s_xor_b64 exec, exec, s[16:17]
	s_cbranch_execz .LBB259_379
.LBB259_512:                            ;   in Loop: Header=BB259_304 Depth=1
	v_cmp_ne_u16_e64 s[0:1], 0, v6
	s_andn2_b64 s[12:13], s[12:13], exec
	s_and_b64 s[0:1], s[0:1], exec
	v_mov_b32_e32 v20, 0
	s_or_b64 s[12:13], s[12:13], s[0:1]
	s_or_b64 exec, exec, s[16:17]
	s_and_saveexec_b64 s[16:17], s[12:13]
	s_cbranch_execnz .LBB259_380
	s_branch .LBB259_381
.LBB259_513:                            ;   in Loop: Header=BB259_304 Depth=1
	v_cmp_eq_u16_sdwa s[42:43], v6, s29 src0_sel:BYTE_0 src1_sel:DWORD
	s_mov_b64 s[0:1], -1
                                        ; implicit-def: $sgpr18
	s_and_saveexec_b64 s[16:17], s[42:43]
; %bb.514:                              ;   in Loop: Header=BB259_304 Depth=1
	s_mov_b32 s18, 0x7fc02000
	s_xor_b64 s[0:1], exec, -1
; %bb.515:                              ;   in Loop: Header=BB259_304 Depth=1
	s_or_b64 exec, exec, s[16:17]
	s_and_b64 s[0:1], s[0:1], exec
	s_or_saveexec_b64 s[12:13], s[12:13]
	v_mov_b32_e32 v19, s18
	s_xor_b64 exec, exec, s[12:13]
	s_cbranch_execz .LBB259_383
.LBB259_516:                            ;   in Loop: Header=BB259_304 Depth=1
	v_cmp_ne_u16_sdwa s[16:17], v6, v7 src0_sel:BYTE_0 src1_sel:DWORD
	s_andn2_b64 s[0:1], s[0:1], exec
	s_and_b64 s[16:17], s[16:17], exec
	v_mov_b32_e32 v19, 0
	s_or_b64 s[0:1], s[0:1], s[16:17]
	s_or_b64 exec, exec, s[12:13]
	s_and_saveexec_b64 s[12:13], s[0:1]
	s_cbranch_execnz .LBB259_384
	s_branch .LBB259_385
.LBB259_517:                            ;   in Loop: Header=BB259_304 Depth=1
	v_cmp_eq_u16_e64 s[0:1], s29, v6
	s_mov_b64 s[12:13], -1
                                        ; implicit-def: $sgpr41
	s_and_saveexec_b64 s[18:19], s[0:1]
; %bb.518:                              ;   in Loop: Header=BB259_304 Depth=1
	s_mov_b32 s41, 0x7fc02000
	s_xor_b64 s[12:13], exec, -1
; %bb.519:                              ;   in Loop: Header=BB259_304 Depth=1
	s_or_b64 exec, exec, s[18:19]
	s_and_b64 s[12:13], s[12:13], exec
	s_or_saveexec_b64 s[16:17], s[16:17]
	v_mov_b32_e32 v21, s41
	s_xor_b64 exec, exec, s[16:17]
	s_cbranch_execz .LBB259_387
.LBB259_520:                            ;   in Loop: Header=BB259_304 Depth=1
	v_cmp_ne_u16_e64 s[0:1], 0, v6
	s_andn2_b64 s[12:13], s[12:13], exec
	s_and_b64 s[0:1], s[0:1], exec
	v_mov_b32_e32 v21, 0
	s_or_b64 s[12:13], s[12:13], s[0:1]
	s_or_b64 exec, exec, s[16:17]
	s_and_saveexec_b64 s[16:17], s[12:13]
	s_cbranch_execnz .LBB259_388
	s_branch .LBB259_389
.LBB259_521:                            ;   in Loop: Header=BB259_304 Depth=1
	v_cmp_eq_u16_sdwa s[42:43], v17, s29 src0_sel:BYTE_0 src1_sel:DWORD
	s_mov_b64 s[0:1], -1
                                        ; implicit-def: $sgpr18
	s_and_saveexec_b64 s[16:17], s[42:43]
; %bb.522:                              ;   in Loop: Header=BB259_304 Depth=1
	s_mov_b32 s18, 0x7fc02000
	s_xor_b64 s[0:1], exec, -1
; %bb.523:                              ;   in Loop: Header=BB259_304 Depth=1
	s_or_b64 exec, exec, s[16:17]
	s_and_b64 s[0:1], s[0:1], exec
	s_or_saveexec_b64 s[12:13], s[12:13]
	v_mov_b32_e32 v16, s18
	s_xor_b64 exec, exec, s[12:13]
	s_cbranch_execz .LBB259_391
.LBB259_524:                            ;   in Loop: Header=BB259_304 Depth=1
	v_cmp_ne_u16_sdwa s[16:17], v17, v7 src0_sel:BYTE_0 src1_sel:DWORD
	s_andn2_b64 s[0:1], s[0:1], exec
	s_and_b64 s[16:17], s[16:17], exec
	v_mov_b32_e32 v16, 0
	s_or_b64 s[0:1], s[0:1], s[16:17]
	s_or_b64 exec, exec, s[12:13]
	v_mov_b32_e32 v6, v17
	s_and_saveexec_b64 s[12:13], s[0:1]
	s_cbranch_execnz .LBB259_392
	s_branch .LBB259_393
.LBB259_525:                            ;   in Loop: Header=BB259_304 Depth=1
	v_cmp_eq_u16_e64 s[0:1], s29, v6
	s_mov_b64 s[12:13], -1
                                        ; implicit-def: $sgpr41
	s_and_saveexec_b64 s[18:19], s[0:1]
; %bb.526:                              ;   in Loop: Header=BB259_304 Depth=1
	s_mov_b32 s41, 0x7fc02000
	s_xor_b64 s[12:13], exec, -1
; %bb.527:                              ;   in Loop: Header=BB259_304 Depth=1
	s_or_b64 exec, exec, s[18:19]
	s_and_b64 s[12:13], s[12:13], exec
	s_or_saveexec_b64 s[16:17], s[16:17]
	v_mov_b32_e32 v46, s41
	s_xor_b64 exec, exec, s[16:17]
	s_cbranch_execz .LBB259_395
.LBB259_528:                            ;   in Loop: Header=BB259_304 Depth=1
	v_cmp_ne_u16_e64 s[0:1], 0, v6
	s_andn2_b64 s[12:13], s[12:13], exec
	s_and_b64 s[0:1], s[0:1], exec
	v_mov_b32_e32 v46, 0
	s_or_b64 s[12:13], s[12:13], s[0:1]
	s_or_b64 exec, exec, s[16:17]
	s_and_saveexec_b64 s[16:17], s[12:13]
	s_cbranch_execnz .LBB259_396
	s_branch .LBB259_397
.LBB259_529:                            ;   in Loop: Header=BB259_304 Depth=1
	v_cmp_eq_u16_sdwa s[42:43], v6, s29 src0_sel:BYTE_0 src1_sel:DWORD
	s_mov_b64 s[0:1], -1
                                        ; implicit-def: $sgpr18
	s_and_saveexec_b64 s[16:17], s[42:43]
; %bb.530:                              ;   in Loop: Header=BB259_304 Depth=1
	s_mov_b32 s18, 0x7fc02000
	s_xor_b64 s[0:1], exec, -1
; %bb.531:                              ;   in Loop: Header=BB259_304 Depth=1
	s_or_b64 exec, exec, s[16:17]
	s_and_b64 s[0:1], s[0:1], exec
	s_or_saveexec_b64 s[12:13], s[12:13]
	v_mov_b32_e32 v47, s18
	s_xor_b64 exec, exec, s[12:13]
	s_cbranch_execz .LBB259_399
.LBB259_532:                            ;   in Loop: Header=BB259_304 Depth=1
	v_cmp_ne_u16_sdwa s[16:17], v6, v7 src0_sel:BYTE_0 src1_sel:DWORD
	s_andn2_b64 s[0:1], s[0:1], exec
	s_and_b64 s[16:17], s[16:17], exec
	v_mov_b32_e32 v47, 0
	s_or_b64 s[0:1], s[0:1], s[16:17]
	s_or_b64 exec, exec, s[12:13]
	s_and_saveexec_b64 s[12:13], s[0:1]
	s_cbranch_execnz .LBB259_400
	s_branch .LBB259_401
.LBB259_533:                            ;   in Loop: Header=BB259_304 Depth=1
	v_cmp_eq_u16_e64 s[0:1], s29, v6
	s_mov_b64 s[12:13], -1
                                        ; implicit-def: $sgpr41
	s_and_saveexec_b64 s[18:19], s[0:1]
; %bb.534:                              ;   in Loop: Header=BB259_304 Depth=1
	s_mov_b32 s41, 0x7fc02000
	s_xor_b64 s[12:13], exec, -1
; %bb.535:                              ;   in Loop: Header=BB259_304 Depth=1
	s_or_b64 exec, exec, s[18:19]
	s_and_b64 s[12:13], s[12:13], exec
	s_or_saveexec_b64 s[16:17], s[16:17]
	v_mov_b32_e32 v48, s41
	s_xor_b64 exec, exec, s[16:17]
	s_cbranch_execz .LBB259_403
.LBB259_536:                            ;   in Loop: Header=BB259_304 Depth=1
	v_cmp_ne_u16_e64 s[0:1], 0, v6
	s_andn2_b64 s[12:13], s[12:13], exec
	s_and_b64 s[0:1], s[0:1], exec
	v_mov_b32_e32 v48, 0
	s_or_b64 s[12:13], s[12:13], s[0:1]
	s_or_b64 exec, exec, s[16:17]
	s_and_saveexec_b64 s[16:17], s[12:13]
	s_cbranch_execnz .LBB259_404
	s_branch .LBB259_405
.LBB259_537:                            ;   in Loop: Header=BB259_304 Depth=1
	v_cmp_eq_u16_sdwa s[42:43], v16, s29 src0_sel:BYTE_0 src1_sel:DWORD
	s_mov_b64 s[0:1], -1
                                        ; implicit-def: $sgpr18
	s_and_saveexec_b64 s[16:17], s[42:43]
; %bb.538:                              ;   in Loop: Header=BB259_304 Depth=1
	s_mov_b32 s18, 0x7fc02000
	s_xor_b64 s[0:1], exec, -1
; %bb.539:                              ;   in Loop: Header=BB259_304 Depth=1
	s_or_b64 exec, exec, s[16:17]
	s_and_b64 s[0:1], s[0:1], exec
	s_or_saveexec_b64 s[12:13], s[12:13]
	v_mov_b32_e32 v12, s18
	s_xor_b64 exec, exec, s[12:13]
	s_cbranch_execz .LBB259_409
.LBB259_540:                            ;   in Loop: Header=BB259_304 Depth=1
	v_cmp_ne_u16_sdwa s[16:17], v16, v7 src0_sel:BYTE_0 src1_sel:DWORD
	s_andn2_b64 s[0:1], s[0:1], exec
	s_and_b64 s[16:17], s[16:17], exec
	v_mov_b32_e32 v12, 0
	s_or_b64 s[0:1], s[0:1], s[16:17]
	s_or_b64 exec, exec, s[12:13]
	s_and_saveexec_b64 s[12:13], s[0:1]
	s_cbranch_execnz .LBB259_410
	s_branch .LBB259_411
.LBB259_541:                            ;   in Loop: Header=BB259_304 Depth=1
	v_cmp_eq_u16_e64 s[0:1], s29, v6
	s_mov_b64 s[12:13], -1
                                        ; implicit-def: $sgpr41
	s_and_saveexec_b64 s[18:19], s[0:1]
; %bb.542:                              ;   in Loop: Header=BB259_304 Depth=1
	s_mov_b32 s41, 0x7fc02000
	s_xor_b64 s[12:13], exec, -1
; %bb.543:                              ;   in Loop: Header=BB259_304 Depth=1
	s_or_b64 exec, exec, s[18:19]
	s_and_b64 s[12:13], s[12:13], exec
	s_or_saveexec_b64 s[16:17], s[16:17]
	v_mov_b32_e32 v18, s41
	s_xor_b64 exec, exec, s[16:17]
	s_cbranch_execz .LBB259_413
.LBB259_544:                            ;   in Loop: Header=BB259_304 Depth=1
	v_cmp_ne_u16_e64 s[0:1], 0, v6
	s_andn2_b64 s[12:13], s[12:13], exec
	s_and_b64 s[0:1], s[0:1], exec
	v_mov_b32_e32 v18, 0
	s_or_b64 s[12:13], s[12:13], s[0:1]
	s_or_b64 exec, exec, s[16:17]
	s_and_saveexec_b64 s[16:17], s[12:13]
	s_cbranch_execnz .LBB259_414
	s_branch .LBB259_415
.LBB259_545:                            ;   in Loop: Header=BB259_304 Depth=1
	v_cmp_eq_u16_sdwa s[42:43], v6, s29 src0_sel:BYTE_0 src1_sel:DWORD
	s_mov_b64 s[0:1], -1
                                        ; implicit-def: $sgpr18
	s_and_saveexec_b64 s[16:17], s[42:43]
; %bb.546:                              ;   in Loop: Header=BB259_304 Depth=1
	s_mov_b32 s18, 0x7fc02000
	s_xor_b64 s[0:1], exec, -1
; %bb.547:                              ;   in Loop: Header=BB259_304 Depth=1
	s_or_b64 exec, exec, s[16:17]
	s_and_b64 s[0:1], s[0:1], exec
	s_or_saveexec_b64 s[12:13], s[12:13]
	v_mov_b32_e32 v13, s18
	s_xor_b64 exec, exec, s[12:13]
	s_cbranch_execz .LBB259_417
.LBB259_548:                            ;   in Loop: Header=BB259_304 Depth=1
	v_cmp_ne_u16_sdwa s[16:17], v6, v7 src0_sel:BYTE_0 src1_sel:DWORD
	s_andn2_b64 s[0:1], s[0:1], exec
	s_and_b64 s[16:17], s[16:17], exec
	v_mov_b32_e32 v13, 0
	s_or_b64 s[0:1], s[0:1], s[16:17]
	s_or_b64 exec, exec, s[12:13]
	s_and_saveexec_b64 s[12:13], s[0:1]
	s_cbranch_execnz .LBB259_418
	s_branch .LBB259_419
.LBB259_549:                            ;   in Loop: Header=BB259_304 Depth=1
	v_cmp_eq_u16_e64 s[0:1], s29, v6
	s_mov_b64 s[12:13], -1
                                        ; implicit-def: $sgpr41
	s_and_saveexec_b64 s[18:19], s[0:1]
; %bb.550:                              ;   in Loop: Header=BB259_304 Depth=1
	s_mov_b32 s41, 0x7fc02000
	s_xor_b64 s[12:13], exec, -1
; %bb.551:                              ;   in Loop: Header=BB259_304 Depth=1
	s_or_b64 exec, exec, s[18:19]
	s_and_b64 s[12:13], s[12:13], exec
	s_or_saveexec_b64 s[16:17], s[16:17]
	v_mov_b32_e32 v19, s41
	s_xor_b64 exec, exec, s[16:17]
	s_cbranch_execz .LBB259_421
.LBB259_552:                            ;   in Loop: Header=BB259_304 Depth=1
	v_cmp_ne_u16_e64 s[0:1], 0, v6
	s_andn2_b64 s[12:13], s[12:13], exec
	s_and_b64 s[0:1], s[0:1], exec
	v_mov_b32_e32 v19, 0
	s_or_b64 s[12:13], s[12:13], s[0:1]
	s_or_b64 exec, exec, s[16:17]
	s_and_saveexec_b64 s[16:17], s[12:13]
	s_cbranch_execnz .LBB259_422
	s_branch .LBB259_423
.LBB259_553:                            ;   in Loop: Header=BB259_304 Depth=1
	v_cmp_eq_u16_sdwa s[42:43], v17, s29 src0_sel:BYTE_0 src1_sel:DWORD
	s_mov_b64 s[0:1], -1
                                        ; implicit-def: $sgpr18
	s_and_saveexec_b64 s[16:17], s[42:43]
; %bb.554:                              ;   in Loop: Header=BB259_304 Depth=1
	s_mov_b32 s18, 0x7fc02000
	s_xor_b64 s[0:1], exec, -1
; %bb.555:                              ;   in Loop: Header=BB259_304 Depth=1
	s_or_b64 exec, exec, s[16:17]
	s_and_b64 s[0:1], s[0:1], exec
	s_or_saveexec_b64 s[12:13], s[12:13]
	v_mov_b32_e32 v16, s18
	s_xor_b64 exec, exec, s[12:13]
	s_cbranch_execz .LBB259_425
.LBB259_556:                            ;   in Loop: Header=BB259_304 Depth=1
	v_cmp_ne_u16_sdwa s[16:17], v17, v7 src0_sel:BYTE_0 src1_sel:DWORD
	s_andn2_b64 s[0:1], s[0:1], exec
	s_and_b64 s[16:17], s[16:17], exec
	v_mov_b32_e32 v16, 0
	s_or_b64 s[0:1], s[0:1], s[16:17]
	s_or_b64 exec, exec, s[12:13]
	v_mov_b32_e32 v6, v17
	s_and_saveexec_b64 s[12:13], s[0:1]
	s_cbranch_execnz .LBB259_426
	s_branch .LBB259_427
.LBB259_557:                            ;   in Loop: Header=BB259_304 Depth=1
	v_cmp_eq_u16_e64 s[0:1], s29, v6
	s_mov_b64 s[12:13], -1
                                        ; implicit-def: $sgpr41
	s_and_saveexec_b64 s[18:19], s[0:1]
; %bb.558:                              ;   in Loop: Header=BB259_304 Depth=1
	s_mov_b32 s41, 0x7fc02000
	s_xor_b64 s[12:13], exec, -1
; %bb.559:                              ;   in Loop: Header=BB259_304 Depth=1
	s_or_b64 exec, exec, s[18:19]
	s_and_b64 s[12:13], s[12:13], exec
	s_or_saveexec_b64 s[16:17], s[16:17]
	v_mov_b32_e32 v46, s41
	s_xor_b64 exec, exec, s[16:17]
	s_cbranch_execz .LBB259_429
.LBB259_560:                            ;   in Loop: Header=BB259_304 Depth=1
	v_cmp_ne_u16_e64 s[0:1], 0, v6
	s_andn2_b64 s[12:13], s[12:13], exec
	s_and_b64 s[0:1], s[0:1], exec
	v_mov_b32_e32 v46, 0
	s_or_b64 s[12:13], s[12:13], s[0:1]
	s_or_b64 exec, exec, s[16:17]
	s_and_saveexec_b64 s[16:17], s[12:13]
	s_cbranch_execnz .LBB259_430
	s_branch .LBB259_431
.LBB259_561:                            ;   in Loop: Header=BB259_304 Depth=1
	v_cmp_eq_u16_sdwa s[42:43], v6, s29 src0_sel:BYTE_0 src1_sel:DWORD
	s_mov_b64 s[0:1], -1
                                        ; implicit-def: $sgpr18
	s_and_saveexec_b64 s[16:17], s[42:43]
; %bb.562:                              ;   in Loop: Header=BB259_304 Depth=1
	s_mov_b32 s18, 0x7fc02000
	s_xor_b64 s[0:1], exec, -1
; %bb.563:                              ;   in Loop: Header=BB259_304 Depth=1
	s_or_b64 exec, exec, s[16:17]
	s_and_b64 s[0:1], s[0:1], exec
	s_or_saveexec_b64 s[12:13], s[12:13]
	v_mov_b32_e32 v47, s18
	s_xor_b64 exec, exec, s[12:13]
	s_cbranch_execz .LBB259_433
.LBB259_564:                            ;   in Loop: Header=BB259_304 Depth=1
	v_cmp_ne_u16_sdwa s[16:17], v6, v7 src0_sel:BYTE_0 src1_sel:DWORD
	s_andn2_b64 s[0:1], s[0:1], exec
	s_and_b64 s[16:17], s[16:17], exec
	v_mov_b32_e32 v47, 0
	s_or_b64 s[0:1], s[0:1], s[16:17]
	s_or_b64 exec, exec, s[12:13]
	s_and_saveexec_b64 s[12:13], s[0:1]
	s_cbranch_execnz .LBB259_434
	s_branch .LBB259_435
.LBB259_565:                            ;   in Loop: Header=BB259_304 Depth=1
	v_cmp_eq_u16_e64 s[0:1], s29, v6
	s_mov_b64 s[12:13], -1
                                        ; implicit-def: $sgpr41
	s_and_saveexec_b64 s[18:19], s[0:1]
; %bb.566:                              ;   in Loop: Header=BB259_304 Depth=1
	s_mov_b32 s41, 0x7fc02000
	s_xor_b64 s[12:13], exec, -1
; %bb.567:                              ;   in Loop: Header=BB259_304 Depth=1
	s_or_b64 exec, exec, s[18:19]
	s_and_b64 s[12:13], s[12:13], exec
	s_or_saveexec_b64 s[16:17], s[16:17]
	v_mov_b32_e32 v48, s41
	s_xor_b64 exec, exec, s[16:17]
	s_cbranch_execz .LBB259_437
.LBB259_568:                            ;   in Loop: Header=BB259_304 Depth=1
	v_cmp_ne_u16_e64 s[0:1], 0, v6
	s_andn2_b64 s[12:13], s[12:13], exec
	s_and_b64 s[0:1], s[0:1], exec
	v_mov_b32_e32 v48, 0
	s_or_b64 s[12:13], s[12:13], s[0:1]
	s_or_b64 exec, exec, s[16:17]
	s_and_saveexec_b64 s[16:17], s[12:13]
	s_cbranch_execnz .LBB259_438
	s_branch .LBB259_439
.LBB259_569:
	s_or_b64 exec, exec, s[6:7]
.LBB259_570:
	s_or_b64 exec, exec, s[8:9]
	ds_bpermute_b32 v6, v23, v2
	ds_bpermute_b32 v7, v23, v3
	;; [unrolled: 1-line block ×4, first 2 shown]
	v_and_b32_e32 v1, 0x3c3, v0
	v_cmp_eq_u32_e32 vcc, 64, v1
	s_waitcnt lgkmcnt(2)
	v_pk_add_f32 v[2:3], v[2:3], v[6:7]
	ds_bpermute_b32 v6, v24, v2
	s_waitcnt lgkmcnt(1)
	v_pk_add_f32 v[8:9], v[4:5], v[8:9]
	ds_bpermute_b32 v7, v24, v3
	ds_bpermute_b32 v10, v24, v8
	;; [unrolled: 1-line block ×3, first 2 shown]
	s_waitcnt lgkmcnt(0)
	s_barrier
	v_pk_add_f32 v[4:5], v[2:3], v[6:7]
	v_pk_add_f32 v[2:3], v[8:9], v[10:11]
	s_and_saveexec_b64 s[0:1], vcc
	s_cbranch_execz .LBB259_572
; %bb.571:
	v_add_u32_e32 v6, 0x90, v22
	ds_write2_b32 v6, v4, v5 offset1:16
	ds_write2_b32 v6, v2, v3 offset0:32 offset1:48
.LBB259_572:
	s_or_b64 exec, exec, s[0:1]
	v_cmp_gt_u32_e32 vcc, 64, v0
	s_waitcnt lgkmcnt(0)
	s_barrier
	s_and_saveexec_b64 s[0:1], vcc
	s_cbranch_execz .LBB259_579
; %bb.573:
	v_cmp_eq_u32_e32 vcc, 0, v25
	v_lshrrev_b32_e32 v6, 2, v0
	s_and_saveexec_b64 s[2:3], vcc
	s_cbranch_execnz .LBB259_582
; %bb.574:
	s_or_b64 exec, exec, s[2:3]
	s_and_saveexec_b64 s[2:3], vcc
	s_cbranch_execnz .LBB259_583
.LBB259_575:
	s_or_b64 exec, exec, s[2:3]
	s_and_saveexec_b64 s[2:3], vcc
	s_cbranch_execnz .LBB259_584
.LBB259_576:
	s_or_b64 exec, exec, s[2:3]
	s_and_saveexec_b64 s[2:3], vcc
	s_cbranch_execz .LBB259_578
.LBB259_577:
	v_mov_b32_e32 v7, 0x90
	v_lshl_add_u32 v6, v6, 2, v7
	ds_read_b32 v6, v6 offset:192
	s_waitcnt lgkmcnt(0)
	v_add_f32_e32 v3, v3, v6
.LBB259_578:
	s_or_b64 exec, exec, s[2:3]
.LBB259_579:
	s_or_b64 exec, exec, s[0:1]
	v_cmp_eq_u32_e32 vcc, 0, v1
	s_barrier
	s_and_saveexec_b64 s[0:1], vcc
	s_cbranch_execz .LBB259_581
; %bb.580:
	s_mul_i32 s0, s10, s11
	s_mul_i32 s0, s0, s5
	s_lshl_b32 s0, s0, 6
	s_ashr_i32 s1, s0, 31
	s_lshl_b64 s[0:1], s[0:1], 1
	s_add_u32 s2, s26, s0
	s_mul_i32 s0, s11, s24
	s_addc_u32 s3, s27, s1
	s_ashr_i32 s1, s0, 31
	s_lshl_b64 s[0:1], s[0:1], 1
	s_add_u32 s2, s2, s0
	s_addc_u32 s3, s3, s1
	s_lshl_b32 s0, s4, 6
	s_ashr_i32 s1, s0, 31
	s_lshl_b64 s[0:1], s[0:1], 1
	s_add_u32 s0, s2, s0
	s_addc_u32 s1, s3, s1
	v_lshrrev_b32_e32 v0, 1, v0
	;;#ASMSTART
	v_cvt_f16_f32 v1, v4;

	;;#ASMEND
	global_store_short v0, v1, s[0:1]
	;;#ASMSTART
	v_cvt_f16_f32 v1, v5;

	;;#ASMEND
	global_store_short v0, v1, s[0:1] offset:32
	;;#ASMSTART
	v_cvt_f16_f32 v1, v2;

	;;#ASMEND
	global_store_short v0, v1, s[0:1] offset:64
	;; [unrolled: 5-line block ×3, first 2 shown]
.LBB259_581:
	s_endpgm
.LBB259_582:
	v_mov_b32_e32 v7, 0x90
	v_lshl_add_u32 v7, v6, 2, v7
	ds_read_b32 v7, v7
	s_waitcnt lgkmcnt(0)
	v_add_f32_e32 v4, v4, v7
	s_or_b64 exec, exec, s[2:3]
	s_and_saveexec_b64 s[2:3], vcc
	s_cbranch_execz .LBB259_575
.LBB259_583:
	v_mov_b32_e32 v7, 0x90
	v_lshl_add_u32 v7, v6, 2, v7
	ds_read_b32 v7, v7 offset:64
	s_waitcnt lgkmcnt(0)
	v_add_f32_e32 v5, v5, v7
	s_or_b64 exec, exec, s[2:3]
	s_and_saveexec_b64 s[2:3], vcc
	s_cbranch_execz .LBB259_576
.LBB259_584:
	v_mov_b32_e32 v7, 0x90
	v_lshl_add_u32 v7, v6, 2, v7
	ds_read_b32 v7, v7 offset:128
	s_waitcnt lgkmcnt(0)
	v_add_f32_e32 v2, v2, v7
	s_or_b64 exec, exec, s[2:3]
	s_and_saveexec_b64 s[2:3], vcc
	s_cbranch_execnz .LBB259_577
	s_branch .LBB259_578
	.section	.rodata,"a",@progbits
	.p2align	6, 0x0
	.amdhsa_kernel _ZN4vllm25paged_attention_v1_kernelIthLi64ELi32ELi128ELNS_18Fp8KVCacheDataTypeE1ELb1EEEvPT_PKS2_PKT0_S8_ifPKiSA_iPKfiiiSC_SC_iiiii
		.amdhsa_group_segment_fixed_size 144
		.amdhsa_private_segment_fixed_size 0
		.amdhsa_kernarg_size 384
		.amdhsa_user_sgpr_count 2
		.amdhsa_user_sgpr_dispatch_ptr 0
		.amdhsa_user_sgpr_queue_ptr 0
		.amdhsa_user_sgpr_kernarg_segment_ptr 1
		.amdhsa_user_sgpr_dispatch_id 0
		.amdhsa_user_sgpr_kernarg_preload_length 0
		.amdhsa_user_sgpr_kernarg_preload_offset 0
		.amdhsa_user_sgpr_private_segment_size 0
		.amdhsa_uses_dynamic_stack 0
		.amdhsa_enable_private_segment 0
		.amdhsa_system_sgpr_workgroup_id_x 1
		.amdhsa_system_sgpr_workgroup_id_y 1
		.amdhsa_system_sgpr_workgroup_id_z 1
		.amdhsa_system_sgpr_workgroup_info 0
		.amdhsa_system_vgpr_workitem_id 0
		.amdhsa_next_free_vgpr 64
		.amdhsa_next_free_sgpr 58
		.amdhsa_accum_offset 64
		.amdhsa_reserve_vcc 1
		.amdhsa_float_round_mode_32 0
		.amdhsa_float_round_mode_16_64 0
		.amdhsa_float_denorm_mode_32 3
		.amdhsa_float_denorm_mode_16_64 3
		.amdhsa_dx10_clamp 1
		.amdhsa_ieee_mode 1
		.amdhsa_fp16_overflow 0
		.amdhsa_tg_split 0
		.amdhsa_exception_fp_ieee_invalid_op 0
		.amdhsa_exception_fp_denorm_src 0
		.amdhsa_exception_fp_ieee_div_zero 0
		.amdhsa_exception_fp_ieee_overflow 0
		.amdhsa_exception_fp_ieee_underflow 0
		.amdhsa_exception_fp_ieee_inexact 0
		.amdhsa_exception_int_div_zero 0
	.end_amdhsa_kernel
	.section	.text._ZN4vllm25paged_attention_v1_kernelIthLi64ELi32ELi128ELNS_18Fp8KVCacheDataTypeE1ELb1EEEvPT_PKS2_PKT0_S8_ifPKiSA_iPKfiiiSC_SC_iiiii,"axG",@progbits,_ZN4vllm25paged_attention_v1_kernelIthLi64ELi32ELi128ELNS_18Fp8KVCacheDataTypeE1ELb1EEEvPT_PKS2_PKT0_S8_ifPKiSA_iPKfiiiSC_SC_iiiii,comdat
.Lfunc_end259:
	.size	_ZN4vllm25paged_attention_v1_kernelIthLi64ELi32ELi128ELNS_18Fp8KVCacheDataTypeE1ELb1EEEvPT_PKS2_PKT0_S8_ifPKiSA_iPKfiiiSC_SC_iiiii, .Lfunc_end259-_ZN4vllm25paged_attention_v1_kernelIthLi64ELi32ELi128ELNS_18Fp8KVCacheDataTypeE1ELb1EEEvPT_PKS2_PKT0_S8_ifPKiSA_iPKfiiiSC_SC_iiiii
                                        ; -- End function
	.section	.AMDGPU.csdata,"",@progbits
; Kernel info:
; codeLenInByte = 23332
; NumSgprs: 64
; NumVgprs: 64
; NumAgprs: 0
; TotalNumVgprs: 64
; ScratchSize: 0
; MemoryBound: 0
; FloatMode: 240
; IeeeMode: 1
; LDSByteSize: 144 bytes/workgroup (compile time only)
; SGPRBlocks: 7
; VGPRBlocks: 7
; NumSGPRsForWavesPerEU: 64
; NumVGPRsForWavesPerEU: 64
; AccumOffset: 64
; Occupancy: 8
; WaveLimiterHint : 1
; COMPUTE_PGM_RSRC2:SCRATCH_EN: 0
; COMPUTE_PGM_RSRC2:USER_SGPR: 2
; COMPUTE_PGM_RSRC2:TRAP_HANDLER: 0
; COMPUTE_PGM_RSRC2:TGID_X_EN: 1
; COMPUTE_PGM_RSRC2:TGID_Y_EN: 1
; COMPUTE_PGM_RSRC2:TGID_Z_EN: 1
; COMPUTE_PGM_RSRC2:TIDIG_COMP_CNT: 0
; COMPUTE_PGM_RSRC3_GFX90A:ACCUM_OFFSET: 15
; COMPUTE_PGM_RSRC3_GFX90A:TG_SPLIT: 0
	.section	.text._ZN4vllm25paged_attention_v1_kernelIthLi80ELi32ELi128ELNS_18Fp8KVCacheDataTypeE1ELb1EEEvPT_PKS2_PKT0_S8_ifPKiSA_iPKfiiiSC_SC_iiiii,"axG",@progbits,_ZN4vllm25paged_attention_v1_kernelIthLi80ELi32ELi128ELNS_18Fp8KVCacheDataTypeE1ELb1EEEvPT_PKS2_PKT0_S8_ifPKiSA_iPKfiiiSC_SC_iiiii,comdat
	.protected	_ZN4vllm25paged_attention_v1_kernelIthLi80ELi32ELi128ELNS_18Fp8KVCacheDataTypeE1ELb1EEEvPT_PKS2_PKT0_S8_ifPKiSA_iPKfiiiSC_SC_iiiii ; -- Begin function _ZN4vllm25paged_attention_v1_kernelIthLi80ELi32ELi128ELNS_18Fp8KVCacheDataTypeE1ELb1EEEvPT_PKS2_PKT0_S8_ifPKiSA_iPKfiiiSC_SC_iiiii
	.globl	_ZN4vllm25paged_attention_v1_kernelIthLi80ELi32ELi128ELNS_18Fp8KVCacheDataTypeE1ELb1EEEvPT_PKS2_PKT0_S8_ifPKiSA_iPKfiiiSC_SC_iiiii
	.p2align	8
	.type	_ZN4vllm25paged_attention_v1_kernelIthLi80ELi32ELi128ELNS_18Fp8KVCacheDataTypeE1ELb1EEEvPT_PKS2_PKT0_S8_ifPKiSA_iPKfiiiSC_SC_iiiii,@function
_ZN4vllm25paged_attention_v1_kernelIthLi80ELi32ELi128ELNS_18Fp8KVCacheDataTypeE1ELb1EEEvPT_PKS2_PKT0_S8_ifPKiSA_iPKfiiiSC_SC_iiiii: ; @_ZN4vllm25paged_attention_v1_kernelIthLi80ELi32ELi128ELNS_18Fp8KVCacheDataTypeE1ELb1EEEvPT_PKS2_PKT0_S8_ifPKiSA_iPKfiiiSC_SC_iiiii
; %bb.0:
	s_load_dword s5, s[0:1], 0x80
	s_load_dwordx2 s[6:7], s[0:1], 0x30
	s_load_dwordx2 s[36:37], s[0:1], 0x20
	s_mov_b32 s24, s3
	s_ashr_i32 s25, s3, 31
	s_lshl_b64 s[8:9], s[24:25], 2
	s_waitcnt lgkmcnt(0)
	s_add_u32 s6, s6, s8
	s_addc_u32 s7, s7, s9
	s_abs_i32 s3, s36
	v_cvt_f32_u32_e32 v1, s3
	s_sub_i32 s10, 0, s3
	s_abs_i32 s9, s5
	s_xor_b32 s8, s5, s36
	v_rcp_iflag_f32_e32 v1, v1
	s_ashr_i32 s8, s8, 31
	s_mov_b32 s48, 0
	v_mul_f32_e32 v1, 0x4f7ffffe, v1
	v_cvt_u32_f32_e32 v1, v1
	s_nop 0
	v_readfirstlane_b32 s11, v1
	s_mul_i32 s10, s10, s11
	s_mul_hi_u32 s10, s11, s10
	s_add_i32 s11, s11, s10
	s_mul_hi_u32 s10, s9, s11
	s_mul_i32 s11, s10, s3
	s_sub_i32 s9, s9, s11
	s_add_i32 s11, s10, 1
	s_sub_i32 s12, s9, s3
	s_cmp_ge_u32 s9, s3
	s_cselect_b32 s10, s11, s10
	s_cselect_b32 s9, s12, s9
	s_add_i32 s11, s10, 1
	s_cmp_ge_u32 s9, s3
	s_cselect_b32 s3, s11, s10
	s_xor_b32 s3, s3, s8
	s_sub_i32 s13, s3, s8
	s_abs_i32 s10, s13
	v_cvt_f32_u32_e32 v1, s10
	s_load_dwordx2 s[8:9], s[0:1], 0x40
	s_sub_i32 s3, 0, s10
	s_abs_i32 s11, s2
	v_rcp_iflag_f32_e32 v1, v1
	s_nop 0
	v_mul_f32_e32 v1, 0x4f7ffffe, v1
	v_cvt_u32_f32_e32 v1, v1
	s_nop 0
	v_readfirstlane_b32 s12, v1
	s_mul_i32 s3, s3, s12
	s_mul_hi_u32 s3, s12, s3
	s_add_i32 s12, s12, s3
	s_waitcnt lgkmcnt(0)
	s_cmp_eq_u64 s[8:9], 0
	s_mul_hi_u32 s12, s11, s12
	s_cbranch_scc1 .LBB260_2
; %bb.1:
	s_ashr_i32 s3, s2, 31
	s_lshl_b64 s[14:15], s[2:3], 2
	s_add_u32 s8, s8, s14
	s_addc_u32 s9, s9, s15
	s_load_dword s48, s[8:9], 0x0
.LBB260_2:
	s_load_dword s25, s[6:7], 0x0
	s_load_dwordx4 s[16:19], s[0:1], 0x48
	s_ashr_i32 s8, s2, 31
	s_ashr_i32 s9, s13, 31
	v_and_b32_e32 v7, 1, v0
	s_movk_i32 s3, 0x50
	s_mul_i32 s26, s2, 0x50
	v_cmp_gt_u32_e32 vcc, 20, v0
	v_lshlrev_b32_e32 v13, 3, v0
	s_and_saveexec_b64 s[6:7], vcc
	s_cbranch_execz .LBB260_4
; %bb.3:
	s_load_dwordx2 s[14:15], s[0:1], 0x8
	s_waitcnt lgkmcnt(0)
	s_mul_i32 s20, s24, s16
	s_ashr_i32 s21, s20, 31
	s_lshl_b64 s[20:21], s[20:21], 1
	v_lshlrev_b32_e32 v1, 2, v0
	s_add_u32 s13, s14, s20
	s_addc_u32 s16, s15, s21
	s_ashr_i32 s27, s26, 31
	s_lshl_b64 s[14:15], s[26:27], 1
	s_add_u32 s14, s13, s14
	s_addc_u32 s15, s16, s15
	global_load_dwordx2 v[2:3], v13, s[14:15]
	v_and_b32_e32 v1, 0xff8, v1
	v_mad_u32_u24 v1, v7, s3, v1
	s_waitcnt vmcnt(0)
	ds_write_b64 v1, v[2:3]
.LBB260_4:
	s_or_b64 exec, exec, s[6:7]
	s_mul_i32 s7, s12, s10
	s_sub_i32 s7, s11, s7
	s_xor_b32 s6, s8, s9
	s_add_i32 s8, s12, 1
	s_sub_i32 s9, s7, s10
	s_load_dwordx4 s[20:23], s[0:1], 0x68
	s_load_dword s3, s[0:1], 0x78
	s_cmp_ge_u32 s7, s10
	s_cselect_b32 s8, s8, s12
	s_cselect_b32 s7, s9, s7
	s_add_i32 s9, s8, 1
	s_cmp_ge_u32 s7, s10
	s_cselect_b32 s7, s9, s8
	s_waitcnt lgkmcnt(0)
	s_abs_i32 s27, s23
	v_cvt_f32_u32_e32 v1, s27
	s_xor_b32 s7, s7, s6
	s_sub_i32 s47, s7, s6
	s_sub_i32 s6, 0, s27
	v_rcp_iflag_f32_e32 v1, v1
	s_add_i32 s12, s25, -1
	s_abs_i32 s8, s12
	v_mul_f32_e32 v1, 0x4f7ffffe, v1
	v_cvt_u32_f32_e32 v1, v1
	s_barrier
	v_readfirstlane_b32 s33, v1
	s_mul_i32 s6, s6, s33
	s_mul_hi_u32 s6, s33, s6
	s_add_i32 s33, s33, s6
	s_cmp_lt_i32 s3, 0
	s_mul_hi_u32 s9, s8, s33
	s_cbranch_scc0 .LBB260_6
; %bb.5:
	s_mul_i32 s6, s20, s36
	s_add_i32 s6, s47, s6
	s_mul_i32 s6, s6, s3
	s_sub_i32 s36, 1, s6
	s_mov_b64 s[6:7], 0
	s_branch .LBB260_7
.LBB260_6:
	s_mov_b64 s[6:7], -1
                                        ; implicit-def: $sgpr36
.LBB260_7:
	s_load_dwordx2 s[10:11], s[0:1], 0x28
	s_ashr_i32 s16, s12, 31
	s_andn2_b64 vcc, exec, s[6:7]
	s_ashr_i32 s23, s23, 31
	s_cbranch_vccnz .LBB260_9
; %bb.8:
	s_mul_i32 s6, s5, s20
	s_add_i32 s2, s6, s2
	s_mul_i32 s2, s2, s3
	s_add_i32 s36, s2, 1
.LBB260_9:
	s_load_dword s2, s[0:1], 0x38
	s_load_dwordx2 s[28:29], s[0:1], 0x0
	s_load_dwordx2 s[34:35], s[0:1], 0x18
	s_load_dword s20, s[0:1], 0x88
	s_load_dwordx4 s[12:15], s[0:1], 0x58
	s_mul_i32 s3, s9, s27
	s_waitcnt lgkmcnt(0)
	s_mul_i32 s30, s24, s2
	s_sub_i32 s3, s8, s3
	s_ashr_i32 s31, s30, 31
	s_xor_b32 s2, s16, s23
	s_add_i32 s6, s9, 1
	s_sub_i32 s7, s3, s27
	s_cmp_ge_u32 s3, s27
	s_cselect_b32 s6, s6, s9
	s_cselect_b32 s3, s7, s3
	s_add_i32 s7, s6, 1
	s_cmp_ge_u32 s3, s27
	s_cselect_b32 s3, s7, s6
	s_xor_b32 s3, s3, s2
	s_sub_i32 s16, s3, s2
	s_add_i32 s2, s25, 31
	s_ashr_i32 s3, s2, 31
	s_lshr_b32 s3, s3, 27
	s_add_i32 s2, s2, s3
	s_ashr_i32 s46, s2, 5
	v_lshrrev_b32_e32 v1, 6, v0
	v_cmp_gt_i32_e64 s[6:7], s46, v1
	v_mov_b32_e32 v19, 0xff7fffff
	s_mul_i32 s47, s47, s18
	v_lshrrev_b32_e32 v14, 4, v0
	v_lshlrev_b32_e32 v17, 5, v1
	v_mbcnt_lo_u32_b32 v15, -1, 0
	s_and_saveexec_b64 s[18:19], s[6:7]
	s_cbranch_execz .LBB260_339
; %bb.10:
	s_load_dwordx2 s[0:1], s[0:1], 0x10
	s_sub_i32 s49, s16, s21
	s_ashr_i32 s2, s47, 31
	v_bfe_u32 v16, v0, 1, 5
	v_lshlrev_b32_e32 v2, 4, v16
	s_waitcnt lgkmcnt(0)
	s_add_u32 s0, s0, s47
	s_addc_u32 s1, s1, s2
	s_abs_i32 s50, s22
	v_cvt_f32_u32_e32 v4, s50
	v_mov_b32_e32 v3, 0
	v_cmp_eq_u32_e32 vcc, 0, v7
	s_mov_b32 s51, s17
	v_rcp_iflag_f32_e32 v8, v4
	v_lshl_add_u64 v[4:5], s[0:1], 0, v[2:3]
	s_sub_i32 s0, 0, s50
	v_lshlrev_b32_e32 v6, 2, v7
	v_mul_f32_e32 v2, 0x4f7ffffe, v8
	v_cvt_u32_f32_e32 v2, v2
	v_mul_u32_u24_e32 v18, 0x50, v7
	v_cmp_neq_f32_e64 s[2:3], s48, 0
	v_mov_b32_e32 v7, v3
	v_mul_lo_u32 v8, s0, v2
	s_lshl_b64 s[0:1], s[30:31], 2
	v_mul_hi_u32 v8, v2, v8
	s_add_u32 s0, s10, s0
	v_add_u32_e32 v20, v2, v8
	v_and_b32_e32 v2, 60, v14
	s_addc_u32 s1, s11, s1
	v_lshl_add_u64 v[8:9], s[0:1], 0, v[2:3]
	v_lshlrev_b32_e32 v2, 2, v16
	v_lshl_or_b32 v2, v1, 7, v2
	v_add_u32_e32 v22, 0xb0, v2
	v_subrev_u32_e32 v2, s25, v16
	v_lshlrev_b32_e32 v21, 5, v1
	v_add_u32_e32 v23, 1, v2
	s_mov_b64 s[38:39], 0
	v_mov_b32_e32 v24, 0xff7fffff
	s_movk_i32 s52, 0x7f
	s_movk_i32 s53, 0x80
	s_mov_b32 s54, 0x8000
	v_mov_b32_e32 v25, 0x1c00
	v_mbcnt_hi_u32_b32 v26, -1, v15
	v_mov_b32_e32 v19, 0xff7fffff
	v_mov_b32_e32 v27, v1
	s_branch .LBB260_13
.LBB260_11:                             ;   in Loop: Header=BB260_13 Depth=1
	s_or_b64 exec, exec, s[40:41]
.LBB260_12:                             ;   in Loop: Header=BB260_13 Depth=1
	s_or_b64 exec, exec, s[8:9]
	v_add_u32_e32 v27, 2, v27
	v_cmp_le_i32_e64 s[0:1], s46, v27
	v_lshl_add_u64 v[8:9], v[8:9], 0, 8
	v_add_u32_e32 v21, 64, v21
	s_or_b64 s[38:39], s[0:1], s[38:39]
	v_add_u32_e32 v22, 0x100, v22
	s_andn2_b64 exec, exec, s[38:39]
	s_cbranch_execz .LBB260_338
.LBB260_13:                             ; =>This Inner Loop Header: Depth=1
	v_mul_hi_u32 v2, v21, s33
	s_waitcnt lgkmcnt(0)
	v_mul_lo_u32 v10, v2, s27
	v_sub_u32_e32 v10, v21, v10
	v_add_u32_e32 v11, 1, v2
	v_cmp_le_u32_e64 s[0:1], s27, v10
	s_nop 1
	v_cndmask_b32_e64 v2, v2, v11, s[0:1]
	v_subrev_u32_e32 v11, s27, v10
	v_cndmask_b32_e64 v10, v10, v11, s[0:1]
	v_add_u32_e32 v11, 1, v2
	v_cmp_le_u32_e64 s[0:1], s27, v10
	s_nop 1
	v_cndmask_b32_e64 v2, v2, v11, s[0:1]
	v_xor_b32_e32 v2, s23, v2
	v_subrev_u32_e32 v2, s23, v2
	v_add_u32_e32 v10, s36, v2
	v_sub_u32_e32 v12, 0, v10
	v_ashrrev_i32_e32 v11, 31, v10
	v_max_i32_e32 v10, v10, v12
	v_mul_hi_u32 v12, v10, v20
	v_mul_lo_u32 v12, v12, s50
	v_sub_u32_e32 v10, v10, v12
	v_subrev_u32_e32 v12, s50, v10
	v_cmp_le_u32_e64 s[0:1], s50, v10
	v_cmp_ge_i32_e64 s[8:9], s49, v2
	s_nop 0
	v_cndmask_b32_e64 v10, v10, v12, s[0:1]
	v_subrev_u32_e32 v12, s50, v10
	v_cmp_le_u32_e64 s[0:1], s50, v10
	s_nop 1
	v_cndmask_b32_e64 v10, v10, v12, s[0:1]
	v_xor_b32_e32 v10, v10, v11
	v_sub_u32_e32 v10, v10, v11
	v_cmp_ne_u32_e64 s[0:1], 0, v10
	s_and_b64 s[0:1], s[0:1], s[8:9]
	s_and_b64 s[40:41], vcc, s[0:1]
	s_and_saveexec_b64 s[8:9], s[40:41]
	s_cbranch_execz .LBB260_15
; %bb.14:                               ;   in Loop: Header=BB260_13 Depth=1
	ds_write_b32 v22, v24
.LBB260_15:                             ;   in Loop: Header=BB260_13 Depth=1
	s_or_b64 exec, exec, s[8:9]
	s_xor_b64 s[0:1], s[0:1], -1
	s_and_saveexec_b64 s[8:9], s[0:1]
	s_cbranch_execz .LBB260_12
; %bb.16:                               ;   in Loop: Header=BB260_13 Depth=1
	global_load_dword v2, v[8:9], off
                                        ; implicit-def: $sgpr44
	s_waitcnt vmcnt(0)
	v_mad_i64_i32 v[10:11], s[0:1], v2, s51, v[4:5]
	v_lshl_add_u64 v[10:11], v[10:11], 0, v[6:7]
	global_load_dword v12, v[10:11], off
	global_load_dword v28, v3, s[12:13]
	s_mov_b64 s[0:1], 0
	s_waitcnt vmcnt(1)
	v_cmp_gt_i16_sdwa s[40:41], v12, s52 src0_sel:BYTE_0 src1_sel:DWORD
	s_and_saveexec_b64 s[42:43], s[40:41]
	s_xor_b64 s[40:41], exec, s[42:43]
	s_cbranch_execnz .LBB260_178
; %bb.17:                               ;   in Loop: Header=BB260_13 Depth=1
	s_or_saveexec_b64 s[40:41], s[40:41]
	v_mov_b32_e32 v29, s44
	s_xor_b64 exec, exec, s[40:41]
	s_cbranch_execnz .LBB260_181
.LBB260_18:                             ;   in Loop: Header=BB260_13 Depth=1
	s_or_b64 exec, exec, s[40:41]
	s_and_saveexec_b64 s[40:41], s[0:1]
	s_cbranch_execz .LBB260_20
.LBB260_19:                             ;   in Loop: Header=BB260_13 Depth=1
	v_and_b32_e32 v2, 7, v12
	v_ffbh_u32_e32 v30, v2
	v_min_u32_e32 v32, 32, v30
	v_subrev_u32_e32 v30, 28, v32
	v_bfe_u32 v29, v12, 3, 4
	v_lshlrev_b64 v[30:31], v30, v[12:13]
	v_sub_u32_e32 v31, 29, v32
	v_cmp_eq_u32_e64 s[0:1], 0, v29
	v_and_b32_e32 v30, 7, v30
	s_nop 0
	v_cndmask_b32_e64 v29, v29, v31, s[0:1]
	v_cndmask_b32_e64 v2, v2, v30, s[0:1]
	v_lshlrev_b32_e32 v30, 8, v12
	v_lshl_add_u32 v29, v29, 10, v25
	v_and_or_b32 v29, v30, s54, v29
	v_lshl_or_b32 v2, v2, 7, v29
	v_cvt_f32_f16_e32 v29, v2
.LBB260_20:                             ;   in Loop: Header=BB260_13 Depth=1
	s_or_b64 exec, exec, s[40:41]
	v_lshrrev_b16_e32 v2, 8, v12
	v_cmp_lt_i16_e64 s[0:1], s52, v2
	s_mov_b64 s[40:41], 0
                                        ; implicit-def: $sgpr55
	s_and_saveexec_b64 s[42:43], s[0:1]
	s_xor_b64 s[42:43], exec, s[42:43]
	s_cbranch_execnz .LBB260_182
; %bb.21:                               ;   in Loop: Header=BB260_13 Depth=1
	s_or_saveexec_b64 s[42:43], s[42:43]
	v_mov_b32_e32 v30, s55
	s_xor_b64 exec, exec, s[42:43]
	s_cbranch_execnz .LBB260_185
.LBB260_22:                             ;   in Loop: Header=BB260_13 Depth=1
	s_or_b64 exec, exec, s[42:43]
	s_and_saveexec_b64 s[42:43], s[40:41]
	s_cbranch_execz .LBB260_24
.LBB260_23:                             ;   in Loop: Header=BB260_13 Depth=1
	v_and_b32_e32 v32, 7, v2
	v_ffbh_u32_e32 v30, v32
	v_min_u32_e32 v34, 32, v30
	v_subrev_u32_e32 v30, 28, v34
	v_bfe_u32 v33, v2, 3, 4
	v_lshlrev_b64 v[30:31], v30, v[2:3]
	v_sub_u32_e32 v31, 29, v34
	v_cmp_eq_u32_e64 s[0:1], 0, v33
	v_and_b32_e32 v30, 7, v30
	v_lshlrev_b32_e32 v2, 8, v2
	v_cndmask_b32_e64 v31, v33, v31, s[0:1]
	v_lshl_add_u32 v31, v31, 10, v25
	v_cndmask_b32_e64 v30, v32, v30, s[0:1]
	v_and_or_b32 v2, v2, s54, v31
	v_lshl_or_b32 v2, v30, 7, v2
	v_cvt_f32_f16_e32 v30, v2
.LBB260_24:                             ;   in Loop: Header=BB260_13 Depth=1
	s_or_b64 exec, exec, s[42:43]
	v_lshrrev_b32_e32 v2, 16, v12
	v_cmp_gt_i16_sdwa s[40:41], v2, s52 src0_sel:BYTE_0 src1_sel:DWORD
	s_mov_b64 s[0:1], 0
                                        ; implicit-def: $sgpr44
	s_and_saveexec_b64 s[42:43], s[40:41]
	s_xor_b64 s[40:41], exec, s[42:43]
	s_cbranch_execnz .LBB260_186
; %bb.25:                               ;   in Loop: Header=BB260_13 Depth=1
	s_or_saveexec_b64 s[40:41], s[40:41]
	v_mov_b32_e32 v31, s44
	s_xor_b64 exec, exec, s[40:41]
	s_cbranch_execnz .LBB260_189
.LBB260_26:                             ;   in Loop: Header=BB260_13 Depth=1
	s_or_b64 exec, exec, s[40:41]
	s_and_saveexec_b64 s[40:41], s[0:1]
	s_cbranch_execz .LBB260_28
.LBB260_27:                             ;   in Loop: Header=BB260_13 Depth=1
	v_bfe_u32 v31, v12, 16, 3
	v_ffbh_u32_e32 v32, v31
	v_min_u32_e32 v35, 32, v32
	v_subrev_u32_e32 v32, 28, v35
	v_bfe_u32 v34, v12, 19, 4
	v_lshlrev_b64 v[32:33], v32, v[2:3]
	v_sub_u32_e32 v33, 29, v35
	v_cmp_eq_u32_e64 s[0:1], 0, v34
	v_and_b32_e32 v32, 7, v32
	v_lshlrev_b32_e32 v2, 8, v2
	v_cndmask_b32_e64 v33, v34, v33, s[0:1]
	v_cndmask_b32_e64 v31, v31, v32, s[0:1]
	v_lshl_add_u32 v32, v33, 10, v25
	v_and_or_b32 v2, v2, s54, v32
	v_lshl_or_b32 v2, v31, 7, v2
	v_cvt_f32_f16_e32 v31, v2
.LBB260_28:                             ;   in Loop: Header=BB260_13 Depth=1
	s_or_b64 exec, exec, s[40:41]
	v_lshrrev_b32_e32 v2, 24, v12
	v_cmp_lt_i16_e64 s[0:1], s52, v2
	s_mov_b64 s[40:41], 0
                                        ; implicit-def: $sgpr55
	s_and_saveexec_b64 s[42:43], s[0:1]
	s_xor_b64 s[42:43], exec, s[42:43]
	s_cbranch_execnz .LBB260_190
; %bb.29:                               ;   in Loop: Header=BB260_13 Depth=1
	s_or_saveexec_b64 s[42:43], s[42:43]
	v_mov_b32_e32 v32, s55
	s_xor_b64 exec, exec, s[42:43]
	s_cbranch_execnz .LBB260_193
.LBB260_30:                             ;   in Loop: Header=BB260_13 Depth=1
	s_or_b64 exec, exec, s[42:43]
	s_and_saveexec_b64 s[42:43], s[40:41]
	s_cbranch_execz .LBB260_32
.LBB260_31:                             ;   in Loop: Header=BB260_13 Depth=1
	v_bfe_u32 v34, v12, 24, 3
	v_ffbh_u32_e32 v32, v34
	v_min_u32_e32 v35, 32, v32
	v_subrev_u32_e32 v32, 28, v35
	v_bfe_u32 v12, v12, 27, 4
	v_lshlrev_b64 v[32:33], v32, v[2:3]
	v_sub_u32_e32 v33, 29, v35
	v_cmp_eq_u32_e64 s[0:1], 0, v12
	v_and_b32_e32 v32, 7, v32
	v_lshlrev_b32_e32 v2, 8, v2
	v_cndmask_b32_e64 v12, v12, v33, s[0:1]
	v_lshl_add_u32 v12, v12, 10, v25
	v_cndmask_b32_e64 v32, v34, v32, s[0:1]
	v_and_or_b32 v2, v2, s54, v12
	v_lshl_or_b32 v2, v32, 7, v2
	v_cvt_f32_f16_e32 v32, v2
.LBB260_32:                             ;   in Loop: Header=BB260_13 Depth=1
	s_or_b64 exec, exec, s[42:43]
	global_load_dword v12, v[10:11], off offset:8
	s_mov_b64 s[0:1], 0
                                        ; implicit-def: $sgpr44
	s_waitcnt vmcnt(0)
	v_cmp_gt_i16_sdwa s[40:41], v12, s52 src0_sel:BYTE_0 src1_sel:DWORD
	s_and_saveexec_b64 s[42:43], s[40:41]
	s_xor_b64 s[40:41], exec, s[42:43]
	s_cbranch_execnz .LBB260_194
; %bb.33:                               ;   in Loop: Header=BB260_13 Depth=1
	s_or_saveexec_b64 s[40:41], s[40:41]
	v_mov_b32_e32 v33, s44
	s_xor_b64 exec, exec, s[40:41]
	s_cbranch_execnz .LBB260_197
.LBB260_34:                             ;   in Loop: Header=BB260_13 Depth=1
	s_or_b64 exec, exec, s[40:41]
	s_and_saveexec_b64 s[40:41], s[0:1]
	s_cbranch_execz .LBB260_36
.LBB260_35:                             ;   in Loop: Header=BB260_13 Depth=1
	v_and_b32_e32 v2, 7, v12
	v_ffbh_u32_e32 v34, v2
	v_min_u32_e32 v36, 32, v34
	v_subrev_u32_e32 v34, 28, v36
	v_bfe_u32 v33, v12, 3, 4
	v_lshlrev_b64 v[34:35], v34, v[12:13]
	v_sub_u32_e32 v35, 29, v36
	v_cmp_eq_u32_e64 s[0:1], 0, v33
	v_and_b32_e32 v34, 7, v34
	s_nop 0
	v_cndmask_b32_e64 v33, v33, v35, s[0:1]
	v_cndmask_b32_e64 v2, v2, v34, s[0:1]
	v_lshlrev_b32_e32 v34, 8, v12
	v_lshl_add_u32 v33, v33, 10, v25
	v_and_or_b32 v33, v34, s54, v33
	v_lshl_or_b32 v2, v2, 7, v33
	v_cvt_f32_f16_e32 v33, v2
.LBB260_36:                             ;   in Loop: Header=BB260_13 Depth=1
	s_or_b64 exec, exec, s[40:41]
	v_lshrrev_b16_e32 v2, 8, v12
	v_cmp_lt_i16_e64 s[0:1], s52, v2
	s_mov_b64 s[40:41], 0
                                        ; implicit-def: $sgpr55
	s_and_saveexec_b64 s[42:43], s[0:1]
	s_xor_b64 s[42:43], exec, s[42:43]
	s_cbranch_execnz .LBB260_198
; %bb.37:                               ;   in Loop: Header=BB260_13 Depth=1
	s_or_saveexec_b64 s[42:43], s[42:43]
	v_mov_b32_e32 v34, s55
	s_xor_b64 exec, exec, s[42:43]
	s_cbranch_execnz .LBB260_201
.LBB260_38:                             ;   in Loop: Header=BB260_13 Depth=1
	s_or_b64 exec, exec, s[42:43]
	s_and_saveexec_b64 s[42:43], s[40:41]
	s_cbranch_execz .LBB260_40
.LBB260_39:                             ;   in Loop: Header=BB260_13 Depth=1
	v_and_b32_e32 v36, 7, v2
	v_ffbh_u32_e32 v34, v36
	v_min_u32_e32 v38, 32, v34
	v_subrev_u32_e32 v34, 28, v38
	v_bfe_u32 v37, v2, 3, 4
	v_lshlrev_b64 v[34:35], v34, v[2:3]
	v_sub_u32_e32 v35, 29, v38
	v_cmp_eq_u32_e64 s[0:1], 0, v37
	v_and_b32_e32 v34, 7, v34
	v_lshlrev_b32_e32 v2, 8, v2
	v_cndmask_b32_e64 v35, v37, v35, s[0:1]
	v_lshl_add_u32 v35, v35, 10, v25
	v_cndmask_b32_e64 v34, v36, v34, s[0:1]
	v_and_or_b32 v2, v2, s54, v35
	v_lshl_or_b32 v2, v34, 7, v2
	v_cvt_f32_f16_e32 v34, v2
.LBB260_40:                             ;   in Loop: Header=BB260_13 Depth=1
	s_or_b64 exec, exec, s[42:43]
	v_lshrrev_b32_e32 v2, 16, v12
	v_cmp_gt_i16_sdwa s[40:41], v2, s52 src0_sel:BYTE_0 src1_sel:DWORD
	s_mov_b64 s[0:1], 0
                                        ; implicit-def: $sgpr44
	s_and_saveexec_b64 s[42:43], s[40:41]
	s_xor_b64 s[40:41], exec, s[42:43]
	s_cbranch_execnz .LBB260_202
; %bb.41:                               ;   in Loop: Header=BB260_13 Depth=1
	s_or_saveexec_b64 s[40:41], s[40:41]
	v_mov_b32_e32 v35, s44
	s_xor_b64 exec, exec, s[40:41]
	s_cbranch_execnz .LBB260_205
.LBB260_42:                             ;   in Loop: Header=BB260_13 Depth=1
	s_or_b64 exec, exec, s[40:41]
	s_and_saveexec_b64 s[40:41], s[0:1]
	s_cbranch_execz .LBB260_44
.LBB260_43:                             ;   in Loop: Header=BB260_13 Depth=1
	v_bfe_u32 v35, v12, 16, 3
	v_ffbh_u32_e32 v36, v35
	v_min_u32_e32 v39, 32, v36
	v_subrev_u32_e32 v36, 28, v39
	v_bfe_u32 v38, v12, 19, 4
	v_lshlrev_b64 v[36:37], v36, v[2:3]
	v_sub_u32_e32 v37, 29, v39
	v_cmp_eq_u32_e64 s[0:1], 0, v38
	v_and_b32_e32 v36, 7, v36
	v_lshlrev_b32_e32 v2, 8, v2
	v_cndmask_b32_e64 v37, v38, v37, s[0:1]
	v_cndmask_b32_e64 v35, v35, v36, s[0:1]
	v_lshl_add_u32 v36, v37, 10, v25
	v_and_or_b32 v2, v2, s54, v36
	v_lshl_or_b32 v2, v35, 7, v2
	v_cvt_f32_f16_e32 v35, v2
.LBB260_44:                             ;   in Loop: Header=BB260_13 Depth=1
	s_or_b64 exec, exec, s[40:41]
	v_lshrrev_b32_e32 v2, 24, v12
	v_cmp_lt_i16_e64 s[0:1], s52, v2
	s_mov_b64 s[40:41], 0
                                        ; implicit-def: $sgpr55
	s_and_saveexec_b64 s[42:43], s[0:1]
	s_xor_b64 s[42:43], exec, s[42:43]
	s_cbranch_execnz .LBB260_206
; %bb.45:                               ;   in Loop: Header=BB260_13 Depth=1
	s_or_saveexec_b64 s[42:43], s[42:43]
	v_mov_b32_e32 v36, s55
	s_xor_b64 exec, exec, s[42:43]
	s_cbranch_execnz .LBB260_209
.LBB260_46:                             ;   in Loop: Header=BB260_13 Depth=1
	s_or_b64 exec, exec, s[42:43]
	s_and_saveexec_b64 s[42:43], s[40:41]
	s_cbranch_execz .LBB260_48
.LBB260_47:                             ;   in Loop: Header=BB260_13 Depth=1
	v_bfe_u32 v38, v12, 24, 3
	v_ffbh_u32_e32 v36, v38
	v_min_u32_e32 v39, 32, v36
	v_subrev_u32_e32 v36, 28, v39
	v_bfe_u32 v12, v12, 27, 4
	v_lshlrev_b64 v[36:37], v36, v[2:3]
	v_sub_u32_e32 v37, 29, v39
	v_cmp_eq_u32_e64 s[0:1], 0, v12
	v_and_b32_e32 v36, 7, v36
	v_lshlrev_b32_e32 v2, 8, v2
	v_cndmask_b32_e64 v12, v12, v37, s[0:1]
	v_lshl_add_u32 v12, v12, 10, v25
	v_cndmask_b32_e64 v36, v38, v36, s[0:1]
	v_and_or_b32 v2, v2, s54, v12
	v_lshl_or_b32 v2, v36, 7, v2
	v_cvt_f32_f16_e32 v36, v2
.LBB260_48:                             ;   in Loop: Header=BB260_13 Depth=1
	s_or_b64 exec, exec, s[42:43]
	global_load_dword v12, v[10:11], off offset:512
	s_mov_b64 s[0:1], 0
                                        ; implicit-def: $sgpr44
	s_waitcnt vmcnt(0)
	v_cmp_gt_i16_sdwa s[40:41], v12, s52 src0_sel:BYTE_0 src1_sel:DWORD
	s_and_saveexec_b64 s[42:43], s[40:41]
	s_xor_b64 s[40:41], exec, s[42:43]
	s_cbranch_execnz .LBB260_210
; %bb.49:                               ;   in Loop: Header=BB260_13 Depth=1
	s_or_saveexec_b64 s[40:41], s[40:41]
	v_mov_b32_e32 v37, s44
	s_xor_b64 exec, exec, s[40:41]
	s_cbranch_execnz .LBB260_213
.LBB260_50:                             ;   in Loop: Header=BB260_13 Depth=1
	s_or_b64 exec, exec, s[40:41]
	s_and_saveexec_b64 s[40:41], s[0:1]
	s_cbranch_execz .LBB260_52
.LBB260_51:                             ;   in Loop: Header=BB260_13 Depth=1
	v_and_b32_e32 v2, 7, v12
	v_ffbh_u32_e32 v38, v2
	v_min_u32_e32 v40, 32, v38
	v_subrev_u32_e32 v38, 28, v40
	v_bfe_u32 v37, v12, 3, 4
	v_lshlrev_b64 v[38:39], v38, v[12:13]
	v_sub_u32_e32 v39, 29, v40
	v_cmp_eq_u32_e64 s[0:1], 0, v37
	v_and_b32_e32 v38, 7, v38
	s_nop 0
	v_cndmask_b32_e64 v37, v37, v39, s[0:1]
	v_cndmask_b32_e64 v2, v2, v38, s[0:1]
	v_lshlrev_b32_e32 v38, 8, v12
	v_lshl_add_u32 v37, v37, 10, v25
	v_and_or_b32 v37, v38, s54, v37
	v_lshl_or_b32 v2, v2, 7, v37
	v_cvt_f32_f16_e32 v37, v2
.LBB260_52:                             ;   in Loop: Header=BB260_13 Depth=1
	s_or_b64 exec, exec, s[40:41]
	v_lshrrev_b16_e32 v2, 8, v12
	v_cmp_lt_i16_e64 s[0:1], s52, v2
	s_mov_b64 s[40:41], 0
                                        ; implicit-def: $sgpr55
	s_and_saveexec_b64 s[42:43], s[0:1]
	s_xor_b64 s[42:43], exec, s[42:43]
	s_cbranch_execnz .LBB260_214
; %bb.53:                               ;   in Loop: Header=BB260_13 Depth=1
	s_or_saveexec_b64 s[42:43], s[42:43]
	v_mov_b32_e32 v38, s55
	s_xor_b64 exec, exec, s[42:43]
	s_cbranch_execnz .LBB260_217
.LBB260_54:                             ;   in Loop: Header=BB260_13 Depth=1
	s_or_b64 exec, exec, s[42:43]
	s_and_saveexec_b64 s[42:43], s[40:41]
	s_cbranch_execz .LBB260_56
.LBB260_55:                             ;   in Loop: Header=BB260_13 Depth=1
	v_and_b32_e32 v40, 7, v2
	v_ffbh_u32_e32 v38, v40
	v_min_u32_e32 v42, 32, v38
	v_subrev_u32_e32 v38, 28, v42
	v_bfe_u32 v41, v2, 3, 4
	v_lshlrev_b64 v[38:39], v38, v[2:3]
	v_sub_u32_e32 v39, 29, v42
	v_cmp_eq_u32_e64 s[0:1], 0, v41
	v_and_b32_e32 v38, 7, v38
	v_lshlrev_b32_e32 v2, 8, v2
	v_cndmask_b32_e64 v39, v41, v39, s[0:1]
	v_lshl_add_u32 v39, v39, 10, v25
	v_cndmask_b32_e64 v38, v40, v38, s[0:1]
	v_and_or_b32 v2, v2, s54, v39
	v_lshl_or_b32 v2, v38, 7, v2
	v_cvt_f32_f16_e32 v38, v2
.LBB260_56:                             ;   in Loop: Header=BB260_13 Depth=1
	s_or_b64 exec, exec, s[42:43]
	v_lshrrev_b32_e32 v2, 16, v12
	v_cmp_gt_i16_sdwa s[40:41], v2, s52 src0_sel:BYTE_0 src1_sel:DWORD
	s_mov_b64 s[0:1], 0
                                        ; implicit-def: $sgpr44
	s_and_saveexec_b64 s[42:43], s[40:41]
	s_xor_b64 s[40:41], exec, s[42:43]
	s_cbranch_execnz .LBB260_218
; %bb.57:                               ;   in Loop: Header=BB260_13 Depth=1
	s_or_saveexec_b64 s[40:41], s[40:41]
	v_mov_b32_e32 v39, s44
	s_xor_b64 exec, exec, s[40:41]
	s_cbranch_execnz .LBB260_221
.LBB260_58:                             ;   in Loop: Header=BB260_13 Depth=1
	s_or_b64 exec, exec, s[40:41]
	s_and_saveexec_b64 s[40:41], s[0:1]
	s_cbranch_execz .LBB260_60
.LBB260_59:                             ;   in Loop: Header=BB260_13 Depth=1
	v_bfe_u32 v39, v12, 16, 3
	v_ffbh_u32_e32 v40, v39
	v_min_u32_e32 v43, 32, v40
	v_subrev_u32_e32 v40, 28, v43
	v_bfe_u32 v42, v12, 19, 4
	v_lshlrev_b64 v[40:41], v40, v[2:3]
	v_sub_u32_e32 v41, 29, v43
	v_cmp_eq_u32_e64 s[0:1], 0, v42
	v_and_b32_e32 v40, 7, v40
	v_lshlrev_b32_e32 v2, 8, v2
	v_cndmask_b32_e64 v41, v42, v41, s[0:1]
	v_cndmask_b32_e64 v39, v39, v40, s[0:1]
	v_lshl_add_u32 v40, v41, 10, v25
	v_and_or_b32 v2, v2, s54, v40
	v_lshl_or_b32 v2, v39, 7, v2
	v_cvt_f32_f16_e32 v39, v2
.LBB260_60:                             ;   in Loop: Header=BB260_13 Depth=1
	s_or_b64 exec, exec, s[40:41]
	v_lshrrev_b32_e32 v2, 24, v12
	v_cmp_lt_i16_e64 s[0:1], s52, v2
	s_mov_b64 s[40:41], 0
                                        ; implicit-def: $sgpr55
	s_and_saveexec_b64 s[42:43], s[0:1]
	s_xor_b64 s[42:43], exec, s[42:43]
	s_cbranch_execnz .LBB260_222
; %bb.61:                               ;   in Loop: Header=BB260_13 Depth=1
	s_or_saveexec_b64 s[42:43], s[42:43]
	v_mov_b32_e32 v40, s55
	s_xor_b64 exec, exec, s[42:43]
	s_cbranch_execnz .LBB260_225
.LBB260_62:                             ;   in Loop: Header=BB260_13 Depth=1
	s_or_b64 exec, exec, s[42:43]
	s_and_saveexec_b64 s[42:43], s[40:41]
	s_cbranch_execz .LBB260_64
.LBB260_63:                             ;   in Loop: Header=BB260_13 Depth=1
	v_bfe_u32 v42, v12, 24, 3
	v_ffbh_u32_e32 v40, v42
	v_min_u32_e32 v43, 32, v40
	v_subrev_u32_e32 v40, 28, v43
	v_bfe_u32 v12, v12, 27, 4
	v_lshlrev_b64 v[40:41], v40, v[2:3]
	v_sub_u32_e32 v41, 29, v43
	v_cmp_eq_u32_e64 s[0:1], 0, v12
	v_and_b32_e32 v40, 7, v40
	v_lshlrev_b32_e32 v2, 8, v2
	v_cndmask_b32_e64 v12, v12, v41, s[0:1]
	v_lshl_add_u32 v12, v12, 10, v25
	v_cndmask_b32_e64 v40, v42, v40, s[0:1]
	v_and_or_b32 v2, v2, s54, v12
	v_lshl_or_b32 v2, v40, 7, v2
	v_cvt_f32_f16_e32 v40, v2
.LBB260_64:                             ;   in Loop: Header=BB260_13 Depth=1
	s_or_b64 exec, exec, s[42:43]
	global_load_dword v12, v[10:11], off offset:520
	s_mov_b64 s[0:1], 0
                                        ; implicit-def: $sgpr44
	s_waitcnt vmcnt(0)
	v_cmp_gt_i16_sdwa s[40:41], v12, s52 src0_sel:BYTE_0 src1_sel:DWORD
	s_and_saveexec_b64 s[42:43], s[40:41]
	s_xor_b64 s[40:41], exec, s[42:43]
	s_cbranch_execnz .LBB260_226
; %bb.65:                               ;   in Loop: Header=BB260_13 Depth=1
	s_or_saveexec_b64 s[40:41], s[40:41]
	v_mov_b32_e32 v41, s44
	s_xor_b64 exec, exec, s[40:41]
	s_cbranch_execnz .LBB260_229
.LBB260_66:                             ;   in Loop: Header=BB260_13 Depth=1
	s_or_b64 exec, exec, s[40:41]
	s_and_saveexec_b64 s[40:41], s[0:1]
	s_cbranch_execz .LBB260_68
.LBB260_67:                             ;   in Loop: Header=BB260_13 Depth=1
	v_and_b32_e32 v2, 7, v12
	v_ffbh_u32_e32 v42, v2
	v_min_u32_e32 v44, 32, v42
	v_subrev_u32_e32 v42, 28, v44
	v_bfe_u32 v41, v12, 3, 4
	v_lshlrev_b64 v[42:43], v42, v[12:13]
	v_sub_u32_e32 v43, 29, v44
	v_cmp_eq_u32_e64 s[0:1], 0, v41
	v_and_b32_e32 v42, 7, v42
	s_nop 0
	v_cndmask_b32_e64 v41, v41, v43, s[0:1]
	v_cndmask_b32_e64 v2, v2, v42, s[0:1]
	v_lshlrev_b32_e32 v42, 8, v12
	v_lshl_add_u32 v41, v41, 10, v25
	v_and_or_b32 v41, v42, s54, v41
	v_lshl_or_b32 v2, v2, 7, v41
	v_cvt_f32_f16_e32 v41, v2
.LBB260_68:                             ;   in Loop: Header=BB260_13 Depth=1
	s_or_b64 exec, exec, s[40:41]
	v_lshrrev_b16_e32 v2, 8, v12
	v_cmp_lt_i16_e64 s[0:1], s52, v2
	s_mov_b64 s[40:41], 0
                                        ; implicit-def: $sgpr55
	s_and_saveexec_b64 s[42:43], s[0:1]
	s_xor_b64 s[42:43], exec, s[42:43]
	s_cbranch_execnz .LBB260_230
; %bb.69:                               ;   in Loop: Header=BB260_13 Depth=1
	s_or_saveexec_b64 s[42:43], s[42:43]
	v_mov_b32_e32 v42, s55
	s_xor_b64 exec, exec, s[42:43]
	s_cbranch_execnz .LBB260_233
.LBB260_70:                             ;   in Loop: Header=BB260_13 Depth=1
	s_or_b64 exec, exec, s[42:43]
	s_and_saveexec_b64 s[42:43], s[40:41]
	s_cbranch_execz .LBB260_72
.LBB260_71:                             ;   in Loop: Header=BB260_13 Depth=1
	v_and_b32_e32 v44, 7, v2
	v_ffbh_u32_e32 v42, v44
	v_min_u32_e32 v46, 32, v42
	v_subrev_u32_e32 v42, 28, v46
	v_bfe_u32 v45, v2, 3, 4
	v_lshlrev_b64 v[42:43], v42, v[2:3]
	v_sub_u32_e32 v43, 29, v46
	v_cmp_eq_u32_e64 s[0:1], 0, v45
	v_and_b32_e32 v42, 7, v42
	v_lshlrev_b32_e32 v2, 8, v2
	v_cndmask_b32_e64 v43, v45, v43, s[0:1]
	v_lshl_add_u32 v43, v43, 10, v25
	v_cndmask_b32_e64 v42, v44, v42, s[0:1]
	v_and_or_b32 v2, v2, s54, v43
	v_lshl_or_b32 v2, v42, 7, v2
	v_cvt_f32_f16_e32 v42, v2
.LBB260_72:                             ;   in Loop: Header=BB260_13 Depth=1
	s_or_b64 exec, exec, s[42:43]
	v_lshrrev_b32_e32 v2, 16, v12
	v_cmp_gt_i16_sdwa s[40:41], v2, s52 src0_sel:BYTE_0 src1_sel:DWORD
	s_mov_b64 s[0:1], 0
                                        ; implicit-def: $sgpr44
	s_and_saveexec_b64 s[42:43], s[40:41]
	s_xor_b64 s[40:41], exec, s[42:43]
	s_cbranch_execnz .LBB260_234
; %bb.73:                               ;   in Loop: Header=BB260_13 Depth=1
	s_or_saveexec_b64 s[40:41], s[40:41]
	v_mov_b32_e32 v43, s44
	s_xor_b64 exec, exec, s[40:41]
	s_cbranch_execnz .LBB260_237
.LBB260_74:                             ;   in Loop: Header=BB260_13 Depth=1
	s_or_b64 exec, exec, s[40:41]
	s_and_saveexec_b64 s[40:41], s[0:1]
	s_cbranch_execz .LBB260_76
.LBB260_75:                             ;   in Loop: Header=BB260_13 Depth=1
	v_bfe_u32 v43, v12, 16, 3
	v_ffbh_u32_e32 v44, v43
	v_min_u32_e32 v47, 32, v44
	v_subrev_u32_e32 v44, 28, v47
	v_bfe_u32 v46, v12, 19, 4
	v_lshlrev_b64 v[44:45], v44, v[2:3]
	v_sub_u32_e32 v45, 29, v47
	v_cmp_eq_u32_e64 s[0:1], 0, v46
	v_and_b32_e32 v44, 7, v44
	v_lshlrev_b32_e32 v2, 8, v2
	v_cndmask_b32_e64 v45, v46, v45, s[0:1]
	v_cndmask_b32_e64 v43, v43, v44, s[0:1]
	v_lshl_add_u32 v44, v45, 10, v25
	v_and_or_b32 v2, v2, s54, v44
	v_lshl_or_b32 v2, v43, 7, v2
	v_cvt_f32_f16_e32 v43, v2
.LBB260_76:                             ;   in Loop: Header=BB260_13 Depth=1
	s_or_b64 exec, exec, s[40:41]
	v_lshrrev_b32_e32 v2, 24, v12
	v_cmp_lt_i16_e64 s[0:1], s52, v2
	s_mov_b64 s[40:41], 0
                                        ; implicit-def: $sgpr55
	s_and_saveexec_b64 s[42:43], s[0:1]
	s_xor_b64 s[42:43], exec, s[42:43]
	s_cbranch_execnz .LBB260_238
; %bb.77:                               ;   in Loop: Header=BB260_13 Depth=1
	s_or_saveexec_b64 s[42:43], s[42:43]
	v_mov_b32_e32 v44, s55
	s_xor_b64 exec, exec, s[42:43]
	s_cbranch_execnz .LBB260_241
.LBB260_78:                             ;   in Loop: Header=BB260_13 Depth=1
	s_or_b64 exec, exec, s[42:43]
	s_and_saveexec_b64 s[42:43], s[40:41]
	s_cbranch_execz .LBB260_80
.LBB260_79:                             ;   in Loop: Header=BB260_13 Depth=1
	v_bfe_u32 v46, v12, 24, 3
	v_ffbh_u32_e32 v44, v46
	v_min_u32_e32 v47, 32, v44
	v_subrev_u32_e32 v44, 28, v47
	v_bfe_u32 v12, v12, 27, 4
	v_lshlrev_b64 v[44:45], v44, v[2:3]
	v_sub_u32_e32 v45, 29, v47
	v_cmp_eq_u32_e64 s[0:1], 0, v12
	v_and_b32_e32 v44, 7, v44
	v_lshlrev_b32_e32 v2, 8, v2
	v_cndmask_b32_e64 v12, v12, v45, s[0:1]
	v_lshl_add_u32 v12, v12, 10, v25
	v_cndmask_b32_e64 v44, v46, v44, s[0:1]
	v_and_or_b32 v2, v2, s54, v12
	v_lshl_or_b32 v2, v44, 7, v2
	v_cvt_f32_f16_e32 v44, v2
.LBB260_80:                             ;   in Loop: Header=BB260_13 Depth=1
	s_or_b64 exec, exec, s[42:43]
	global_load_dword v12, v[10:11], off offset:1024
	s_mov_b64 s[0:1], 0
                                        ; implicit-def: $sgpr44
	s_waitcnt vmcnt(0)
	v_cmp_gt_i16_sdwa s[40:41], v12, s52 src0_sel:BYTE_0 src1_sel:DWORD
	s_and_saveexec_b64 s[42:43], s[40:41]
	s_xor_b64 s[40:41], exec, s[42:43]
	s_cbranch_execnz .LBB260_242
; %bb.81:                               ;   in Loop: Header=BB260_13 Depth=1
	s_or_saveexec_b64 s[40:41], s[40:41]
	v_mov_b32_e32 v45, s44
	s_xor_b64 exec, exec, s[40:41]
	s_cbranch_execnz .LBB260_245
.LBB260_82:                             ;   in Loop: Header=BB260_13 Depth=1
	s_or_b64 exec, exec, s[40:41]
	s_and_saveexec_b64 s[40:41], s[0:1]
	s_cbranch_execz .LBB260_84
.LBB260_83:                             ;   in Loop: Header=BB260_13 Depth=1
	v_and_b32_e32 v2, 7, v12
	v_ffbh_u32_e32 v46, v2
	v_min_u32_e32 v48, 32, v46
	v_subrev_u32_e32 v46, 28, v48
	v_bfe_u32 v45, v12, 3, 4
	v_lshlrev_b64 v[46:47], v46, v[12:13]
	v_sub_u32_e32 v47, 29, v48
	v_cmp_eq_u32_e64 s[0:1], 0, v45
	v_and_b32_e32 v46, 7, v46
	s_nop 0
	v_cndmask_b32_e64 v45, v45, v47, s[0:1]
	v_cndmask_b32_e64 v2, v2, v46, s[0:1]
	v_lshlrev_b32_e32 v46, 8, v12
	v_lshl_add_u32 v45, v45, 10, v25
	v_and_or_b32 v45, v46, s54, v45
	v_lshl_or_b32 v2, v2, 7, v45
	v_cvt_f32_f16_e32 v45, v2
.LBB260_84:                             ;   in Loop: Header=BB260_13 Depth=1
	s_or_b64 exec, exec, s[40:41]
	v_lshrrev_b16_e32 v2, 8, v12
	v_cmp_lt_i16_e64 s[0:1], s52, v2
	s_mov_b64 s[40:41], 0
                                        ; implicit-def: $sgpr55
	s_and_saveexec_b64 s[42:43], s[0:1]
	s_xor_b64 s[42:43], exec, s[42:43]
	s_cbranch_execnz .LBB260_246
; %bb.85:                               ;   in Loop: Header=BB260_13 Depth=1
	s_or_saveexec_b64 s[42:43], s[42:43]
	v_mov_b32_e32 v46, s55
	s_xor_b64 exec, exec, s[42:43]
	s_cbranch_execnz .LBB260_249
.LBB260_86:                             ;   in Loop: Header=BB260_13 Depth=1
	s_or_b64 exec, exec, s[42:43]
	s_and_saveexec_b64 s[42:43], s[40:41]
	s_cbranch_execz .LBB260_88
.LBB260_87:                             ;   in Loop: Header=BB260_13 Depth=1
	v_and_b32_e32 v48, 7, v2
	v_ffbh_u32_e32 v46, v48
	v_min_u32_e32 v50, 32, v46
	v_subrev_u32_e32 v46, 28, v50
	v_bfe_u32 v49, v2, 3, 4
	v_lshlrev_b64 v[46:47], v46, v[2:3]
	v_sub_u32_e32 v47, 29, v50
	v_cmp_eq_u32_e64 s[0:1], 0, v49
	v_and_b32_e32 v46, 7, v46
	v_lshlrev_b32_e32 v2, 8, v2
	v_cndmask_b32_e64 v47, v49, v47, s[0:1]
	v_lshl_add_u32 v47, v47, 10, v25
	v_cndmask_b32_e64 v46, v48, v46, s[0:1]
	v_and_or_b32 v2, v2, s54, v47
	v_lshl_or_b32 v2, v46, 7, v2
	v_cvt_f32_f16_e32 v46, v2
.LBB260_88:                             ;   in Loop: Header=BB260_13 Depth=1
	s_or_b64 exec, exec, s[42:43]
	v_lshrrev_b32_e32 v2, 16, v12
	v_cmp_gt_i16_sdwa s[40:41], v2, s52 src0_sel:BYTE_0 src1_sel:DWORD
	s_mov_b64 s[0:1], 0
                                        ; implicit-def: $sgpr44
	s_and_saveexec_b64 s[42:43], s[40:41]
	s_xor_b64 s[40:41], exec, s[42:43]
	s_cbranch_execnz .LBB260_250
; %bb.89:                               ;   in Loop: Header=BB260_13 Depth=1
	s_or_saveexec_b64 s[40:41], s[40:41]
	v_mov_b32_e32 v47, s44
	s_xor_b64 exec, exec, s[40:41]
	s_cbranch_execnz .LBB260_253
.LBB260_90:                             ;   in Loop: Header=BB260_13 Depth=1
	s_or_b64 exec, exec, s[40:41]
	s_and_saveexec_b64 s[40:41], s[0:1]
	s_cbranch_execz .LBB260_92
.LBB260_91:                             ;   in Loop: Header=BB260_13 Depth=1
	v_bfe_u32 v47, v12, 16, 3
	v_ffbh_u32_e32 v48, v47
	v_min_u32_e32 v51, 32, v48
	v_subrev_u32_e32 v48, 28, v51
	v_bfe_u32 v50, v12, 19, 4
	v_lshlrev_b64 v[48:49], v48, v[2:3]
	v_sub_u32_e32 v49, 29, v51
	v_cmp_eq_u32_e64 s[0:1], 0, v50
	v_and_b32_e32 v48, 7, v48
	v_lshlrev_b32_e32 v2, 8, v2
	v_cndmask_b32_e64 v49, v50, v49, s[0:1]
	v_cndmask_b32_e64 v47, v47, v48, s[0:1]
	v_lshl_add_u32 v48, v49, 10, v25
	v_and_or_b32 v2, v2, s54, v48
	v_lshl_or_b32 v2, v47, 7, v2
	v_cvt_f32_f16_e32 v47, v2
.LBB260_92:                             ;   in Loop: Header=BB260_13 Depth=1
	s_or_b64 exec, exec, s[40:41]
	v_lshrrev_b32_e32 v2, 24, v12
	v_cmp_lt_i16_e64 s[0:1], s52, v2
	s_mov_b64 s[40:41], 0
                                        ; implicit-def: $sgpr55
	s_and_saveexec_b64 s[42:43], s[0:1]
	s_xor_b64 s[42:43], exec, s[42:43]
	s_cbranch_execnz .LBB260_254
; %bb.93:                               ;   in Loop: Header=BB260_13 Depth=1
	s_or_saveexec_b64 s[42:43], s[42:43]
	v_mov_b32_e32 v48, s55
	s_xor_b64 exec, exec, s[42:43]
	s_cbranch_execnz .LBB260_257
.LBB260_94:                             ;   in Loop: Header=BB260_13 Depth=1
	s_or_b64 exec, exec, s[42:43]
	s_and_saveexec_b64 s[42:43], s[40:41]
	s_cbranch_execz .LBB260_96
.LBB260_95:                             ;   in Loop: Header=BB260_13 Depth=1
	v_bfe_u32 v50, v12, 24, 3
	v_ffbh_u32_e32 v48, v50
	v_min_u32_e32 v51, 32, v48
	v_subrev_u32_e32 v48, 28, v51
	v_bfe_u32 v12, v12, 27, 4
	v_lshlrev_b64 v[48:49], v48, v[2:3]
	v_sub_u32_e32 v49, 29, v51
	v_cmp_eq_u32_e64 s[0:1], 0, v12
	v_and_b32_e32 v48, 7, v48
	v_lshlrev_b32_e32 v2, 8, v2
	v_cndmask_b32_e64 v12, v12, v49, s[0:1]
	v_lshl_add_u32 v12, v12, 10, v25
	v_cndmask_b32_e64 v48, v50, v48, s[0:1]
	v_and_or_b32 v2, v2, s54, v12
	v_lshl_or_b32 v2, v48, 7, v2
	v_cvt_f32_f16_e32 v48, v2
.LBB260_96:                             ;   in Loop: Header=BB260_13 Depth=1
	s_or_b64 exec, exec, s[42:43]
	global_load_dword v12, v[10:11], off offset:1032
	s_mov_b64 s[0:1], 0
                                        ; implicit-def: $sgpr44
	s_waitcnt vmcnt(0)
	v_cmp_gt_i16_sdwa s[40:41], v12, s52 src0_sel:BYTE_0 src1_sel:DWORD
	s_and_saveexec_b64 s[42:43], s[40:41]
	s_xor_b64 s[40:41], exec, s[42:43]
	s_cbranch_execnz .LBB260_258
; %bb.97:                               ;   in Loop: Header=BB260_13 Depth=1
	s_or_saveexec_b64 s[40:41], s[40:41]
	v_mov_b32_e32 v49, s44
	s_xor_b64 exec, exec, s[40:41]
	s_cbranch_execnz .LBB260_261
.LBB260_98:                             ;   in Loop: Header=BB260_13 Depth=1
	s_or_b64 exec, exec, s[40:41]
	s_and_saveexec_b64 s[40:41], s[0:1]
	s_cbranch_execz .LBB260_100
.LBB260_99:                             ;   in Loop: Header=BB260_13 Depth=1
	v_and_b32_e32 v2, 7, v12
	v_ffbh_u32_e32 v50, v2
	v_min_u32_e32 v52, 32, v50
	v_subrev_u32_e32 v50, 28, v52
	v_bfe_u32 v49, v12, 3, 4
	v_lshlrev_b64 v[50:51], v50, v[12:13]
	v_sub_u32_e32 v51, 29, v52
	v_cmp_eq_u32_e64 s[0:1], 0, v49
	v_and_b32_e32 v50, 7, v50
	s_nop 0
	v_cndmask_b32_e64 v49, v49, v51, s[0:1]
	v_cndmask_b32_e64 v2, v2, v50, s[0:1]
	v_lshlrev_b32_e32 v50, 8, v12
	v_lshl_add_u32 v49, v49, 10, v25
	v_and_or_b32 v49, v50, s54, v49
	v_lshl_or_b32 v2, v2, 7, v49
	v_cvt_f32_f16_e32 v49, v2
.LBB260_100:                            ;   in Loop: Header=BB260_13 Depth=1
	s_or_b64 exec, exec, s[40:41]
	v_lshrrev_b16_e32 v2, 8, v12
	v_cmp_lt_i16_e64 s[0:1], s52, v2
	s_mov_b64 s[40:41], 0
                                        ; implicit-def: $sgpr55
	s_and_saveexec_b64 s[42:43], s[0:1]
	s_xor_b64 s[42:43], exec, s[42:43]
	s_cbranch_execnz .LBB260_262
; %bb.101:                              ;   in Loop: Header=BB260_13 Depth=1
	s_or_saveexec_b64 s[42:43], s[42:43]
	v_mov_b32_e32 v50, s55
	s_xor_b64 exec, exec, s[42:43]
	s_cbranch_execnz .LBB260_265
.LBB260_102:                            ;   in Loop: Header=BB260_13 Depth=1
	s_or_b64 exec, exec, s[42:43]
	s_and_saveexec_b64 s[42:43], s[40:41]
	s_cbranch_execz .LBB260_104
.LBB260_103:                            ;   in Loop: Header=BB260_13 Depth=1
	v_and_b32_e32 v52, 7, v2
	v_ffbh_u32_e32 v50, v52
	v_min_u32_e32 v54, 32, v50
	v_subrev_u32_e32 v50, 28, v54
	v_bfe_u32 v53, v2, 3, 4
	v_lshlrev_b64 v[50:51], v50, v[2:3]
	v_sub_u32_e32 v51, 29, v54
	v_cmp_eq_u32_e64 s[0:1], 0, v53
	v_and_b32_e32 v50, 7, v50
	v_lshlrev_b32_e32 v2, 8, v2
	v_cndmask_b32_e64 v51, v53, v51, s[0:1]
	v_lshl_add_u32 v51, v51, 10, v25
	v_cndmask_b32_e64 v50, v52, v50, s[0:1]
	v_and_or_b32 v2, v2, s54, v51
	v_lshl_or_b32 v2, v50, 7, v2
	v_cvt_f32_f16_e32 v50, v2
.LBB260_104:                            ;   in Loop: Header=BB260_13 Depth=1
	s_or_b64 exec, exec, s[42:43]
	v_lshrrev_b32_e32 v2, 16, v12
	v_cmp_gt_i16_sdwa s[40:41], v2, s52 src0_sel:BYTE_0 src1_sel:DWORD
	s_mov_b64 s[0:1], 0
                                        ; implicit-def: $sgpr44
	s_and_saveexec_b64 s[42:43], s[40:41]
	s_xor_b64 s[40:41], exec, s[42:43]
	s_cbranch_execnz .LBB260_266
; %bb.105:                              ;   in Loop: Header=BB260_13 Depth=1
	s_or_saveexec_b64 s[40:41], s[40:41]
	v_mov_b32_e32 v51, s44
	s_xor_b64 exec, exec, s[40:41]
	s_cbranch_execnz .LBB260_269
.LBB260_106:                            ;   in Loop: Header=BB260_13 Depth=1
	s_or_b64 exec, exec, s[40:41]
	s_and_saveexec_b64 s[40:41], s[0:1]
	s_cbranch_execz .LBB260_108
.LBB260_107:                            ;   in Loop: Header=BB260_13 Depth=1
	v_bfe_u32 v51, v12, 16, 3
	v_ffbh_u32_e32 v52, v51
	v_min_u32_e32 v55, 32, v52
	v_subrev_u32_e32 v52, 28, v55
	v_bfe_u32 v54, v12, 19, 4
	v_lshlrev_b64 v[52:53], v52, v[2:3]
	v_sub_u32_e32 v53, 29, v55
	v_cmp_eq_u32_e64 s[0:1], 0, v54
	v_and_b32_e32 v52, 7, v52
	v_lshlrev_b32_e32 v2, 8, v2
	v_cndmask_b32_e64 v53, v54, v53, s[0:1]
	v_cndmask_b32_e64 v51, v51, v52, s[0:1]
	v_lshl_add_u32 v52, v53, 10, v25
	v_and_or_b32 v2, v2, s54, v52
	v_lshl_or_b32 v2, v51, 7, v2
	v_cvt_f32_f16_e32 v51, v2
.LBB260_108:                            ;   in Loop: Header=BB260_13 Depth=1
	s_or_b64 exec, exec, s[40:41]
	v_lshrrev_b32_e32 v2, 24, v12
	v_cmp_lt_i16_e64 s[0:1], s52, v2
	s_mov_b64 s[40:41], 0
                                        ; implicit-def: $sgpr55
	s_and_saveexec_b64 s[42:43], s[0:1]
	s_xor_b64 s[42:43], exec, s[42:43]
	s_cbranch_execnz .LBB260_270
; %bb.109:                              ;   in Loop: Header=BB260_13 Depth=1
	s_or_saveexec_b64 s[42:43], s[42:43]
	v_mov_b32_e32 v52, s55
	s_xor_b64 exec, exec, s[42:43]
	s_cbranch_execnz .LBB260_273
.LBB260_110:                            ;   in Loop: Header=BB260_13 Depth=1
	s_or_b64 exec, exec, s[42:43]
	s_and_saveexec_b64 s[42:43], s[40:41]
	s_cbranch_execz .LBB260_112
.LBB260_111:                            ;   in Loop: Header=BB260_13 Depth=1
	v_bfe_u32 v54, v12, 24, 3
	v_ffbh_u32_e32 v52, v54
	v_min_u32_e32 v55, 32, v52
	v_subrev_u32_e32 v52, 28, v55
	v_bfe_u32 v12, v12, 27, 4
	v_lshlrev_b64 v[52:53], v52, v[2:3]
	v_sub_u32_e32 v53, 29, v55
	v_cmp_eq_u32_e64 s[0:1], 0, v12
	v_and_b32_e32 v52, 7, v52
	v_lshlrev_b32_e32 v2, 8, v2
	v_cndmask_b32_e64 v12, v12, v53, s[0:1]
	v_lshl_add_u32 v12, v12, 10, v25
	v_cndmask_b32_e64 v52, v54, v52, s[0:1]
	v_and_or_b32 v2, v2, s54, v12
	v_lshl_or_b32 v2, v52, 7, v2
	v_cvt_f32_f16_e32 v52, v2
.LBB260_112:                            ;   in Loop: Header=BB260_13 Depth=1
	s_or_b64 exec, exec, s[42:43]
	global_load_dword v12, v[10:11], off offset:1536
	s_mov_b64 s[0:1], 0
                                        ; implicit-def: $sgpr44
	s_waitcnt vmcnt(0)
	v_cmp_gt_i16_sdwa s[40:41], v12, s52 src0_sel:BYTE_0 src1_sel:DWORD
	s_and_saveexec_b64 s[42:43], s[40:41]
	s_xor_b64 s[40:41], exec, s[42:43]
	s_cbranch_execnz .LBB260_274
; %bb.113:                              ;   in Loop: Header=BB260_13 Depth=1
	s_or_saveexec_b64 s[40:41], s[40:41]
	v_mov_b32_e32 v53, s44
	s_xor_b64 exec, exec, s[40:41]
	s_cbranch_execnz .LBB260_277
.LBB260_114:                            ;   in Loop: Header=BB260_13 Depth=1
	s_or_b64 exec, exec, s[40:41]
	s_and_saveexec_b64 s[40:41], s[0:1]
	s_cbranch_execz .LBB260_116
.LBB260_115:                            ;   in Loop: Header=BB260_13 Depth=1
	v_and_b32_e32 v2, 7, v12
	v_ffbh_u32_e32 v54, v2
	v_min_u32_e32 v56, 32, v54
	v_subrev_u32_e32 v54, 28, v56
	v_bfe_u32 v53, v12, 3, 4
	v_lshlrev_b64 v[54:55], v54, v[12:13]
	v_sub_u32_e32 v55, 29, v56
	v_cmp_eq_u32_e64 s[0:1], 0, v53
	v_and_b32_e32 v54, 7, v54
	s_nop 0
	v_cndmask_b32_e64 v53, v53, v55, s[0:1]
	v_cndmask_b32_e64 v2, v2, v54, s[0:1]
	v_lshlrev_b32_e32 v54, 8, v12
	v_lshl_add_u32 v53, v53, 10, v25
	v_and_or_b32 v53, v54, s54, v53
	v_lshl_or_b32 v2, v2, 7, v53
	v_cvt_f32_f16_e32 v53, v2
.LBB260_116:                            ;   in Loop: Header=BB260_13 Depth=1
	s_or_b64 exec, exec, s[40:41]
	v_lshrrev_b16_e32 v2, 8, v12
	v_cmp_lt_i16_e64 s[0:1], s52, v2
	s_mov_b64 s[40:41], 0
                                        ; implicit-def: $sgpr55
	s_and_saveexec_b64 s[42:43], s[0:1]
	s_xor_b64 s[42:43], exec, s[42:43]
	s_cbranch_execnz .LBB260_278
; %bb.117:                              ;   in Loop: Header=BB260_13 Depth=1
	s_or_saveexec_b64 s[42:43], s[42:43]
	v_mov_b32_e32 v54, s55
	s_xor_b64 exec, exec, s[42:43]
	s_cbranch_execnz .LBB260_281
.LBB260_118:                            ;   in Loop: Header=BB260_13 Depth=1
	s_or_b64 exec, exec, s[42:43]
	s_and_saveexec_b64 s[42:43], s[40:41]
	s_cbranch_execz .LBB260_120
.LBB260_119:                            ;   in Loop: Header=BB260_13 Depth=1
	v_and_b32_e32 v56, 7, v2
	v_ffbh_u32_e32 v54, v56
	v_min_u32_e32 v58, 32, v54
	v_subrev_u32_e32 v54, 28, v58
	v_bfe_u32 v57, v2, 3, 4
	v_lshlrev_b64 v[54:55], v54, v[2:3]
	v_sub_u32_e32 v55, 29, v58
	v_cmp_eq_u32_e64 s[0:1], 0, v57
	v_and_b32_e32 v54, 7, v54
	v_lshlrev_b32_e32 v2, 8, v2
	v_cndmask_b32_e64 v55, v57, v55, s[0:1]
	v_lshl_add_u32 v55, v55, 10, v25
	v_cndmask_b32_e64 v54, v56, v54, s[0:1]
	v_and_or_b32 v2, v2, s54, v55
	v_lshl_or_b32 v2, v54, 7, v2
	v_cvt_f32_f16_e32 v54, v2
.LBB260_120:                            ;   in Loop: Header=BB260_13 Depth=1
	s_or_b64 exec, exec, s[42:43]
	v_lshrrev_b32_e32 v2, 16, v12
	v_cmp_gt_i16_sdwa s[40:41], v2, s52 src0_sel:BYTE_0 src1_sel:DWORD
	s_mov_b64 s[0:1], 0
                                        ; implicit-def: $sgpr44
	s_and_saveexec_b64 s[42:43], s[40:41]
	s_xor_b64 s[40:41], exec, s[42:43]
	s_cbranch_execnz .LBB260_282
; %bb.121:                              ;   in Loop: Header=BB260_13 Depth=1
	s_or_saveexec_b64 s[40:41], s[40:41]
	v_mov_b32_e32 v55, s44
	s_xor_b64 exec, exec, s[40:41]
	s_cbranch_execnz .LBB260_285
.LBB260_122:                            ;   in Loop: Header=BB260_13 Depth=1
	s_or_b64 exec, exec, s[40:41]
	s_and_saveexec_b64 s[40:41], s[0:1]
	s_cbranch_execz .LBB260_124
.LBB260_123:                            ;   in Loop: Header=BB260_13 Depth=1
	v_bfe_u32 v55, v12, 16, 3
	v_ffbh_u32_e32 v56, v55
	v_min_u32_e32 v59, 32, v56
	v_subrev_u32_e32 v56, 28, v59
	v_bfe_u32 v58, v12, 19, 4
	v_lshlrev_b64 v[56:57], v56, v[2:3]
	v_sub_u32_e32 v57, 29, v59
	v_cmp_eq_u32_e64 s[0:1], 0, v58
	v_and_b32_e32 v56, 7, v56
	v_lshlrev_b32_e32 v2, 8, v2
	v_cndmask_b32_e64 v57, v58, v57, s[0:1]
	v_cndmask_b32_e64 v55, v55, v56, s[0:1]
	v_lshl_add_u32 v56, v57, 10, v25
	v_and_or_b32 v2, v2, s54, v56
	v_lshl_or_b32 v2, v55, 7, v2
	v_cvt_f32_f16_e32 v55, v2
.LBB260_124:                            ;   in Loop: Header=BB260_13 Depth=1
	s_or_b64 exec, exec, s[40:41]
	v_lshrrev_b32_e32 v2, 24, v12
	v_cmp_lt_i16_e64 s[0:1], s52, v2
	s_mov_b64 s[40:41], 0
                                        ; implicit-def: $sgpr55
	s_and_saveexec_b64 s[42:43], s[0:1]
	s_xor_b64 s[42:43], exec, s[42:43]
	s_cbranch_execnz .LBB260_286
; %bb.125:                              ;   in Loop: Header=BB260_13 Depth=1
	s_or_saveexec_b64 s[42:43], s[42:43]
	v_mov_b32_e32 v56, s55
	s_xor_b64 exec, exec, s[42:43]
	s_cbranch_execnz .LBB260_289
.LBB260_126:                            ;   in Loop: Header=BB260_13 Depth=1
	s_or_b64 exec, exec, s[42:43]
	s_and_saveexec_b64 s[42:43], s[40:41]
	s_cbranch_execz .LBB260_128
.LBB260_127:                            ;   in Loop: Header=BB260_13 Depth=1
	v_bfe_u32 v58, v12, 24, 3
	v_ffbh_u32_e32 v56, v58
	v_min_u32_e32 v59, 32, v56
	v_subrev_u32_e32 v56, 28, v59
	v_bfe_u32 v12, v12, 27, 4
	v_lshlrev_b64 v[56:57], v56, v[2:3]
	v_sub_u32_e32 v57, 29, v59
	v_cmp_eq_u32_e64 s[0:1], 0, v12
	v_and_b32_e32 v56, 7, v56
	v_lshlrev_b32_e32 v2, 8, v2
	v_cndmask_b32_e64 v12, v12, v57, s[0:1]
	v_lshl_add_u32 v12, v12, 10, v25
	v_cndmask_b32_e64 v56, v58, v56, s[0:1]
	v_and_or_b32 v2, v2, s54, v12
	v_lshl_or_b32 v2, v56, 7, v2
	v_cvt_f32_f16_e32 v56, v2
.LBB260_128:                            ;   in Loop: Header=BB260_13 Depth=1
	s_or_b64 exec, exec, s[42:43]
	global_load_dword v12, v[10:11], off offset:1544
	s_mov_b64 s[0:1], 0
                                        ; implicit-def: $sgpr44
	s_waitcnt vmcnt(0)
	v_cmp_gt_i16_sdwa s[40:41], v12, s52 src0_sel:BYTE_0 src1_sel:DWORD
	s_and_saveexec_b64 s[42:43], s[40:41]
	s_xor_b64 s[40:41], exec, s[42:43]
	s_cbranch_execnz .LBB260_290
; %bb.129:                              ;   in Loop: Header=BB260_13 Depth=1
	s_or_saveexec_b64 s[40:41], s[40:41]
	v_mov_b32_e32 v57, s44
	s_xor_b64 exec, exec, s[40:41]
	s_cbranch_execnz .LBB260_293
.LBB260_130:                            ;   in Loop: Header=BB260_13 Depth=1
	s_or_b64 exec, exec, s[40:41]
	s_and_saveexec_b64 s[40:41], s[0:1]
	s_cbranch_execz .LBB260_132
.LBB260_131:                            ;   in Loop: Header=BB260_13 Depth=1
	v_and_b32_e32 v2, 7, v12
	v_ffbh_u32_e32 v58, v2
	v_min_u32_e32 v60, 32, v58
	v_subrev_u32_e32 v58, 28, v60
	v_bfe_u32 v57, v12, 3, 4
	v_lshlrev_b64 v[58:59], v58, v[12:13]
	v_sub_u32_e32 v59, 29, v60
	v_cmp_eq_u32_e64 s[0:1], 0, v57
	v_and_b32_e32 v58, 7, v58
	s_nop 0
	v_cndmask_b32_e64 v57, v57, v59, s[0:1]
	v_cndmask_b32_e64 v2, v2, v58, s[0:1]
	v_lshlrev_b32_e32 v58, 8, v12
	v_lshl_add_u32 v57, v57, 10, v25
	v_and_or_b32 v57, v58, s54, v57
	v_lshl_or_b32 v2, v2, 7, v57
	v_cvt_f32_f16_e32 v57, v2
.LBB260_132:                            ;   in Loop: Header=BB260_13 Depth=1
	s_or_b64 exec, exec, s[40:41]
	v_lshrrev_b16_e32 v2, 8, v12
	v_cmp_lt_i16_e64 s[0:1], s52, v2
	s_mov_b64 s[40:41], 0
                                        ; implicit-def: $sgpr55
	s_and_saveexec_b64 s[42:43], s[0:1]
	s_xor_b64 s[42:43], exec, s[42:43]
	s_cbranch_execnz .LBB260_294
; %bb.133:                              ;   in Loop: Header=BB260_13 Depth=1
	s_or_saveexec_b64 s[42:43], s[42:43]
	v_mov_b32_e32 v58, s55
	s_xor_b64 exec, exec, s[42:43]
	s_cbranch_execnz .LBB260_297
.LBB260_134:                            ;   in Loop: Header=BB260_13 Depth=1
	s_or_b64 exec, exec, s[42:43]
	s_and_saveexec_b64 s[42:43], s[40:41]
	s_cbranch_execz .LBB260_136
.LBB260_135:                            ;   in Loop: Header=BB260_13 Depth=1
	v_and_b32_e32 v60, 7, v2
	v_ffbh_u32_e32 v58, v60
	v_min_u32_e32 v62, 32, v58
	v_subrev_u32_e32 v58, 28, v62
	v_bfe_u32 v61, v2, 3, 4
	v_lshlrev_b64 v[58:59], v58, v[2:3]
	v_sub_u32_e32 v59, 29, v62
	v_cmp_eq_u32_e64 s[0:1], 0, v61
	v_and_b32_e32 v58, 7, v58
	v_lshlrev_b32_e32 v2, 8, v2
	v_cndmask_b32_e64 v59, v61, v59, s[0:1]
	v_lshl_add_u32 v59, v59, 10, v25
	v_cndmask_b32_e64 v58, v60, v58, s[0:1]
	v_and_or_b32 v2, v2, s54, v59
	v_lshl_or_b32 v2, v58, 7, v2
	v_cvt_f32_f16_e32 v58, v2
.LBB260_136:                            ;   in Loop: Header=BB260_13 Depth=1
	s_or_b64 exec, exec, s[42:43]
	v_lshrrev_b32_e32 v2, 16, v12
	v_cmp_gt_i16_sdwa s[40:41], v2, s52 src0_sel:BYTE_0 src1_sel:DWORD
	s_mov_b64 s[0:1], 0
                                        ; implicit-def: $sgpr44
	s_and_saveexec_b64 s[42:43], s[40:41]
	s_xor_b64 s[40:41], exec, s[42:43]
	s_cbranch_execnz .LBB260_298
; %bb.137:                              ;   in Loop: Header=BB260_13 Depth=1
	s_or_saveexec_b64 s[40:41], s[40:41]
	v_mov_b32_e32 v59, s44
	s_xor_b64 exec, exec, s[40:41]
	s_cbranch_execnz .LBB260_301
.LBB260_138:                            ;   in Loop: Header=BB260_13 Depth=1
	s_or_b64 exec, exec, s[40:41]
	s_and_saveexec_b64 s[40:41], s[0:1]
	s_cbranch_execz .LBB260_140
.LBB260_139:                            ;   in Loop: Header=BB260_13 Depth=1
	v_bfe_u32 v59, v12, 16, 3
	v_ffbh_u32_e32 v60, v59
	v_min_u32_e32 v63, 32, v60
	v_subrev_u32_e32 v60, 28, v63
	v_bfe_u32 v62, v12, 19, 4
	v_lshlrev_b64 v[60:61], v60, v[2:3]
	v_sub_u32_e32 v61, 29, v63
	v_cmp_eq_u32_e64 s[0:1], 0, v62
	v_and_b32_e32 v60, 7, v60
	v_lshlrev_b32_e32 v2, 8, v2
	v_cndmask_b32_e64 v61, v62, v61, s[0:1]
	v_cndmask_b32_e64 v59, v59, v60, s[0:1]
	v_lshl_add_u32 v60, v61, 10, v25
	v_and_or_b32 v2, v2, s54, v60
	v_lshl_or_b32 v2, v59, 7, v2
	v_cvt_f32_f16_e32 v59, v2
.LBB260_140:                            ;   in Loop: Header=BB260_13 Depth=1
	s_or_b64 exec, exec, s[40:41]
	v_lshrrev_b32_e32 v2, 24, v12
	v_cmp_lt_i16_e64 s[0:1], s52, v2
	s_mov_b64 s[40:41], 0
                                        ; implicit-def: $sgpr55
	s_and_saveexec_b64 s[42:43], s[0:1]
	s_xor_b64 s[42:43], exec, s[42:43]
	s_cbranch_execnz .LBB260_302
; %bb.141:                              ;   in Loop: Header=BB260_13 Depth=1
	s_or_saveexec_b64 s[42:43], s[42:43]
	v_mov_b32_e32 v60, s55
	s_xor_b64 exec, exec, s[42:43]
	s_cbranch_execnz .LBB260_305
.LBB260_142:                            ;   in Loop: Header=BB260_13 Depth=1
	s_or_b64 exec, exec, s[42:43]
	s_and_saveexec_b64 s[42:43], s[40:41]
	s_cbranch_execz .LBB260_144
.LBB260_143:                            ;   in Loop: Header=BB260_13 Depth=1
	v_bfe_u32 v62, v12, 24, 3
	v_ffbh_u32_e32 v60, v62
	v_min_u32_e32 v63, 32, v60
	v_subrev_u32_e32 v60, 28, v63
	v_bfe_u32 v12, v12, 27, 4
	v_lshlrev_b64 v[60:61], v60, v[2:3]
	v_sub_u32_e32 v61, 29, v63
	v_cmp_eq_u32_e64 s[0:1], 0, v12
	v_and_b32_e32 v60, 7, v60
	v_lshlrev_b32_e32 v2, 8, v2
	v_cndmask_b32_e64 v12, v12, v61, s[0:1]
	v_lshl_add_u32 v12, v12, 10, v25
	v_cndmask_b32_e64 v60, v62, v60, s[0:1]
	v_and_or_b32 v2, v2, s54, v12
	v_lshl_or_b32 v2, v60, 7, v2
	v_cvt_f32_f16_e32 v60, v2
.LBB260_144:                            ;   in Loop: Header=BB260_13 Depth=1
	s_or_b64 exec, exec, s[42:43]
	global_load_dword v12, v[10:11], off offset:2048
	s_mov_b64 s[0:1], 0
                                        ; implicit-def: $sgpr44
	s_waitcnt vmcnt(0)
	v_cmp_gt_i16_sdwa s[40:41], v12, s52 src0_sel:BYTE_0 src1_sel:DWORD
	s_and_saveexec_b64 s[42:43], s[40:41]
	s_xor_b64 s[40:41], exec, s[42:43]
	s_cbranch_execnz .LBB260_306
; %bb.145:                              ;   in Loop: Header=BB260_13 Depth=1
	s_or_saveexec_b64 s[40:41], s[40:41]
	v_mov_b32_e32 v61, s44
	s_xor_b64 exec, exec, s[40:41]
	s_cbranch_execnz .LBB260_309
.LBB260_146:                            ;   in Loop: Header=BB260_13 Depth=1
	s_or_b64 exec, exec, s[40:41]
	s_and_saveexec_b64 s[40:41], s[0:1]
	s_cbranch_execz .LBB260_148
.LBB260_147:                            ;   in Loop: Header=BB260_13 Depth=1
	v_and_b32_e32 v2, 7, v12
	v_ffbh_u32_e32 v62, v2
	v_min_u32_e32 v64, 32, v62
	v_subrev_u32_e32 v62, 28, v64
	v_bfe_u32 v61, v12, 3, 4
	v_lshlrev_b64 v[62:63], v62, v[12:13]
	v_sub_u32_e32 v63, 29, v64
	v_cmp_eq_u32_e64 s[0:1], 0, v61
	v_and_b32_e32 v62, 7, v62
	s_nop 0
	v_cndmask_b32_e64 v61, v61, v63, s[0:1]
	v_cndmask_b32_e64 v2, v2, v62, s[0:1]
	v_lshlrev_b32_e32 v62, 8, v12
	v_lshl_add_u32 v61, v61, 10, v25
	v_and_or_b32 v61, v62, s54, v61
	v_lshl_or_b32 v2, v2, 7, v61
	v_cvt_f32_f16_e32 v61, v2
.LBB260_148:                            ;   in Loop: Header=BB260_13 Depth=1
	s_or_b64 exec, exec, s[40:41]
	v_lshrrev_b16_e32 v2, 8, v12
	v_cmp_lt_i16_e64 s[0:1], s52, v2
	s_mov_b64 s[40:41], 0
                                        ; implicit-def: $sgpr55
	s_and_saveexec_b64 s[42:43], s[0:1]
	s_xor_b64 s[42:43], exec, s[42:43]
	s_cbranch_execnz .LBB260_310
; %bb.149:                              ;   in Loop: Header=BB260_13 Depth=1
	s_or_saveexec_b64 s[42:43], s[42:43]
	v_mov_b32_e32 v62, s55
	s_xor_b64 exec, exec, s[42:43]
	s_cbranch_execnz .LBB260_313
.LBB260_150:                            ;   in Loop: Header=BB260_13 Depth=1
	s_or_b64 exec, exec, s[42:43]
	s_and_saveexec_b64 s[42:43], s[40:41]
	s_cbranch_execz .LBB260_152
.LBB260_151:                            ;   in Loop: Header=BB260_13 Depth=1
	v_and_b32_e32 v64, 7, v2
	v_ffbh_u32_e32 v62, v64
	v_min_u32_e32 v66, 32, v62
	v_subrev_u32_e32 v62, 28, v66
	v_bfe_u32 v65, v2, 3, 4
	v_lshlrev_b64 v[62:63], v62, v[2:3]
	v_sub_u32_e32 v63, 29, v66
	v_cmp_eq_u32_e64 s[0:1], 0, v65
	v_and_b32_e32 v62, 7, v62
	v_lshlrev_b32_e32 v2, 8, v2
	v_cndmask_b32_e64 v63, v65, v63, s[0:1]
	v_lshl_add_u32 v63, v63, 10, v25
	v_cndmask_b32_e64 v62, v64, v62, s[0:1]
	v_and_or_b32 v2, v2, s54, v63
	v_lshl_or_b32 v2, v62, 7, v2
	v_cvt_f32_f16_e32 v62, v2
.LBB260_152:                            ;   in Loop: Header=BB260_13 Depth=1
	s_or_b64 exec, exec, s[42:43]
	v_lshrrev_b32_e32 v2, 16, v12
	v_cmp_gt_i16_sdwa s[40:41], v2, s52 src0_sel:BYTE_0 src1_sel:DWORD
	s_mov_b64 s[0:1], 0
                                        ; implicit-def: $sgpr44
	s_and_saveexec_b64 s[42:43], s[40:41]
	s_xor_b64 s[40:41], exec, s[42:43]
	s_cbranch_execnz .LBB260_314
; %bb.153:                              ;   in Loop: Header=BB260_13 Depth=1
	s_or_saveexec_b64 s[40:41], s[40:41]
	v_mov_b32_e32 v63, s44
	s_xor_b64 exec, exec, s[40:41]
	s_cbranch_execnz .LBB260_317
.LBB260_154:                            ;   in Loop: Header=BB260_13 Depth=1
	s_or_b64 exec, exec, s[40:41]
	s_and_saveexec_b64 s[40:41], s[0:1]
	s_cbranch_execz .LBB260_156
.LBB260_155:                            ;   in Loop: Header=BB260_13 Depth=1
	v_bfe_u32 v63, v12, 16, 3
	v_ffbh_u32_e32 v64, v63
	v_min_u32_e32 v67, 32, v64
	v_subrev_u32_e32 v64, 28, v67
	v_bfe_u32 v66, v12, 19, 4
	v_lshlrev_b64 v[64:65], v64, v[2:3]
	v_sub_u32_e32 v65, 29, v67
	v_cmp_eq_u32_e64 s[0:1], 0, v66
	v_and_b32_e32 v64, 7, v64
	v_lshlrev_b32_e32 v2, 8, v2
	v_cndmask_b32_e64 v65, v66, v65, s[0:1]
	v_cndmask_b32_e64 v63, v63, v64, s[0:1]
	v_lshl_add_u32 v64, v65, 10, v25
	v_and_or_b32 v2, v2, s54, v64
	v_lshl_or_b32 v2, v63, 7, v2
	v_cvt_f32_f16_e32 v63, v2
.LBB260_156:                            ;   in Loop: Header=BB260_13 Depth=1
	s_or_b64 exec, exec, s[40:41]
	v_lshrrev_b32_e32 v2, 24, v12
	v_cmp_lt_i16_e64 s[0:1], s52, v2
	s_mov_b64 s[40:41], 0
                                        ; implicit-def: $sgpr55
	s_and_saveexec_b64 s[42:43], s[0:1]
	s_xor_b64 s[42:43], exec, s[42:43]
	s_cbranch_execnz .LBB260_318
; %bb.157:                              ;   in Loop: Header=BB260_13 Depth=1
	s_or_saveexec_b64 s[42:43], s[42:43]
	v_mov_b32_e32 v64, s55
	s_xor_b64 exec, exec, s[42:43]
	s_cbranch_execnz .LBB260_321
.LBB260_158:                            ;   in Loop: Header=BB260_13 Depth=1
	s_or_b64 exec, exec, s[42:43]
	s_and_saveexec_b64 s[42:43], s[40:41]
	s_cbranch_execz .LBB260_160
.LBB260_159:                            ;   in Loop: Header=BB260_13 Depth=1
	v_bfe_u32 v66, v12, 24, 3
	v_ffbh_u32_e32 v64, v66
	v_min_u32_e32 v67, 32, v64
	v_subrev_u32_e32 v64, 28, v67
	v_bfe_u32 v12, v12, 27, 4
	v_lshlrev_b64 v[64:65], v64, v[2:3]
	v_sub_u32_e32 v65, 29, v67
	v_cmp_eq_u32_e64 s[0:1], 0, v12
	v_and_b32_e32 v64, 7, v64
	v_lshlrev_b32_e32 v2, 8, v2
	v_cndmask_b32_e64 v12, v12, v65, s[0:1]
	v_lshl_add_u32 v12, v12, 10, v25
	v_cndmask_b32_e64 v64, v66, v64, s[0:1]
	v_and_or_b32 v2, v2, s54, v12
	v_lshl_or_b32 v2, v64, 7, v2
	v_cvt_f32_f16_e32 v64, v2
.LBB260_160:                            ;   in Loop: Header=BB260_13 Depth=1
	s_or_b64 exec, exec, s[42:43]
	global_load_dword v10, v[10:11], off offset:2056
	s_mov_b64 s[0:1], 0
                                        ; implicit-def: $sgpr44
	s_waitcnt vmcnt(0)
	v_cmp_gt_i16_sdwa s[40:41], v10, s52 src0_sel:BYTE_0 src1_sel:DWORD
	s_and_saveexec_b64 s[42:43], s[40:41]
	s_xor_b64 s[40:41], exec, s[42:43]
	s_cbranch_execnz .LBB260_322
; %bb.161:                              ;   in Loop: Header=BB260_13 Depth=1
	s_or_saveexec_b64 s[40:41], s[40:41]
	v_mov_b32_e32 v11, s44
	s_xor_b64 exec, exec, s[40:41]
	s_cbranch_execnz .LBB260_325
.LBB260_162:                            ;   in Loop: Header=BB260_13 Depth=1
	s_or_b64 exec, exec, s[40:41]
	s_and_saveexec_b64 s[40:41], s[0:1]
	s_cbranch_execz .LBB260_164
.LBB260_163:                            ;   in Loop: Header=BB260_13 Depth=1
	v_and_b32_e32 v2, 7, v10
	v_ffbh_u32_e32 v12, v2
	v_bfe_u32 v11, v10, 3, 4
	v_min_u32_e32 v12, 32, v12
	v_subrev_u32_e32 v65, 28, v12
	v_sub_u32_e32 v12, 29, v12
	v_cmp_eq_u32_e64 s[0:1], 0, v11
	v_lshlrev_b64 v[66:67], v65, v[10:11]
	v_and_b32_e32 v65, 7, v66
	v_cndmask_b32_e64 v11, v11, v12, s[0:1]
	v_lshlrev_b32_e32 v12, 8, v10
	v_lshl_add_u32 v11, v11, 10, v25
	v_cndmask_b32_e64 v2, v2, v65, s[0:1]
	v_and_or_b32 v11, v12, s54, v11
	v_lshl_or_b32 v2, v2, 7, v11
	v_cvt_f32_f16_e32 v11, v2
.LBB260_164:                            ;   in Loop: Header=BB260_13 Depth=1
	s_or_b64 exec, exec, s[40:41]
	v_lshrrev_b16_e32 v2, 8, v10
	v_cmp_lt_i16_e64 s[0:1], s52, v2
	s_mov_b64 s[40:41], 0
                                        ; implicit-def: $sgpr55
	s_and_saveexec_b64 s[42:43], s[0:1]
	s_xor_b64 s[42:43], exec, s[42:43]
	s_cbranch_execnz .LBB260_326
; %bb.165:                              ;   in Loop: Header=BB260_13 Depth=1
	s_or_saveexec_b64 s[42:43], s[42:43]
	v_mov_b32_e32 v65, s55
	s_xor_b64 exec, exec, s[42:43]
	s_cbranch_execnz .LBB260_329
.LBB260_166:                            ;   in Loop: Header=BB260_13 Depth=1
	s_or_b64 exec, exec, s[42:43]
	s_and_saveexec_b64 s[42:43], s[40:41]
	s_cbranch_execz .LBB260_168
.LBB260_167:                            ;   in Loop: Header=BB260_13 Depth=1
	v_and_b32_e32 v12, 7, v2
	v_ffbh_u32_e32 v66, v12
	v_min_u32_e32 v68, 32, v66
	v_subrev_u32_e32 v66, 28, v68
	v_bfe_u32 v65, v2, 3, 4
	v_lshlrev_b64 v[66:67], v66, v[2:3]
	v_sub_u32_e32 v67, 29, v68
	v_cmp_eq_u32_e64 s[0:1], 0, v65
	v_and_b32_e32 v66, 7, v66
	v_lshlrev_b32_e32 v2, 8, v2
	v_cndmask_b32_e64 v65, v65, v67, s[0:1]
	v_lshl_add_u32 v65, v65, 10, v25
	v_cndmask_b32_e64 v12, v12, v66, s[0:1]
	v_and_or_b32 v2, v2, s54, v65
	v_lshl_or_b32 v2, v12, 7, v2
	v_cvt_f32_f16_e32 v65, v2
.LBB260_168:                            ;   in Loop: Header=BB260_13 Depth=1
	s_or_b64 exec, exec, s[42:43]
	v_lshrrev_b32_e32 v2, 16, v10
	v_cmp_gt_i16_sdwa s[40:41], v2, s52 src0_sel:BYTE_0 src1_sel:DWORD
	s_mov_b64 s[0:1], 0
                                        ; implicit-def: $sgpr44
	s_and_saveexec_b64 s[42:43], s[40:41]
	s_xor_b64 s[40:41], exec, s[42:43]
	s_cbranch_execnz .LBB260_330
; %bb.169:                              ;   in Loop: Header=BB260_13 Depth=1
	s_or_saveexec_b64 s[40:41], s[40:41]
	v_mov_b32_e32 v66, s44
	s_xor_b64 exec, exec, s[40:41]
	s_cbranch_execnz .LBB260_333
.LBB260_170:                            ;   in Loop: Header=BB260_13 Depth=1
	s_or_b64 exec, exec, s[40:41]
	s_and_saveexec_b64 s[40:41], s[0:1]
	s_cbranch_execz .LBB260_172
.LBB260_171:                            ;   in Loop: Header=BB260_13 Depth=1
	v_bfe_u32 v12, v10, 16, 3
	v_ffbh_u32_e32 v66, v12
	v_min_u32_e32 v69, 32, v66
	v_subrev_u32_e32 v66, 28, v69
	v_bfe_u32 v68, v10, 19, 4
	v_lshlrev_b64 v[66:67], v66, v[2:3]
	v_sub_u32_e32 v67, 29, v69
	v_cmp_eq_u32_e64 s[0:1], 0, v68
	v_and_b32_e32 v66, 7, v66
	v_lshlrev_b32_e32 v2, 8, v2
	v_cndmask_b32_e64 v67, v68, v67, s[0:1]
	v_cndmask_b32_e64 v12, v12, v66, s[0:1]
	v_lshl_add_u32 v66, v67, 10, v25
	v_and_or_b32 v2, v2, s54, v66
	v_lshl_or_b32 v2, v12, 7, v2
	v_cvt_f32_f16_e32 v66, v2
.LBB260_172:                            ;   in Loop: Header=BB260_13 Depth=1
	s_or_b64 exec, exec, s[40:41]
	v_lshrrev_b32_e32 v2, 24, v10
	v_cmp_lt_i16_e64 s[0:1], s52, v2
	s_mov_b64 s[40:41], 0
                                        ; implicit-def: $sgpr55
	s_and_saveexec_b64 s[42:43], s[0:1]
	s_xor_b64 s[42:43], exec, s[42:43]
	s_cbranch_execnz .LBB260_334
; %bb.173:                              ;   in Loop: Header=BB260_13 Depth=1
	s_or_saveexec_b64 s[42:43], s[42:43]
	v_mov_b32_e32 v67, s55
	s_xor_b64 exec, exec, s[42:43]
	s_cbranch_execnz .LBB260_337
.LBB260_174:                            ;   in Loop: Header=BB260_13 Depth=1
	s_or_b64 exec, exec, s[42:43]
	s_and_saveexec_b64 s[42:43], s[40:41]
	s_cbranch_execz .LBB260_176
.LBB260_175:                            ;   in Loop: Header=BB260_13 Depth=1
	v_bfe_u32 v12, v10, 24, 3
	v_ffbh_u32_e32 v67, v12
	v_bfe_u32 v10, v10, 27, 4
	v_min_u32_e32 v67, 32, v67
	v_subrev_u32_e32 v68, 28, v67
	v_sub_u32_e32 v67, 29, v67
	v_cmp_eq_u32_e64 s[0:1], 0, v10
	v_lshlrev_b64 v[68:69], v68, v[2:3]
	v_and_b32_e32 v68, 7, v68
	v_cndmask_b32_e64 v10, v10, v67, s[0:1]
	v_lshlrev_b32_e32 v2, 8, v2
	v_lshl_add_u32 v10, v10, 10, v25
	v_cndmask_b32_e64 v12, v12, v68, s[0:1]
	v_and_or_b32 v2, v2, s54, v10
	v_lshl_or_b32 v2, v12, 7, v2
	v_cvt_f32_f16_e32 v67, v2
.LBB260_176:                            ;   in Loop: Header=BB260_13 Depth=1
	s_or_b64 exec, exec, s[42:43]
	v_fma_mixlo_f16 v12, v28, v62, 0
	v_fma_mixlo_f16 v10, v28, v63, 0
	v_fma_mixlo_f16 v62, v28, v34, 0
	v_fma_mixlo_f16 v63, v28, v35, 0
	ds_read_b64 v[34:35], v18
	v_fma_mixlo_f16 v30, v28, v30, 0
	v_fma_mixlo_f16 v29, v28, v29, 0
	;; [unrolled: 1-line block ×3, first 2 shown]
	v_and_b32_e32 v29, 0xffff, v29
	s_waitcnt lgkmcnt(0)
	v_lshrrev_b32_e32 v64, 16, v34
	v_and_b32_e32 v34, 0xffff, v34
	v_and_b32_e32 v30, 0xffff, v30
	v_fma_mixlo_f16 v31, v28, v31, 0
	;;#ASMSTART
	v_cvt_f32_f16 v34, v34;
	;;#ASMEND
	;;#ASMSTART
	v_cvt_f32_f16 v64, v64;
	;;#ASMEND
	;; [unrolled: 3-line block ×4, first 2 shown]
	v_lshrrev_b32_e32 v30, 16, v35
	v_and_b32_e32 v35, 0xffff, v35
	v_fma_mixlo_f16 v32, v28, v32, 0
	;;#ASMSTART
	v_cvt_f32_f16 v35, v35;
	;;#ASMEND
	;;#ASMSTART
	v_cvt_f32_f16 v69, v30;
	;;#ASMEND
	v_and_b32_e32 v30, 0xffff, v31
	;;#ASMSTART
	v_cvt_f32_f16 v70, v30;
	;;#ASMEND
	v_and_b32_e32 v30, 0xffff, v32
	;;#ASMSTART
	v_cvt_f32_f16 v32, v30;
	;;#ASMEND
	ds_read_b64 v[30:31], v18 offset:8
	v_fma_mixlo_f16 v33, v28, v33, 0
	v_fma_mixlo_f16 v61, v28, v61, 0
	;; [unrolled: 1-line block ×31, first 2 shown]
	s_waitcnt lgkmcnt(0)
	v_lshrrev_b32_e32 v11, 16, v30
	v_and_b32_e32 v28, 0xffff, v30
	v_and_b32_e32 v30, 0xffff, v33
	;;#ASMSTART
	v_cvt_f32_f16 v28, v28;
	;;#ASMEND
	;;#ASMSTART
	v_cvt_f32_f16 v11, v11;
	;;#ASMEND
	;; [unrolled: 3-line block ×3, first 2 shown]
	v_and_b32_e32 v33, 0xffff, v62
	;;#ASMSTART
	v_cvt_f32_f16 v33, v33;
	;;#ASMEND
	v_mul_f32_e32 v30, v28, v30
	v_and_b32_e32 v28, 0xffff, v31
	v_mul_f32_e32 v33, v11, v33
	v_lshrrev_b32_e32 v11, 16, v31
	;;#ASMSTART
	v_cvt_f32_f16 v31, v28;
	;;#ASMEND
	v_and_b32_e32 v28, 0xffff, v63
	v_fmac_f32_e32 v30, v34, v29
	;;#ASMSTART
	v_cvt_f32_f16 v11, v11;
	;;#ASMEND
	;;#ASMSTART
	v_cvt_f32_f16 v34, v28;
	;;#ASMEND
	v_and_b32_e32 v28, 0xffff, v36
	;;#ASMSTART
	v_cvt_f32_f16 v36, v28;
	;;#ASMEND
	ds_read_b64 v[28:29], v18 offset:16
	v_mul_f32_e32 v31, v31, v34
	v_mul_f32_e32 v34, v11, v36
	v_fmac_f32_e32 v34, v69, v32
	v_fmac_f32_e32 v31, v35, v70
	s_waitcnt lgkmcnt(0)
	v_lshrrev_b32_e32 v11, 16, v28
	v_and_b32_e32 v28, 0xffff, v28
	;;#ASMSTART
	v_cvt_f32_f16 v32, v28;
	;;#ASMEND
	v_and_b32_e32 v28, 0xffff, v37
	;;#ASMSTART
	v_cvt_f32_f16 v11, v11;
	;;#ASMEND
	;;#ASMSTART
	v_cvt_f32_f16 v35, v28;
	;;#ASMEND
	v_and_b32_e32 v28, 0xffff, v38
	;;#ASMSTART
	v_cvt_f32_f16 v36, v28;
	;;#ASMEND
	v_lshrrev_b32_e32 v28, 16, v29
	v_and_b32_e32 v29, 0xffff, v29
	;;#ASMSTART
	v_cvt_f32_f16 v37, v29;
	;;#ASMEND
	;;#ASMSTART
	v_cvt_f32_f16 v38, v28;
	;;#ASMEND
	v_and_b32_e32 v28, 0xffff, v39
	;;#ASMSTART
	v_cvt_f32_f16 v39, v28;
	;;#ASMEND
	v_and_b32_e32 v28, 0xffff, v40
	;;#ASMSTART
	v_cvt_f32_f16 v40, v28;
	;;#ASMEND
	ds_read_b64 v[28:29], v18 offset:24
	v_fmac_f32_e32 v33, v64, v68
	v_fmac_f32_e32 v33, v11, v36
	;; [unrolled: 1-line block ×4, first 2 shown]
	s_waitcnt lgkmcnt(0)
	v_lshrrev_b32_e32 v11, 16, v28
	v_and_b32_e32 v28, 0xffff, v28
	;;#ASMSTART
	v_cvt_f32_f16 v32, v28;
	;;#ASMEND
	v_and_b32_e32 v28, 0xffff, v41
	;;#ASMSTART
	v_cvt_f32_f16 v11, v11;
	;;#ASMEND
	;;#ASMSTART
	v_cvt_f32_f16 v35, v28;
	;;#ASMEND
	v_and_b32_e32 v28, 0xffff, v42
	;;#ASMSTART
	v_cvt_f32_f16 v36, v28;
	;;#ASMEND
	v_lshrrev_b32_e32 v28, 16, v29
	v_fmac_f32_e32 v34, v38, v40
	v_and_b32_e32 v29, 0xffff, v29
	;;#ASMSTART
	v_cvt_f32_f16 v37, v29;
	;;#ASMEND
	;;#ASMSTART
	v_cvt_f32_f16 v38, v28;
	;;#ASMEND
	v_and_b32_e32 v28, 0xffff, v43
	;;#ASMSTART
	v_cvt_f32_f16 v39, v28;
	;;#ASMEND
	v_and_b32_e32 v28, 0xffff, v44
	;;#ASMSTART
	v_cvt_f32_f16 v40, v28;
	;;#ASMEND
	ds_read_b64 v[28:29], v18 offset:32
	v_fmac_f32_e32 v33, v11, v36
	v_fmac_f32_e32 v30, v32, v35
	v_fmac_f32_e32 v31, v37, v39
	v_fmac_f32_e32 v34, v38, v40
	s_waitcnt lgkmcnt(0)
	v_lshrrev_b32_e32 v11, 16, v28
	v_and_b32_e32 v28, 0xffff, v28
	;;#ASMSTART
	v_cvt_f32_f16 v32, v28;
	;;#ASMEND
	v_and_b32_e32 v28, 0xffff, v45
	;;#ASMSTART
	v_cvt_f32_f16 v11, v11;
	;;#ASMEND
	;;#ASMSTART
	v_cvt_f32_f16 v35, v28;
	;;#ASMEND
	v_and_b32_e32 v28, 0xffff, v46
	;;#ASMSTART
	v_cvt_f32_f16 v36, v28;
	;;#ASMEND
	v_lshrrev_b32_e32 v28, 16, v29
	v_and_b32_e32 v29, 0xffff, v29
	;;#ASMSTART
	v_cvt_f32_f16 v37, v29;
	;;#ASMEND
	;;#ASMSTART
	v_cvt_f32_f16 v38, v28;
	;;#ASMEND
	v_and_b32_e32 v28, 0xffff, v47
	;;#ASMSTART
	v_cvt_f32_f16 v39, v28;
	;;#ASMEND
	v_and_b32_e32 v28, 0xffff, v48
	;;#ASMSTART
	v_cvt_f32_f16 v40, v28;
	;;#ASMEND
	ds_read_b64 v[28:29], v18 offset:40
	v_fmac_f32_e32 v33, v11, v36
	v_fmac_f32_e32 v30, v32, v35
	v_fmac_f32_e32 v31, v37, v39
	v_fmac_f32_e32 v34, v38, v40
	s_waitcnt lgkmcnt(0)
	v_lshrrev_b32_e32 v11, 16, v28
	v_and_b32_e32 v28, 0xffff, v28
	;;#ASMSTART
	v_cvt_f32_f16 v32, v28;
	;;#ASMEND
	v_and_b32_e32 v28, 0xffff, v49
	;;#ASMSTART
	v_cvt_f32_f16 v11, v11;
	;;#ASMEND
	;;#ASMSTART
	v_cvt_f32_f16 v35, v28;
	;;#ASMEND
	v_and_b32_e32 v28, 0xffff, v50
	;;#ASMSTART
	v_cvt_f32_f16 v36, v28;
	;;#ASMEND
	v_lshrrev_b32_e32 v28, 16, v29
	;; [unrolled: 38-line block ×4, first 2 shown]
	v_and_b32_e32 v29, 0xffff, v29
	;;#ASMSTART
	v_cvt_f32_f16 v37, v29;
	;;#ASMEND
	;;#ASMSTART
	v_cvt_f32_f16 v38, v28;
	;;#ASMEND
	v_and_b32_e32 v28, 0xffff, v59
	;;#ASMSTART
	v_cvt_f32_f16 v39, v28;
	;;#ASMEND
	v_and_b32_e32 v28, 0xffff, v60
	;;#ASMSTART
	v_cvt_f32_f16 v40, v28;
	;;#ASMEND
	ds_read_b64 v[28:29], v18 offset:64
	v_fmac_f32_e32 v33, v11, v36
	v_fmac_f32_e32 v30, v32, v35
	v_and_b32_e32 v10, 0xffff, v10
	v_and_b32_e32 v2, 0xffff, v2
	s_waitcnt lgkmcnt(0)
	v_lshrrev_b32_e32 v11, 16, v28
	v_and_b32_e32 v28, 0xffff, v28
	;;#ASMSTART
	v_cvt_f32_f16 v28, v28;
	;;#ASMEND
	;;#ASMSTART
	v_cvt_f32_f16 v32, v11;
	;;#ASMEND
	v_and_b32_e32 v11, 0xffff, v61
	;;#ASMSTART
	v_cvt_f32_f16 v35, v11;
	;;#ASMEND
	v_and_b32_e32 v11, 0xffff, v12
	;;#ASMSTART
	v_cvt_f32_f16 v12, v11;
	;;#ASMEND
	v_lshrrev_b32_e32 v11, 16, v29
	v_and_b32_e32 v29, 0xffff, v29
	v_fmac_f32_e32 v31, v37, v39
	;;#ASMSTART
	v_cvt_f32_f16 v29, v29;
	;;#ASMEND
	;;#ASMSTART
	v_cvt_f32_f16 v36, v11;
	;;#ASMEND
	;; [unrolled: 3-line block ×4, first 2 shown]
	ds_read_b64 v[10:11], v18 offset:72
	v_fmac_f32_e32 v34, v38, v40
	v_fmac_f32_e32 v34, v36, v2
	;; [unrolled: 1-line block ×4, first 2 shown]
	s_waitcnt lgkmcnt(0)
	v_lshrrev_b32_e32 v2, 16, v10
	v_and_b32_e32 v10, 0xffff, v10
	;;#ASMSTART
	v_cvt_f32_f16 v10, v10;
	;;#ASMEND
	;;#ASMSTART
	v_cvt_f32_f16 v2, v2;
	;;#ASMEND
	v_and_b32_e32 v12, 0xffff, v71
	v_and_b32_e32 v28, 0xffff, v65
	;;#ASMSTART
	v_cvt_f32_f16 v12, v12;
	;;#ASMEND
	;;#ASMSTART
	v_cvt_f32_f16 v28, v28;
	;;#ASMEND
	v_fmac_f32_e32 v31, v29, v37
	v_fmac_f32_e32 v30, v10, v12
	;; [unrolled: 1-line block ×3, first 2 shown]
	v_lshrrev_b32_e32 v2, 16, v11
	v_and_b32_e32 v10, 0xffff, v11
	v_and_b32_e32 v11, 0xffff, v66
	;;#ASMSTART
	v_cvt_f32_f16 v10, v10;
	;;#ASMEND
	;;#ASMSTART
	v_cvt_f32_f16 v2, v2;
	;;#ASMEND
	;; [unrolled: 3-line block ×3, first 2 shown]
	v_and_b32_e32 v12, 0xffff, v67
	v_fmac_f32_e32 v31, v10, v11
	v_and_b32_e32 v11, 64, v26
	v_xor_b32_e32 v10, 1, v26
	v_add_u32_e32 v11, 64, v11
	;;#ASMSTART
	v_cvt_f32_f16 v12, v12;
	;;#ASMEND
	v_cmp_lt_i32_e64 s[0:1], v10, v11
	v_fmac_f32_e32 v34, v2, v12
	v_add_f32_e32 v2, v30, v33
	v_add_f32_e32 v2, v2, v31
	v_cndmask_b32_e64 v10, v26, v10, s[0:1]
	v_add_f32_e32 v2, v34, v2
	v_lshlrev_b32_e32 v10, 2, v10
	ds_bpermute_b32 v10, v10, v2
	s_and_saveexec_b64 s[40:41], vcc
	s_cbranch_execz .LBB260_11
; %bb.177:                              ;   in Loop: Header=BB260_13 Depth=1
	v_add_u32_e32 v11, v23, v21
	v_cvt_f32_i32_e32 v11, v11
	s_waitcnt lgkmcnt(0)
	v_add_f32_e32 v2, v2, v10
	v_add_u32_e32 v12, v16, v21
	v_cmp_gt_i32_e64 s[0:1], s25, v12
	v_mul_f32_e32 v10, s48, v11
	v_cndmask_b32_e64 v10, 0, v10, s[2:3]
	v_fmac_f32_e32 v10, s37, v2
	v_cndmask_b32_e64 v2, 0, v10, s[0:1]
	ds_write_b32 v22, v2
	v_max_f32_e32 v2, v19, v19
	v_max_f32_e32 v2, v2, v10
	v_cndmask_b32_e64 v19, v19, v2, s[0:1]
	s_branch .LBB260_11
.LBB260_178:                            ;   in Loop: Header=BB260_13 Depth=1
	v_cmp_eq_u16_sdwa s[56:57], v12, s53 src0_sel:BYTE_0 src1_sel:DWORD
	s_mov_b64 s[0:1], -1
                                        ; implicit-def: $sgpr44
	s_and_saveexec_b64 s[42:43], s[56:57]
; %bb.179:                              ;   in Loop: Header=BB260_13 Depth=1
	s_mov_b32 s44, 0x7fc02000
	s_xor_b64 s[0:1], exec, -1
; %bb.180:                              ;   in Loop: Header=BB260_13 Depth=1
	s_or_b64 exec, exec, s[42:43]
	s_and_b64 s[0:1], s[0:1], exec
	s_or_saveexec_b64 s[40:41], s[40:41]
	v_mov_b32_e32 v29, s44
	s_xor_b64 exec, exec, s[40:41]
	s_cbranch_execz .LBB260_18
.LBB260_181:                            ;   in Loop: Header=BB260_13 Depth=1
	v_cmp_ne_u16_sdwa s[42:43], v12, v3 src0_sel:BYTE_0 src1_sel:DWORD
	s_andn2_b64 s[0:1], s[0:1], exec
	s_and_b64 s[42:43], s[42:43], exec
	v_mov_b32_e32 v29, 0
	s_or_b64 s[0:1], s[0:1], s[42:43]
	s_or_b64 exec, exec, s[40:41]
	s_and_saveexec_b64 s[40:41], s[0:1]
	s_cbranch_execnz .LBB260_19
	s_branch .LBB260_20
.LBB260_182:                            ;   in Loop: Header=BB260_13 Depth=1
	v_cmp_eq_u16_e64 s[0:1], s53, v2
	s_mov_b64 s[40:41], -1
                                        ; implicit-def: $sgpr55
	s_and_saveexec_b64 s[44:45], s[0:1]
; %bb.183:                              ;   in Loop: Header=BB260_13 Depth=1
	s_mov_b32 s55, 0x7fc02000
	s_xor_b64 s[40:41], exec, -1
; %bb.184:                              ;   in Loop: Header=BB260_13 Depth=1
	s_or_b64 exec, exec, s[44:45]
	s_and_b64 s[40:41], s[40:41], exec
	s_or_saveexec_b64 s[42:43], s[42:43]
	v_mov_b32_e32 v30, s55
	s_xor_b64 exec, exec, s[42:43]
	s_cbranch_execz .LBB260_22
.LBB260_185:                            ;   in Loop: Header=BB260_13 Depth=1
	v_cmp_ne_u16_e64 s[0:1], 0, v2
	s_andn2_b64 s[40:41], s[40:41], exec
	s_and_b64 s[0:1], s[0:1], exec
	v_mov_b32_e32 v30, 0
	s_or_b64 s[40:41], s[40:41], s[0:1]
	s_or_b64 exec, exec, s[42:43]
	s_and_saveexec_b64 s[42:43], s[40:41]
	s_cbranch_execnz .LBB260_23
	s_branch .LBB260_24
.LBB260_186:                            ;   in Loop: Header=BB260_13 Depth=1
	v_cmp_eq_u16_sdwa s[56:57], v2, s53 src0_sel:BYTE_0 src1_sel:DWORD
	s_mov_b64 s[0:1], -1
                                        ; implicit-def: $sgpr44
	s_and_saveexec_b64 s[42:43], s[56:57]
; %bb.187:                              ;   in Loop: Header=BB260_13 Depth=1
	s_mov_b32 s44, 0x7fc02000
	s_xor_b64 s[0:1], exec, -1
; %bb.188:                              ;   in Loop: Header=BB260_13 Depth=1
	s_or_b64 exec, exec, s[42:43]
	s_and_b64 s[0:1], s[0:1], exec
	s_or_saveexec_b64 s[40:41], s[40:41]
	v_mov_b32_e32 v31, s44
	s_xor_b64 exec, exec, s[40:41]
	s_cbranch_execz .LBB260_26
.LBB260_189:                            ;   in Loop: Header=BB260_13 Depth=1
	v_cmp_ne_u16_sdwa s[42:43], v2, v3 src0_sel:BYTE_0 src1_sel:DWORD
	s_andn2_b64 s[0:1], s[0:1], exec
	s_and_b64 s[42:43], s[42:43], exec
	v_mov_b32_e32 v31, 0
	s_or_b64 s[0:1], s[0:1], s[42:43]
	s_or_b64 exec, exec, s[40:41]
	s_and_saveexec_b64 s[40:41], s[0:1]
	s_cbranch_execnz .LBB260_27
	s_branch .LBB260_28
.LBB260_190:                            ;   in Loop: Header=BB260_13 Depth=1
	v_cmp_eq_u16_e64 s[0:1], s53, v2
	s_mov_b64 s[40:41], -1
                                        ; implicit-def: $sgpr55
	s_and_saveexec_b64 s[44:45], s[0:1]
; %bb.191:                              ;   in Loop: Header=BB260_13 Depth=1
	s_mov_b32 s55, 0x7fc02000
	s_xor_b64 s[40:41], exec, -1
; %bb.192:                              ;   in Loop: Header=BB260_13 Depth=1
	s_or_b64 exec, exec, s[44:45]
	s_and_b64 s[40:41], s[40:41], exec
	s_or_saveexec_b64 s[42:43], s[42:43]
	v_mov_b32_e32 v32, s55
	s_xor_b64 exec, exec, s[42:43]
	s_cbranch_execz .LBB260_30
.LBB260_193:                            ;   in Loop: Header=BB260_13 Depth=1
	v_cmp_ne_u16_e64 s[0:1], 0, v2
	s_andn2_b64 s[40:41], s[40:41], exec
	s_and_b64 s[0:1], s[0:1], exec
	v_mov_b32_e32 v32, 0
	s_or_b64 s[40:41], s[40:41], s[0:1]
	s_or_b64 exec, exec, s[42:43]
	s_and_saveexec_b64 s[42:43], s[40:41]
	s_cbranch_execnz .LBB260_31
	s_branch .LBB260_32
.LBB260_194:                            ;   in Loop: Header=BB260_13 Depth=1
	v_cmp_eq_u16_sdwa s[56:57], v12, s53 src0_sel:BYTE_0 src1_sel:DWORD
	s_mov_b64 s[0:1], -1
                                        ; implicit-def: $sgpr44
	s_and_saveexec_b64 s[42:43], s[56:57]
; %bb.195:                              ;   in Loop: Header=BB260_13 Depth=1
	s_mov_b32 s44, 0x7fc02000
	s_xor_b64 s[0:1], exec, -1
; %bb.196:                              ;   in Loop: Header=BB260_13 Depth=1
	s_or_b64 exec, exec, s[42:43]
	s_and_b64 s[0:1], s[0:1], exec
	s_or_saveexec_b64 s[40:41], s[40:41]
	v_mov_b32_e32 v33, s44
	s_xor_b64 exec, exec, s[40:41]
	s_cbranch_execz .LBB260_34
.LBB260_197:                            ;   in Loop: Header=BB260_13 Depth=1
	v_cmp_ne_u16_sdwa s[42:43], v12, v3 src0_sel:BYTE_0 src1_sel:DWORD
	s_andn2_b64 s[0:1], s[0:1], exec
	s_and_b64 s[42:43], s[42:43], exec
	v_mov_b32_e32 v33, 0
	s_or_b64 s[0:1], s[0:1], s[42:43]
	s_or_b64 exec, exec, s[40:41]
	s_and_saveexec_b64 s[40:41], s[0:1]
	s_cbranch_execnz .LBB260_35
	s_branch .LBB260_36
.LBB260_198:                            ;   in Loop: Header=BB260_13 Depth=1
	v_cmp_eq_u16_e64 s[0:1], s53, v2
	s_mov_b64 s[40:41], -1
                                        ; implicit-def: $sgpr55
	s_and_saveexec_b64 s[44:45], s[0:1]
; %bb.199:                              ;   in Loop: Header=BB260_13 Depth=1
	s_mov_b32 s55, 0x7fc02000
	s_xor_b64 s[40:41], exec, -1
; %bb.200:                              ;   in Loop: Header=BB260_13 Depth=1
	s_or_b64 exec, exec, s[44:45]
	s_and_b64 s[40:41], s[40:41], exec
	s_or_saveexec_b64 s[42:43], s[42:43]
	v_mov_b32_e32 v34, s55
	s_xor_b64 exec, exec, s[42:43]
	s_cbranch_execz .LBB260_38
.LBB260_201:                            ;   in Loop: Header=BB260_13 Depth=1
	v_cmp_ne_u16_e64 s[0:1], 0, v2
	s_andn2_b64 s[40:41], s[40:41], exec
	s_and_b64 s[0:1], s[0:1], exec
	v_mov_b32_e32 v34, 0
	s_or_b64 s[40:41], s[40:41], s[0:1]
	s_or_b64 exec, exec, s[42:43]
	s_and_saveexec_b64 s[42:43], s[40:41]
	s_cbranch_execnz .LBB260_39
	s_branch .LBB260_40
.LBB260_202:                            ;   in Loop: Header=BB260_13 Depth=1
	v_cmp_eq_u16_sdwa s[56:57], v2, s53 src0_sel:BYTE_0 src1_sel:DWORD
	s_mov_b64 s[0:1], -1
                                        ; implicit-def: $sgpr44
	s_and_saveexec_b64 s[42:43], s[56:57]
; %bb.203:                              ;   in Loop: Header=BB260_13 Depth=1
	s_mov_b32 s44, 0x7fc02000
	s_xor_b64 s[0:1], exec, -1
; %bb.204:                              ;   in Loop: Header=BB260_13 Depth=1
	s_or_b64 exec, exec, s[42:43]
	s_and_b64 s[0:1], s[0:1], exec
	s_or_saveexec_b64 s[40:41], s[40:41]
	v_mov_b32_e32 v35, s44
	s_xor_b64 exec, exec, s[40:41]
	s_cbranch_execz .LBB260_42
.LBB260_205:                            ;   in Loop: Header=BB260_13 Depth=1
	v_cmp_ne_u16_sdwa s[42:43], v2, v3 src0_sel:BYTE_0 src1_sel:DWORD
	s_andn2_b64 s[0:1], s[0:1], exec
	s_and_b64 s[42:43], s[42:43], exec
	v_mov_b32_e32 v35, 0
	s_or_b64 s[0:1], s[0:1], s[42:43]
	s_or_b64 exec, exec, s[40:41]
	s_and_saveexec_b64 s[40:41], s[0:1]
	s_cbranch_execnz .LBB260_43
	s_branch .LBB260_44
.LBB260_206:                            ;   in Loop: Header=BB260_13 Depth=1
	v_cmp_eq_u16_e64 s[0:1], s53, v2
	s_mov_b64 s[40:41], -1
                                        ; implicit-def: $sgpr55
	s_and_saveexec_b64 s[44:45], s[0:1]
; %bb.207:                              ;   in Loop: Header=BB260_13 Depth=1
	s_mov_b32 s55, 0x7fc02000
	s_xor_b64 s[40:41], exec, -1
; %bb.208:                              ;   in Loop: Header=BB260_13 Depth=1
	s_or_b64 exec, exec, s[44:45]
	s_and_b64 s[40:41], s[40:41], exec
	s_or_saveexec_b64 s[42:43], s[42:43]
	v_mov_b32_e32 v36, s55
	s_xor_b64 exec, exec, s[42:43]
	s_cbranch_execz .LBB260_46
.LBB260_209:                            ;   in Loop: Header=BB260_13 Depth=1
	v_cmp_ne_u16_e64 s[0:1], 0, v2
	s_andn2_b64 s[40:41], s[40:41], exec
	s_and_b64 s[0:1], s[0:1], exec
	v_mov_b32_e32 v36, 0
	s_or_b64 s[40:41], s[40:41], s[0:1]
	s_or_b64 exec, exec, s[42:43]
	s_and_saveexec_b64 s[42:43], s[40:41]
	s_cbranch_execnz .LBB260_47
	s_branch .LBB260_48
.LBB260_210:                            ;   in Loop: Header=BB260_13 Depth=1
	v_cmp_eq_u16_sdwa s[56:57], v12, s53 src0_sel:BYTE_0 src1_sel:DWORD
	s_mov_b64 s[0:1], -1
                                        ; implicit-def: $sgpr44
	s_and_saveexec_b64 s[42:43], s[56:57]
; %bb.211:                              ;   in Loop: Header=BB260_13 Depth=1
	s_mov_b32 s44, 0x7fc02000
	s_xor_b64 s[0:1], exec, -1
; %bb.212:                              ;   in Loop: Header=BB260_13 Depth=1
	s_or_b64 exec, exec, s[42:43]
	s_and_b64 s[0:1], s[0:1], exec
	s_or_saveexec_b64 s[40:41], s[40:41]
	v_mov_b32_e32 v37, s44
	s_xor_b64 exec, exec, s[40:41]
	s_cbranch_execz .LBB260_50
.LBB260_213:                            ;   in Loop: Header=BB260_13 Depth=1
	v_cmp_ne_u16_sdwa s[42:43], v12, v3 src0_sel:BYTE_0 src1_sel:DWORD
	s_andn2_b64 s[0:1], s[0:1], exec
	s_and_b64 s[42:43], s[42:43], exec
	v_mov_b32_e32 v37, 0
	s_or_b64 s[0:1], s[0:1], s[42:43]
	s_or_b64 exec, exec, s[40:41]
	s_and_saveexec_b64 s[40:41], s[0:1]
	s_cbranch_execnz .LBB260_51
	s_branch .LBB260_52
.LBB260_214:                            ;   in Loop: Header=BB260_13 Depth=1
	v_cmp_eq_u16_e64 s[0:1], s53, v2
	s_mov_b64 s[40:41], -1
                                        ; implicit-def: $sgpr55
	s_and_saveexec_b64 s[44:45], s[0:1]
; %bb.215:                              ;   in Loop: Header=BB260_13 Depth=1
	s_mov_b32 s55, 0x7fc02000
	s_xor_b64 s[40:41], exec, -1
; %bb.216:                              ;   in Loop: Header=BB260_13 Depth=1
	s_or_b64 exec, exec, s[44:45]
	s_and_b64 s[40:41], s[40:41], exec
	s_or_saveexec_b64 s[42:43], s[42:43]
	v_mov_b32_e32 v38, s55
	s_xor_b64 exec, exec, s[42:43]
	s_cbranch_execz .LBB260_54
.LBB260_217:                            ;   in Loop: Header=BB260_13 Depth=1
	v_cmp_ne_u16_e64 s[0:1], 0, v2
	s_andn2_b64 s[40:41], s[40:41], exec
	s_and_b64 s[0:1], s[0:1], exec
	v_mov_b32_e32 v38, 0
	s_or_b64 s[40:41], s[40:41], s[0:1]
	s_or_b64 exec, exec, s[42:43]
	s_and_saveexec_b64 s[42:43], s[40:41]
	s_cbranch_execnz .LBB260_55
	s_branch .LBB260_56
.LBB260_218:                            ;   in Loop: Header=BB260_13 Depth=1
	v_cmp_eq_u16_sdwa s[56:57], v2, s53 src0_sel:BYTE_0 src1_sel:DWORD
	s_mov_b64 s[0:1], -1
                                        ; implicit-def: $sgpr44
	s_and_saveexec_b64 s[42:43], s[56:57]
; %bb.219:                              ;   in Loop: Header=BB260_13 Depth=1
	s_mov_b32 s44, 0x7fc02000
	s_xor_b64 s[0:1], exec, -1
; %bb.220:                              ;   in Loop: Header=BB260_13 Depth=1
	s_or_b64 exec, exec, s[42:43]
	s_and_b64 s[0:1], s[0:1], exec
	s_or_saveexec_b64 s[40:41], s[40:41]
	v_mov_b32_e32 v39, s44
	s_xor_b64 exec, exec, s[40:41]
	s_cbranch_execz .LBB260_58
.LBB260_221:                            ;   in Loop: Header=BB260_13 Depth=1
	v_cmp_ne_u16_sdwa s[42:43], v2, v3 src0_sel:BYTE_0 src1_sel:DWORD
	s_andn2_b64 s[0:1], s[0:1], exec
	s_and_b64 s[42:43], s[42:43], exec
	v_mov_b32_e32 v39, 0
	s_or_b64 s[0:1], s[0:1], s[42:43]
	s_or_b64 exec, exec, s[40:41]
	s_and_saveexec_b64 s[40:41], s[0:1]
	s_cbranch_execnz .LBB260_59
	s_branch .LBB260_60
.LBB260_222:                            ;   in Loop: Header=BB260_13 Depth=1
	v_cmp_eq_u16_e64 s[0:1], s53, v2
	s_mov_b64 s[40:41], -1
                                        ; implicit-def: $sgpr55
	s_and_saveexec_b64 s[44:45], s[0:1]
; %bb.223:                              ;   in Loop: Header=BB260_13 Depth=1
	s_mov_b32 s55, 0x7fc02000
	s_xor_b64 s[40:41], exec, -1
; %bb.224:                              ;   in Loop: Header=BB260_13 Depth=1
	s_or_b64 exec, exec, s[44:45]
	s_and_b64 s[40:41], s[40:41], exec
	s_or_saveexec_b64 s[42:43], s[42:43]
	v_mov_b32_e32 v40, s55
	s_xor_b64 exec, exec, s[42:43]
	s_cbranch_execz .LBB260_62
.LBB260_225:                            ;   in Loop: Header=BB260_13 Depth=1
	v_cmp_ne_u16_e64 s[0:1], 0, v2
	s_andn2_b64 s[40:41], s[40:41], exec
	s_and_b64 s[0:1], s[0:1], exec
	v_mov_b32_e32 v40, 0
	s_or_b64 s[40:41], s[40:41], s[0:1]
	s_or_b64 exec, exec, s[42:43]
	s_and_saveexec_b64 s[42:43], s[40:41]
	s_cbranch_execnz .LBB260_63
	s_branch .LBB260_64
.LBB260_226:                            ;   in Loop: Header=BB260_13 Depth=1
	v_cmp_eq_u16_sdwa s[56:57], v12, s53 src0_sel:BYTE_0 src1_sel:DWORD
	s_mov_b64 s[0:1], -1
                                        ; implicit-def: $sgpr44
	s_and_saveexec_b64 s[42:43], s[56:57]
; %bb.227:                              ;   in Loop: Header=BB260_13 Depth=1
	s_mov_b32 s44, 0x7fc02000
	s_xor_b64 s[0:1], exec, -1
; %bb.228:                              ;   in Loop: Header=BB260_13 Depth=1
	s_or_b64 exec, exec, s[42:43]
	s_and_b64 s[0:1], s[0:1], exec
	s_or_saveexec_b64 s[40:41], s[40:41]
	v_mov_b32_e32 v41, s44
	s_xor_b64 exec, exec, s[40:41]
	s_cbranch_execz .LBB260_66
.LBB260_229:                            ;   in Loop: Header=BB260_13 Depth=1
	v_cmp_ne_u16_sdwa s[42:43], v12, v3 src0_sel:BYTE_0 src1_sel:DWORD
	s_andn2_b64 s[0:1], s[0:1], exec
	s_and_b64 s[42:43], s[42:43], exec
	v_mov_b32_e32 v41, 0
	s_or_b64 s[0:1], s[0:1], s[42:43]
	s_or_b64 exec, exec, s[40:41]
	s_and_saveexec_b64 s[40:41], s[0:1]
	s_cbranch_execnz .LBB260_67
	s_branch .LBB260_68
.LBB260_230:                            ;   in Loop: Header=BB260_13 Depth=1
	v_cmp_eq_u16_e64 s[0:1], s53, v2
	s_mov_b64 s[40:41], -1
                                        ; implicit-def: $sgpr55
	s_and_saveexec_b64 s[44:45], s[0:1]
; %bb.231:                              ;   in Loop: Header=BB260_13 Depth=1
	s_mov_b32 s55, 0x7fc02000
	s_xor_b64 s[40:41], exec, -1
; %bb.232:                              ;   in Loop: Header=BB260_13 Depth=1
	s_or_b64 exec, exec, s[44:45]
	s_and_b64 s[40:41], s[40:41], exec
	s_or_saveexec_b64 s[42:43], s[42:43]
	v_mov_b32_e32 v42, s55
	s_xor_b64 exec, exec, s[42:43]
	s_cbranch_execz .LBB260_70
.LBB260_233:                            ;   in Loop: Header=BB260_13 Depth=1
	v_cmp_ne_u16_e64 s[0:1], 0, v2
	s_andn2_b64 s[40:41], s[40:41], exec
	s_and_b64 s[0:1], s[0:1], exec
	v_mov_b32_e32 v42, 0
	s_or_b64 s[40:41], s[40:41], s[0:1]
	s_or_b64 exec, exec, s[42:43]
	s_and_saveexec_b64 s[42:43], s[40:41]
	s_cbranch_execnz .LBB260_71
	s_branch .LBB260_72
.LBB260_234:                            ;   in Loop: Header=BB260_13 Depth=1
	v_cmp_eq_u16_sdwa s[56:57], v2, s53 src0_sel:BYTE_0 src1_sel:DWORD
	s_mov_b64 s[0:1], -1
                                        ; implicit-def: $sgpr44
	s_and_saveexec_b64 s[42:43], s[56:57]
; %bb.235:                              ;   in Loop: Header=BB260_13 Depth=1
	s_mov_b32 s44, 0x7fc02000
	s_xor_b64 s[0:1], exec, -1
; %bb.236:                              ;   in Loop: Header=BB260_13 Depth=1
	s_or_b64 exec, exec, s[42:43]
	s_and_b64 s[0:1], s[0:1], exec
	s_or_saveexec_b64 s[40:41], s[40:41]
	v_mov_b32_e32 v43, s44
	s_xor_b64 exec, exec, s[40:41]
	s_cbranch_execz .LBB260_74
.LBB260_237:                            ;   in Loop: Header=BB260_13 Depth=1
	v_cmp_ne_u16_sdwa s[42:43], v2, v3 src0_sel:BYTE_0 src1_sel:DWORD
	s_andn2_b64 s[0:1], s[0:1], exec
	s_and_b64 s[42:43], s[42:43], exec
	v_mov_b32_e32 v43, 0
	s_or_b64 s[0:1], s[0:1], s[42:43]
	s_or_b64 exec, exec, s[40:41]
	s_and_saveexec_b64 s[40:41], s[0:1]
	s_cbranch_execnz .LBB260_75
	s_branch .LBB260_76
.LBB260_238:                            ;   in Loop: Header=BB260_13 Depth=1
	v_cmp_eq_u16_e64 s[0:1], s53, v2
	s_mov_b64 s[40:41], -1
                                        ; implicit-def: $sgpr55
	s_and_saveexec_b64 s[44:45], s[0:1]
; %bb.239:                              ;   in Loop: Header=BB260_13 Depth=1
	s_mov_b32 s55, 0x7fc02000
	s_xor_b64 s[40:41], exec, -1
; %bb.240:                              ;   in Loop: Header=BB260_13 Depth=1
	s_or_b64 exec, exec, s[44:45]
	s_and_b64 s[40:41], s[40:41], exec
	s_or_saveexec_b64 s[42:43], s[42:43]
	v_mov_b32_e32 v44, s55
	s_xor_b64 exec, exec, s[42:43]
	s_cbranch_execz .LBB260_78
.LBB260_241:                            ;   in Loop: Header=BB260_13 Depth=1
	v_cmp_ne_u16_e64 s[0:1], 0, v2
	s_andn2_b64 s[40:41], s[40:41], exec
	s_and_b64 s[0:1], s[0:1], exec
	v_mov_b32_e32 v44, 0
	s_or_b64 s[40:41], s[40:41], s[0:1]
	s_or_b64 exec, exec, s[42:43]
	s_and_saveexec_b64 s[42:43], s[40:41]
	s_cbranch_execnz .LBB260_79
	s_branch .LBB260_80
.LBB260_242:                            ;   in Loop: Header=BB260_13 Depth=1
	v_cmp_eq_u16_sdwa s[56:57], v12, s53 src0_sel:BYTE_0 src1_sel:DWORD
	s_mov_b64 s[0:1], -1
                                        ; implicit-def: $sgpr44
	s_and_saveexec_b64 s[42:43], s[56:57]
; %bb.243:                              ;   in Loop: Header=BB260_13 Depth=1
	s_mov_b32 s44, 0x7fc02000
	s_xor_b64 s[0:1], exec, -1
; %bb.244:                              ;   in Loop: Header=BB260_13 Depth=1
	s_or_b64 exec, exec, s[42:43]
	s_and_b64 s[0:1], s[0:1], exec
	s_or_saveexec_b64 s[40:41], s[40:41]
	v_mov_b32_e32 v45, s44
	s_xor_b64 exec, exec, s[40:41]
	s_cbranch_execz .LBB260_82
.LBB260_245:                            ;   in Loop: Header=BB260_13 Depth=1
	v_cmp_ne_u16_sdwa s[42:43], v12, v3 src0_sel:BYTE_0 src1_sel:DWORD
	s_andn2_b64 s[0:1], s[0:1], exec
	s_and_b64 s[42:43], s[42:43], exec
	v_mov_b32_e32 v45, 0
	s_or_b64 s[0:1], s[0:1], s[42:43]
	s_or_b64 exec, exec, s[40:41]
	s_and_saveexec_b64 s[40:41], s[0:1]
	s_cbranch_execnz .LBB260_83
	s_branch .LBB260_84
.LBB260_246:                            ;   in Loop: Header=BB260_13 Depth=1
	v_cmp_eq_u16_e64 s[0:1], s53, v2
	s_mov_b64 s[40:41], -1
                                        ; implicit-def: $sgpr55
	s_and_saveexec_b64 s[44:45], s[0:1]
; %bb.247:                              ;   in Loop: Header=BB260_13 Depth=1
	s_mov_b32 s55, 0x7fc02000
	s_xor_b64 s[40:41], exec, -1
; %bb.248:                              ;   in Loop: Header=BB260_13 Depth=1
	s_or_b64 exec, exec, s[44:45]
	s_and_b64 s[40:41], s[40:41], exec
	s_or_saveexec_b64 s[42:43], s[42:43]
	v_mov_b32_e32 v46, s55
	s_xor_b64 exec, exec, s[42:43]
	s_cbranch_execz .LBB260_86
.LBB260_249:                            ;   in Loop: Header=BB260_13 Depth=1
	v_cmp_ne_u16_e64 s[0:1], 0, v2
	s_andn2_b64 s[40:41], s[40:41], exec
	s_and_b64 s[0:1], s[0:1], exec
	v_mov_b32_e32 v46, 0
	s_or_b64 s[40:41], s[40:41], s[0:1]
	s_or_b64 exec, exec, s[42:43]
	s_and_saveexec_b64 s[42:43], s[40:41]
	s_cbranch_execnz .LBB260_87
	s_branch .LBB260_88
.LBB260_250:                            ;   in Loop: Header=BB260_13 Depth=1
	v_cmp_eq_u16_sdwa s[56:57], v2, s53 src0_sel:BYTE_0 src1_sel:DWORD
	s_mov_b64 s[0:1], -1
                                        ; implicit-def: $sgpr44
	s_and_saveexec_b64 s[42:43], s[56:57]
; %bb.251:                              ;   in Loop: Header=BB260_13 Depth=1
	s_mov_b32 s44, 0x7fc02000
	s_xor_b64 s[0:1], exec, -1
; %bb.252:                              ;   in Loop: Header=BB260_13 Depth=1
	s_or_b64 exec, exec, s[42:43]
	s_and_b64 s[0:1], s[0:1], exec
	s_or_saveexec_b64 s[40:41], s[40:41]
	v_mov_b32_e32 v47, s44
	s_xor_b64 exec, exec, s[40:41]
	s_cbranch_execz .LBB260_90
.LBB260_253:                            ;   in Loop: Header=BB260_13 Depth=1
	v_cmp_ne_u16_sdwa s[42:43], v2, v3 src0_sel:BYTE_0 src1_sel:DWORD
	s_andn2_b64 s[0:1], s[0:1], exec
	s_and_b64 s[42:43], s[42:43], exec
	v_mov_b32_e32 v47, 0
	s_or_b64 s[0:1], s[0:1], s[42:43]
	s_or_b64 exec, exec, s[40:41]
	s_and_saveexec_b64 s[40:41], s[0:1]
	s_cbranch_execnz .LBB260_91
	s_branch .LBB260_92
.LBB260_254:                            ;   in Loop: Header=BB260_13 Depth=1
	v_cmp_eq_u16_e64 s[0:1], s53, v2
	s_mov_b64 s[40:41], -1
                                        ; implicit-def: $sgpr55
	s_and_saveexec_b64 s[44:45], s[0:1]
; %bb.255:                              ;   in Loop: Header=BB260_13 Depth=1
	s_mov_b32 s55, 0x7fc02000
	s_xor_b64 s[40:41], exec, -1
; %bb.256:                              ;   in Loop: Header=BB260_13 Depth=1
	s_or_b64 exec, exec, s[44:45]
	s_and_b64 s[40:41], s[40:41], exec
	s_or_saveexec_b64 s[42:43], s[42:43]
	v_mov_b32_e32 v48, s55
	s_xor_b64 exec, exec, s[42:43]
	s_cbranch_execz .LBB260_94
.LBB260_257:                            ;   in Loop: Header=BB260_13 Depth=1
	v_cmp_ne_u16_e64 s[0:1], 0, v2
	s_andn2_b64 s[40:41], s[40:41], exec
	s_and_b64 s[0:1], s[0:1], exec
	v_mov_b32_e32 v48, 0
	s_or_b64 s[40:41], s[40:41], s[0:1]
	s_or_b64 exec, exec, s[42:43]
	s_and_saveexec_b64 s[42:43], s[40:41]
	s_cbranch_execnz .LBB260_95
	s_branch .LBB260_96
.LBB260_258:                            ;   in Loop: Header=BB260_13 Depth=1
	v_cmp_eq_u16_sdwa s[56:57], v12, s53 src0_sel:BYTE_0 src1_sel:DWORD
	s_mov_b64 s[0:1], -1
                                        ; implicit-def: $sgpr44
	s_and_saveexec_b64 s[42:43], s[56:57]
; %bb.259:                              ;   in Loop: Header=BB260_13 Depth=1
	s_mov_b32 s44, 0x7fc02000
	s_xor_b64 s[0:1], exec, -1
; %bb.260:                              ;   in Loop: Header=BB260_13 Depth=1
	s_or_b64 exec, exec, s[42:43]
	s_and_b64 s[0:1], s[0:1], exec
	s_or_saveexec_b64 s[40:41], s[40:41]
	v_mov_b32_e32 v49, s44
	s_xor_b64 exec, exec, s[40:41]
	s_cbranch_execz .LBB260_98
.LBB260_261:                            ;   in Loop: Header=BB260_13 Depth=1
	v_cmp_ne_u16_sdwa s[42:43], v12, v3 src0_sel:BYTE_0 src1_sel:DWORD
	s_andn2_b64 s[0:1], s[0:1], exec
	s_and_b64 s[42:43], s[42:43], exec
	v_mov_b32_e32 v49, 0
	s_or_b64 s[0:1], s[0:1], s[42:43]
	s_or_b64 exec, exec, s[40:41]
	s_and_saveexec_b64 s[40:41], s[0:1]
	s_cbranch_execnz .LBB260_99
	s_branch .LBB260_100
.LBB260_262:                            ;   in Loop: Header=BB260_13 Depth=1
	v_cmp_eq_u16_e64 s[0:1], s53, v2
	s_mov_b64 s[40:41], -1
                                        ; implicit-def: $sgpr55
	s_and_saveexec_b64 s[44:45], s[0:1]
; %bb.263:                              ;   in Loop: Header=BB260_13 Depth=1
	s_mov_b32 s55, 0x7fc02000
	s_xor_b64 s[40:41], exec, -1
; %bb.264:                              ;   in Loop: Header=BB260_13 Depth=1
	s_or_b64 exec, exec, s[44:45]
	s_and_b64 s[40:41], s[40:41], exec
	s_or_saveexec_b64 s[42:43], s[42:43]
	v_mov_b32_e32 v50, s55
	s_xor_b64 exec, exec, s[42:43]
	s_cbranch_execz .LBB260_102
.LBB260_265:                            ;   in Loop: Header=BB260_13 Depth=1
	v_cmp_ne_u16_e64 s[0:1], 0, v2
	s_andn2_b64 s[40:41], s[40:41], exec
	s_and_b64 s[0:1], s[0:1], exec
	v_mov_b32_e32 v50, 0
	s_or_b64 s[40:41], s[40:41], s[0:1]
	s_or_b64 exec, exec, s[42:43]
	s_and_saveexec_b64 s[42:43], s[40:41]
	s_cbranch_execnz .LBB260_103
	s_branch .LBB260_104
.LBB260_266:                            ;   in Loop: Header=BB260_13 Depth=1
	v_cmp_eq_u16_sdwa s[56:57], v2, s53 src0_sel:BYTE_0 src1_sel:DWORD
	s_mov_b64 s[0:1], -1
                                        ; implicit-def: $sgpr44
	s_and_saveexec_b64 s[42:43], s[56:57]
; %bb.267:                              ;   in Loop: Header=BB260_13 Depth=1
	s_mov_b32 s44, 0x7fc02000
	s_xor_b64 s[0:1], exec, -1
; %bb.268:                              ;   in Loop: Header=BB260_13 Depth=1
	s_or_b64 exec, exec, s[42:43]
	s_and_b64 s[0:1], s[0:1], exec
	s_or_saveexec_b64 s[40:41], s[40:41]
	v_mov_b32_e32 v51, s44
	s_xor_b64 exec, exec, s[40:41]
	s_cbranch_execz .LBB260_106
.LBB260_269:                            ;   in Loop: Header=BB260_13 Depth=1
	v_cmp_ne_u16_sdwa s[42:43], v2, v3 src0_sel:BYTE_0 src1_sel:DWORD
	s_andn2_b64 s[0:1], s[0:1], exec
	s_and_b64 s[42:43], s[42:43], exec
	v_mov_b32_e32 v51, 0
	s_or_b64 s[0:1], s[0:1], s[42:43]
	s_or_b64 exec, exec, s[40:41]
	s_and_saveexec_b64 s[40:41], s[0:1]
	s_cbranch_execnz .LBB260_107
	s_branch .LBB260_108
.LBB260_270:                            ;   in Loop: Header=BB260_13 Depth=1
	v_cmp_eq_u16_e64 s[0:1], s53, v2
	s_mov_b64 s[40:41], -1
                                        ; implicit-def: $sgpr55
	s_and_saveexec_b64 s[44:45], s[0:1]
; %bb.271:                              ;   in Loop: Header=BB260_13 Depth=1
	s_mov_b32 s55, 0x7fc02000
	s_xor_b64 s[40:41], exec, -1
; %bb.272:                              ;   in Loop: Header=BB260_13 Depth=1
	s_or_b64 exec, exec, s[44:45]
	s_and_b64 s[40:41], s[40:41], exec
	s_or_saveexec_b64 s[42:43], s[42:43]
	v_mov_b32_e32 v52, s55
	s_xor_b64 exec, exec, s[42:43]
	s_cbranch_execz .LBB260_110
.LBB260_273:                            ;   in Loop: Header=BB260_13 Depth=1
	v_cmp_ne_u16_e64 s[0:1], 0, v2
	s_andn2_b64 s[40:41], s[40:41], exec
	s_and_b64 s[0:1], s[0:1], exec
	v_mov_b32_e32 v52, 0
	s_or_b64 s[40:41], s[40:41], s[0:1]
	s_or_b64 exec, exec, s[42:43]
	s_and_saveexec_b64 s[42:43], s[40:41]
	s_cbranch_execnz .LBB260_111
	s_branch .LBB260_112
.LBB260_274:                            ;   in Loop: Header=BB260_13 Depth=1
	v_cmp_eq_u16_sdwa s[56:57], v12, s53 src0_sel:BYTE_0 src1_sel:DWORD
	s_mov_b64 s[0:1], -1
                                        ; implicit-def: $sgpr44
	s_and_saveexec_b64 s[42:43], s[56:57]
; %bb.275:                              ;   in Loop: Header=BB260_13 Depth=1
	s_mov_b32 s44, 0x7fc02000
	s_xor_b64 s[0:1], exec, -1
; %bb.276:                              ;   in Loop: Header=BB260_13 Depth=1
	s_or_b64 exec, exec, s[42:43]
	s_and_b64 s[0:1], s[0:1], exec
	s_or_saveexec_b64 s[40:41], s[40:41]
	v_mov_b32_e32 v53, s44
	s_xor_b64 exec, exec, s[40:41]
	s_cbranch_execz .LBB260_114
.LBB260_277:                            ;   in Loop: Header=BB260_13 Depth=1
	v_cmp_ne_u16_sdwa s[42:43], v12, v3 src0_sel:BYTE_0 src1_sel:DWORD
	s_andn2_b64 s[0:1], s[0:1], exec
	s_and_b64 s[42:43], s[42:43], exec
	v_mov_b32_e32 v53, 0
	s_or_b64 s[0:1], s[0:1], s[42:43]
	s_or_b64 exec, exec, s[40:41]
	s_and_saveexec_b64 s[40:41], s[0:1]
	s_cbranch_execnz .LBB260_115
	s_branch .LBB260_116
.LBB260_278:                            ;   in Loop: Header=BB260_13 Depth=1
	v_cmp_eq_u16_e64 s[0:1], s53, v2
	s_mov_b64 s[40:41], -1
                                        ; implicit-def: $sgpr55
	s_and_saveexec_b64 s[44:45], s[0:1]
; %bb.279:                              ;   in Loop: Header=BB260_13 Depth=1
	s_mov_b32 s55, 0x7fc02000
	s_xor_b64 s[40:41], exec, -1
; %bb.280:                              ;   in Loop: Header=BB260_13 Depth=1
	s_or_b64 exec, exec, s[44:45]
	s_and_b64 s[40:41], s[40:41], exec
	s_or_saveexec_b64 s[42:43], s[42:43]
	v_mov_b32_e32 v54, s55
	s_xor_b64 exec, exec, s[42:43]
	s_cbranch_execz .LBB260_118
.LBB260_281:                            ;   in Loop: Header=BB260_13 Depth=1
	v_cmp_ne_u16_e64 s[0:1], 0, v2
	s_andn2_b64 s[40:41], s[40:41], exec
	s_and_b64 s[0:1], s[0:1], exec
	v_mov_b32_e32 v54, 0
	s_or_b64 s[40:41], s[40:41], s[0:1]
	s_or_b64 exec, exec, s[42:43]
	s_and_saveexec_b64 s[42:43], s[40:41]
	s_cbranch_execnz .LBB260_119
	s_branch .LBB260_120
.LBB260_282:                            ;   in Loop: Header=BB260_13 Depth=1
	v_cmp_eq_u16_sdwa s[56:57], v2, s53 src0_sel:BYTE_0 src1_sel:DWORD
	s_mov_b64 s[0:1], -1
                                        ; implicit-def: $sgpr44
	s_and_saveexec_b64 s[42:43], s[56:57]
; %bb.283:                              ;   in Loop: Header=BB260_13 Depth=1
	s_mov_b32 s44, 0x7fc02000
	s_xor_b64 s[0:1], exec, -1
; %bb.284:                              ;   in Loop: Header=BB260_13 Depth=1
	s_or_b64 exec, exec, s[42:43]
	s_and_b64 s[0:1], s[0:1], exec
	s_or_saveexec_b64 s[40:41], s[40:41]
	v_mov_b32_e32 v55, s44
	s_xor_b64 exec, exec, s[40:41]
	s_cbranch_execz .LBB260_122
.LBB260_285:                            ;   in Loop: Header=BB260_13 Depth=1
	v_cmp_ne_u16_sdwa s[42:43], v2, v3 src0_sel:BYTE_0 src1_sel:DWORD
	s_andn2_b64 s[0:1], s[0:1], exec
	s_and_b64 s[42:43], s[42:43], exec
	v_mov_b32_e32 v55, 0
	s_or_b64 s[0:1], s[0:1], s[42:43]
	s_or_b64 exec, exec, s[40:41]
	s_and_saveexec_b64 s[40:41], s[0:1]
	s_cbranch_execnz .LBB260_123
	s_branch .LBB260_124
.LBB260_286:                            ;   in Loop: Header=BB260_13 Depth=1
	v_cmp_eq_u16_e64 s[0:1], s53, v2
	s_mov_b64 s[40:41], -1
                                        ; implicit-def: $sgpr55
	s_and_saveexec_b64 s[44:45], s[0:1]
; %bb.287:                              ;   in Loop: Header=BB260_13 Depth=1
	s_mov_b32 s55, 0x7fc02000
	s_xor_b64 s[40:41], exec, -1
; %bb.288:                              ;   in Loop: Header=BB260_13 Depth=1
	s_or_b64 exec, exec, s[44:45]
	s_and_b64 s[40:41], s[40:41], exec
	s_or_saveexec_b64 s[42:43], s[42:43]
	v_mov_b32_e32 v56, s55
	s_xor_b64 exec, exec, s[42:43]
	s_cbranch_execz .LBB260_126
.LBB260_289:                            ;   in Loop: Header=BB260_13 Depth=1
	v_cmp_ne_u16_e64 s[0:1], 0, v2
	s_andn2_b64 s[40:41], s[40:41], exec
	s_and_b64 s[0:1], s[0:1], exec
	v_mov_b32_e32 v56, 0
	s_or_b64 s[40:41], s[40:41], s[0:1]
	s_or_b64 exec, exec, s[42:43]
	s_and_saveexec_b64 s[42:43], s[40:41]
	s_cbranch_execnz .LBB260_127
	s_branch .LBB260_128
.LBB260_290:                            ;   in Loop: Header=BB260_13 Depth=1
	v_cmp_eq_u16_sdwa s[56:57], v12, s53 src0_sel:BYTE_0 src1_sel:DWORD
	s_mov_b64 s[0:1], -1
                                        ; implicit-def: $sgpr44
	s_and_saveexec_b64 s[42:43], s[56:57]
; %bb.291:                              ;   in Loop: Header=BB260_13 Depth=1
	s_mov_b32 s44, 0x7fc02000
	s_xor_b64 s[0:1], exec, -1
; %bb.292:                              ;   in Loop: Header=BB260_13 Depth=1
	s_or_b64 exec, exec, s[42:43]
	s_and_b64 s[0:1], s[0:1], exec
	s_or_saveexec_b64 s[40:41], s[40:41]
	v_mov_b32_e32 v57, s44
	s_xor_b64 exec, exec, s[40:41]
	s_cbranch_execz .LBB260_130
.LBB260_293:                            ;   in Loop: Header=BB260_13 Depth=1
	v_cmp_ne_u16_sdwa s[42:43], v12, v3 src0_sel:BYTE_0 src1_sel:DWORD
	s_andn2_b64 s[0:1], s[0:1], exec
	s_and_b64 s[42:43], s[42:43], exec
	v_mov_b32_e32 v57, 0
	s_or_b64 s[0:1], s[0:1], s[42:43]
	s_or_b64 exec, exec, s[40:41]
	s_and_saveexec_b64 s[40:41], s[0:1]
	s_cbranch_execnz .LBB260_131
	s_branch .LBB260_132
.LBB260_294:                            ;   in Loop: Header=BB260_13 Depth=1
	v_cmp_eq_u16_e64 s[0:1], s53, v2
	s_mov_b64 s[40:41], -1
                                        ; implicit-def: $sgpr55
	s_and_saveexec_b64 s[44:45], s[0:1]
; %bb.295:                              ;   in Loop: Header=BB260_13 Depth=1
	s_mov_b32 s55, 0x7fc02000
	s_xor_b64 s[40:41], exec, -1
; %bb.296:                              ;   in Loop: Header=BB260_13 Depth=1
	s_or_b64 exec, exec, s[44:45]
	s_and_b64 s[40:41], s[40:41], exec
	s_or_saveexec_b64 s[42:43], s[42:43]
	v_mov_b32_e32 v58, s55
	s_xor_b64 exec, exec, s[42:43]
	s_cbranch_execz .LBB260_134
.LBB260_297:                            ;   in Loop: Header=BB260_13 Depth=1
	v_cmp_ne_u16_e64 s[0:1], 0, v2
	s_andn2_b64 s[40:41], s[40:41], exec
	s_and_b64 s[0:1], s[0:1], exec
	v_mov_b32_e32 v58, 0
	s_or_b64 s[40:41], s[40:41], s[0:1]
	s_or_b64 exec, exec, s[42:43]
	s_and_saveexec_b64 s[42:43], s[40:41]
	s_cbranch_execnz .LBB260_135
	s_branch .LBB260_136
.LBB260_298:                            ;   in Loop: Header=BB260_13 Depth=1
	v_cmp_eq_u16_sdwa s[56:57], v2, s53 src0_sel:BYTE_0 src1_sel:DWORD
	s_mov_b64 s[0:1], -1
                                        ; implicit-def: $sgpr44
	s_and_saveexec_b64 s[42:43], s[56:57]
; %bb.299:                              ;   in Loop: Header=BB260_13 Depth=1
	s_mov_b32 s44, 0x7fc02000
	s_xor_b64 s[0:1], exec, -1
; %bb.300:                              ;   in Loop: Header=BB260_13 Depth=1
	s_or_b64 exec, exec, s[42:43]
	s_and_b64 s[0:1], s[0:1], exec
	s_or_saveexec_b64 s[40:41], s[40:41]
	v_mov_b32_e32 v59, s44
	s_xor_b64 exec, exec, s[40:41]
	s_cbranch_execz .LBB260_138
.LBB260_301:                            ;   in Loop: Header=BB260_13 Depth=1
	v_cmp_ne_u16_sdwa s[42:43], v2, v3 src0_sel:BYTE_0 src1_sel:DWORD
	s_andn2_b64 s[0:1], s[0:1], exec
	s_and_b64 s[42:43], s[42:43], exec
	v_mov_b32_e32 v59, 0
	s_or_b64 s[0:1], s[0:1], s[42:43]
	s_or_b64 exec, exec, s[40:41]
	s_and_saveexec_b64 s[40:41], s[0:1]
	s_cbranch_execnz .LBB260_139
	s_branch .LBB260_140
.LBB260_302:                            ;   in Loop: Header=BB260_13 Depth=1
	v_cmp_eq_u16_e64 s[0:1], s53, v2
	s_mov_b64 s[40:41], -1
                                        ; implicit-def: $sgpr55
	s_and_saveexec_b64 s[44:45], s[0:1]
; %bb.303:                              ;   in Loop: Header=BB260_13 Depth=1
	s_mov_b32 s55, 0x7fc02000
	s_xor_b64 s[40:41], exec, -1
; %bb.304:                              ;   in Loop: Header=BB260_13 Depth=1
	s_or_b64 exec, exec, s[44:45]
	s_and_b64 s[40:41], s[40:41], exec
	s_or_saveexec_b64 s[42:43], s[42:43]
	v_mov_b32_e32 v60, s55
	s_xor_b64 exec, exec, s[42:43]
	s_cbranch_execz .LBB260_142
.LBB260_305:                            ;   in Loop: Header=BB260_13 Depth=1
	v_cmp_ne_u16_e64 s[0:1], 0, v2
	s_andn2_b64 s[40:41], s[40:41], exec
	s_and_b64 s[0:1], s[0:1], exec
	v_mov_b32_e32 v60, 0
	s_or_b64 s[40:41], s[40:41], s[0:1]
	s_or_b64 exec, exec, s[42:43]
	s_and_saveexec_b64 s[42:43], s[40:41]
	s_cbranch_execnz .LBB260_143
	s_branch .LBB260_144
.LBB260_306:                            ;   in Loop: Header=BB260_13 Depth=1
	v_cmp_eq_u16_sdwa s[56:57], v12, s53 src0_sel:BYTE_0 src1_sel:DWORD
	s_mov_b64 s[0:1], -1
                                        ; implicit-def: $sgpr44
	s_and_saveexec_b64 s[42:43], s[56:57]
; %bb.307:                              ;   in Loop: Header=BB260_13 Depth=1
	s_mov_b32 s44, 0x7fc02000
	s_xor_b64 s[0:1], exec, -1
; %bb.308:                              ;   in Loop: Header=BB260_13 Depth=1
	s_or_b64 exec, exec, s[42:43]
	s_and_b64 s[0:1], s[0:1], exec
	s_or_saveexec_b64 s[40:41], s[40:41]
	v_mov_b32_e32 v61, s44
	s_xor_b64 exec, exec, s[40:41]
	s_cbranch_execz .LBB260_146
.LBB260_309:                            ;   in Loop: Header=BB260_13 Depth=1
	v_cmp_ne_u16_sdwa s[42:43], v12, v3 src0_sel:BYTE_0 src1_sel:DWORD
	s_andn2_b64 s[0:1], s[0:1], exec
	s_and_b64 s[42:43], s[42:43], exec
	v_mov_b32_e32 v61, 0
	s_or_b64 s[0:1], s[0:1], s[42:43]
	s_or_b64 exec, exec, s[40:41]
	s_and_saveexec_b64 s[40:41], s[0:1]
	s_cbranch_execnz .LBB260_147
	s_branch .LBB260_148
.LBB260_310:                            ;   in Loop: Header=BB260_13 Depth=1
	v_cmp_eq_u16_e64 s[0:1], s53, v2
	s_mov_b64 s[40:41], -1
                                        ; implicit-def: $sgpr55
	s_and_saveexec_b64 s[44:45], s[0:1]
; %bb.311:                              ;   in Loop: Header=BB260_13 Depth=1
	s_mov_b32 s55, 0x7fc02000
	s_xor_b64 s[40:41], exec, -1
; %bb.312:                              ;   in Loop: Header=BB260_13 Depth=1
	s_or_b64 exec, exec, s[44:45]
	s_and_b64 s[40:41], s[40:41], exec
	s_or_saveexec_b64 s[42:43], s[42:43]
	v_mov_b32_e32 v62, s55
	s_xor_b64 exec, exec, s[42:43]
	s_cbranch_execz .LBB260_150
.LBB260_313:                            ;   in Loop: Header=BB260_13 Depth=1
	v_cmp_ne_u16_e64 s[0:1], 0, v2
	s_andn2_b64 s[40:41], s[40:41], exec
	s_and_b64 s[0:1], s[0:1], exec
	v_mov_b32_e32 v62, 0
	s_or_b64 s[40:41], s[40:41], s[0:1]
	s_or_b64 exec, exec, s[42:43]
	s_and_saveexec_b64 s[42:43], s[40:41]
	s_cbranch_execnz .LBB260_151
	s_branch .LBB260_152
.LBB260_314:                            ;   in Loop: Header=BB260_13 Depth=1
	v_cmp_eq_u16_sdwa s[56:57], v2, s53 src0_sel:BYTE_0 src1_sel:DWORD
	s_mov_b64 s[0:1], -1
                                        ; implicit-def: $sgpr44
	s_and_saveexec_b64 s[42:43], s[56:57]
; %bb.315:                              ;   in Loop: Header=BB260_13 Depth=1
	s_mov_b32 s44, 0x7fc02000
	s_xor_b64 s[0:1], exec, -1
; %bb.316:                              ;   in Loop: Header=BB260_13 Depth=1
	s_or_b64 exec, exec, s[42:43]
	s_and_b64 s[0:1], s[0:1], exec
	s_or_saveexec_b64 s[40:41], s[40:41]
	v_mov_b32_e32 v63, s44
	s_xor_b64 exec, exec, s[40:41]
	s_cbranch_execz .LBB260_154
.LBB260_317:                            ;   in Loop: Header=BB260_13 Depth=1
	v_cmp_ne_u16_sdwa s[42:43], v2, v3 src0_sel:BYTE_0 src1_sel:DWORD
	s_andn2_b64 s[0:1], s[0:1], exec
	s_and_b64 s[42:43], s[42:43], exec
	v_mov_b32_e32 v63, 0
	s_or_b64 s[0:1], s[0:1], s[42:43]
	s_or_b64 exec, exec, s[40:41]
	s_and_saveexec_b64 s[40:41], s[0:1]
	s_cbranch_execnz .LBB260_155
	s_branch .LBB260_156
.LBB260_318:                            ;   in Loop: Header=BB260_13 Depth=1
	v_cmp_eq_u16_e64 s[0:1], s53, v2
	s_mov_b64 s[40:41], -1
                                        ; implicit-def: $sgpr55
	s_and_saveexec_b64 s[44:45], s[0:1]
; %bb.319:                              ;   in Loop: Header=BB260_13 Depth=1
	s_mov_b32 s55, 0x7fc02000
	s_xor_b64 s[40:41], exec, -1
; %bb.320:                              ;   in Loop: Header=BB260_13 Depth=1
	s_or_b64 exec, exec, s[44:45]
	s_and_b64 s[40:41], s[40:41], exec
	s_or_saveexec_b64 s[42:43], s[42:43]
	v_mov_b32_e32 v64, s55
	s_xor_b64 exec, exec, s[42:43]
	s_cbranch_execz .LBB260_158
.LBB260_321:                            ;   in Loop: Header=BB260_13 Depth=1
	v_cmp_ne_u16_e64 s[0:1], 0, v2
	s_andn2_b64 s[40:41], s[40:41], exec
	s_and_b64 s[0:1], s[0:1], exec
	v_mov_b32_e32 v64, 0
	s_or_b64 s[40:41], s[40:41], s[0:1]
	s_or_b64 exec, exec, s[42:43]
	s_and_saveexec_b64 s[42:43], s[40:41]
	s_cbranch_execnz .LBB260_159
	s_branch .LBB260_160
.LBB260_322:                            ;   in Loop: Header=BB260_13 Depth=1
	v_cmp_eq_u16_sdwa s[56:57], v10, s53 src0_sel:BYTE_0 src1_sel:DWORD
	s_mov_b64 s[0:1], -1
                                        ; implicit-def: $sgpr44
	s_and_saveexec_b64 s[42:43], s[56:57]
; %bb.323:                              ;   in Loop: Header=BB260_13 Depth=1
	s_mov_b32 s44, 0x7fc02000
	s_xor_b64 s[0:1], exec, -1
; %bb.324:                              ;   in Loop: Header=BB260_13 Depth=1
	s_or_b64 exec, exec, s[42:43]
	s_and_b64 s[0:1], s[0:1], exec
	s_or_saveexec_b64 s[40:41], s[40:41]
	v_mov_b32_e32 v11, s44
	s_xor_b64 exec, exec, s[40:41]
	s_cbranch_execz .LBB260_162
.LBB260_325:                            ;   in Loop: Header=BB260_13 Depth=1
	v_cmp_ne_u16_sdwa s[42:43], v10, v3 src0_sel:BYTE_0 src1_sel:DWORD
	s_andn2_b64 s[0:1], s[0:1], exec
	s_and_b64 s[42:43], s[42:43], exec
	v_mov_b32_e32 v11, 0
	s_or_b64 s[0:1], s[0:1], s[42:43]
	s_or_b64 exec, exec, s[40:41]
	s_and_saveexec_b64 s[40:41], s[0:1]
	s_cbranch_execnz .LBB260_163
	s_branch .LBB260_164
.LBB260_326:                            ;   in Loop: Header=BB260_13 Depth=1
	v_cmp_eq_u16_e64 s[0:1], s53, v2
	s_mov_b64 s[40:41], -1
                                        ; implicit-def: $sgpr55
	s_and_saveexec_b64 s[44:45], s[0:1]
; %bb.327:                              ;   in Loop: Header=BB260_13 Depth=1
	s_mov_b32 s55, 0x7fc02000
	s_xor_b64 s[40:41], exec, -1
; %bb.328:                              ;   in Loop: Header=BB260_13 Depth=1
	s_or_b64 exec, exec, s[44:45]
	s_and_b64 s[40:41], s[40:41], exec
	s_or_saveexec_b64 s[42:43], s[42:43]
	v_mov_b32_e32 v65, s55
	s_xor_b64 exec, exec, s[42:43]
	s_cbranch_execz .LBB260_166
.LBB260_329:                            ;   in Loop: Header=BB260_13 Depth=1
	v_cmp_ne_u16_e64 s[0:1], 0, v2
	s_andn2_b64 s[40:41], s[40:41], exec
	s_and_b64 s[0:1], s[0:1], exec
	v_mov_b32_e32 v65, 0
	s_or_b64 s[40:41], s[40:41], s[0:1]
	s_or_b64 exec, exec, s[42:43]
	s_and_saveexec_b64 s[42:43], s[40:41]
	s_cbranch_execnz .LBB260_167
	s_branch .LBB260_168
.LBB260_330:                            ;   in Loop: Header=BB260_13 Depth=1
	v_cmp_eq_u16_sdwa s[56:57], v2, s53 src0_sel:BYTE_0 src1_sel:DWORD
	s_mov_b64 s[0:1], -1
                                        ; implicit-def: $sgpr44
	s_and_saveexec_b64 s[42:43], s[56:57]
; %bb.331:                              ;   in Loop: Header=BB260_13 Depth=1
	s_mov_b32 s44, 0x7fc02000
	s_xor_b64 s[0:1], exec, -1
; %bb.332:                              ;   in Loop: Header=BB260_13 Depth=1
	s_or_b64 exec, exec, s[42:43]
	s_and_b64 s[0:1], s[0:1], exec
	s_or_saveexec_b64 s[40:41], s[40:41]
	v_mov_b32_e32 v66, s44
	s_xor_b64 exec, exec, s[40:41]
	s_cbranch_execz .LBB260_170
.LBB260_333:                            ;   in Loop: Header=BB260_13 Depth=1
	v_cmp_ne_u16_sdwa s[42:43], v2, v3 src0_sel:BYTE_0 src1_sel:DWORD
	s_andn2_b64 s[0:1], s[0:1], exec
	s_and_b64 s[42:43], s[42:43], exec
	v_mov_b32_e32 v66, 0
	s_or_b64 s[0:1], s[0:1], s[42:43]
	s_or_b64 exec, exec, s[40:41]
	s_and_saveexec_b64 s[40:41], s[0:1]
	s_cbranch_execnz .LBB260_171
	s_branch .LBB260_172
.LBB260_334:                            ;   in Loop: Header=BB260_13 Depth=1
	v_cmp_eq_u16_e64 s[0:1], s53, v2
	s_mov_b64 s[40:41], -1
                                        ; implicit-def: $sgpr55
	s_and_saveexec_b64 s[44:45], s[0:1]
; %bb.335:                              ;   in Loop: Header=BB260_13 Depth=1
	s_mov_b32 s55, 0x7fc02000
	s_xor_b64 s[40:41], exec, -1
; %bb.336:                              ;   in Loop: Header=BB260_13 Depth=1
	s_or_b64 exec, exec, s[44:45]
	s_and_b64 s[40:41], s[40:41], exec
	s_or_saveexec_b64 s[42:43], s[42:43]
	v_mov_b32_e32 v67, s55
	s_xor_b64 exec, exec, s[42:43]
	s_cbranch_execz .LBB260_174
.LBB260_337:                            ;   in Loop: Header=BB260_13 Depth=1
	v_cmp_ne_u16_e64 s[0:1], 0, v2
	s_andn2_b64 s[40:41], s[40:41], exec
	s_and_b64 s[0:1], s[0:1], exec
	v_mov_b32_e32 v67, 0
	s_or_b64 s[40:41], s[40:41], s[0:1]
	s_or_b64 exec, exec, s[42:43]
	s_and_saveexec_b64 s[42:43], s[40:41]
	s_cbranch_execnz .LBB260_175
	s_branch .LBB260_176
.LBB260_338:
	s_or_b64 exec, exec, s[38:39]
.LBB260_339:
	s_or_b64 exec, exec, s[18:19]
	v_mbcnt_hi_u32_b32 v9, -1, v15
	v_and_b32_e32 v2, 64, v9
	s_waitcnt lgkmcnt(0)
	v_add_u32_e32 v10, 64, v2
	v_xor_b32_e32 v2, 32, v9
	v_cmp_lt_i32_e32 vcc, v2, v10
	v_xor_b32_e32 v5, 16, v9
	v_max_f32_e32 v4, v19, v19
	v_cndmask_b32_e32 v2, v9, v2, vcc
	v_lshlrev_b32_e32 v2, 2, v2
	ds_bpermute_b32 v3, v2, v19
	v_cmp_lt_i32_e32 vcc, v5, v10
	v_xor_b32_e32 v6, 8, v9
	v_xor_b32_e32 v7, 4, v9
	;; [unrolled: 1-line block ×3, first 2 shown]
	s_waitcnt lgkmcnt(0)
	v_max_f32_e32 v3, v3, v3
	v_max_f32_e32 v4, v4, v3
	v_cndmask_b32_e32 v3, v9, v5, vcc
	v_lshlrev_b32_e32 v3, 2, v3
	ds_bpermute_b32 v5, v3, v4
	v_cmp_lt_i32_e32 vcc, v6, v10
	v_and_b32_e32 v24, 63, v0
	s_waitcnt lgkmcnt(0)
	v_max_f32_e32 v5, v5, v5
	v_max_f32_e32 v5, v4, v5
	v_cndmask_b32_e32 v4, v9, v6, vcc
	v_lshlrev_b32_e32 v4, 2, v4
	ds_bpermute_b32 v6, v4, v5
	v_cmp_lt_i32_e32 vcc, v7, v10
	s_waitcnt lgkmcnt(0)
	v_max_f32_e32 v6, v6, v6
	v_max_f32_e32 v6, v5, v6
	v_cndmask_b32_e32 v5, v9, v7, vcc
	v_lshlrev_b32_e32 v5, 2, v5
	ds_bpermute_b32 v7, v5, v6
	v_cmp_lt_i32_e32 vcc, v11, v10
	s_waitcnt lgkmcnt(0)
	v_max_f32_e32 v7, v7, v7
	v_max_f32_e32 v8, v6, v7
	v_cndmask_b32_e32 v6, v9, v11, vcc
	v_lshlrev_b32_e32 v7, 2, v6
	ds_bpermute_b32 v11, v7, v8
	v_cmp_eq_u32_e32 vcc, 0, v24
	v_lshlrev_b32_e32 v6, 2, v1
	s_and_saveexec_b64 s[0:1], vcc
	s_cbranch_execz .LBB260_341
; %bb.340:
	s_waitcnt lgkmcnt(0)
	v_max_f32_e32 v11, v11, v11
	v_max_f32_e32 v8, v8, v8
	;; [unrolled: 1-line block ×3, first 2 shown]
	ds_write_b32 v6, v8 offset:160
.LBB260_341:
	s_or_b64 exec, exec, s[0:1]
	v_cmp_gt_u32_e64 s[0:1], 2, v24
	s_waitcnt lgkmcnt(0)
	v_mov_b32_e32 v11, 0xff7fffff
	v_lshlrev_b32_e32 v8, 2, v24
	s_barrier
	s_and_saveexec_b64 s[2:3], s[0:1]
	s_cbranch_execz .LBB260_343
; %bb.342:
	ds_read_b32 v11, v8 offset:160
.LBB260_343:
	s_or_b64 exec, exec, s[2:3]
	v_xor_b32_e32 v12, 1, v9
	v_cmp_lt_i32_e64 s[2:3], v12, v10
	s_nop 1
	v_cndmask_b32_e64 v10, v9, v12, s[2:3]
	v_lshlrev_b32_e32 v25, 2, v10
	s_waitcnt lgkmcnt(0)
	ds_bpermute_b32 v10, v25, v11
	v_max_f32_e32 v11, v11, v11
	v_lshlrev_b32_e32 v9, 2, v9
	v_and_b32_e32 v9, 0x100, v9
	s_lshl_b32 s2, s46, 5
	s_waitcnt lgkmcnt(0)
	v_max_f32_e32 v10, v10, v10
	v_max_f32_e32 v10, v11, v10
	ds_bpermute_b32 v11, v9, v10
	s_min_i32 s37, s2, s25
	v_cmp_gt_i32_e64 s[2:3], s37, v0
	v_mov_b32_e32 v10, 0
	s_and_saveexec_b64 s[12:13], s[2:3]
	s_cbranch_execz .LBB260_347
; %bb.344:
	v_mov_b32_e32 v10, 0xb0
	v_lshl_add_u32 v12, v0, 2, v10
	s_mov_b64 s[18:19], 0
	v_mov_b32_e32 v10, 0
	v_mov_b32_e32 v15, v0
.LBB260_345:                            ; =>This Inner Loop Header: Depth=1
	ds_read_b32 v16, v12
	v_add_u32_e32 v15, 0x80, v15
	v_cmp_le_i32_e64 s[8:9], s37, v15
	s_or_b64 s[18:19], s[8:9], s[18:19]
	s_waitcnt lgkmcnt(0)
	v_sub_f32_e32 v16, v16, v11
	v_mul_f32_e32 v16, 0x3fb8aa3b, v16
	v_exp_f32_e32 v16, v16
	ds_write_b32 v12, v16
	v_add_f32_e32 v10, v10, v16
	v_add_u32_e32 v12, 0x200, v12
	s_andn2_b64 exec, exec, s[18:19]
	s_cbranch_execnz .LBB260_345
; %bb.346:
	s_or_b64 exec, exec, s[18:19]
.LBB260_347:
	s_or_b64 exec, exec, s[12:13]
	ds_bpermute_b32 v2, v2, v10
	s_waitcnt lgkmcnt(0)
	v_add_f32_e32 v2, v10, v2
	ds_bpermute_b32 v3, v3, v2
	s_waitcnt lgkmcnt(0)
	v_add_f32_e32 v2, v2, v3
	;; [unrolled: 3-line block ×6, first 2 shown]
	s_and_saveexec_b64 s[8:9], vcc
	s_cbranch_execz .LBB260_349
; %bb.348:
	ds_write_b32 v6, v2 offset:168
.LBB260_349:
	s_or_b64 exec, exec, s[8:9]
	s_waitcnt lgkmcnt(0)
	s_barrier
	s_and_saveexec_b64 s[8:9], s[0:1]
	s_cbranch_execz .LBB260_351
; %bb.350:
	ds_read_b32 v2, v8 offset:168
.LBB260_351:
	s_or_b64 exec, exec, s[8:9]
	s_waitcnt lgkmcnt(0)
	ds_bpermute_b32 v3, v25, v2
	s_waitcnt lgkmcnt(0)
	v_add_f32_e32 v2, v2, v3
	ds_bpermute_b32 v2, v9, v2
	s_and_saveexec_b64 s[0:1], s[2:3]
	s_cbranch_execz .LBB260_364
; %bb.352:
	s_waitcnt lgkmcnt(0)
	v_add_f32_e32 v2, 0x358637bd, v2
	v_div_scale_f32 v3, s[2:3], v2, v2, 1.0
	v_rcp_f32_e32 v4, v3
	v_div_scale_f32 v5, vcc, 1.0, v2, 1.0
	s_movk_i32 s2, 0x7f
	v_fma_f32 v6, -v3, v4, 1.0
	v_fmac_f32_e32 v4, v6, v4
	v_mul_f32_e32 v6, v5, v4
	v_fma_f32 v8, -v3, v6, v5
	v_fmac_f32_e32 v6, v8, v4
	v_fma_f32 v3, -v3, v6, v5
	v_div_fmas_f32 v3, v3, v4, v6
	v_xad_u32 v4, v0, -1, s37
	v_div_fixup_f32 v2, v3, v2, 1.0
	v_cmp_lt_u32_e32 vcc, s2, v4
	s_mov_b64 s[8:9], -1
	v_mov_b32_e32 v3, v0
	s_and_saveexec_b64 s[2:3], vcc
	s_cbranch_execz .LBB260_361
; %bb.353:
	v_lshrrev_b32_e32 v4, 7, v4
	v_add_u32_e32 v6, -1, v4
	v_lshrrev_b32_e32 v5, 1, v6
	v_mov_b32_e32 v3, v2
	v_add_u32_e32 v5, 1, v5
	v_cmp_lt_u32_e32 vcc, 13, v6
	v_mov_b32_e32 v9, 0
	s_and_saveexec_b64 s[8:9], vcc
	s_cbranch_execz .LBB260_357
; %bb.354:
	v_mov_b32_e32 v8, 0xb0
	v_and_b32_e32 v6, -8, v5
	v_lshl_add_u32 v8, v0, 2, v8
	s_mov_b32 s18, 0
	s_mov_b64 s[12:13], 0
.LBB260_355:                            ; =>This Inner Loop Header: Depth=1
	ds_read2st64_b32 v[10:11], v8 offset1:2
	ds_read2st64_b32 v[18:19], v8 offset0:4 offset1:6
	ds_read2st64_b32 v[20:21], v8 offset0:8 offset1:10
	;; [unrolled: 1-line block ×3, first 2 shown]
	v_add_u32_e32 v6, -8, v6
	s_waitcnt lgkmcnt(3)
	v_pk_mul_f32 v[10:11], v[2:3], v[10:11]
	s_waitcnt lgkmcnt(2)
	v_pk_mul_f32 v[18:19], v[2:3], v[18:19]
	ds_write2st64_b32 v8, v10, v11 offset1:2
	ds_write2st64_b32 v8, v18, v19 offset0:4 offset1:6
	ds_read2st64_b32 v[18:19], v8 offset0:16 offset1:18
	s_waitcnt lgkmcnt(4)
	v_pk_mul_f32 v[10:11], v[2:3], v[20:21]
	ds_write2st64_b32 v8, v10, v11 offset0:8 offset1:10
	s_waitcnt lgkmcnt(4)
	v_pk_mul_f32 v[10:11], v[2:3], v[22:23]
	ds_write2st64_b32 v8, v10, v11 offset0:12 offset1:14
	ds_read2st64_b32 v[10:11], v8 offset0:20 offset1:22
	s_waitcnt lgkmcnt(3)
	v_pk_mul_f32 v[18:19], v[2:3], v[18:19]
	ds_read2st64_b32 v[20:21], v8 offset0:24 offset1:26
	ds_write2st64_b32 v8, v18, v19 offset0:16 offset1:18
	ds_read2st64_b32 v[18:19], v8 offset0:28 offset1:30
	s_waitcnt lgkmcnt(3)
	v_pk_mul_f32 v[10:11], v[2:3], v[10:11]
	ds_write2st64_b32 v8, v10, v11 offset0:20 offset1:22
	s_waitcnt lgkmcnt(3)
	v_pk_mul_f32 v[10:11], v[2:3], v[20:21]
	ds_write2st64_b32 v8, v10, v11 offset0:24 offset1:26
	s_waitcnt lgkmcnt(2)
	v_pk_mul_f32 v[10:11], v[2:3], v[18:19]
	s_add_i32 s18, s18, 16
	v_cmp_eq_u32_e32 vcc, 0, v6
	ds_write2st64_b32 v8, v10, v11 offset0:28 offset1:30
	v_add_u32_e32 v8, 0x2000, v8
	s_or_b64 s[12:13], vcc, s[12:13]
	v_mov_b32_e32 v9, s18
	s_andn2_b64 exec, exec, s[12:13]
	s_cbranch_execnz .LBB260_355
; %bb.356:
	s_or_b64 exec, exec, s[12:13]
.LBB260_357:
	s_or_b64 exec, exec, s[8:9]
	v_and_b32_e32 v5, 7, v5
	v_cmp_ne_u32_e32 vcc, 0, v5
	s_and_saveexec_b64 s[8:9], vcc
	s_cbranch_execz .LBB260_360
; %bb.358:
	v_lshlrev_b32_e32 v6, 9, v9
	v_lshlrev_b32_e32 v8, 2, v0
	s_movk_i32 s12, 0xb0
	v_add3_u32 v6, v6, v8, s12
	s_mov_b64 s[12:13], 0
.LBB260_359:                            ; =>This Inner Loop Header: Depth=1
	ds_read2st64_b32 v[8:9], v6 offset1:2
	v_add_u32_e32 v5, -1, v5
	v_cmp_eq_u32_e32 vcc, 0, v5
	s_or_b64 s[12:13], vcc, s[12:13]
	s_waitcnt lgkmcnt(0)
	v_pk_mul_f32 v[8:9], v[2:3], v[8:9]
	ds_write2st64_b32 v6, v8, v9 offset1:2
	v_add_u32_e32 v6, 0x400, v6
	s_andn2_b64 exec, exec, s[12:13]
	s_cbranch_execnz .LBB260_359
.LBB260_360:
	s_or_b64 exec, exec, s[8:9]
	v_add_u32_e32 v4, 1, v4
	v_and_b32_e32 v5, 0x3fffffe, v4
	v_cmp_ne_u32_e32 vcc, v4, v5
	v_lshl_add_u32 v3, v5, 7, v0
	s_orn2_b64 s[8:9], vcc, exec
.LBB260_361:
	s_or_b64 exec, exec, s[2:3]
	s_and_b64 exec, exec, s[8:9]
	s_cbranch_execz .LBB260_364
; %bb.362:
	v_mov_b32_e32 v4, 0xb0
	v_lshl_add_u32 v4, v3, 2, v4
	s_mov_b64 s[2:3], 0
.LBB260_363:                            ; =>This Inner Loop Header: Depth=1
	ds_read_b32 v5, v4
	v_add_u32_e32 v3, 0x80, v3
	v_cmp_le_i32_e32 vcc, s37, v3
	s_or_b64 s[2:3], vcc, s[2:3]
	s_waitcnt lgkmcnt(0)
	v_mul_f32_e32 v5, v2, v5
	ds_write_b32 v4, v5
	v_add_u32_e32 v4, 0x200, v4
	s_andn2_b64 exec, exec, s[2:3]
	s_cbranch_execnz .LBB260_363
.LBB260_364:
	s_or_b64 exec, exec, s[0:1]
	s_mov_b32 s8, 0
	v_mov_b32_e32 v6, 0
	v_and_b32_e32 v26, 3, v0
	v_mov_b32_e32 v5, 0
	v_mov_b32_e32 v4, 0
	;; [unrolled: 1-line block ×3, first 2 shown]
	s_waitcnt lgkmcnt(0)
	v_mov_b32_e32 v2, 0
	s_barrier
	s_and_saveexec_b64 s[2:3], s[6:7]
	s_cbranch_execz .LBB260_700
; %bb.365:
	s_sub_i32 s18, s16, s21
	s_ashr_i32 s1, s47, 31
	s_add_u32 s0, s34, s47
	s_addc_u32 s1, s35, s1
	s_abs_i32 s19, s22
	v_cvt_f32_u32_e32 v2, s19
	s_sub_i32 s6, 0, s19
	v_and_b32_e32 v8, 0x1f8, v13
	v_mov_b32_e32 v9, 0
	v_rcp_iflag_f32_e32 v2, v2
	s_add_i32 s34, s46, -1
	v_lshl_add_u64 v[10:11], s[0:1], 0, v[8:9]
	s_lshl_b64 s[0:1], s[30:31], 2
	v_mul_f32_e32 v2, 0x4f7ffffe, v2
	v_cvt_u32_f32_e32 v2, v2
	s_add_u32 s0, s10, s0
	v_and_b32_e32 v8, 60, v14
	s_addc_u32 s1, s11, s1
	v_mul_lo_u32 v3, s6, v2
	v_mul_hi_u32 v3, v2, v3
	v_add_u32_e32 v28, v2, v3
	v_lshlrev_b32_e32 v2, 5, v26
	v_lshl_or_b32 v2, v1, 7, v2
	v_add_u32_e32 v29, 0xb0, v2
	s_mov_b32 s9, s8
	s_mov_b32 s10, s8
	s_mov_b32 s11, s8
	s_mov_b32 s12, s8
	v_mov_b32_e32 v2, s8
	v_and_b32_e32 v27, 24, v13
	s_mov_b32 s21, s17
	s_mov_b32 s22, s25
	v_lshl_add_u64 v[12:13], s[0:1], 0, v[8:9]
	s_mov_b64 s[6:7], 0
	v_mov_b32_e32 v3, s9
	v_mov_b32_e32 v4, s10
	;; [unrolled: 1-line block ×4, first 2 shown]
	s_movk_i32 s30, 0x7f
	s_movk_i32 s31, 0x80
	s_mov_b32 s35, 0x8000
	s_movk_i32 s37, 0x380
	s_mov_b32 s38, 0x3020706
	s_mov_b32 s39, 0x1000504
	;; [unrolled: 1-line block ×3, first 2 shown]
	v_mov_b32_e32 v30, 0x1c00
	s_branch .LBB260_368
.LBB260_366:                            ;   in Loop: Header=BB260_368 Depth=1
	s_or_b64 exec, exec, s[0:1]
	;;#ASMSTART
	v_pk_mul_f16 v15, v42, v15;

	;;#ASMEND
	;;#ASMSTART
	v_pk_mul_f16 v8, v41, v8;

	;;#ASMEND
	;; [unrolled: 4-line block ×4, first 2 shown]
	v_add_f32_e32 v18, v43, v44
	;;#ASMSTART
	v_pk_add_f16 v8, v15, v8;

	;;#ASMEND
	v_add_f32_e32 v2, v2, v18
	;;#ASMSTART
	v_pk_add_f16 v8, v8, v14;

	;;#ASMEND
	;; [unrolled: 5-line block ×3, first 2 shown]
	v_add_f32_e32 v3, v3, v18
	v_lshrrev_b32_e32 v14, 16, v8
	v_and_b32_e32 v8, 0xffff, v8
	v_add_f32_e32 v18, v47, v48
	;;#ASMSTART
	v_cvt_f32_f16 v8, v8;
	;;#ASMEND
	v_add_f32_e32 v4, v4, v18
	v_add_f32_e32 v18, v22, v23
	;;#ASMSTART
	v_cvt_f32_f16 v14, v14;
	;;#ASMEND
	v_add_f32_e32 v5, v5, v18
	v_add_f32_e32 v8, v8, v14
	;; [unrolled: 1-line block ×3, first 2 shown]
.LBB260_367:                            ;   in Loop: Header=BB260_368 Depth=1
	s_or_b64 exec, exec, s[8:9]
	v_add_u32_e32 v1, 2, v1
	v_cmp_le_i32_e32 vcc, s46, v1
	v_lshl_add_u64 v[12:13], v[12:13], 0, 8
	v_add_u32_e32 v17, 64, v17
	s_or_b64 s[6:7], vcc, s[6:7]
	v_add_u32_e32 v29, 0x100, v29
	s_andn2_b64 exec, exec, s[6:7]
	s_cbranch_execz .LBB260_699
.LBB260_368:                            ; =>This Inner Loop Header: Depth=1
	v_mul_hi_u32 v8, v17, s33
	v_mul_lo_u32 v14, v8, s27
	v_sub_u32_e32 v14, v17, v14
	v_add_u32_e32 v15, 1, v8
	v_cmp_le_u32_e32 vcc, s27, v14
	s_nop 1
	v_cndmask_b32_e32 v8, v8, v15, vcc
	v_subrev_u32_e32 v15, s27, v14
	v_cndmask_b32_e32 v14, v14, v15, vcc
	v_add_u32_e32 v15, 1, v8
	v_cmp_le_u32_e32 vcc, s27, v14
	s_nop 1
	v_cndmask_b32_e32 v8, v8, v15, vcc
	v_xor_b32_e32 v8, s23, v8
	v_subrev_u32_e32 v8, s23, v8
	v_add_u32_e32 v14, s36, v8
	v_sub_u32_e32 v16, 0, v14
	v_ashrrev_i32_e32 v15, 31, v14
	v_max_i32_e32 v14, v14, v16
	v_mul_hi_u32 v16, v14, v28
	v_mul_lo_u32 v16, v16, s19
	v_sub_u32_e32 v14, v14, v16
	v_subrev_u32_e32 v16, s19, v14
	v_cmp_le_u32_e32 vcc, s19, v14
	v_cmp_lt_i32_e64 s[0:1], s18, v8
	s_nop 0
	v_cndmask_b32_e32 v14, v14, v16, vcc
	v_subrev_u32_e32 v16, s19, v14
	v_cmp_le_u32_e32 vcc, s19, v14
	s_nop 1
	v_cndmask_b32_e32 v14, v14, v16, vcc
	v_xor_b32_e32 v14, v14, v15
	v_sub_u32_e32 v14, v14, v15
	v_cmp_eq_u32_e32 vcc, 0, v14
	s_or_b64 s[0:1], vcc, s[0:1]
	s_and_saveexec_b64 s[8:9], s[0:1]
	s_cbranch_execz .LBB260_367
; %bb.369:                              ;   in Loop: Header=BB260_368 Depth=1
	ds_read2_b64 v[18:21], v29 offset1:1
	ds_read2_b64 v[32:35], v29 offset0:2 offset1:3
                                        ; implicit-def: $sgpr16
	s_waitcnt lgkmcnt(1)
	;;#ASMSTART
	v_cvt_f16_f32 v39, v18;

	;;#ASMEND
	;;#ASMSTART
	v_cvt_f16_f32 v40, v19;

	;;#ASMEND
	;; [unrolled: 4-line block ×4, first 2 shown]
	s_waitcnt lgkmcnt(0)
	;;#ASMSTART
	v_cvt_f16_f32 v44, v32;

	;;#ASMEND
	;;#ASMSTART
	v_cvt_f16_f32 v45, v33;

	;;#ASMEND
	;;#ASMSTART
	v_cvt_f16_f32 v46, v34;

	;;#ASMEND
	;;#ASMSTART
	v_cvt_f16_f32 v47, v35;

	;;#ASMEND
	global_load_dword v8, v[12:13], off
	s_waitcnt vmcnt(0)
	v_mad_i64_i32 v[14:15], s[0:1], v8, s21, v[10:11]
	global_load_dwordx2 v[18:19], v[14:15], off
	global_load_dword v16, v9, s[14:15]
	s_mov_b64 s[0:1], 0
	s_waitcnt vmcnt(1)
	v_cmp_gt_i16_sdwa s[10:11], v18, s30 src0_sel:BYTE_0 src1_sel:DWORD
	s_and_saveexec_b64 s[12:13], s[10:11]
	s_xor_b64 s[10:11], exec, s[12:13]
	s_cbranch_execnz .LBB260_539
; %bb.370:                              ;   in Loop: Header=BB260_368 Depth=1
	s_or_saveexec_b64 s[10:11], s[10:11]
	v_mov_b32_e32 v20, s16
	s_xor_b64 exec, exec, s[10:11]
	s_cbranch_execnz .LBB260_542
.LBB260_371:                            ;   in Loop: Header=BB260_368 Depth=1
	s_or_b64 exec, exec, s[10:11]
	s_and_saveexec_b64 s[10:11], s[0:1]
	s_cbranch_execz .LBB260_373
.LBB260_372:                            ;   in Loop: Header=BB260_368 Depth=1
	v_and_b32_e32 v8, 7, v18
	v_ffbh_u32_e32 v8, v8
	v_bfe_u32 v20, v18, 3, 4
	v_min_u32_e32 v8, 32, v8
	v_subrev_u32_e32 v21, 28, v8
	v_sub_u32_e32 v8, 29, v8
	v_cmp_eq_u32_e32 vcc, 0, v20
	s_nop 1
	v_cndmask_b32_e32 v8, v20, v8, vcc
	v_cndmask_b32_e32 v20, 0, v21, vcc
	v_lshlrev_b64 v[20:21], v20, v[18:19]
	v_lshlrev_b32_e32 v21, 8, v18
	v_lshl_add_u32 v8, v8, 10, v30
	v_lshlrev_b32_e32 v20, 7, v20
	v_and_or_b32 v8, v21, s35, v8
	v_and_or_b32 v8, v20, s37, v8
	v_cvt_f32_f16_e32 v20, v8
.LBB260_373:                            ;   in Loop: Header=BB260_368 Depth=1
	s_or_b64 exec, exec, s[10:11]
	v_lshrrev_b16_e32 v8, 8, v18
	v_cmp_lt_i16_e32 vcc, s30, v8
	s_mov_b64 s[0:1], 0
                                        ; implicit-def: $sgpr16
	s_and_saveexec_b64 s[10:11], vcc
	s_xor_b64 s[10:11], exec, s[10:11]
	s_cbranch_execnz .LBB260_543
; %bb.374:                              ;   in Loop: Header=BB260_368 Depth=1
	s_or_saveexec_b64 s[10:11], s[10:11]
	v_mov_b32_e32 v22, s16
	s_xor_b64 exec, exec, s[10:11]
	s_cbranch_execnz .LBB260_546
.LBB260_375:                            ;   in Loop: Header=BB260_368 Depth=1
	s_or_b64 exec, exec, s[10:11]
	s_and_saveexec_b64 s[10:11], s[0:1]
	s_cbranch_execz .LBB260_377
.LBB260_376:                            ;   in Loop: Header=BB260_368 Depth=1
	v_and_b32_e32 v21, 7, v8
	v_ffbh_u32_e32 v22, v21
	v_min_u32_e32 v32, 32, v22
	v_subrev_u32_e32 v22, 28, v32
	v_bfe_u32 v31, v8, 3, 4
	v_lshlrev_b64 v[22:23], v22, v[8:9]
	v_sub_u32_e32 v23, 29, v32
	v_cmp_eq_u32_e32 vcc, 0, v31
	v_and_b32_e32 v22, 7, v22
	v_lshlrev_b32_e32 v8, 8, v8
	v_cndmask_b32_e32 v23, v31, v23, vcc
	v_cndmask_b32_e32 v21, v21, v22, vcc
	v_lshl_add_u32 v22, v23, 10, v30
	v_and_or_b32 v8, v8, s35, v22
	v_lshl_or_b32 v8, v21, 7, v8
	v_cvt_f32_f16_e32 v22, v8
.LBB260_377:                            ;   in Loop: Header=BB260_368 Depth=1
	s_or_b64 exec, exec, s[10:11]
	v_lshrrev_b32_e32 v8, 16, v18
	v_cmp_gt_i16_sdwa s[10:11], v8, s30 src0_sel:BYTE_0 src1_sel:DWORD
	s_mov_b64 s[0:1], 0
                                        ; implicit-def: $sgpr16
	s_and_saveexec_b64 s[12:13], s[10:11]
	s_xor_b64 s[10:11], exec, s[12:13]
	s_cbranch_execnz .LBB260_547
; %bb.378:                              ;   in Loop: Header=BB260_368 Depth=1
	s_or_saveexec_b64 s[10:11], s[10:11]
	v_mov_b32_e32 v21, s16
	s_xor_b64 exec, exec, s[10:11]
	s_cbranch_execnz .LBB260_550
.LBB260_379:                            ;   in Loop: Header=BB260_368 Depth=1
	s_or_b64 exec, exec, s[10:11]
	s_and_saveexec_b64 s[10:11], s[0:1]
	s_cbranch_execz .LBB260_381
.LBB260_380:                            ;   in Loop: Header=BB260_368 Depth=1
	v_bfe_u32 v21, v18, 16, 3
	v_ffbh_u32_e32 v31, v21
	v_bfe_u32 v23, v18, 19, 4
	v_min_u32_e32 v31, 32, v31
	v_subrev_u32_e32 v32, 28, v31
	v_sub_u32_e32 v31, 29, v31
	v_cmp_eq_u32_e32 vcc, 0, v23
	v_lshlrev_b64 v[32:33], v32, v[8:9]
	v_and_b32_e32 v32, 7, v32
	v_cndmask_b32_e32 v23, v23, v31, vcc
	v_lshlrev_b32_e32 v8, 8, v8
	v_lshl_add_u32 v23, v23, 10, v30
	v_cndmask_b32_e32 v21, v21, v32, vcc
	v_and_or_b32 v8, v8, s35, v23
	v_lshl_or_b32 v8, v21, 7, v8
	v_cvt_f32_f16_e32 v21, v8
.LBB260_381:                            ;   in Loop: Header=BB260_368 Depth=1
	s_or_b64 exec, exec, s[10:11]
	v_lshrrev_b32_e32 v8, 24, v18
	v_cmp_lt_i16_e32 vcc, s30, v8
	s_mov_b64 s[0:1], 0
                                        ; implicit-def: $sgpr16
	s_and_saveexec_b64 s[10:11], vcc
	s_xor_b64 s[10:11], exec, s[10:11]
	s_cbranch_execnz .LBB260_551
; %bb.382:                              ;   in Loop: Header=BB260_368 Depth=1
	s_or_saveexec_b64 s[10:11], s[10:11]
	v_mov_b32_e32 v23, s16
	s_xor_b64 exec, exec, s[10:11]
	s_cbranch_execnz .LBB260_554
.LBB260_383:                            ;   in Loop: Header=BB260_368 Depth=1
	s_or_b64 exec, exec, s[10:11]
	s_and_saveexec_b64 s[10:11], s[0:1]
	s_cbranch_execz .LBB260_385
.LBB260_384:                            ;   in Loop: Header=BB260_368 Depth=1
	v_bfe_u32 v23, v18, 24, 3
	v_ffbh_u32_e32 v31, v23
	v_bfe_u32 v18, v18, 27, 4
	v_min_u32_e32 v31, 32, v31
	v_subrev_u32_e32 v32, 28, v31
	v_sub_u32_e32 v31, 29, v31
	v_cmp_eq_u32_e32 vcc, 0, v18
	v_lshlrev_b64 v[32:33], v32, v[8:9]
	v_and_b32_e32 v32, 7, v32
	v_cndmask_b32_e32 v18, v18, v31, vcc
	v_lshlrev_b32_e32 v8, 8, v8
	v_lshl_add_u32 v18, v18, 10, v30
	v_cndmask_b32_e32 v23, v23, v32, vcc
	v_and_or_b32 v8, v8, s35, v18
	v_lshl_or_b32 v8, v23, 7, v8
	v_cvt_f32_f16_e32 v23, v8
.LBB260_385:                            ;   in Loop: Header=BB260_368 Depth=1
	s_or_b64 exec, exec, s[10:11]
	v_cmp_gt_i16_sdwa s[10:11], v19, s30 src0_sel:BYTE_0 src1_sel:DWORD
	s_mov_b64 s[0:1], 0
                                        ; implicit-def: $sgpr16
	s_and_saveexec_b64 s[12:13], s[10:11]
	s_xor_b64 s[10:11], exec, s[12:13]
	s_cbranch_execnz .LBB260_555
; %bb.386:                              ;   in Loop: Header=BB260_368 Depth=1
	s_or_saveexec_b64 s[10:11], s[10:11]
	v_mov_b32_e32 v18, s16
	s_xor_b64 exec, exec, s[10:11]
	s_cbranch_execnz .LBB260_558
.LBB260_387:                            ;   in Loop: Header=BB260_368 Depth=1
	s_or_b64 exec, exec, s[10:11]
	v_mov_b32_e32 v8, v19
	s_and_saveexec_b64 s[10:11], s[0:1]
	s_cbranch_execz .LBB260_389
.LBB260_388:                            ;   in Loop: Header=BB260_368 Depth=1
	v_and_b32_e32 v18, 7, v19
	v_ffbh_u32_e32 v18, v18
	v_bfe_u32 v31, v19, 3, 4
	v_min_u32_e32 v18, 32, v18
	v_subrev_u32_e32 v32, 28, v18
	v_sub_u32_e32 v18, 29, v18
	v_cmp_eq_u32_e32 vcc, 0, v31
	s_nop 1
	v_cndmask_b32_e32 v18, v31, v18, vcc
	v_cndmask_b32_e32 v31, 0, v32, vcc
	v_lshlrev_b64 v[32:33], v31, v[8:9]
	v_lshlrev_b32_e32 v31, 7, v32
	v_lshlrev_b32_e32 v32, 8, v19
	v_lshl_add_u32 v18, v18, 10, v30
	v_and_or_b32 v18, v32, s35, v18
	v_and_or_b32 v18, v31, s37, v18
	v_cvt_f32_f16_e32 v18, v18
.LBB260_389:                            ;   in Loop: Header=BB260_368 Depth=1
	s_or_b64 exec, exec, s[10:11]
	v_lshrrev_b16_e32 v8, 8, v8
	v_cmp_lt_i16_e32 vcc, s30, v8
	s_mov_b64 s[0:1], 0
                                        ; implicit-def: $sgpr16
	s_and_saveexec_b64 s[10:11], vcc
	s_xor_b64 s[10:11], exec, s[10:11]
	s_cbranch_execnz .LBB260_559
; %bb.390:                              ;   in Loop: Header=BB260_368 Depth=1
	s_or_saveexec_b64 s[10:11], s[10:11]
	v_mov_b32_e32 v31, s16
	s_xor_b64 exec, exec, s[10:11]
	s_cbranch_execnz .LBB260_562
.LBB260_391:                            ;   in Loop: Header=BB260_368 Depth=1
	s_or_b64 exec, exec, s[10:11]
	s_and_saveexec_b64 s[10:11], s[0:1]
	s_cbranch_execz .LBB260_393
.LBB260_392:                            ;   in Loop: Header=BB260_368 Depth=1
	v_and_b32_e32 v31, 7, v8
	v_ffbh_u32_e32 v32, v31
	v_min_u32_e32 v35, 32, v32
	v_subrev_u32_e32 v32, 28, v35
	v_bfe_u32 v34, v8, 3, 4
	v_lshlrev_b64 v[32:33], v32, v[8:9]
	v_sub_u32_e32 v33, 29, v35
	v_cmp_eq_u32_e32 vcc, 0, v34
	v_and_b32_e32 v32, 7, v32
	v_lshlrev_b32_e32 v8, 8, v8
	v_cndmask_b32_e32 v33, v34, v33, vcc
	v_cndmask_b32_e32 v31, v31, v32, vcc
	v_lshl_add_u32 v32, v33, 10, v30
	v_and_or_b32 v8, v8, s35, v32
	v_lshl_or_b32 v8, v31, 7, v8
	v_cvt_f32_f16_e32 v31, v8
.LBB260_393:                            ;   in Loop: Header=BB260_368 Depth=1
	s_or_b64 exec, exec, s[10:11]
	v_lshrrev_b32_e32 v8, 16, v19
	v_cmp_gt_i16_sdwa s[10:11], v8, s30 src0_sel:BYTE_0 src1_sel:DWORD
	s_mov_b64 s[0:1], 0
                                        ; implicit-def: $sgpr16
	s_and_saveexec_b64 s[12:13], s[10:11]
	s_xor_b64 s[10:11], exec, s[12:13]
	s_cbranch_execnz .LBB260_563
; %bb.394:                              ;   in Loop: Header=BB260_368 Depth=1
	s_or_saveexec_b64 s[10:11], s[10:11]
	v_mov_b32_e32 v32, s16
	s_xor_b64 exec, exec, s[10:11]
	s_cbranch_execnz .LBB260_566
.LBB260_395:                            ;   in Loop: Header=BB260_368 Depth=1
	s_or_b64 exec, exec, s[10:11]
	s_and_saveexec_b64 s[10:11], s[0:1]
	s_cbranch_execz .LBB260_397
.LBB260_396:                            ;   in Loop: Header=BB260_368 Depth=1
	v_bfe_u32 v34, v19, 16, 3
	v_ffbh_u32_e32 v32, v34
	v_min_u32_e32 v36, 32, v32
	v_subrev_u32_e32 v32, 28, v36
	v_bfe_u32 v35, v19, 19, 4
	v_lshlrev_b64 v[32:33], v32, v[8:9]
	v_sub_u32_e32 v33, 29, v36
	v_cmp_eq_u32_e32 vcc, 0, v35
	v_and_b32_e32 v32, 7, v32
	v_lshlrev_b32_e32 v8, 8, v8
	v_cndmask_b32_e32 v33, v35, v33, vcc
	v_lshl_add_u32 v33, v33, 10, v30
	v_cndmask_b32_e32 v32, v34, v32, vcc
	v_and_or_b32 v8, v8, s35, v33
	v_lshl_or_b32 v8, v32, 7, v8
	v_cvt_f32_f16_e32 v32, v8
.LBB260_397:                            ;   in Loop: Header=BB260_368 Depth=1
	s_or_b64 exec, exec, s[10:11]
	v_lshrrev_b32_e32 v8, 24, v19
	v_cmp_lt_i16_e32 vcc, s30, v8
	s_mov_b64 s[0:1], 0
                                        ; implicit-def: $sgpr16
	s_and_saveexec_b64 s[10:11], vcc
	s_xor_b64 s[10:11], exec, s[10:11]
	s_cbranch_execnz .LBB260_567
; %bb.398:                              ;   in Loop: Header=BB260_368 Depth=1
	s_or_saveexec_b64 s[10:11], s[10:11]
	v_mov_b32_e32 v34, s16
	s_xor_b64 exec, exec, s[10:11]
	s_cbranch_execnz .LBB260_570
.LBB260_399:                            ;   in Loop: Header=BB260_368 Depth=1
	s_or_b64 exec, exec, s[10:11]
	s_and_saveexec_b64 s[10:11], s[0:1]
	s_cbranch_execz .LBB260_401
.LBB260_400:                            ;   in Loop: Header=BB260_368 Depth=1
	v_bfe_u32 v33, v19, 24, 3
	v_ffbh_u32_e32 v34, v33
	v_min_u32_e32 v36, 32, v34
	v_subrev_u32_e32 v34, 28, v36
	v_bfe_u32 v19, v19, 27, 4
	v_lshlrev_b64 v[34:35], v34, v[8:9]
	v_sub_u32_e32 v35, 29, v36
	v_cmp_eq_u32_e32 vcc, 0, v19
	v_and_b32_e32 v34, 7, v34
	v_lshlrev_b32_e32 v8, 8, v8
	v_cndmask_b32_e32 v19, v19, v35, vcc
	v_lshl_add_u32 v19, v19, 10, v30
	v_cndmask_b32_e32 v33, v33, v34, vcc
	v_and_or_b32 v8, v8, s35, v19
	v_lshl_or_b32 v8, v33, 7, v8
	v_cvt_f32_f16_e32 v34, v8
.LBB260_401:                            ;   in Loop: Header=BB260_368 Depth=1
	s_or_b64 exec, exec, s[10:11]
	s_waitcnt vmcnt(0)
	v_pk_mul_f32 v[22:23], v[16:17], v[22:23] op_sel_hi:[0,1]
	v_pk_mul_f32 v[20:21], v[16:17], v[20:21] op_sel_hi:[0,1]
	v_cvt_f16_f32_e32 v8, v23
	v_cvt_f16_f32_e32 v19, v22
	;; [unrolled: 1-line block ×4, first 2 shown]
	v_fma_mixlo_f16 v18, v16, v18, 0
	v_pack_b32_f16 v19, v19, v8
	v_add_u32_e32 v33, v27, v17
	v_pack_b32_f16 v20, v20, v21
	v_perm_b32 v8, v20, v19, s38
	v_perm_b32 v19, v20, v19, s39
	v_fma_mixlo_f16 v20, v16, v31, 0
	v_lshlrev_b32_e32 v20, 16, v20
	v_or_b32_sdwa v18, v20, v18 dst_sel:DWORD dst_unused:UNUSED_PAD src0_sel:DWORD src1_sel:WORD_0
	v_fma_mixlo_f16 v20, v16, v32, 0
	v_fma_mixlo_f16 v16, v16, v34, 0
	v_lshlrev_b32_e32 v16, 16, v16
	v_cmp_eq_u32_e32 vcc, s34, v1
	v_or_b32_sdwa v16, v16, v20 dst_sel:DWORD dst_unused:UNUSED_PAD src0_sel:DWORD src1_sel:WORD_0
	v_add_u32_e32 v38, 1, v33
	v_or_b32_e32 v37, 3, v33
	v_or_b32_e32 v36, 2, v33
	;; [unrolled: 1-line block ×6, first 2 shown]
	s_and_saveexec_b64 s[10:11], vcc
	s_cbranch_execz .LBB260_403
; %bb.402:                              ;   in Loop: Header=BB260_368 Depth=1
	v_lshrrev_b32_e32 v21, 16, v19
	v_cmp_gt_i32_e64 s[0:1], s22, v38
	v_lshrrev_b32_e32 v16, 16, v16
	s_nop 0
	v_cndmask_b32_e64 v21, 0, v21, s[0:1]
	v_cmp_gt_i32_e64 s[0:1], s25, v33
	s_nop 1
	v_cndmask_b32_e64 v19, 0, v19, s[0:1]
	v_perm_b32 v19, v21, v19, s40
	v_lshrrev_b32_e32 v21, 16, v8
	v_cmp_gt_i32_e64 s[0:1], s22, v37
	s_nop 1
	v_cndmask_b32_e64 v21, 0, v21, s[0:1]
	v_cmp_gt_i32_e64 s[0:1], s25, v36
	s_nop 1
	v_cndmask_b32_e64 v8, 0, v8, s[0:1]
	v_perm_b32 v8, v21, v8, s40
	v_lshrrev_b32_e32 v21, 16, v18
	v_cmp_gt_i32_e64 s[0:1], s22, v35
	s_nop 1
	v_cndmask_b32_e64 v21, 0, v21, s[0:1]
	v_cmp_gt_i32_e64 s[0:1], s25, v34
	s_nop 1
	v_cndmask_b32_e64 v18, 0, v18, s[0:1]
	v_cmp_gt_i32_e64 s[0:1], s22, v32
	v_perm_b32 v18, v21, v18, s40
	s_nop 0
	v_cndmask_b32_e64 v16, 0, v16, s[0:1]
	v_cmp_gt_i32_e64 s[0:1], s25, v31
	s_nop 1
	v_cndmask_b32_e64 v20, 0, v20, s[0:1]
	v_perm_b32 v16, v16, v20, s40
.LBB260_403:                            ;   in Loop: Header=BB260_368 Depth=1
	s_or_b64 exec, exec, s[10:11]
	v_and_b32_e32 v20, 0xffff, v39
	v_lshl_or_b32 v42, v40, 16, v20
	v_and_b32_e32 v20, 0xffff, v41
	v_lshl_or_b32 v41, v43, 16, v20
	;; [unrolled: 2-line block ×3, first 2 shown]
	v_and_b32_e32 v20, 0xffff, v46
	;;#ASMSTART
	v_pk_mul_f16 v19, v42, v19;

	;;#ASMEND
	;;#ASMSTART
	v_pk_mul_f16 v8, v41, v8;

	;;#ASMEND
	v_lshl_or_b32 v39, v47, 16, v20
	;;#ASMSTART
	v_pk_mul_f16 v18, v40, v18;

	;;#ASMEND
	;;#ASMSTART
	v_pk_mul_f16 v16, v39, v16;

	;;#ASMEND
	;;#ASMSTART
	v_pk_add_f16 v8, v19, v8;

	;;#ASMEND
	s_mov_b64 s[0:1], 0
	;;#ASMSTART
	v_pk_add_f16 v8, v8, v18;

	;;#ASMEND
                                        ; implicit-def: $sgpr16
	s_nop 0
	;;#ASMSTART
	v_pk_add_f16 v8, v8, v16;

	;;#ASMEND
	s_nop 0
	v_lshrrev_b32_e32 v16, 16, v8
	v_and_b32_e32 v8, 0xffff, v8
	;;#ASMSTART
	v_cvt_f32_f16 v43, v8;
	;;#ASMEND
	;;#ASMSTART
	v_cvt_f32_f16 v44, v16;
	;;#ASMEND
	global_load_dwordx2 v[18:19], v[14:15], off offset:512
	global_load_dword v16, v9, s[14:15]
	s_waitcnt vmcnt(1)
	v_cmp_gt_i16_sdwa s[10:11], v18, s30 src0_sel:BYTE_0 src1_sel:DWORD
	s_and_saveexec_b64 s[12:13], s[10:11]
	s_xor_b64 s[10:11], exec, s[12:13]
	s_cbranch_execnz .LBB260_571
; %bb.404:                              ;   in Loop: Header=BB260_368 Depth=1
	s_or_saveexec_b64 s[10:11], s[10:11]
	v_mov_b32_e32 v20, s16
	s_xor_b64 exec, exec, s[10:11]
	s_cbranch_execnz .LBB260_574
.LBB260_405:                            ;   in Loop: Header=BB260_368 Depth=1
	s_or_b64 exec, exec, s[10:11]
	s_and_saveexec_b64 s[10:11], s[0:1]
	s_cbranch_execz .LBB260_407
.LBB260_406:                            ;   in Loop: Header=BB260_368 Depth=1
	v_and_b32_e32 v8, 7, v18
	v_ffbh_u32_e32 v8, v8
	v_bfe_u32 v20, v18, 3, 4
	v_min_u32_e32 v8, 32, v8
	v_subrev_u32_e32 v21, 28, v8
	v_sub_u32_e32 v8, 29, v8
	v_cmp_eq_u32_e64 s[0:1], 0, v20
	s_nop 1
	v_cndmask_b32_e64 v8, v20, v8, s[0:1]
	v_cndmask_b32_e64 v20, 0, v21, s[0:1]
	v_lshlrev_b64 v[20:21], v20, v[18:19]
	v_lshlrev_b32_e32 v21, 8, v18
	v_lshl_add_u32 v8, v8, 10, v30
	v_lshlrev_b32_e32 v20, 7, v20
	v_and_or_b32 v8, v21, s35, v8
	v_and_or_b32 v8, v20, s37, v8
	v_cvt_f32_f16_e32 v20, v8
.LBB260_407:                            ;   in Loop: Header=BB260_368 Depth=1
	s_or_b64 exec, exec, s[10:11]
	v_lshrrev_b16_e32 v8, 8, v18
	v_cmp_lt_i16_e64 s[0:1], s30, v8
	s_mov_b64 s[10:11], 0
                                        ; implicit-def: $sgpr41
	s_and_saveexec_b64 s[12:13], s[0:1]
	s_xor_b64 s[12:13], exec, s[12:13]
	s_cbranch_execnz .LBB260_575
; %bb.408:                              ;   in Loop: Header=BB260_368 Depth=1
	s_or_saveexec_b64 s[12:13], s[12:13]
	v_mov_b32_e32 v22, s41
	s_xor_b64 exec, exec, s[12:13]
	s_cbranch_execnz .LBB260_578
.LBB260_409:                            ;   in Loop: Header=BB260_368 Depth=1
	s_or_b64 exec, exec, s[12:13]
	s_and_saveexec_b64 s[12:13], s[10:11]
	s_cbranch_execz .LBB260_411
.LBB260_410:                            ;   in Loop: Header=BB260_368 Depth=1
	v_and_b32_e32 v21, 7, v8
	v_ffbh_u32_e32 v22, v21
	v_min_u32_e32 v46, 32, v22
	v_subrev_u32_e32 v22, 28, v46
	v_bfe_u32 v45, v8, 3, 4
	v_lshlrev_b64 v[22:23], v22, v[8:9]
	v_sub_u32_e32 v23, 29, v46
	v_cmp_eq_u32_e64 s[0:1], 0, v45
	v_and_b32_e32 v22, 7, v22
	v_lshlrev_b32_e32 v8, 8, v8
	v_cndmask_b32_e64 v23, v45, v23, s[0:1]
	v_cndmask_b32_e64 v21, v21, v22, s[0:1]
	v_lshl_add_u32 v22, v23, 10, v30
	v_and_or_b32 v8, v8, s35, v22
	v_lshl_or_b32 v8, v21, 7, v8
	v_cvt_f32_f16_e32 v22, v8
.LBB260_411:                            ;   in Loop: Header=BB260_368 Depth=1
	s_or_b64 exec, exec, s[12:13]
	v_lshrrev_b32_e32 v8, 16, v18
	v_cmp_gt_i16_sdwa s[10:11], v8, s30 src0_sel:BYTE_0 src1_sel:DWORD
	s_mov_b64 s[0:1], 0
                                        ; implicit-def: $sgpr16
	s_and_saveexec_b64 s[12:13], s[10:11]
	s_xor_b64 s[10:11], exec, s[12:13]
	s_cbranch_execnz .LBB260_579
; %bb.412:                              ;   in Loop: Header=BB260_368 Depth=1
	s_or_saveexec_b64 s[10:11], s[10:11]
	v_mov_b32_e32 v21, s16
	s_xor_b64 exec, exec, s[10:11]
	s_cbranch_execnz .LBB260_582
.LBB260_413:                            ;   in Loop: Header=BB260_368 Depth=1
	s_or_b64 exec, exec, s[10:11]
	s_and_saveexec_b64 s[10:11], s[0:1]
	s_cbranch_execz .LBB260_415
.LBB260_414:                            ;   in Loop: Header=BB260_368 Depth=1
	v_bfe_u32 v21, v18, 16, 3
	v_ffbh_u32_e32 v45, v21
	v_bfe_u32 v23, v18, 19, 4
	v_min_u32_e32 v45, 32, v45
	v_subrev_u32_e32 v46, 28, v45
	v_sub_u32_e32 v45, 29, v45
	v_cmp_eq_u32_e64 s[0:1], 0, v23
	v_lshlrev_b64 v[46:47], v46, v[8:9]
	v_and_b32_e32 v46, 7, v46
	v_cndmask_b32_e64 v23, v23, v45, s[0:1]
	v_lshlrev_b32_e32 v8, 8, v8
	v_lshl_add_u32 v23, v23, 10, v30
	v_cndmask_b32_e64 v21, v21, v46, s[0:1]
	v_and_or_b32 v8, v8, s35, v23
	v_lshl_or_b32 v8, v21, 7, v8
	v_cvt_f32_f16_e32 v21, v8
.LBB260_415:                            ;   in Loop: Header=BB260_368 Depth=1
	s_or_b64 exec, exec, s[10:11]
	v_lshrrev_b32_e32 v8, 24, v18
	v_cmp_lt_i16_e64 s[0:1], s30, v8
	s_mov_b64 s[10:11], 0
                                        ; implicit-def: $sgpr41
	s_and_saveexec_b64 s[12:13], s[0:1]
	s_xor_b64 s[12:13], exec, s[12:13]
	s_cbranch_execnz .LBB260_583
; %bb.416:                              ;   in Loop: Header=BB260_368 Depth=1
	s_or_saveexec_b64 s[12:13], s[12:13]
	v_mov_b32_e32 v23, s41
	s_xor_b64 exec, exec, s[12:13]
	s_cbranch_execnz .LBB260_586
.LBB260_417:                            ;   in Loop: Header=BB260_368 Depth=1
	s_or_b64 exec, exec, s[12:13]
	s_and_saveexec_b64 s[12:13], s[10:11]
	s_cbranch_execz .LBB260_419
.LBB260_418:                            ;   in Loop: Header=BB260_368 Depth=1
	v_bfe_u32 v23, v18, 24, 3
	v_ffbh_u32_e32 v45, v23
	v_bfe_u32 v18, v18, 27, 4
	v_min_u32_e32 v45, 32, v45
	v_subrev_u32_e32 v46, 28, v45
	v_sub_u32_e32 v45, 29, v45
	v_cmp_eq_u32_e64 s[0:1], 0, v18
	v_lshlrev_b64 v[46:47], v46, v[8:9]
	v_and_b32_e32 v46, 7, v46
	v_cndmask_b32_e64 v18, v18, v45, s[0:1]
	v_lshlrev_b32_e32 v8, 8, v8
	v_lshl_add_u32 v18, v18, 10, v30
	v_cndmask_b32_e64 v23, v23, v46, s[0:1]
	v_and_or_b32 v8, v8, s35, v18
	v_lshl_or_b32 v8, v23, 7, v8
	v_cvt_f32_f16_e32 v23, v8
.LBB260_419:                            ;   in Loop: Header=BB260_368 Depth=1
	s_or_b64 exec, exec, s[12:13]
	v_cmp_gt_i16_sdwa s[10:11], v19, s30 src0_sel:BYTE_0 src1_sel:DWORD
	s_mov_b64 s[0:1], 0
                                        ; implicit-def: $sgpr16
	s_and_saveexec_b64 s[12:13], s[10:11]
	s_xor_b64 s[10:11], exec, s[12:13]
	s_cbranch_execnz .LBB260_587
; %bb.420:                              ;   in Loop: Header=BB260_368 Depth=1
	s_or_saveexec_b64 s[10:11], s[10:11]
	v_mov_b32_e32 v18, s16
	s_xor_b64 exec, exec, s[10:11]
	s_cbranch_execnz .LBB260_590
.LBB260_421:                            ;   in Loop: Header=BB260_368 Depth=1
	s_or_b64 exec, exec, s[10:11]
	v_mov_b32_e32 v8, v19
	s_and_saveexec_b64 s[10:11], s[0:1]
	s_cbranch_execz .LBB260_423
.LBB260_422:                            ;   in Loop: Header=BB260_368 Depth=1
	v_and_b32_e32 v18, 7, v19
	v_ffbh_u32_e32 v18, v18
	v_bfe_u32 v45, v19, 3, 4
	v_min_u32_e32 v18, 32, v18
	v_subrev_u32_e32 v46, 28, v18
	v_sub_u32_e32 v18, 29, v18
	v_cmp_eq_u32_e64 s[0:1], 0, v45
	s_nop 1
	v_cndmask_b32_e64 v18, v45, v18, s[0:1]
	v_cndmask_b32_e64 v45, 0, v46, s[0:1]
	v_lshlrev_b64 v[46:47], v45, v[8:9]
	v_lshlrev_b32_e32 v45, 7, v46
	v_lshlrev_b32_e32 v46, 8, v19
	v_lshl_add_u32 v18, v18, 10, v30
	v_and_or_b32 v18, v46, s35, v18
	v_and_or_b32 v18, v45, s37, v18
	v_cvt_f32_f16_e32 v18, v18
.LBB260_423:                            ;   in Loop: Header=BB260_368 Depth=1
	s_or_b64 exec, exec, s[10:11]
	v_lshrrev_b16_e32 v8, 8, v8
	v_cmp_lt_i16_e64 s[0:1], s30, v8
	s_mov_b64 s[10:11], 0
                                        ; implicit-def: $sgpr41
	s_and_saveexec_b64 s[12:13], s[0:1]
	s_xor_b64 s[12:13], exec, s[12:13]
	s_cbranch_execnz .LBB260_591
; %bb.424:                              ;   in Loop: Header=BB260_368 Depth=1
	s_or_saveexec_b64 s[12:13], s[12:13]
	v_mov_b32_e32 v45, s41
	s_xor_b64 exec, exec, s[12:13]
	s_cbranch_execnz .LBB260_594
.LBB260_425:                            ;   in Loop: Header=BB260_368 Depth=1
	s_or_b64 exec, exec, s[12:13]
	s_and_saveexec_b64 s[12:13], s[10:11]
	s_cbranch_execz .LBB260_427
.LBB260_426:                            ;   in Loop: Header=BB260_368 Depth=1
	v_and_b32_e32 v45, 7, v8
	v_ffbh_u32_e32 v46, v45
	v_min_u32_e32 v49, 32, v46
	v_subrev_u32_e32 v46, 28, v49
	v_bfe_u32 v48, v8, 3, 4
	v_lshlrev_b64 v[46:47], v46, v[8:9]
	v_sub_u32_e32 v47, 29, v49
	v_cmp_eq_u32_e64 s[0:1], 0, v48
	v_and_b32_e32 v46, 7, v46
	v_lshlrev_b32_e32 v8, 8, v8
	v_cndmask_b32_e64 v47, v48, v47, s[0:1]
	v_cndmask_b32_e64 v45, v45, v46, s[0:1]
	v_lshl_add_u32 v46, v47, 10, v30
	v_and_or_b32 v8, v8, s35, v46
	v_lshl_or_b32 v8, v45, 7, v8
	v_cvt_f32_f16_e32 v45, v8
.LBB260_427:                            ;   in Loop: Header=BB260_368 Depth=1
	s_or_b64 exec, exec, s[12:13]
	v_lshrrev_b32_e32 v8, 16, v19
	v_cmp_gt_i16_sdwa s[10:11], v8, s30 src0_sel:BYTE_0 src1_sel:DWORD
	s_mov_b64 s[0:1], 0
                                        ; implicit-def: $sgpr16
	s_and_saveexec_b64 s[12:13], s[10:11]
	s_xor_b64 s[10:11], exec, s[12:13]
	s_cbranch_execnz .LBB260_595
; %bb.428:                              ;   in Loop: Header=BB260_368 Depth=1
	s_or_saveexec_b64 s[10:11], s[10:11]
	v_mov_b32_e32 v46, s16
	s_xor_b64 exec, exec, s[10:11]
	s_cbranch_execnz .LBB260_598
.LBB260_429:                            ;   in Loop: Header=BB260_368 Depth=1
	s_or_b64 exec, exec, s[10:11]
	s_and_saveexec_b64 s[10:11], s[0:1]
	s_cbranch_execz .LBB260_431
.LBB260_430:                            ;   in Loop: Header=BB260_368 Depth=1
	v_bfe_u32 v48, v19, 16, 3
	v_ffbh_u32_e32 v46, v48
	v_min_u32_e32 v50, 32, v46
	v_subrev_u32_e32 v46, 28, v50
	v_bfe_u32 v49, v19, 19, 4
	v_lshlrev_b64 v[46:47], v46, v[8:9]
	v_sub_u32_e32 v47, 29, v50
	v_cmp_eq_u32_e64 s[0:1], 0, v49
	v_and_b32_e32 v46, 7, v46
	v_lshlrev_b32_e32 v8, 8, v8
	v_cndmask_b32_e64 v47, v49, v47, s[0:1]
	v_lshl_add_u32 v47, v47, 10, v30
	v_cndmask_b32_e64 v46, v48, v46, s[0:1]
	v_and_or_b32 v8, v8, s35, v47
	v_lshl_or_b32 v8, v46, 7, v8
	v_cvt_f32_f16_e32 v46, v8
.LBB260_431:                            ;   in Loop: Header=BB260_368 Depth=1
	s_or_b64 exec, exec, s[10:11]
	v_lshrrev_b32_e32 v8, 24, v19
	v_cmp_lt_i16_e64 s[0:1], s30, v8
	s_mov_b64 s[10:11], 0
                                        ; implicit-def: $sgpr41
	s_and_saveexec_b64 s[12:13], s[0:1]
	s_xor_b64 s[12:13], exec, s[12:13]
	s_cbranch_execnz .LBB260_599
; %bb.432:                              ;   in Loop: Header=BB260_368 Depth=1
	s_or_saveexec_b64 s[12:13], s[12:13]
	v_mov_b32_e32 v47, s41
	s_xor_b64 exec, exec, s[12:13]
	s_cbranch_execnz .LBB260_602
.LBB260_433:                            ;   in Loop: Header=BB260_368 Depth=1
	s_or_b64 exec, exec, s[12:13]
	s_and_saveexec_b64 s[12:13], s[10:11]
	s_cbranch_execz .LBB260_435
.LBB260_434:                            ;   in Loop: Header=BB260_368 Depth=1
	v_bfe_u32 v47, v19, 24, 3
	v_ffbh_u32_e32 v48, v47
	v_min_u32_e32 v50, 32, v48
	v_subrev_u32_e32 v48, 28, v50
	v_bfe_u32 v19, v19, 27, 4
	v_lshlrev_b64 v[48:49], v48, v[8:9]
	v_sub_u32_e32 v49, 29, v50
	v_cmp_eq_u32_e64 s[0:1], 0, v19
	v_and_b32_e32 v48, 7, v48
	v_lshlrev_b32_e32 v8, 8, v8
	v_cndmask_b32_e64 v19, v19, v49, s[0:1]
	v_lshl_add_u32 v19, v19, 10, v30
	v_cndmask_b32_e64 v47, v47, v48, s[0:1]
	v_and_or_b32 v8, v8, s35, v19
	v_lshl_or_b32 v8, v47, 7, v8
	v_cvt_f32_f16_e32 v47, v8
.LBB260_435:                            ;   in Loop: Header=BB260_368 Depth=1
	s_or_b64 exec, exec, s[12:13]
	s_waitcnt vmcnt(0)
	v_pk_mul_f32 v[22:23], v[16:17], v[22:23] op_sel_hi:[0,1]
	v_pk_mul_f32 v[20:21], v[16:17], v[20:21] op_sel_hi:[0,1]
	v_cvt_f16_f32_e32 v8, v23
	v_cvt_f16_f32_e32 v19, v22
	;; [unrolled: 1-line block ×4, first 2 shown]
	v_fma_mixlo_f16 v18, v16, v18, 0
	v_pack_b32_f16 v19, v19, v8
	v_pack_b32_f16 v20, v20, v21
	v_perm_b32 v8, v20, v19, s38
	v_perm_b32 v19, v20, v19, s39
	v_fma_mixlo_f16 v20, v16, v45, 0
	v_lshlrev_b32_e32 v20, 16, v20
	v_or_b32_sdwa v18, v20, v18 dst_sel:DWORD dst_unused:UNUSED_PAD src0_sel:DWORD src1_sel:WORD_0
	v_fma_mixlo_f16 v20, v16, v46, 0
	v_fma_mixlo_f16 v16, v16, v47, 0
	v_lshlrev_b32_e32 v16, 16, v16
	v_or_b32_sdwa v16, v16, v20 dst_sel:DWORD dst_unused:UNUSED_PAD src0_sel:DWORD src1_sel:WORD_0
	s_and_saveexec_b64 s[10:11], vcc
	s_cbranch_execz .LBB260_437
; %bb.436:                              ;   in Loop: Header=BB260_368 Depth=1
	v_lshrrev_b32_e32 v21, 16, v19
	v_cmp_gt_i32_e64 s[0:1], s22, v38
	v_lshrrev_b32_e32 v16, 16, v16
	s_nop 0
	v_cndmask_b32_e64 v21, 0, v21, s[0:1]
	v_cmp_gt_i32_e64 s[0:1], s25, v33
	s_nop 1
	v_cndmask_b32_e64 v19, 0, v19, s[0:1]
	v_perm_b32 v19, v21, v19, s40
	v_lshrrev_b32_e32 v21, 16, v8
	v_cmp_gt_i32_e64 s[0:1], s22, v37
	s_nop 1
	v_cndmask_b32_e64 v21, 0, v21, s[0:1]
	v_cmp_gt_i32_e64 s[0:1], s25, v36
	s_nop 1
	v_cndmask_b32_e64 v8, 0, v8, s[0:1]
	v_perm_b32 v8, v21, v8, s40
	v_lshrrev_b32_e32 v21, 16, v18
	v_cmp_gt_i32_e64 s[0:1], s22, v35
	s_nop 1
	v_cndmask_b32_e64 v21, 0, v21, s[0:1]
	v_cmp_gt_i32_e64 s[0:1], s25, v34
	s_nop 1
	v_cndmask_b32_e64 v18, 0, v18, s[0:1]
	v_cmp_gt_i32_e64 s[0:1], s22, v32
	v_perm_b32 v18, v21, v18, s40
	s_nop 0
	v_cndmask_b32_e64 v16, 0, v16, s[0:1]
	v_cmp_gt_i32_e64 s[0:1], s25, v31
	s_nop 1
	v_cndmask_b32_e64 v20, 0, v20, s[0:1]
	v_perm_b32 v16, v16, v20, s40
.LBB260_437:                            ;   in Loop: Header=BB260_368 Depth=1
	s_or_b64 exec, exec, s[10:11]
	;;#ASMSTART
	v_pk_mul_f16 v19, v42, v19;

	;;#ASMEND
	;;#ASMSTART
	v_pk_mul_f16 v8, v41, v8;

	;;#ASMEND
	;; [unrolled: 4-line block ×4, first 2 shown]
	s_mov_b64 s[0:1], 0
	;;#ASMSTART
	v_pk_add_f16 v8, v19, v8;

	;;#ASMEND
                                        ; implicit-def: $sgpr16
	s_nop 0
	;;#ASMSTART
	v_pk_add_f16 v8, v8, v18;

	;;#ASMEND
	s_nop 0
	;;#ASMSTART
	v_pk_add_f16 v8, v8, v16;

	;;#ASMEND
	s_nop 0
	v_lshrrev_b32_e32 v16, 16, v8
	v_and_b32_e32 v8, 0xffff, v8
	;;#ASMSTART
	v_cvt_f32_f16 v45, v8;
	;;#ASMEND
	;;#ASMSTART
	v_cvt_f32_f16 v46, v16;
	;;#ASMEND
	global_load_dwordx2 v[18:19], v[14:15], off offset:1024
	global_load_dword v16, v9, s[14:15]
	s_waitcnt vmcnt(1)
	v_cmp_gt_i16_sdwa s[10:11], v18, s30 src0_sel:BYTE_0 src1_sel:DWORD
	s_and_saveexec_b64 s[12:13], s[10:11]
	s_xor_b64 s[10:11], exec, s[12:13]
	s_cbranch_execnz .LBB260_603
; %bb.438:                              ;   in Loop: Header=BB260_368 Depth=1
	s_or_saveexec_b64 s[10:11], s[10:11]
	v_mov_b32_e32 v20, s16
	s_xor_b64 exec, exec, s[10:11]
	s_cbranch_execnz .LBB260_606
.LBB260_439:                            ;   in Loop: Header=BB260_368 Depth=1
	s_or_b64 exec, exec, s[10:11]
	s_and_saveexec_b64 s[10:11], s[0:1]
	s_cbranch_execz .LBB260_441
.LBB260_440:                            ;   in Loop: Header=BB260_368 Depth=1
	v_and_b32_e32 v8, 7, v18
	v_ffbh_u32_e32 v8, v8
	v_bfe_u32 v20, v18, 3, 4
	v_min_u32_e32 v8, 32, v8
	v_subrev_u32_e32 v21, 28, v8
	v_sub_u32_e32 v8, 29, v8
	v_cmp_eq_u32_e64 s[0:1], 0, v20
	s_nop 1
	v_cndmask_b32_e64 v8, v20, v8, s[0:1]
	v_cndmask_b32_e64 v20, 0, v21, s[0:1]
	v_lshlrev_b64 v[20:21], v20, v[18:19]
	v_lshlrev_b32_e32 v21, 8, v18
	v_lshl_add_u32 v8, v8, 10, v30
	v_lshlrev_b32_e32 v20, 7, v20
	v_and_or_b32 v8, v21, s35, v8
	v_and_or_b32 v8, v20, s37, v8
	v_cvt_f32_f16_e32 v20, v8
.LBB260_441:                            ;   in Loop: Header=BB260_368 Depth=1
	s_or_b64 exec, exec, s[10:11]
	v_lshrrev_b16_e32 v8, 8, v18
	v_cmp_lt_i16_e64 s[0:1], s30, v8
	s_mov_b64 s[10:11], 0
                                        ; implicit-def: $sgpr41
	s_and_saveexec_b64 s[12:13], s[0:1]
	s_xor_b64 s[12:13], exec, s[12:13]
	s_cbranch_execnz .LBB260_607
; %bb.442:                              ;   in Loop: Header=BB260_368 Depth=1
	s_or_saveexec_b64 s[12:13], s[12:13]
	v_mov_b32_e32 v22, s41
	s_xor_b64 exec, exec, s[12:13]
	s_cbranch_execnz .LBB260_610
.LBB260_443:                            ;   in Loop: Header=BB260_368 Depth=1
	s_or_b64 exec, exec, s[12:13]
	s_and_saveexec_b64 s[12:13], s[10:11]
	s_cbranch_execz .LBB260_445
.LBB260_444:                            ;   in Loop: Header=BB260_368 Depth=1
	v_and_b32_e32 v21, 7, v8
	v_ffbh_u32_e32 v22, v21
	v_min_u32_e32 v48, 32, v22
	v_subrev_u32_e32 v22, 28, v48
	v_bfe_u32 v47, v8, 3, 4
	v_lshlrev_b64 v[22:23], v22, v[8:9]
	v_sub_u32_e32 v23, 29, v48
	v_cmp_eq_u32_e64 s[0:1], 0, v47
	v_and_b32_e32 v22, 7, v22
	v_lshlrev_b32_e32 v8, 8, v8
	v_cndmask_b32_e64 v23, v47, v23, s[0:1]
	v_cndmask_b32_e64 v21, v21, v22, s[0:1]
	v_lshl_add_u32 v22, v23, 10, v30
	v_and_or_b32 v8, v8, s35, v22
	v_lshl_or_b32 v8, v21, 7, v8
	v_cvt_f32_f16_e32 v22, v8
.LBB260_445:                            ;   in Loop: Header=BB260_368 Depth=1
	s_or_b64 exec, exec, s[12:13]
	v_lshrrev_b32_e32 v8, 16, v18
	v_cmp_gt_i16_sdwa s[10:11], v8, s30 src0_sel:BYTE_0 src1_sel:DWORD
	s_mov_b64 s[0:1], 0
                                        ; implicit-def: $sgpr16
	s_and_saveexec_b64 s[12:13], s[10:11]
	s_xor_b64 s[10:11], exec, s[12:13]
	s_cbranch_execnz .LBB260_611
; %bb.446:                              ;   in Loop: Header=BB260_368 Depth=1
	s_or_saveexec_b64 s[10:11], s[10:11]
	v_mov_b32_e32 v21, s16
	s_xor_b64 exec, exec, s[10:11]
	s_cbranch_execnz .LBB260_614
.LBB260_447:                            ;   in Loop: Header=BB260_368 Depth=1
	s_or_b64 exec, exec, s[10:11]
	s_and_saveexec_b64 s[10:11], s[0:1]
	s_cbranch_execz .LBB260_449
.LBB260_448:                            ;   in Loop: Header=BB260_368 Depth=1
	v_bfe_u32 v21, v18, 16, 3
	v_ffbh_u32_e32 v47, v21
	v_bfe_u32 v23, v18, 19, 4
	v_min_u32_e32 v47, 32, v47
	v_subrev_u32_e32 v48, 28, v47
	v_sub_u32_e32 v47, 29, v47
	v_cmp_eq_u32_e64 s[0:1], 0, v23
	v_lshlrev_b64 v[48:49], v48, v[8:9]
	v_and_b32_e32 v48, 7, v48
	v_cndmask_b32_e64 v23, v23, v47, s[0:1]
	v_lshlrev_b32_e32 v8, 8, v8
	v_lshl_add_u32 v23, v23, 10, v30
	v_cndmask_b32_e64 v21, v21, v48, s[0:1]
	v_and_or_b32 v8, v8, s35, v23
	v_lshl_or_b32 v8, v21, 7, v8
	v_cvt_f32_f16_e32 v21, v8
.LBB260_449:                            ;   in Loop: Header=BB260_368 Depth=1
	s_or_b64 exec, exec, s[10:11]
	v_lshrrev_b32_e32 v8, 24, v18
	v_cmp_lt_i16_e64 s[0:1], s30, v8
	s_mov_b64 s[10:11], 0
                                        ; implicit-def: $sgpr41
	s_and_saveexec_b64 s[12:13], s[0:1]
	s_xor_b64 s[12:13], exec, s[12:13]
	s_cbranch_execnz .LBB260_615
; %bb.450:                              ;   in Loop: Header=BB260_368 Depth=1
	s_or_saveexec_b64 s[12:13], s[12:13]
	v_mov_b32_e32 v23, s41
	s_xor_b64 exec, exec, s[12:13]
	s_cbranch_execnz .LBB260_618
.LBB260_451:                            ;   in Loop: Header=BB260_368 Depth=1
	s_or_b64 exec, exec, s[12:13]
	s_and_saveexec_b64 s[12:13], s[10:11]
	s_cbranch_execz .LBB260_453
.LBB260_452:                            ;   in Loop: Header=BB260_368 Depth=1
	v_bfe_u32 v23, v18, 24, 3
	v_ffbh_u32_e32 v47, v23
	v_bfe_u32 v18, v18, 27, 4
	v_min_u32_e32 v47, 32, v47
	v_subrev_u32_e32 v48, 28, v47
	v_sub_u32_e32 v47, 29, v47
	v_cmp_eq_u32_e64 s[0:1], 0, v18
	v_lshlrev_b64 v[48:49], v48, v[8:9]
	v_and_b32_e32 v48, 7, v48
	v_cndmask_b32_e64 v18, v18, v47, s[0:1]
	v_lshlrev_b32_e32 v8, 8, v8
	v_lshl_add_u32 v18, v18, 10, v30
	v_cndmask_b32_e64 v23, v23, v48, s[0:1]
	v_and_or_b32 v8, v8, s35, v18
	v_lshl_or_b32 v8, v23, 7, v8
	v_cvt_f32_f16_e32 v23, v8
.LBB260_453:                            ;   in Loop: Header=BB260_368 Depth=1
	s_or_b64 exec, exec, s[12:13]
	v_cmp_gt_i16_sdwa s[10:11], v19, s30 src0_sel:BYTE_0 src1_sel:DWORD
	s_mov_b64 s[0:1], 0
                                        ; implicit-def: $sgpr16
	s_and_saveexec_b64 s[12:13], s[10:11]
	s_xor_b64 s[10:11], exec, s[12:13]
	s_cbranch_execnz .LBB260_619
; %bb.454:                              ;   in Loop: Header=BB260_368 Depth=1
	s_or_saveexec_b64 s[10:11], s[10:11]
	v_mov_b32_e32 v18, s16
	s_xor_b64 exec, exec, s[10:11]
	s_cbranch_execnz .LBB260_622
.LBB260_455:                            ;   in Loop: Header=BB260_368 Depth=1
	s_or_b64 exec, exec, s[10:11]
	v_mov_b32_e32 v8, v19
	s_and_saveexec_b64 s[10:11], s[0:1]
	s_cbranch_execz .LBB260_457
.LBB260_456:                            ;   in Loop: Header=BB260_368 Depth=1
	v_and_b32_e32 v18, 7, v19
	v_ffbh_u32_e32 v18, v18
	v_bfe_u32 v47, v19, 3, 4
	v_min_u32_e32 v18, 32, v18
	v_subrev_u32_e32 v48, 28, v18
	v_sub_u32_e32 v18, 29, v18
	v_cmp_eq_u32_e64 s[0:1], 0, v47
	s_nop 1
	v_cndmask_b32_e64 v18, v47, v18, s[0:1]
	v_cndmask_b32_e64 v47, 0, v48, s[0:1]
	v_lshlrev_b64 v[48:49], v47, v[8:9]
	v_lshlrev_b32_e32 v47, 7, v48
	v_lshlrev_b32_e32 v48, 8, v19
	v_lshl_add_u32 v18, v18, 10, v30
	v_and_or_b32 v18, v48, s35, v18
	v_and_or_b32 v18, v47, s37, v18
	v_cvt_f32_f16_e32 v18, v18
.LBB260_457:                            ;   in Loop: Header=BB260_368 Depth=1
	s_or_b64 exec, exec, s[10:11]
	v_lshrrev_b16_e32 v8, 8, v8
	v_cmp_lt_i16_e64 s[0:1], s30, v8
	s_mov_b64 s[10:11], 0
                                        ; implicit-def: $sgpr41
	s_and_saveexec_b64 s[12:13], s[0:1]
	s_xor_b64 s[12:13], exec, s[12:13]
	s_cbranch_execnz .LBB260_623
; %bb.458:                              ;   in Loop: Header=BB260_368 Depth=1
	s_or_saveexec_b64 s[12:13], s[12:13]
	v_mov_b32_e32 v47, s41
	s_xor_b64 exec, exec, s[12:13]
	s_cbranch_execnz .LBB260_626
.LBB260_459:                            ;   in Loop: Header=BB260_368 Depth=1
	s_or_b64 exec, exec, s[12:13]
	s_and_saveexec_b64 s[12:13], s[10:11]
	s_cbranch_execz .LBB260_461
.LBB260_460:                            ;   in Loop: Header=BB260_368 Depth=1
	v_and_b32_e32 v47, 7, v8
	v_ffbh_u32_e32 v48, v47
	v_min_u32_e32 v51, 32, v48
	v_subrev_u32_e32 v48, 28, v51
	v_bfe_u32 v50, v8, 3, 4
	v_lshlrev_b64 v[48:49], v48, v[8:9]
	v_sub_u32_e32 v49, 29, v51
	v_cmp_eq_u32_e64 s[0:1], 0, v50
	v_and_b32_e32 v48, 7, v48
	v_lshlrev_b32_e32 v8, 8, v8
	v_cndmask_b32_e64 v49, v50, v49, s[0:1]
	v_cndmask_b32_e64 v47, v47, v48, s[0:1]
	v_lshl_add_u32 v48, v49, 10, v30
	v_and_or_b32 v8, v8, s35, v48
	v_lshl_or_b32 v8, v47, 7, v8
	v_cvt_f32_f16_e32 v47, v8
.LBB260_461:                            ;   in Loop: Header=BB260_368 Depth=1
	s_or_b64 exec, exec, s[12:13]
	v_lshrrev_b32_e32 v8, 16, v19
	v_cmp_gt_i16_sdwa s[10:11], v8, s30 src0_sel:BYTE_0 src1_sel:DWORD
	s_mov_b64 s[0:1], 0
                                        ; implicit-def: $sgpr16
	s_and_saveexec_b64 s[12:13], s[10:11]
	s_xor_b64 s[10:11], exec, s[12:13]
	s_cbranch_execnz .LBB260_627
; %bb.462:                              ;   in Loop: Header=BB260_368 Depth=1
	s_or_saveexec_b64 s[10:11], s[10:11]
	v_mov_b32_e32 v48, s16
	s_xor_b64 exec, exec, s[10:11]
	s_cbranch_execnz .LBB260_630
.LBB260_463:                            ;   in Loop: Header=BB260_368 Depth=1
	s_or_b64 exec, exec, s[10:11]
	s_and_saveexec_b64 s[10:11], s[0:1]
	s_cbranch_execz .LBB260_465
.LBB260_464:                            ;   in Loop: Header=BB260_368 Depth=1
	v_bfe_u32 v50, v19, 16, 3
	v_ffbh_u32_e32 v48, v50
	v_min_u32_e32 v52, 32, v48
	v_subrev_u32_e32 v48, 28, v52
	v_bfe_u32 v51, v19, 19, 4
	v_lshlrev_b64 v[48:49], v48, v[8:9]
	v_sub_u32_e32 v49, 29, v52
	v_cmp_eq_u32_e64 s[0:1], 0, v51
	v_and_b32_e32 v48, 7, v48
	v_lshlrev_b32_e32 v8, 8, v8
	v_cndmask_b32_e64 v49, v51, v49, s[0:1]
	v_lshl_add_u32 v49, v49, 10, v30
	v_cndmask_b32_e64 v48, v50, v48, s[0:1]
	v_and_or_b32 v8, v8, s35, v49
	v_lshl_or_b32 v8, v48, 7, v8
	v_cvt_f32_f16_e32 v48, v8
.LBB260_465:                            ;   in Loop: Header=BB260_368 Depth=1
	s_or_b64 exec, exec, s[10:11]
	v_lshrrev_b32_e32 v8, 24, v19
	v_cmp_lt_i16_e64 s[0:1], s30, v8
	s_mov_b64 s[10:11], 0
                                        ; implicit-def: $sgpr41
	s_and_saveexec_b64 s[12:13], s[0:1]
	s_xor_b64 s[12:13], exec, s[12:13]
	s_cbranch_execnz .LBB260_631
; %bb.466:                              ;   in Loop: Header=BB260_368 Depth=1
	s_or_saveexec_b64 s[12:13], s[12:13]
	v_mov_b32_e32 v49, s41
	s_xor_b64 exec, exec, s[12:13]
	s_cbranch_execnz .LBB260_634
.LBB260_467:                            ;   in Loop: Header=BB260_368 Depth=1
	s_or_b64 exec, exec, s[12:13]
	s_and_saveexec_b64 s[12:13], s[10:11]
	s_cbranch_execz .LBB260_469
.LBB260_468:                            ;   in Loop: Header=BB260_368 Depth=1
	v_bfe_u32 v49, v19, 24, 3
	v_ffbh_u32_e32 v50, v49
	v_min_u32_e32 v52, 32, v50
	v_subrev_u32_e32 v50, 28, v52
	v_bfe_u32 v19, v19, 27, 4
	v_lshlrev_b64 v[50:51], v50, v[8:9]
	v_sub_u32_e32 v51, 29, v52
	v_cmp_eq_u32_e64 s[0:1], 0, v19
	v_and_b32_e32 v50, 7, v50
	v_lshlrev_b32_e32 v8, 8, v8
	v_cndmask_b32_e64 v19, v19, v51, s[0:1]
	v_lshl_add_u32 v19, v19, 10, v30
	v_cndmask_b32_e64 v49, v49, v50, s[0:1]
	v_and_or_b32 v8, v8, s35, v19
	v_lshl_or_b32 v8, v49, 7, v8
	v_cvt_f32_f16_e32 v49, v8
.LBB260_469:                            ;   in Loop: Header=BB260_368 Depth=1
	s_or_b64 exec, exec, s[12:13]
	s_waitcnt vmcnt(0)
	v_pk_mul_f32 v[22:23], v[16:17], v[22:23] op_sel_hi:[0,1]
	v_pk_mul_f32 v[20:21], v[16:17], v[20:21] op_sel_hi:[0,1]
	v_cvt_f16_f32_e32 v8, v23
	v_cvt_f16_f32_e32 v19, v22
	v_cvt_f16_f32_e32 v21, v21
	v_cvt_f16_f32_e32 v20, v20
	v_fma_mixlo_f16 v18, v16, v18, 0
	v_pack_b32_f16 v19, v19, v8
	v_pack_b32_f16 v20, v20, v21
	v_perm_b32 v8, v20, v19, s38
	v_perm_b32 v19, v20, v19, s39
	v_fma_mixlo_f16 v20, v16, v47, 0
	v_lshlrev_b32_e32 v20, 16, v20
	v_or_b32_sdwa v18, v20, v18 dst_sel:DWORD dst_unused:UNUSED_PAD src0_sel:DWORD src1_sel:WORD_0
	v_fma_mixlo_f16 v20, v16, v48, 0
	v_fma_mixlo_f16 v16, v16, v49, 0
	v_lshlrev_b32_e32 v16, 16, v16
	v_or_b32_sdwa v16, v16, v20 dst_sel:DWORD dst_unused:UNUSED_PAD src0_sel:DWORD src1_sel:WORD_0
	s_and_saveexec_b64 s[10:11], vcc
	s_cbranch_execz .LBB260_471
; %bb.470:                              ;   in Loop: Header=BB260_368 Depth=1
	v_lshrrev_b32_e32 v21, 16, v19
	v_cmp_gt_i32_e64 s[0:1], s22, v38
	v_lshrrev_b32_e32 v16, 16, v16
	s_nop 0
	v_cndmask_b32_e64 v21, 0, v21, s[0:1]
	v_cmp_gt_i32_e64 s[0:1], s25, v33
	s_nop 1
	v_cndmask_b32_e64 v19, 0, v19, s[0:1]
	v_perm_b32 v19, v21, v19, s40
	v_lshrrev_b32_e32 v21, 16, v8
	v_cmp_gt_i32_e64 s[0:1], s22, v37
	s_nop 1
	v_cndmask_b32_e64 v21, 0, v21, s[0:1]
	v_cmp_gt_i32_e64 s[0:1], s25, v36
	s_nop 1
	v_cndmask_b32_e64 v8, 0, v8, s[0:1]
	v_perm_b32 v8, v21, v8, s40
	v_lshrrev_b32_e32 v21, 16, v18
	v_cmp_gt_i32_e64 s[0:1], s22, v35
	s_nop 1
	v_cndmask_b32_e64 v21, 0, v21, s[0:1]
	v_cmp_gt_i32_e64 s[0:1], s25, v34
	s_nop 1
	v_cndmask_b32_e64 v18, 0, v18, s[0:1]
	v_cmp_gt_i32_e64 s[0:1], s22, v32
	v_perm_b32 v18, v21, v18, s40
	s_nop 0
	v_cndmask_b32_e64 v16, 0, v16, s[0:1]
	v_cmp_gt_i32_e64 s[0:1], s25, v31
	s_nop 1
	v_cndmask_b32_e64 v20, 0, v20, s[0:1]
	v_perm_b32 v16, v16, v20, s40
.LBB260_471:                            ;   in Loop: Header=BB260_368 Depth=1
	s_or_b64 exec, exec, s[10:11]
	;;#ASMSTART
	v_pk_mul_f16 v19, v42, v19;

	;;#ASMEND
	;;#ASMSTART
	v_pk_mul_f16 v8, v41, v8;

	;;#ASMEND
	;; [unrolled: 4-line block ×4, first 2 shown]
	s_mov_b64 s[0:1], 0
	;;#ASMSTART
	v_pk_add_f16 v8, v19, v8;

	;;#ASMEND
                                        ; implicit-def: $sgpr16
	s_nop 0
	;;#ASMSTART
	v_pk_add_f16 v8, v8, v18;

	;;#ASMEND
	s_nop 0
	;;#ASMSTART
	v_pk_add_f16 v8, v8, v16;

	;;#ASMEND
	s_nop 0
	v_lshrrev_b32_e32 v16, 16, v8
	v_and_b32_e32 v8, 0xffff, v8
	;;#ASMSTART
	v_cvt_f32_f16 v47, v8;
	;;#ASMEND
	;;#ASMSTART
	v_cvt_f32_f16 v48, v16;
	;;#ASMEND
	global_load_dwordx2 v[18:19], v[14:15], off offset:1536
	global_load_dword v16, v9, s[14:15]
	s_waitcnt vmcnt(1)
	v_cmp_gt_i16_sdwa s[10:11], v18, s30 src0_sel:BYTE_0 src1_sel:DWORD
	s_and_saveexec_b64 s[12:13], s[10:11]
	s_xor_b64 s[10:11], exec, s[12:13]
	s_cbranch_execnz .LBB260_635
; %bb.472:                              ;   in Loop: Header=BB260_368 Depth=1
	s_or_saveexec_b64 s[10:11], s[10:11]
	v_mov_b32_e32 v20, s16
	s_xor_b64 exec, exec, s[10:11]
	s_cbranch_execnz .LBB260_638
.LBB260_473:                            ;   in Loop: Header=BB260_368 Depth=1
	s_or_b64 exec, exec, s[10:11]
	s_and_saveexec_b64 s[10:11], s[0:1]
	s_cbranch_execz .LBB260_475
.LBB260_474:                            ;   in Loop: Header=BB260_368 Depth=1
	v_and_b32_e32 v8, 7, v18
	v_ffbh_u32_e32 v8, v8
	v_bfe_u32 v20, v18, 3, 4
	v_min_u32_e32 v8, 32, v8
	v_subrev_u32_e32 v21, 28, v8
	v_sub_u32_e32 v8, 29, v8
	v_cmp_eq_u32_e64 s[0:1], 0, v20
	s_nop 1
	v_cndmask_b32_e64 v8, v20, v8, s[0:1]
	v_cndmask_b32_e64 v20, 0, v21, s[0:1]
	v_lshlrev_b64 v[20:21], v20, v[18:19]
	v_lshlrev_b32_e32 v21, 8, v18
	v_lshl_add_u32 v8, v8, 10, v30
	v_lshlrev_b32_e32 v20, 7, v20
	v_and_or_b32 v8, v21, s35, v8
	v_and_or_b32 v8, v20, s37, v8
	v_cvt_f32_f16_e32 v20, v8
.LBB260_475:                            ;   in Loop: Header=BB260_368 Depth=1
	s_or_b64 exec, exec, s[10:11]
	v_lshrrev_b16_e32 v8, 8, v18
	v_cmp_lt_i16_e64 s[0:1], s30, v8
	s_mov_b64 s[10:11], 0
                                        ; implicit-def: $sgpr41
	s_and_saveexec_b64 s[12:13], s[0:1]
	s_xor_b64 s[12:13], exec, s[12:13]
	s_cbranch_execnz .LBB260_639
; %bb.476:                              ;   in Loop: Header=BB260_368 Depth=1
	s_or_saveexec_b64 s[12:13], s[12:13]
	v_mov_b32_e32 v22, s41
	s_xor_b64 exec, exec, s[12:13]
	s_cbranch_execnz .LBB260_642
.LBB260_477:                            ;   in Loop: Header=BB260_368 Depth=1
	s_or_b64 exec, exec, s[12:13]
	s_and_saveexec_b64 s[12:13], s[10:11]
	s_cbranch_execz .LBB260_479
.LBB260_478:                            ;   in Loop: Header=BB260_368 Depth=1
	v_and_b32_e32 v21, 7, v8
	v_ffbh_u32_e32 v22, v21
	v_min_u32_e32 v50, 32, v22
	v_subrev_u32_e32 v22, 28, v50
	v_bfe_u32 v49, v8, 3, 4
	v_lshlrev_b64 v[22:23], v22, v[8:9]
	v_sub_u32_e32 v23, 29, v50
	v_cmp_eq_u32_e64 s[0:1], 0, v49
	v_and_b32_e32 v22, 7, v22
	v_lshlrev_b32_e32 v8, 8, v8
	v_cndmask_b32_e64 v23, v49, v23, s[0:1]
	v_cndmask_b32_e64 v21, v21, v22, s[0:1]
	v_lshl_add_u32 v22, v23, 10, v30
	v_and_or_b32 v8, v8, s35, v22
	v_lshl_or_b32 v8, v21, 7, v8
	v_cvt_f32_f16_e32 v22, v8
.LBB260_479:                            ;   in Loop: Header=BB260_368 Depth=1
	s_or_b64 exec, exec, s[12:13]
	v_lshrrev_b32_e32 v8, 16, v18
	v_cmp_gt_i16_sdwa s[10:11], v8, s30 src0_sel:BYTE_0 src1_sel:DWORD
	s_mov_b64 s[0:1], 0
                                        ; implicit-def: $sgpr16
	s_and_saveexec_b64 s[12:13], s[10:11]
	s_xor_b64 s[10:11], exec, s[12:13]
	s_cbranch_execnz .LBB260_643
; %bb.480:                              ;   in Loop: Header=BB260_368 Depth=1
	s_or_saveexec_b64 s[10:11], s[10:11]
	v_mov_b32_e32 v21, s16
	s_xor_b64 exec, exec, s[10:11]
	s_cbranch_execnz .LBB260_646
.LBB260_481:                            ;   in Loop: Header=BB260_368 Depth=1
	s_or_b64 exec, exec, s[10:11]
	s_and_saveexec_b64 s[10:11], s[0:1]
	s_cbranch_execz .LBB260_483
.LBB260_482:                            ;   in Loop: Header=BB260_368 Depth=1
	v_bfe_u32 v21, v18, 16, 3
	v_ffbh_u32_e32 v49, v21
	v_bfe_u32 v23, v18, 19, 4
	v_min_u32_e32 v49, 32, v49
	v_subrev_u32_e32 v50, 28, v49
	v_sub_u32_e32 v49, 29, v49
	v_cmp_eq_u32_e64 s[0:1], 0, v23
	v_lshlrev_b64 v[50:51], v50, v[8:9]
	v_and_b32_e32 v50, 7, v50
	v_cndmask_b32_e64 v23, v23, v49, s[0:1]
	v_lshlrev_b32_e32 v8, 8, v8
	v_lshl_add_u32 v23, v23, 10, v30
	v_cndmask_b32_e64 v21, v21, v50, s[0:1]
	v_and_or_b32 v8, v8, s35, v23
	v_lshl_or_b32 v8, v21, 7, v8
	v_cvt_f32_f16_e32 v21, v8
.LBB260_483:                            ;   in Loop: Header=BB260_368 Depth=1
	s_or_b64 exec, exec, s[10:11]
	v_lshrrev_b32_e32 v8, 24, v18
	v_cmp_lt_i16_e64 s[0:1], s30, v8
	s_mov_b64 s[10:11], 0
                                        ; implicit-def: $sgpr41
	s_and_saveexec_b64 s[12:13], s[0:1]
	s_xor_b64 s[12:13], exec, s[12:13]
	s_cbranch_execnz .LBB260_647
; %bb.484:                              ;   in Loop: Header=BB260_368 Depth=1
	s_or_saveexec_b64 s[12:13], s[12:13]
	v_mov_b32_e32 v23, s41
	s_xor_b64 exec, exec, s[12:13]
	s_cbranch_execnz .LBB260_650
.LBB260_485:                            ;   in Loop: Header=BB260_368 Depth=1
	s_or_b64 exec, exec, s[12:13]
	s_and_saveexec_b64 s[12:13], s[10:11]
	s_cbranch_execz .LBB260_487
.LBB260_486:                            ;   in Loop: Header=BB260_368 Depth=1
	v_bfe_u32 v23, v18, 24, 3
	v_ffbh_u32_e32 v49, v23
	v_bfe_u32 v18, v18, 27, 4
	v_min_u32_e32 v49, 32, v49
	v_subrev_u32_e32 v50, 28, v49
	v_sub_u32_e32 v49, 29, v49
	v_cmp_eq_u32_e64 s[0:1], 0, v18
	v_lshlrev_b64 v[50:51], v50, v[8:9]
	v_and_b32_e32 v50, 7, v50
	v_cndmask_b32_e64 v18, v18, v49, s[0:1]
	v_lshlrev_b32_e32 v8, 8, v8
	v_lshl_add_u32 v18, v18, 10, v30
	v_cndmask_b32_e64 v23, v23, v50, s[0:1]
	v_and_or_b32 v8, v8, s35, v18
	v_lshl_or_b32 v8, v23, 7, v8
	v_cvt_f32_f16_e32 v23, v8
.LBB260_487:                            ;   in Loop: Header=BB260_368 Depth=1
	s_or_b64 exec, exec, s[12:13]
	v_cmp_gt_i16_sdwa s[10:11], v19, s30 src0_sel:BYTE_0 src1_sel:DWORD
	s_mov_b64 s[0:1], 0
                                        ; implicit-def: $sgpr16
	s_and_saveexec_b64 s[12:13], s[10:11]
	s_xor_b64 s[10:11], exec, s[12:13]
	s_cbranch_execnz .LBB260_651
; %bb.488:                              ;   in Loop: Header=BB260_368 Depth=1
	s_or_saveexec_b64 s[10:11], s[10:11]
	v_mov_b32_e32 v18, s16
	s_xor_b64 exec, exec, s[10:11]
	s_cbranch_execnz .LBB260_654
.LBB260_489:                            ;   in Loop: Header=BB260_368 Depth=1
	s_or_b64 exec, exec, s[10:11]
	v_mov_b32_e32 v8, v19
	s_and_saveexec_b64 s[10:11], s[0:1]
	s_cbranch_execz .LBB260_491
.LBB260_490:                            ;   in Loop: Header=BB260_368 Depth=1
	v_and_b32_e32 v18, 7, v19
	v_ffbh_u32_e32 v18, v18
	v_bfe_u32 v49, v19, 3, 4
	v_min_u32_e32 v18, 32, v18
	v_subrev_u32_e32 v50, 28, v18
	v_sub_u32_e32 v18, 29, v18
	v_cmp_eq_u32_e64 s[0:1], 0, v49
	s_nop 1
	v_cndmask_b32_e64 v18, v49, v18, s[0:1]
	v_cndmask_b32_e64 v49, 0, v50, s[0:1]
	v_lshlrev_b64 v[50:51], v49, v[8:9]
	v_lshlrev_b32_e32 v49, 7, v50
	v_lshlrev_b32_e32 v50, 8, v19
	v_lshl_add_u32 v18, v18, 10, v30
	v_and_or_b32 v18, v50, s35, v18
	v_and_or_b32 v18, v49, s37, v18
	v_cvt_f32_f16_e32 v18, v18
.LBB260_491:                            ;   in Loop: Header=BB260_368 Depth=1
	s_or_b64 exec, exec, s[10:11]
	v_lshrrev_b16_e32 v8, 8, v8
	v_cmp_lt_i16_e64 s[0:1], s30, v8
	s_mov_b64 s[10:11], 0
                                        ; implicit-def: $sgpr41
	s_and_saveexec_b64 s[12:13], s[0:1]
	s_xor_b64 s[12:13], exec, s[12:13]
	s_cbranch_execnz .LBB260_655
; %bb.492:                              ;   in Loop: Header=BB260_368 Depth=1
	s_or_saveexec_b64 s[12:13], s[12:13]
	v_mov_b32_e32 v49, s41
	s_xor_b64 exec, exec, s[12:13]
	s_cbranch_execnz .LBB260_658
.LBB260_493:                            ;   in Loop: Header=BB260_368 Depth=1
	s_or_b64 exec, exec, s[12:13]
	s_and_saveexec_b64 s[12:13], s[10:11]
	s_cbranch_execz .LBB260_495
.LBB260_494:                            ;   in Loop: Header=BB260_368 Depth=1
	v_and_b32_e32 v49, 7, v8
	v_ffbh_u32_e32 v50, v49
	v_min_u32_e32 v53, 32, v50
	v_subrev_u32_e32 v50, 28, v53
	v_bfe_u32 v52, v8, 3, 4
	v_lshlrev_b64 v[50:51], v50, v[8:9]
	v_sub_u32_e32 v51, 29, v53
	v_cmp_eq_u32_e64 s[0:1], 0, v52
	v_and_b32_e32 v50, 7, v50
	v_lshlrev_b32_e32 v8, 8, v8
	v_cndmask_b32_e64 v51, v52, v51, s[0:1]
	v_cndmask_b32_e64 v49, v49, v50, s[0:1]
	v_lshl_add_u32 v50, v51, 10, v30
	v_and_or_b32 v8, v8, s35, v50
	v_lshl_or_b32 v8, v49, 7, v8
	v_cvt_f32_f16_e32 v49, v8
.LBB260_495:                            ;   in Loop: Header=BB260_368 Depth=1
	s_or_b64 exec, exec, s[12:13]
	v_lshrrev_b32_e32 v8, 16, v19
	v_cmp_gt_i16_sdwa s[10:11], v8, s30 src0_sel:BYTE_0 src1_sel:DWORD
	s_mov_b64 s[0:1], 0
                                        ; implicit-def: $sgpr16
	s_and_saveexec_b64 s[12:13], s[10:11]
	s_xor_b64 s[10:11], exec, s[12:13]
	s_cbranch_execnz .LBB260_659
; %bb.496:                              ;   in Loop: Header=BB260_368 Depth=1
	s_or_saveexec_b64 s[10:11], s[10:11]
	v_mov_b32_e32 v50, s16
	s_xor_b64 exec, exec, s[10:11]
	s_cbranch_execnz .LBB260_662
.LBB260_497:                            ;   in Loop: Header=BB260_368 Depth=1
	s_or_b64 exec, exec, s[10:11]
	s_and_saveexec_b64 s[10:11], s[0:1]
	s_cbranch_execz .LBB260_499
.LBB260_498:                            ;   in Loop: Header=BB260_368 Depth=1
	v_bfe_u32 v52, v19, 16, 3
	v_ffbh_u32_e32 v50, v52
	v_min_u32_e32 v54, 32, v50
	v_subrev_u32_e32 v50, 28, v54
	v_bfe_u32 v53, v19, 19, 4
	v_lshlrev_b64 v[50:51], v50, v[8:9]
	v_sub_u32_e32 v51, 29, v54
	v_cmp_eq_u32_e64 s[0:1], 0, v53
	v_and_b32_e32 v50, 7, v50
	v_lshlrev_b32_e32 v8, 8, v8
	v_cndmask_b32_e64 v51, v53, v51, s[0:1]
	v_lshl_add_u32 v51, v51, 10, v30
	v_cndmask_b32_e64 v50, v52, v50, s[0:1]
	v_and_or_b32 v8, v8, s35, v51
	v_lshl_or_b32 v8, v50, 7, v8
	v_cvt_f32_f16_e32 v50, v8
.LBB260_499:                            ;   in Loop: Header=BB260_368 Depth=1
	s_or_b64 exec, exec, s[10:11]
	v_lshrrev_b32_e32 v8, 24, v19
	v_cmp_lt_i16_e64 s[0:1], s30, v8
	s_mov_b64 s[10:11], 0
                                        ; implicit-def: $sgpr41
	s_and_saveexec_b64 s[12:13], s[0:1]
	s_xor_b64 s[12:13], exec, s[12:13]
	s_cbranch_execnz .LBB260_663
; %bb.500:                              ;   in Loop: Header=BB260_368 Depth=1
	s_or_saveexec_b64 s[12:13], s[12:13]
	v_mov_b32_e32 v51, s41
	s_xor_b64 exec, exec, s[12:13]
	s_cbranch_execnz .LBB260_666
.LBB260_501:                            ;   in Loop: Header=BB260_368 Depth=1
	s_or_b64 exec, exec, s[12:13]
	s_and_saveexec_b64 s[12:13], s[10:11]
	s_cbranch_execz .LBB260_503
.LBB260_502:                            ;   in Loop: Header=BB260_368 Depth=1
	v_bfe_u32 v51, v19, 24, 3
	v_ffbh_u32_e32 v52, v51
	v_min_u32_e32 v54, 32, v52
	v_subrev_u32_e32 v52, 28, v54
	v_bfe_u32 v19, v19, 27, 4
	v_lshlrev_b64 v[52:53], v52, v[8:9]
	v_sub_u32_e32 v53, 29, v54
	v_cmp_eq_u32_e64 s[0:1], 0, v19
	v_and_b32_e32 v52, 7, v52
	v_lshlrev_b32_e32 v8, 8, v8
	v_cndmask_b32_e64 v19, v19, v53, s[0:1]
	v_lshl_add_u32 v19, v19, 10, v30
	v_cndmask_b32_e64 v51, v51, v52, s[0:1]
	v_and_or_b32 v8, v8, s35, v19
	v_lshl_or_b32 v8, v51, 7, v8
	v_cvt_f32_f16_e32 v51, v8
.LBB260_503:                            ;   in Loop: Header=BB260_368 Depth=1
	s_or_b64 exec, exec, s[12:13]
	s_waitcnt vmcnt(0)
	v_pk_mul_f32 v[22:23], v[16:17], v[22:23] op_sel_hi:[0,1]
	v_pk_mul_f32 v[20:21], v[16:17], v[20:21] op_sel_hi:[0,1]
	v_cvt_f16_f32_e32 v8, v23
	v_cvt_f16_f32_e32 v19, v22
	;; [unrolled: 1-line block ×4, first 2 shown]
	v_fma_mixlo_f16 v18, v16, v18, 0
	v_pack_b32_f16 v19, v19, v8
	v_pack_b32_f16 v20, v20, v21
	v_perm_b32 v8, v20, v19, s38
	v_perm_b32 v19, v20, v19, s39
	v_fma_mixlo_f16 v20, v16, v49, 0
	v_lshlrev_b32_e32 v20, 16, v20
	v_or_b32_sdwa v18, v20, v18 dst_sel:DWORD dst_unused:UNUSED_PAD src0_sel:DWORD src1_sel:WORD_0
	v_fma_mixlo_f16 v20, v16, v50, 0
	v_fma_mixlo_f16 v16, v16, v51, 0
	v_lshlrev_b32_e32 v16, 16, v16
	v_or_b32_sdwa v16, v16, v20 dst_sel:DWORD dst_unused:UNUSED_PAD src0_sel:DWORD src1_sel:WORD_0
	s_and_saveexec_b64 s[10:11], vcc
	s_cbranch_execz .LBB260_505
; %bb.504:                              ;   in Loop: Header=BB260_368 Depth=1
	v_lshrrev_b32_e32 v21, 16, v19
	v_cmp_gt_i32_e64 s[0:1], s22, v38
	v_lshrrev_b32_e32 v16, 16, v16
	s_nop 0
	v_cndmask_b32_e64 v21, 0, v21, s[0:1]
	v_cmp_gt_i32_e64 s[0:1], s25, v33
	s_nop 1
	v_cndmask_b32_e64 v19, 0, v19, s[0:1]
	v_perm_b32 v19, v21, v19, s40
	v_lshrrev_b32_e32 v21, 16, v8
	v_cmp_gt_i32_e64 s[0:1], s22, v37
	s_nop 1
	v_cndmask_b32_e64 v21, 0, v21, s[0:1]
	v_cmp_gt_i32_e64 s[0:1], s25, v36
	s_nop 1
	v_cndmask_b32_e64 v8, 0, v8, s[0:1]
	v_perm_b32 v8, v21, v8, s40
	v_lshrrev_b32_e32 v21, 16, v18
	v_cmp_gt_i32_e64 s[0:1], s22, v35
	s_nop 1
	v_cndmask_b32_e64 v21, 0, v21, s[0:1]
	v_cmp_gt_i32_e64 s[0:1], s25, v34
	s_nop 1
	v_cndmask_b32_e64 v18, 0, v18, s[0:1]
	v_cmp_gt_i32_e64 s[0:1], s22, v32
	v_perm_b32 v18, v21, v18, s40
	s_nop 0
	v_cndmask_b32_e64 v16, 0, v16, s[0:1]
	v_cmp_gt_i32_e64 s[0:1], s25, v31
	s_nop 1
	v_cndmask_b32_e64 v20, 0, v20, s[0:1]
	v_perm_b32 v16, v16, v20, s40
.LBB260_505:                            ;   in Loop: Header=BB260_368 Depth=1
	s_or_b64 exec, exec, s[10:11]
	;;#ASMSTART
	v_pk_mul_f16 v19, v42, v19;

	;;#ASMEND
	;;#ASMSTART
	v_pk_mul_f16 v8, v41, v8;

	;;#ASMEND
	;; [unrolled: 4-line block ×4, first 2 shown]
	s_mov_b64 s[0:1], 0
	;;#ASMSTART
	v_pk_add_f16 v8, v19, v8;

	;;#ASMEND
                                        ; implicit-def: $sgpr16
	s_nop 0
	;;#ASMSTART
	v_pk_add_f16 v8, v8, v18;

	;;#ASMEND
	s_nop 0
	;;#ASMSTART
	v_pk_add_f16 v8, v8, v16;

	;;#ASMEND
	s_nop 0
	v_lshrrev_b32_e32 v16, 16, v8
	v_and_b32_e32 v8, 0xffff, v8
	;;#ASMSTART
	v_cvt_f32_f16 v22, v8;
	;;#ASMEND
	;;#ASMSTART
	v_cvt_f32_f16 v23, v16;
	;;#ASMEND
	global_load_dwordx2 v[18:19], v[14:15], off offset:2048
	global_load_dword v16, v9, s[14:15]
	s_waitcnt vmcnt(1)
	v_cmp_gt_i16_sdwa s[10:11], v18, s30 src0_sel:BYTE_0 src1_sel:DWORD
	s_and_saveexec_b64 s[12:13], s[10:11]
	s_xor_b64 s[10:11], exec, s[12:13]
	s_cbranch_execnz .LBB260_667
; %bb.506:                              ;   in Loop: Header=BB260_368 Depth=1
	s_or_saveexec_b64 s[10:11], s[10:11]
	v_mov_b32_e32 v14, s16
	s_xor_b64 exec, exec, s[10:11]
	s_cbranch_execnz .LBB260_670
.LBB260_507:                            ;   in Loop: Header=BB260_368 Depth=1
	s_or_b64 exec, exec, s[10:11]
	s_and_saveexec_b64 s[10:11], s[0:1]
	s_cbranch_execz .LBB260_509
.LBB260_508:                            ;   in Loop: Header=BB260_368 Depth=1
	v_and_b32_e32 v8, 7, v18
	v_ffbh_u32_e32 v8, v8
	v_bfe_u32 v14, v18, 3, 4
	v_min_u32_e32 v8, 32, v8
	v_subrev_u32_e32 v15, 28, v8
	v_sub_u32_e32 v8, 29, v8
	v_cmp_eq_u32_e64 s[0:1], 0, v14
	s_nop 1
	v_cndmask_b32_e64 v8, v14, v8, s[0:1]
	v_cndmask_b32_e64 v14, 0, v15, s[0:1]
	v_lshlrev_b64 v[14:15], v14, v[18:19]
	v_lshlrev_b32_e32 v15, 8, v18
	v_lshl_add_u32 v8, v8, 10, v30
	v_lshlrev_b32_e32 v14, 7, v14
	v_and_or_b32 v8, v15, s35, v8
	v_and_or_b32 v8, v14, s37, v8
	v_cvt_f32_f16_e32 v14, v8
.LBB260_509:                            ;   in Loop: Header=BB260_368 Depth=1
	s_or_b64 exec, exec, s[10:11]
	v_lshrrev_b16_e32 v8, 8, v18
	v_cmp_lt_i16_e64 s[0:1], s30, v8
	s_mov_b64 s[10:11], 0
                                        ; implicit-def: $sgpr41
	s_and_saveexec_b64 s[12:13], s[0:1]
	s_xor_b64 s[12:13], exec, s[12:13]
	s_cbranch_execnz .LBB260_671
; %bb.510:                              ;   in Loop: Header=BB260_368 Depth=1
	s_or_saveexec_b64 s[12:13], s[12:13]
	v_mov_b32_e32 v20, s41
	s_xor_b64 exec, exec, s[12:13]
	s_cbranch_execnz .LBB260_674
.LBB260_511:                            ;   in Loop: Header=BB260_368 Depth=1
	s_or_b64 exec, exec, s[12:13]
	s_and_saveexec_b64 s[12:13], s[10:11]
	s_cbranch_execz .LBB260_513
.LBB260_512:                            ;   in Loop: Header=BB260_368 Depth=1
	v_and_b32_e32 v15, 7, v8
	v_ffbh_u32_e32 v20, v15
	v_min_u32_e32 v50, 32, v20
	v_subrev_u32_e32 v20, 28, v50
	v_bfe_u32 v49, v8, 3, 4
	v_lshlrev_b64 v[20:21], v20, v[8:9]
	v_sub_u32_e32 v21, 29, v50
	v_cmp_eq_u32_e64 s[0:1], 0, v49
	v_and_b32_e32 v20, 7, v20
	v_lshlrev_b32_e32 v8, 8, v8
	v_cndmask_b32_e64 v21, v49, v21, s[0:1]
	v_cndmask_b32_e64 v15, v15, v20, s[0:1]
	v_lshl_add_u32 v20, v21, 10, v30
	v_and_or_b32 v8, v8, s35, v20
	v_lshl_or_b32 v8, v15, 7, v8
	v_cvt_f32_f16_e32 v20, v8
.LBB260_513:                            ;   in Loop: Header=BB260_368 Depth=1
	s_or_b64 exec, exec, s[12:13]
	v_lshrrev_b32_e32 v8, 16, v18
	v_cmp_gt_i16_sdwa s[10:11], v8, s30 src0_sel:BYTE_0 src1_sel:DWORD
	s_mov_b64 s[0:1], 0
                                        ; implicit-def: $sgpr16
	s_and_saveexec_b64 s[12:13], s[10:11]
	s_xor_b64 s[10:11], exec, s[12:13]
	s_cbranch_execnz .LBB260_675
; %bb.514:                              ;   in Loop: Header=BB260_368 Depth=1
	s_or_saveexec_b64 s[10:11], s[10:11]
	v_mov_b32_e32 v15, s16
	s_xor_b64 exec, exec, s[10:11]
	s_cbranch_execnz .LBB260_678
.LBB260_515:                            ;   in Loop: Header=BB260_368 Depth=1
	s_or_b64 exec, exec, s[10:11]
	s_and_saveexec_b64 s[10:11], s[0:1]
	s_cbranch_execz .LBB260_517
.LBB260_516:                            ;   in Loop: Header=BB260_368 Depth=1
	v_bfe_u32 v15, v18, 16, 3
	v_ffbh_u32_e32 v49, v15
	v_bfe_u32 v21, v18, 19, 4
	v_min_u32_e32 v49, 32, v49
	v_subrev_u32_e32 v50, 28, v49
	v_sub_u32_e32 v49, 29, v49
	v_cmp_eq_u32_e64 s[0:1], 0, v21
	v_lshlrev_b64 v[50:51], v50, v[8:9]
	v_and_b32_e32 v50, 7, v50
	v_cndmask_b32_e64 v21, v21, v49, s[0:1]
	v_lshlrev_b32_e32 v8, 8, v8
	v_lshl_add_u32 v21, v21, 10, v30
	v_cndmask_b32_e64 v15, v15, v50, s[0:1]
	v_and_or_b32 v8, v8, s35, v21
	v_lshl_or_b32 v8, v15, 7, v8
	v_cvt_f32_f16_e32 v15, v8
.LBB260_517:                            ;   in Loop: Header=BB260_368 Depth=1
	s_or_b64 exec, exec, s[10:11]
	v_lshrrev_b32_e32 v8, 24, v18
	v_cmp_lt_i16_e64 s[0:1], s30, v8
	s_mov_b64 s[10:11], 0
                                        ; implicit-def: $sgpr41
	s_and_saveexec_b64 s[12:13], s[0:1]
	s_xor_b64 s[12:13], exec, s[12:13]
	s_cbranch_execnz .LBB260_679
; %bb.518:                              ;   in Loop: Header=BB260_368 Depth=1
	s_or_saveexec_b64 s[12:13], s[12:13]
	v_mov_b32_e32 v21, s41
	s_xor_b64 exec, exec, s[12:13]
	s_cbranch_execnz .LBB260_682
.LBB260_519:                            ;   in Loop: Header=BB260_368 Depth=1
	s_or_b64 exec, exec, s[12:13]
	s_and_saveexec_b64 s[12:13], s[10:11]
	s_cbranch_execz .LBB260_521
.LBB260_520:                            ;   in Loop: Header=BB260_368 Depth=1
	v_bfe_u32 v21, v18, 24, 3
	v_ffbh_u32_e32 v49, v21
	v_bfe_u32 v18, v18, 27, 4
	v_min_u32_e32 v49, 32, v49
	v_subrev_u32_e32 v50, 28, v49
	v_sub_u32_e32 v49, 29, v49
	v_cmp_eq_u32_e64 s[0:1], 0, v18
	v_lshlrev_b64 v[50:51], v50, v[8:9]
	v_and_b32_e32 v50, 7, v50
	v_cndmask_b32_e64 v18, v18, v49, s[0:1]
	v_lshlrev_b32_e32 v8, 8, v8
	v_lshl_add_u32 v18, v18, 10, v30
	v_cndmask_b32_e64 v21, v21, v50, s[0:1]
	v_and_or_b32 v8, v8, s35, v18
	v_lshl_or_b32 v8, v21, 7, v8
	v_cvt_f32_f16_e32 v21, v8
.LBB260_521:                            ;   in Loop: Header=BB260_368 Depth=1
	s_or_b64 exec, exec, s[12:13]
	v_cmp_gt_i16_sdwa s[10:11], v19, s30 src0_sel:BYTE_0 src1_sel:DWORD
	s_mov_b64 s[0:1], 0
                                        ; implicit-def: $sgpr16
	s_and_saveexec_b64 s[12:13], s[10:11]
	s_xor_b64 s[10:11], exec, s[12:13]
	s_cbranch_execnz .LBB260_683
; %bb.522:                              ;   in Loop: Header=BB260_368 Depth=1
	s_or_saveexec_b64 s[10:11], s[10:11]
	v_mov_b32_e32 v18, s16
	s_xor_b64 exec, exec, s[10:11]
	s_cbranch_execnz .LBB260_686
.LBB260_523:                            ;   in Loop: Header=BB260_368 Depth=1
	s_or_b64 exec, exec, s[10:11]
	v_mov_b32_e32 v8, v19
	s_and_saveexec_b64 s[10:11], s[0:1]
	s_cbranch_execz .LBB260_525
.LBB260_524:                            ;   in Loop: Header=BB260_368 Depth=1
	v_and_b32_e32 v18, 7, v19
	v_ffbh_u32_e32 v18, v18
	v_bfe_u32 v49, v19, 3, 4
	v_min_u32_e32 v18, 32, v18
	v_subrev_u32_e32 v50, 28, v18
	v_sub_u32_e32 v18, 29, v18
	v_cmp_eq_u32_e64 s[0:1], 0, v49
	s_nop 1
	v_cndmask_b32_e64 v18, v49, v18, s[0:1]
	v_cndmask_b32_e64 v49, 0, v50, s[0:1]
	v_lshlrev_b64 v[50:51], v49, v[8:9]
	v_lshlrev_b32_e32 v49, 7, v50
	v_lshlrev_b32_e32 v50, 8, v19
	v_lshl_add_u32 v18, v18, 10, v30
	v_and_or_b32 v18, v50, s35, v18
	v_and_or_b32 v18, v49, s37, v18
	v_cvt_f32_f16_e32 v18, v18
.LBB260_525:                            ;   in Loop: Header=BB260_368 Depth=1
	s_or_b64 exec, exec, s[10:11]
	v_lshrrev_b16_e32 v8, 8, v8
	v_cmp_lt_i16_e64 s[0:1], s30, v8
	s_mov_b64 s[10:11], 0
                                        ; implicit-def: $sgpr41
	s_and_saveexec_b64 s[12:13], s[0:1]
	s_xor_b64 s[12:13], exec, s[12:13]
	s_cbranch_execnz .LBB260_687
; %bb.526:                              ;   in Loop: Header=BB260_368 Depth=1
	s_or_saveexec_b64 s[12:13], s[12:13]
	v_mov_b32_e32 v49, s41
	s_xor_b64 exec, exec, s[12:13]
	s_cbranch_execnz .LBB260_690
.LBB260_527:                            ;   in Loop: Header=BB260_368 Depth=1
	s_or_b64 exec, exec, s[12:13]
	s_and_saveexec_b64 s[12:13], s[10:11]
	s_cbranch_execz .LBB260_529
.LBB260_528:                            ;   in Loop: Header=BB260_368 Depth=1
	v_and_b32_e32 v49, 7, v8
	v_ffbh_u32_e32 v50, v49
	v_min_u32_e32 v53, 32, v50
	v_subrev_u32_e32 v50, 28, v53
	v_bfe_u32 v52, v8, 3, 4
	v_lshlrev_b64 v[50:51], v50, v[8:9]
	v_sub_u32_e32 v51, 29, v53
	v_cmp_eq_u32_e64 s[0:1], 0, v52
	v_and_b32_e32 v50, 7, v50
	v_lshlrev_b32_e32 v8, 8, v8
	v_cndmask_b32_e64 v51, v52, v51, s[0:1]
	v_cndmask_b32_e64 v49, v49, v50, s[0:1]
	v_lshl_add_u32 v50, v51, 10, v30
	v_and_or_b32 v8, v8, s35, v50
	v_lshl_or_b32 v8, v49, 7, v8
	v_cvt_f32_f16_e32 v49, v8
.LBB260_529:                            ;   in Loop: Header=BB260_368 Depth=1
	s_or_b64 exec, exec, s[12:13]
	v_lshrrev_b32_e32 v8, 16, v19
	v_cmp_gt_i16_sdwa s[10:11], v8, s30 src0_sel:BYTE_0 src1_sel:DWORD
	s_mov_b64 s[0:1], 0
                                        ; implicit-def: $sgpr16
	s_and_saveexec_b64 s[12:13], s[10:11]
	s_xor_b64 s[10:11], exec, s[12:13]
	s_cbranch_execnz .LBB260_691
; %bb.530:                              ;   in Loop: Header=BB260_368 Depth=1
	s_or_saveexec_b64 s[10:11], s[10:11]
	v_mov_b32_e32 v50, s16
	s_xor_b64 exec, exec, s[10:11]
	s_cbranch_execnz .LBB260_694
.LBB260_531:                            ;   in Loop: Header=BB260_368 Depth=1
	s_or_b64 exec, exec, s[10:11]
	s_and_saveexec_b64 s[10:11], s[0:1]
	s_cbranch_execz .LBB260_533
.LBB260_532:                            ;   in Loop: Header=BB260_368 Depth=1
	v_bfe_u32 v52, v19, 16, 3
	v_ffbh_u32_e32 v50, v52
	v_min_u32_e32 v54, 32, v50
	v_subrev_u32_e32 v50, 28, v54
	v_bfe_u32 v53, v19, 19, 4
	v_lshlrev_b64 v[50:51], v50, v[8:9]
	v_sub_u32_e32 v51, 29, v54
	v_cmp_eq_u32_e64 s[0:1], 0, v53
	v_and_b32_e32 v50, 7, v50
	v_lshlrev_b32_e32 v8, 8, v8
	v_cndmask_b32_e64 v51, v53, v51, s[0:1]
	v_lshl_add_u32 v51, v51, 10, v30
	v_cndmask_b32_e64 v50, v52, v50, s[0:1]
	v_and_or_b32 v8, v8, s35, v51
	v_lshl_or_b32 v8, v50, 7, v8
	v_cvt_f32_f16_e32 v50, v8
.LBB260_533:                            ;   in Loop: Header=BB260_368 Depth=1
	s_or_b64 exec, exec, s[10:11]
	v_lshrrev_b32_e32 v8, 24, v19
	v_cmp_lt_i16_e64 s[0:1], s30, v8
	s_mov_b64 s[10:11], 0
                                        ; implicit-def: $sgpr41
	s_and_saveexec_b64 s[12:13], s[0:1]
	s_xor_b64 s[12:13], exec, s[12:13]
	s_cbranch_execnz .LBB260_695
; %bb.534:                              ;   in Loop: Header=BB260_368 Depth=1
	s_or_saveexec_b64 s[12:13], s[12:13]
	v_mov_b32_e32 v51, s41
	s_xor_b64 exec, exec, s[12:13]
	s_cbranch_execnz .LBB260_698
.LBB260_535:                            ;   in Loop: Header=BB260_368 Depth=1
	s_or_b64 exec, exec, s[12:13]
	s_and_saveexec_b64 s[12:13], s[10:11]
	s_cbranch_execz .LBB260_537
.LBB260_536:                            ;   in Loop: Header=BB260_368 Depth=1
	v_bfe_u32 v51, v19, 24, 3
	v_ffbh_u32_e32 v52, v51
	v_min_u32_e32 v54, 32, v52
	v_subrev_u32_e32 v52, 28, v54
	v_bfe_u32 v19, v19, 27, 4
	v_lshlrev_b64 v[52:53], v52, v[8:9]
	v_sub_u32_e32 v53, 29, v54
	v_cmp_eq_u32_e64 s[0:1], 0, v19
	v_and_b32_e32 v52, 7, v52
	v_lshlrev_b32_e32 v8, 8, v8
	v_cndmask_b32_e64 v19, v19, v53, s[0:1]
	v_lshl_add_u32 v19, v19, 10, v30
	v_cndmask_b32_e64 v51, v51, v52, s[0:1]
	v_and_or_b32 v8, v8, s35, v19
	v_lshl_or_b32 v8, v51, 7, v8
	v_cvt_f32_f16_e32 v51, v8
.LBB260_537:                            ;   in Loop: Header=BB260_368 Depth=1
	s_or_b64 exec, exec, s[12:13]
	s_waitcnt vmcnt(0)
	v_pk_mul_f32 v[20:21], v[16:17], v[20:21] op_sel_hi:[0,1]
	v_pk_mul_f32 v[14:15], v[16:17], v[14:15] op_sel_hi:[0,1]
	v_cvt_f16_f32_e32 v8, v21
	v_cvt_f16_f32_e32 v19, v20
	;; [unrolled: 1-line block ×4, first 2 shown]
	v_fma_mixlo_f16 v18, v16, v18, 0
	v_pack_b32_f16 v19, v19, v8
	v_pack_b32_f16 v14, v14, v15
	v_perm_b32 v8, v14, v19, s38
	v_perm_b32 v15, v14, v19, s39
	v_fma_mixlo_f16 v14, v16, v49, 0
	v_lshlrev_b32_e32 v14, 16, v14
	v_or_b32_sdwa v14, v14, v18 dst_sel:DWORD dst_unused:UNUSED_PAD src0_sel:DWORD src1_sel:WORD_0
	v_fma_mixlo_f16 v18, v16, v50, 0
	v_fma_mixlo_f16 v16, v16, v51, 0
	v_lshlrev_b32_e32 v16, 16, v16
	v_or_b32_sdwa v16, v16, v18 dst_sel:DWORD dst_unused:UNUSED_PAD src0_sel:DWORD src1_sel:WORD_0
	s_and_saveexec_b64 s[0:1], vcc
	s_cbranch_execz .LBB260_366
; %bb.538:                              ;   in Loop: Header=BB260_368 Depth=1
	v_lshrrev_b32_e32 v19, 16, v15
	v_cmp_gt_i32_e32 vcc, s22, v38
	v_lshrrev_b32_e32 v16, 16, v16
	s_nop 0
	v_cndmask_b32_e32 v19, 0, v19, vcc
	v_cmp_gt_i32_e32 vcc, s25, v33
	s_nop 1
	v_cndmask_b32_e32 v15, 0, v15, vcc
	v_perm_b32 v15, v19, v15, s40
	v_lshrrev_b32_e32 v19, 16, v8
	v_cmp_gt_i32_e32 vcc, s22, v37
	s_nop 1
	v_cndmask_b32_e32 v19, 0, v19, vcc
	v_cmp_gt_i32_e32 vcc, s25, v36
	s_nop 1
	v_cndmask_b32_e32 v8, 0, v8, vcc
	v_perm_b32 v8, v19, v8, s40
	v_lshrrev_b32_e32 v19, 16, v14
	v_cmp_gt_i32_e32 vcc, s22, v35
	s_nop 1
	v_cndmask_b32_e32 v19, 0, v19, vcc
	v_cmp_gt_i32_e32 vcc, s25, v34
	s_nop 1
	v_cndmask_b32_e32 v14, 0, v14, vcc
	v_cmp_gt_i32_e32 vcc, s22, v32
	v_perm_b32 v14, v19, v14, s40
	s_nop 0
	v_cndmask_b32_e32 v16, 0, v16, vcc
	v_cmp_gt_i32_e32 vcc, s25, v31
	s_nop 1
	v_cndmask_b32_e32 v18, 0, v18, vcc
	v_perm_b32 v16, v16, v18, s40
	s_branch .LBB260_366
.LBB260_539:                            ;   in Loop: Header=BB260_368 Depth=1
	v_cmp_eq_u16_sdwa s[42:43], v18, s31 src0_sel:BYTE_0 src1_sel:DWORD
	s_mov_b64 s[0:1], -1
                                        ; implicit-def: $sgpr16
	s_and_saveexec_b64 s[12:13], s[42:43]
; %bb.540:                              ;   in Loop: Header=BB260_368 Depth=1
	s_mov_b32 s16, 0x7fc02000
	s_xor_b64 s[0:1], exec, -1
; %bb.541:                              ;   in Loop: Header=BB260_368 Depth=1
	s_or_b64 exec, exec, s[12:13]
	s_and_b64 s[0:1], s[0:1], exec
	s_or_saveexec_b64 s[10:11], s[10:11]
	v_mov_b32_e32 v20, s16
	s_xor_b64 exec, exec, s[10:11]
	s_cbranch_execz .LBB260_371
.LBB260_542:                            ;   in Loop: Header=BB260_368 Depth=1
	v_cmp_ne_u16_sdwa s[12:13], v18, v9 src0_sel:BYTE_0 src1_sel:DWORD
	s_andn2_b64 s[0:1], s[0:1], exec
	s_and_b64 s[12:13], s[12:13], exec
	v_mov_b32_e32 v20, 0
	s_or_b64 s[0:1], s[0:1], s[12:13]
	s_or_b64 exec, exec, s[10:11]
	s_and_saveexec_b64 s[10:11], s[0:1]
	s_cbranch_execnz .LBB260_372
	s_branch .LBB260_373
.LBB260_543:                            ;   in Loop: Header=BB260_368 Depth=1
	v_cmp_eq_u16_e32 vcc, s31, v8
	s_mov_b64 s[0:1], -1
                                        ; implicit-def: $sgpr16
	s_and_saveexec_b64 s[12:13], vcc
; %bb.544:                              ;   in Loop: Header=BB260_368 Depth=1
	s_mov_b32 s16, 0x7fc02000
	s_xor_b64 s[0:1], exec, -1
; %bb.545:                              ;   in Loop: Header=BB260_368 Depth=1
	s_or_b64 exec, exec, s[12:13]
	s_and_b64 s[0:1], s[0:1], exec
	s_or_saveexec_b64 s[10:11], s[10:11]
	v_mov_b32_e32 v22, s16
	s_xor_b64 exec, exec, s[10:11]
	s_cbranch_execz .LBB260_375
.LBB260_546:                            ;   in Loop: Header=BB260_368 Depth=1
	v_cmp_ne_u16_e32 vcc, 0, v8
	s_andn2_b64 s[0:1], s[0:1], exec
	s_and_b64 s[12:13], vcc, exec
	v_mov_b32_e32 v22, 0
	s_or_b64 s[0:1], s[0:1], s[12:13]
	s_or_b64 exec, exec, s[10:11]
	s_and_saveexec_b64 s[10:11], s[0:1]
	s_cbranch_execnz .LBB260_376
	s_branch .LBB260_377
.LBB260_547:                            ;   in Loop: Header=BB260_368 Depth=1
	v_cmp_eq_u16_sdwa s[42:43], v8, s31 src0_sel:BYTE_0 src1_sel:DWORD
	s_mov_b64 s[0:1], -1
                                        ; implicit-def: $sgpr16
	s_and_saveexec_b64 s[12:13], s[42:43]
; %bb.548:                              ;   in Loop: Header=BB260_368 Depth=1
	s_mov_b32 s16, 0x7fc02000
	s_xor_b64 s[0:1], exec, -1
; %bb.549:                              ;   in Loop: Header=BB260_368 Depth=1
	s_or_b64 exec, exec, s[12:13]
	s_and_b64 s[0:1], s[0:1], exec
	s_or_saveexec_b64 s[10:11], s[10:11]
	v_mov_b32_e32 v21, s16
	s_xor_b64 exec, exec, s[10:11]
	s_cbranch_execz .LBB260_379
.LBB260_550:                            ;   in Loop: Header=BB260_368 Depth=1
	v_cmp_ne_u16_sdwa s[12:13], v8, v9 src0_sel:BYTE_0 src1_sel:DWORD
	s_andn2_b64 s[0:1], s[0:1], exec
	s_and_b64 s[12:13], s[12:13], exec
	v_mov_b32_e32 v21, 0
	s_or_b64 s[0:1], s[0:1], s[12:13]
	s_or_b64 exec, exec, s[10:11]
	s_and_saveexec_b64 s[10:11], s[0:1]
	s_cbranch_execnz .LBB260_380
	s_branch .LBB260_381
.LBB260_551:                            ;   in Loop: Header=BB260_368 Depth=1
	v_cmp_eq_u16_e32 vcc, s31, v8
	s_mov_b64 s[0:1], -1
                                        ; implicit-def: $sgpr16
	s_and_saveexec_b64 s[12:13], vcc
; %bb.552:                              ;   in Loop: Header=BB260_368 Depth=1
	s_mov_b32 s16, 0x7fc02000
	s_xor_b64 s[0:1], exec, -1
; %bb.553:                              ;   in Loop: Header=BB260_368 Depth=1
	s_or_b64 exec, exec, s[12:13]
	s_and_b64 s[0:1], s[0:1], exec
	s_or_saveexec_b64 s[10:11], s[10:11]
	v_mov_b32_e32 v23, s16
	s_xor_b64 exec, exec, s[10:11]
	s_cbranch_execz .LBB260_383
.LBB260_554:                            ;   in Loop: Header=BB260_368 Depth=1
	v_cmp_ne_u16_e32 vcc, 0, v8
	s_andn2_b64 s[0:1], s[0:1], exec
	s_and_b64 s[12:13], vcc, exec
	v_mov_b32_e32 v23, 0
	s_or_b64 s[0:1], s[0:1], s[12:13]
	s_or_b64 exec, exec, s[10:11]
	s_and_saveexec_b64 s[10:11], s[0:1]
	s_cbranch_execnz .LBB260_384
	s_branch .LBB260_385
.LBB260_555:                            ;   in Loop: Header=BB260_368 Depth=1
	v_cmp_eq_u16_sdwa s[42:43], v19, s31 src0_sel:BYTE_0 src1_sel:DWORD
	s_mov_b64 s[0:1], -1
                                        ; implicit-def: $sgpr16
	s_and_saveexec_b64 s[12:13], s[42:43]
; %bb.556:                              ;   in Loop: Header=BB260_368 Depth=1
	s_mov_b32 s16, 0x7fc02000
	s_xor_b64 s[0:1], exec, -1
; %bb.557:                              ;   in Loop: Header=BB260_368 Depth=1
	s_or_b64 exec, exec, s[12:13]
	s_and_b64 s[0:1], s[0:1], exec
	s_or_saveexec_b64 s[10:11], s[10:11]
	v_mov_b32_e32 v18, s16
	s_xor_b64 exec, exec, s[10:11]
	s_cbranch_execz .LBB260_387
.LBB260_558:                            ;   in Loop: Header=BB260_368 Depth=1
	v_cmp_ne_u16_sdwa s[12:13], v19, v9 src0_sel:BYTE_0 src1_sel:DWORD
	s_andn2_b64 s[0:1], s[0:1], exec
	s_and_b64 s[12:13], s[12:13], exec
	v_mov_b32_e32 v18, 0
	s_or_b64 s[0:1], s[0:1], s[12:13]
	s_or_b64 exec, exec, s[10:11]
	v_mov_b32_e32 v8, v19
	s_and_saveexec_b64 s[10:11], s[0:1]
	s_cbranch_execnz .LBB260_388
	s_branch .LBB260_389
.LBB260_559:                            ;   in Loop: Header=BB260_368 Depth=1
	v_cmp_eq_u16_e32 vcc, s31, v8
	s_mov_b64 s[0:1], -1
                                        ; implicit-def: $sgpr16
	s_and_saveexec_b64 s[12:13], vcc
; %bb.560:                              ;   in Loop: Header=BB260_368 Depth=1
	s_mov_b32 s16, 0x7fc02000
	s_xor_b64 s[0:1], exec, -1
; %bb.561:                              ;   in Loop: Header=BB260_368 Depth=1
	s_or_b64 exec, exec, s[12:13]
	s_and_b64 s[0:1], s[0:1], exec
	s_or_saveexec_b64 s[10:11], s[10:11]
	v_mov_b32_e32 v31, s16
	s_xor_b64 exec, exec, s[10:11]
	s_cbranch_execz .LBB260_391
.LBB260_562:                            ;   in Loop: Header=BB260_368 Depth=1
	v_cmp_ne_u16_e32 vcc, 0, v8
	s_andn2_b64 s[0:1], s[0:1], exec
	s_and_b64 s[12:13], vcc, exec
	v_mov_b32_e32 v31, 0
	s_or_b64 s[0:1], s[0:1], s[12:13]
	s_or_b64 exec, exec, s[10:11]
	s_and_saveexec_b64 s[10:11], s[0:1]
	s_cbranch_execnz .LBB260_392
	s_branch .LBB260_393
.LBB260_563:                            ;   in Loop: Header=BB260_368 Depth=1
	v_cmp_eq_u16_sdwa s[42:43], v8, s31 src0_sel:BYTE_0 src1_sel:DWORD
	s_mov_b64 s[0:1], -1
                                        ; implicit-def: $sgpr16
	s_and_saveexec_b64 s[12:13], s[42:43]
; %bb.564:                              ;   in Loop: Header=BB260_368 Depth=1
	s_mov_b32 s16, 0x7fc02000
	s_xor_b64 s[0:1], exec, -1
; %bb.565:                              ;   in Loop: Header=BB260_368 Depth=1
	s_or_b64 exec, exec, s[12:13]
	s_and_b64 s[0:1], s[0:1], exec
	s_or_saveexec_b64 s[10:11], s[10:11]
	v_mov_b32_e32 v32, s16
	s_xor_b64 exec, exec, s[10:11]
	s_cbranch_execz .LBB260_395
.LBB260_566:                            ;   in Loop: Header=BB260_368 Depth=1
	v_cmp_ne_u16_sdwa s[12:13], v8, v9 src0_sel:BYTE_0 src1_sel:DWORD
	s_andn2_b64 s[0:1], s[0:1], exec
	s_and_b64 s[12:13], s[12:13], exec
	v_mov_b32_e32 v32, 0
	s_or_b64 s[0:1], s[0:1], s[12:13]
	s_or_b64 exec, exec, s[10:11]
	s_and_saveexec_b64 s[10:11], s[0:1]
	s_cbranch_execnz .LBB260_396
	s_branch .LBB260_397
.LBB260_567:                            ;   in Loop: Header=BB260_368 Depth=1
	v_cmp_eq_u16_e32 vcc, s31, v8
	s_mov_b64 s[0:1], -1
                                        ; implicit-def: $sgpr16
	s_and_saveexec_b64 s[12:13], vcc
; %bb.568:                              ;   in Loop: Header=BB260_368 Depth=1
	s_mov_b32 s16, 0x7fc02000
	s_xor_b64 s[0:1], exec, -1
; %bb.569:                              ;   in Loop: Header=BB260_368 Depth=1
	s_or_b64 exec, exec, s[12:13]
	s_and_b64 s[0:1], s[0:1], exec
	s_or_saveexec_b64 s[10:11], s[10:11]
	v_mov_b32_e32 v34, s16
	s_xor_b64 exec, exec, s[10:11]
	s_cbranch_execz .LBB260_399
.LBB260_570:                            ;   in Loop: Header=BB260_368 Depth=1
	v_cmp_ne_u16_e32 vcc, 0, v8
	s_andn2_b64 s[0:1], s[0:1], exec
	s_and_b64 s[12:13], vcc, exec
	v_mov_b32_e32 v34, 0
	s_or_b64 s[0:1], s[0:1], s[12:13]
	s_or_b64 exec, exec, s[10:11]
	s_and_saveexec_b64 s[10:11], s[0:1]
	s_cbranch_execnz .LBB260_400
	s_branch .LBB260_401
.LBB260_571:                            ;   in Loop: Header=BB260_368 Depth=1
	v_cmp_eq_u16_sdwa s[42:43], v18, s31 src0_sel:BYTE_0 src1_sel:DWORD
	s_mov_b64 s[0:1], -1
                                        ; implicit-def: $sgpr16
	s_and_saveexec_b64 s[12:13], s[42:43]
; %bb.572:                              ;   in Loop: Header=BB260_368 Depth=1
	s_mov_b32 s16, 0x7fc02000
	s_xor_b64 s[0:1], exec, -1
; %bb.573:                              ;   in Loop: Header=BB260_368 Depth=1
	s_or_b64 exec, exec, s[12:13]
	s_and_b64 s[0:1], s[0:1], exec
	s_or_saveexec_b64 s[10:11], s[10:11]
	v_mov_b32_e32 v20, s16
	s_xor_b64 exec, exec, s[10:11]
	s_cbranch_execz .LBB260_405
.LBB260_574:                            ;   in Loop: Header=BB260_368 Depth=1
	v_cmp_ne_u16_sdwa s[12:13], v18, v9 src0_sel:BYTE_0 src1_sel:DWORD
	s_andn2_b64 s[0:1], s[0:1], exec
	s_and_b64 s[12:13], s[12:13], exec
	v_mov_b32_e32 v20, 0
	s_or_b64 s[0:1], s[0:1], s[12:13]
	s_or_b64 exec, exec, s[10:11]
	s_and_saveexec_b64 s[10:11], s[0:1]
	s_cbranch_execnz .LBB260_406
	s_branch .LBB260_407
.LBB260_575:                            ;   in Loop: Header=BB260_368 Depth=1
	v_cmp_eq_u16_e64 s[0:1], s31, v8
	s_mov_b64 s[10:11], -1
                                        ; implicit-def: $sgpr41
	s_and_saveexec_b64 s[16:17], s[0:1]
; %bb.576:                              ;   in Loop: Header=BB260_368 Depth=1
	s_mov_b32 s41, 0x7fc02000
	s_xor_b64 s[10:11], exec, -1
; %bb.577:                              ;   in Loop: Header=BB260_368 Depth=1
	s_or_b64 exec, exec, s[16:17]
	s_and_b64 s[10:11], s[10:11], exec
	s_or_saveexec_b64 s[12:13], s[12:13]
	v_mov_b32_e32 v22, s41
	s_xor_b64 exec, exec, s[12:13]
	s_cbranch_execz .LBB260_409
.LBB260_578:                            ;   in Loop: Header=BB260_368 Depth=1
	v_cmp_ne_u16_e64 s[0:1], 0, v8
	s_andn2_b64 s[10:11], s[10:11], exec
	s_and_b64 s[0:1], s[0:1], exec
	v_mov_b32_e32 v22, 0
	s_or_b64 s[10:11], s[10:11], s[0:1]
	s_or_b64 exec, exec, s[12:13]
	s_and_saveexec_b64 s[12:13], s[10:11]
	s_cbranch_execnz .LBB260_410
	s_branch .LBB260_411
.LBB260_579:                            ;   in Loop: Header=BB260_368 Depth=1
	v_cmp_eq_u16_sdwa s[42:43], v8, s31 src0_sel:BYTE_0 src1_sel:DWORD
	s_mov_b64 s[0:1], -1
                                        ; implicit-def: $sgpr16
	s_and_saveexec_b64 s[12:13], s[42:43]
; %bb.580:                              ;   in Loop: Header=BB260_368 Depth=1
	s_mov_b32 s16, 0x7fc02000
	s_xor_b64 s[0:1], exec, -1
; %bb.581:                              ;   in Loop: Header=BB260_368 Depth=1
	s_or_b64 exec, exec, s[12:13]
	s_and_b64 s[0:1], s[0:1], exec
	s_or_saveexec_b64 s[10:11], s[10:11]
	v_mov_b32_e32 v21, s16
	s_xor_b64 exec, exec, s[10:11]
	s_cbranch_execz .LBB260_413
.LBB260_582:                            ;   in Loop: Header=BB260_368 Depth=1
	v_cmp_ne_u16_sdwa s[12:13], v8, v9 src0_sel:BYTE_0 src1_sel:DWORD
	s_andn2_b64 s[0:1], s[0:1], exec
	s_and_b64 s[12:13], s[12:13], exec
	v_mov_b32_e32 v21, 0
	s_or_b64 s[0:1], s[0:1], s[12:13]
	s_or_b64 exec, exec, s[10:11]
	s_and_saveexec_b64 s[10:11], s[0:1]
	s_cbranch_execnz .LBB260_414
	s_branch .LBB260_415
.LBB260_583:                            ;   in Loop: Header=BB260_368 Depth=1
	v_cmp_eq_u16_e64 s[0:1], s31, v8
	s_mov_b64 s[10:11], -1
                                        ; implicit-def: $sgpr41
	s_and_saveexec_b64 s[16:17], s[0:1]
; %bb.584:                              ;   in Loop: Header=BB260_368 Depth=1
	s_mov_b32 s41, 0x7fc02000
	s_xor_b64 s[10:11], exec, -1
; %bb.585:                              ;   in Loop: Header=BB260_368 Depth=1
	s_or_b64 exec, exec, s[16:17]
	s_and_b64 s[10:11], s[10:11], exec
	s_or_saveexec_b64 s[12:13], s[12:13]
	v_mov_b32_e32 v23, s41
	s_xor_b64 exec, exec, s[12:13]
	s_cbranch_execz .LBB260_417
.LBB260_586:                            ;   in Loop: Header=BB260_368 Depth=1
	v_cmp_ne_u16_e64 s[0:1], 0, v8
	s_andn2_b64 s[10:11], s[10:11], exec
	s_and_b64 s[0:1], s[0:1], exec
	v_mov_b32_e32 v23, 0
	s_or_b64 s[10:11], s[10:11], s[0:1]
	s_or_b64 exec, exec, s[12:13]
	s_and_saveexec_b64 s[12:13], s[10:11]
	s_cbranch_execnz .LBB260_418
	s_branch .LBB260_419
.LBB260_587:                            ;   in Loop: Header=BB260_368 Depth=1
	v_cmp_eq_u16_sdwa s[42:43], v19, s31 src0_sel:BYTE_0 src1_sel:DWORD
	s_mov_b64 s[0:1], -1
                                        ; implicit-def: $sgpr16
	s_and_saveexec_b64 s[12:13], s[42:43]
; %bb.588:                              ;   in Loop: Header=BB260_368 Depth=1
	s_mov_b32 s16, 0x7fc02000
	s_xor_b64 s[0:1], exec, -1
; %bb.589:                              ;   in Loop: Header=BB260_368 Depth=1
	s_or_b64 exec, exec, s[12:13]
	s_and_b64 s[0:1], s[0:1], exec
	s_or_saveexec_b64 s[10:11], s[10:11]
	v_mov_b32_e32 v18, s16
	s_xor_b64 exec, exec, s[10:11]
	s_cbranch_execz .LBB260_421
.LBB260_590:                            ;   in Loop: Header=BB260_368 Depth=1
	v_cmp_ne_u16_sdwa s[12:13], v19, v9 src0_sel:BYTE_0 src1_sel:DWORD
	s_andn2_b64 s[0:1], s[0:1], exec
	s_and_b64 s[12:13], s[12:13], exec
	v_mov_b32_e32 v18, 0
	s_or_b64 s[0:1], s[0:1], s[12:13]
	s_or_b64 exec, exec, s[10:11]
	v_mov_b32_e32 v8, v19
	s_and_saveexec_b64 s[10:11], s[0:1]
	s_cbranch_execnz .LBB260_422
	s_branch .LBB260_423
.LBB260_591:                            ;   in Loop: Header=BB260_368 Depth=1
	v_cmp_eq_u16_e64 s[0:1], s31, v8
	s_mov_b64 s[10:11], -1
                                        ; implicit-def: $sgpr41
	s_and_saveexec_b64 s[16:17], s[0:1]
; %bb.592:                              ;   in Loop: Header=BB260_368 Depth=1
	s_mov_b32 s41, 0x7fc02000
	s_xor_b64 s[10:11], exec, -1
; %bb.593:                              ;   in Loop: Header=BB260_368 Depth=1
	s_or_b64 exec, exec, s[16:17]
	s_and_b64 s[10:11], s[10:11], exec
	s_or_saveexec_b64 s[12:13], s[12:13]
	v_mov_b32_e32 v45, s41
	s_xor_b64 exec, exec, s[12:13]
	s_cbranch_execz .LBB260_425
.LBB260_594:                            ;   in Loop: Header=BB260_368 Depth=1
	v_cmp_ne_u16_e64 s[0:1], 0, v8
	s_andn2_b64 s[10:11], s[10:11], exec
	s_and_b64 s[0:1], s[0:1], exec
	v_mov_b32_e32 v45, 0
	s_or_b64 s[10:11], s[10:11], s[0:1]
	s_or_b64 exec, exec, s[12:13]
	s_and_saveexec_b64 s[12:13], s[10:11]
	s_cbranch_execnz .LBB260_426
	s_branch .LBB260_427
.LBB260_595:                            ;   in Loop: Header=BB260_368 Depth=1
	v_cmp_eq_u16_sdwa s[42:43], v8, s31 src0_sel:BYTE_0 src1_sel:DWORD
	s_mov_b64 s[0:1], -1
                                        ; implicit-def: $sgpr16
	s_and_saveexec_b64 s[12:13], s[42:43]
; %bb.596:                              ;   in Loop: Header=BB260_368 Depth=1
	s_mov_b32 s16, 0x7fc02000
	s_xor_b64 s[0:1], exec, -1
; %bb.597:                              ;   in Loop: Header=BB260_368 Depth=1
	s_or_b64 exec, exec, s[12:13]
	s_and_b64 s[0:1], s[0:1], exec
	s_or_saveexec_b64 s[10:11], s[10:11]
	v_mov_b32_e32 v46, s16
	s_xor_b64 exec, exec, s[10:11]
	s_cbranch_execz .LBB260_429
.LBB260_598:                            ;   in Loop: Header=BB260_368 Depth=1
	v_cmp_ne_u16_sdwa s[12:13], v8, v9 src0_sel:BYTE_0 src1_sel:DWORD
	s_andn2_b64 s[0:1], s[0:1], exec
	s_and_b64 s[12:13], s[12:13], exec
	v_mov_b32_e32 v46, 0
	s_or_b64 s[0:1], s[0:1], s[12:13]
	s_or_b64 exec, exec, s[10:11]
	s_and_saveexec_b64 s[10:11], s[0:1]
	s_cbranch_execnz .LBB260_430
	s_branch .LBB260_431
.LBB260_599:                            ;   in Loop: Header=BB260_368 Depth=1
	v_cmp_eq_u16_e64 s[0:1], s31, v8
	s_mov_b64 s[10:11], -1
                                        ; implicit-def: $sgpr41
	s_and_saveexec_b64 s[16:17], s[0:1]
; %bb.600:                              ;   in Loop: Header=BB260_368 Depth=1
	s_mov_b32 s41, 0x7fc02000
	s_xor_b64 s[10:11], exec, -1
; %bb.601:                              ;   in Loop: Header=BB260_368 Depth=1
	s_or_b64 exec, exec, s[16:17]
	s_and_b64 s[10:11], s[10:11], exec
	s_or_saveexec_b64 s[12:13], s[12:13]
	v_mov_b32_e32 v47, s41
	s_xor_b64 exec, exec, s[12:13]
	s_cbranch_execz .LBB260_433
.LBB260_602:                            ;   in Loop: Header=BB260_368 Depth=1
	v_cmp_ne_u16_e64 s[0:1], 0, v8
	s_andn2_b64 s[10:11], s[10:11], exec
	s_and_b64 s[0:1], s[0:1], exec
	v_mov_b32_e32 v47, 0
	s_or_b64 s[10:11], s[10:11], s[0:1]
	s_or_b64 exec, exec, s[12:13]
	s_and_saveexec_b64 s[12:13], s[10:11]
	s_cbranch_execnz .LBB260_434
	s_branch .LBB260_435
.LBB260_603:                            ;   in Loop: Header=BB260_368 Depth=1
	v_cmp_eq_u16_sdwa s[42:43], v18, s31 src0_sel:BYTE_0 src1_sel:DWORD
	s_mov_b64 s[0:1], -1
                                        ; implicit-def: $sgpr16
	s_and_saveexec_b64 s[12:13], s[42:43]
; %bb.604:                              ;   in Loop: Header=BB260_368 Depth=1
	s_mov_b32 s16, 0x7fc02000
	s_xor_b64 s[0:1], exec, -1
; %bb.605:                              ;   in Loop: Header=BB260_368 Depth=1
	s_or_b64 exec, exec, s[12:13]
	s_and_b64 s[0:1], s[0:1], exec
	s_or_saveexec_b64 s[10:11], s[10:11]
	v_mov_b32_e32 v20, s16
	s_xor_b64 exec, exec, s[10:11]
	s_cbranch_execz .LBB260_439
.LBB260_606:                            ;   in Loop: Header=BB260_368 Depth=1
	v_cmp_ne_u16_sdwa s[12:13], v18, v9 src0_sel:BYTE_0 src1_sel:DWORD
	s_andn2_b64 s[0:1], s[0:1], exec
	s_and_b64 s[12:13], s[12:13], exec
	v_mov_b32_e32 v20, 0
	s_or_b64 s[0:1], s[0:1], s[12:13]
	s_or_b64 exec, exec, s[10:11]
	s_and_saveexec_b64 s[10:11], s[0:1]
	s_cbranch_execnz .LBB260_440
	s_branch .LBB260_441
.LBB260_607:                            ;   in Loop: Header=BB260_368 Depth=1
	v_cmp_eq_u16_e64 s[0:1], s31, v8
	s_mov_b64 s[10:11], -1
                                        ; implicit-def: $sgpr41
	s_and_saveexec_b64 s[16:17], s[0:1]
; %bb.608:                              ;   in Loop: Header=BB260_368 Depth=1
	s_mov_b32 s41, 0x7fc02000
	s_xor_b64 s[10:11], exec, -1
; %bb.609:                              ;   in Loop: Header=BB260_368 Depth=1
	s_or_b64 exec, exec, s[16:17]
	s_and_b64 s[10:11], s[10:11], exec
	s_or_saveexec_b64 s[12:13], s[12:13]
	v_mov_b32_e32 v22, s41
	s_xor_b64 exec, exec, s[12:13]
	s_cbranch_execz .LBB260_443
.LBB260_610:                            ;   in Loop: Header=BB260_368 Depth=1
	v_cmp_ne_u16_e64 s[0:1], 0, v8
	s_andn2_b64 s[10:11], s[10:11], exec
	s_and_b64 s[0:1], s[0:1], exec
	v_mov_b32_e32 v22, 0
	s_or_b64 s[10:11], s[10:11], s[0:1]
	s_or_b64 exec, exec, s[12:13]
	s_and_saveexec_b64 s[12:13], s[10:11]
	s_cbranch_execnz .LBB260_444
	s_branch .LBB260_445
.LBB260_611:                            ;   in Loop: Header=BB260_368 Depth=1
	v_cmp_eq_u16_sdwa s[42:43], v8, s31 src0_sel:BYTE_0 src1_sel:DWORD
	s_mov_b64 s[0:1], -1
                                        ; implicit-def: $sgpr16
	s_and_saveexec_b64 s[12:13], s[42:43]
; %bb.612:                              ;   in Loop: Header=BB260_368 Depth=1
	s_mov_b32 s16, 0x7fc02000
	s_xor_b64 s[0:1], exec, -1
; %bb.613:                              ;   in Loop: Header=BB260_368 Depth=1
	s_or_b64 exec, exec, s[12:13]
	s_and_b64 s[0:1], s[0:1], exec
	s_or_saveexec_b64 s[10:11], s[10:11]
	v_mov_b32_e32 v21, s16
	s_xor_b64 exec, exec, s[10:11]
	s_cbranch_execz .LBB260_447
.LBB260_614:                            ;   in Loop: Header=BB260_368 Depth=1
	v_cmp_ne_u16_sdwa s[12:13], v8, v9 src0_sel:BYTE_0 src1_sel:DWORD
	s_andn2_b64 s[0:1], s[0:1], exec
	s_and_b64 s[12:13], s[12:13], exec
	v_mov_b32_e32 v21, 0
	s_or_b64 s[0:1], s[0:1], s[12:13]
	s_or_b64 exec, exec, s[10:11]
	s_and_saveexec_b64 s[10:11], s[0:1]
	s_cbranch_execnz .LBB260_448
	s_branch .LBB260_449
.LBB260_615:                            ;   in Loop: Header=BB260_368 Depth=1
	v_cmp_eq_u16_e64 s[0:1], s31, v8
	s_mov_b64 s[10:11], -1
                                        ; implicit-def: $sgpr41
	s_and_saveexec_b64 s[16:17], s[0:1]
; %bb.616:                              ;   in Loop: Header=BB260_368 Depth=1
	s_mov_b32 s41, 0x7fc02000
	s_xor_b64 s[10:11], exec, -1
; %bb.617:                              ;   in Loop: Header=BB260_368 Depth=1
	s_or_b64 exec, exec, s[16:17]
	s_and_b64 s[10:11], s[10:11], exec
	s_or_saveexec_b64 s[12:13], s[12:13]
	v_mov_b32_e32 v23, s41
	s_xor_b64 exec, exec, s[12:13]
	s_cbranch_execz .LBB260_451
.LBB260_618:                            ;   in Loop: Header=BB260_368 Depth=1
	v_cmp_ne_u16_e64 s[0:1], 0, v8
	s_andn2_b64 s[10:11], s[10:11], exec
	s_and_b64 s[0:1], s[0:1], exec
	v_mov_b32_e32 v23, 0
	s_or_b64 s[10:11], s[10:11], s[0:1]
	s_or_b64 exec, exec, s[12:13]
	s_and_saveexec_b64 s[12:13], s[10:11]
	s_cbranch_execnz .LBB260_452
	s_branch .LBB260_453
.LBB260_619:                            ;   in Loop: Header=BB260_368 Depth=1
	v_cmp_eq_u16_sdwa s[42:43], v19, s31 src0_sel:BYTE_0 src1_sel:DWORD
	s_mov_b64 s[0:1], -1
                                        ; implicit-def: $sgpr16
	s_and_saveexec_b64 s[12:13], s[42:43]
; %bb.620:                              ;   in Loop: Header=BB260_368 Depth=1
	s_mov_b32 s16, 0x7fc02000
	s_xor_b64 s[0:1], exec, -1
; %bb.621:                              ;   in Loop: Header=BB260_368 Depth=1
	s_or_b64 exec, exec, s[12:13]
	s_and_b64 s[0:1], s[0:1], exec
	s_or_saveexec_b64 s[10:11], s[10:11]
	v_mov_b32_e32 v18, s16
	s_xor_b64 exec, exec, s[10:11]
	s_cbranch_execz .LBB260_455
.LBB260_622:                            ;   in Loop: Header=BB260_368 Depth=1
	v_cmp_ne_u16_sdwa s[12:13], v19, v9 src0_sel:BYTE_0 src1_sel:DWORD
	s_andn2_b64 s[0:1], s[0:1], exec
	s_and_b64 s[12:13], s[12:13], exec
	v_mov_b32_e32 v18, 0
	s_or_b64 s[0:1], s[0:1], s[12:13]
	s_or_b64 exec, exec, s[10:11]
	v_mov_b32_e32 v8, v19
	s_and_saveexec_b64 s[10:11], s[0:1]
	s_cbranch_execnz .LBB260_456
	s_branch .LBB260_457
.LBB260_623:                            ;   in Loop: Header=BB260_368 Depth=1
	v_cmp_eq_u16_e64 s[0:1], s31, v8
	s_mov_b64 s[10:11], -1
                                        ; implicit-def: $sgpr41
	s_and_saveexec_b64 s[16:17], s[0:1]
; %bb.624:                              ;   in Loop: Header=BB260_368 Depth=1
	s_mov_b32 s41, 0x7fc02000
	s_xor_b64 s[10:11], exec, -1
; %bb.625:                              ;   in Loop: Header=BB260_368 Depth=1
	s_or_b64 exec, exec, s[16:17]
	s_and_b64 s[10:11], s[10:11], exec
	s_or_saveexec_b64 s[12:13], s[12:13]
	v_mov_b32_e32 v47, s41
	s_xor_b64 exec, exec, s[12:13]
	s_cbranch_execz .LBB260_459
.LBB260_626:                            ;   in Loop: Header=BB260_368 Depth=1
	v_cmp_ne_u16_e64 s[0:1], 0, v8
	s_andn2_b64 s[10:11], s[10:11], exec
	s_and_b64 s[0:1], s[0:1], exec
	v_mov_b32_e32 v47, 0
	s_or_b64 s[10:11], s[10:11], s[0:1]
	s_or_b64 exec, exec, s[12:13]
	s_and_saveexec_b64 s[12:13], s[10:11]
	s_cbranch_execnz .LBB260_460
	s_branch .LBB260_461
.LBB260_627:                            ;   in Loop: Header=BB260_368 Depth=1
	v_cmp_eq_u16_sdwa s[42:43], v8, s31 src0_sel:BYTE_0 src1_sel:DWORD
	s_mov_b64 s[0:1], -1
                                        ; implicit-def: $sgpr16
	s_and_saveexec_b64 s[12:13], s[42:43]
; %bb.628:                              ;   in Loop: Header=BB260_368 Depth=1
	s_mov_b32 s16, 0x7fc02000
	s_xor_b64 s[0:1], exec, -1
; %bb.629:                              ;   in Loop: Header=BB260_368 Depth=1
	s_or_b64 exec, exec, s[12:13]
	s_and_b64 s[0:1], s[0:1], exec
	s_or_saveexec_b64 s[10:11], s[10:11]
	v_mov_b32_e32 v48, s16
	s_xor_b64 exec, exec, s[10:11]
	s_cbranch_execz .LBB260_463
.LBB260_630:                            ;   in Loop: Header=BB260_368 Depth=1
	v_cmp_ne_u16_sdwa s[12:13], v8, v9 src0_sel:BYTE_0 src1_sel:DWORD
	s_andn2_b64 s[0:1], s[0:1], exec
	s_and_b64 s[12:13], s[12:13], exec
	v_mov_b32_e32 v48, 0
	s_or_b64 s[0:1], s[0:1], s[12:13]
	s_or_b64 exec, exec, s[10:11]
	s_and_saveexec_b64 s[10:11], s[0:1]
	s_cbranch_execnz .LBB260_464
	s_branch .LBB260_465
.LBB260_631:                            ;   in Loop: Header=BB260_368 Depth=1
	v_cmp_eq_u16_e64 s[0:1], s31, v8
	s_mov_b64 s[10:11], -1
                                        ; implicit-def: $sgpr41
	s_and_saveexec_b64 s[16:17], s[0:1]
; %bb.632:                              ;   in Loop: Header=BB260_368 Depth=1
	s_mov_b32 s41, 0x7fc02000
	s_xor_b64 s[10:11], exec, -1
; %bb.633:                              ;   in Loop: Header=BB260_368 Depth=1
	s_or_b64 exec, exec, s[16:17]
	s_and_b64 s[10:11], s[10:11], exec
	s_or_saveexec_b64 s[12:13], s[12:13]
	v_mov_b32_e32 v49, s41
	s_xor_b64 exec, exec, s[12:13]
	s_cbranch_execz .LBB260_467
.LBB260_634:                            ;   in Loop: Header=BB260_368 Depth=1
	v_cmp_ne_u16_e64 s[0:1], 0, v8
	s_andn2_b64 s[10:11], s[10:11], exec
	s_and_b64 s[0:1], s[0:1], exec
	v_mov_b32_e32 v49, 0
	s_or_b64 s[10:11], s[10:11], s[0:1]
	s_or_b64 exec, exec, s[12:13]
	s_and_saveexec_b64 s[12:13], s[10:11]
	s_cbranch_execnz .LBB260_468
	s_branch .LBB260_469
.LBB260_635:                            ;   in Loop: Header=BB260_368 Depth=1
	v_cmp_eq_u16_sdwa s[42:43], v18, s31 src0_sel:BYTE_0 src1_sel:DWORD
	s_mov_b64 s[0:1], -1
                                        ; implicit-def: $sgpr16
	s_and_saveexec_b64 s[12:13], s[42:43]
; %bb.636:                              ;   in Loop: Header=BB260_368 Depth=1
	s_mov_b32 s16, 0x7fc02000
	s_xor_b64 s[0:1], exec, -1
; %bb.637:                              ;   in Loop: Header=BB260_368 Depth=1
	s_or_b64 exec, exec, s[12:13]
	s_and_b64 s[0:1], s[0:1], exec
	s_or_saveexec_b64 s[10:11], s[10:11]
	v_mov_b32_e32 v20, s16
	s_xor_b64 exec, exec, s[10:11]
	s_cbranch_execz .LBB260_473
.LBB260_638:                            ;   in Loop: Header=BB260_368 Depth=1
	v_cmp_ne_u16_sdwa s[12:13], v18, v9 src0_sel:BYTE_0 src1_sel:DWORD
	s_andn2_b64 s[0:1], s[0:1], exec
	s_and_b64 s[12:13], s[12:13], exec
	v_mov_b32_e32 v20, 0
	s_or_b64 s[0:1], s[0:1], s[12:13]
	s_or_b64 exec, exec, s[10:11]
	s_and_saveexec_b64 s[10:11], s[0:1]
	s_cbranch_execnz .LBB260_474
	s_branch .LBB260_475
.LBB260_639:                            ;   in Loop: Header=BB260_368 Depth=1
	v_cmp_eq_u16_e64 s[0:1], s31, v8
	s_mov_b64 s[10:11], -1
                                        ; implicit-def: $sgpr41
	s_and_saveexec_b64 s[16:17], s[0:1]
; %bb.640:                              ;   in Loop: Header=BB260_368 Depth=1
	s_mov_b32 s41, 0x7fc02000
	s_xor_b64 s[10:11], exec, -1
; %bb.641:                              ;   in Loop: Header=BB260_368 Depth=1
	s_or_b64 exec, exec, s[16:17]
	s_and_b64 s[10:11], s[10:11], exec
	s_or_saveexec_b64 s[12:13], s[12:13]
	v_mov_b32_e32 v22, s41
	s_xor_b64 exec, exec, s[12:13]
	s_cbranch_execz .LBB260_477
.LBB260_642:                            ;   in Loop: Header=BB260_368 Depth=1
	v_cmp_ne_u16_e64 s[0:1], 0, v8
	s_andn2_b64 s[10:11], s[10:11], exec
	s_and_b64 s[0:1], s[0:1], exec
	v_mov_b32_e32 v22, 0
	s_or_b64 s[10:11], s[10:11], s[0:1]
	s_or_b64 exec, exec, s[12:13]
	s_and_saveexec_b64 s[12:13], s[10:11]
	s_cbranch_execnz .LBB260_478
	s_branch .LBB260_479
.LBB260_643:                            ;   in Loop: Header=BB260_368 Depth=1
	v_cmp_eq_u16_sdwa s[42:43], v8, s31 src0_sel:BYTE_0 src1_sel:DWORD
	s_mov_b64 s[0:1], -1
                                        ; implicit-def: $sgpr16
	s_and_saveexec_b64 s[12:13], s[42:43]
; %bb.644:                              ;   in Loop: Header=BB260_368 Depth=1
	s_mov_b32 s16, 0x7fc02000
	s_xor_b64 s[0:1], exec, -1
; %bb.645:                              ;   in Loop: Header=BB260_368 Depth=1
	s_or_b64 exec, exec, s[12:13]
	s_and_b64 s[0:1], s[0:1], exec
	s_or_saveexec_b64 s[10:11], s[10:11]
	v_mov_b32_e32 v21, s16
	s_xor_b64 exec, exec, s[10:11]
	s_cbranch_execz .LBB260_481
.LBB260_646:                            ;   in Loop: Header=BB260_368 Depth=1
	v_cmp_ne_u16_sdwa s[12:13], v8, v9 src0_sel:BYTE_0 src1_sel:DWORD
	s_andn2_b64 s[0:1], s[0:1], exec
	s_and_b64 s[12:13], s[12:13], exec
	v_mov_b32_e32 v21, 0
	s_or_b64 s[0:1], s[0:1], s[12:13]
	s_or_b64 exec, exec, s[10:11]
	s_and_saveexec_b64 s[10:11], s[0:1]
	s_cbranch_execnz .LBB260_482
	s_branch .LBB260_483
.LBB260_647:                            ;   in Loop: Header=BB260_368 Depth=1
	v_cmp_eq_u16_e64 s[0:1], s31, v8
	s_mov_b64 s[10:11], -1
                                        ; implicit-def: $sgpr41
	s_and_saveexec_b64 s[16:17], s[0:1]
; %bb.648:                              ;   in Loop: Header=BB260_368 Depth=1
	s_mov_b32 s41, 0x7fc02000
	s_xor_b64 s[10:11], exec, -1
; %bb.649:                              ;   in Loop: Header=BB260_368 Depth=1
	s_or_b64 exec, exec, s[16:17]
	s_and_b64 s[10:11], s[10:11], exec
	s_or_saveexec_b64 s[12:13], s[12:13]
	v_mov_b32_e32 v23, s41
	s_xor_b64 exec, exec, s[12:13]
	s_cbranch_execz .LBB260_485
.LBB260_650:                            ;   in Loop: Header=BB260_368 Depth=1
	v_cmp_ne_u16_e64 s[0:1], 0, v8
	s_andn2_b64 s[10:11], s[10:11], exec
	s_and_b64 s[0:1], s[0:1], exec
	v_mov_b32_e32 v23, 0
	s_or_b64 s[10:11], s[10:11], s[0:1]
	s_or_b64 exec, exec, s[12:13]
	s_and_saveexec_b64 s[12:13], s[10:11]
	s_cbranch_execnz .LBB260_486
	s_branch .LBB260_487
.LBB260_651:                            ;   in Loop: Header=BB260_368 Depth=1
	v_cmp_eq_u16_sdwa s[42:43], v19, s31 src0_sel:BYTE_0 src1_sel:DWORD
	s_mov_b64 s[0:1], -1
                                        ; implicit-def: $sgpr16
	s_and_saveexec_b64 s[12:13], s[42:43]
; %bb.652:                              ;   in Loop: Header=BB260_368 Depth=1
	s_mov_b32 s16, 0x7fc02000
	s_xor_b64 s[0:1], exec, -1
; %bb.653:                              ;   in Loop: Header=BB260_368 Depth=1
	s_or_b64 exec, exec, s[12:13]
	s_and_b64 s[0:1], s[0:1], exec
	s_or_saveexec_b64 s[10:11], s[10:11]
	v_mov_b32_e32 v18, s16
	s_xor_b64 exec, exec, s[10:11]
	s_cbranch_execz .LBB260_489
.LBB260_654:                            ;   in Loop: Header=BB260_368 Depth=1
	v_cmp_ne_u16_sdwa s[12:13], v19, v9 src0_sel:BYTE_0 src1_sel:DWORD
	s_andn2_b64 s[0:1], s[0:1], exec
	s_and_b64 s[12:13], s[12:13], exec
	v_mov_b32_e32 v18, 0
	s_or_b64 s[0:1], s[0:1], s[12:13]
	s_or_b64 exec, exec, s[10:11]
	v_mov_b32_e32 v8, v19
	s_and_saveexec_b64 s[10:11], s[0:1]
	s_cbranch_execnz .LBB260_490
	s_branch .LBB260_491
.LBB260_655:                            ;   in Loop: Header=BB260_368 Depth=1
	v_cmp_eq_u16_e64 s[0:1], s31, v8
	s_mov_b64 s[10:11], -1
                                        ; implicit-def: $sgpr41
	s_and_saveexec_b64 s[16:17], s[0:1]
; %bb.656:                              ;   in Loop: Header=BB260_368 Depth=1
	s_mov_b32 s41, 0x7fc02000
	s_xor_b64 s[10:11], exec, -1
; %bb.657:                              ;   in Loop: Header=BB260_368 Depth=1
	s_or_b64 exec, exec, s[16:17]
	s_and_b64 s[10:11], s[10:11], exec
	s_or_saveexec_b64 s[12:13], s[12:13]
	v_mov_b32_e32 v49, s41
	s_xor_b64 exec, exec, s[12:13]
	s_cbranch_execz .LBB260_493
.LBB260_658:                            ;   in Loop: Header=BB260_368 Depth=1
	v_cmp_ne_u16_e64 s[0:1], 0, v8
	s_andn2_b64 s[10:11], s[10:11], exec
	s_and_b64 s[0:1], s[0:1], exec
	v_mov_b32_e32 v49, 0
	s_or_b64 s[10:11], s[10:11], s[0:1]
	s_or_b64 exec, exec, s[12:13]
	s_and_saveexec_b64 s[12:13], s[10:11]
	s_cbranch_execnz .LBB260_494
	s_branch .LBB260_495
.LBB260_659:                            ;   in Loop: Header=BB260_368 Depth=1
	v_cmp_eq_u16_sdwa s[42:43], v8, s31 src0_sel:BYTE_0 src1_sel:DWORD
	s_mov_b64 s[0:1], -1
                                        ; implicit-def: $sgpr16
	s_and_saveexec_b64 s[12:13], s[42:43]
; %bb.660:                              ;   in Loop: Header=BB260_368 Depth=1
	s_mov_b32 s16, 0x7fc02000
	s_xor_b64 s[0:1], exec, -1
; %bb.661:                              ;   in Loop: Header=BB260_368 Depth=1
	s_or_b64 exec, exec, s[12:13]
	s_and_b64 s[0:1], s[0:1], exec
	s_or_saveexec_b64 s[10:11], s[10:11]
	v_mov_b32_e32 v50, s16
	s_xor_b64 exec, exec, s[10:11]
	s_cbranch_execz .LBB260_497
.LBB260_662:                            ;   in Loop: Header=BB260_368 Depth=1
	v_cmp_ne_u16_sdwa s[12:13], v8, v9 src0_sel:BYTE_0 src1_sel:DWORD
	s_andn2_b64 s[0:1], s[0:1], exec
	s_and_b64 s[12:13], s[12:13], exec
	v_mov_b32_e32 v50, 0
	s_or_b64 s[0:1], s[0:1], s[12:13]
	s_or_b64 exec, exec, s[10:11]
	s_and_saveexec_b64 s[10:11], s[0:1]
	s_cbranch_execnz .LBB260_498
	s_branch .LBB260_499
.LBB260_663:                            ;   in Loop: Header=BB260_368 Depth=1
	v_cmp_eq_u16_e64 s[0:1], s31, v8
	s_mov_b64 s[10:11], -1
                                        ; implicit-def: $sgpr41
	s_and_saveexec_b64 s[16:17], s[0:1]
; %bb.664:                              ;   in Loop: Header=BB260_368 Depth=1
	s_mov_b32 s41, 0x7fc02000
	s_xor_b64 s[10:11], exec, -1
; %bb.665:                              ;   in Loop: Header=BB260_368 Depth=1
	s_or_b64 exec, exec, s[16:17]
	s_and_b64 s[10:11], s[10:11], exec
	s_or_saveexec_b64 s[12:13], s[12:13]
	v_mov_b32_e32 v51, s41
	s_xor_b64 exec, exec, s[12:13]
	s_cbranch_execz .LBB260_501
.LBB260_666:                            ;   in Loop: Header=BB260_368 Depth=1
	v_cmp_ne_u16_e64 s[0:1], 0, v8
	s_andn2_b64 s[10:11], s[10:11], exec
	s_and_b64 s[0:1], s[0:1], exec
	v_mov_b32_e32 v51, 0
	s_or_b64 s[10:11], s[10:11], s[0:1]
	s_or_b64 exec, exec, s[12:13]
	s_and_saveexec_b64 s[12:13], s[10:11]
	s_cbranch_execnz .LBB260_502
	s_branch .LBB260_503
.LBB260_667:                            ;   in Loop: Header=BB260_368 Depth=1
	v_cmp_eq_u16_sdwa s[42:43], v18, s31 src0_sel:BYTE_0 src1_sel:DWORD
	s_mov_b64 s[0:1], -1
                                        ; implicit-def: $sgpr16
	s_and_saveexec_b64 s[12:13], s[42:43]
; %bb.668:                              ;   in Loop: Header=BB260_368 Depth=1
	s_mov_b32 s16, 0x7fc02000
	s_xor_b64 s[0:1], exec, -1
; %bb.669:                              ;   in Loop: Header=BB260_368 Depth=1
	s_or_b64 exec, exec, s[12:13]
	s_and_b64 s[0:1], s[0:1], exec
	s_or_saveexec_b64 s[10:11], s[10:11]
	v_mov_b32_e32 v14, s16
	s_xor_b64 exec, exec, s[10:11]
	s_cbranch_execz .LBB260_507
.LBB260_670:                            ;   in Loop: Header=BB260_368 Depth=1
	v_cmp_ne_u16_sdwa s[12:13], v18, v9 src0_sel:BYTE_0 src1_sel:DWORD
	s_andn2_b64 s[0:1], s[0:1], exec
	s_and_b64 s[12:13], s[12:13], exec
	v_mov_b32_e32 v14, 0
	s_or_b64 s[0:1], s[0:1], s[12:13]
	s_or_b64 exec, exec, s[10:11]
	s_and_saveexec_b64 s[10:11], s[0:1]
	s_cbranch_execnz .LBB260_508
	s_branch .LBB260_509
.LBB260_671:                            ;   in Loop: Header=BB260_368 Depth=1
	v_cmp_eq_u16_e64 s[0:1], s31, v8
	s_mov_b64 s[10:11], -1
                                        ; implicit-def: $sgpr41
	s_and_saveexec_b64 s[16:17], s[0:1]
; %bb.672:                              ;   in Loop: Header=BB260_368 Depth=1
	s_mov_b32 s41, 0x7fc02000
	s_xor_b64 s[10:11], exec, -1
; %bb.673:                              ;   in Loop: Header=BB260_368 Depth=1
	s_or_b64 exec, exec, s[16:17]
	s_and_b64 s[10:11], s[10:11], exec
	s_or_saveexec_b64 s[12:13], s[12:13]
	v_mov_b32_e32 v20, s41
	s_xor_b64 exec, exec, s[12:13]
	s_cbranch_execz .LBB260_511
.LBB260_674:                            ;   in Loop: Header=BB260_368 Depth=1
	v_cmp_ne_u16_e64 s[0:1], 0, v8
	s_andn2_b64 s[10:11], s[10:11], exec
	s_and_b64 s[0:1], s[0:1], exec
	v_mov_b32_e32 v20, 0
	s_or_b64 s[10:11], s[10:11], s[0:1]
	s_or_b64 exec, exec, s[12:13]
	s_and_saveexec_b64 s[12:13], s[10:11]
	s_cbranch_execnz .LBB260_512
	s_branch .LBB260_513
.LBB260_675:                            ;   in Loop: Header=BB260_368 Depth=1
	v_cmp_eq_u16_sdwa s[42:43], v8, s31 src0_sel:BYTE_0 src1_sel:DWORD
	s_mov_b64 s[0:1], -1
                                        ; implicit-def: $sgpr16
	s_and_saveexec_b64 s[12:13], s[42:43]
; %bb.676:                              ;   in Loop: Header=BB260_368 Depth=1
	s_mov_b32 s16, 0x7fc02000
	s_xor_b64 s[0:1], exec, -1
; %bb.677:                              ;   in Loop: Header=BB260_368 Depth=1
	s_or_b64 exec, exec, s[12:13]
	s_and_b64 s[0:1], s[0:1], exec
	s_or_saveexec_b64 s[10:11], s[10:11]
	v_mov_b32_e32 v15, s16
	s_xor_b64 exec, exec, s[10:11]
	s_cbranch_execz .LBB260_515
.LBB260_678:                            ;   in Loop: Header=BB260_368 Depth=1
	v_cmp_ne_u16_sdwa s[12:13], v8, v9 src0_sel:BYTE_0 src1_sel:DWORD
	s_andn2_b64 s[0:1], s[0:1], exec
	s_and_b64 s[12:13], s[12:13], exec
	v_mov_b32_e32 v15, 0
	s_or_b64 s[0:1], s[0:1], s[12:13]
	s_or_b64 exec, exec, s[10:11]
	s_and_saveexec_b64 s[10:11], s[0:1]
	s_cbranch_execnz .LBB260_516
	s_branch .LBB260_517
.LBB260_679:                            ;   in Loop: Header=BB260_368 Depth=1
	v_cmp_eq_u16_e64 s[0:1], s31, v8
	s_mov_b64 s[10:11], -1
                                        ; implicit-def: $sgpr41
	s_and_saveexec_b64 s[16:17], s[0:1]
; %bb.680:                              ;   in Loop: Header=BB260_368 Depth=1
	s_mov_b32 s41, 0x7fc02000
	s_xor_b64 s[10:11], exec, -1
; %bb.681:                              ;   in Loop: Header=BB260_368 Depth=1
	s_or_b64 exec, exec, s[16:17]
	s_and_b64 s[10:11], s[10:11], exec
	s_or_saveexec_b64 s[12:13], s[12:13]
	v_mov_b32_e32 v21, s41
	s_xor_b64 exec, exec, s[12:13]
	s_cbranch_execz .LBB260_519
.LBB260_682:                            ;   in Loop: Header=BB260_368 Depth=1
	v_cmp_ne_u16_e64 s[0:1], 0, v8
	s_andn2_b64 s[10:11], s[10:11], exec
	s_and_b64 s[0:1], s[0:1], exec
	v_mov_b32_e32 v21, 0
	s_or_b64 s[10:11], s[10:11], s[0:1]
	s_or_b64 exec, exec, s[12:13]
	s_and_saveexec_b64 s[12:13], s[10:11]
	s_cbranch_execnz .LBB260_520
	s_branch .LBB260_521
.LBB260_683:                            ;   in Loop: Header=BB260_368 Depth=1
	v_cmp_eq_u16_sdwa s[42:43], v19, s31 src0_sel:BYTE_0 src1_sel:DWORD
	s_mov_b64 s[0:1], -1
                                        ; implicit-def: $sgpr16
	s_and_saveexec_b64 s[12:13], s[42:43]
; %bb.684:                              ;   in Loop: Header=BB260_368 Depth=1
	s_mov_b32 s16, 0x7fc02000
	s_xor_b64 s[0:1], exec, -1
; %bb.685:                              ;   in Loop: Header=BB260_368 Depth=1
	s_or_b64 exec, exec, s[12:13]
	s_and_b64 s[0:1], s[0:1], exec
	s_or_saveexec_b64 s[10:11], s[10:11]
	v_mov_b32_e32 v18, s16
	s_xor_b64 exec, exec, s[10:11]
	s_cbranch_execz .LBB260_523
.LBB260_686:                            ;   in Loop: Header=BB260_368 Depth=1
	v_cmp_ne_u16_sdwa s[12:13], v19, v9 src0_sel:BYTE_0 src1_sel:DWORD
	s_andn2_b64 s[0:1], s[0:1], exec
	s_and_b64 s[12:13], s[12:13], exec
	v_mov_b32_e32 v18, 0
	s_or_b64 s[0:1], s[0:1], s[12:13]
	s_or_b64 exec, exec, s[10:11]
	v_mov_b32_e32 v8, v19
	s_and_saveexec_b64 s[10:11], s[0:1]
	s_cbranch_execnz .LBB260_524
	s_branch .LBB260_525
.LBB260_687:                            ;   in Loop: Header=BB260_368 Depth=1
	v_cmp_eq_u16_e64 s[0:1], s31, v8
	s_mov_b64 s[10:11], -1
                                        ; implicit-def: $sgpr41
	s_and_saveexec_b64 s[16:17], s[0:1]
; %bb.688:                              ;   in Loop: Header=BB260_368 Depth=1
	s_mov_b32 s41, 0x7fc02000
	s_xor_b64 s[10:11], exec, -1
; %bb.689:                              ;   in Loop: Header=BB260_368 Depth=1
	s_or_b64 exec, exec, s[16:17]
	s_and_b64 s[10:11], s[10:11], exec
	s_or_saveexec_b64 s[12:13], s[12:13]
	v_mov_b32_e32 v49, s41
	s_xor_b64 exec, exec, s[12:13]
	s_cbranch_execz .LBB260_527
.LBB260_690:                            ;   in Loop: Header=BB260_368 Depth=1
	v_cmp_ne_u16_e64 s[0:1], 0, v8
	s_andn2_b64 s[10:11], s[10:11], exec
	s_and_b64 s[0:1], s[0:1], exec
	v_mov_b32_e32 v49, 0
	s_or_b64 s[10:11], s[10:11], s[0:1]
	s_or_b64 exec, exec, s[12:13]
	s_and_saveexec_b64 s[12:13], s[10:11]
	s_cbranch_execnz .LBB260_528
	s_branch .LBB260_529
.LBB260_691:                            ;   in Loop: Header=BB260_368 Depth=1
	v_cmp_eq_u16_sdwa s[42:43], v8, s31 src0_sel:BYTE_0 src1_sel:DWORD
	s_mov_b64 s[0:1], -1
                                        ; implicit-def: $sgpr16
	s_and_saveexec_b64 s[12:13], s[42:43]
; %bb.692:                              ;   in Loop: Header=BB260_368 Depth=1
	s_mov_b32 s16, 0x7fc02000
	s_xor_b64 s[0:1], exec, -1
; %bb.693:                              ;   in Loop: Header=BB260_368 Depth=1
	s_or_b64 exec, exec, s[12:13]
	s_and_b64 s[0:1], s[0:1], exec
	s_or_saveexec_b64 s[10:11], s[10:11]
	v_mov_b32_e32 v50, s16
	s_xor_b64 exec, exec, s[10:11]
	s_cbranch_execz .LBB260_531
.LBB260_694:                            ;   in Loop: Header=BB260_368 Depth=1
	v_cmp_ne_u16_sdwa s[12:13], v8, v9 src0_sel:BYTE_0 src1_sel:DWORD
	s_andn2_b64 s[0:1], s[0:1], exec
	s_and_b64 s[12:13], s[12:13], exec
	v_mov_b32_e32 v50, 0
	s_or_b64 s[0:1], s[0:1], s[12:13]
	s_or_b64 exec, exec, s[10:11]
	s_and_saveexec_b64 s[10:11], s[0:1]
	s_cbranch_execnz .LBB260_532
	s_branch .LBB260_533
.LBB260_695:                            ;   in Loop: Header=BB260_368 Depth=1
	v_cmp_eq_u16_e64 s[0:1], s31, v8
	s_mov_b64 s[10:11], -1
                                        ; implicit-def: $sgpr41
	s_and_saveexec_b64 s[16:17], s[0:1]
; %bb.696:                              ;   in Loop: Header=BB260_368 Depth=1
	s_mov_b32 s41, 0x7fc02000
	s_xor_b64 s[10:11], exec, -1
; %bb.697:                              ;   in Loop: Header=BB260_368 Depth=1
	s_or_b64 exec, exec, s[16:17]
	s_and_b64 s[10:11], s[10:11], exec
	s_or_saveexec_b64 s[12:13], s[12:13]
	v_mov_b32_e32 v51, s41
	s_xor_b64 exec, exec, s[12:13]
	s_cbranch_execz .LBB260_535
.LBB260_698:                            ;   in Loop: Header=BB260_368 Depth=1
	v_cmp_ne_u16_e64 s[0:1], 0, v8
	s_andn2_b64 s[10:11], s[10:11], exec
	s_and_b64 s[0:1], s[0:1], exec
	v_mov_b32_e32 v51, 0
	s_or_b64 s[10:11], s[10:11], s[0:1]
	s_or_b64 exec, exec, s[12:13]
	s_and_saveexec_b64 s[12:13], s[10:11]
	s_cbranch_execnz .LBB260_536
	s_branch .LBB260_537
.LBB260_699:
	s_or_b64 exec, exec, s[6:7]
.LBB260_700:
	s_or_b64 exec, exec, s[2:3]
	ds_bpermute_b32 v8, v7, v2
	ds_bpermute_b32 v9, v7, v3
	;; [unrolled: 1-line block ×5, first 2 shown]
	s_waitcnt lgkmcnt(0)
	v_pk_add_f32 v[2:3], v[2:3], v[8:9]
	ds_bpermute_b32 v8, v25, v2
	v_pk_add_f32 v[4:5], v[4:5], v[10:11]
	v_add_f32_e32 v1, v6, v1
	ds_bpermute_b32 v9, v25, v3
	ds_bpermute_b32 v10, v25, v4
	;; [unrolled: 1-line block ×4, first 2 shown]
	s_barrier
	s_waitcnt lgkmcnt(3)
	v_pk_add_f32 v[6:7], v[2:3], v[8:9]
	s_waitcnt lgkmcnt(0)
	v_pk_add_f32 v[2:3], v[4:5], v[10:11]
	v_add_f32_e32 v4, v1, v12
	v_and_b32_e32 v1, 0x3c3, v0
	v_cmp_eq_u32_e32 vcc, 64, v1
	s_and_saveexec_b64 s[0:1], vcc
	s_cbranch_execz .LBB260_702
; %bb.701:
	v_add_u32_e32 v5, 0xb0, v24
	ds_write2_b32 v5, v6, v7 offset1:16
	ds_write2_b32 v5, v2, v3 offset0:32 offset1:48
	ds_write_b32 v5, v4 offset:256
.LBB260_702:
	s_or_b64 exec, exec, s[0:1]
	v_cmp_gt_u32_e32 vcc, 64, v0
	s_waitcnt lgkmcnt(0)
	s_barrier
	s_and_saveexec_b64 s[0:1], vcc
	s_cbranch_execz .LBB260_710
; %bb.703:
	v_cmp_eq_u32_e32 vcc, 0, v26
	v_lshrrev_b32_e32 v5, 2, v0
	s_and_saveexec_b64 s[2:3], vcc
	s_cbranch_execnz .LBB260_713
; %bb.704:
	s_or_b64 exec, exec, s[2:3]
	s_and_saveexec_b64 s[2:3], vcc
	s_cbranch_execnz .LBB260_714
.LBB260_705:
	s_or_b64 exec, exec, s[2:3]
	s_and_saveexec_b64 s[2:3], vcc
	s_cbranch_execnz .LBB260_715
.LBB260_706:
	s_or_b64 exec, exec, s[2:3]
	s_and_saveexec_b64 s[2:3], vcc
	s_cbranch_execnz .LBB260_716
.LBB260_707:
	s_or_b64 exec, exec, s[2:3]
	s_and_saveexec_b64 s[2:3], vcc
	s_cbranch_execz .LBB260_709
.LBB260_708:
	v_mov_b32_e32 v8, 0xb0
	v_lshl_add_u32 v5, v5, 2, v8
	ds_read_b32 v5, v5 offset:256
	s_waitcnt lgkmcnt(0)
	v_add_f32_e32 v4, v4, v5
.LBB260_709:
	s_or_b64 exec, exec, s[2:3]
.LBB260_710:
	s_or_b64 exec, exec, s[0:1]
	v_cmp_eq_u32_e32 vcc, 0, v1
	s_barrier
	s_and_saveexec_b64 s[0:1], vcc
	s_cbranch_execz .LBB260_712
; %bb.711:
	s_mul_i32 s0, s24, s20
	s_mul_i32 s0, s0, s5
	s_mulk_i32 s0, 0x50
	s_ashr_i32 s1, s0, 31
	s_lshl_b64 s[0:1], s[0:1], 1
	s_add_u32 s2, s28, s0
	s_mul_i32 s0, s20, s26
	s_addc_u32 s3, s29, s1
	s_ashr_i32 s1, s0, 31
	s_lshl_b64 s[0:1], s[0:1], 1
	s_add_u32 s2, s2, s0
	s_mul_i32 s0, s4, 0x50
	s_addc_u32 s3, s3, s1
	s_ashr_i32 s1, s0, 31
	s_lshl_b64 s[0:1], s[0:1], 1
	s_add_u32 s0, s2, s0
	s_addc_u32 s1, s3, s1
	v_lshrrev_b32_e32 v0, 1, v0
	;;#ASMSTART
	v_cvt_f16_f32 v1, v6;

	;;#ASMEND
	global_store_short v0, v1, s[0:1]
	;;#ASMSTART
	v_cvt_f16_f32 v1, v7;

	;;#ASMEND
	global_store_short v0, v1, s[0:1] offset:32
	;;#ASMSTART
	v_cvt_f16_f32 v1, v2;

	;;#ASMEND
	global_store_short v0, v1, s[0:1] offset:64
	;; [unrolled: 5-line block ×4, first 2 shown]
.LBB260_712:
	s_endpgm
.LBB260_713:
	v_mov_b32_e32 v8, 0xb0
	v_lshl_add_u32 v8, v5, 2, v8
	ds_read_b32 v8, v8
	s_waitcnt lgkmcnt(0)
	v_add_f32_e32 v6, v6, v8
	s_or_b64 exec, exec, s[2:3]
	s_and_saveexec_b64 s[2:3], vcc
	s_cbranch_execz .LBB260_705
.LBB260_714:
	v_mov_b32_e32 v8, 0xb0
	v_lshl_add_u32 v8, v5, 2, v8
	ds_read_b32 v8, v8 offset:64
	s_waitcnt lgkmcnt(0)
	v_add_f32_e32 v7, v7, v8
	s_or_b64 exec, exec, s[2:3]
	s_and_saveexec_b64 s[2:3], vcc
	s_cbranch_execz .LBB260_706
.LBB260_715:
	v_mov_b32_e32 v8, 0xb0
	v_lshl_add_u32 v8, v5, 2, v8
	ds_read_b32 v8, v8 offset:128
	s_waitcnt lgkmcnt(0)
	v_add_f32_e32 v2, v2, v8
	s_or_b64 exec, exec, s[2:3]
	s_and_saveexec_b64 s[2:3], vcc
	s_cbranch_execz .LBB260_707
.LBB260_716:
	v_mov_b32_e32 v8, 0xb0
	v_lshl_add_u32 v8, v5, 2, v8
	ds_read_b32 v8, v8 offset:192
	s_waitcnt lgkmcnt(0)
	v_add_f32_e32 v3, v3, v8
	s_or_b64 exec, exec, s[2:3]
	s_and_saveexec_b64 s[2:3], vcc
	s_cbranch_execnz .LBB260_708
	s_branch .LBB260_709
	.section	.rodata,"a",@progbits
	.p2align	6, 0x0
	.amdhsa_kernel _ZN4vllm25paged_attention_v1_kernelIthLi80ELi32ELi128ELNS_18Fp8KVCacheDataTypeE1ELb1EEEvPT_PKS2_PKT0_S8_ifPKiSA_iPKfiiiSC_SC_iiiii
		.amdhsa_group_segment_fixed_size 176
		.amdhsa_private_segment_fixed_size 0
		.amdhsa_kernarg_size 384
		.amdhsa_user_sgpr_count 2
		.amdhsa_user_sgpr_dispatch_ptr 0
		.amdhsa_user_sgpr_queue_ptr 0
		.amdhsa_user_sgpr_kernarg_segment_ptr 1
		.amdhsa_user_sgpr_dispatch_id 0
		.amdhsa_user_sgpr_kernarg_preload_length 0
		.amdhsa_user_sgpr_kernarg_preload_offset 0
		.amdhsa_user_sgpr_private_segment_size 0
		.amdhsa_uses_dynamic_stack 0
		.amdhsa_enable_private_segment 0
		.amdhsa_system_sgpr_workgroup_id_x 1
		.amdhsa_system_sgpr_workgroup_id_y 1
		.amdhsa_system_sgpr_workgroup_id_z 1
		.amdhsa_system_sgpr_workgroup_info 0
		.amdhsa_system_vgpr_workitem_id 0
		.amdhsa_next_free_vgpr 72
		.amdhsa_next_free_sgpr 58
		.amdhsa_accum_offset 72
		.amdhsa_reserve_vcc 1
		.amdhsa_float_round_mode_32 0
		.amdhsa_float_round_mode_16_64 0
		.amdhsa_float_denorm_mode_32 3
		.amdhsa_float_denorm_mode_16_64 3
		.amdhsa_dx10_clamp 1
		.amdhsa_ieee_mode 1
		.amdhsa_fp16_overflow 0
		.amdhsa_tg_split 0
		.amdhsa_exception_fp_ieee_invalid_op 0
		.amdhsa_exception_fp_denorm_src 0
		.amdhsa_exception_fp_ieee_div_zero 0
		.amdhsa_exception_fp_ieee_overflow 0
		.amdhsa_exception_fp_ieee_underflow 0
		.amdhsa_exception_fp_ieee_inexact 0
		.amdhsa_exception_int_div_zero 0
	.end_amdhsa_kernel
	.section	.text._ZN4vllm25paged_attention_v1_kernelIthLi80ELi32ELi128ELNS_18Fp8KVCacheDataTypeE1ELb1EEEvPT_PKS2_PKT0_S8_ifPKiSA_iPKfiiiSC_SC_iiiii,"axG",@progbits,_ZN4vllm25paged_attention_v1_kernelIthLi80ELi32ELi128ELNS_18Fp8KVCacheDataTypeE1ELb1EEEvPT_PKS2_PKT0_S8_ifPKiSA_iPKfiiiSC_SC_iiiii,comdat
.Lfunc_end260:
	.size	_ZN4vllm25paged_attention_v1_kernelIthLi80ELi32ELi128ELNS_18Fp8KVCacheDataTypeE1ELb1EEEvPT_PKS2_PKT0_S8_ifPKiSA_iPKfiiiSC_SC_iiiii, .Lfunc_end260-_ZN4vllm25paged_attention_v1_kernelIthLi80ELi32ELi128ELNS_18Fp8KVCacheDataTypeE1ELb1EEEvPT_PKS2_PKT0_S8_ifPKiSA_iPKfiiiSC_SC_iiiii
                                        ; -- End function
	.section	.AMDGPU.csdata,"",@progbits
; Kernel info:
; codeLenInByte = 28332
; NumSgprs: 64
; NumVgprs: 72
; NumAgprs: 0
; TotalNumVgprs: 72
; ScratchSize: 0
; MemoryBound: 0
; FloatMode: 240
; IeeeMode: 1
; LDSByteSize: 176 bytes/workgroup (compile time only)
; SGPRBlocks: 7
; VGPRBlocks: 8
; NumSGPRsForWavesPerEU: 64
; NumVGPRsForWavesPerEU: 72
; AccumOffset: 72
; Occupancy: 7
; WaveLimiterHint : 1
; COMPUTE_PGM_RSRC2:SCRATCH_EN: 0
; COMPUTE_PGM_RSRC2:USER_SGPR: 2
; COMPUTE_PGM_RSRC2:TRAP_HANDLER: 0
; COMPUTE_PGM_RSRC2:TGID_X_EN: 1
; COMPUTE_PGM_RSRC2:TGID_Y_EN: 1
; COMPUTE_PGM_RSRC2:TGID_Z_EN: 1
; COMPUTE_PGM_RSRC2:TIDIG_COMP_CNT: 0
; COMPUTE_PGM_RSRC3_GFX90A:ACCUM_OFFSET: 17
; COMPUTE_PGM_RSRC3_GFX90A:TG_SPLIT: 0
	.text
	.p2align	2                               ; -- Begin function _ZN4vllm22paged_attention_kernelIthLi96ELi32ELi128ELNS_18Fp8KVCacheDataTypeE1ELb1ELi0EEEvPfS2_PT_PKS3_PKT0_S9_ifPKiSB_iPKfiiiSD_SD_iiiii
	.type	_ZN4vllm22paged_attention_kernelIthLi96ELi32ELi128ELNS_18Fp8KVCacheDataTypeE1ELb1ELi0EEEvPfS2_PT_PKS3_PKT0_S9_ifPKiSB_iPKfiiiSD_SD_iiiii,@function
_ZN4vllm22paged_attention_kernelIthLi96ELi32ELi128ELNS_18Fp8KVCacheDataTypeE1ELb1ELi0EEEvPfS2_PT_PKS3_PKT0_S9_ifPKiSB_iPKfiiiSD_SD_iiiii: ; @_ZN4vllm22paged_attention_kernelIthLi96ELi32ELi128ELNS_18Fp8KVCacheDataTypeE1ELb1ELi0EEEvPfS2_PT_PKS3_PKT0_S9_ifPKiSB_iPKfiiiSD_SD_iiiii
; %bb.0:
	s_waitcnt vmcnt(0) expcnt(0) lgkmcnt(0)
	s_or_saveexec_b64 s[0:1], -1
	scratch_store_dword off, v63, s32 offset:116 ; 4-byte Folded Spill
	s_mov_b64 exec, s[0:1]
	scratch_store_dword off, v40, s32 offset:104 ; 4-byte Folded Spill
	scratch_store_dword off, v41, s32 offset:100 ; 4-byte Folded Spill
	;; [unrolled: 1-line block ×26, first 2 shown]
	scratch_store_dword off, a43, s32       ; 4-byte Folded Spill
	v_writelane_b32 v63, s30, 0
	s_nop 1
	v_writelane_b32 v63, s31, 1
	s_mov_b32 s10, s13
	v_accvgpr_write_b32 a0, v0
	s_ashr_i32 s11, s13, 31
	v_accvgpr_write_b32 a1, v1
	v_lshl_add_u64 v[0:1], s[10:11], 2, v[12:13]
	flat_load_dword a8, v[0:1]
	v_sub_u32_e32 v0, 0, v8
	v_max_i32_e32 v0, v8, v0
	v_cvt_f32_u32_e32 v1, v0
	s_load_dword s0, s[8:9], 0x10
	s_load_dword s2, s[8:9], 0x0
	v_accvgpr_write_b32 a29, v21
	v_accvgpr_write_b32 a28, v20
	v_rcp_iflag_f32_e32 v1, v1
	s_waitcnt lgkmcnt(0)
	s_lshr_b32 s0, s0, 16
	s_cmp_lg_u32 s0, 0
	v_mov_b32_e32 v21, v7
	v_mul_f32_e32 v1, 0x4f7ffffe, v1
	v_cvt_u32_f32_e32 v1, v1
	s_cselect_b64 s[0:1], -1, 0
	v_sub_u32_e32 v7, 0, v0
	s_cmp_lg_u64 s[0:1], 0
	v_mul_lo_u32 v7, v7, v1
	s_addc_u32 s11, s2, 0
	v_mul_hi_u32 v7, v1, v7
	s_abs_i32 s0, s11
	v_add_u32_e32 v1, v1, v7
	v_mul_hi_u32 v1, s0, v1
	v_mul_lo_u32 v7, v1, v0
	v_sub_u32_e32 v7, s0, v7
	v_accvgpr_write_b32 a27, v9
	v_add_u32_e32 v9, 1, v1
	v_cmp_ge_u32_e32 vcc, v7, v0
	v_mov_b32_e32 v20, v6
	v_xor_b32_e32 v6, s11, v8
	v_cndmask_b32_e32 v1, v1, v9, vcc
	v_sub_u32_e32 v9, v7, v0
	v_cndmask_b32_e32 v7, v7, v9, vcc
	v_add_u32_e32 v9, 1, v1
	v_cmp_ge_u32_e32 vcc, v7, v0
	v_ashrrev_i32_e32 v6, 31, v6
	v_mov_b32_e32 v33, v16
	v_cndmask_b32_e32 v0, v1, v9, vcc
	v_xor_b32_e32 v0, v0, v6
	v_sub_u32_e32 v0, v0, v6
	v_sub_u32_e32 v1, 0, v0
	v_max_i32_e32 v1, v0, v1
	v_cvt_f32_u32_e32 v6, v1
	v_sub_u32_e32 v7, 0, v1
	v_mov_b32_e32 v32, v15
	v_accvgpr_write_b32 a4, v22
	v_rcp_iflag_f32_e32 v6, v6
	v_accvgpr_write_b32 a17, v11
	s_abs_i32 s2, s12
	v_accvgpr_write_b32 a5, v23
	v_mul_f32_e32 v6, 0x4f7ffffe, v6
	v_cvt_u32_f32_e32 v6, v6
	v_accvgpr_write_b32 a6, v18
	v_accvgpr_write_b32 a16, v10
	s_mov_b32 s16, s15
	v_mul_lo_u32 v7, v7, v6
	v_mul_hi_u32 v7, v6, v7
	v_add_u32_e32 v6, v6, v7
	v_mad_u64_u32 v[12:13], s[0:1], s2, v6, 0
	v_cmp_ne_u64_e32 vcc, 0, v[32:33]
	v_mov_b32_e32 v6, 0
	scratch_store_dword off, v6, s32 offset:112 ; 4-byte Folded Spill
	s_and_saveexec_b64 s[0:1], vcc
	s_cbranch_execz .LBB261_2
; %bb.1:
	s_ashr_i32 s13, s12, 31
	v_lshl_add_u64 v[6:7], s[12:13], 2, v[32:33]
	flat_load_dword v6, v[6:7]
	s_waitcnt vmcnt(0) lgkmcnt(0)
	scratch_store_dword off, v6, s32 offset:112 ; 4-byte Folded Spill
.LBB261_2:
	s_or_b64 exec, exec, s[0:1]
	v_and_b32_e32 v7, 0x3ff, v31
	s_ashr_i32 s3, s12, 31
	v_ashrrev_i32_e32 v6, 31, v0
	v_and_b32_e32 v0, 1, v7
	s_movk_i32 s4, 0x60
	s_mul_i32 s18, s12, 0x60
	v_cmp_gt_u32_e32 vcc, 24, v7
	v_accvgpr_write_b32 a2, v7
	v_lshlrev_b32_e32 v22, 3, v7
	s_and_saveexec_b64 s[0:1], vcc
	s_cbranch_execz .LBB261_4
; %bb.3:
	v_mul_lo_u32 v10, s10, v17
	v_ashrrev_i32_e32 v11, 31, v10
	v_lshl_add_u64 v[2:3], v[10:11], 1, v[2:3]
	s_ashr_i32 s19, s18, 31
	v_lshl_add_u64 v[2:3], s[18:19], 1, v[2:3]
	v_mov_b32_e32 v23, 0
	v_lshl_add_u64 v[2:3], v[2:3], 0, v[22:23]
	flat_load_dwordx2 v[2:3], v[2:3]
	v_accvgpr_read_b32 v7, a2
	v_lshlrev_b32_e32 v7, 2, v7
	v_and_b32_e32 v7, 0xff8, v7
	v_mad_u32_u24 v7, v0, s4, v7
	s_waitcnt vmcnt(0) lgkmcnt(0)
	ds_write_b64 v7, v[2:3]
.LBB261_4:
	s_or_b64 exec, exec, s[0:1]
	v_mul_lo_u32 v3, v13, v1
	v_sub_u32_e32 v3, s2, v3
	v_xor_b32_e32 v2, s3, v6
	v_add_u32_e32 v6, 1, v13
	v_cmp_ge_u32_e32 vcc, v3, v1
	v_sub_u32_e32 v7, v3, v1
	s_waitcnt lgkmcnt(0)
	v_cndmask_b32_e32 v6, v13, v6, vcc
	v_cndmask_b32_e32 v3, v3, v7, vcc
	v_add_u32_e32 v7, 1, v6
	v_cmp_ge_u32_e32 vcc, v3, v1
	v_sub_u32_e32 v3, 0, v27
	s_barrier
	v_cndmask_b32_e32 v1, v6, v7, vcc
	v_max_i32_e32 v6, v27, v3
	v_cvt_f32_u32_e32 v3, v6
	v_xor_b32_e32 v1, v1, v2
	v_sub_u32_e32 v12, v1, v2
	s_waitcnt vmcnt(0)
	v_accvgpr_read_b32 v2, a8
	v_rcp_iflag_f32_e32 v1, v3
	v_accvgpr_write_b32 a3, v6
	v_sub_u32_e32 v6, 0, v6
	v_add_u32_e32 v2, -1, v2
	v_mul_f32_e32 v1, 0x4f7ffffe, v1
	v_cvt_u32_f32_e32 v3, v1
	v_sub_u32_e32 v1, 0, v2
	v_max_i32_e32 v1, v2, v1
	v_cmp_gt_i32_e32 vcc, 0, v28
	v_mul_lo_u32 v6, v6, v3
	v_mul_hi_u32 v6, v3, v6
	v_add_u32_e32 v3, v3, v6
	v_accvgpr_write_b32 a7, v3
	v_mad_u64_u32 v[16:17], s[0:1], v1, v3, 0
	s_waitcnt lgkmcnt(0)
                                        ; implicit-def: $agpr10
	s_and_saveexec_b64 s[0:1], vcc
	s_xor_b64 s[0:1], exec, s[0:1]
; %bb.5:
	v_mad_u64_u32 v[6:7], s[2:3], v24, v8, v[12:13]
	v_mul_lo_u32 v3, v6, v28
	v_sub_u32_e32 v6, 1, v3
	v_accvgpr_write_b32 a10, v6
                                        ; implicit-def: $vgpr24
                                        ; implicit-def: $vgpr28
; %bb.6:
	s_or_saveexec_b64 s[0:1], s[0:1]
	v_ashrrev_i32_e32 v3, 31, v27
	v_ashrrev_i32_e32 v2, 31, v2
	v_accvgpr_write_b32 a9, v3
	s_xor_b64 exec, exec, s[0:1]
; %bb.7:
	v_mul_lo_u32 v3, s11, v24
	v_add_u32_e32 v3, s12, v3
	v_mad_u64_u32 v[6:7], s[2:3], v3, v28, 1
	v_accvgpr_write_b32 a10, v6
; %bb.8:
	s_or_b64 exec, exec, s[0:1]
	v_mul_lo_u32 v6, s10, v14
	v_ashrrev_i32_e32 v7, 31, v6
	v_accvgpr_write_b32 a23, v7
	v_accvgpr_write_b32 a22, v6
	v_accvgpr_read_b32 v3, a9
	v_accvgpr_read_b32 v7, a3
	v_xor_b32_e32 v2, v2, v3
	v_mul_lo_u32 v3, v17, v7
	v_sub_u32_e32 v1, v1, v3
	v_add_u32_e32 v3, 1, v17
	v_cmp_ge_u32_e32 vcc, v1, v7
	v_sub_u32_e32 v6, v1, v7
	s_load_dword s19, s[8:9], 0x14
	s_load_dword s15, s[8:9], 0x8
	v_cndmask_b32_e32 v3, v17, v3, vcc
	v_cndmask_b32_e32 v1, v1, v6, vcc
	v_add_u32_e32 v6, 1, v3
	v_cmp_ge_u32_e32 vcc, v1, v7
	v_mul_lo_u32 v18, v12, v19
	v_ashrrev_i32_e32 v19, 31, v18
	v_cndmask_b32_e32 v1, v3, v6, vcc
	v_xor_b32_e32 v1, v1, v2
	v_sub_u32_e32 v1, v1, v2
	v_accvgpr_read_b32 v2, a8
	v_add_u32_e32 v2, 31, v2
	v_ashrrev_i32_e32 v3, 31, v2
	v_lshrrev_b32_e32 v3, 27, v3
	v_add_u32_e32 v2, v2, v3
	v_ashrrev_i32_e32 v3, 5, v2
	v_accvgpr_read_b32 v2, a2
	v_lshrrev_b32_e32 v6, 6, v2
	v_sub_u32_e32 v1, v1, v25
	v_accvgpr_write_b32 a13, v1
	v_lshlrev_b32_e32 v1, 5, v6
	v_accvgpr_write_b32 a14, v1
	v_lshrrev_b32_e32 v1, 4, v2
	v_accvgpr_write_b32 a11, v3
	v_cmp_lt_i32_e64 s[0:1], v6, v3
	v_mov_b32_e32 v3, 0xff7fffff
	v_sub_u32_e32 v23, 0, v26
	v_accvgpr_write_b32 a12, v6
	v_accvgpr_write_b32 a21, v1
	v_mbcnt_lo_u32_b32 v6, -1, 0
	s_and_saveexec_b64 s[8:9], s[0:1]
	s_cbranch_execz .LBB261_402
; %bb.9:
	v_accvgpr_read_b32 v1, a2
	v_max_i32_e32 v8, v26, v23
	v_bfe_u32 v7, v1, 1, 5
	v_cvt_f32_u32_e32 v1, v8
	v_lshl_add_u64 v[2:3], v[4:5], 0, v[18:19]
	v_lshlrev_b32_e32 v4, 4, v7
	v_mov_b32_e32 v5, 0
	v_rcp_iflag_f32_e32 v1, v1
	v_lshl_add_u64 v[2:3], v[2:3], 0, v[4:5]
	v_accvgpr_write_b32 a35, v3
	v_cmp_eq_u32_e32 vcc, 0, v0
	v_accvgpr_write_b32 a34, v2
	v_lshlrev_b32_e32 v2, 2, v0
	v_mul_u32_u24_e32 v0, 0x60, v0
	v_accvgpr_write_b32 a33, v0
	v_mul_f32_e32 v0, 0x4f7ffffe, v1
	scratch_load_dword v1, off, s32 offset:112 ; 4-byte Folded Reload
	v_cvt_u32_f32_e32 v0, v0
	v_accvgpr_read_b32 v46, a12
	v_mov_b32_e32 v3, v5
	v_accvgpr_write_b32 a37, v3
	v_accvgpr_write_b32 a36, v2
	v_accvgpr_read_b32 v2, a16
	s_ashr_i32 s17, s16, 31
	v_accvgpr_read_b32 v3, a17
	s_lshl_b64 s[4:5], s[16:17], 2
	s_getpc_b64 s[6:7]
	s_add_u32 s6, s6, llvm.amdgcn.dynlds.offset.table@rel32@lo+4
	s_addc_u32 s7, s7, llvm.amdgcn.dynlds.offset.table@rel32@hi+12
	v_accvgpr_write_b32 a18, v20
	v_accvgpr_write_b32 a25, v19
	s_add_u32 s12, s4, s6
	v_accvgpr_write_b32 a20, v22
	v_accvgpr_write_b32 a19, v21
	;; [unrolled: 1-line block ×6, first 2 shown]
	s_addc_u32 s13, s5, s7
	v_lshlrev_b32_e32 v40, 5, v46
	v_accvgpr_write_b32 a31, v7
	s_mov_b64 s[20:21], 0
	s_movk_i32 s17, 0x7f
	s_movk_i32 s28, 0x80
	s_mov_b32 s29, 0x8000
	v_accvgpr_write_b32 a30, v6
	s_waitcnt vmcnt(0)
	v_cmp_neq_f32_e64 s[2:3], 0, v1
	v_sub_u32_e32 v1, 0, v8
	v_mul_lo_u32 v1, v1, v0
	v_mul_hi_u32 v1, v0, v1
	v_add_u32_e32 v0, v0, v1
	v_accvgpr_write_b32 a38, v0
	v_accvgpr_read_b32 v0, a8
	v_sub_u32_e32 v0, v7, v0
	v_add_u32_e32 v0, 1, v0
	v_accvgpr_write_b32 a39, v0
	v_lshlrev_b32_e32 v0, 2, v7
	v_lshl_or_b32 v0, v46, 7, v0
	v_accvgpr_write_b32 a40, v0
	v_accvgpr_read_b32 v0, a21
	v_and_b32_e32 v4, 60, v0
	v_accvgpr_read_b32 v0, a22
	v_accvgpr_read_b32 v1, a23
	v_lshl_add_u64 v[0:1], v[0:1], 2, v[4:5]
	v_lshl_add_u64 v[0:1], v[2:3], 0, v[0:1]
	v_accvgpr_write_b32 a43, v1
	v_accvgpr_write_b32 a42, v0
	v_mbcnt_hi_u32_b32 v0, -1, v6
	v_accvgpr_write_b32 a41, v0
	v_mov_b32_e32 v0, 0xff7fffff
	scratch_store_dword off, v0, s32 offset:108 ; 4-byte Folded Spill
	s_branch .LBB261_12
.LBB261_10:                             ;   in Loop: Header=BB261_12 Depth=1
	s_or_b64 exec, exec, s[22:23]
.LBB261_11:                             ;   in Loop: Header=BB261_12 Depth=1
	s_or_b64 exec, exec, s[6:7]
	v_accvgpr_read_b32 v0, a40
	v_add_u32_e32 v0, 0x100, v0
	v_add_u32_e32 v46, 2, v46
	v_accvgpr_write_b32 a40, v0
	v_accvgpr_read_b32 v0, a11
	v_cmp_ge_i32_e64 s[4:5], v46, v0
	s_waitcnt lgkmcnt(0)
	v_accvgpr_read_b32 v0, a42
	v_accvgpr_read_b32 v1, a43
	v_lshl_add_u64 v[0:1], v[0:1], 0, 8
	v_accvgpr_write_b32 a43, v1
	v_add_u32_e32 v40, 64, v40
	s_or_b64 s[20:21], s[4:5], s[20:21]
	v_accvgpr_write_b32 a42, v0
	s_andn2_b64 exec, exec, s[20:21]
	s_cbranch_execz .LBB261_401
.LBB261_12:                             ; =>This Inner Loop Header: Depth=1
	v_accvgpr_read_b32 v0, a7
	v_mul_hi_u32 v0, v40, v0
	v_accvgpr_read_b32 v3, a3
	v_mul_lo_u32 v1, v0, v3
	v_sub_u32_e32 v1, v40, v1
	v_add_u32_e32 v2, 1, v0
	v_cmp_ge_u32_e64 s[4:5], v1, v3
	v_accvgpr_read_b32 v4, a38
	s_nop 0
	v_cndmask_b32_e64 v0, v0, v2, s[4:5]
	v_sub_u32_e32 v2, v1, v3
	v_cndmask_b32_e64 v1, v1, v2, s[4:5]
	v_add_u32_e32 v2, 1, v0
	v_cmp_ge_u32_e64 s[4:5], v1, v3
	v_accvgpr_read_b32 v1, a9
	s_nop 0
	v_cndmask_b32_e64 v0, v0, v2, s[4:5]
	v_xor_b32_e32 v0, v0, v1
	v_sub_u32_e32 v0, v0, v1
	v_accvgpr_read_b32 v2, a10
	v_add_u32_e32 v1, v0, v2
	v_sub_u32_e32 v3, 0, v1
	v_ashrrev_i32_e32 v2, 31, v1
	v_max_i32_e32 v1, v1, v3
	v_mul_hi_u32 v3, v1, v4
	v_accvgpr_read_b32 v4, a32
	v_mul_lo_u32 v3, v3, v4
	v_sub_u32_e32 v1, v1, v3
	v_sub_u32_e32 v3, v1, v4
	v_cmp_ge_u32_e64 s[4:5], v1, v4
	s_nop 1
	v_cndmask_b32_e64 v1, v1, v3, s[4:5]
	v_sub_u32_e32 v3, v1, v4
	v_cmp_ge_u32_e64 s[4:5], v1, v4
	s_nop 1
	v_cndmask_b32_e64 v1, v1, v3, s[4:5]
	v_xor_b32_e32 v1, v1, v2
	v_sub_u32_e32 v1, v1, v2
	v_cmp_ne_u32_e64 s[4:5], 0, v1
	v_accvgpr_read_b32 v1, a13
	v_cmp_le_i32_e64 s[6:7], v0, v1
	s_and_b64 s[4:5], s[4:5], s[6:7]
	s_and_b64 s[22:23], vcc, s[4:5]
	s_and_saveexec_b64 s[6:7], s[22:23]
	s_cbranch_execz .LBB261_14
; %bb.13:                               ;   in Loop: Header=BB261_12 Depth=1
	s_load_dword s22, s[12:13], 0x0
	v_accvgpr_read_b32 v0, a40
	v_mov_b32_e32 v1, 0xff7fffff
	s_waitcnt lgkmcnt(0)
	v_add_u32_e32 v0, s22, v0
	ds_write_b32 v0, v1
.LBB261_14:                             ;   in Loop: Header=BB261_12 Depth=1
	s_or_b64 exec, exec, s[6:7]
	s_xor_b64 s[4:5], s[4:5], -1
	s_and_saveexec_b64 s[6:7], s[4:5]
	s_cbranch_execz .LBB261_11
; %bb.15:                               ;   in Loop: Header=BB261_12 Depth=1
	v_accvgpr_read_b32 v0, a42
	v_accvgpr_read_b32 v1, a43
	flat_load_dword v0, v[0:1]
	v_accvgpr_read_b32 v6, a34
	v_accvgpr_read_b32 v2, a6
	;; [unrolled: 1-line block ×3, first 2 shown]
                                        ; implicit-def: $sgpr26
	s_waitcnt vmcnt(0) lgkmcnt(0)
	v_mad_i64_i32 v[0:1], s[4:5], v0, v2, v[6:7]
	v_accvgpr_read_b32 v2, a36
	v_accvgpr_read_b32 v3, a37
	v_lshl_add_u64 v[34:35], v[0:1], 0, v[2:3]
	v_accvgpr_read_b32 v0, a28
	flat_load_dword v36, v[34:35]
	v_accvgpr_read_b32 v1, a29
	flat_load_dword v47, v[0:1]
	s_mov_b64 s[4:5], 0
	s_waitcnt vmcnt(0) lgkmcnt(0)
	v_cmp_gt_i16_sdwa s[22:23], v36, s17 src0_sel:BYTE_0 src1_sel:DWORD
	s_and_saveexec_b64 s[24:25], s[22:23]
	s_xor_b64 s[22:23], exec, s[24:25]
	s_cbranch_execnz .LBB261_209
; %bb.16:                               ;   in Loop: Header=BB261_12 Depth=1
	s_or_saveexec_b64 s[22:23], s[22:23]
	v_mov_b32_e32 v17, s26
	s_xor_b64 exec, exec, s[22:23]
	s_cbranch_execnz .LBB261_212
.LBB261_17:                             ;   in Loop: Header=BB261_12 Depth=1
	s_or_b64 exec, exec, s[22:23]
	s_and_saveexec_b64 s[22:23], s[4:5]
	s_cbranch_execz .LBB261_19
.LBB261_18:                             ;   in Loop: Header=BB261_12 Depth=1
	v_and_b32_e32 v2, 7, v36
	v_ffbh_u32_e32 v0, v2
	v_min_u32_e32 v4, 32, v0
	v_subrev_u32_e32 v0, 28, v4
	v_bfe_u32 v3, v36, 3, 4
	v_lshlrev_b64 v[0:1], v0, v[36:37]
	v_sub_u32_e32 v1, 29, v4
	v_cmp_eq_u32_e64 s[4:5], 0, v3
	v_and_b32_e32 v0, 7, v0
	s_nop 0
	v_cndmask_b32_e64 v1, v3, v1, s[4:5]
	v_mov_b32_e32 v3, 0x1c00
	v_cndmask_b32_e64 v0, v2, v0, s[4:5]
	v_lshlrev_b32_e32 v2, 8, v36
	v_lshl_add_u32 v1, v1, 10, v3
	v_and_or_b32 v1, v2, s29, v1
	v_lshl_or_b32 v0, v0, 7, v1
	v_cvt_f32_f16_e32 v17, v0
.LBB261_19:                             ;   in Loop: Header=BB261_12 Depth=1
	s_or_b64 exec, exec, s[22:23]
	v_lshrrev_b16_e32 v4, 8, v36
	v_cmp_lt_i16_e64 s[4:5], s17, v4
	s_mov_b64 s[22:23], 0
                                        ; implicit-def: $sgpr30
	s_and_saveexec_b64 s[24:25], s[4:5]
	s_xor_b64 s[24:25], exec, s[24:25]
	s_cbranch_execnz .LBB261_213
; %bb.20:                               ;   in Loop: Header=BB261_12 Depth=1
	s_or_saveexec_b64 s[24:25], s[24:25]
	v_mov_b32_e32 v19, s30
	s_xor_b64 exec, exec, s[24:25]
	s_cbranch_execnz .LBB261_216
.LBB261_21:                             ;   in Loop: Header=BB261_12 Depth=1
	s_or_b64 exec, exec, s[24:25]
	s_and_saveexec_b64 s[24:25], s[22:23]
	s_cbranch_execz .LBB261_23
.LBB261_22:                             ;   in Loop: Header=BB261_12 Depth=1
	v_and_b32_e32 v2, 7, v4
	v_ffbh_u32_e32 v0, v2
	v_min_u32_e32 v6, 32, v0
	v_subrev_u32_e32 v0, 28, v6
	v_bfe_u32 v3, v4, 3, 4
	v_lshlrev_b64 v[0:1], v0, v[4:5]
	v_sub_u32_e32 v1, 29, v6
	v_cmp_eq_u32_e64 s[4:5], 0, v3
	v_and_b32_e32 v0, 7, v0
	s_nop 0
	v_cndmask_b32_e64 v1, v3, v1, s[4:5]
	v_mov_b32_e32 v3, 0x1c00
	v_cndmask_b32_e64 v0, v2, v0, s[4:5]
	v_lshlrev_b32_e32 v2, 8, v4
	v_lshl_add_u32 v1, v1, 10, v3
	v_and_or_b32 v1, v2, s29, v1
	v_lshl_or_b32 v0, v0, 7, v1
	v_cvt_f32_f16_e32 v19, v0
.LBB261_23:                             ;   in Loop: Header=BB261_12 Depth=1
	s_or_b64 exec, exec, s[24:25]
	v_lshrrev_b32_e32 v4, 16, v36
	v_cmp_gt_i16_sdwa s[22:23], v4, s17 src0_sel:BYTE_0 src1_sel:DWORD
	s_mov_b64 s[4:5], 0
                                        ; implicit-def: $sgpr26
	s_and_saveexec_b64 s[24:25], s[22:23]
	s_xor_b64 s[22:23], exec, s[24:25]
	s_cbranch_execnz .LBB261_217
; %bb.24:                               ;   in Loop: Header=BB261_12 Depth=1
	s_or_saveexec_b64 s[22:23], s[22:23]
	v_mov_b32_e32 v30, s26
	s_xor_b64 exec, exec, s[22:23]
	s_cbranch_execnz .LBB261_220
.LBB261_25:                             ;   in Loop: Header=BB261_12 Depth=1
	s_or_b64 exec, exec, s[22:23]
	s_and_saveexec_b64 s[22:23], s[4:5]
	s_cbranch_execz .LBB261_27
.LBB261_26:                             ;   in Loop: Header=BB261_12 Depth=1
	v_bfe_u32 v2, v36, 16, 3
	v_ffbh_u32_e32 v0, v2
	v_min_u32_e32 v6, 32, v0
	v_subrev_u32_e32 v0, 28, v6
	v_bfe_u32 v3, v36, 19, 4
	v_lshlrev_b64 v[0:1], v0, v[4:5]
	v_sub_u32_e32 v1, 29, v6
	v_cmp_eq_u32_e64 s[4:5], 0, v3
	v_and_b32_e32 v0, 7, v0
	s_nop 0
	v_cndmask_b32_e64 v1, v3, v1, s[4:5]
	v_mov_b32_e32 v3, 0x1c00
	v_cndmask_b32_e64 v0, v2, v0, s[4:5]
	v_lshlrev_b32_e32 v2, 8, v4
	v_lshl_add_u32 v1, v1, 10, v3
	v_and_or_b32 v1, v2, s29, v1
	v_lshl_or_b32 v0, v0, 7, v1
	v_cvt_f32_f16_e32 v30, v0
.LBB261_27:                             ;   in Loop: Header=BB261_12 Depth=1
	s_or_b64 exec, exec, s[22:23]
	v_lshrrev_b32_e32 v4, 24, v36
	v_cmp_lt_i16_e64 s[4:5], s17, v4
	s_mov_b64 s[22:23], 0
                                        ; implicit-def: $sgpr30
	s_and_saveexec_b64 s[24:25], s[4:5]
	s_xor_b64 s[24:25], exec, s[24:25]
	s_cbranch_execnz .LBB261_221
; %bb.28:                               ;   in Loop: Header=BB261_12 Depth=1
	s_or_saveexec_b64 s[24:25], s[24:25]
	v_mov_b32_e32 v49, s30
	s_xor_b64 exec, exec, s[24:25]
	s_cbranch_execnz .LBB261_224
.LBB261_29:                             ;   in Loop: Header=BB261_12 Depth=1
	s_or_b64 exec, exec, s[24:25]
	s_and_saveexec_b64 s[24:25], s[22:23]
	s_cbranch_execz .LBB261_31
.LBB261_30:                             ;   in Loop: Header=BB261_12 Depth=1
	v_bfe_u32 v2, v36, 24, 3
	v_ffbh_u32_e32 v0, v2
	v_min_u32_e32 v6, 32, v0
	v_subrev_u32_e32 v0, 28, v6
	v_bfe_u32 v3, v36, 27, 4
	v_lshlrev_b64 v[0:1], v0, v[4:5]
	v_sub_u32_e32 v1, 29, v6
	v_cmp_eq_u32_e64 s[4:5], 0, v3
	v_and_b32_e32 v0, 7, v0
	s_nop 0
	v_cndmask_b32_e64 v1, v3, v1, s[4:5]
	v_mov_b32_e32 v3, 0x1c00
	v_cndmask_b32_e64 v0, v2, v0, s[4:5]
	v_lshlrev_b32_e32 v2, 8, v4
	v_lshl_add_u32 v1, v1, 10, v3
	v_and_or_b32 v1, v2, s29, v1
	v_lshl_or_b32 v0, v0, 7, v1
	v_cvt_f32_f16_e32 v49, v0
.LBB261_31:                             ;   in Loop: Header=BB261_12 Depth=1
	s_or_b64 exec, exec, s[24:25]
	flat_load_dword v36, v[34:35] offset:8
	s_mov_b64 s[4:5], 0
                                        ; implicit-def: $sgpr26
	s_waitcnt vmcnt(0) lgkmcnt(0)
	v_cmp_gt_i16_sdwa s[22:23], v36, s17 src0_sel:BYTE_0 src1_sel:DWORD
	s_and_saveexec_b64 s[24:25], s[22:23]
	s_xor_b64 s[22:23], exec, s[24:25]
	s_cbranch_execnz .LBB261_225
; %bb.32:                               ;   in Loop: Header=BB261_12 Depth=1
	s_or_saveexec_b64 s[22:23], s[22:23]
	v_mov_b32_e32 v53, s26
	s_xor_b64 exec, exec, s[22:23]
	s_cbranch_execnz .LBB261_228
.LBB261_33:                             ;   in Loop: Header=BB261_12 Depth=1
	s_or_b64 exec, exec, s[22:23]
	s_and_saveexec_b64 s[22:23], s[4:5]
	s_cbranch_execz .LBB261_35
.LBB261_34:                             ;   in Loop: Header=BB261_12 Depth=1
	v_and_b32_e32 v2, 7, v36
	v_ffbh_u32_e32 v0, v2
	v_min_u32_e32 v4, 32, v0
	v_subrev_u32_e32 v0, 28, v4
	v_bfe_u32 v3, v36, 3, 4
	v_lshlrev_b64 v[0:1], v0, v[36:37]
	v_sub_u32_e32 v1, 29, v4
	v_cmp_eq_u32_e64 s[4:5], 0, v3
	v_and_b32_e32 v0, 7, v0
	s_nop 0
	v_cndmask_b32_e64 v1, v3, v1, s[4:5]
	v_mov_b32_e32 v3, 0x1c00
	v_cndmask_b32_e64 v0, v2, v0, s[4:5]
	v_lshlrev_b32_e32 v2, 8, v36
	v_lshl_add_u32 v1, v1, 10, v3
	v_and_or_b32 v1, v2, s29, v1
	v_lshl_or_b32 v0, v0, 7, v1
	v_cvt_f32_f16_e32 v53, v0
.LBB261_35:                             ;   in Loop: Header=BB261_12 Depth=1
	s_or_b64 exec, exec, s[22:23]
	v_lshrrev_b16_e32 v4, 8, v36
	v_cmp_lt_i16_e64 s[4:5], s17, v4
	s_mov_b64 s[22:23], 0
                                        ; implicit-def: $sgpr30
	s_and_saveexec_b64 s[24:25], s[4:5]
	s_xor_b64 s[24:25], exec, s[24:25]
	s_cbranch_execnz .LBB261_229
; %bb.36:                               ;   in Loop: Header=BB261_12 Depth=1
	s_or_saveexec_b64 s[24:25], s[24:25]
	v_mov_b32_e32 v54, s30
	s_xor_b64 exec, exec, s[24:25]
	s_cbranch_execnz .LBB261_232
.LBB261_37:                             ;   in Loop: Header=BB261_12 Depth=1
	s_or_b64 exec, exec, s[24:25]
	s_and_saveexec_b64 s[24:25], s[22:23]
	s_cbranch_execz .LBB261_39
.LBB261_38:                             ;   in Loop: Header=BB261_12 Depth=1
	v_and_b32_e32 v2, 7, v4
	v_ffbh_u32_e32 v0, v2
	v_min_u32_e32 v6, 32, v0
	v_subrev_u32_e32 v0, 28, v6
	v_bfe_u32 v3, v4, 3, 4
	v_lshlrev_b64 v[0:1], v0, v[4:5]
	v_sub_u32_e32 v1, 29, v6
	v_cmp_eq_u32_e64 s[4:5], 0, v3
	v_and_b32_e32 v0, 7, v0
	s_nop 0
	v_cndmask_b32_e64 v1, v3, v1, s[4:5]
	v_mov_b32_e32 v3, 0x1c00
	v_cndmask_b32_e64 v0, v2, v0, s[4:5]
	v_lshlrev_b32_e32 v2, 8, v4
	v_lshl_add_u32 v1, v1, 10, v3
	v_and_or_b32 v1, v2, s29, v1
	v_lshl_or_b32 v0, v0, 7, v1
	v_cvt_f32_f16_e32 v54, v0
.LBB261_39:                             ;   in Loop: Header=BB261_12 Depth=1
	s_or_b64 exec, exec, s[24:25]
	v_lshrrev_b32_e32 v4, 16, v36
	v_cmp_gt_i16_sdwa s[22:23], v4, s17 src0_sel:BYTE_0 src1_sel:DWORD
	s_mov_b64 s[4:5], 0
                                        ; implicit-def: $sgpr26
	s_and_saveexec_b64 s[24:25], s[22:23]
	s_xor_b64 s[22:23], exec, s[24:25]
	s_cbranch_execnz .LBB261_233
; %bb.40:                               ;   in Loop: Header=BB261_12 Depth=1
	s_or_saveexec_b64 s[22:23], s[22:23]
	v_mov_b32_e32 v42, s26
	s_xor_b64 exec, exec, s[22:23]
	s_cbranch_execnz .LBB261_236
.LBB261_41:                             ;   in Loop: Header=BB261_12 Depth=1
	s_or_b64 exec, exec, s[22:23]
	s_and_saveexec_b64 s[22:23], s[4:5]
	s_cbranch_execz .LBB261_43
.LBB261_42:                             ;   in Loop: Header=BB261_12 Depth=1
	v_bfe_u32 v2, v36, 16, 3
	v_ffbh_u32_e32 v0, v2
	v_min_u32_e32 v6, 32, v0
	v_subrev_u32_e32 v0, 28, v6
	v_bfe_u32 v3, v36, 19, 4
	v_lshlrev_b64 v[0:1], v0, v[4:5]
	v_sub_u32_e32 v1, 29, v6
	v_cmp_eq_u32_e64 s[4:5], 0, v3
	v_and_b32_e32 v0, 7, v0
	s_nop 0
	v_cndmask_b32_e64 v1, v3, v1, s[4:5]
	v_mov_b32_e32 v3, 0x1c00
	v_cndmask_b32_e64 v0, v2, v0, s[4:5]
	v_lshlrev_b32_e32 v2, 8, v4
	v_lshl_add_u32 v1, v1, 10, v3
	v_and_or_b32 v1, v2, s29, v1
	v_lshl_or_b32 v0, v0, 7, v1
	v_cvt_f32_f16_e32 v42, v0
.LBB261_43:                             ;   in Loop: Header=BB261_12 Depth=1
	s_or_b64 exec, exec, s[22:23]
	v_lshrrev_b32_e32 v4, 24, v36
	v_cmp_lt_i16_e64 s[4:5], s17, v4
	s_mov_b64 s[22:23], 0
                                        ; implicit-def: $sgpr30
	s_and_saveexec_b64 s[24:25], s[4:5]
	s_xor_b64 s[24:25], exec, s[24:25]
	s_cbranch_execnz .LBB261_237
; %bb.44:                               ;   in Loop: Header=BB261_12 Depth=1
	s_or_saveexec_b64 s[24:25], s[24:25]
	v_mov_b32_e32 v44, s30
	s_xor_b64 exec, exec, s[24:25]
	s_cbranch_execnz .LBB261_240
.LBB261_45:                             ;   in Loop: Header=BB261_12 Depth=1
	s_or_b64 exec, exec, s[24:25]
	s_and_saveexec_b64 s[24:25], s[22:23]
	s_cbranch_execz .LBB261_47
.LBB261_46:                             ;   in Loop: Header=BB261_12 Depth=1
	v_bfe_u32 v2, v36, 24, 3
	v_ffbh_u32_e32 v0, v2
	v_min_u32_e32 v6, 32, v0
	v_subrev_u32_e32 v0, 28, v6
	v_bfe_u32 v3, v36, 27, 4
	v_lshlrev_b64 v[0:1], v0, v[4:5]
	v_sub_u32_e32 v1, 29, v6
	v_cmp_eq_u32_e64 s[4:5], 0, v3
	v_and_b32_e32 v0, 7, v0
	s_nop 0
	v_cndmask_b32_e64 v1, v3, v1, s[4:5]
	v_mov_b32_e32 v3, 0x1c00
	v_cndmask_b32_e64 v0, v2, v0, s[4:5]
	v_lshlrev_b32_e32 v2, 8, v4
	v_lshl_add_u32 v1, v1, 10, v3
	v_and_or_b32 v1, v2, s29, v1
	v_lshl_or_b32 v0, v0, 7, v1
	v_cvt_f32_f16_e32 v44, v0
.LBB261_47:                             ;   in Loop: Header=BB261_12 Depth=1
	s_or_b64 exec, exec, s[24:25]
	flat_load_dword v36, v[34:35] offset:512
	s_mov_b64 s[4:5], 0
                                        ; implicit-def: $sgpr26
	s_waitcnt vmcnt(0) lgkmcnt(0)
	v_cmp_gt_i16_sdwa s[22:23], v36, s17 src0_sel:BYTE_0 src1_sel:DWORD
	s_and_saveexec_b64 s[24:25], s[22:23]
	s_xor_b64 s[22:23], exec, s[24:25]
	s_cbranch_execnz .LBB261_241
; %bb.48:                               ;   in Loop: Header=BB261_12 Depth=1
	s_or_saveexec_b64 s[22:23], s[22:23]
	v_mov_b32_e32 v3, s26
	s_xor_b64 exec, exec, s[22:23]
	s_cbranch_execnz .LBB261_244
.LBB261_49:                             ;   in Loop: Header=BB261_12 Depth=1
	s_or_b64 exec, exec, s[22:23]
	s_and_saveexec_b64 s[22:23], s[4:5]
	s_cbranch_execz .LBB261_51
.LBB261_50:                             ;   in Loop: Header=BB261_12 Depth=1
	v_and_b32_e32 v2, 7, v36
	v_ffbh_u32_e32 v0, v2
	v_min_u32_e32 v4, 32, v0
	v_subrev_u32_e32 v0, 28, v4
	v_bfe_u32 v3, v36, 3, 4
	v_lshlrev_b64 v[0:1], v0, v[36:37]
	v_sub_u32_e32 v1, 29, v4
	v_cmp_eq_u32_e64 s[4:5], 0, v3
	v_and_b32_e32 v0, 7, v0
	s_nop 0
	v_cndmask_b32_e64 v1, v3, v1, s[4:5]
	v_mov_b32_e32 v3, 0x1c00
	v_cndmask_b32_e64 v0, v2, v0, s[4:5]
	v_lshlrev_b32_e32 v2, 8, v36
	v_lshl_add_u32 v1, v1, 10, v3
	v_and_or_b32 v1, v2, s29, v1
	v_lshl_or_b32 v0, v0, 7, v1
	v_cvt_f32_f16_e32 v3, v0
.LBB261_51:                             ;   in Loop: Header=BB261_12 Depth=1
	s_or_b64 exec, exec, s[22:23]
	v_lshrrev_b16_e32 v4, 8, v36
	v_cmp_lt_i16_e64 s[4:5], s17, v4
	s_mov_b64 s[22:23], 0
                                        ; implicit-def: $sgpr30
	s_and_saveexec_b64 s[24:25], s[4:5]
	s_xor_b64 s[24:25], exec, s[24:25]
	s_cbranch_execnz .LBB261_245
; %bb.52:                               ;   in Loop: Header=BB261_12 Depth=1
	s_or_saveexec_b64 s[24:25], s[24:25]
	v_mov_b32_e32 v33, s30
	s_xor_b64 exec, exec, s[24:25]
	s_cbranch_execnz .LBB261_248
.LBB261_53:                             ;   in Loop: Header=BB261_12 Depth=1
	s_or_b64 exec, exec, s[24:25]
	s_and_saveexec_b64 s[24:25], s[22:23]
	s_cbranch_execz .LBB261_55
.LBB261_54:                             ;   in Loop: Header=BB261_12 Depth=1
	v_and_b32_e32 v2, 7, v4
	v_ffbh_u32_e32 v0, v2
	v_min_u32_e32 v7, 32, v0
	v_subrev_u32_e32 v0, 28, v7
	v_bfe_u32 v6, v4, 3, 4
	v_lshlrev_b64 v[0:1], v0, v[4:5]
	v_sub_u32_e32 v1, 29, v7
	v_and_b32_e32 v0, 7, v0
	v_cmp_eq_u32_e64 s[4:5], 0, v6
	s_nop 1
	v_cndmask_b32_e64 v1, v6, v1, s[4:5]
	v_cndmask_b32_e64 v0, v2, v0, s[4:5]
	v_lshlrev_b32_e32 v2, 8, v4
	v_mov_b32_e32 v4, 0x1c00
	v_lshl_add_u32 v1, v1, 10, v4
	v_and_or_b32 v1, v2, s29, v1
	v_lshl_or_b32 v0, v0, 7, v1
	v_cvt_f32_f16_e32 v33, v0
.LBB261_55:                             ;   in Loop: Header=BB261_12 Depth=1
	s_or_b64 exec, exec, s[24:25]
	v_lshrrev_b32_e32 v4, 16, v36
	v_cmp_gt_i16_sdwa s[22:23], v4, s17 src0_sel:BYTE_0 src1_sel:DWORD
	s_mov_b64 s[4:5], 0
                                        ; implicit-def: $sgpr26
	s_and_saveexec_b64 s[24:25], s[22:23]
	s_xor_b64 s[22:23], exec, s[24:25]
	s_cbranch_execnz .LBB261_249
; %bb.56:                               ;   in Loop: Header=BB261_12 Depth=1
	s_or_saveexec_b64 s[22:23], s[22:23]
	v_mov_b32_e32 v28, s26
	s_xor_b64 exec, exec, s[22:23]
	s_cbranch_execnz .LBB261_252
.LBB261_57:                             ;   in Loop: Header=BB261_12 Depth=1
	s_or_b64 exec, exec, s[22:23]
	s_and_saveexec_b64 s[22:23], s[4:5]
	s_cbranch_execz .LBB261_59
.LBB261_58:                             ;   in Loop: Header=BB261_12 Depth=1
	v_bfe_u32 v2, v36, 16, 3
	v_ffbh_u32_e32 v0, v2
	v_min_u32_e32 v7, 32, v0
	v_subrev_u32_e32 v0, 28, v7
	v_bfe_u32 v6, v36, 19, 4
	v_lshlrev_b64 v[0:1], v0, v[4:5]
	v_sub_u32_e32 v1, 29, v7
	v_and_b32_e32 v0, 7, v0
	v_cmp_eq_u32_e64 s[4:5], 0, v6
	s_nop 1
	v_cndmask_b32_e64 v1, v6, v1, s[4:5]
	v_cndmask_b32_e64 v0, v2, v0, s[4:5]
	v_lshlrev_b32_e32 v2, 8, v4
	v_mov_b32_e32 v4, 0x1c00
	v_lshl_add_u32 v1, v1, 10, v4
	v_and_or_b32 v1, v2, s29, v1
	v_lshl_or_b32 v0, v0, 7, v1
	v_cvt_f32_f16_e32 v28, v0
.LBB261_59:                             ;   in Loop: Header=BB261_12 Depth=1
	s_or_b64 exec, exec, s[22:23]
	v_lshrrev_b32_e32 v4, 24, v36
	v_cmp_lt_i16_e64 s[4:5], s17, v4
	s_mov_b64 s[22:23], 0
                                        ; implicit-def: $sgpr30
	s_and_saveexec_b64 s[24:25], s[4:5]
	s_xor_b64 s[24:25], exec, s[24:25]
	s_cbranch_execnz .LBB261_253
; %bb.60:                               ;   in Loop: Header=BB261_12 Depth=1
	s_or_saveexec_b64 s[24:25], s[24:25]
	v_mov_b32_e32 v29, s30
	s_xor_b64 exec, exec, s[24:25]
	s_cbranch_execnz .LBB261_256
.LBB261_61:                             ;   in Loop: Header=BB261_12 Depth=1
	s_or_b64 exec, exec, s[24:25]
	s_and_saveexec_b64 s[24:25], s[22:23]
	s_cbranch_execz .LBB261_63
.LBB261_62:                             ;   in Loop: Header=BB261_12 Depth=1
	v_bfe_u32 v2, v36, 24, 3
	v_ffbh_u32_e32 v0, v2
	v_min_u32_e32 v7, 32, v0
	v_subrev_u32_e32 v0, 28, v7
	v_bfe_u32 v6, v36, 27, 4
	v_lshlrev_b64 v[0:1], v0, v[4:5]
	v_sub_u32_e32 v1, 29, v7
	v_and_b32_e32 v0, 7, v0
	v_cmp_eq_u32_e64 s[4:5], 0, v6
	s_nop 1
	v_cndmask_b32_e64 v1, v6, v1, s[4:5]
	v_cndmask_b32_e64 v0, v2, v0, s[4:5]
	v_lshlrev_b32_e32 v2, 8, v4
	v_mov_b32_e32 v4, 0x1c00
	v_lshl_add_u32 v1, v1, 10, v4
	v_and_or_b32 v1, v2, s29, v1
	v_lshl_or_b32 v0, v0, 7, v1
	v_cvt_f32_f16_e32 v29, v0
.LBB261_63:                             ;   in Loop: Header=BB261_12 Depth=1
	s_or_b64 exec, exec, s[24:25]
	flat_load_dword v36, v[34:35] offset:520
	s_mov_b64 s[4:5], 0
                                        ; implicit-def: $sgpr26
	s_waitcnt vmcnt(0) lgkmcnt(0)
	v_cmp_gt_i16_sdwa s[22:23], v36, s17 src0_sel:BYTE_0 src1_sel:DWORD
	s_and_saveexec_b64 s[24:25], s[22:23]
	s_xor_b64 s[22:23], exec, s[24:25]
	s_cbranch_execnz .LBB261_257
; %bb.64:                               ;   in Loop: Header=BB261_12 Depth=1
	s_or_saveexec_b64 s[22:23], s[22:23]
	v_mov_b32_e32 v0, s26
	s_xor_b64 exec, exec, s[22:23]
	s_cbranch_execnz .LBB261_260
.LBB261_65:                             ;   in Loop: Header=BB261_12 Depth=1
	s_or_b64 exec, exec, s[22:23]
	s_and_saveexec_b64 s[22:23], s[4:5]
	s_cbranch_execz .LBB261_67
.LBB261_66:                             ;   in Loop: Header=BB261_12 Depth=1
	v_and_b32_e32 v2, 7, v36
	v_ffbh_u32_e32 v0, v2
	v_min_u32_e32 v6, 32, v0
	v_subrev_u32_e32 v0, 28, v6
	v_bfe_u32 v4, v36, 3, 4
	v_lshlrev_b64 v[0:1], v0, v[36:37]
	v_sub_u32_e32 v1, 29, v6
	v_cmp_eq_u32_e64 s[4:5], 0, v4
	v_and_b32_e32 v0, 7, v0
	s_nop 0
	v_cndmask_b32_e64 v1, v4, v1, s[4:5]
	v_mov_b32_e32 v4, 0x1c00
	v_cndmask_b32_e64 v0, v2, v0, s[4:5]
	v_lshlrev_b32_e32 v2, 8, v36
	v_lshl_add_u32 v1, v1, 10, v4
	v_and_or_b32 v1, v2, s29, v1
	v_lshl_or_b32 v0, v0, 7, v1
	v_cvt_f32_f16_e32 v0, v0
.LBB261_67:                             ;   in Loop: Header=BB261_12 Depth=1
	s_or_b64 exec, exec, s[22:23]
	v_lshrrev_b16_e32 v4, 8, v36
	v_cmp_lt_i16_e64 s[4:5], s17, v4
	s_mov_b64 s[22:23], 0
                                        ; implicit-def: $sgpr30
	s_and_saveexec_b64 s[24:25], s[4:5]
	s_xor_b64 s[24:25], exec, s[24:25]
	s_cbranch_execnz .LBB261_261
; %bb.68:                               ;   in Loop: Header=BB261_12 Depth=1
	s_or_saveexec_b64 s[24:25], s[24:25]
	v_mov_b32_e32 v1, s30
	s_xor_b64 exec, exec, s[24:25]
	s_cbranch_execnz .LBB261_264
.LBB261_69:                             ;   in Loop: Header=BB261_12 Depth=1
	s_or_b64 exec, exec, s[24:25]
	s_and_saveexec_b64 s[24:25], s[22:23]
	s_cbranch_execz .LBB261_71
.LBB261_70:                             ;   in Loop: Header=BB261_12 Depth=1
	v_and_b32_e32 v1, 7, v4
	v_ffbh_u32_e32 v6, v1
	v_min_u32_e32 v8, 32, v6
	v_subrev_u32_e32 v6, 28, v8
	v_bfe_u32 v2, v4, 3, 4
	v_lshlrev_b64 v[6:7], v6, v[4:5]
	v_sub_u32_e32 v7, 29, v8
	v_and_b32_e32 v6, 7, v6
	v_cmp_eq_u32_e64 s[4:5], 0, v2
	v_lshlrev_b32_e32 v4, 8, v4
	s_nop 0
	v_cndmask_b32_e64 v2, v2, v7, s[4:5]
	v_cndmask_b32_e64 v1, v1, v6, s[4:5]
	v_mov_b32_e32 v6, 0x1c00
	v_lshl_add_u32 v2, v2, 10, v6
	v_and_or_b32 v2, v4, s29, v2
	v_lshl_or_b32 v1, v1, 7, v2
	v_cvt_f32_f16_e32 v1, v1
.LBB261_71:                             ;   in Loop: Header=BB261_12 Depth=1
	s_or_b64 exec, exec, s[24:25]
	v_lshrrev_b32_e32 v4, 16, v36
	v_cmp_gt_i16_sdwa s[22:23], v4, s17 src0_sel:BYTE_0 src1_sel:DWORD
	s_mov_b64 s[4:5], 0
                                        ; implicit-def: $sgpr26
	s_and_saveexec_b64 s[24:25], s[22:23]
	s_xor_b64 s[22:23], exec, s[24:25]
	s_cbranch_execnz .LBB261_265
; %bb.72:                               ;   in Loop: Header=BB261_12 Depth=1
	s_or_saveexec_b64 s[22:23], s[22:23]
	v_mov_b32_e32 v41, s26
	s_xor_b64 exec, exec, s[22:23]
	s_cbranch_execnz .LBB261_268
.LBB261_73:                             ;   in Loop: Header=BB261_12 Depth=1
	s_or_b64 exec, exec, s[22:23]
	s_and_saveexec_b64 s[22:23], s[4:5]
	s_cbranch_execz .LBB261_75
.LBB261_74:                             ;   in Loop: Header=BB261_12 Depth=1
	v_bfe_u32 v2, v36, 16, 3
	v_ffbh_u32_e32 v6, v2
	v_min_u32_e32 v9, 32, v6
	v_subrev_u32_e32 v6, 28, v9
	v_bfe_u32 v8, v36, 19, 4
	v_lshlrev_b64 v[6:7], v6, v[4:5]
	v_sub_u32_e32 v7, 29, v9
	v_and_b32_e32 v6, 7, v6
	v_cmp_eq_u32_e64 s[4:5], 0, v8
	v_lshlrev_b32_e32 v4, 8, v4
	s_nop 0
	v_cndmask_b32_e64 v7, v8, v7, s[4:5]
	v_cndmask_b32_e64 v2, v2, v6, s[4:5]
	v_mov_b32_e32 v6, 0x1c00
	v_lshl_add_u32 v6, v7, 10, v6
	v_and_or_b32 v4, v4, s29, v6
	v_lshl_or_b32 v2, v2, 7, v4
	v_cvt_f32_f16_e32 v41, v2
.LBB261_75:                             ;   in Loop: Header=BB261_12 Depth=1
	s_or_b64 exec, exec, s[22:23]
	v_lshrrev_b32_e32 v4, 24, v36
	v_cmp_lt_i16_e64 s[4:5], s17, v4
	s_mov_b64 s[22:23], 0
                                        ; implicit-def: $sgpr30
	s_and_saveexec_b64 s[24:25], s[4:5]
	s_xor_b64 s[24:25], exec, s[24:25]
	s_cbranch_execnz .LBB261_269
; %bb.76:                               ;   in Loop: Header=BB261_12 Depth=1
	s_or_saveexec_b64 s[24:25], s[24:25]
	v_mov_b32_e32 v52, s30
	s_xor_b64 exec, exec, s[24:25]
	s_cbranch_execnz .LBB261_272
.LBB261_77:                             ;   in Loop: Header=BB261_12 Depth=1
	s_or_b64 exec, exec, s[24:25]
	s_and_saveexec_b64 s[24:25], s[22:23]
	s_cbranch_execz .LBB261_79
.LBB261_78:                             ;   in Loop: Header=BB261_12 Depth=1
	v_bfe_u32 v2, v36, 24, 3
	v_ffbh_u32_e32 v6, v2
	v_min_u32_e32 v9, 32, v6
	v_subrev_u32_e32 v6, 28, v9
	v_bfe_u32 v8, v36, 27, 4
	v_lshlrev_b64 v[6:7], v6, v[4:5]
	v_sub_u32_e32 v7, 29, v9
	v_and_b32_e32 v6, 7, v6
	v_cmp_eq_u32_e64 s[4:5], 0, v8
	v_lshlrev_b32_e32 v4, 8, v4
	s_nop 0
	v_cndmask_b32_e64 v7, v8, v7, s[4:5]
	v_cndmask_b32_e64 v2, v2, v6, s[4:5]
	v_mov_b32_e32 v6, 0x1c00
	v_lshl_add_u32 v6, v7, 10, v6
	v_and_or_b32 v4, v4, s29, v6
	v_lshl_or_b32 v2, v2, 7, v4
	v_cvt_f32_f16_e32 v52, v2
.LBB261_79:                             ;   in Loop: Header=BB261_12 Depth=1
	s_or_b64 exec, exec, s[24:25]
	flat_load_dword v36, v[34:35] offset:1024
	s_mov_b64 s[4:5], 0
                                        ; implicit-def: $sgpr26
	s_waitcnt vmcnt(0) lgkmcnt(0)
	v_cmp_gt_i16_sdwa s[22:23], v36, s17 src0_sel:BYTE_0 src1_sel:DWORD
	s_and_saveexec_b64 s[24:25], s[22:23]
	s_xor_b64 s[22:23], exec, s[24:25]
	s_cbranch_execnz .LBB261_273
; %bb.80:                               ;   in Loop: Header=BB261_12 Depth=1
	s_or_saveexec_b64 s[22:23], s[22:23]
	v_mov_b32_e32 v26, s26
	s_xor_b64 exec, exec, s[22:23]
	s_cbranch_execnz .LBB261_276
.LBB261_81:                             ;   in Loop: Header=BB261_12 Depth=1
	s_or_b64 exec, exec, s[22:23]
	s_and_saveexec_b64 s[22:23], s[4:5]
	s_cbranch_execz .LBB261_83
.LBB261_82:                             ;   in Loop: Header=BB261_12 Depth=1
	v_and_b32_e32 v2, 7, v36
	v_ffbh_u32_e32 v6, v2
	v_min_u32_e32 v8, 32, v6
	v_subrev_u32_e32 v6, 28, v8
	v_bfe_u32 v4, v36, 3, 4
	v_lshlrev_b64 v[6:7], v6, v[36:37]
	v_sub_u32_e32 v7, 29, v8
	v_cmp_eq_u32_e64 s[4:5], 0, v4
	v_and_b32_e32 v6, 7, v6
	s_nop 0
	v_cndmask_b32_e64 v4, v4, v7, s[4:5]
	v_mov_b32_e32 v7, 0x1c00
	v_cndmask_b32_e64 v2, v2, v6, s[4:5]
	v_lshlrev_b32_e32 v6, 8, v36
	v_lshl_add_u32 v4, v4, 10, v7
	v_and_or_b32 v4, v6, s29, v4
	v_lshl_or_b32 v2, v2, 7, v4
	v_cvt_f32_f16_e32 v26, v2
.LBB261_83:                             ;   in Loop: Header=BB261_12 Depth=1
	s_or_b64 exec, exec, s[22:23]
	v_lshrrev_b16_e32 v4, 8, v36
	v_cmp_lt_i16_e64 s[4:5], s17, v4
	s_mov_b64 s[22:23], 0
                                        ; implicit-def: $sgpr30
	s_and_saveexec_b64 s[24:25], s[4:5]
	s_xor_b64 s[24:25], exec, s[24:25]
	s_cbranch_execnz .LBB261_277
; %bb.84:                               ;   in Loop: Header=BB261_12 Depth=1
	s_or_saveexec_b64 s[24:25], s[24:25]
	v_mov_b32_e32 v32, s30
	s_xor_b64 exec, exec, s[24:25]
	s_cbranch_execnz .LBB261_280
.LBB261_85:                             ;   in Loop: Header=BB261_12 Depth=1
	s_or_b64 exec, exec, s[24:25]
	s_and_saveexec_b64 s[24:25], s[22:23]
	s_cbranch_execz .LBB261_87
.LBB261_86:                             ;   in Loop: Header=BB261_12 Depth=1
	v_and_b32_e32 v2, 7, v4
	v_ffbh_u32_e32 v6, v2
	v_min_u32_e32 v9, 32, v6
	v_subrev_u32_e32 v6, 28, v9
	v_bfe_u32 v8, v4, 3, 4
	v_lshlrev_b64 v[6:7], v6, v[4:5]
	v_sub_u32_e32 v7, 29, v9
	v_and_b32_e32 v6, 7, v6
	v_cmp_eq_u32_e64 s[4:5], 0, v8
	v_lshlrev_b32_e32 v4, 8, v4
	s_nop 0
	v_cndmask_b32_e64 v7, v8, v7, s[4:5]
	v_cndmask_b32_e64 v2, v2, v6, s[4:5]
	v_mov_b32_e32 v6, 0x1c00
	v_lshl_add_u32 v6, v7, 10, v6
	v_and_or_b32 v4, v4, s29, v6
	v_lshl_or_b32 v2, v2, 7, v4
	v_cvt_f32_f16_e32 v32, v2
.LBB261_87:                             ;   in Loop: Header=BB261_12 Depth=1
	s_or_b64 exec, exec, s[24:25]
	v_lshrrev_b32_e32 v4, 16, v36
	v_cmp_gt_i16_sdwa s[22:23], v4, s17 src0_sel:BYTE_0 src1_sel:DWORD
	s_mov_b64 s[4:5], 0
                                        ; implicit-def: $sgpr26
	s_and_saveexec_b64 s[24:25], s[22:23]
	s_xor_b64 s[22:23], exec, s[24:25]
	s_cbranch_execnz .LBB261_281
; %bb.88:                               ;   in Loop: Header=BB261_12 Depth=1
	s_or_saveexec_b64 s[22:23], s[22:23]
	v_mov_b32_e32 v31, s26
	s_xor_b64 exec, exec, s[22:23]
	s_cbranch_execnz .LBB261_284
.LBB261_89:                             ;   in Loop: Header=BB261_12 Depth=1
	s_or_b64 exec, exec, s[22:23]
	s_and_saveexec_b64 s[22:23], s[4:5]
	s_cbranch_execz .LBB261_91
.LBB261_90:                             ;   in Loop: Header=BB261_12 Depth=1
	v_bfe_u32 v2, v36, 16, 3
	v_ffbh_u32_e32 v6, v2
	v_min_u32_e32 v9, 32, v6
	v_subrev_u32_e32 v6, 28, v9
	v_bfe_u32 v8, v36, 19, 4
	v_lshlrev_b64 v[6:7], v6, v[4:5]
	v_sub_u32_e32 v7, 29, v9
	v_and_b32_e32 v6, 7, v6
	v_cmp_eq_u32_e64 s[4:5], 0, v8
	v_lshlrev_b32_e32 v4, 8, v4
	s_nop 0
	v_cndmask_b32_e64 v7, v8, v7, s[4:5]
	v_cndmask_b32_e64 v2, v2, v6, s[4:5]
	v_mov_b32_e32 v6, 0x1c00
	v_lshl_add_u32 v6, v7, 10, v6
	v_and_or_b32 v4, v4, s29, v6
	v_lshl_or_b32 v2, v2, 7, v4
	v_cvt_f32_f16_e32 v31, v2
.LBB261_91:                             ;   in Loop: Header=BB261_12 Depth=1
	s_or_b64 exec, exec, s[22:23]
	v_lshrrev_b32_e32 v4, 24, v36
	v_cmp_lt_i16_e64 s[4:5], s17, v4
	s_mov_b64 s[22:23], 0
                                        ; implicit-def: $sgpr30
	s_and_saveexec_b64 s[24:25], s[4:5]
	s_xor_b64 s[24:25], exec, s[24:25]
	s_cbranch_execnz .LBB261_285
; %bb.92:                               ;   in Loop: Header=BB261_12 Depth=1
	s_or_saveexec_b64 s[24:25], s[24:25]
	v_mov_b32_e32 v24, s30
	s_xor_b64 exec, exec, s[24:25]
	s_cbranch_execnz .LBB261_288
.LBB261_93:                             ;   in Loop: Header=BB261_12 Depth=1
	s_or_b64 exec, exec, s[24:25]
	s_and_saveexec_b64 s[24:25], s[22:23]
	s_cbranch_execz .LBB261_95
.LBB261_94:                             ;   in Loop: Header=BB261_12 Depth=1
	v_bfe_u32 v2, v36, 24, 3
	v_ffbh_u32_e32 v6, v2
	v_min_u32_e32 v9, 32, v6
	v_subrev_u32_e32 v6, 28, v9
	v_bfe_u32 v8, v36, 27, 4
	v_lshlrev_b64 v[6:7], v6, v[4:5]
	v_sub_u32_e32 v7, 29, v9
	v_and_b32_e32 v6, 7, v6
	v_cmp_eq_u32_e64 s[4:5], 0, v8
	v_lshlrev_b32_e32 v4, 8, v4
	s_nop 0
	v_cndmask_b32_e64 v7, v8, v7, s[4:5]
	v_cndmask_b32_e64 v2, v2, v6, s[4:5]
	v_mov_b32_e32 v6, 0x1c00
	v_lshl_add_u32 v6, v7, 10, v6
	v_and_or_b32 v4, v4, s29, v6
	v_lshl_or_b32 v2, v2, 7, v4
	v_cvt_f32_f16_e32 v24, v2
.LBB261_95:                             ;   in Loop: Header=BB261_12 Depth=1
	s_or_b64 exec, exec, s[24:25]
	flat_load_dword v36, v[34:35] offset:1032
	s_mov_b64 s[4:5], 0
                                        ; implicit-def: $sgpr26
	s_waitcnt vmcnt(0) lgkmcnt(0)
	v_cmp_gt_i16_sdwa s[22:23], v36, s17 src0_sel:BYTE_0 src1_sel:DWORD
	s_and_saveexec_b64 s[24:25], s[22:23]
	s_xor_b64 s[22:23], exec, s[24:25]
	s_cbranch_execnz .LBB261_289
; %bb.96:                               ;   in Loop: Header=BB261_12 Depth=1
	s_or_saveexec_b64 s[22:23], s[22:23]
	v_mov_b32_e32 v25, s26
	s_xor_b64 exec, exec, s[22:23]
	s_cbranch_execnz .LBB261_292
.LBB261_97:                             ;   in Loop: Header=BB261_12 Depth=1
	s_or_b64 exec, exec, s[22:23]
	s_and_saveexec_b64 s[22:23], s[4:5]
	s_cbranch_execz .LBB261_99
.LBB261_98:                             ;   in Loop: Header=BB261_12 Depth=1
	v_and_b32_e32 v2, 7, v36
	v_ffbh_u32_e32 v6, v2
	v_min_u32_e32 v8, 32, v6
	v_subrev_u32_e32 v6, 28, v8
	v_bfe_u32 v4, v36, 3, 4
	v_lshlrev_b64 v[6:7], v6, v[36:37]
	v_sub_u32_e32 v7, 29, v8
	v_cmp_eq_u32_e64 s[4:5], 0, v4
	v_and_b32_e32 v6, 7, v6
	s_nop 0
	v_cndmask_b32_e64 v4, v4, v7, s[4:5]
	v_mov_b32_e32 v7, 0x1c00
	v_cndmask_b32_e64 v2, v2, v6, s[4:5]
	v_lshlrev_b32_e32 v6, 8, v36
	v_lshl_add_u32 v4, v4, 10, v7
	v_and_or_b32 v4, v6, s29, v4
	v_lshl_or_b32 v2, v2, 7, v4
	v_cvt_f32_f16_e32 v25, v2
.LBB261_99:                             ;   in Loop: Header=BB261_12 Depth=1
	s_or_b64 exec, exec, s[22:23]
	v_lshrrev_b16_e32 v4, 8, v36
	v_cmp_lt_i16_e64 s[4:5], s17, v4
	s_mov_b64 s[22:23], 0
                                        ; implicit-def: $sgpr30
	s_and_saveexec_b64 s[24:25], s[4:5]
	s_xor_b64 s[24:25], exec, s[24:25]
	s_cbranch_execnz .LBB261_293
; %bb.100:                              ;   in Loop: Header=BB261_12 Depth=1
	s_or_saveexec_b64 s[24:25], s[24:25]
	v_mov_b32_e32 v6, s30
	s_xor_b64 exec, exec, s[24:25]
	s_cbranch_execnz .LBB261_296
.LBB261_101:                            ;   in Loop: Header=BB261_12 Depth=1
	s_or_b64 exec, exec, s[24:25]
	s_and_saveexec_b64 s[24:25], s[22:23]
	s_cbranch_execz .LBB261_103
.LBB261_102:                            ;   in Loop: Header=BB261_12 Depth=1
	v_and_b32_e32 v2, 7, v4
	v_ffbh_u32_e32 v6, v2
	v_min_u32_e32 v9, 32, v6
	v_subrev_u32_e32 v6, 28, v9
	v_bfe_u32 v8, v4, 3, 4
	v_lshlrev_b64 v[6:7], v6, v[4:5]
	v_sub_u32_e32 v7, 29, v9
	v_and_b32_e32 v6, 7, v6
	v_cmp_eq_u32_e64 s[4:5], 0, v8
	v_lshlrev_b32_e32 v4, 8, v4
	s_nop 0
	v_cndmask_b32_e64 v7, v8, v7, s[4:5]
	v_cndmask_b32_e64 v2, v2, v6, s[4:5]
	v_mov_b32_e32 v6, 0x1c00
	v_lshl_add_u32 v6, v7, 10, v6
	v_and_or_b32 v4, v4, s29, v6
	v_lshl_or_b32 v2, v2, 7, v4
	v_cvt_f32_f16_e32 v6, v2
.LBB261_103:                            ;   in Loop: Header=BB261_12 Depth=1
	s_or_b64 exec, exec, s[24:25]
	v_lshrrev_b32_e32 v4, 16, v36
	v_cmp_gt_i16_sdwa s[22:23], v4, s17 src0_sel:BYTE_0 src1_sel:DWORD
	s_mov_b64 s[4:5], 0
                                        ; implicit-def: $sgpr26
	s_and_saveexec_b64 s[24:25], s[22:23]
	s_xor_b64 s[22:23], exec, s[24:25]
	s_cbranch_execnz .LBB261_297
; %bb.104:                              ;   in Loop: Header=BB261_12 Depth=1
	s_or_saveexec_b64 s[22:23], s[22:23]
	v_mov_b32_e32 v7, s26
	s_xor_b64 exec, exec, s[22:23]
	s_cbranch_execnz .LBB261_300
.LBB261_105:                            ;   in Loop: Header=BB261_12 Depth=1
	s_or_b64 exec, exec, s[22:23]
	s_and_saveexec_b64 s[22:23], s[4:5]
	s_cbranch_execz .LBB261_107
.LBB261_106:                            ;   in Loop: Header=BB261_12 Depth=1
	v_bfe_u32 v2, v36, 16, 3
	v_ffbh_u32_e32 v8, v2
	v_min_u32_e32 v10, 32, v8
	v_subrev_u32_e32 v8, 28, v10
	v_bfe_u32 v7, v36, 19, 4
	v_lshlrev_b64 v[8:9], v8, v[4:5]
	v_sub_u32_e32 v9, 29, v10
	v_and_b32_e32 v8, 7, v8
	v_cmp_eq_u32_e64 s[4:5], 0, v7
	v_lshlrev_b32_e32 v4, 8, v4
	s_nop 0
	v_cndmask_b32_e64 v7, v7, v9, s[4:5]
	v_cndmask_b32_e64 v2, v2, v8, s[4:5]
	v_mov_b32_e32 v8, 0x1c00
	v_lshl_add_u32 v7, v7, 10, v8
	v_and_or_b32 v4, v4, s29, v7
	v_lshl_or_b32 v2, v2, 7, v4
	v_cvt_f32_f16_e32 v7, v2
.LBB261_107:                            ;   in Loop: Header=BB261_12 Depth=1
	s_or_b64 exec, exec, s[22:23]
	v_lshrrev_b32_e32 v4, 24, v36
	v_cmp_lt_i16_e64 s[4:5], s17, v4
	s_mov_b64 s[22:23], 0
                                        ; implicit-def: $sgpr30
	s_and_saveexec_b64 s[24:25], s[4:5]
	s_xor_b64 s[24:25], exec, s[24:25]
	s_cbranch_execnz .LBB261_301
; %bb.108:                              ;   in Loop: Header=BB261_12 Depth=1
	s_or_saveexec_b64 s[24:25], s[24:25]
	v_mov_b32_e32 v10, s30
	s_xor_b64 exec, exec, s[24:25]
	s_cbranch_execnz .LBB261_304
.LBB261_109:                            ;   in Loop: Header=BB261_12 Depth=1
	s_or_b64 exec, exec, s[24:25]
	s_and_saveexec_b64 s[24:25], s[22:23]
	s_cbranch_execz .LBB261_111
.LBB261_110:                            ;   in Loop: Header=BB261_12 Depth=1
	v_bfe_u32 v2, v36, 24, 3
	v_ffbh_u32_e32 v8, v2
	v_min_u32_e32 v11, 32, v8
	v_subrev_u32_e32 v8, 28, v11
	v_bfe_u32 v10, v36, 27, 4
	v_lshlrev_b64 v[8:9], v8, v[4:5]
	v_sub_u32_e32 v9, 29, v11
	v_and_b32_e32 v8, 7, v8
	v_cmp_eq_u32_e64 s[4:5], 0, v10
	v_lshlrev_b32_e32 v4, 8, v4
	s_nop 0
	v_cndmask_b32_e64 v9, v10, v9, s[4:5]
	v_cndmask_b32_e64 v2, v2, v8, s[4:5]
	v_mov_b32_e32 v8, 0x1c00
	v_lshl_add_u32 v8, v9, 10, v8
	v_and_or_b32 v4, v4, s29, v8
	v_lshl_or_b32 v2, v2, 7, v4
	v_cvt_f32_f16_e32 v10, v2
.LBB261_111:                            ;   in Loop: Header=BB261_12 Depth=1
	s_or_b64 exec, exec, s[24:25]
	flat_load_dword v36, v[34:35] offset:1536
	s_mov_b64 s[4:5], 0
                                        ; implicit-def: $sgpr26
	s_waitcnt vmcnt(0) lgkmcnt(0)
	v_cmp_gt_i16_sdwa s[22:23], v36, s17 src0_sel:BYTE_0 src1_sel:DWORD
	s_and_saveexec_b64 s[24:25], s[22:23]
	s_xor_b64 s[22:23], exec, s[24:25]
	s_cbranch_execnz .LBB261_305
; %bb.112:                              ;   in Loop: Header=BB261_12 Depth=1
	s_or_saveexec_b64 s[22:23], s[22:23]
	v_mov_b32_e32 v11, s26
	s_xor_b64 exec, exec, s[22:23]
	s_cbranch_execnz .LBB261_308
.LBB261_113:                            ;   in Loop: Header=BB261_12 Depth=1
	s_or_b64 exec, exec, s[22:23]
	s_and_saveexec_b64 s[22:23], s[4:5]
	s_cbranch_execz .LBB261_115
.LBB261_114:                            ;   in Loop: Header=BB261_12 Depth=1
	v_and_b32_e32 v2, 7, v36
	v_ffbh_u32_e32 v8, v2
	v_min_u32_e32 v11, 32, v8
	v_subrev_u32_e32 v8, 28, v11
	v_bfe_u32 v4, v36, 3, 4
	v_lshlrev_b64 v[8:9], v8, v[36:37]
	v_sub_u32_e32 v9, 29, v11
	v_cmp_eq_u32_e64 s[4:5], 0, v4
	v_and_b32_e32 v8, 7, v8
	s_nop 0
	v_cndmask_b32_e64 v4, v4, v9, s[4:5]
	v_mov_b32_e32 v9, 0x1c00
	v_cndmask_b32_e64 v2, v2, v8, s[4:5]
	v_lshlrev_b32_e32 v8, 8, v36
	v_lshl_add_u32 v4, v4, 10, v9
	v_and_or_b32 v4, v8, s29, v4
	v_lshl_or_b32 v2, v2, 7, v4
	v_cvt_f32_f16_e32 v11, v2
.LBB261_115:                            ;   in Loop: Header=BB261_12 Depth=1
	s_or_b64 exec, exec, s[22:23]
	v_lshrrev_b16_e32 v4, 8, v36
	v_cmp_lt_i16_e64 s[4:5], s17, v4
	s_mov_b64 s[22:23], 0
                                        ; implicit-def: $sgpr30
	s_and_saveexec_b64 s[24:25], s[4:5]
	s_xor_b64 s[24:25], exec, s[24:25]
	s_cbranch_execnz .LBB261_309
; %bb.116:                              ;   in Loop: Header=BB261_12 Depth=1
	s_or_saveexec_b64 s[24:25], s[24:25]
	v_mov_b32_e32 v43, s30
	s_xor_b64 exec, exec, s[24:25]
	s_cbranch_execnz .LBB261_312
.LBB261_117:                            ;   in Loop: Header=BB261_12 Depth=1
	s_or_b64 exec, exec, s[24:25]
	s_and_saveexec_b64 s[24:25], s[22:23]
	s_cbranch_execz .LBB261_119
.LBB261_118:                            ;   in Loop: Header=BB261_12 Depth=1
	v_and_b32_e32 v2, 7, v4
	v_ffbh_u32_e32 v8, v2
	v_min_u32_e32 v13, 32, v8
	v_subrev_u32_e32 v8, 28, v13
	v_bfe_u32 v12, v4, 3, 4
	v_lshlrev_b64 v[8:9], v8, v[4:5]
	v_sub_u32_e32 v9, 29, v13
	v_and_b32_e32 v8, 7, v8
	v_cmp_eq_u32_e64 s[4:5], 0, v12
	v_lshlrev_b32_e32 v4, 8, v4
	s_nop 0
	v_cndmask_b32_e64 v9, v12, v9, s[4:5]
	v_cndmask_b32_e64 v2, v2, v8, s[4:5]
	v_mov_b32_e32 v8, 0x1c00
	v_lshl_add_u32 v8, v9, 10, v8
	v_and_or_b32 v4, v4, s29, v8
	v_lshl_or_b32 v2, v2, 7, v4
	v_cvt_f32_f16_e32 v43, v2
.LBB261_119:                            ;   in Loop: Header=BB261_12 Depth=1
	s_or_b64 exec, exec, s[24:25]
	v_lshrrev_b32_e32 v4, 16, v36
	v_cmp_gt_i16_sdwa s[22:23], v4, s17 src0_sel:BYTE_0 src1_sel:DWORD
	s_mov_b64 s[4:5], 0
                                        ; implicit-def: $sgpr26
	s_and_saveexec_b64 s[24:25], s[22:23]
	s_xor_b64 s[22:23], exec, s[24:25]
	s_cbranch_execnz .LBB261_313
; %bb.120:                              ;   in Loop: Header=BB261_12 Depth=1
	s_or_saveexec_b64 s[22:23], s[22:23]
	v_mov_b32_e32 v51, s26
	s_xor_b64 exec, exec, s[22:23]
	s_cbranch_execnz .LBB261_316
.LBB261_121:                            ;   in Loop: Header=BB261_12 Depth=1
	s_or_b64 exec, exec, s[22:23]
	s_and_saveexec_b64 s[22:23], s[4:5]
	s_cbranch_execz .LBB261_123
.LBB261_122:                            ;   in Loop: Header=BB261_12 Depth=1
	v_bfe_u32 v2, v36, 16, 3
	v_ffbh_u32_e32 v8, v2
	v_min_u32_e32 v13, 32, v8
	v_subrev_u32_e32 v8, 28, v13
	v_bfe_u32 v12, v36, 19, 4
	v_lshlrev_b64 v[8:9], v8, v[4:5]
	v_sub_u32_e32 v9, 29, v13
	v_and_b32_e32 v8, 7, v8
	v_cmp_eq_u32_e64 s[4:5], 0, v12
	v_lshlrev_b32_e32 v4, 8, v4
	s_nop 0
	v_cndmask_b32_e64 v9, v12, v9, s[4:5]
	v_cndmask_b32_e64 v2, v2, v8, s[4:5]
	v_mov_b32_e32 v8, 0x1c00
	v_lshl_add_u32 v8, v9, 10, v8
	v_and_or_b32 v4, v4, s29, v8
	v_lshl_or_b32 v2, v2, 7, v4
	v_cvt_f32_f16_e32 v51, v2
.LBB261_123:                            ;   in Loop: Header=BB261_12 Depth=1
	s_or_b64 exec, exec, s[22:23]
	v_lshrrev_b32_e32 v4, 24, v36
	v_cmp_lt_i16_e64 s[4:5], s17, v4
	s_mov_b64 s[22:23], 0
                                        ; implicit-def: $sgpr30
	s_and_saveexec_b64 s[24:25], s[4:5]
	s_xor_b64 s[24:25], exec, s[24:25]
	s_cbranch_execnz .LBB261_317
; %bb.124:                              ;   in Loop: Header=BB261_12 Depth=1
	s_or_saveexec_b64 s[24:25], s[24:25]
	v_mov_b32_e32 v9, s30
	s_xor_b64 exec, exec, s[24:25]
	s_cbranch_execnz .LBB261_320
.LBB261_125:                            ;   in Loop: Header=BB261_12 Depth=1
	s_or_b64 exec, exec, s[24:25]
	s_and_saveexec_b64 s[24:25], s[22:23]
	s_cbranch_execz .LBB261_127
.LBB261_126:                            ;   in Loop: Header=BB261_12 Depth=1
	v_bfe_u32 v2, v36, 24, 3
	v_ffbh_u32_e32 v8, v2
	v_min_u32_e32 v13, 32, v8
	v_subrev_u32_e32 v8, 28, v13
	v_bfe_u32 v12, v36, 27, 4
	v_lshlrev_b64 v[8:9], v8, v[4:5]
	v_sub_u32_e32 v9, 29, v13
	v_and_b32_e32 v8, 7, v8
	v_cmp_eq_u32_e64 s[4:5], 0, v12
	v_lshlrev_b32_e32 v4, 8, v4
	s_nop 0
	v_cndmask_b32_e64 v9, v12, v9, s[4:5]
	v_cndmask_b32_e64 v2, v2, v8, s[4:5]
	v_mov_b32_e32 v8, 0x1c00
	v_lshl_add_u32 v8, v9, 10, v8
	v_and_or_b32 v4, v4, s29, v8
	v_lshl_or_b32 v2, v2, 7, v4
	v_cvt_f32_f16_e32 v9, v2
.LBB261_127:                            ;   in Loop: Header=BB261_12 Depth=1
	s_or_b64 exec, exec, s[24:25]
	flat_load_dword v36, v[34:35] offset:1544
	s_mov_b64 s[4:5], 0
                                        ; implicit-def: $sgpr26
	s_waitcnt vmcnt(0) lgkmcnt(0)
	v_cmp_gt_i16_sdwa s[22:23], v36, s17 src0_sel:BYTE_0 src1_sel:DWORD
	s_and_saveexec_b64 s[24:25], s[22:23]
	s_xor_b64 s[22:23], exec, s[24:25]
	s_cbranch_execnz .LBB261_321
; %bb.128:                              ;   in Loop: Header=BB261_12 Depth=1
	s_or_saveexec_b64 s[22:23], s[22:23]
	v_mov_b32_e32 v50, s26
	s_xor_b64 exec, exec, s[22:23]
	s_cbranch_execnz .LBB261_324
.LBB261_129:                            ;   in Loop: Header=BB261_12 Depth=1
	s_or_b64 exec, exec, s[22:23]
	s_and_saveexec_b64 s[22:23], s[4:5]
	s_cbranch_execz .LBB261_131
.LBB261_130:                            ;   in Loop: Header=BB261_12 Depth=1
	v_and_b32_e32 v2, 7, v36
	v_ffbh_u32_e32 v8, v2
	v_min_u32_e32 v8, 32, v8
	v_subrev_u32_e32 v12, 28, v8
	v_bfe_u32 v4, v36, 3, 4
	v_lshlrev_b64 v[12:13], v12, v[36:37]
	v_sub_u32_e32 v8, 29, v8
	v_and_b32_e32 v12, 7, v12
	v_cmp_eq_u32_e64 s[4:5], 0, v4
	s_nop 1
	v_cndmask_b32_e64 v4, v4, v8, s[4:5]
	v_cndmask_b32_e64 v2, v2, v12, s[4:5]
	v_mov_b32_e32 v12, 0x1c00
	v_lshlrev_b32_e32 v8, 8, v36
	v_lshl_add_u32 v4, v4, 10, v12
	v_and_or_b32 v4, v8, s29, v4
	v_lshl_or_b32 v2, v2, 7, v4
	v_cvt_f32_f16_e32 v50, v2
.LBB261_131:                            ;   in Loop: Header=BB261_12 Depth=1
	s_or_b64 exec, exec, s[22:23]
	v_lshrrev_b16_e32 v4, 8, v36
	v_cmp_lt_i16_e64 s[4:5], s17, v4
	s_mov_b64 s[22:23], 0
                                        ; implicit-def: $sgpr30
	s_and_saveexec_b64 s[24:25], s[4:5]
	s_xor_b64 s[24:25], exec, s[24:25]
	s_cbranch_execnz .LBB261_325
; %bb.132:                              ;   in Loop: Header=BB261_12 Depth=1
	s_or_saveexec_b64 s[24:25], s[24:25]
	v_mov_b32_e32 v38, s30
	s_xor_b64 exec, exec, s[24:25]
	s_cbranch_execnz .LBB261_328
.LBB261_133:                            ;   in Loop: Header=BB261_12 Depth=1
	s_or_b64 exec, exec, s[24:25]
	s_and_saveexec_b64 s[24:25], s[22:23]
	s_cbranch_execz .LBB261_135
.LBB261_134:                            ;   in Loop: Header=BB261_12 Depth=1
	v_and_b32_e32 v2, 7, v4
	v_ffbh_u32_e32 v12, v2
	v_min_u32_e32 v14, 32, v12
	v_subrev_u32_e32 v12, 28, v14
	v_bfe_u32 v8, v4, 3, 4
	v_lshlrev_b64 v[12:13], v12, v[4:5]
	v_sub_u32_e32 v13, 29, v14
	v_and_b32_e32 v12, 7, v12
	v_cmp_eq_u32_e64 s[4:5], 0, v8
	v_lshlrev_b32_e32 v4, 8, v4
	s_nop 0
	v_cndmask_b32_e64 v8, v8, v13, s[4:5]
	v_cndmask_b32_e64 v2, v2, v12, s[4:5]
	v_mov_b32_e32 v12, 0x1c00
	v_lshl_add_u32 v8, v8, 10, v12
	v_and_or_b32 v4, v4, s29, v8
	v_lshl_or_b32 v2, v2, 7, v4
	v_cvt_f32_f16_e32 v38, v2
.LBB261_135:                            ;   in Loop: Header=BB261_12 Depth=1
	s_or_b64 exec, exec, s[24:25]
	v_lshrrev_b32_e32 v4, 16, v36
	v_cmp_gt_i16_sdwa s[22:23], v4, s17 src0_sel:BYTE_0 src1_sel:DWORD
	s_mov_b64 s[4:5], 0
                                        ; implicit-def: $sgpr26
	s_and_saveexec_b64 s[24:25], s[22:23]
	s_xor_b64 s[22:23], exec, s[24:25]
	s_cbranch_execnz .LBB261_329
; %bb.136:                              ;   in Loop: Header=BB261_12 Depth=1
	s_or_saveexec_b64 s[22:23], s[22:23]
	v_mov_b32_e32 v18, s26
	s_xor_b64 exec, exec, s[22:23]
	s_cbranch_execnz .LBB261_332
.LBB261_137:                            ;   in Loop: Header=BB261_12 Depth=1
	s_or_b64 exec, exec, s[22:23]
	s_and_saveexec_b64 s[22:23], s[4:5]
	s_cbranch_execz .LBB261_139
.LBB261_138:                            ;   in Loop: Header=BB261_12 Depth=1
	v_bfe_u32 v2, v36, 16, 3
	v_ffbh_u32_e32 v12, v2
	v_min_u32_e32 v14, 32, v12
	v_subrev_u32_e32 v12, 28, v14
	v_bfe_u32 v8, v36, 19, 4
	v_lshlrev_b64 v[12:13], v12, v[4:5]
	v_sub_u32_e32 v13, 29, v14
	v_and_b32_e32 v12, 7, v12
	v_cmp_eq_u32_e64 s[4:5], 0, v8
	v_lshlrev_b32_e32 v4, 8, v4
	s_nop 0
	v_cndmask_b32_e64 v8, v8, v13, s[4:5]
	v_cndmask_b32_e64 v2, v2, v12, s[4:5]
	v_mov_b32_e32 v12, 0x1c00
	v_lshl_add_u32 v8, v8, 10, v12
	v_and_or_b32 v4, v4, s29, v8
	v_lshl_or_b32 v2, v2, 7, v4
	v_cvt_f32_f16_e32 v18, v2
.LBB261_139:                            ;   in Loop: Header=BB261_12 Depth=1
	s_or_b64 exec, exec, s[22:23]
	v_lshrrev_b32_e32 v4, 24, v36
	v_cmp_lt_i16_e64 s[4:5], s17, v4
	s_mov_b64 s[22:23], 0
                                        ; implicit-def: $sgpr30
	s_and_saveexec_b64 s[24:25], s[4:5]
	s_xor_b64 s[24:25], exec, s[24:25]
	s_cbranch_execnz .LBB261_333
; %bb.140:                              ;   in Loop: Header=BB261_12 Depth=1
	s_or_saveexec_b64 s[24:25], s[24:25]
	v_mov_b32_e32 v48, s30
	s_xor_b64 exec, exec, s[24:25]
	s_cbranch_execnz .LBB261_336
.LBB261_141:                            ;   in Loop: Header=BB261_12 Depth=1
	s_or_b64 exec, exec, s[24:25]
	s_and_saveexec_b64 s[24:25], s[22:23]
	s_cbranch_execz .LBB261_143
.LBB261_142:                            ;   in Loop: Header=BB261_12 Depth=1
	v_bfe_u32 v2, v36, 24, 3
	v_ffbh_u32_e32 v12, v2
	v_min_u32_e32 v14, 32, v12
	v_subrev_u32_e32 v12, 28, v14
	v_bfe_u32 v8, v36, 27, 4
	v_lshlrev_b64 v[12:13], v12, v[4:5]
	v_sub_u32_e32 v13, 29, v14
	v_and_b32_e32 v12, 7, v12
	v_cmp_eq_u32_e64 s[4:5], 0, v8
	v_lshlrev_b32_e32 v4, 8, v4
	s_nop 0
	v_cndmask_b32_e64 v8, v8, v13, s[4:5]
	v_cndmask_b32_e64 v2, v2, v12, s[4:5]
	v_mov_b32_e32 v12, 0x1c00
	v_lshl_add_u32 v8, v8, 10, v12
	v_and_or_b32 v4, v4, s29, v8
	v_lshl_or_b32 v2, v2, 7, v4
	v_cvt_f32_f16_e32 v48, v2
.LBB261_143:                            ;   in Loop: Header=BB261_12 Depth=1
	s_or_b64 exec, exec, s[24:25]
	flat_load_dword v36, v[34:35] offset:2048
	s_mov_b64 s[4:5], 0
                                        ; implicit-def: $sgpr26
	s_waitcnt vmcnt(0) lgkmcnt(0)
	v_cmp_gt_i16_sdwa s[22:23], v36, s17 src0_sel:BYTE_0 src1_sel:DWORD
	s_and_saveexec_b64 s[24:25], s[22:23]
	s_xor_b64 s[22:23], exec, s[24:25]
	s_cbranch_execnz .LBB261_337
; %bb.144:                              ;   in Loop: Header=BB261_12 Depth=1
	s_or_saveexec_b64 s[22:23], s[22:23]
	v_mov_b32_e32 v8, s26
	s_xor_b64 exec, exec, s[22:23]
	s_cbranch_execnz .LBB261_340
.LBB261_145:                            ;   in Loop: Header=BB261_12 Depth=1
	s_or_b64 exec, exec, s[22:23]
	s_and_saveexec_b64 s[22:23], s[4:5]
	s_cbranch_execz .LBB261_147
.LBB261_146:                            ;   in Loop: Header=BB261_12 Depth=1
	v_and_b32_e32 v2, 7, v36
	v_ffbh_u32_e32 v8, v2
	v_min_u32_e32 v8, 32, v8
	v_subrev_u32_e32 v12, 28, v8
	v_bfe_u32 v4, v36, 3, 4
	v_lshlrev_b64 v[12:13], v12, v[36:37]
	v_sub_u32_e32 v8, 29, v8
	v_and_b32_e32 v12, 7, v12
	v_cmp_eq_u32_e64 s[4:5], 0, v4
	s_nop 1
	v_cndmask_b32_e64 v4, v4, v8, s[4:5]
	v_cndmask_b32_e64 v2, v2, v12, s[4:5]
	v_mov_b32_e32 v12, 0x1c00
	v_lshlrev_b32_e32 v8, 8, v36
	v_lshl_add_u32 v4, v4, 10, v12
	v_and_or_b32 v4, v8, s29, v4
	v_lshl_or_b32 v2, v2, 7, v4
	v_cvt_f32_f16_e32 v8, v2
.LBB261_147:                            ;   in Loop: Header=BB261_12 Depth=1
	s_or_b64 exec, exec, s[22:23]
	v_lshrrev_b16_e32 v4, 8, v36
	v_cmp_lt_i16_e64 s[4:5], s17, v4
	s_mov_b64 s[22:23], 0
                                        ; implicit-def: $sgpr30
	s_and_saveexec_b64 s[24:25], s[4:5]
	s_xor_b64 s[24:25], exec, s[24:25]
	s_cbranch_execnz .LBB261_341
; %bb.148:                              ;   in Loop: Header=BB261_12 Depth=1
	s_or_saveexec_b64 s[24:25], s[24:25]
	v_mov_b32_e32 v12, s30
	s_xor_b64 exec, exec, s[24:25]
	s_cbranch_execnz .LBB261_344
.LBB261_149:                            ;   in Loop: Header=BB261_12 Depth=1
	s_or_b64 exec, exec, s[24:25]
	s_and_saveexec_b64 s[24:25], s[22:23]
	s_cbranch_execz .LBB261_151
.LBB261_150:                            ;   in Loop: Header=BB261_12 Depth=1
	v_and_b32_e32 v2, 7, v4
	v_ffbh_u32_e32 v12, v2
	v_min_u32_e32 v15, 32, v12
	v_subrev_u32_e32 v12, 28, v15
	v_bfe_u32 v14, v4, 3, 4
	v_lshlrev_b64 v[12:13], v12, v[4:5]
	v_sub_u32_e32 v13, 29, v15
	v_and_b32_e32 v12, 7, v12
	v_cmp_eq_u32_e64 s[4:5], 0, v14
	v_lshlrev_b32_e32 v4, 8, v4
	s_nop 0
	v_cndmask_b32_e64 v13, v14, v13, s[4:5]
	v_cndmask_b32_e64 v2, v2, v12, s[4:5]
	v_mov_b32_e32 v12, 0x1c00
	v_lshl_add_u32 v12, v13, 10, v12
	v_and_or_b32 v4, v4, s29, v12
	v_lshl_or_b32 v2, v2, 7, v4
	v_cvt_f32_f16_e32 v12, v2
.LBB261_151:                            ;   in Loop: Header=BB261_12 Depth=1
	s_or_b64 exec, exec, s[24:25]
	v_lshrrev_b32_e32 v4, 16, v36
	v_cmp_gt_i16_sdwa s[22:23], v4, s17 src0_sel:BYTE_0 src1_sel:DWORD
	s_mov_b64 s[4:5], 0
                                        ; implicit-def: $sgpr26
	s_and_saveexec_b64 s[24:25], s[22:23]
	s_xor_b64 s[22:23], exec, s[24:25]
	s_cbranch_execnz .LBB261_345
; %bb.152:                              ;   in Loop: Header=BB261_12 Depth=1
	s_or_saveexec_b64 s[22:23], s[22:23]
	v_mov_b32_e32 v13, s26
	s_xor_b64 exec, exec, s[22:23]
	s_cbranch_execnz .LBB261_348
.LBB261_153:                            ;   in Loop: Header=BB261_12 Depth=1
	s_or_b64 exec, exec, s[22:23]
	s_and_saveexec_b64 s[22:23], s[4:5]
	s_cbranch_execz .LBB261_155
.LBB261_154:                            ;   in Loop: Header=BB261_12 Depth=1
	v_bfe_u32 v2, v36, 16, 3
	v_ffbh_u32_e32 v14, v2
	v_min_u32_e32 v20, 32, v14
	v_subrev_u32_e32 v14, 28, v20
	v_bfe_u32 v13, v36, 19, 4
	v_lshlrev_b64 v[14:15], v14, v[4:5]
	v_sub_u32_e32 v15, 29, v20
	v_and_b32_e32 v14, 7, v14
	v_cmp_eq_u32_e64 s[4:5], 0, v13
	v_lshlrev_b32_e32 v4, 8, v4
	s_nop 0
	v_cndmask_b32_e64 v13, v13, v15, s[4:5]
	v_cndmask_b32_e64 v2, v2, v14, s[4:5]
	v_mov_b32_e32 v14, 0x1c00
	v_lshl_add_u32 v13, v13, 10, v14
	v_and_or_b32 v4, v4, s29, v13
	v_lshl_or_b32 v2, v2, 7, v4
	v_cvt_f32_f16_e32 v13, v2
.LBB261_155:                            ;   in Loop: Header=BB261_12 Depth=1
	s_or_b64 exec, exec, s[22:23]
	v_lshrrev_b32_e32 v4, 24, v36
	v_cmp_lt_i16_e64 s[4:5], s17, v4
	s_mov_b64 s[22:23], 0
                                        ; implicit-def: $sgpr30
	s_and_saveexec_b64 s[24:25], s[4:5]
	s_xor_b64 s[24:25], exec, s[24:25]
	s_cbranch_execnz .LBB261_349
; %bb.156:                              ;   in Loop: Header=BB261_12 Depth=1
	s_or_saveexec_b64 s[24:25], s[24:25]
	v_mov_b32_e32 v14, s30
	s_xor_b64 exec, exec, s[24:25]
	s_cbranch_execnz .LBB261_352
.LBB261_157:                            ;   in Loop: Header=BB261_12 Depth=1
	s_or_b64 exec, exec, s[24:25]
	s_and_saveexec_b64 s[24:25], s[22:23]
	s_cbranch_execz .LBB261_159
.LBB261_158:                            ;   in Loop: Header=BB261_12 Depth=1
	v_bfe_u32 v2, v36, 24, 3
	v_ffbh_u32_e32 v14, v2
	v_min_u32_e32 v21, 32, v14
	v_subrev_u32_e32 v14, 28, v21
	v_bfe_u32 v20, v36, 27, 4
	v_lshlrev_b64 v[14:15], v14, v[4:5]
	v_sub_u32_e32 v15, 29, v21
	v_and_b32_e32 v14, 7, v14
	v_cmp_eq_u32_e64 s[4:5], 0, v20
	v_lshlrev_b32_e32 v4, 8, v4
	s_nop 0
	v_cndmask_b32_e64 v15, v20, v15, s[4:5]
	v_cndmask_b32_e64 v2, v2, v14, s[4:5]
	v_mov_b32_e32 v14, 0x1c00
	v_lshl_add_u32 v14, v15, 10, v14
	v_and_or_b32 v4, v4, s29, v14
	v_lshl_or_b32 v2, v2, 7, v4
	v_cvt_f32_f16_e32 v14, v2
.LBB261_159:                            ;   in Loop: Header=BB261_12 Depth=1
	s_or_b64 exec, exec, s[24:25]
	flat_load_dword v36, v[34:35] offset:2056
	s_mov_b64 s[4:5], 0
                                        ; implicit-def: $sgpr26
	s_waitcnt vmcnt(0) lgkmcnt(0)
	v_cmp_gt_i16_sdwa s[22:23], v36, s17 src0_sel:BYTE_0 src1_sel:DWORD
	s_and_saveexec_b64 s[24:25], s[22:23]
	s_xor_b64 s[22:23], exec, s[24:25]
	s_cbranch_execnz .LBB261_353
; %bb.160:                              ;   in Loop: Header=BB261_12 Depth=1
	s_or_saveexec_b64 s[22:23], s[22:23]
	v_mov_b32_e32 v15, s26
	s_xor_b64 exec, exec, s[22:23]
	s_cbranch_execnz .LBB261_356
.LBB261_161:                            ;   in Loop: Header=BB261_12 Depth=1
	s_or_b64 exec, exec, s[22:23]
	s_and_saveexec_b64 s[22:23], s[4:5]
	s_cbranch_execz .LBB261_163
.LBB261_162:                            ;   in Loop: Header=BB261_12 Depth=1
	v_and_b32_e32 v2, 7, v36
	v_ffbh_u32_e32 v15, v2
	v_bfe_u32 v4, v36, 3, 4
	v_min_u32_e32 v15, 32, v15
	v_subrev_u32_e32 v20, 28, v15
	v_sub_u32_e32 v15, 29, v15
	v_cmp_eq_u32_e64 s[4:5], 0, v4
	v_lshlrev_b64 v[20:21], v20, v[36:37]
	v_mov_b32_e32 v16, 0x1c00
	v_cndmask_b32_e64 v4, v4, v15, s[4:5]
	v_and_b32_e32 v20, 7, v20
	v_lshlrev_b32_e32 v15, 8, v36
	v_lshl_add_u32 v4, v4, 10, v16
	v_cndmask_b32_e64 v2, v2, v20, s[4:5]
	v_and_or_b32 v4, v15, s29, v4
	v_lshl_or_b32 v2, v2, 7, v4
	v_cvt_f32_f16_e32 v15, v2
.LBB261_163:                            ;   in Loop: Header=BB261_12 Depth=1
	s_or_b64 exec, exec, s[22:23]
	v_lshrrev_b16_e32 v4, 8, v36
	v_cmp_lt_i16_e64 s[4:5], s17, v4
	s_mov_b64 s[22:23], 0
                                        ; implicit-def: $sgpr30
	s_and_saveexec_b64 s[24:25], s[4:5]
	s_xor_b64 s[24:25], exec, s[24:25]
	s_cbranch_execnz .LBB261_357
; %bb.164:                              ;   in Loop: Header=BB261_12 Depth=1
	s_or_saveexec_b64 s[24:25], s[24:25]
	v_mov_b32_e32 v45, s30
	s_xor_b64 exec, exec, s[24:25]
	s_cbranch_execnz .LBB261_360
.LBB261_165:                            ;   in Loop: Header=BB261_12 Depth=1
	s_or_b64 exec, exec, s[24:25]
	s_and_saveexec_b64 s[24:25], s[22:23]
	s_cbranch_execz .LBB261_167
.LBB261_166:                            ;   in Loop: Header=BB261_12 Depth=1
	v_and_b32_e32 v2, 7, v4
	v_ffbh_u32_e32 v20, v2
	v_min_u32_e32 v23, 32, v20
	v_subrev_u32_e32 v20, 28, v23
	v_bfe_u32 v22, v4, 3, 4
	v_lshlrev_b64 v[20:21], v20, v[4:5]
	v_sub_u32_e32 v21, 29, v23
	v_cmp_eq_u32_e64 s[4:5], 0, v22
	v_and_b32_e32 v20, 7, v20
	v_mov_b32_e32 v16, 0x1c00
	v_cndmask_b32_e64 v21, v22, v21, s[4:5]
	v_cndmask_b32_e64 v2, v2, v20, s[4:5]
	v_lshlrev_b32_e32 v4, 8, v4
	v_lshl_add_u32 v20, v21, 10, v16
	v_and_or_b32 v4, v4, s29, v20
	v_lshl_or_b32 v2, v2, 7, v4
	v_cvt_f32_f16_e32 v45, v2
.LBB261_167:                            ;   in Loop: Header=BB261_12 Depth=1
	s_or_b64 exec, exec, s[24:25]
	v_lshrrev_b32_e32 v4, 16, v36
	v_cmp_gt_i16_sdwa s[22:23], v4, s17 src0_sel:BYTE_0 src1_sel:DWORD
	s_mov_b64 s[4:5], 0
                                        ; implicit-def: $sgpr26
	s_and_saveexec_b64 s[24:25], s[22:23]
	s_xor_b64 s[22:23], exec, s[24:25]
	s_cbranch_execnz .LBB261_361
; %bb.168:                              ;   in Loop: Header=BB261_12 Depth=1
	s_or_saveexec_b64 s[22:23], s[22:23]
	v_mov_b32_e32 v21, s26
	s_xor_b64 exec, exec, s[22:23]
	s_cbranch_execnz .LBB261_364
.LBB261_169:                            ;   in Loop: Header=BB261_12 Depth=1
	s_or_b64 exec, exec, s[22:23]
	s_and_saveexec_b64 s[22:23], s[4:5]
	s_cbranch_execz .LBB261_171
.LBB261_170:                            ;   in Loop: Header=BB261_12 Depth=1
	v_bfe_u32 v2, v36, 16, 3
	v_ffbh_u32_e32 v20, v2
	v_min_u32_e32 v23, 32, v20
	v_subrev_u32_e32 v20, 28, v23
	v_bfe_u32 v22, v36, 19, 4
	v_lshlrev_b64 v[20:21], v20, v[4:5]
	v_sub_u32_e32 v21, 29, v23
	v_cmp_eq_u32_e64 s[4:5], 0, v22
	v_and_b32_e32 v20, 7, v20
	v_mov_b32_e32 v16, 0x1c00
	v_cndmask_b32_e64 v21, v22, v21, s[4:5]
	v_cndmask_b32_e64 v2, v2, v20, s[4:5]
	v_lshlrev_b32_e32 v4, 8, v4
	v_lshl_add_u32 v20, v21, 10, v16
	v_and_or_b32 v4, v4, s29, v20
	v_lshl_or_b32 v2, v2, 7, v4
	v_cvt_f32_f16_e32 v21, v2
.LBB261_171:                            ;   in Loop: Header=BB261_12 Depth=1
	s_or_b64 exec, exec, s[22:23]
	v_lshrrev_b32_e32 v4, 24, v36
	v_cmp_lt_i16_e64 s[4:5], s17, v4
	s_mov_b64 s[22:23], 0
                                        ; implicit-def: $sgpr30
	s_and_saveexec_b64 s[24:25], s[4:5]
	s_xor_b64 s[24:25], exec, s[24:25]
	s_cbranch_execnz .LBB261_365
; %bb.172:                              ;   in Loop: Header=BB261_12 Depth=1
	s_or_saveexec_b64 s[24:25], s[24:25]
	v_mov_b32_e32 v20, s30
	s_xor_b64 exec, exec, s[24:25]
	s_cbranch_execnz .LBB261_368
.LBB261_173:                            ;   in Loop: Header=BB261_12 Depth=1
	s_or_b64 exec, exec, s[24:25]
	s_and_saveexec_b64 s[24:25], s[22:23]
	s_cbranch_execz .LBB261_175
.LBB261_174:                            ;   in Loop: Header=BB261_12 Depth=1
	v_bfe_u32 v2, v36, 24, 3
	v_ffbh_u32_e32 v22, v2
	v_bfe_u32 v20, v36, 27, 4
	v_min_u32_e32 v36, 32, v22
	v_subrev_u32_e32 v22, 28, v36
	v_lshlrev_b64 v[22:23], v22, v[4:5]
	v_sub_u32_e32 v23, 29, v36
	v_cmp_eq_u32_e64 s[4:5], 0, v20
	v_mov_b32_e32 v16, 0x1c00
	v_and_b32_e32 v22, 7, v22
	v_cndmask_b32_e64 v20, v20, v23, s[4:5]
	v_lshlrev_b32_e32 v4, 8, v4
	v_lshl_add_u32 v20, v20, 10, v16
	v_cndmask_b32_e64 v2, v2, v22, s[4:5]
	v_and_or_b32 v4, v4, s29, v20
	v_lshl_or_b32 v2, v2, 7, v4
	v_cvt_f32_f16_e32 v20, v2
.LBB261_175:                            ;   in Loop: Header=BB261_12 Depth=1
	s_or_b64 exec, exec, s[24:25]
	flat_load_dword v36, v[34:35] offset:2560
	s_mov_b64 s[4:5], 0
                                        ; implicit-def: $sgpr26
	s_waitcnt vmcnt(0) lgkmcnt(0)
	v_cmp_gt_i16_sdwa s[22:23], v36, s17 src0_sel:BYTE_0 src1_sel:DWORD
	s_and_saveexec_b64 s[24:25], s[22:23]
	s_xor_b64 s[22:23], exec, s[24:25]
	s_cbranch_execnz .LBB261_369
; %bb.176:                              ;   in Loop: Header=BB261_12 Depth=1
	s_or_saveexec_b64 s[22:23], s[22:23]
	v_mov_b32_e32 v2, s26
	s_xor_b64 exec, exec, s[22:23]
	s_cbranch_execnz .LBB261_372
.LBB261_177:                            ;   in Loop: Header=BB261_12 Depth=1
	s_or_b64 exec, exec, s[22:23]
	s_and_saveexec_b64 s[22:23], s[4:5]
	s_cbranch_execz .LBB261_179
.LBB261_178:                            ;   in Loop: Header=BB261_12 Depth=1
	v_and_b32_e32 v2, 7, v36
	v_ffbh_u32_e32 v22, v2
	v_min_u32_e32 v39, 32, v22
	v_subrev_u32_e32 v22, 28, v39
	v_bfe_u32 v4, v36, 3, 4
	v_lshlrev_b64 v[22:23], v22, v[36:37]
	v_sub_u32_e32 v23, 29, v39
	v_cmp_eq_u32_e64 s[4:5], 0, v4
	v_and_b32_e32 v22, 7, v22
	v_mov_b32_e32 v16, 0x1c00
	v_cndmask_b32_e64 v4, v4, v23, s[4:5]
	v_cndmask_b32_e64 v2, v2, v22, s[4:5]
	v_lshlrev_b32_e32 v22, 8, v36
	v_lshl_add_u32 v4, v4, 10, v16
	v_and_or_b32 v4, v22, s29, v4
	v_lshl_or_b32 v2, v2, 7, v4
	v_cvt_f32_f16_e32 v2, v2
.LBB261_179:                            ;   in Loop: Header=BB261_12 Depth=1
	s_or_b64 exec, exec, s[22:23]
	v_lshrrev_b16_e32 v4, 8, v36
	v_cmp_lt_i16_e64 s[4:5], s17, v4
	s_mov_b64 s[22:23], 0
                                        ; implicit-def: $sgpr30
	s_and_saveexec_b64 s[24:25], s[4:5]
	s_xor_b64 s[24:25], exec, s[24:25]
	s_cbranch_execnz .LBB261_373
; %bb.180:                              ;   in Loop: Header=BB261_12 Depth=1
	s_or_saveexec_b64 s[24:25], s[24:25]
	v_mov_b32_e32 v39, s30
	s_xor_b64 exec, exec, s[24:25]
	s_cbranch_execnz .LBB261_376
.LBB261_181:                            ;   in Loop: Header=BB261_12 Depth=1
	s_or_b64 exec, exec, s[24:25]
	s_and_saveexec_b64 s[24:25], s[22:23]
	s_cbranch_execz .LBB261_183
.LBB261_182:                            ;   in Loop: Header=BB261_12 Depth=1
	v_and_b32_e32 v39, 7, v4
	v_ffbh_u32_e32 v22, v39
	v_min_u32_e32 v56, 32, v22
	v_subrev_u32_e32 v22, 28, v56
	v_bfe_u32 v55, v4, 3, 4
	v_lshlrev_b64 v[22:23], v22, v[4:5]
	v_sub_u32_e32 v23, 29, v56
	v_cmp_eq_u32_e64 s[4:5], 0, v55
	v_mov_b32_e32 v16, 0x1c00
	v_and_b32_e32 v22, 7, v22
	v_cndmask_b32_e64 v23, v55, v23, s[4:5]
	v_lshlrev_b32_e32 v4, 8, v4
	v_lshl_add_u32 v23, v23, 10, v16
	v_cndmask_b32_e64 v22, v39, v22, s[4:5]
	v_and_or_b32 v4, v4, s29, v23
	v_lshl_or_b32 v4, v22, 7, v4
	v_cvt_f32_f16_e32 v39, v4
.LBB261_183:                            ;   in Loop: Header=BB261_12 Depth=1
	s_or_b64 exec, exec, s[24:25]
	v_lshrrev_b32_e32 v4, 16, v36
	v_cmp_gt_i16_sdwa s[22:23], v4, s17 src0_sel:BYTE_0 src1_sel:DWORD
	s_mov_b64 s[4:5], 0
                                        ; implicit-def: $sgpr26
	s_and_saveexec_b64 s[24:25], s[22:23]
	s_xor_b64 s[22:23], exec, s[24:25]
	s_cbranch_execnz .LBB261_377
; %bb.184:                              ;   in Loop: Header=BB261_12 Depth=1
	s_or_saveexec_b64 s[22:23], s[22:23]
	v_mov_b32_e32 v55, s26
	s_xor_b64 exec, exec, s[22:23]
	s_cbranch_execnz .LBB261_380
.LBB261_185:                            ;   in Loop: Header=BB261_12 Depth=1
	s_or_b64 exec, exec, s[22:23]
	s_and_saveexec_b64 s[22:23], s[4:5]
	s_cbranch_execz .LBB261_187
.LBB261_186:                            ;   in Loop: Header=BB261_12 Depth=1
	v_bfe_u32 v55, v36, 16, 3
	v_ffbh_u32_e32 v22, v55
	v_min_u32_e32 v57, 32, v22
	v_subrev_u32_e32 v22, 28, v57
	v_bfe_u32 v56, v36, 19, 4
	v_lshlrev_b64 v[22:23], v22, v[4:5]
	v_sub_u32_e32 v23, 29, v57
	v_cmp_eq_u32_e64 s[4:5], 0, v56
	v_mov_b32_e32 v16, 0x1c00
	v_and_b32_e32 v22, 7, v22
	v_cndmask_b32_e64 v23, v56, v23, s[4:5]
	v_lshlrev_b32_e32 v4, 8, v4
	v_lshl_add_u32 v23, v23, 10, v16
	v_cndmask_b32_e64 v22, v55, v22, s[4:5]
	v_and_or_b32 v4, v4, s29, v23
	v_lshl_or_b32 v4, v22, 7, v4
	v_cvt_f32_f16_e32 v55, v4
.LBB261_187:                            ;   in Loop: Header=BB261_12 Depth=1
	s_or_b64 exec, exec, s[22:23]
	v_lshrrev_b32_e32 v4, 24, v36
	v_cmp_lt_i16_e64 s[4:5], s17, v4
	s_mov_b64 s[22:23], 0
                                        ; implicit-def: $sgpr30
	s_and_saveexec_b64 s[24:25], s[4:5]
	s_xor_b64 s[24:25], exec, s[24:25]
	s_cbranch_execnz .LBB261_381
; %bb.188:                              ;   in Loop: Header=BB261_12 Depth=1
	s_or_saveexec_b64 s[24:25], s[24:25]
	v_mov_b32_e32 v56, s30
	s_xor_b64 exec, exec, s[24:25]
	s_cbranch_execnz .LBB261_384
.LBB261_189:                            ;   in Loop: Header=BB261_12 Depth=1
	s_or_b64 exec, exec, s[24:25]
	s_and_saveexec_b64 s[24:25], s[22:23]
	s_cbranch_execz .LBB261_191
.LBB261_190:                            ;   in Loop: Header=BB261_12 Depth=1
	v_bfe_u32 v56, v36, 24, 3
	v_ffbh_u32_e32 v22, v56
	v_min_u32_e32 v57, 32, v22
	v_subrev_u32_e32 v22, 28, v57
	v_bfe_u32 v36, v36, 27, 4
	v_lshlrev_b64 v[22:23], v22, v[4:5]
	v_sub_u32_e32 v23, 29, v57
	v_cmp_eq_u32_e64 s[4:5], 0, v36
	v_mov_b32_e32 v16, 0x1c00
	v_and_b32_e32 v22, 7, v22
	v_cndmask_b32_e64 v23, v36, v23, s[4:5]
	v_lshlrev_b32_e32 v4, 8, v4
	v_lshl_add_u32 v23, v23, 10, v16
	v_cndmask_b32_e64 v22, v56, v22, s[4:5]
	v_and_or_b32 v4, v4, s29, v23
	v_lshl_or_b32 v4, v22, 7, v4
	v_cvt_f32_f16_e32 v56, v4
.LBB261_191:                            ;   in Loop: Header=BB261_12 Depth=1
	s_or_b64 exec, exec, s[24:25]
	flat_load_dword v34, v[34:35] offset:2568
	s_mov_b64 s[4:5], 0
                                        ; implicit-def: $sgpr26
	s_waitcnt vmcnt(0) lgkmcnt(0)
	v_cmp_gt_i16_sdwa s[22:23], v34, s17 src0_sel:BYTE_0 src1_sel:DWORD
	s_and_saveexec_b64 s[24:25], s[22:23]
	s_xor_b64 s[22:23], exec, s[24:25]
	s_cbranch_execnz .LBB261_385
; %bb.192:                              ;   in Loop: Header=BB261_12 Depth=1
	s_or_saveexec_b64 s[22:23], s[22:23]
	v_mov_b32_e32 v23, s26
	s_xor_b64 exec, exec, s[22:23]
	s_cbranch_execnz .LBB261_388
.LBB261_193:                            ;   in Loop: Header=BB261_12 Depth=1
	s_or_b64 exec, exec, s[22:23]
	s_and_saveexec_b64 s[22:23], s[4:5]
	s_cbranch_execz .LBB261_195
.LBB261_194:                            ;   in Loop: Header=BB261_12 Depth=1
	v_and_b32_e32 v4, 7, v34
	v_ffbh_u32_e32 v22, v4
	v_min_u32_e32 v36, 32, v22
	v_bfe_u32 v35, v34, 3, 4
	v_subrev_u32_e32 v22, 28, v36
	v_lshlrev_b64 v[22:23], v22, v[34:35]
	v_sub_u32_e32 v23, 29, v36
	v_cmp_eq_u32_e64 s[4:5], 0, v35
	v_and_b32_e32 v22, 7, v22
	v_mov_b32_e32 v16, 0x1c00
	v_cndmask_b32_e64 v23, v35, v23, s[4:5]
	v_cndmask_b32_e64 v4, v4, v22, s[4:5]
	v_lshlrev_b32_e32 v22, 8, v34
	v_lshl_add_u32 v23, v23, 10, v16
	v_and_or_b32 v22, v22, s29, v23
	v_lshl_or_b32 v4, v4, 7, v22
	v_cvt_f32_f16_e32 v23, v4
.LBB261_195:                            ;   in Loop: Header=BB261_12 Depth=1
	s_or_b64 exec, exec, s[22:23]
	v_lshrrev_b16_e32 v4, 8, v34
	v_cmp_lt_i16_e64 s[4:5], s17, v4
	s_mov_b64 s[22:23], 0
                                        ; implicit-def: $sgpr30
	s_and_saveexec_b64 s[24:25], s[4:5]
	s_xor_b64 s[24:25], exec, s[24:25]
	s_cbranch_execnz .LBB261_389
; %bb.196:                              ;   in Loop: Header=BB261_12 Depth=1
	s_or_saveexec_b64 s[24:25], s[24:25]
	v_mov_b32_e32 v22, s30
	s_xor_b64 exec, exec, s[24:25]
	s_cbranch_execnz .LBB261_392
.LBB261_197:                            ;   in Loop: Header=BB261_12 Depth=1
	s_or_b64 exec, exec, s[24:25]
	s_and_saveexec_b64 s[24:25], s[22:23]
	s_cbranch_execz .LBB261_199
.LBB261_198:                            ;   in Loop: Header=BB261_12 Depth=1
	v_and_b32_e32 v22, 7, v4
	v_ffbh_u32_e32 v36, v22
	v_bfe_u32 v35, v4, 3, 4
	v_min_u32_e32 v36, 32, v36
	v_subrev_u32_e32 v57, 28, v36
	v_sub_u32_e32 v36, 29, v36
	v_cmp_eq_u32_e64 s[4:5], 0, v35
	v_lshlrev_b64 v[58:59], v57, v[4:5]
	v_mov_b32_e32 v16, 0x1c00
	v_cndmask_b32_e64 v35, v35, v36, s[4:5]
	v_and_b32_e32 v57, 7, v58
	v_lshlrev_b32_e32 v4, 8, v4
	v_lshl_add_u32 v35, v35, 10, v16
	v_cndmask_b32_e64 v22, v22, v57, s[4:5]
	v_and_or_b32 v4, v4, s29, v35
	v_lshl_or_b32 v4, v22, 7, v4
	v_cvt_f32_f16_e32 v22, v4
.LBB261_199:                            ;   in Loop: Header=BB261_12 Depth=1
	s_or_b64 exec, exec, s[24:25]
	v_lshrrev_b32_e32 v4, 16, v34
	v_cmp_gt_i16_sdwa s[22:23], v4, s17 src0_sel:BYTE_0 src1_sel:DWORD
	s_mov_b64 s[4:5], 0
                                        ; implicit-def: $sgpr26
	s_and_saveexec_b64 s[24:25], s[22:23]
	s_xor_b64 s[22:23], exec, s[24:25]
	s_cbranch_execnz .LBB261_393
; %bb.200:                              ;   in Loop: Header=BB261_12 Depth=1
	s_or_saveexec_b64 s[22:23], s[22:23]
	v_mov_b32_e32 v57, s26
	s_xor_b64 exec, exec, s[22:23]
	s_cbranch_execnz .LBB261_396
.LBB261_201:                            ;   in Loop: Header=BB261_12 Depth=1
	s_or_b64 exec, exec, s[22:23]
	s_and_saveexec_b64 s[22:23], s[4:5]
	s_cbranch_execz .LBB261_203
.LBB261_202:                            ;   in Loop: Header=BB261_12 Depth=1
	v_bfe_u32 v35, v34, 16, 3
	v_ffbh_u32_e32 v57, v35
	v_bfe_u32 v36, v34, 19, 4
	v_min_u32_e32 v57, 32, v57
	v_subrev_u32_e32 v58, 28, v57
	v_sub_u32_e32 v57, 29, v57
	v_cmp_eq_u32_e64 s[4:5], 0, v36
	v_lshlrev_b64 v[58:59], v58, v[4:5]
	v_mov_b32_e32 v16, 0x1c00
	v_cndmask_b32_e64 v36, v36, v57, s[4:5]
	v_and_b32_e32 v58, 7, v58
	v_lshlrev_b32_e32 v4, 8, v4
	v_lshl_add_u32 v36, v36, 10, v16
	v_cndmask_b32_e64 v35, v35, v58, s[4:5]
	v_and_or_b32 v4, v4, s29, v36
	v_lshl_or_b32 v4, v35, 7, v4
	v_cvt_f32_f16_e32 v57, v4
.LBB261_203:                            ;   in Loop: Header=BB261_12 Depth=1
	s_or_b64 exec, exec, s[22:23]
	v_lshrrev_b32_e32 v4, 24, v34
	v_cmp_lt_i16_e64 s[4:5], s17, v4
	s_mov_b64 s[22:23], 0
                                        ; implicit-def: $sgpr30
	s_and_saveexec_b64 s[24:25], s[4:5]
	s_xor_b64 s[24:25], exec, s[24:25]
	s_cbranch_execnz .LBB261_397
; %bb.204:                              ;   in Loop: Header=BB261_12 Depth=1
	s_or_saveexec_b64 s[24:25], s[24:25]
	v_mov_b32_e32 v60, s30
	s_xor_b64 exec, exec, s[24:25]
	s_cbranch_execnz .LBB261_400
.LBB261_205:                            ;   in Loop: Header=BB261_12 Depth=1
	s_or_b64 exec, exec, s[24:25]
	s_and_saveexec_b64 s[24:25], s[22:23]
	s_cbranch_execz .LBB261_207
.LBB261_206:                            ;   in Loop: Header=BB261_12 Depth=1
	v_bfe_u32 v36, v34, 24, 3
	v_bfe_u32 v58, v34, 27, 4
	v_ffbh_u32_e32 v34, v36
	v_min_u32_e32 v59, 32, v34
	v_subrev_u32_e32 v34, 28, v59
	v_lshlrev_b64 v[34:35], v34, v[4:5]
	v_sub_u32_e32 v35, 29, v59
	v_cmp_eq_u32_e64 s[4:5], 0, v58
	v_mov_b32_e32 v16, 0x1c00
	v_and_b32_e32 v34, 7, v34
	v_cndmask_b32_e64 v35, v58, v35, s[4:5]
	v_lshlrev_b32_e32 v4, 8, v4
	v_lshl_add_u32 v35, v35, 10, v16
	v_cndmask_b32_e64 v34, v36, v34, s[4:5]
	v_and_or_b32 v4, v4, s29, v35
	v_lshl_or_b32 v4, v34, 7, v4
	v_cvt_f32_f16_e32 v60, v4
.LBB261_207:                            ;   in Loop: Header=BB261_12 Depth=1
	s_or_b64 exec, exec, s[24:25]
	v_fma_mixlo_f16 v36, v47, v45, 0
	v_fma_mixlo_f16 v45, v47, v11, 0
	;; [unrolled: 1-line block ×4, first 2 shown]
	v_accvgpr_read_b32 v42, a33
	v_fma_mixlo_f16 v59, v47, v26, 0
	v_fma_mixlo_f16 v26, v47, v31, 0
	;; [unrolled: 1-line block ×4, first 2 shown]
	ds_read_b64 v[0:1], v42
	v_fma_mixlo_f16 v35, v47, v2, 0
	v_fma_mixlo_f16 v4, v47, v55, 0
	;; [unrolled: 1-line block ×7, first 2 shown]
	s_waitcnt lgkmcnt(0)
	v_lshrrev_b32_e32 v53, 16, v0
	v_and_b32_e32 v0, 0xffff, v0
	v_fma_mixlo_f16 v34, v47, v39, 0
	v_fma_mixlo_f16 v39, v47, v15, 0
	;; [unrolled: 1-line block ×11, first 2 shown]
	;;#ASMSTART
	v_cvt_f32_f16 v30, v0;
	;;#ASMEND
	v_and_b32_e32 v0, 0xffff, v8
	v_fma_mixlo_f16 v37, v47, v3, 0
	v_fma_mixlo_f16 v3, v47, v54, 0
	;;#ASMSTART
	v_cvt_f32_f16 v53, v53;
	;;#ASMEND
	;;#ASMSTART
	v_cvt_f32_f16 v54, v0;
	;;#ASMEND
	v_and_b32_e32 v0, 0xffff, v7
	v_fma_mixlo_f16 v27, v47, v29, 0
	v_fma_mixlo_f16 v29, v47, v49, 0
	;;#ASMSTART
	v_cvt_f32_f16 v49, v0;
	;;#ASMEND
	v_lshrrev_b32_e32 v0, 16, v1
	v_fma_mixlo_f16 v58, v47, v25, 0
	v_fma_mixlo_f16 v25, v47, v10, 0
	;; [unrolled: 1-line block ×3, first 2 shown]
	v_and_b32_e32 v1, 0xffff, v1
	;;#ASMSTART
	v_cvt_f32_f16 v19, v1;
	;;#ASMEND
	;;#ASMSTART
	v_cvt_f32_f16 v44, v0;
	;;#ASMEND
	v_and_b32_e32 v0, 0xffff, v28
	;;#ASMSTART
	v_cvt_f32_f16 v16, v0;
	;;#ASMEND
	v_and_b32_e32 v0, 0xffff, v29
	;;#ASMSTART
	v_cvt_f32_f16 v17, v0;
	;;#ASMEND
	ds_read_b64 v[28:29], v42 offset:8
	v_fma_mixlo_f16 v7, v47, v22, 0
	v_fma_mixlo_f16 v8, v47, v23, 0
	v_and_b32_e32 v6, 0xffff, v6
	v_and_b32_e32 v3, 0xffff, v3
	s_waitcnt lgkmcnt(0)
	v_lshrrev_b32_e32 v22, 16, v28
	v_and_b32_e32 v23, 0xffff, v28
	;;#ASMSTART
	v_cvt_f32_f16 v23, v23;
	;;#ASMEND
	;;#ASMSTART
	v_cvt_f32_f16 v22, v22;
	;;#ASMEND
	;; [unrolled: 3-line block ×4, first 2 shown]
	v_and_b32_e32 v9, 0xffff, v9
	v_mul_f32_e32 v3, v23, v6
	v_mul_f32_e32 v6, v22, v28
	v_lshrrev_b32_e32 v22, 16, v29
	v_and_b32_e32 v23, 0xffff, v29
	v_and_b32_e32 v10, 0xffff, v10
	;;#ASMSTART
	v_cvt_f32_f16 v28, v23;
	;;#ASMEND
	;;#ASMSTART
	v_cvt_f32_f16 v29, v22;
	;;#ASMEND
	;; [unrolled: 3-line block ×4, first 2 shown]
	ds_read_b64 v[22:23], v42 offset:16
	v_fma_mixlo_f16 v33, v47, v33, 0
	v_mul_f32_e32 v9, v28, v9
	v_mul_f32_e32 v10, v29, v10
	v_fmac_f32_e32 v9, v19, v16
	v_fmac_f32_e32 v10, v44, v17
	s_waitcnt lgkmcnt(0)
	v_lshrrev_b32_e32 v16, 16, v22
	v_and_b32_e32 v17, 0xffff, v22
	v_and_b32_e32 v19, 0xffff, v37
	v_and_b32_e32 v22, 0xffff, v33
	;;#ASMSTART
	v_cvt_f32_f16 v17, v17;
	;;#ASMEND
	;;#ASMSTART
	v_cvt_f32_f16 v16, v16;
	;;#ASMEND
	;; [unrolled: 3-line block ×4, first 2 shown]
	v_lshrrev_b32_e32 v22, 16, v23
	v_fmac_f32_e32 v3, v30, v54
	v_and_b32_e32 v23, 0xffff, v23
	;;#ASMSTART
	v_cvt_f32_f16 v29, v23;
	;;#ASMEND
	;;#ASMSTART
	v_cvt_f32_f16 v30, v22;
	;;#ASMEND
	v_and_b32_e32 v22, 0xffff, v62
	;;#ASMSTART
	v_cvt_f32_f16 v33, v22;
	;;#ASMEND
	v_and_b32_e32 v22, 0xffff, v27
	;;#ASMSTART
	v_cvt_f32_f16 v27, v22;
	;;#ASMEND
	ds_read_b64 v[22:23], v42 offset:24
	v_fmac_f32_e32 v6, v53, v49
	v_fmac_f32_e32 v3, v17, v19
	;; [unrolled: 1-line block ×3, first 2 shown]
	v_and_b32_e32 v19, 0xffff, v61
	s_waitcnt lgkmcnt(0)
	v_lshrrev_b32_e32 v16, 16, v22
	v_and_b32_e32 v17, 0xffff, v22
	v_and_b32_e32 v22, 0xffff, v31
	v_fma_mixlo_f16 v41, v47, v41, 0
	v_fmac_f32_e32 v10, v30, v27
	;;#ASMSTART
	v_cvt_f32_f16 v17, v17;
	;;#ASMEND
	;;#ASMSTART
	v_cvt_f32_f16 v16, v16;
	;;#ASMEND
	;; [unrolled: 3-line block ×4, first 2 shown]
	v_lshrrev_b32_e32 v22, 16, v23
	v_fma_mixlo_f16 v52, v47, v52, 0
	v_fmac_f32_e32 v9, v29, v33
	v_and_b32_e32 v23, 0xffff, v23
	;;#ASMSTART
	v_cvt_f32_f16 v28, v23;
	;;#ASMEND
	;;#ASMSTART
	v_cvt_f32_f16 v29, v22;
	;;#ASMEND
	v_and_b32_e32 v22, 0xffff, v41
	;;#ASMSTART
	v_cvt_f32_f16 v30, v22;
	;;#ASMEND
	v_and_b32_e32 v22, 0xffff, v52
	;;#ASMSTART
	v_cvt_f32_f16 v31, v22;
	;;#ASMEND
	ds_read_b64 v[22:23], v42 offset:32
	v_fma_mixlo_f16 v32, v47, v32, 0
	v_fmac_f32_e32 v3, v17, v19
	v_fmac_f32_e32 v6, v16, v27
	v_and_b32_e32 v19, 0xffff, v59
	s_waitcnt lgkmcnt(0)
	v_lshrrev_b32_e32 v16, 16, v22
	v_and_b32_e32 v17, 0xffff, v22
	v_and_b32_e32 v22, 0xffff, v32
	;;#ASMSTART
	v_cvt_f32_f16 v17, v17;
	;;#ASMEND
	;;#ASMSTART
	v_cvt_f32_f16 v16, v16;
	;;#ASMEND
	;; [unrolled: 3-line block ×4, first 2 shown]
	v_lshrrev_b32_e32 v22, 16, v23
	v_fma_mixlo_f16 v24, v47, v24, 0
	v_fmac_f32_e32 v9, v28, v30
	v_fmac_f32_e32 v10, v29, v31
	v_and_b32_e32 v23, 0xffff, v23
	;;#ASMSTART
	v_cvt_f32_f16 v28, v23;
	;;#ASMEND
	;;#ASMSTART
	v_cvt_f32_f16 v29, v22;
	;;#ASMEND
	v_and_b32_e32 v22, 0xffff, v26
	;;#ASMSTART
	v_cvt_f32_f16 v26, v22;
	;;#ASMEND
	v_and_b32_e32 v22, 0xffff, v24
	;;#ASMSTART
	v_cvt_f32_f16 v24, v22;
	;;#ASMEND
	ds_read_b64 v[22:23], v42 offset:40
	v_fmac_f32_e32 v3, v17, v19
	v_fmac_f32_e32 v6, v16, v27
	v_and_b32_e32 v19, 0xffff, v58
	v_fmac_f32_e32 v10, v29, v24
	s_waitcnt lgkmcnt(0)
	v_lshrrev_b32_e32 v16, 16, v22
	v_and_b32_e32 v17, 0xffff, v22
	v_and_b32_e32 v22, 0xffff, v56
	;;#ASMSTART
	v_cvt_f32_f16 v17, v17;
	;;#ASMEND
	;;#ASMSTART
	v_cvt_f32_f16 v16, v16;
	;;#ASMEND
	;;#ASMSTART
	v_cvt_f32_f16 v19, v19;
	;;#ASMEND
	;;#ASMSTART
	v_cvt_f32_f16 v24, v22;
	;;#ASMEND
	v_lshrrev_b32_e32 v22, 16, v23
	v_fmac_f32_e32 v9, v28, v26
	v_and_b32_e32 v23, 0xffff, v23
	;;#ASMSTART
	v_cvt_f32_f16 v26, v23;
	;;#ASMEND
	;;#ASMSTART
	v_cvt_f32_f16 v27, v22;
	;;#ASMEND
	v_and_b32_e32 v22, 0xffff, v51
	;;#ASMSTART
	v_cvt_f32_f16 v28, v22;
	;;#ASMEND
	v_and_b32_e32 v22, 0xffff, v25
	;;#ASMSTART
	v_cvt_f32_f16 v25, v22;
	;;#ASMEND
	ds_read_b64 v[22:23], v42 offset:48
	v_fma_mixlo_f16 v43, v47, v43, 0
	v_fmac_f32_e32 v3, v17, v19
	v_fmac_f32_e32 v6, v16, v24
	v_and_b32_e32 v19, 0xffff, v45
	s_waitcnt lgkmcnt(0)
	v_lshrrev_b32_e32 v16, 16, v22
	v_and_b32_e32 v17, 0xffff, v22
	v_and_b32_e32 v22, 0xffff, v43
	;;#ASMSTART
	v_cvt_f32_f16 v17, v17;
	;;#ASMEND
	;;#ASMSTART
	v_cvt_f32_f16 v16, v16;
	;;#ASMEND
	;; [unrolled: 3-line block ×4, first 2 shown]
	v_lshrrev_b32_e32 v22, 16, v23
	v_fmac_f32_e32 v9, v26, v28
	v_fmac_f32_e32 v10, v27, v25
	v_and_b32_e32 v23, 0xffff, v23
	;;#ASMSTART
	v_cvt_f32_f16 v25, v23;
	;;#ASMEND
	;;#ASMSTART
	v_cvt_f32_f16 v26, v22;
	;;#ASMEND
	v_and_b32_e32 v22, 0xffff, v48
	v_and_b32_e32 v11, 0xffff, v11
	;;#ASMSTART
	v_cvt_f32_f16 v27, v22;
	;;#ASMEND
	;;#ASMSTART
	v_cvt_f32_f16 v11, v11;
	;;#ASMEND
	ds_read_b64 v[22:23], v42 offset:56
	v_fma_mixlo_f16 v38, v47, v38, 0
	v_fma_mixlo_f16 v50, v47, v50, 0
	;; [unrolled: 1-line block ×3, first 2 shown]
	v_fmac_f32_e32 v3, v17, v19
	v_fmac_f32_e32 v6, v16, v24
	;; [unrolled: 1-line block ×3, first 2 shown]
	s_waitcnt lgkmcnt(0)
	v_lshrrev_b32_e32 v11, 16, v22
	v_and_b32_e32 v16, 0xffff, v22
	v_and_b32_e32 v17, 0xffff, v50
	;; [unrolled: 1-line block ×3, first 2 shown]
	v_lshrrev_b32_e32 v22, 16, v23
	v_and_b32_e32 v23, 0xffff, v23
	v_and_b32_e32 v18, 0xffff, v18
	;; [unrolled: 1-line block ×3, first 2 shown]
	v_fmac_f32_e32 v9, v25, v27
	;;#ASMSTART
	v_cvt_f32_f16 v16, v16;
	;;#ASMEND
	;;#ASMSTART
	v_cvt_f32_f16 v11, v11;
	;;#ASMEND
	;; [unrolled: 3-line block ×8, first 2 shown]
	ds_read_b64 v[22:23], v42 offset:64
	v_fma_mixlo_f16 v13, v47, v13, 0
	v_fmac_f32_e32 v3, v16, v17
	v_fmac_f32_e32 v6, v11, v19
	;; [unrolled: 1-line block ×4, first 2 shown]
	s_waitcnt lgkmcnt(0)
	v_lshrrev_b32_e32 v11, 16, v22
	v_and_b32_e32 v14, 0xffff, v22
	v_and_b32_e32 v16, 0xffff, v55
	;; [unrolled: 1-line block ×3, first 2 shown]
	v_lshrrev_b32_e32 v18, 16, v23
	v_and_b32_e32 v19, 0xffff, v23
	v_and_b32_e32 v13, 0xffff, v13
	v_and_b32_e32 v12, 0xffff, v12
	;;#ASMSTART
	v_cvt_f32_f16 v14, v14;
	;;#ASMEND
	;;#ASMSTART
	v_cvt_f32_f16 v11, v11;
	;;#ASMEND
	;; [unrolled: 3-line block ×8, first 2 shown]
	ds_read_b64 v[12:13], v42 offset:72
	v_fmac_f32_e32 v6, v11, v17
	v_fmac_f32_e32 v3, v14, v16
	v_fma_mixlo_f16 v21, v47, v21, 0
	v_fmac_f32_e32 v9, v19, v20
	s_waitcnt lgkmcnt(0)
	v_lshrrev_b32_e32 v11, 16, v12
	v_and_b32_e32 v12, 0xffff, v12
	;;#ASMSTART
	v_cvt_f32_f16 v14, v12;
	;;#ASMEND
	v_and_b32_e32 v12, 0xffff, v39
	;;#ASMSTART
	v_cvt_f32_f16 v11, v11;
	;;#ASMEND
	;;#ASMSTART
	v_cvt_f32_f16 v16, v12;
	;;#ASMEND
	v_and_b32_e32 v12, 0xffff, v36
	;;#ASMSTART
	v_cvt_f32_f16 v17, v12;
	;;#ASMEND
	v_lshrrev_b32_e32 v12, 16, v13
	v_fmac_f32_e32 v10, v18, v22
	v_and_b32_e32 v13, 0xffff, v13
	;;#ASMSTART
	v_cvt_f32_f16 v18, v13;
	;;#ASMEND
	;;#ASMSTART
	v_cvt_f32_f16 v19, v12;
	;;#ASMEND
	v_and_b32_e32 v12, 0xffff, v21
	;;#ASMSTART
	v_cvt_f32_f16 v20, v12;
	;;#ASMEND
	v_and_b32_e32 v12, 0xffff, v15
	;;#ASMSTART
	v_cvt_f32_f16 v15, v12;
	;;#ASMEND
	ds_read_b64 v[12:13], v42 offset:80
	v_fmac_f32_e32 v6, v11, v17
	v_fmac_f32_e32 v3, v14, v16
	;; [unrolled: 1-line block ×3, first 2 shown]
	v_and_b32_e32 v4, 0xffff, v4
	s_waitcnt lgkmcnt(0)
	v_lshrrev_b32_e32 v11, 16, v12
	v_and_b32_e32 v12, 0xffff, v12
	;;#ASMSTART
	v_cvt_f32_f16 v14, v12;
	;;#ASMEND
	v_and_b32_e32 v12, 0xffff, v35
	;;#ASMSTART
	v_cvt_f32_f16 v11, v11;
	;;#ASMEND
	;;#ASMSTART
	v_cvt_f32_f16 v15, v12;
	;;#ASMEND
	v_and_b32_e32 v12, 0xffff, v34
	;;#ASMSTART
	v_cvt_f32_f16 v16, v12;
	;;#ASMEND
	v_lshrrev_b32_e32 v12, 16, v13
	v_and_b32_e32 v13, 0xffff, v13
	v_and_b32_e32 v2, 0xffff, v2
	v_fmac_f32_e32 v9, v18, v20
	;;#ASMSTART
	v_cvt_f32_f16 v17, v13;
	;;#ASMEND
	;;#ASMSTART
	v_cvt_f32_f16 v18, v12;
	;;#ASMEND
	;; [unrolled: 3-line block ×4, first 2 shown]
	ds_read_b64 v[12:13], v42 offset:88
	v_fmac_f32_e32 v9, v17, v4
	v_fmac_f32_e32 v10, v18, v2
	v_fma_mixlo_f16 v1, v47, v57, 0
	v_fma_mixlo_f16 v0, v47, v60, 0
	s_waitcnt lgkmcnt(0)
	v_lshrrev_b32_e32 v2, 16, v12
	v_and_b32_e32 v4, 0xffff, v12
	v_fmac_f32_e32 v3, v14, v15
	v_fmac_f32_e32 v6, v11, v16
	;;#ASMSTART
	v_cvt_f32_f16 v4, v4;
	;;#ASMEND
	;;#ASMSTART
	v_cvt_f32_f16 v2, v2;
	;;#ASMEND
	v_and_b32_e32 v8, 0xffff, v8
	v_and_b32_e32 v7, 0xffff, v7
	;;#ASMSTART
	v_cvt_f32_f16 v8, v8;
	;;#ASMEND
	;;#ASMSTART
	v_cvt_f32_f16 v7, v7;
	;;#ASMEND
	v_and_b32_e32 v1, 0xffff, v1
	v_fmac_f32_e32 v3, v4, v8
	v_fmac_f32_e32 v6, v2, v7
	v_lshrrev_b32_e32 v2, 16, v13
	v_and_b32_e32 v4, 0xffff, v13
	v_and_b32_e32 v0, 0xffff, v0
	;;#ASMSTART
	v_cvt_f32_f16 v4, v4;
	;;#ASMEND
	;;#ASMSTART
	v_cvt_f32_f16 v2, v2;
	;;#ASMEND
	;; [unrolled: 3-line block ×4, first 2 shown]
	s_nop 0
	v_fmac_f32_e32 v10, v2, v0
	v_add_f32_e32 v0, v3, v6
	v_accvgpr_read_b32 v3, a41
	v_and_b32_e32 v2, 64, v3
	v_fmac_f32_e32 v9, v4, v1
	v_xor_b32_e32 v1, 1, v3
	v_add_u32_e32 v2, 64, v2
	v_cmp_lt_i32_e64 s[4:5], v1, v2
	v_add_f32_e32 v0, v0, v9
	v_add_f32_e32 v0, v10, v0
	v_cndmask_b32_e64 v1, v3, v1, s[4:5]
	v_lshlrev_b32_e32 v1, 2, v1
	ds_bpermute_b32 v1, v1, v0
	s_and_saveexec_b64 s[22:23], vcc
	s_cbranch_execz .LBB261_10
; %bb.208:                              ;   in Loop: Header=BB261_12 Depth=1
	scratch_load_dword v4, off, s32 offset:112 ; 4-byte Folded Reload
	v_accvgpr_read_b32 v2, a39
	v_add_u32_e32 v2, v2, v40
	v_cvt_f32_i32_e32 v2, v2
	s_waitcnt lgkmcnt(0)
	v_add_f32_e32 v0, v0, v1
	v_accvgpr_read_b32 v1, a27
	s_load_dword s4, s[12:13], 0x0
	v_accvgpr_read_b32 v3, a31
	v_add_u32_e32 v3, v3, v40
	s_waitcnt vmcnt(0)
	v_mul_f32_e32 v2, v4, v2
	v_cndmask_b32_e64 v2, 0, v2, s[2:3]
	v_fmac_f32_e32 v2, v0, v1
	scratch_load_dword v1, off, s32 offset:108 ; 4-byte Folded Reload
	v_accvgpr_read_b32 v4, a40
	v_accvgpr_read_b32 v0, a8
	s_waitcnt lgkmcnt(0)
	v_add_u32_e32 v4, s4, v4
	v_cmp_lt_i32_e64 s[4:5], v3, v0
	s_nop 1
	v_cndmask_b32_e64 v0, 0, v2, s[4:5]
	ds_write_b32 v4, v0
	s_waitcnt vmcnt(0)
	v_max_f32_e32 v0, v1, v1
	v_max_f32_e32 v0, v0, v2
	v_cndmask_b32_e64 v1, v1, v0, s[4:5]
	scratch_store_dword off, v1, s32 offset:108 ; 4-byte Folded Spill
	s_branch .LBB261_10
.LBB261_209:                            ;   in Loop: Header=BB261_12 Depth=1
	v_cmp_eq_u16_sdwa s[30:31], v36, s28 src0_sel:BYTE_0 src1_sel:DWORD
	s_mov_b64 s[4:5], -1
                                        ; implicit-def: $sgpr26
	s_and_saveexec_b64 s[24:25], s[30:31]
; %bb.210:                              ;   in Loop: Header=BB261_12 Depth=1
	s_mov_b32 s26, 0x7fc02000
	s_xor_b64 s[4:5], exec, -1
; %bb.211:                              ;   in Loop: Header=BB261_12 Depth=1
	s_or_b64 exec, exec, s[24:25]
	s_and_b64 s[4:5], s[4:5], exec
	s_or_saveexec_b64 s[22:23], s[22:23]
	v_mov_b32_e32 v17, s26
	s_xor_b64 exec, exec, s[22:23]
	s_cbranch_execz .LBB261_17
.LBB261_212:                            ;   in Loop: Header=BB261_12 Depth=1
	v_cmp_ne_u16_sdwa s[24:25], v36, v5 src0_sel:BYTE_0 src1_sel:DWORD
	s_andn2_b64 s[4:5], s[4:5], exec
	s_and_b64 s[24:25], s[24:25], exec
	v_mov_b32_e32 v17, 0
	s_or_b64 s[4:5], s[4:5], s[24:25]
	s_or_b64 exec, exec, s[22:23]
	s_and_saveexec_b64 s[22:23], s[4:5]
	s_cbranch_execnz .LBB261_18
	s_branch .LBB261_19
.LBB261_213:                            ;   in Loop: Header=BB261_12 Depth=1
	v_cmp_eq_u16_e64 s[4:5], s28, v4
	s_mov_b64 s[22:23], -1
                                        ; implicit-def: $sgpr30
	s_and_saveexec_b64 s[26:27], s[4:5]
; %bb.214:                              ;   in Loop: Header=BB261_12 Depth=1
	s_mov_b32 s30, 0x7fc02000
	s_xor_b64 s[22:23], exec, -1
; %bb.215:                              ;   in Loop: Header=BB261_12 Depth=1
	s_or_b64 exec, exec, s[26:27]
	s_and_b64 s[22:23], s[22:23], exec
	s_or_saveexec_b64 s[24:25], s[24:25]
	v_mov_b32_e32 v19, s30
	s_xor_b64 exec, exec, s[24:25]
	s_cbranch_execz .LBB261_21
.LBB261_216:                            ;   in Loop: Header=BB261_12 Depth=1
	v_cmp_ne_u16_e64 s[4:5], 0, v4
	s_andn2_b64 s[22:23], s[22:23], exec
	s_and_b64 s[4:5], s[4:5], exec
	v_mov_b32_e32 v19, 0
	s_or_b64 s[22:23], s[22:23], s[4:5]
	s_or_b64 exec, exec, s[24:25]
	s_and_saveexec_b64 s[24:25], s[22:23]
	s_cbranch_execnz .LBB261_22
	s_branch .LBB261_23
.LBB261_217:                            ;   in Loop: Header=BB261_12 Depth=1
	v_cmp_eq_u16_sdwa s[30:31], v4, s28 src0_sel:BYTE_0 src1_sel:DWORD
	s_mov_b64 s[4:5], -1
                                        ; implicit-def: $sgpr26
	s_and_saveexec_b64 s[24:25], s[30:31]
; %bb.218:                              ;   in Loop: Header=BB261_12 Depth=1
	s_mov_b32 s26, 0x7fc02000
	s_xor_b64 s[4:5], exec, -1
; %bb.219:                              ;   in Loop: Header=BB261_12 Depth=1
	s_or_b64 exec, exec, s[24:25]
	s_and_b64 s[4:5], s[4:5], exec
	s_or_saveexec_b64 s[22:23], s[22:23]
	v_mov_b32_e32 v30, s26
	s_xor_b64 exec, exec, s[22:23]
	s_cbranch_execz .LBB261_25
.LBB261_220:                            ;   in Loop: Header=BB261_12 Depth=1
	v_cmp_ne_u16_sdwa s[24:25], v4, v5 src0_sel:BYTE_0 src1_sel:DWORD
	s_andn2_b64 s[4:5], s[4:5], exec
	s_and_b64 s[24:25], s[24:25], exec
	v_mov_b32_e32 v30, 0
	s_or_b64 s[4:5], s[4:5], s[24:25]
	s_or_b64 exec, exec, s[22:23]
	s_and_saveexec_b64 s[22:23], s[4:5]
	s_cbranch_execnz .LBB261_26
	s_branch .LBB261_27
.LBB261_221:                            ;   in Loop: Header=BB261_12 Depth=1
	v_cmp_eq_u16_e64 s[4:5], s28, v4
	s_mov_b64 s[22:23], -1
                                        ; implicit-def: $sgpr30
	s_and_saveexec_b64 s[26:27], s[4:5]
; %bb.222:                              ;   in Loop: Header=BB261_12 Depth=1
	s_mov_b32 s30, 0x7fc02000
	s_xor_b64 s[22:23], exec, -1
; %bb.223:                              ;   in Loop: Header=BB261_12 Depth=1
	s_or_b64 exec, exec, s[26:27]
	s_and_b64 s[22:23], s[22:23], exec
	s_or_saveexec_b64 s[24:25], s[24:25]
	v_mov_b32_e32 v49, s30
	s_xor_b64 exec, exec, s[24:25]
	s_cbranch_execz .LBB261_29
.LBB261_224:                            ;   in Loop: Header=BB261_12 Depth=1
	v_cmp_ne_u16_e64 s[4:5], 0, v4
	s_andn2_b64 s[22:23], s[22:23], exec
	s_and_b64 s[4:5], s[4:5], exec
	v_mov_b32_e32 v49, 0
	s_or_b64 s[22:23], s[22:23], s[4:5]
	s_or_b64 exec, exec, s[24:25]
	s_and_saveexec_b64 s[24:25], s[22:23]
	s_cbranch_execnz .LBB261_30
	s_branch .LBB261_31
.LBB261_225:                            ;   in Loop: Header=BB261_12 Depth=1
	v_cmp_eq_u16_sdwa s[30:31], v36, s28 src0_sel:BYTE_0 src1_sel:DWORD
	s_mov_b64 s[4:5], -1
                                        ; implicit-def: $sgpr26
	s_and_saveexec_b64 s[24:25], s[30:31]
; %bb.226:                              ;   in Loop: Header=BB261_12 Depth=1
	s_mov_b32 s26, 0x7fc02000
	s_xor_b64 s[4:5], exec, -1
; %bb.227:                              ;   in Loop: Header=BB261_12 Depth=1
	s_or_b64 exec, exec, s[24:25]
	s_and_b64 s[4:5], s[4:5], exec
	s_or_saveexec_b64 s[22:23], s[22:23]
	v_mov_b32_e32 v53, s26
	s_xor_b64 exec, exec, s[22:23]
	s_cbranch_execz .LBB261_33
.LBB261_228:                            ;   in Loop: Header=BB261_12 Depth=1
	v_cmp_ne_u16_sdwa s[24:25], v36, v5 src0_sel:BYTE_0 src1_sel:DWORD
	s_andn2_b64 s[4:5], s[4:5], exec
	s_and_b64 s[24:25], s[24:25], exec
	v_mov_b32_e32 v53, 0
	s_or_b64 s[4:5], s[4:5], s[24:25]
	s_or_b64 exec, exec, s[22:23]
	s_and_saveexec_b64 s[22:23], s[4:5]
	s_cbranch_execnz .LBB261_34
	s_branch .LBB261_35
.LBB261_229:                            ;   in Loop: Header=BB261_12 Depth=1
	v_cmp_eq_u16_e64 s[4:5], s28, v4
	s_mov_b64 s[22:23], -1
                                        ; implicit-def: $sgpr30
	s_and_saveexec_b64 s[26:27], s[4:5]
; %bb.230:                              ;   in Loop: Header=BB261_12 Depth=1
	s_mov_b32 s30, 0x7fc02000
	s_xor_b64 s[22:23], exec, -1
; %bb.231:                              ;   in Loop: Header=BB261_12 Depth=1
	s_or_b64 exec, exec, s[26:27]
	s_and_b64 s[22:23], s[22:23], exec
	s_or_saveexec_b64 s[24:25], s[24:25]
	v_mov_b32_e32 v54, s30
	s_xor_b64 exec, exec, s[24:25]
	s_cbranch_execz .LBB261_37
.LBB261_232:                            ;   in Loop: Header=BB261_12 Depth=1
	v_cmp_ne_u16_e64 s[4:5], 0, v4
	s_andn2_b64 s[22:23], s[22:23], exec
	s_and_b64 s[4:5], s[4:5], exec
	v_mov_b32_e32 v54, 0
	s_or_b64 s[22:23], s[22:23], s[4:5]
	s_or_b64 exec, exec, s[24:25]
	s_and_saveexec_b64 s[24:25], s[22:23]
	s_cbranch_execnz .LBB261_38
	s_branch .LBB261_39
.LBB261_233:                            ;   in Loop: Header=BB261_12 Depth=1
	v_cmp_eq_u16_sdwa s[30:31], v4, s28 src0_sel:BYTE_0 src1_sel:DWORD
	s_mov_b64 s[4:5], -1
                                        ; implicit-def: $sgpr26
	s_and_saveexec_b64 s[24:25], s[30:31]
; %bb.234:                              ;   in Loop: Header=BB261_12 Depth=1
	s_mov_b32 s26, 0x7fc02000
	s_xor_b64 s[4:5], exec, -1
; %bb.235:                              ;   in Loop: Header=BB261_12 Depth=1
	s_or_b64 exec, exec, s[24:25]
	s_and_b64 s[4:5], s[4:5], exec
	s_or_saveexec_b64 s[22:23], s[22:23]
	v_mov_b32_e32 v42, s26
	s_xor_b64 exec, exec, s[22:23]
	s_cbranch_execz .LBB261_41
.LBB261_236:                            ;   in Loop: Header=BB261_12 Depth=1
	v_cmp_ne_u16_sdwa s[24:25], v4, v5 src0_sel:BYTE_0 src1_sel:DWORD
	s_andn2_b64 s[4:5], s[4:5], exec
	s_and_b64 s[24:25], s[24:25], exec
	v_mov_b32_e32 v42, 0
	s_or_b64 s[4:5], s[4:5], s[24:25]
	s_or_b64 exec, exec, s[22:23]
	s_and_saveexec_b64 s[22:23], s[4:5]
	s_cbranch_execnz .LBB261_42
	s_branch .LBB261_43
.LBB261_237:                            ;   in Loop: Header=BB261_12 Depth=1
	v_cmp_eq_u16_e64 s[4:5], s28, v4
	s_mov_b64 s[22:23], -1
                                        ; implicit-def: $sgpr30
	s_and_saveexec_b64 s[26:27], s[4:5]
; %bb.238:                              ;   in Loop: Header=BB261_12 Depth=1
	s_mov_b32 s30, 0x7fc02000
	s_xor_b64 s[22:23], exec, -1
; %bb.239:                              ;   in Loop: Header=BB261_12 Depth=1
	s_or_b64 exec, exec, s[26:27]
	s_and_b64 s[22:23], s[22:23], exec
	s_or_saveexec_b64 s[24:25], s[24:25]
	v_mov_b32_e32 v44, s30
	s_xor_b64 exec, exec, s[24:25]
	s_cbranch_execz .LBB261_45
.LBB261_240:                            ;   in Loop: Header=BB261_12 Depth=1
	v_cmp_ne_u16_e64 s[4:5], 0, v4
	s_andn2_b64 s[22:23], s[22:23], exec
	s_and_b64 s[4:5], s[4:5], exec
	v_mov_b32_e32 v44, 0
	s_or_b64 s[22:23], s[22:23], s[4:5]
	s_or_b64 exec, exec, s[24:25]
	s_and_saveexec_b64 s[24:25], s[22:23]
	s_cbranch_execnz .LBB261_46
	s_branch .LBB261_47
.LBB261_241:                            ;   in Loop: Header=BB261_12 Depth=1
	v_cmp_eq_u16_sdwa s[30:31], v36, s28 src0_sel:BYTE_0 src1_sel:DWORD
	s_mov_b64 s[4:5], -1
                                        ; implicit-def: $sgpr26
	s_and_saveexec_b64 s[24:25], s[30:31]
; %bb.242:                              ;   in Loop: Header=BB261_12 Depth=1
	s_mov_b32 s26, 0x7fc02000
	s_xor_b64 s[4:5], exec, -1
; %bb.243:                              ;   in Loop: Header=BB261_12 Depth=1
	s_or_b64 exec, exec, s[24:25]
	s_and_b64 s[4:5], s[4:5], exec
	s_or_saveexec_b64 s[22:23], s[22:23]
	v_mov_b32_e32 v3, s26
	s_xor_b64 exec, exec, s[22:23]
	s_cbranch_execz .LBB261_49
.LBB261_244:                            ;   in Loop: Header=BB261_12 Depth=1
	v_cmp_ne_u16_sdwa s[24:25], v36, v5 src0_sel:BYTE_0 src1_sel:DWORD
	s_andn2_b64 s[4:5], s[4:5], exec
	s_and_b64 s[24:25], s[24:25], exec
	v_mov_b32_e32 v3, 0
	s_or_b64 s[4:5], s[4:5], s[24:25]
	s_or_b64 exec, exec, s[22:23]
	s_and_saveexec_b64 s[22:23], s[4:5]
	s_cbranch_execnz .LBB261_50
	s_branch .LBB261_51
.LBB261_245:                            ;   in Loop: Header=BB261_12 Depth=1
	v_cmp_eq_u16_e64 s[4:5], s28, v4
	s_mov_b64 s[22:23], -1
                                        ; implicit-def: $sgpr30
	s_and_saveexec_b64 s[26:27], s[4:5]
; %bb.246:                              ;   in Loop: Header=BB261_12 Depth=1
	s_mov_b32 s30, 0x7fc02000
	s_xor_b64 s[22:23], exec, -1
; %bb.247:                              ;   in Loop: Header=BB261_12 Depth=1
	s_or_b64 exec, exec, s[26:27]
	s_and_b64 s[22:23], s[22:23], exec
	s_or_saveexec_b64 s[24:25], s[24:25]
	v_mov_b32_e32 v33, s30
	s_xor_b64 exec, exec, s[24:25]
	s_cbranch_execz .LBB261_53
.LBB261_248:                            ;   in Loop: Header=BB261_12 Depth=1
	v_cmp_ne_u16_e64 s[4:5], 0, v4
	s_andn2_b64 s[22:23], s[22:23], exec
	s_and_b64 s[4:5], s[4:5], exec
	v_mov_b32_e32 v33, 0
	s_or_b64 s[22:23], s[22:23], s[4:5]
	s_or_b64 exec, exec, s[24:25]
	s_and_saveexec_b64 s[24:25], s[22:23]
	s_cbranch_execnz .LBB261_54
	s_branch .LBB261_55
.LBB261_249:                            ;   in Loop: Header=BB261_12 Depth=1
	v_cmp_eq_u16_sdwa s[30:31], v4, s28 src0_sel:BYTE_0 src1_sel:DWORD
	s_mov_b64 s[4:5], -1
                                        ; implicit-def: $sgpr26
	s_and_saveexec_b64 s[24:25], s[30:31]
; %bb.250:                              ;   in Loop: Header=BB261_12 Depth=1
	s_mov_b32 s26, 0x7fc02000
	s_xor_b64 s[4:5], exec, -1
; %bb.251:                              ;   in Loop: Header=BB261_12 Depth=1
	s_or_b64 exec, exec, s[24:25]
	s_and_b64 s[4:5], s[4:5], exec
	s_or_saveexec_b64 s[22:23], s[22:23]
	v_mov_b32_e32 v28, s26
	s_xor_b64 exec, exec, s[22:23]
	s_cbranch_execz .LBB261_57
.LBB261_252:                            ;   in Loop: Header=BB261_12 Depth=1
	v_cmp_ne_u16_sdwa s[24:25], v4, v5 src0_sel:BYTE_0 src1_sel:DWORD
	s_andn2_b64 s[4:5], s[4:5], exec
	s_and_b64 s[24:25], s[24:25], exec
	v_mov_b32_e32 v28, 0
	s_or_b64 s[4:5], s[4:5], s[24:25]
	s_or_b64 exec, exec, s[22:23]
	s_and_saveexec_b64 s[22:23], s[4:5]
	s_cbranch_execnz .LBB261_58
	s_branch .LBB261_59
.LBB261_253:                            ;   in Loop: Header=BB261_12 Depth=1
	v_cmp_eq_u16_e64 s[4:5], s28, v4
	s_mov_b64 s[22:23], -1
                                        ; implicit-def: $sgpr30
	s_and_saveexec_b64 s[26:27], s[4:5]
; %bb.254:                              ;   in Loop: Header=BB261_12 Depth=1
	s_mov_b32 s30, 0x7fc02000
	s_xor_b64 s[22:23], exec, -1
; %bb.255:                              ;   in Loop: Header=BB261_12 Depth=1
	s_or_b64 exec, exec, s[26:27]
	s_and_b64 s[22:23], s[22:23], exec
	s_or_saveexec_b64 s[24:25], s[24:25]
	v_mov_b32_e32 v29, s30
	s_xor_b64 exec, exec, s[24:25]
	s_cbranch_execz .LBB261_61
.LBB261_256:                            ;   in Loop: Header=BB261_12 Depth=1
	v_cmp_ne_u16_e64 s[4:5], 0, v4
	s_andn2_b64 s[22:23], s[22:23], exec
	s_and_b64 s[4:5], s[4:5], exec
	v_mov_b32_e32 v29, 0
	s_or_b64 s[22:23], s[22:23], s[4:5]
	s_or_b64 exec, exec, s[24:25]
	s_and_saveexec_b64 s[24:25], s[22:23]
	s_cbranch_execnz .LBB261_62
	s_branch .LBB261_63
.LBB261_257:                            ;   in Loop: Header=BB261_12 Depth=1
	v_cmp_eq_u16_sdwa s[30:31], v36, s28 src0_sel:BYTE_0 src1_sel:DWORD
	s_mov_b64 s[4:5], -1
                                        ; implicit-def: $sgpr26
	s_and_saveexec_b64 s[24:25], s[30:31]
; %bb.258:                              ;   in Loop: Header=BB261_12 Depth=1
	s_mov_b32 s26, 0x7fc02000
	s_xor_b64 s[4:5], exec, -1
; %bb.259:                              ;   in Loop: Header=BB261_12 Depth=1
	s_or_b64 exec, exec, s[24:25]
	s_and_b64 s[4:5], s[4:5], exec
	s_or_saveexec_b64 s[22:23], s[22:23]
	v_mov_b32_e32 v0, s26
	s_xor_b64 exec, exec, s[22:23]
	s_cbranch_execz .LBB261_65
.LBB261_260:                            ;   in Loop: Header=BB261_12 Depth=1
	v_cmp_ne_u16_sdwa s[24:25], v36, v5 src0_sel:BYTE_0 src1_sel:DWORD
	s_andn2_b64 s[4:5], s[4:5], exec
	s_and_b64 s[24:25], s[24:25], exec
	v_mov_b32_e32 v0, 0
	s_or_b64 s[4:5], s[4:5], s[24:25]
	s_or_b64 exec, exec, s[22:23]
	s_and_saveexec_b64 s[22:23], s[4:5]
	s_cbranch_execnz .LBB261_66
	s_branch .LBB261_67
.LBB261_261:                            ;   in Loop: Header=BB261_12 Depth=1
	v_cmp_eq_u16_e64 s[4:5], s28, v4
	s_mov_b64 s[22:23], -1
                                        ; implicit-def: $sgpr30
	s_and_saveexec_b64 s[26:27], s[4:5]
; %bb.262:                              ;   in Loop: Header=BB261_12 Depth=1
	s_mov_b32 s30, 0x7fc02000
	s_xor_b64 s[22:23], exec, -1
; %bb.263:                              ;   in Loop: Header=BB261_12 Depth=1
	s_or_b64 exec, exec, s[26:27]
	s_and_b64 s[22:23], s[22:23], exec
	s_or_saveexec_b64 s[24:25], s[24:25]
	v_mov_b32_e32 v1, s30
	s_xor_b64 exec, exec, s[24:25]
	s_cbranch_execz .LBB261_69
.LBB261_264:                            ;   in Loop: Header=BB261_12 Depth=1
	v_cmp_ne_u16_e64 s[4:5], 0, v4
	s_andn2_b64 s[22:23], s[22:23], exec
	s_and_b64 s[4:5], s[4:5], exec
	v_mov_b32_e32 v1, 0
	s_or_b64 s[22:23], s[22:23], s[4:5]
	s_or_b64 exec, exec, s[24:25]
	s_and_saveexec_b64 s[24:25], s[22:23]
	s_cbranch_execnz .LBB261_70
	s_branch .LBB261_71
.LBB261_265:                            ;   in Loop: Header=BB261_12 Depth=1
	v_cmp_eq_u16_sdwa s[30:31], v4, s28 src0_sel:BYTE_0 src1_sel:DWORD
	s_mov_b64 s[4:5], -1
                                        ; implicit-def: $sgpr26
	s_and_saveexec_b64 s[24:25], s[30:31]
; %bb.266:                              ;   in Loop: Header=BB261_12 Depth=1
	s_mov_b32 s26, 0x7fc02000
	s_xor_b64 s[4:5], exec, -1
; %bb.267:                              ;   in Loop: Header=BB261_12 Depth=1
	s_or_b64 exec, exec, s[24:25]
	s_and_b64 s[4:5], s[4:5], exec
	s_or_saveexec_b64 s[22:23], s[22:23]
	v_mov_b32_e32 v41, s26
	s_xor_b64 exec, exec, s[22:23]
	s_cbranch_execz .LBB261_73
.LBB261_268:                            ;   in Loop: Header=BB261_12 Depth=1
	v_cmp_ne_u16_sdwa s[24:25], v4, v5 src0_sel:BYTE_0 src1_sel:DWORD
	s_andn2_b64 s[4:5], s[4:5], exec
	s_and_b64 s[24:25], s[24:25], exec
	v_mov_b32_e32 v41, 0
	s_or_b64 s[4:5], s[4:5], s[24:25]
	s_or_b64 exec, exec, s[22:23]
	s_and_saveexec_b64 s[22:23], s[4:5]
	s_cbranch_execnz .LBB261_74
	s_branch .LBB261_75
.LBB261_269:                            ;   in Loop: Header=BB261_12 Depth=1
	v_cmp_eq_u16_e64 s[4:5], s28, v4
	s_mov_b64 s[22:23], -1
                                        ; implicit-def: $sgpr30
	s_and_saveexec_b64 s[26:27], s[4:5]
; %bb.270:                              ;   in Loop: Header=BB261_12 Depth=1
	s_mov_b32 s30, 0x7fc02000
	s_xor_b64 s[22:23], exec, -1
; %bb.271:                              ;   in Loop: Header=BB261_12 Depth=1
	s_or_b64 exec, exec, s[26:27]
	s_and_b64 s[22:23], s[22:23], exec
	s_or_saveexec_b64 s[24:25], s[24:25]
	v_mov_b32_e32 v52, s30
	s_xor_b64 exec, exec, s[24:25]
	s_cbranch_execz .LBB261_77
.LBB261_272:                            ;   in Loop: Header=BB261_12 Depth=1
	v_cmp_ne_u16_e64 s[4:5], 0, v4
	s_andn2_b64 s[22:23], s[22:23], exec
	s_and_b64 s[4:5], s[4:5], exec
	v_mov_b32_e32 v52, 0
	s_or_b64 s[22:23], s[22:23], s[4:5]
	s_or_b64 exec, exec, s[24:25]
	s_and_saveexec_b64 s[24:25], s[22:23]
	s_cbranch_execnz .LBB261_78
	s_branch .LBB261_79
.LBB261_273:                            ;   in Loop: Header=BB261_12 Depth=1
	v_cmp_eq_u16_sdwa s[30:31], v36, s28 src0_sel:BYTE_0 src1_sel:DWORD
	s_mov_b64 s[4:5], -1
                                        ; implicit-def: $sgpr26
	s_and_saveexec_b64 s[24:25], s[30:31]
; %bb.274:                              ;   in Loop: Header=BB261_12 Depth=1
	s_mov_b32 s26, 0x7fc02000
	s_xor_b64 s[4:5], exec, -1
; %bb.275:                              ;   in Loop: Header=BB261_12 Depth=1
	s_or_b64 exec, exec, s[24:25]
	s_and_b64 s[4:5], s[4:5], exec
	s_or_saveexec_b64 s[22:23], s[22:23]
	v_mov_b32_e32 v26, s26
	s_xor_b64 exec, exec, s[22:23]
	s_cbranch_execz .LBB261_81
.LBB261_276:                            ;   in Loop: Header=BB261_12 Depth=1
	v_cmp_ne_u16_sdwa s[24:25], v36, v5 src0_sel:BYTE_0 src1_sel:DWORD
	s_andn2_b64 s[4:5], s[4:5], exec
	s_and_b64 s[24:25], s[24:25], exec
	v_mov_b32_e32 v26, 0
	s_or_b64 s[4:5], s[4:5], s[24:25]
	s_or_b64 exec, exec, s[22:23]
	s_and_saveexec_b64 s[22:23], s[4:5]
	s_cbranch_execnz .LBB261_82
	s_branch .LBB261_83
.LBB261_277:                            ;   in Loop: Header=BB261_12 Depth=1
	v_cmp_eq_u16_e64 s[4:5], s28, v4
	s_mov_b64 s[22:23], -1
                                        ; implicit-def: $sgpr30
	s_and_saveexec_b64 s[26:27], s[4:5]
; %bb.278:                              ;   in Loop: Header=BB261_12 Depth=1
	s_mov_b32 s30, 0x7fc02000
	s_xor_b64 s[22:23], exec, -1
; %bb.279:                              ;   in Loop: Header=BB261_12 Depth=1
	s_or_b64 exec, exec, s[26:27]
	s_and_b64 s[22:23], s[22:23], exec
	s_or_saveexec_b64 s[24:25], s[24:25]
	v_mov_b32_e32 v32, s30
	s_xor_b64 exec, exec, s[24:25]
	s_cbranch_execz .LBB261_85
.LBB261_280:                            ;   in Loop: Header=BB261_12 Depth=1
	v_cmp_ne_u16_e64 s[4:5], 0, v4
	s_andn2_b64 s[22:23], s[22:23], exec
	s_and_b64 s[4:5], s[4:5], exec
	v_mov_b32_e32 v32, 0
	s_or_b64 s[22:23], s[22:23], s[4:5]
	s_or_b64 exec, exec, s[24:25]
	s_and_saveexec_b64 s[24:25], s[22:23]
	s_cbranch_execnz .LBB261_86
	s_branch .LBB261_87
.LBB261_281:                            ;   in Loop: Header=BB261_12 Depth=1
	v_cmp_eq_u16_sdwa s[30:31], v4, s28 src0_sel:BYTE_0 src1_sel:DWORD
	s_mov_b64 s[4:5], -1
                                        ; implicit-def: $sgpr26
	s_and_saveexec_b64 s[24:25], s[30:31]
; %bb.282:                              ;   in Loop: Header=BB261_12 Depth=1
	s_mov_b32 s26, 0x7fc02000
	s_xor_b64 s[4:5], exec, -1
; %bb.283:                              ;   in Loop: Header=BB261_12 Depth=1
	s_or_b64 exec, exec, s[24:25]
	s_and_b64 s[4:5], s[4:5], exec
	s_or_saveexec_b64 s[22:23], s[22:23]
	v_mov_b32_e32 v31, s26
	s_xor_b64 exec, exec, s[22:23]
	s_cbranch_execz .LBB261_89
.LBB261_284:                            ;   in Loop: Header=BB261_12 Depth=1
	v_cmp_ne_u16_sdwa s[24:25], v4, v5 src0_sel:BYTE_0 src1_sel:DWORD
	s_andn2_b64 s[4:5], s[4:5], exec
	s_and_b64 s[24:25], s[24:25], exec
	v_mov_b32_e32 v31, 0
	s_or_b64 s[4:5], s[4:5], s[24:25]
	s_or_b64 exec, exec, s[22:23]
	s_and_saveexec_b64 s[22:23], s[4:5]
	s_cbranch_execnz .LBB261_90
	s_branch .LBB261_91
.LBB261_285:                            ;   in Loop: Header=BB261_12 Depth=1
	v_cmp_eq_u16_e64 s[4:5], s28, v4
	s_mov_b64 s[22:23], -1
                                        ; implicit-def: $sgpr30
	s_and_saveexec_b64 s[26:27], s[4:5]
; %bb.286:                              ;   in Loop: Header=BB261_12 Depth=1
	s_mov_b32 s30, 0x7fc02000
	s_xor_b64 s[22:23], exec, -1
; %bb.287:                              ;   in Loop: Header=BB261_12 Depth=1
	s_or_b64 exec, exec, s[26:27]
	s_and_b64 s[22:23], s[22:23], exec
	s_or_saveexec_b64 s[24:25], s[24:25]
	v_mov_b32_e32 v24, s30
	s_xor_b64 exec, exec, s[24:25]
	s_cbranch_execz .LBB261_93
.LBB261_288:                            ;   in Loop: Header=BB261_12 Depth=1
	v_cmp_ne_u16_e64 s[4:5], 0, v4
	s_andn2_b64 s[22:23], s[22:23], exec
	s_and_b64 s[4:5], s[4:5], exec
	v_mov_b32_e32 v24, 0
	s_or_b64 s[22:23], s[22:23], s[4:5]
	s_or_b64 exec, exec, s[24:25]
	s_and_saveexec_b64 s[24:25], s[22:23]
	s_cbranch_execnz .LBB261_94
	s_branch .LBB261_95
.LBB261_289:                            ;   in Loop: Header=BB261_12 Depth=1
	v_cmp_eq_u16_sdwa s[30:31], v36, s28 src0_sel:BYTE_0 src1_sel:DWORD
	s_mov_b64 s[4:5], -1
                                        ; implicit-def: $sgpr26
	s_and_saveexec_b64 s[24:25], s[30:31]
; %bb.290:                              ;   in Loop: Header=BB261_12 Depth=1
	s_mov_b32 s26, 0x7fc02000
	s_xor_b64 s[4:5], exec, -1
; %bb.291:                              ;   in Loop: Header=BB261_12 Depth=1
	s_or_b64 exec, exec, s[24:25]
	s_and_b64 s[4:5], s[4:5], exec
	s_or_saveexec_b64 s[22:23], s[22:23]
	v_mov_b32_e32 v25, s26
	s_xor_b64 exec, exec, s[22:23]
	s_cbranch_execz .LBB261_97
.LBB261_292:                            ;   in Loop: Header=BB261_12 Depth=1
	v_cmp_ne_u16_sdwa s[24:25], v36, v5 src0_sel:BYTE_0 src1_sel:DWORD
	s_andn2_b64 s[4:5], s[4:5], exec
	s_and_b64 s[24:25], s[24:25], exec
	v_mov_b32_e32 v25, 0
	s_or_b64 s[4:5], s[4:5], s[24:25]
	s_or_b64 exec, exec, s[22:23]
	s_and_saveexec_b64 s[22:23], s[4:5]
	s_cbranch_execnz .LBB261_98
	s_branch .LBB261_99
.LBB261_293:                            ;   in Loop: Header=BB261_12 Depth=1
	v_cmp_eq_u16_e64 s[4:5], s28, v4
	s_mov_b64 s[22:23], -1
                                        ; implicit-def: $sgpr30
	s_and_saveexec_b64 s[26:27], s[4:5]
; %bb.294:                              ;   in Loop: Header=BB261_12 Depth=1
	s_mov_b32 s30, 0x7fc02000
	s_xor_b64 s[22:23], exec, -1
; %bb.295:                              ;   in Loop: Header=BB261_12 Depth=1
	s_or_b64 exec, exec, s[26:27]
	s_and_b64 s[22:23], s[22:23], exec
	s_or_saveexec_b64 s[24:25], s[24:25]
	v_mov_b32_e32 v6, s30
	s_xor_b64 exec, exec, s[24:25]
	s_cbranch_execz .LBB261_101
.LBB261_296:                            ;   in Loop: Header=BB261_12 Depth=1
	v_cmp_ne_u16_e64 s[4:5], 0, v4
	s_andn2_b64 s[22:23], s[22:23], exec
	s_and_b64 s[4:5], s[4:5], exec
	v_mov_b32_e32 v6, 0
	s_or_b64 s[22:23], s[22:23], s[4:5]
	s_or_b64 exec, exec, s[24:25]
	s_and_saveexec_b64 s[24:25], s[22:23]
	s_cbranch_execnz .LBB261_102
	s_branch .LBB261_103
.LBB261_297:                            ;   in Loop: Header=BB261_12 Depth=1
	v_cmp_eq_u16_sdwa s[30:31], v4, s28 src0_sel:BYTE_0 src1_sel:DWORD
	s_mov_b64 s[4:5], -1
                                        ; implicit-def: $sgpr26
	s_and_saveexec_b64 s[24:25], s[30:31]
; %bb.298:                              ;   in Loop: Header=BB261_12 Depth=1
	s_mov_b32 s26, 0x7fc02000
	s_xor_b64 s[4:5], exec, -1
; %bb.299:                              ;   in Loop: Header=BB261_12 Depth=1
	s_or_b64 exec, exec, s[24:25]
	s_and_b64 s[4:5], s[4:5], exec
	s_or_saveexec_b64 s[22:23], s[22:23]
	v_mov_b32_e32 v7, s26
	s_xor_b64 exec, exec, s[22:23]
	s_cbranch_execz .LBB261_105
.LBB261_300:                            ;   in Loop: Header=BB261_12 Depth=1
	v_cmp_ne_u16_sdwa s[24:25], v4, v5 src0_sel:BYTE_0 src1_sel:DWORD
	s_andn2_b64 s[4:5], s[4:5], exec
	s_and_b64 s[24:25], s[24:25], exec
	v_mov_b32_e32 v7, 0
	s_or_b64 s[4:5], s[4:5], s[24:25]
	s_or_b64 exec, exec, s[22:23]
	s_and_saveexec_b64 s[22:23], s[4:5]
	s_cbranch_execnz .LBB261_106
	s_branch .LBB261_107
.LBB261_301:                            ;   in Loop: Header=BB261_12 Depth=1
	v_cmp_eq_u16_e64 s[4:5], s28, v4
	s_mov_b64 s[22:23], -1
                                        ; implicit-def: $sgpr30
	s_and_saveexec_b64 s[26:27], s[4:5]
; %bb.302:                              ;   in Loop: Header=BB261_12 Depth=1
	s_mov_b32 s30, 0x7fc02000
	s_xor_b64 s[22:23], exec, -1
; %bb.303:                              ;   in Loop: Header=BB261_12 Depth=1
	s_or_b64 exec, exec, s[26:27]
	s_and_b64 s[22:23], s[22:23], exec
	s_or_saveexec_b64 s[24:25], s[24:25]
	v_mov_b32_e32 v10, s30
	s_xor_b64 exec, exec, s[24:25]
	s_cbranch_execz .LBB261_109
.LBB261_304:                            ;   in Loop: Header=BB261_12 Depth=1
	v_cmp_ne_u16_e64 s[4:5], 0, v4
	s_andn2_b64 s[22:23], s[22:23], exec
	s_and_b64 s[4:5], s[4:5], exec
	v_mov_b32_e32 v10, 0
	s_or_b64 s[22:23], s[22:23], s[4:5]
	s_or_b64 exec, exec, s[24:25]
	s_and_saveexec_b64 s[24:25], s[22:23]
	s_cbranch_execnz .LBB261_110
	s_branch .LBB261_111
.LBB261_305:                            ;   in Loop: Header=BB261_12 Depth=1
	v_cmp_eq_u16_sdwa s[30:31], v36, s28 src0_sel:BYTE_0 src1_sel:DWORD
	s_mov_b64 s[4:5], -1
                                        ; implicit-def: $sgpr26
	s_and_saveexec_b64 s[24:25], s[30:31]
; %bb.306:                              ;   in Loop: Header=BB261_12 Depth=1
	s_mov_b32 s26, 0x7fc02000
	s_xor_b64 s[4:5], exec, -1
; %bb.307:                              ;   in Loop: Header=BB261_12 Depth=1
	s_or_b64 exec, exec, s[24:25]
	s_and_b64 s[4:5], s[4:5], exec
	s_or_saveexec_b64 s[22:23], s[22:23]
	v_mov_b32_e32 v11, s26
	s_xor_b64 exec, exec, s[22:23]
	s_cbranch_execz .LBB261_113
.LBB261_308:                            ;   in Loop: Header=BB261_12 Depth=1
	v_cmp_ne_u16_sdwa s[24:25], v36, v5 src0_sel:BYTE_0 src1_sel:DWORD
	s_andn2_b64 s[4:5], s[4:5], exec
	s_and_b64 s[24:25], s[24:25], exec
	v_mov_b32_e32 v11, 0
	s_or_b64 s[4:5], s[4:5], s[24:25]
	s_or_b64 exec, exec, s[22:23]
	s_and_saveexec_b64 s[22:23], s[4:5]
	s_cbranch_execnz .LBB261_114
	s_branch .LBB261_115
.LBB261_309:                            ;   in Loop: Header=BB261_12 Depth=1
	v_cmp_eq_u16_e64 s[4:5], s28, v4
	s_mov_b64 s[22:23], -1
                                        ; implicit-def: $sgpr30
	s_and_saveexec_b64 s[26:27], s[4:5]
; %bb.310:                              ;   in Loop: Header=BB261_12 Depth=1
	s_mov_b32 s30, 0x7fc02000
	s_xor_b64 s[22:23], exec, -1
; %bb.311:                              ;   in Loop: Header=BB261_12 Depth=1
	s_or_b64 exec, exec, s[26:27]
	s_and_b64 s[22:23], s[22:23], exec
	s_or_saveexec_b64 s[24:25], s[24:25]
	v_mov_b32_e32 v43, s30
	s_xor_b64 exec, exec, s[24:25]
	s_cbranch_execz .LBB261_117
.LBB261_312:                            ;   in Loop: Header=BB261_12 Depth=1
	v_cmp_ne_u16_e64 s[4:5], 0, v4
	s_andn2_b64 s[22:23], s[22:23], exec
	s_and_b64 s[4:5], s[4:5], exec
	v_mov_b32_e32 v43, 0
	s_or_b64 s[22:23], s[22:23], s[4:5]
	s_or_b64 exec, exec, s[24:25]
	s_and_saveexec_b64 s[24:25], s[22:23]
	s_cbranch_execnz .LBB261_118
	s_branch .LBB261_119
.LBB261_313:                            ;   in Loop: Header=BB261_12 Depth=1
	v_cmp_eq_u16_sdwa s[30:31], v4, s28 src0_sel:BYTE_0 src1_sel:DWORD
	s_mov_b64 s[4:5], -1
                                        ; implicit-def: $sgpr26
	s_and_saveexec_b64 s[24:25], s[30:31]
; %bb.314:                              ;   in Loop: Header=BB261_12 Depth=1
	s_mov_b32 s26, 0x7fc02000
	s_xor_b64 s[4:5], exec, -1
; %bb.315:                              ;   in Loop: Header=BB261_12 Depth=1
	s_or_b64 exec, exec, s[24:25]
	s_and_b64 s[4:5], s[4:5], exec
	s_or_saveexec_b64 s[22:23], s[22:23]
	v_mov_b32_e32 v51, s26
	s_xor_b64 exec, exec, s[22:23]
	s_cbranch_execz .LBB261_121
.LBB261_316:                            ;   in Loop: Header=BB261_12 Depth=1
	v_cmp_ne_u16_sdwa s[24:25], v4, v5 src0_sel:BYTE_0 src1_sel:DWORD
	s_andn2_b64 s[4:5], s[4:5], exec
	s_and_b64 s[24:25], s[24:25], exec
	v_mov_b32_e32 v51, 0
	s_or_b64 s[4:5], s[4:5], s[24:25]
	s_or_b64 exec, exec, s[22:23]
	s_and_saveexec_b64 s[22:23], s[4:5]
	s_cbranch_execnz .LBB261_122
	s_branch .LBB261_123
.LBB261_317:                            ;   in Loop: Header=BB261_12 Depth=1
	v_cmp_eq_u16_e64 s[4:5], s28, v4
	s_mov_b64 s[22:23], -1
                                        ; implicit-def: $sgpr30
	s_and_saveexec_b64 s[26:27], s[4:5]
; %bb.318:                              ;   in Loop: Header=BB261_12 Depth=1
	s_mov_b32 s30, 0x7fc02000
	s_xor_b64 s[22:23], exec, -1
; %bb.319:                              ;   in Loop: Header=BB261_12 Depth=1
	s_or_b64 exec, exec, s[26:27]
	s_and_b64 s[22:23], s[22:23], exec
	s_or_saveexec_b64 s[24:25], s[24:25]
	v_mov_b32_e32 v9, s30
	s_xor_b64 exec, exec, s[24:25]
	s_cbranch_execz .LBB261_125
.LBB261_320:                            ;   in Loop: Header=BB261_12 Depth=1
	v_cmp_ne_u16_e64 s[4:5], 0, v4
	s_andn2_b64 s[22:23], s[22:23], exec
	s_and_b64 s[4:5], s[4:5], exec
	v_mov_b32_e32 v9, 0
	s_or_b64 s[22:23], s[22:23], s[4:5]
	s_or_b64 exec, exec, s[24:25]
	s_and_saveexec_b64 s[24:25], s[22:23]
	s_cbranch_execnz .LBB261_126
	s_branch .LBB261_127
.LBB261_321:                            ;   in Loop: Header=BB261_12 Depth=1
	v_cmp_eq_u16_sdwa s[30:31], v36, s28 src0_sel:BYTE_0 src1_sel:DWORD
	s_mov_b64 s[4:5], -1
                                        ; implicit-def: $sgpr26
	s_and_saveexec_b64 s[24:25], s[30:31]
; %bb.322:                              ;   in Loop: Header=BB261_12 Depth=1
	s_mov_b32 s26, 0x7fc02000
	s_xor_b64 s[4:5], exec, -1
; %bb.323:                              ;   in Loop: Header=BB261_12 Depth=1
	s_or_b64 exec, exec, s[24:25]
	s_and_b64 s[4:5], s[4:5], exec
	s_or_saveexec_b64 s[22:23], s[22:23]
	v_mov_b32_e32 v50, s26
	s_xor_b64 exec, exec, s[22:23]
	s_cbranch_execz .LBB261_129
.LBB261_324:                            ;   in Loop: Header=BB261_12 Depth=1
	v_cmp_ne_u16_sdwa s[24:25], v36, v5 src0_sel:BYTE_0 src1_sel:DWORD
	s_andn2_b64 s[4:5], s[4:5], exec
	s_and_b64 s[24:25], s[24:25], exec
	v_mov_b32_e32 v50, 0
	s_or_b64 s[4:5], s[4:5], s[24:25]
	s_or_b64 exec, exec, s[22:23]
	s_and_saveexec_b64 s[22:23], s[4:5]
	s_cbranch_execnz .LBB261_130
	s_branch .LBB261_131
.LBB261_325:                            ;   in Loop: Header=BB261_12 Depth=1
	v_cmp_eq_u16_e64 s[4:5], s28, v4
	s_mov_b64 s[22:23], -1
                                        ; implicit-def: $sgpr30
	s_and_saveexec_b64 s[26:27], s[4:5]
; %bb.326:                              ;   in Loop: Header=BB261_12 Depth=1
	s_mov_b32 s30, 0x7fc02000
	s_xor_b64 s[22:23], exec, -1
; %bb.327:                              ;   in Loop: Header=BB261_12 Depth=1
	s_or_b64 exec, exec, s[26:27]
	s_and_b64 s[22:23], s[22:23], exec
	s_or_saveexec_b64 s[24:25], s[24:25]
	v_mov_b32_e32 v38, s30
	s_xor_b64 exec, exec, s[24:25]
	s_cbranch_execz .LBB261_133
.LBB261_328:                            ;   in Loop: Header=BB261_12 Depth=1
	v_cmp_ne_u16_e64 s[4:5], 0, v4
	s_andn2_b64 s[22:23], s[22:23], exec
	s_and_b64 s[4:5], s[4:5], exec
	v_mov_b32_e32 v38, 0
	s_or_b64 s[22:23], s[22:23], s[4:5]
	s_or_b64 exec, exec, s[24:25]
	s_and_saveexec_b64 s[24:25], s[22:23]
	s_cbranch_execnz .LBB261_134
	s_branch .LBB261_135
.LBB261_329:                            ;   in Loop: Header=BB261_12 Depth=1
	v_cmp_eq_u16_sdwa s[30:31], v4, s28 src0_sel:BYTE_0 src1_sel:DWORD
	s_mov_b64 s[4:5], -1
                                        ; implicit-def: $sgpr26
	s_and_saveexec_b64 s[24:25], s[30:31]
; %bb.330:                              ;   in Loop: Header=BB261_12 Depth=1
	s_mov_b32 s26, 0x7fc02000
	s_xor_b64 s[4:5], exec, -1
; %bb.331:                              ;   in Loop: Header=BB261_12 Depth=1
	s_or_b64 exec, exec, s[24:25]
	s_and_b64 s[4:5], s[4:5], exec
	s_or_saveexec_b64 s[22:23], s[22:23]
	v_mov_b32_e32 v18, s26
	s_xor_b64 exec, exec, s[22:23]
	s_cbranch_execz .LBB261_137
.LBB261_332:                            ;   in Loop: Header=BB261_12 Depth=1
	v_cmp_ne_u16_sdwa s[24:25], v4, v5 src0_sel:BYTE_0 src1_sel:DWORD
	s_andn2_b64 s[4:5], s[4:5], exec
	s_and_b64 s[24:25], s[24:25], exec
	v_mov_b32_e32 v18, 0
	s_or_b64 s[4:5], s[4:5], s[24:25]
	s_or_b64 exec, exec, s[22:23]
	s_and_saveexec_b64 s[22:23], s[4:5]
	s_cbranch_execnz .LBB261_138
	s_branch .LBB261_139
.LBB261_333:                            ;   in Loop: Header=BB261_12 Depth=1
	v_cmp_eq_u16_e64 s[4:5], s28, v4
	s_mov_b64 s[22:23], -1
                                        ; implicit-def: $sgpr30
	s_and_saveexec_b64 s[26:27], s[4:5]
; %bb.334:                              ;   in Loop: Header=BB261_12 Depth=1
	s_mov_b32 s30, 0x7fc02000
	s_xor_b64 s[22:23], exec, -1
; %bb.335:                              ;   in Loop: Header=BB261_12 Depth=1
	s_or_b64 exec, exec, s[26:27]
	s_and_b64 s[22:23], s[22:23], exec
	s_or_saveexec_b64 s[24:25], s[24:25]
	v_mov_b32_e32 v48, s30
	s_xor_b64 exec, exec, s[24:25]
	s_cbranch_execz .LBB261_141
.LBB261_336:                            ;   in Loop: Header=BB261_12 Depth=1
	v_cmp_ne_u16_e64 s[4:5], 0, v4
	s_andn2_b64 s[22:23], s[22:23], exec
	s_and_b64 s[4:5], s[4:5], exec
	v_mov_b32_e32 v48, 0
	s_or_b64 s[22:23], s[22:23], s[4:5]
	s_or_b64 exec, exec, s[24:25]
	s_and_saveexec_b64 s[24:25], s[22:23]
	s_cbranch_execnz .LBB261_142
	s_branch .LBB261_143
.LBB261_337:                            ;   in Loop: Header=BB261_12 Depth=1
	v_cmp_eq_u16_sdwa s[30:31], v36, s28 src0_sel:BYTE_0 src1_sel:DWORD
	s_mov_b64 s[4:5], -1
                                        ; implicit-def: $sgpr26
	s_and_saveexec_b64 s[24:25], s[30:31]
; %bb.338:                              ;   in Loop: Header=BB261_12 Depth=1
	s_mov_b32 s26, 0x7fc02000
	s_xor_b64 s[4:5], exec, -1
; %bb.339:                              ;   in Loop: Header=BB261_12 Depth=1
	s_or_b64 exec, exec, s[24:25]
	s_and_b64 s[4:5], s[4:5], exec
	s_or_saveexec_b64 s[22:23], s[22:23]
	v_mov_b32_e32 v8, s26
	s_xor_b64 exec, exec, s[22:23]
	s_cbranch_execz .LBB261_145
.LBB261_340:                            ;   in Loop: Header=BB261_12 Depth=1
	v_cmp_ne_u16_sdwa s[24:25], v36, v5 src0_sel:BYTE_0 src1_sel:DWORD
	s_andn2_b64 s[4:5], s[4:5], exec
	s_and_b64 s[24:25], s[24:25], exec
	v_mov_b32_e32 v8, 0
	s_or_b64 s[4:5], s[4:5], s[24:25]
	s_or_b64 exec, exec, s[22:23]
	s_and_saveexec_b64 s[22:23], s[4:5]
	s_cbranch_execnz .LBB261_146
	s_branch .LBB261_147
.LBB261_341:                            ;   in Loop: Header=BB261_12 Depth=1
	v_cmp_eq_u16_e64 s[4:5], s28, v4
	s_mov_b64 s[22:23], -1
                                        ; implicit-def: $sgpr30
	s_and_saveexec_b64 s[26:27], s[4:5]
; %bb.342:                              ;   in Loop: Header=BB261_12 Depth=1
	s_mov_b32 s30, 0x7fc02000
	s_xor_b64 s[22:23], exec, -1
; %bb.343:                              ;   in Loop: Header=BB261_12 Depth=1
	s_or_b64 exec, exec, s[26:27]
	s_and_b64 s[22:23], s[22:23], exec
	s_or_saveexec_b64 s[24:25], s[24:25]
	v_mov_b32_e32 v12, s30
	s_xor_b64 exec, exec, s[24:25]
	s_cbranch_execz .LBB261_149
.LBB261_344:                            ;   in Loop: Header=BB261_12 Depth=1
	v_cmp_ne_u16_e64 s[4:5], 0, v4
	s_andn2_b64 s[22:23], s[22:23], exec
	s_and_b64 s[4:5], s[4:5], exec
	v_mov_b32_e32 v12, 0
	s_or_b64 s[22:23], s[22:23], s[4:5]
	s_or_b64 exec, exec, s[24:25]
	s_and_saveexec_b64 s[24:25], s[22:23]
	s_cbranch_execnz .LBB261_150
	s_branch .LBB261_151
.LBB261_345:                            ;   in Loop: Header=BB261_12 Depth=1
	v_cmp_eq_u16_sdwa s[30:31], v4, s28 src0_sel:BYTE_0 src1_sel:DWORD
	s_mov_b64 s[4:5], -1
                                        ; implicit-def: $sgpr26
	s_and_saveexec_b64 s[24:25], s[30:31]
; %bb.346:                              ;   in Loop: Header=BB261_12 Depth=1
	s_mov_b32 s26, 0x7fc02000
	s_xor_b64 s[4:5], exec, -1
; %bb.347:                              ;   in Loop: Header=BB261_12 Depth=1
	s_or_b64 exec, exec, s[24:25]
	s_and_b64 s[4:5], s[4:5], exec
	s_or_saveexec_b64 s[22:23], s[22:23]
	v_mov_b32_e32 v13, s26
	s_xor_b64 exec, exec, s[22:23]
	s_cbranch_execz .LBB261_153
.LBB261_348:                            ;   in Loop: Header=BB261_12 Depth=1
	v_cmp_ne_u16_sdwa s[24:25], v4, v5 src0_sel:BYTE_0 src1_sel:DWORD
	s_andn2_b64 s[4:5], s[4:5], exec
	s_and_b64 s[24:25], s[24:25], exec
	v_mov_b32_e32 v13, 0
	s_or_b64 s[4:5], s[4:5], s[24:25]
	s_or_b64 exec, exec, s[22:23]
	s_and_saveexec_b64 s[22:23], s[4:5]
	s_cbranch_execnz .LBB261_154
	s_branch .LBB261_155
.LBB261_349:                            ;   in Loop: Header=BB261_12 Depth=1
	v_cmp_eq_u16_e64 s[4:5], s28, v4
	s_mov_b64 s[22:23], -1
                                        ; implicit-def: $sgpr30
	s_and_saveexec_b64 s[26:27], s[4:5]
; %bb.350:                              ;   in Loop: Header=BB261_12 Depth=1
	s_mov_b32 s30, 0x7fc02000
	s_xor_b64 s[22:23], exec, -1
; %bb.351:                              ;   in Loop: Header=BB261_12 Depth=1
	s_or_b64 exec, exec, s[26:27]
	s_and_b64 s[22:23], s[22:23], exec
	s_or_saveexec_b64 s[24:25], s[24:25]
	v_mov_b32_e32 v14, s30
	s_xor_b64 exec, exec, s[24:25]
	s_cbranch_execz .LBB261_157
.LBB261_352:                            ;   in Loop: Header=BB261_12 Depth=1
	v_cmp_ne_u16_e64 s[4:5], 0, v4
	s_andn2_b64 s[22:23], s[22:23], exec
	s_and_b64 s[4:5], s[4:5], exec
	v_mov_b32_e32 v14, 0
	s_or_b64 s[22:23], s[22:23], s[4:5]
	s_or_b64 exec, exec, s[24:25]
	s_and_saveexec_b64 s[24:25], s[22:23]
	s_cbranch_execnz .LBB261_158
	s_branch .LBB261_159
.LBB261_353:                            ;   in Loop: Header=BB261_12 Depth=1
	v_cmp_eq_u16_sdwa s[30:31], v36, s28 src0_sel:BYTE_0 src1_sel:DWORD
	s_mov_b64 s[4:5], -1
                                        ; implicit-def: $sgpr26
	s_and_saveexec_b64 s[24:25], s[30:31]
; %bb.354:                              ;   in Loop: Header=BB261_12 Depth=1
	s_mov_b32 s26, 0x7fc02000
	s_xor_b64 s[4:5], exec, -1
; %bb.355:                              ;   in Loop: Header=BB261_12 Depth=1
	s_or_b64 exec, exec, s[24:25]
	s_and_b64 s[4:5], s[4:5], exec
	s_or_saveexec_b64 s[22:23], s[22:23]
	v_mov_b32_e32 v15, s26
	s_xor_b64 exec, exec, s[22:23]
	s_cbranch_execz .LBB261_161
.LBB261_356:                            ;   in Loop: Header=BB261_12 Depth=1
	v_cmp_ne_u16_sdwa s[24:25], v36, v5 src0_sel:BYTE_0 src1_sel:DWORD
	s_andn2_b64 s[4:5], s[4:5], exec
	s_and_b64 s[24:25], s[24:25], exec
	v_mov_b32_e32 v15, 0
	s_or_b64 s[4:5], s[4:5], s[24:25]
	s_or_b64 exec, exec, s[22:23]
	s_and_saveexec_b64 s[22:23], s[4:5]
	s_cbranch_execnz .LBB261_162
	s_branch .LBB261_163
.LBB261_357:                            ;   in Loop: Header=BB261_12 Depth=1
	v_cmp_eq_u16_e64 s[4:5], s28, v4
	s_mov_b64 s[22:23], -1
                                        ; implicit-def: $sgpr30
	s_and_saveexec_b64 s[26:27], s[4:5]
; %bb.358:                              ;   in Loop: Header=BB261_12 Depth=1
	s_mov_b32 s30, 0x7fc02000
	s_xor_b64 s[22:23], exec, -1
; %bb.359:                              ;   in Loop: Header=BB261_12 Depth=1
	s_or_b64 exec, exec, s[26:27]
	s_and_b64 s[22:23], s[22:23], exec
	s_or_saveexec_b64 s[24:25], s[24:25]
	v_mov_b32_e32 v45, s30
	s_xor_b64 exec, exec, s[24:25]
	s_cbranch_execz .LBB261_165
.LBB261_360:                            ;   in Loop: Header=BB261_12 Depth=1
	v_cmp_ne_u16_e64 s[4:5], 0, v4
	s_andn2_b64 s[22:23], s[22:23], exec
	s_and_b64 s[4:5], s[4:5], exec
	v_mov_b32_e32 v45, 0
	s_or_b64 s[22:23], s[22:23], s[4:5]
	s_or_b64 exec, exec, s[24:25]
	s_and_saveexec_b64 s[24:25], s[22:23]
	s_cbranch_execnz .LBB261_166
	s_branch .LBB261_167
.LBB261_361:                            ;   in Loop: Header=BB261_12 Depth=1
	v_cmp_eq_u16_sdwa s[30:31], v4, s28 src0_sel:BYTE_0 src1_sel:DWORD
	s_mov_b64 s[4:5], -1
                                        ; implicit-def: $sgpr26
	s_and_saveexec_b64 s[24:25], s[30:31]
; %bb.362:                              ;   in Loop: Header=BB261_12 Depth=1
	s_mov_b32 s26, 0x7fc02000
	s_xor_b64 s[4:5], exec, -1
; %bb.363:                              ;   in Loop: Header=BB261_12 Depth=1
	s_or_b64 exec, exec, s[24:25]
	s_and_b64 s[4:5], s[4:5], exec
	s_or_saveexec_b64 s[22:23], s[22:23]
	v_mov_b32_e32 v21, s26
	s_xor_b64 exec, exec, s[22:23]
	s_cbranch_execz .LBB261_169
.LBB261_364:                            ;   in Loop: Header=BB261_12 Depth=1
	v_cmp_ne_u16_sdwa s[24:25], v4, v5 src0_sel:BYTE_0 src1_sel:DWORD
	s_andn2_b64 s[4:5], s[4:5], exec
	s_and_b64 s[24:25], s[24:25], exec
	v_mov_b32_e32 v21, 0
	s_or_b64 s[4:5], s[4:5], s[24:25]
	s_or_b64 exec, exec, s[22:23]
	s_and_saveexec_b64 s[22:23], s[4:5]
	s_cbranch_execnz .LBB261_170
	s_branch .LBB261_171
.LBB261_365:                            ;   in Loop: Header=BB261_12 Depth=1
	v_cmp_eq_u16_e64 s[4:5], s28, v4
	s_mov_b64 s[22:23], -1
                                        ; implicit-def: $sgpr30
	s_and_saveexec_b64 s[26:27], s[4:5]
; %bb.366:                              ;   in Loop: Header=BB261_12 Depth=1
	s_mov_b32 s30, 0x7fc02000
	s_xor_b64 s[22:23], exec, -1
; %bb.367:                              ;   in Loop: Header=BB261_12 Depth=1
	s_or_b64 exec, exec, s[26:27]
	s_and_b64 s[22:23], s[22:23], exec
	s_or_saveexec_b64 s[24:25], s[24:25]
	v_mov_b32_e32 v20, s30
	s_xor_b64 exec, exec, s[24:25]
	s_cbranch_execz .LBB261_173
.LBB261_368:                            ;   in Loop: Header=BB261_12 Depth=1
	v_cmp_ne_u16_e64 s[4:5], 0, v4
	s_andn2_b64 s[22:23], s[22:23], exec
	s_and_b64 s[4:5], s[4:5], exec
	v_mov_b32_e32 v20, 0
	s_or_b64 s[22:23], s[22:23], s[4:5]
	s_or_b64 exec, exec, s[24:25]
	s_and_saveexec_b64 s[24:25], s[22:23]
	s_cbranch_execnz .LBB261_174
	s_branch .LBB261_175
.LBB261_369:                            ;   in Loop: Header=BB261_12 Depth=1
	v_cmp_eq_u16_sdwa s[30:31], v36, s28 src0_sel:BYTE_0 src1_sel:DWORD
	s_mov_b64 s[4:5], -1
                                        ; implicit-def: $sgpr26
	s_and_saveexec_b64 s[24:25], s[30:31]
; %bb.370:                              ;   in Loop: Header=BB261_12 Depth=1
	s_mov_b32 s26, 0x7fc02000
	s_xor_b64 s[4:5], exec, -1
; %bb.371:                              ;   in Loop: Header=BB261_12 Depth=1
	s_or_b64 exec, exec, s[24:25]
	s_and_b64 s[4:5], s[4:5], exec
	s_or_saveexec_b64 s[22:23], s[22:23]
	v_mov_b32_e32 v2, s26
	s_xor_b64 exec, exec, s[22:23]
	s_cbranch_execz .LBB261_177
.LBB261_372:                            ;   in Loop: Header=BB261_12 Depth=1
	v_cmp_ne_u16_sdwa s[24:25], v36, v5 src0_sel:BYTE_0 src1_sel:DWORD
	s_andn2_b64 s[4:5], s[4:5], exec
	s_and_b64 s[24:25], s[24:25], exec
	v_mov_b32_e32 v2, 0
	s_or_b64 s[4:5], s[4:5], s[24:25]
	s_or_b64 exec, exec, s[22:23]
	s_and_saveexec_b64 s[22:23], s[4:5]
	s_cbranch_execnz .LBB261_178
	s_branch .LBB261_179
.LBB261_373:                            ;   in Loop: Header=BB261_12 Depth=1
	v_cmp_eq_u16_e64 s[4:5], s28, v4
	s_mov_b64 s[22:23], -1
                                        ; implicit-def: $sgpr30
	s_and_saveexec_b64 s[26:27], s[4:5]
; %bb.374:                              ;   in Loop: Header=BB261_12 Depth=1
	s_mov_b32 s30, 0x7fc02000
	s_xor_b64 s[22:23], exec, -1
; %bb.375:                              ;   in Loop: Header=BB261_12 Depth=1
	s_or_b64 exec, exec, s[26:27]
	s_and_b64 s[22:23], s[22:23], exec
	s_or_saveexec_b64 s[24:25], s[24:25]
	v_mov_b32_e32 v39, s30
	s_xor_b64 exec, exec, s[24:25]
	s_cbranch_execz .LBB261_181
.LBB261_376:                            ;   in Loop: Header=BB261_12 Depth=1
	v_cmp_ne_u16_e64 s[4:5], 0, v4
	s_andn2_b64 s[22:23], s[22:23], exec
	s_and_b64 s[4:5], s[4:5], exec
	v_mov_b32_e32 v39, 0
	s_or_b64 s[22:23], s[22:23], s[4:5]
	s_or_b64 exec, exec, s[24:25]
	s_and_saveexec_b64 s[24:25], s[22:23]
	s_cbranch_execnz .LBB261_182
	s_branch .LBB261_183
.LBB261_377:                            ;   in Loop: Header=BB261_12 Depth=1
	v_cmp_eq_u16_sdwa s[30:31], v4, s28 src0_sel:BYTE_0 src1_sel:DWORD
	s_mov_b64 s[4:5], -1
                                        ; implicit-def: $sgpr26
	s_and_saveexec_b64 s[24:25], s[30:31]
; %bb.378:                              ;   in Loop: Header=BB261_12 Depth=1
	s_mov_b32 s26, 0x7fc02000
	s_xor_b64 s[4:5], exec, -1
; %bb.379:                              ;   in Loop: Header=BB261_12 Depth=1
	s_or_b64 exec, exec, s[24:25]
	s_and_b64 s[4:5], s[4:5], exec
	s_or_saveexec_b64 s[22:23], s[22:23]
	v_mov_b32_e32 v55, s26
	s_xor_b64 exec, exec, s[22:23]
	s_cbranch_execz .LBB261_185
.LBB261_380:                            ;   in Loop: Header=BB261_12 Depth=1
	v_cmp_ne_u16_sdwa s[24:25], v4, v5 src0_sel:BYTE_0 src1_sel:DWORD
	s_andn2_b64 s[4:5], s[4:5], exec
	s_and_b64 s[24:25], s[24:25], exec
	v_mov_b32_e32 v55, 0
	s_or_b64 s[4:5], s[4:5], s[24:25]
	s_or_b64 exec, exec, s[22:23]
	s_and_saveexec_b64 s[22:23], s[4:5]
	s_cbranch_execnz .LBB261_186
	s_branch .LBB261_187
.LBB261_381:                            ;   in Loop: Header=BB261_12 Depth=1
	v_cmp_eq_u16_e64 s[4:5], s28, v4
	s_mov_b64 s[22:23], -1
                                        ; implicit-def: $sgpr30
	s_and_saveexec_b64 s[26:27], s[4:5]
; %bb.382:                              ;   in Loop: Header=BB261_12 Depth=1
	s_mov_b32 s30, 0x7fc02000
	s_xor_b64 s[22:23], exec, -1
; %bb.383:                              ;   in Loop: Header=BB261_12 Depth=1
	s_or_b64 exec, exec, s[26:27]
	s_and_b64 s[22:23], s[22:23], exec
	s_or_saveexec_b64 s[24:25], s[24:25]
	v_mov_b32_e32 v56, s30
	s_xor_b64 exec, exec, s[24:25]
	s_cbranch_execz .LBB261_189
.LBB261_384:                            ;   in Loop: Header=BB261_12 Depth=1
	v_cmp_ne_u16_e64 s[4:5], 0, v4
	s_andn2_b64 s[22:23], s[22:23], exec
	s_and_b64 s[4:5], s[4:5], exec
	v_mov_b32_e32 v56, 0
	s_or_b64 s[22:23], s[22:23], s[4:5]
	s_or_b64 exec, exec, s[24:25]
	s_and_saveexec_b64 s[24:25], s[22:23]
	s_cbranch_execnz .LBB261_190
	s_branch .LBB261_191
.LBB261_385:                            ;   in Loop: Header=BB261_12 Depth=1
	v_cmp_eq_u16_sdwa s[30:31], v34, s28 src0_sel:BYTE_0 src1_sel:DWORD
	s_mov_b64 s[4:5], -1
                                        ; implicit-def: $sgpr26
	s_and_saveexec_b64 s[24:25], s[30:31]
; %bb.386:                              ;   in Loop: Header=BB261_12 Depth=1
	s_mov_b32 s26, 0x7fc02000
	s_xor_b64 s[4:5], exec, -1
; %bb.387:                              ;   in Loop: Header=BB261_12 Depth=1
	s_or_b64 exec, exec, s[24:25]
	s_and_b64 s[4:5], s[4:5], exec
	s_or_saveexec_b64 s[22:23], s[22:23]
	v_mov_b32_e32 v23, s26
	s_xor_b64 exec, exec, s[22:23]
	s_cbranch_execz .LBB261_193
.LBB261_388:                            ;   in Loop: Header=BB261_12 Depth=1
	v_cmp_ne_u16_sdwa s[24:25], v34, v5 src0_sel:BYTE_0 src1_sel:DWORD
	s_andn2_b64 s[4:5], s[4:5], exec
	s_and_b64 s[24:25], s[24:25], exec
	v_mov_b32_e32 v23, 0
	s_or_b64 s[4:5], s[4:5], s[24:25]
	s_or_b64 exec, exec, s[22:23]
	s_and_saveexec_b64 s[22:23], s[4:5]
	s_cbranch_execnz .LBB261_194
	s_branch .LBB261_195
.LBB261_389:                            ;   in Loop: Header=BB261_12 Depth=1
	v_cmp_eq_u16_e64 s[4:5], s28, v4
	s_mov_b64 s[22:23], -1
                                        ; implicit-def: $sgpr30
	s_and_saveexec_b64 s[26:27], s[4:5]
; %bb.390:                              ;   in Loop: Header=BB261_12 Depth=1
	s_mov_b32 s30, 0x7fc02000
	s_xor_b64 s[22:23], exec, -1
; %bb.391:                              ;   in Loop: Header=BB261_12 Depth=1
	s_or_b64 exec, exec, s[26:27]
	s_and_b64 s[22:23], s[22:23], exec
	s_or_saveexec_b64 s[24:25], s[24:25]
	v_mov_b32_e32 v22, s30
	s_xor_b64 exec, exec, s[24:25]
	s_cbranch_execz .LBB261_197
.LBB261_392:                            ;   in Loop: Header=BB261_12 Depth=1
	v_cmp_ne_u16_e64 s[4:5], 0, v4
	s_andn2_b64 s[22:23], s[22:23], exec
	s_and_b64 s[4:5], s[4:5], exec
	v_mov_b32_e32 v22, 0
	s_or_b64 s[22:23], s[22:23], s[4:5]
	s_or_b64 exec, exec, s[24:25]
	s_and_saveexec_b64 s[24:25], s[22:23]
	s_cbranch_execnz .LBB261_198
	s_branch .LBB261_199
.LBB261_393:                            ;   in Loop: Header=BB261_12 Depth=1
	v_cmp_eq_u16_sdwa s[30:31], v4, s28 src0_sel:BYTE_0 src1_sel:DWORD
	s_mov_b64 s[4:5], -1
                                        ; implicit-def: $sgpr26
	s_and_saveexec_b64 s[24:25], s[30:31]
; %bb.394:                              ;   in Loop: Header=BB261_12 Depth=1
	s_mov_b32 s26, 0x7fc02000
	s_xor_b64 s[4:5], exec, -1
; %bb.395:                              ;   in Loop: Header=BB261_12 Depth=1
	s_or_b64 exec, exec, s[24:25]
	s_and_b64 s[4:5], s[4:5], exec
	s_or_saveexec_b64 s[22:23], s[22:23]
	v_mov_b32_e32 v57, s26
	s_xor_b64 exec, exec, s[22:23]
	s_cbranch_execz .LBB261_201
.LBB261_396:                            ;   in Loop: Header=BB261_12 Depth=1
	v_cmp_ne_u16_sdwa s[24:25], v4, v5 src0_sel:BYTE_0 src1_sel:DWORD
	s_andn2_b64 s[4:5], s[4:5], exec
	s_and_b64 s[24:25], s[24:25], exec
	v_mov_b32_e32 v57, 0
	s_or_b64 s[4:5], s[4:5], s[24:25]
	s_or_b64 exec, exec, s[22:23]
	s_and_saveexec_b64 s[22:23], s[4:5]
	s_cbranch_execnz .LBB261_202
	s_branch .LBB261_203
.LBB261_397:                            ;   in Loop: Header=BB261_12 Depth=1
	v_cmp_eq_u16_e64 s[4:5], s28, v4
	s_mov_b64 s[22:23], -1
                                        ; implicit-def: $sgpr30
	s_and_saveexec_b64 s[26:27], s[4:5]
; %bb.398:                              ;   in Loop: Header=BB261_12 Depth=1
	s_mov_b32 s30, 0x7fc02000
	s_xor_b64 s[22:23], exec, -1
; %bb.399:                              ;   in Loop: Header=BB261_12 Depth=1
	s_or_b64 exec, exec, s[26:27]
	s_and_b64 s[22:23], s[22:23], exec
	s_or_saveexec_b64 s[24:25], s[24:25]
	v_mov_b32_e32 v60, s30
	s_xor_b64 exec, exec, s[24:25]
	s_cbranch_execz .LBB261_205
.LBB261_400:                            ;   in Loop: Header=BB261_12 Depth=1
	v_cmp_ne_u16_e64 s[4:5], 0, v4
	s_andn2_b64 s[22:23], s[22:23], exec
	s_and_b64 s[4:5], s[4:5], exec
	v_mov_b32_e32 v60, 0
	s_or_b64 s[22:23], s[22:23], s[4:5]
	s_or_b64 exec, exec, s[24:25]
	s_and_saveexec_b64 s[24:25], s[22:23]
	s_cbranch_execnz .LBB261_206
	s_branch .LBB261_207
.LBB261_401:
	s_or_b64 exec, exec, s[20:21]
	scratch_load_dword v3, off, s32 offset:108 ; 4-byte Folded Reload
	v_accvgpr_read_b32 v21, a19
	v_accvgpr_read_b32 v18, a24
	;; [unrolled: 1-line block ×8, first 2 shown]
.LBB261_402:
	s_or_b64 exec, exec, s[8:9]
	v_mbcnt_hi_u32_b32 v0, -1, v6
	v_and_b32_e32 v1, 64, v0
	v_add_u32_e32 v7, 64, v1
	v_xor_b32_e32 v1, 32, v0
	v_cmp_lt_i32_e32 vcc, v1, v7
	v_xor_b32_e32 v4, 16, v0
	v_xor_b32_e32 v5, 8, v0
	v_cndmask_b32_e32 v1, v0, v1, vcc
	v_lshlrev_b32_e32 v1, 2, v1
	s_waitcnt vmcnt(0)
	ds_bpermute_b32 v2, v1, v3
	v_max_f32_e32 v3, v3, v3
	v_cmp_lt_i32_e32 vcc, v4, v7
	v_xor_b32_e32 v6, 4, v0
	v_xor_b32_e32 v8, 2, v0
	s_waitcnt lgkmcnt(0)
	v_max_f32_e32 v2, v2, v2
	v_max_f32_e32 v3, v3, v2
	v_cndmask_b32_e32 v2, v0, v4, vcc
	v_lshlrev_b32_e32 v2, 2, v2
	ds_bpermute_b32 v4, v2, v3
	v_cmp_lt_i32_e32 vcc, v5, v7
	s_lshr_b32 s19, s19, 16
	s_waitcnt lgkmcnt(0)
	v_max_f32_e32 v4, v4, v4
	v_max_f32_e32 v4, v3, v4
	v_cndmask_b32_e32 v3, v0, v5, vcc
	v_lshlrev_b32_e32 v3, 2, v3
	ds_bpermute_b32 v5, v3, v4
	v_cmp_lt_i32_e32 vcc, v6, v7
	s_waitcnt lgkmcnt(0)
	v_max_f32_e32 v5, v5, v5
	v_max_f32_e32 v5, v4, v5
	v_cndmask_b32_e32 v4, v0, v6, vcc
	v_lshlrev_b32_e32 v4, 2, v4
	ds_bpermute_b32 v6, v4, v5
	v_cmp_lt_i32_e32 vcc, v8, v7
	s_waitcnt lgkmcnt(0)
	v_max_f32_e32 v6, v6, v6
	v_max_f32_e32 v6, v5, v6
	v_cndmask_b32_e32 v5, v0, v8, vcc
	v_lshlrev_b32_e32 v35, 2, v5
	ds_bpermute_b32 v8, v35, v6
	v_accvgpr_read_b32 v5, a2
	v_and_b32_e32 v34, 63, v5
	v_accvgpr_read_b32 v5, a12
	v_cmp_eq_u32_e32 vcc, 0, v34
	v_lshlrev_b32_e32 v5, 2, v5
	s_and_saveexec_b64 s[2:3], vcc
	s_cbranch_execz .LBB261_404
; %bb.403:
	s_waitcnt lgkmcnt(0)
	v_max_f32_e32 v8, v8, v8
	v_max_f32_e32 v6, v6, v6
	;; [unrolled: 1-line block ×3, first 2 shown]
	ds_write_b32 v5, v6 offset:192
.LBB261_404:
	s_or_b64 exec, exec, s[2:3]
	v_cmp_gt_u32_e64 s[2:3], 2, v34
	s_waitcnt lgkmcnt(0)
	v_mov_b32_e32 v8, 0xff7fffff
	v_lshlrev_b32_e32 v6, 2, v34
	s_barrier
	s_and_saveexec_b64 s[4:5], s[2:3]
	s_cbranch_execz .LBB261_406
; %bb.405:
	ds_read_b32 v8, v6 offset:192
.LBB261_406:
	s_or_b64 exec, exec, s[4:5]
	v_xor_b32_e32 v9, 1, v0
	v_cmp_lt_i32_e64 s[4:5], v9, v7
	v_accvgpr_read_b32 v10, a8
	s_nop 0
	v_cndmask_b32_e64 v7, v0, v9, s[4:5]
	v_lshlrev_b32_e32 v36, 2, v7
	s_waitcnt lgkmcnt(0)
	ds_bpermute_b32 v7, v36, v8
	v_max_f32_e32 v8, v8, v8
	v_lshlrev_b32_e32 v0, 2, v0
	v_accvgpr_read_b32 v9, a2
	s_waitcnt lgkmcnt(0)
	v_max_f32_e32 v7, v7, v7
	v_max_f32_e32 v8, v8, v7
	v_and_b32_e32 v7, 0x100, v0
	ds_bpermute_b32 v8, v7, v8
	v_accvgpr_read_b32 v0, a11
	v_lshlrev_b32_e32 v0, 5, v0
	v_min_i32_e32 v0, v0, v10
	v_cmp_lt_i32_e64 s[4:5], v9, v0
	v_mov_b32_e32 v9, 0
	s_and_saveexec_b64 s[8:9], s[4:5]
	s_cbranch_execz .LBB261_410
; %bb.407:
	s_ashr_i32 s17, s16, 31
	s_lshl_b64 s[6:7], s[16:17], 2
	s_getpc_b64 s[12:13]
	s_add_u32 s12, s12, llvm.amdgcn.dynlds.offset.table@rel32@lo+4
	s_addc_u32 s13, s13, llvm.amdgcn.dynlds.offset.table@rel32@hi+12
	s_add_u32 s6, s6, s12
	s_addc_u32 s7, s7, s13
	s_load_dword s6, s[6:7], 0x0
	v_accvgpr_read_b32 v11, a2
	s_mov_b64 s[12:13], 0
	v_mov_b32_e32 v9, 0
	s_waitcnt lgkmcnt(0)
	v_lshl_add_u32 v10, v11, 2, s6
.LBB261_408:                            ; =>This Inner Loop Header: Depth=1
	ds_read_b32 v12, v10
	v_add_u32_e32 v11, 0x80, v11
	v_cmp_ge_i32_e64 s[6:7], v11, v0
	s_or_b64 s[12:13], s[6:7], s[12:13]
	s_waitcnt lgkmcnt(0)
	v_sub_f32_e32 v12, v12, v8
	v_mul_f32_e32 v12, 0x3fb8aa3b, v12
	v_exp_f32_e32 v12, v12
	ds_write_b32 v10, v12
	v_add_f32_e32 v9, v9, v12
	v_add_u32_e32 v10, 0x200, v10
	s_andn2_b64 exec, exec, s[12:13]
	s_cbranch_execnz .LBB261_408
; %bb.409:
	s_or_b64 exec, exec, s[12:13]
.LBB261_410:
	s_or_b64 exec, exec, s[8:9]
	ds_bpermute_b32 v1, v1, v9
	s_waitcnt lgkmcnt(0)
	v_add_f32_e32 v1, v9, v1
	ds_bpermute_b32 v2, v2, v1
	s_waitcnt lgkmcnt(0)
	v_add_f32_e32 v1, v1, v2
	;; [unrolled: 3-line block ×6, first 2 shown]
	s_and_saveexec_b64 s[6:7], vcc
	s_cbranch_execz .LBB261_412
; %bb.411:
	ds_write_b32 v5, v1 offset:200
.LBB261_412:
	s_or_b64 exec, exec, s[6:7]
	s_waitcnt lgkmcnt(0)
	s_barrier
	s_and_saveexec_b64 s[6:7], s[2:3]
	s_cbranch_execz .LBB261_414
; %bb.413:
	ds_read_b32 v1, v6 offset:200
.LBB261_414:
	s_or_b64 exec, exec, s[6:7]
	s_waitcnt lgkmcnt(0)
	ds_bpermute_b32 v2, v36, v1
	s_waitcnt lgkmcnt(0)
	v_add_f32_e32 v1, v1, v2
	ds_bpermute_b32 v1, v7, v1
	s_and_saveexec_b64 s[2:3], s[4:5]
	s_cbranch_execz .LBB261_427
; %bb.415:
	s_waitcnt lgkmcnt(0)
	v_add_f32_e32 v1, 0x358637bd, v1
	v_div_scale_f32 v2, s[4:5], v1, v1, 1.0
	v_rcp_f32_e32 v3, v2
	v_div_scale_f32 v4, vcc, 1.0, v1, 1.0
	s_movk_i32 s4, 0x7f
	v_fma_f32 v5, -v2, v3, 1.0
	v_fmac_f32_e32 v3, v5, v3
	v_mul_f32_e32 v5, v4, v3
	v_fma_f32 v6, -v2, v5, v4
	v_fmac_f32_e32 v5, v6, v3
	v_fma_f32 v2, -v2, v5, v4
	v_div_fmas_f32 v2, v2, v3, v5
	v_div_fixup_f32 v4, v2, v1, 1.0
	v_accvgpr_read_b32 v1, a2
	v_xad_u32 v2, v1, -1, v0
	v_cmp_lt_u32_e32 vcc, s4, v2
	s_mov_b64 s[6:7], -1
	s_and_saveexec_b64 s[4:5], vcc
	s_cbranch_execz .LBB261_424
; %bb.416:
	v_lshrrev_b32_e32 v1, 7, v2
	v_add_u32_e32 v3, -1, v1
	v_lshrrev_b32_e32 v2, 1, v3
	v_mov_b32_e32 v5, v4
	v_add_u32_e32 v2, 1, v2
	v_cmp_lt_u32_e32 vcc, 13, v3
	v_mov_b32_e32 v7, 0
	s_and_saveexec_b64 s[6:7], vcc
	s_cbranch_execz .LBB261_420
; %bb.417:
	s_ashr_i32 s17, s16, 31
	s_lshl_b64 s[8:9], s[16:17], 2
	s_getpc_b64 s[12:13]
	s_add_u32 s12, s12, llvm.amdgcn.dynlds.offset.table@rel32@lo+4
	s_addc_u32 s13, s13, llvm.amdgcn.dynlds.offset.table@rel32@hi+12
	s_add_u32 s8, s8, s12
	s_addc_u32 s9, s9, s13
	s_load_dword s8, s[8:9], 0x0
	v_accvgpr_read_b32 v6, a2
	v_and_b32_e32 v3, -8, v2
	s_mov_b32 s12, 0
	s_waitcnt lgkmcnt(0)
	v_lshl_add_u32 v6, v6, 2, s8
	s_mov_b64 s[8:9], 0
.LBB261_418:                            ; =>This Inner Loop Header: Depth=1
	ds_read2st64_b32 v[8:9], v6 offset1:2
	ds_read2st64_b32 v[10:11], v6 offset0:4 offset1:6
	ds_read2st64_b32 v[12:13], v6 offset0:8 offset1:10
	ds_read2st64_b32 v[14:15], v6 offset0:12 offset1:14
	v_add_u32_e32 v3, -8, v3
	s_waitcnt lgkmcnt(3)
	v_pk_mul_f32 v[8:9], v[4:5], v[8:9]
	s_waitcnt lgkmcnt(2)
	v_pk_mul_f32 v[10:11], v[4:5], v[10:11]
	ds_write2st64_b32 v6, v8, v9 offset1:2
	ds_write2st64_b32 v6, v10, v11 offset0:4 offset1:6
	ds_read2st64_b32 v[10:11], v6 offset0:16 offset1:18
	s_waitcnt lgkmcnt(4)
	v_pk_mul_f32 v[8:9], v[4:5], v[12:13]
	ds_write2st64_b32 v6, v8, v9 offset0:8 offset1:10
	s_waitcnt lgkmcnt(4)
	v_pk_mul_f32 v[8:9], v[4:5], v[14:15]
	ds_write2st64_b32 v6, v8, v9 offset0:12 offset1:14
	ds_read2st64_b32 v[8:9], v6 offset0:20 offset1:22
	s_waitcnt lgkmcnt(3)
	v_pk_mul_f32 v[10:11], v[4:5], v[10:11]
	ds_read2st64_b32 v[12:13], v6 offset0:24 offset1:26
	ds_write2st64_b32 v6, v10, v11 offset0:16 offset1:18
	ds_read2st64_b32 v[10:11], v6 offset0:28 offset1:30
	s_waitcnt lgkmcnt(3)
	v_pk_mul_f32 v[8:9], v[4:5], v[8:9]
	ds_write2st64_b32 v6, v8, v9 offset0:20 offset1:22
	s_waitcnt lgkmcnt(3)
	v_pk_mul_f32 v[8:9], v[4:5], v[12:13]
	ds_write2st64_b32 v6, v8, v9 offset0:24 offset1:26
	s_waitcnt lgkmcnt(2)
	v_pk_mul_f32 v[8:9], v[4:5], v[10:11]
	s_add_i32 s12, s12, 16
	v_cmp_eq_u32_e32 vcc, 0, v3
	ds_write2st64_b32 v6, v8, v9 offset0:28 offset1:30
	v_add_u32_e32 v6, 0x2000, v6
	s_or_b64 s[8:9], vcc, s[8:9]
	v_mov_b32_e32 v7, s12
	s_andn2_b64 exec, exec, s[8:9]
	s_cbranch_execnz .LBB261_418
; %bb.419:
	s_or_b64 exec, exec, s[8:9]
.LBB261_420:
	s_or_b64 exec, exec, s[6:7]
	v_and_b32_e32 v2, 7, v2
	v_cmp_ne_u32_e32 vcc, 0, v2
	s_and_saveexec_b64 s[6:7], vcc
	s_cbranch_execz .LBB261_423
; %bb.421:
	s_ashr_i32 s17, s16, 31
	s_lshl_b64 s[8:9], s[16:17], 2
	s_getpc_b64 s[12:13]
	s_add_u32 s12, s12, llvm.amdgcn.dynlds.offset.table@rel32@lo+4
	s_addc_u32 s13, s13, llvm.amdgcn.dynlds.offset.table@rel32@hi+12
	s_add_u32 s8, s8, s12
	s_addc_u32 s9, s9, s13
	s_load_dword s8, s[8:9], 0x0
	v_accvgpr_read_b32 v6, a2
	v_lshlrev_b32_e32 v3, 9, v7
	v_lshlrev_b32_e32 v6, 2, v6
	s_waitcnt lgkmcnt(0)
	v_add3_u32 v3, v3, v6, s8
	s_mov_b64 s[8:9], 0
.LBB261_422:                            ; =>This Inner Loop Header: Depth=1
	ds_read2st64_b32 v[6:7], v3 offset1:2
	v_add_u32_e32 v2, -1, v2
	v_cmp_eq_u32_e32 vcc, 0, v2
	s_or_b64 s[8:9], vcc, s[8:9]
	s_waitcnt lgkmcnt(0)
	v_pk_mul_f32 v[6:7], v[4:5], v[6:7]
	ds_write2st64_b32 v3, v6, v7 offset1:2
	v_add_u32_e32 v3, 0x400, v3
	s_andn2_b64 exec, exec, s[8:9]
	s_cbranch_execnz .LBB261_422
.LBB261_423:
	s_or_b64 exec, exec, s[6:7]
	v_add_u32_e32 v2, 1, v1
	v_and_b32_e32 v3, 0x3fffffe, v2
	v_accvgpr_read_b32 v1, a2
	v_cmp_ne_u32_e32 vcc, v2, v3
	v_lshl_add_u32 v1, v3, 7, v1
	s_orn2_b64 s[6:7], vcc, exec
.LBB261_424:
	s_or_b64 exec, exec, s[4:5]
	s_and_b64 exec, exec, s[6:7]
	s_cbranch_execz .LBB261_427
; %bb.425:
	s_ashr_i32 s17, s16, 31
	s_lshl_b64 s[4:5], s[16:17], 2
	s_getpc_b64 s[6:7]
	s_add_u32 s6, s6, llvm.amdgcn.dynlds.offset.table@rel32@lo+4
	s_addc_u32 s7, s7, llvm.amdgcn.dynlds.offset.table@rel32@hi+12
	s_add_u32 s4, s4, s6
	s_addc_u32 s5, s5, s7
	s_load_dword s4, s[4:5], 0x0
	s_waitcnt lgkmcnt(0)
	v_lshl_add_u32 v2, v1, 2, s4
	s_mov_b64 s[4:5], 0
.LBB261_426:                            ; =>This Inner Loop Header: Depth=1
	ds_read_b32 v3, v2
	v_add_u32_e32 v1, 0x80, v1
	v_cmp_ge_i32_e32 vcc, v1, v0
	s_or_b64 s[4:5], vcc, s[4:5]
	s_waitcnt lgkmcnt(0)
	v_mul_f32_e32 v3, v4, v3
	ds_write_b32 v2, v3
	v_add_u32_e32 v2, 0x200, v2
	s_andn2_b64 exec, exec, s[4:5]
	s_cbranch_execnz .LBB261_426
.LBB261_427:
	s_or_b64 exec, exec, s[2:3]
	v_accvgpr_read_b32 v0, a2
	s_mov_b32 s4, 0
	v_mov_b32_e32 v17, 0
	v_and_b32_e32 v51, 3, v0
	v_mov_b32_e32 v16, 0
	v_mov_b32_e32 v15, 0
	;; [unrolled: 1-line block ×5, first 2 shown]
	s_waitcnt lgkmcnt(0)
	s_barrier
	s_and_saveexec_b64 s[2:3], s[0:1]
	s_cbranch_execz .LBB261_829
; %bb.428:
	v_max_i32_e32 v52, v26, v23
	v_cvt_f32_u32_e32 v2, v52
	v_lshl_add_u64 v[0:1], v[20:21], 0, v[18:19]
	v_and_b32_e32 v4, 0x1f8, v22
	v_mov_b32_e32 v5, 0
	v_rcp_iflag_f32_e32 v2, v2
	s_ashr_i32 s17, s16, 31
	v_lshl_add_u64 v[8:9], v[0:1], 0, v[4:5]
	v_lshlrev_b32_e32 v0, 5, v51
	v_mul_f32_e32 v2, 0x4f7ffffe, v2
	v_cvt_u32_f32_e32 v2, v2
	v_accvgpr_read_b32 v1, a12
	s_lshl_b64 s[0:1], s[16:17], 2
	v_lshl_or_b32 v54, v1, 7, v0
	v_accvgpr_read_b32 v0, a21
	v_sub_u32_e32 v6, 0, v52
	s_getpc_b64 s[6:7]
	s_add_u32 s6, s6, llvm.amdgcn.dynlds.offset.table@rel32@lo+4
	s_addc_u32 s7, s7, llvm.amdgcn.dynlds.offset.table@rel32@hi+12
	v_and_b32_e32 v4, 60, v0
	v_accvgpr_read_b32 v0, a22
	v_mul_lo_u32 v6, v6, v2
	s_add_u32 s12, s0, s6
	v_accvgpr_read_b32 v1, a23
	v_accvgpr_read_b32 v10, a16
	s_mov_b32 s8, s4
	s_mov_b32 s9, s4
	v_accvgpr_read_b32 v3, a11
	v_mul_hi_u32 v6, v2, v6
	s_addc_u32 s13, s1, s7
	v_lshl_add_u64 v[0:1], v[0:1], 2, v[4:5]
	v_accvgpr_read_b32 v11, a17
	s_mov_b32 s5, s4
	s_mov_b32 s6, s4
	;; [unrolled: 1-line block ×3, first 2 shown]
	v_mov_b64_e32 v[16:17], s[8:9]
	v_and_b32_e32 v53, 24, v22
	v_add_u32_e32 v7, -1, v3
	v_accvgpr_read_b32 v3, a8
	v_add_u32_e32 v6, v2, v6
	v_lshl_add_u64 v[10:11], v[10:11], 0, v[0:1]
	s_mov_b64 s[20:21], 0
	v_mov_b64_e32 v[14:15], s[6:7]
	v_mov_b64_e32 v[12:13], s[4:5]
	s_movk_i32 s17, 0x7f
	s_movk_i32 s24, 0x80
	s_mov_b32 s25, 0x8000
	s_movk_i32 s26, 0x380
	s_mov_b32 s27, 0x3020706
	s_mov_b32 s28, 0x1000504
	;; [unrolled: 1-line block ×3, first 2 shown]
	v_mov_b32_e32 v55, 0x1c00
	v_accvgpr_read_b32 v2, a14
	s_branch .LBB261_431
.LBB261_429:                            ;   in Loop: Header=BB261_431 Depth=1
	s_or_b64 exec, exec, s[0:1]
	v_add_f32_e32 v0, v0, v1
	v_add_f32_e32 v13, v13, v0
	;; [unrolled: 1-line block ×8, first 2 shown]
	;;#ASMSTART
	v_pk_mul_f16 v0, v59, v23;

	;;#ASMEND
	;;#ASMSTART
	v_pk_mul_f16 v1, v58, v4;

	;;#ASMEND
	;; [unrolled: 4-line block ×4, first 2 shown]
	v_add_f32_e32 v19, v60, v61
	;;#ASMSTART
	v_pk_add_f16 v0, v0, v1;

	;;#ASMEND
	v_add_f32_e32 v12, v12, v19
	;;#ASMSTART
	v_pk_add_f16 v0, v0, v2;

	;;#ASMEND
	s_nop 0
	;;#ASMSTART
	v_pk_add_f16 v0, v0, v4;

	;;#ASMEND
	s_nop 0
	v_lshrrev_b32_e32 v1, 16, v0
	v_and_b32_e32 v0, 0xffff, v0
	;;#ASMSTART
	v_cvt_f32_f16 v0, v0;
	;;#ASMEND
	;;#ASMSTART
	v_cvt_f32_f16 v1, v1;
	;;#ASMEND
	s_nop 0
	v_add_f32_e32 v0, v0, v1
	v_add_f32_e32 v17, v17, v0
.LBB261_430:                            ;   in Loop: Header=BB261_431 Depth=1
	s_or_b64 exec, exec, s[4:5]
	v_accvgpr_read_b32 v1, a12
	v_add_u32_e32 v1, 2, v1
	v_accvgpr_read_b32 v0, a11
	v_mov_b32_e32 v2, v49
	v_cmp_ge_i32_e32 vcc, v1, v0
	v_add_u32_e32 v2, 64, v2
	v_add_u32_e32 v54, 0x100, v54
	v_accvgpr_write_b32 a12, v1
	s_or_b64 s[20:21], vcc, s[20:21]
	v_lshl_add_u64 v[10:11], v[10:11], 0, 8
	s_andn2_b64 exec, exec, s[20:21]
	s_cbranch_execz .LBB261_828
.LBB261_431:                            ; =>This Inner Loop Header: Depth=1
	v_accvgpr_read_b32 v0, a7
	v_mul_hi_u32 v0, v2, v0
	v_accvgpr_read_b32 v4, a3
	v_mul_lo_u32 v1, v0, v4
	v_sub_u32_e32 v1, v2, v1
	v_mov_b32_e32 v49, v2
	v_add_u32_e32 v2, 1, v0
	v_cmp_ge_u32_e32 vcc, v1, v4
	s_nop 1
	v_cndmask_b32_e32 v0, v0, v2, vcc
	v_sub_u32_e32 v2, v1, v4
	v_cndmask_b32_e32 v1, v1, v2, vcc
	v_add_u32_e32 v2, 1, v0
	v_cmp_ge_u32_e32 vcc, v1, v4
	v_accvgpr_read_b32 v1, a9
	s_nop 0
	v_cndmask_b32_e32 v0, v0, v2, vcc
	v_xor_b32_e32 v0, v0, v1
	v_sub_u32_e32 v0, v0, v1
	v_accvgpr_read_b32 v2, a10
	v_add_u32_e32 v1, v0, v2
	v_sub_u32_e32 v4, 0, v1
	v_ashrrev_i32_e32 v2, 31, v1
	v_max_i32_e32 v1, v1, v4
	v_mul_hi_u32 v4, v1, v6
	v_mul_lo_u32 v4, v4, v52
	v_sub_u32_e32 v1, v1, v4
	v_sub_u32_e32 v4, v1, v52
	v_cmp_ge_u32_e32 vcc, v1, v52
	s_nop 1
	v_cndmask_b32_e32 v1, v1, v4, vcc
	v_sub_u32_e32 v4, v1, v52
	v_cmp_ge_u32_e32 vcc, v1, v52
	s_nop 1
	v_cndmask_b32_e32 v1, v1, v4, vcc
	v_xor_b32_e32 v1, v1, v2
	v_sub_u32_e32 v1, v1, v2
	v_cmp_eq_u32_e32 vcc, 0, v1
	v_accvgpr_read_b32 v1, a13
	v_cmp_gt_i32_e64 s[0:1], v0, v1
	s_or_b64 s[0:1], vcc, s[0:1]
	s_and_saveexec_b64 s[4:5], s[0:1]
	s_cbranch_execz .LBB261_430
; %bb.432:                              ;   in Loop: Header=BB261_431 Depth=1
	s_load_dword s0, s[12:13], 0x0
	v_accvgpr_read_b32 v4, a6
                                        ; implicit-def: $sgpr22
	s_waitcnt lgkmcnt(0)
	v_add_u32_e32 v0, s0, v54
	ds_read2_b64 v[20:23], v0 offset1:1
	ds_read2_b64 v[26:29], v0 offset0:2 offset1:3
	s_waitcnt lgkmcnt(1)
	;;#ASMSTART
	v_cvt_f16_f32 v0, v20;

	;;#ASMEND
	;;#ASMSTART
	v_cvt_f16_f32 v1, v21;

	;;#ASMEND
	;; [unrolled: 4-line block ×4, first 2 shown]
	s_waitcnt lgkmcnt(0)
	;;#ASMSTART
	v_cvt_f16_f32 v31, v26;

	;;#ASMEND
	;;#ASMSTART
	v_cvt_f16_f32 v38, v27;

	;;#ASMEND
	;; [unrolled: 4-line block ×4, first 2 shown]
	flat_load_dword v2, v[10:11]
	v_accvgpr_read_b32 v23, a5
	v_accvgpr_read_b32 v22, a4
	flat_load_dword v24, v[22:23]
	s_waitcnt vmcnt(0) lgkmcnt(0)
	v_mad_i64_i32 v[20:21], s[0:1], v2, v4, v[8:9]
	flat_load_dwordx2 v[26:27], v[20:21]
	s_mov_b64 s[0:1], 0
	s_waitcnt vmcnt(0) lgkmcnt(0)
	v_cmp_gt_i16_sdwa s[6:7], v26, s17 src0_sel:BYTE_0 src1_sel:DWORD
	s_and_saveexec_b64 s[8:9], s[6:7]
	s_xor_b64 s[6:7], exec, s[8:9]
	s_cbranch_execnz .LBB261_636
; %bb.433:                              ;   in Loop: Header=BB261_431 Depth=1
	s_or_saveexec_b64 s[6:7], s[6:7]
	v_mov_b32_e32 v28, s22
	s_xor_b64 exec, exec, s[6:7]
	s_cbranch_execnz .LBB261_639
.LBB261_434:                            ;   in Loop: Header=BB261_431 Depth=1
	s_or_b64 exec, exec, s[6:7]
	s_and_saveexec_b64 s[6:7], s[0:1]
	s_cbranch_execz .LBB261_436
.LBB261_435:                            ;   in Loop: Header=BB261_431 Depth=1
	v_and_b32_e32 v2, 7, v26
	v_ffbh_u32_e32 v2, v2
	v_bfe_u32 v4, v26, 3, 4
	v_min_u32_e32 v2, 32, v2
	v_subrev_u32_e32 v19, 28, v2
	v_sub_u32_e32 v2, 29, v2
	v_cmp_eq_u32_e32 vcc, 0, v4
	s_nop 1
	v_cndmask_b32_e32 v2, v4, v2, vcc
	v_cndmask_b32_e32 v4, 0, v19, vcc
	v_lshlrev_b64 v[22:23], v4, v[26:27]
	v_lshlrev_b32_e32 v19, 8, v26
	v_lshl_add_u32 v2, v2, 10, v55
	v_lshlrev_b32_e32 v4, 7, v22
	v_and_or_b32 v2, v19, s25, v2
	v_and_or_b32 v2, v4, s26, v2
	v_cvt_f32_f16_e32 v28, v2
.LBB261_436:                            ;   in Loop: Header=BB261_431 Depth=1
	s_or_b64 exec, exec, s[6:7]
	v_lshrrev_b16_e32 v4, 8, v26
	v_cmp_lt_i16_e32 vcc, s17, v4
	s_mov_b64 s[0:1], 0
                                        ; implicit-def: $sgpr22
	s_and_saveexec_b64 s[6:7], vcc
	s_xor_b64 s[6:7], exec, s[6:7]
	s_cbranch_execnz .LBB261_640
; %bb.437:                              ;   in Loop: Header=BB261_431 Depth=1
	s_or_saveexec_b64 s[6:7], s[6:7]
	v_mov_b32_e32 v32, s22
	s_xor_b64 exec, exec, s[6:7]
	s_cbranch_execnz .LBB261_643
.LBB261_438:                            ;   in Loop: Header=BB261_431 Depth=1
	s_or_b64 exec, exec, s[6:7]
	s_and_saveexec_b64 s[6:7], s[0:1]
	s_cbranch_execz .LBB261_440
.LBB261_439:                            ;   in Loop: Header=BB261_431 Depth=1
	v_and_b32_e32 v2, 7, v4
	v_ffbh_u32_e32 v22, v2
	v_min_u32_e32 v29, 32, v22
	v_subrev_u32_e32 v22, 28, v29
	v_bfe_u32 v19, v4, 3, 4
	v_lshlrev_b64 v[22:23], v22, v[4:5]
	v_sub_u32_e32 v23, 29, v29
	v_cmp_eq_u32_e32 vcc, 0, v19
	v_and_b32_e32 v22, 7, v22
	v_lshlrev_b32_e32 v4, 8, v4
	v_cndmask_b32_e32 v19, v19, v23, vcc
	v_lshl_add_u32 v19, v19, 10, v55
	v_cndmask_b32_e32 v2, v2, v22, vcc
	v_and_or_b32 v4, v4, s25, v19
	v_lshl_or_b32 v2, v2, 7, v4
	v_cvt_f32_f16_e32 v32, v2
.LBB261_440:                            ;   in Loop: Header=BB261_431 Depth=1
	s_or_b64 exec, exec, s[6:7]
	v_lshrrev_b32_e32 v4, 16, v26
	v_cmp_gt_i16_sdwa s[6:7], v4, s17 src0_sel:BYTE_0 src1_sel:DWORD
	s_mov_b64 s[0:1], 0
                                        ; implicit-def: $sgpr22
	s_and_saveexec_b64 s[8:9], s[6:7]
	s_xor_b64 s[6:7], exec, s[8:9]
	s_cbranch_execnz .LBB261_644
; %bb.441:                              ;   in Loop: Header=BB261_431 Depth=1
	s_or_saveexec_b64 s[6:7], s[6:7]
	v_mov_b32_e32 v29, s22
	s_xor_b64 exec, exec, s[6:7]
	s_cbranch_execnz .LBB261_647
.LBB261_442:                            ;   in Loop: Header=BB261_431 Depth=1
	s_or_b64 exec, exec, s[6:7]
	s_and_saveexec_b64 s[6:7], s[0:1]
	s_cbranch_execz .LBB261_444
.LBB261_443:                            ;   in Loop: Header=BB261_431 Depth=1
	v_bfe_u32 v2, v26, 16, 3
	v_ffbh_u32_e32 v22, v2
	v_min_u32_e32 v29, 32, v22
	v_subrev_u32_e32 v22, 28, v29
	v_bfe_u32 v19, v26, 19, 4
	v_lshlrev_b64 v[22:23], v22, v[4:5]
	v_sub_u32_e32 v23, 29, v29
	v_cmp_eq_u32_e32 vcc, 0, v19
	v_and_b32_e32 v22, 7, v22
	v_lshlrev_b32_e32 v4, 8, v4
	v_cndmask_b32_e32 v19, v19, v23, vcc
	v_lshl_add_u32 v19, v19, 10, v55
	v_cndmask_b32_e32 v2, v2, v22, vcc
	v_and_or_b32 v4, v4, s25, v19
	v_lshl_or_b32 v2, v2, 7, v4
	v_cvt_f32_f16_e32 v29, v2
.LBB261_444:                            ;   in Loop: Header=BB261_431 Depth=1
	s_or_b64 exec, exec, s[6:7]
	v_lshrrev_b32_e32 v4, 24, v26
	v_cmp_lt_i16_e32 vcc, s17, v4
	s_mov_b64 s[0:1], 0
                                        ; implicit-def: $sgpr22
	s_and_saveexec_b64 s[6:7], vcc
	s_xor_b64 s[6:7], exec, s[6:7]
	s_cbranch_execnz .LBB261_648
; %bb.445:                              ;   in Loop: Header=BB261_431 Depth=1
	s_or_saveexec_b64 s[6:7], s[6:7]
	v_mov_b32_e32 v33, s22
	s_xor_b64 exec, exec, s[6:7]
	s_cbranch_execnz .LBB261_651
.LBB261_446:                            ;   in Loop: Header=BB261_431 Depth=1
	s_or_b64 exec, exec, s[6:7]
	s_and_saveexec_b64 s[6:7], s[0:1]
	s_cbranch_execz .LBB261_448
.LBB261_447:                            ;   in Loop: Header=BB261_431 Depth=1
	v_bfe_u32 v2, v26, 24, 3
	v_ffbh_u32_e32 v22, v2
	v_bfe_u32 v19, v26, 27, 4
	v_min_u32_e32 v26, 32, v22
	v_subrev_u32_e32 v22, 28, v26
	v_lshlrev_b64 v[22:23], v22, v[4:5]
	v_sub_u32_e32 v23, 29, v26
	v_cmp_eq_u32_e32 vcc, 0, v19
	v_and_b32_e32 v22, 7, v22
	v_lshlrev_b32_e32 v4, 8, v4
	v_cndmask_b32_e32 v19, v19, v23, vcc
	v_lshl_add_u32 v19, v19, 10, v55
	v_cndmask_b32_e32 v2, v2, v22, vcc
	v_and_or_b32 v4, v4, s25, v19
	v_lshl_or_b32 v2, v2, 7, v4
	v_cvt_f32_f16_e32 v33, v2
.LBB261_448:                            ;   in Loop: Header=BB261_431 Depth=1
	s_or_b64 exec, exec, s[6:7]
	v_cmp_gt_i16_sdwa s[6:7], v27, s17 src0_sel:BYTE_0 src1_sel:DWORD
	s_mov_b64 s[0:1], 0
                                        ; implicit-def: $sgpr22
	s_and_saveexec_b64 s[8:9], s[6:7]
	s_xor_b64 s[6:7], exec, s[8:9]
	s_cbranch_execnz .LBB261_652
; %bb.449:                              ;   in Loop: Header=BB261_431 Depth=1
	s_or_saveexec_b64 s[6:7], s[6:7]
	v_mov_b32_e32 v2, s22
	s_xor_b64 exec, exec, s[6:7]
	s_cbranch_execnz .LBB261_655
.LBB261_450:                            ;   in Loop: Header=BB261_431 Depth=1
	s_or_b64 exec, exec, s[6:7]
	v_mov_b32_e32 v4, v27
	s_and_saveexec_b64 s[6:7], s[0:1]
	s_cbranch_execz .LBB261_452
.LBB261_451:                            ;   in Loop: Header=BB261_431 Depth=1
	v_and_b32_e32 v2, 7, v27
	v_ffbh_u32_e32 v2, v2
	v_bfe_u32 v19, v27, 3, 4
	v_min_u32_e32 v2, 32, v2
	v_subrev_u32_e32 v22, 28, v2
	v_sub_u32_e32 v2, 29, v2
	v_cmp_eq_u32_e32 vcc, 0, v19
	s_nop 1
	v_cndmask_b32_e32 v2, v19, v2, vcc
	v_cndmask_b32_e32 v19, 0, v22, vcc
	v_lshlrev_b64 v[22:23], v19, v[4:5]
	v_lshlrev_b32_e32 v19, 7, v22
	v_lshlrev_b32_e32 v22, 8, v27
	v_lshl_add_u32 v2, v2, 10, v55
	v_and_or_b32 v2, v22, s25, v2
	v_and_or_b32 v2, v19, s26, v2
	v_cvt_f32_f16_e32 v2, v2
.LBB261_452:                            ;   in Loop: Header=BB261_431 Depth=1
	s_or_b64 exec, exec, s[6:7]
	v_lshrrev_b16_e32 v4, 8, v4
	v_cmp_lt_i16_e32 vcc, s17, v4
	s_mov_b64 s[0:1], 0
                                        ; implicit-def: $sgpr22
	s_and_saveexec_b64 s[6:7], vcc
	s_xor_b64 s[6:7], exec, s[6:7]
	s_cbranch_execnz .LBB261_656
; %bb.453:                              ;   in Loop: Header=BB261_431 Depth=1
	s_or_saveexec_b64 s[6:7], s[6:7]
	v_mov_b32_e32 v22, s22
	s_xor_b64 exec, exec, s[6:7]
	s_cbranch_execnz .LBB261_659
.LBB261_454:                            ;   in Loop: Header=BB261_431 Depth=1
	s_or_b64 exec, exec, s[6:7]
	s_and_saveexec_b64 s[6:7], s[0:1]
	s_cbranch_execz .LBB261_456
.LBB261_455:                            ;   in Loop: Header=BB261_431 Depth=1
	v_and_b32_e32 v19, 7, v4
	v_ffbh_u32_e32 v22, v19
	v_min_u32_e32 v30, 32, v22
	v_subrev_u32_e32 v22, 28, v30
	v_bfe_u32 v26, v4, 3, 4
	v_lshlrev_b64 v[22:23], v22, v[4:5]
	v_sub_u32_e32 v23, 29, v30
	v_cmp_eq_u32_e32 vcc, 0, v26
	v_and_b32_e32 v22, 7, v22
	v_lshlrev_b32_e32 v4, 8, v4
	v_cndmask_b32_e32 v23, v26, v23, vcc
	v_cndmask_b32_e32 v19, v19, v22, vcc
	v_lshl_add_u32 v22, v23, 10, v55
	v_and_or_b32 v4, v4, s25, v22
	v_lshl_or_b32 v4, v19, 7, v4
	v_cvt_f32_f16_e32 v22, v4
.LBB261_456:                            ;   in Loop: Header=BB261_431 Depth=1
	s_or_b64 exec, exec, s[6:7]
	v_lshrrev_b32_e32 v4, 16, v27
	v_cmp_gt_i16_sdwa s[6:7], v4, s17 src0_sel:BYTE_0 src1_sel:DWORD
	s_mov_b64 s[0:1], 0
                                        ; implicit-def: $sgpr22
	s_and_saveexec_b64 s[8:9], s[6:7]
	s_xor_b64 s[6:7], exec, s[8:9]
	s_cbranch_execnz .LBB261_660
; %bb.457:                              ;   in Loop: Header=BB261_431 Depth=1
	s_or_saveexec_b64 s[6:7], s[6:7]
	v_mov_b32_e32 v23, s22
	s_xor_b64 exec, exec, s[6:7]
	s_cbranch_execnz .LBB261_663
.LBB261_458:                            ;   in Loop: Header=BB261_431 Depth=1
	s_or_b64 exec, exec, s[6:7]
	s_and_saveexec_b64 s[6:7], s[0:1]
	s_cbranch_execz .LBB261_460
.LBB261_459:                            ;   in Loop: Header=BB261_431 Depth=1
	v_bfe_u32 v19, v27, 16, 3
	v_ffbh_u32_e32 v26, v19
	v_bfe_u32 v23, v27, 19, 4
	v_min_u32_e32 v26, 32, v26
	v_subrev_u32_e32 v30, 28, v26
	v_sub_u32_e32 v26, 29, v26
	v_cmp_eq_u32_e32 vcc, 0, v23
	v_lshlrev_b64 v[40:41], v30, v[4:5]
	v_and_b32_e32 v30, 7, v40
	v_cndmask_b32_e32 v23, v23, v26, vcc
	v_lshlrev_b32_e32 v4, 8, v4
	v_lshl_add_u32 v23, v23, 10, v55
	v_cndmask_b32_e32 v19, v19, v30, vcc
	v_and_or_b32 v4, v4, s25, v23
	v_lshl_or_b32 v4, v19, 7, v4
	v_cvt_f32_f16_e32 v23, v4
.LBB261_460:                            ;   in Loop: Header=BB261_431 Depth=1
	s_or_b64 exec, exec, s[6:7]
	v_lshrrev_b32_e32 v4, 24, v27
	v_cmp_lt_i16_e32 vcc, s17, v4
	s_mov_b64 s[0:1], 0
                                        ; implicit-def: $sgpr22
	s_and_saveexec_b64 s[6:7], vcc
	s_xor_b64 s[6:7], exec, s[6:7]
	s_cbranch_execnz .LBB261_664
; %bb.461:                              ;   in Loop: Header=BB261_431 Depth=1
	s_or_saveexec_b64 s[6:7], s[6:7]
	v_mov_b32_e32 v39, s22
	s_xor_b64 exec, exec, s[6:7]
	s_cbranch_execnz .LBB261_667
.LBB261_462:                            ;   in Loop: Header=BB261_431 Depth=1
	s_or_b64 exec, exec, s[6:7]
	s_and_saveexec_b64 s[6:7], s[0:1]
	s_cbranch_execz .LBB261_464
.LBB261_463:                            ;   in Loop: Header=BB261_431 Depth=1
	v_bfe_u32 v19, v27, 24, 3
	v_ffbh_u32_e32 v26, v19
	v_min_u32_e32 v37, 32, v26
	v_subrev_u32_e32 v26, 28, v37
	v_bfe_u32 v30, v27, 27, 4
	v_lshlrev_b64 v[26:27], v26, v[4:5]
	v_sub_u32_e32 v27, 29, v37
	v_cmp_eq_u32_e32 vcc, 0, v30
	v_and_b32_e32 v26, 7, v26
	v_lshlrev_b32_e32 v4, 8, v4
	v_cndmask_b32_e32 v27, v30, v27, vcc
	v_cndmask_b32_e32 v19, v19, v26, vcc
	v_lshl_add_u32 v26, v27, 10, v55
	v_and_or_b32 v4, v4, s25, v26
	v_lshl_or_b32 v4, v19, 7, v4
	v_cvt_f32_f16_e32 v39, v4
.LBB261_464:                            ;   in Loop: Header=BB261_431 Depth=1
	s_or_b64 exec, exec, s[6:7]
	v_pk_mul_f32 v[26:27], v[24:25], v[32:33] op_sel_hi:[0,1]
	v_pk_mul_f32 v[28:29], v[24:25], v[28:29] op_sel_hi:[0,1]
	v_cvt_f16_f32_e32 v4, v27
	v_cvt_f16_f32_e32 v19, v26
	v_cvt_f16_f32_e32 v26, v29
	v_cvt_f16_f32_e32 v27, v28
	v_fma_mixlo_f16 v2, v24, v2, 0
	v_pack_b32_f16 v19, v19, v4
	v_mov_b32_e32 v28, v49
	v_pack_b32_f16 v26, v27, v26
	v_perm_b32 v4, v26, v19, s27
	v_perm_b32 v26, v26, v19, s28
	v_fma_mixlo_f16 v19, v24, v22, 0
	v_lshlrev_b32_e32 v19, 16, v19
	v_or_b32_sdwa v2, v19, v2 dst_sel:DWORD dst_unused:UNUSED_PAD src0_sel:DWORD src1_sel:WORD_0
	v_fma_mixlo_f16 v19, v24, v39, 0
	v_add_u32_e32 v42, v53, v28
	v_accvgpr_read_b32 v28, a12
	v_fma_mixlo_f16 v23, v24, v23, 0
	v_lshlrev_b32_e32 v19, 16, v19
	v_cmp_eq_u32_e32 vcc, v7, v28
	v_or_b32_sdwa v22, v19, v23 dst_sel:DWORD dst_unused:UNUSED_PAD src0_sel:DWORD src1_sel:WORD_0
	v_add_u32_e32 v47, 1, v42
	v_or_b32_e32 v46, 3, v42
	v_or_b32_e32 v45, 2, v42
	;; [unrolled: 1-line block ×6, first 2 shown]
	s_and_saveexec_b64 s[6:7], vcc
	s_cbranch_execz .LBB261_466
; %bb.465:                              ;   in Loop: Header=BB261_431 Depth=1
	v_lshrrev_b32_e32 v19, 16, v26
	v_cmp_lt_i32_e64 s[0:1], v47, v3
	v_accvgpr_read_b32 v28, a8
	s_nop 0
	v_cndmask_b32_e64 v19, 0, v19, s[0:1]
	v_cmp_lt_i32_e64 s[0:1], v42, v28
	s_nop 1
	v_cndmask_b32_e64 v24, 0, v26, s[0:1]
	v_perm_b32 v26, v19, v24, s29
	v_lshrrev_b32_e32 v19, 16, v4
	v_cmp_lt_i32_e64 s[0:1], v46, v3
	s_nop 1
	v_cndmask_b32_e64 v19, 0, v19, s[0:1]
	v_cmp_lt_i32_e64 s[0:1], v45, v28
	s_nop 1
	v_cndmask_b32_e64 v4, 0, v4, s[0:1]
	v_perm_b32 v4, v19, v4, s29
	v_lshrrev_b32_e32 v19, 16, v2
	v_cmp_lt_i32_e64 s[0:1], v44, v3
	;; [unrolled: 8-line block ×3, first 2 shown]
	s_nop 1
	v_cndmask_b32_e64 v19, 0, v19, s[0:1]
	v_cmp_lt_i32_e64 s[0:1], v40, v28
	s_nop 1
	v_cndmask_b32_e64 v22, 0, v23, s[0:1]
	v_perm_b32 v22, v19, v22, s29
.LBB261_466:                            ;   in Loop: Header=BB261_431 Depth=1
	s_or_b64 exec, exec, s[6:7]
	v_and_b32_e32 v0, 0xffff, v0
	v_lshl_or_b32 v59, v1, 16, v0
	v_and_b32_e32 v0, 0xffff, v18
	v_lshl_or_b32 v58, v25, 16, v0
	;; [unrolled: 2-line block ×4, first 2 shown]
	;;#ASMSTART
	v_pk_mul_f16 v0, v59, v26;

	;;#ASMEND
	;;#ASMSTART
	v_pk_mul_f16 v1, v58, v4;

	;;#ASMEND
	;; [unrolled: 4-line block ×4, first 2 shown]
	s_mov_b64 s[0:1], 0
	;;#ASMSTART
	v_pk_add_f16 v0, v0, v1;

	;;#ASMEND
                                        ; implicit-def: $sgpr22
	s_nop 0
	;;#ASMSTART
	v_pk_add_f16 v0, v0, v2;

	;;#ASMEND
	s_nop 0
	;;#ASMSTART
	v_pk_add_f16 v0, v0, v4;

	;;#ASMEND
	s_nop 0
	v_lshrrev_b32_e32 v1, 16, v0
	v_and_b32_e32 v0, 0xffff, v0
	;;#ASMSTART
	v_cvt_f32_f16 v60, v0;
	;;#ASMEND
	;;#ASMSTART
	v_cvt_f32_f16 v61, v1;
	;;#ASMEND
	v_accvgpr_read_b32 v0, a4
	flat_load_dwordx2 v[26:27], v[20:21] offset:512
	v_accvgpr_read_b32 v1, a5
	flat_load_dword v24, v[0:1]
	s_waitcnt vmcnt(0) lgkmcnt(0)
	v_cmp_gt_i16_sdwa s[6:7], v26, s17 src0_sel:BYTE_0 src1_sel:DWORD
	s_and_saveexec_b64 s[8:9], s[6:7]
	s_xor_b64 s[6:7], exec, s[8:9]
	s_cbranch_execnz .LBB261_668
; %bb.467:                              ;   in Loop: Header=BB261_431 Depth=1
	s_or_saveexec_b64 s[6:7], s[6:7]
	v_mov_b32_e32 v28, s22
	s_xor_b64 exec, exec, s[6:7]
	s_cbranch_execnz .LBB261_671
.LBB261_468:                            ;   in Loop: Header=BB261_431 Depth=1
	s_or_b64 exec, exec, s[6:7]
	s_and_saveexec_b64 s[6:7], s[0:1]
	s_cbranch_execz .LBB261_470
.LBB261_469:                            ;   in Loop: Header=BB261_431 Depth=1
	v_and_b32_e32 v0, 7, v26
	v_ffbh_u32_e32 v0, v0
	v_bfe_u32 v1, v26, 3, 4
	v_min_u32_e32 v0, 32, v0
	v_subrev_u32_e32 v2, 28, v0
	v_sub_u32_e32 v0, 29, v0
	v_cmp_eq_u32_e64 s[0:1], 0, v1
	s_nop 1
	v_cndmask_b32_e64 v4, v1, v0, s[0:1]
	v_cndmask_b32_e64 v0, 0, v2, s[0:1]
	v_lshlrev_b64 v[0:1], v0, v[26:27]
	v_lshlrev_b32_e32 v1, 8, v26
	v_lshl_add_u32 v2, v4, 10, v55
	v_lshlrev_b32_e32 v0, 7, v0
	v_and_or_b32 v1, v1, s25, v2
	v_and_or_b32 v0, v0, s26, v1
	v_cvt_f32_f16_e32 v28, v0
.LBB261_470:                            ;   in Loop: Header=BB261_431 Depth=1
	s_or_b64 exec, exec, s[6:7]
	v_lshrrev_b16_e32 v4, 8, v26
	v_cmp_lt_i16_e64 s[0:1], s17, v4
	s_mov_b64 s[6:7], 0
                                        ; implicit-def: $sgpr30
	s_and_saveexec_b64 s[8:9], s[0:1]
	s_xor_b64 s[8:9], exec, s[8:9]
	s_cbranch_execnz .LBB261_672
; %bb.471:                              ;   in Loop: Header=BB261_431 Depth=1
	s_or_saveexec_b64 s[8:9], s[8:9]
	v_mov_b32_e32 v32, s30
	s_xor_b64 exec, exec, s[8:9]
	s_cbranch_execnz .LBB261_675
.LBB261_472:                            ;   in Loop: Header=BB261_431 Depth=1
	s_or_b64 exec, exec, s[8:9]
	s_and_saveexec_b64 s[8:9], s[6:7]
	s_cbranch_execz .LBB261_474
.LBB261_473:                            ;   in Loop: Header=BB261_431 Depth=1
	v_and_b32_e32 v2, 7, v4
	v_ffbh_u32_e32 v0, v2
	v_min_u32_e32 v19, 32, v0
	v_subrev_u32_e32 v0, 28, v19
	v_bfe_u32 v18, v4, 3, 4
	v_lshlrev_b64 v[0:1], v0, v[4:5]
	v_sub_u32_e32 v1, 29, v19
	v_cmp_eq_u32_e64 s[0:1], 0, v18
	v_and_b32_e32 v0, 7, v0
	s_nop 0
	v_cndmask_b32_e64 v1, v18, v1, s[0:1]
	v_cndmask_b32_e64 v0, v2, v0, s[0:1]
	v_lshlrev_b32_e32 v2, 8, v4
	v_lshl_add_u32 v1, v1, 10, v55
	v_and_or_b32 v1, v2, s25, v1
	v_lshl_or_b32 v0, v0, 7, v1
	v_cvt_f32_f16_e32 v32, v0
.LBB261_474:                            ;   in Loop: Header=BB261_431 Depth=1
	s_or_b64 exec, exec, s[8:9]
	v_lshrrev_b32_e32 v4, 16, v26
	v_cmp_gt_i16_sdwa s[6:7], v4, s17 src0_sel:BYTE_0 src1_sel:DWORD
	s_mov_b64 s[0:1], 0
                                        ; implicit-def: $sgpr22
	s_and_saveexec_b64 s[8:9], s[6:7]
	s_xor_b64 s[6:7], exec, s[8:9]
	s_cbranch_execnz .LBB261_676
; %bb.475:                              ;   in Loop: Header=BB261_431 Depth=1
	s_or_saveexec_b64 s[6:7], s[6:7]
	v_mov_b32_e32 v29, s22
	s_xor_b64 exec, exec, s[6:7]
	s_cbranch_execnz .LBB261_679
.LBB261_476:                            ;   in Loop: Header=BB261_431 Depth=1
	s_or_b64 exec, exec, s[6:7]
	s_and_saveexec_b64 s[6:7], s[0:1]
	s_cbranch_execz .LBB261_478
.LBB261_477:                            ;   in Loop: Header=BB261_431 Depth=1
	v_bfe_u32 v2, v26, 16, 3
	v_ffbh_u32_e32 v0, v2
	v_min_u32_e32 v19, 32, v0
	v_subrev_u32_e32 v0, 28, v19
	v_bfe_u32 v18, v26, 19, 4
	v_lshlrev_b64 v[0:1], v0, v[4:5]
	v_sub_u32_e32 v1, 29, v19
	v_cmp_eq_u32_e64 s[0:1], 0, v18
	v_and_b32_e32 v0, 7, v0
	s_nop 0
	v_cndmask_b32_e64 v1, v18, v1, s[0:1]
	v_cndmask_b32_e64 v0, v2, v0, s[0:1]
	v_lshlrev_b32_e32 v2, 8, v4
	v_lshl_add_u32 v1, v1, 10, v55
	v_and_or_b32 v1, v2, s25, v1
	v_lshl_or_b32 v0, v0, 7, v1
	v_cvt_f32_f16_e32 v29, v0
.LBB261_478:                            ;   in Loop: Header=BB261_431 Depth=1
	s_or_b64 exec, exec, s[6:7]
	v_lshrrev_b32_e32 v4, 24, v26
	v_cmp_lt_i16_e64 s[0:1], s17, v4
	s_mov_b64 s[6:7], 0
                                        ; implicit-def: $sgpr30
	s_and_saveexec_b64 s[8:9], s[0:1]
	s_xor_b64 s[8:9], exec, s[8:9]
	s_cbranch_execnz .LBB261_680
; %bb.479:                              ;   in Loop: Header=BB261_431 Depth=1
	s_or_saveexec_b64 s[8:9], s[8:9]
	v_mov_b32_e32 v33, s30
	s_xor_b64 exec, exec, s[8:9]
	s_cbranch_execnz .LBB261_683
.LBB261_480:                            ;   in Loop: Header=BB261_431 Depth=1
	s_or_b64 exec, exec, s[8:9]
	s_and_saveexec_b64 s[8:9], s[6:7]
	s_cbranch_execz .LBB261_482
.LBB261_481:                            ;   in Loop: Header=BB261_431 Depth=1
	v_bfe_u32 v2, v26, 24, 3
	v_ffbh_u32_e32 v0, v2
	v_min_u32_e32 v19, 32, v0
	v_subrev_u32_e32 v0, 28, v19
	v_bfe_u32 v18, v26, 27, 4
	v_lshlrev_b64 v[0:1], v0, v[4:5]
	v_sub_u32_e32 v1, 29, v19
	v_cmp_eq_u32_e64 s[0:1], 0, v18
	v_and_b32_e32 v0, 7, v0
	s_nop 0
	v_cndmask_b32_e64 v1, v18, v1, s[0:1]
	v_cndmask_b32_e64 v0, v2, v0, s[0:1]
	v_lshlrev_b32_e32 v2, 8, v4
	v_lshl_add_u32 v1, v1, 10, v55
	v_and_or_b32 v1, v2, s25, v1
	v_lshl_or_b32 v0, v0, 7, v1
	v_cvt_f32_f16_e32 v33, v0
.LBB261_482:                            ;   in Loop: Header=BB261_431 Depth=1
	s_or_b64 exec, exec, s[8:9]
	v_cmp_gt_i16_sdwa s[6:7], v27, s17 src0_sel:BYTE_0 src1_sel:DWORD
	s_mov_b64 s[0:1], 0
                                        ; implicit-def: $sgpr22
	s_and_saveexec_b64 s[8:9], s[6:7]
	s_xor_b64 s[6:7], exec, s[8:9]
	s_cbranch_execnz .LBB261_684
; %bb.483:                              ;   in Loop: Header=BB261_431 Depth=1
	s_or_saveexec_b64 s[6:7], s[6:7]
	v_mov_b32_e32 v0, s22
	s_xor_b64 exec, exec, s[6:7]
	s_cbranch_execnz .LBB261_687
.LBB261_484:                            ;   in Loop: Header=BB261_431 Depth=1
	s_or_b64 exec, exec, s[6:7]
	v_mov_b32_e32 v4, v27
	s_and_saveexec_b64 s[6:7], s[0:1]
	s_cbranch_execz .LBB261_486
.LBB261_485:                            ;   in Loop: Header=BB261_431 Depth=1
	v_and_b32_e32 v0, 7, v27
	v_ffbh_u32_e32 v0, v0
	v_bfe_u32 v1, v27, 3, 4
	v_min_u32_e32 v0, 32, v0
	v_subrev_u32_e32 v2, 28, v0
	v_sub_u32_e32 v0, 29, v0
	v_cmp_eq_u32_e64 s[0:1], 0, v1
	s_nop 1
	v_cndmask_b32_e64 v18, v1, v0, s[0:1]
	v_cndmask_b32_e64 v0, 0, v2, s[0:1]
	v_lshlrev_b64 v[0:1], v0, v[4:5]
	v_lshlrev_b32_e32 v1, 8, v27
	v_lshl_add_u32 v2, v18, 10, v55
	v_lshlrev_b32_e32 v0, 7, v0
	v_and_or_b32 v1, v1, s25, v2
	v_and_or_b32 v0, v0, s26, v1
	v_cvt_f32_f16_e32 v0, v0
.LBB261_486:                            ;   in Loop: Header=BB261_431 Depth=1
	s_or_b64 exec, exec, s[6:7]
	v_lshrrev_b16_e32 v4, 8, v4
	v_cmp_lt_i16_e64 s[0:1], s17, v4
	s_mov_b64 s[6:7], 0
                                        ; implicit-def: $sgpr30
	s_and_saveexec_b64 s[8:9], s[0:1]
	s_xor_b64 s[8:9], exec, s[8:9]
	s_cbranch_execnz .LBB261_688
; %bb.487:                              ;   in Loop: Header=BB261_431 Depth=1
	s_or_saveexec_b64 s[8:9], s[8:9]
	v_mov_b32_e32 v1, s30
	s_xor_b64 exec, exec, s[8:9]
	s_cbranch_execnz .LBB261_691
.LBB261_488:                            ;   in Loop: Header=BB261_431 Depth=1
	s_or_b64 exec, exec, s[8:9]
	s_and_saveexec_b64 s[8:9], s[6:7]
	s_cbranch_execz .LBB261_490
.LBB261_489:                            ;   in Loop: Header=BB261_431 Depth=1
	v_and_b32_e32 v1, 7, v4
	v_ffbh_u32_e32 v18, v1
	v_bfe_u32 v2, v4, 3, 4
	v_min_u32_e32 v18, 32, v18
	v_subrev_u32_e32 v19, 28, v18
	v_sub_u32_e32 v18, 29, v18
	v_cmp_eq_u32_e64 s[0:1], 0, v2
	v_lshlrev_b64 v[22:23], v19, v[4:5]
	v_and_b32_e32 v19, 7, v22
	v_cndmask_b32_e64 v2, v2, v18, s[0:1]
	v_lshlrev_b32_e32 v4, 8, v4
	v_lshl_add_u32 v2, v2, 10, v55
	v_cndmask_b32_e64 v1, v1, v19, s[0:1]
	v_and_or_b32 v2, v4, s25, v2
	v_lshl_or_b32 v1, v1, 7, v2
	v_cvt_f32_f16_e32 v1, v1
.LBB261_490:                            ;   in Loop: Header=BB261_431 Depth=1
	s_or_b64 exec, exec, s[8:9]
	v_lshrrev_b32_e32 v4, 16, v27
	v_cmp_gt_i16_sdwa s[6:7], v4, s17 src0_sel:BYTE_0 src1_sel:DWORD
	s_mov_b64 s[0:1], 0
                                        ; implicit-def: $sgpr22
	s_and_saveexec_b64 s[8:9], s[6:7]
	s_xor_b64 s[6:7], exec, s[8:9]
	s_cbranch_execnz .LBB261_692
; %bb.491:                              ;   in Loop: Header=BB261_431 Depth=1
	s_or_saveexec_b64 s[6:7], s[6:7]
	v_mov_b32_e32 v2, s22
	s_xor_b64 exec, exec, s[6:7]
	s_cbranch_execnz .LBB261_695
.LBB261_492:                            ;   in Loop: Header=BB261_431 Depth=1
	s_or_b64 exec, exec, s[6:7]
	s_and_saveexec_b64 s[6:7], s[0:1]
	s_cbranch_execz .LBB261_494
.LBB261_493:                            ;   in Loop: Header=BB261_431 Depth=1
	v_bfe_u32 v2, v27, 16, 3
	v_ffbh_u32_e32 v19, v2
	v_bfe_u32 v18, v27, 19, 4
	v_min_u32_e32 v19, 32, v19
	v_subrev_u32_e32 v22, 28, v19
	v_sub_u32_e32 v19, 29, v19
	v_cmp_eq_u32_e64 s[0:1], 0, v18
	v_lshlrev_b64 v[22:23], v22, v[4:5]
	v_and_b32_e32 v22, 7, v22
	v_cndmask_b32_e64 v18, v18, v19, s[0:1]
	v_lshlrev_b32_e32 v4, 8, v4
	v_lshl_add_u32 v18, v18, 10, v55
	v_cndmask_b32_e64 v2, v2, v22, s[0:1]
	v_and_or_b32 v4, v4, s25, v18
	v_lshl_or_b32 v2, v2, 7, v4
	v_cvt_f32_f16_e32 v2, v2
.LBB261_494:                            ;   in Loop: Header=BB261_431 Depth=1
	s_or_b64 exec, exec, s[6:7]
	v_lshrrev_b32_e32 v4, 24, v27
	v_cmp_lt_i16_e64 s[0:1], s17, v4
	s_mov_b64 s[6:7], 0
                                        ; implicit-def: $sgpr30
	s_and_saveexec_b64 s[8:9], s[0:1]
	s_xor_b64 s[8:9], exec, s[8:9]
	s_cbranch_execnz .LBB261_696
; %bb.495:                              ;   in Loop: Header=BB261_431 Depth=1
	s_or_saveexec_b64 s[8:9], s[8:9]
	v_mov_b32_e32 v22, s30
	s_xor_b64 exec, exec, s[8:9]
	s_cbranch_execnz .LBB261_699
.LBB261_496:                            ;   in Loop: Header=BB261_431 Depth=1
	s_or_b64 exec, exec, s[8:9]
	s_and_saveexec_b64 s[8:9], s[6:7]
	s_cbranch_execz .LBB261_498
.LBB261_497:                            ;   in Loop: Header=BB261_431 Depth=1
	v_bfe_u32 v18, v27, 24, 3
	v_ffbh_u32_e32 v22, v18
	v_min_u32_e32 v25, 32, v22
	v_subrev_u32_e32 v22, 28, v25
	v_bfe_u32 v19, v27, 27, 4
	v_lshlrev_b64 v[22:23], v22, v[4:5]
	v_sub_u32_e32 v23, 29, v25
	v_cmp_eq_u32_e64 s[0:1], 0, v19
	v_and_b32_e32 v22, 7, v22
	v_lshlrev_b32_e32 v4, 8, v4
	v_cndmask_b32_e64 v19, v19, v23, s[0:1]
	v_lshl_add_u32 v19, v19, 10, v55
	v_cndmask_b32_e64 v18, v18, v22, s[0:1]
	v_and_or_b32 v4, v4, s25, v19
	v_lshl_or_b32 v4, v18, 7, v4
	v_cvt_f32_f16_e32 v22, v4
.LBB261_498:                            ;   in Loop: Header=BB261_431 Depth=1
	s_or_b64 exec, exec, s[8:9]
	v_pk_mul_f32 v[26:27], v[24:25], v[32:33] op_sel_hi:[0,1]
	v_pk_mul_f32 v[28:29], v[24:25], v[28:29] op_sel_hi:[0,1]
	v_cvt_f16_f32_e32 v4, v27
	v_cvt_f16_f32_e32 v18, v26
	;; [unrolled: 1-line block ×4, first 2 shown]
	v_fma_mixlo_f16 v1, v24, v1, 0
	v_lshlrev_b32_e32 v1, 16, v1
	v_fma_mixlo_f16 v0, v24, v0, 0
	v_or_b32_sdwa v0, v1, v0 dst_sel:DWORD dst_unused:UNUSED_PAD src0_sel:DWORD src1_sel:WORD_0
	v_fma_mixlo_f16 v1, v24, v22, 0
	v_pack_b32_f16 v18, v18, v4
	v_pack_b32_f16 v19, v23, v19
	v_fma_mixlo_f16 v2, v24, v2, 0
	v_lshlrev_b32_e32 v1, 16, v1
	v_perm_b32 v4, v19, v18, s27
	v_perm_b32 v18, v19, v18, s28
	v_or_b32_sdwa v1, v1, v2 dst_sel:DWORD dst_unused:UNUSED_PAD src0_sel:DWORD src1_sel:WORD_0
	s_and_saveexec_b64 s[6:7], vcc
	s_cbranch_execz .LBB261_500
; %bb.499:                              ;   in Loop: Header=BB261_431 Depth=1
	v_lshrrev_b32_e32 v19, 16, v18
	v_cmp_lt_i32_e64 s[0:1], v47, v3
	v_accvgpr_read_b32 v22, a8
	v_lshrrev_b32_e32 v1, 16, v1
	v_cndmask_b32_e64 v19, 0, v19, s[0:1]
	v_cmp_lt_i32_e64 s[0:1], v42, v22
	s_nop 1
	v_cndmask_b32_e64 v18, 0, v18, s[0:1]
	v_perm_b32 v18, v19, v18, s29
	v_lshrrev_b32_e32 v19, 16, v4
	v_cmp_lt_i32_e64 s[0:1], v46, v3
	s_nop 1
	v_cndmask_b32_e64 v19, 0, v19, s[0:1]
	v_cmp_lt_i32_e64 s[0:1], v45, v22
	s_nop 1
	v_cndmask_b32_e64 v4, 0, v4, s[0:1]
	v_perm_b32 v4, v19, v4, s29
	v_lshrrev_b32_e32 v19, 16, v0
	v_cmp_lt_i32_e64 s[0:1], v44, v3
	s_nop 1
	v_cndmask_b32_e64 v19, 0, v19, s[0:1]
	v_cmp_lt_i32_e64 s[0:1], v43, v22
	s_nop 1
	v_cndmask_b32_e64 v0, 0, v0, s[0:1]
	v_cmp_lt_i32_e64 s[0:1], v41, v3
	v_perm_b32 v0, v19, v0, s29
	s_nop 0
	v_cndmask_b32_e64 v1, 0, v1, s[0:1]
	v_cmp_lt_i32_e64 s[0:1], v40, v22
	s_nop 1
	v_cndmask_b32_e64 v2, 0, v2, s[0:1]
	v_perm_b32 v1, v1, v2, s29
.LBB261_500:                            ;   in Loop: Header=BB261_431 Depth=1
	s_or_b64 exec, exec, s[6:7]
	;;#ASMSTART
	v_pk_mul_f16 v2, v59, v18;

	;;#ASMEND
	;;#ASMSTART
	v_pk_mul_f16 v4, v58, v4;

	;;#ASMEND
	;; [unrolled: 4-line block ×4, first 2 shown]
	v_accvgpr_read_b32 v19, a5
	;;#ASMSTART
	v_pk_add_f16 v2, v2, v4;

	;;#ASMEND
	v_accvgpr_read_b32 v18, a4
	;;#ASMSTART
	v_pk_add_f16 v0, v2, v0;

	;;#ASMEND
	s_mov_b64 s[0:1], 0
	;;#ASMSTART
	v_pk_add_f16 v0, v0, v1;

	;;#ASMEND
                                        ; implicit-def: $sgpr22
	s_nop 0
	v_lshrrev_b32_e32 v1, 16, v0
	v_and_b32_e32 v0, 0xffff, v0
	;;#ASMSTART
	v_cvt_f32_f16 v0, v0;
	;;#ASMEND
	;;#ASMSTART
	v_cvt_f32_f16 v1, v1;
	;;#ASMEND
	flat_load_dwordx2 v[26:27], v[20:21] offset:1024
	flat_load_dword v24, v[18:19]
	s_waitcnt vmcnt(0) lgkmcnt(0)
	v_cmp_gt_i16_sdwa s[6:7], v26, s17 src0_sel:BYTE_0 src1_sel:DWORD
	s_and_saveexec_b64 s[8:9], s[6:7]
	s_xor_b64 s[6:7], exec, s[8:9]
	s_cbranch_execnz .LBB261_700
; %bb.501:                              ;   in Loop: Header=BB261_431 Depth=1
	s_or_saveexec_b64 s[6:7], s[6:7]
	v_mov_b32_e32 v28, s22
	s_xor_b64 exec, exec, s[6:7]
	s_cbranch_execnz .LBB261_703
.LBB261_502:                            ;   in Loop: Header=BB261_431 Depth=1
	s_or_b64 exec, exec, s[6:7]
	s_and_saveexec_b64 s[6:7], s[0:1]
	s_cbranch_execz .LBB261_504
.LBB261_503:                            ;   in Loop: Header=BB261_431 Depth=1
	v_and_b32_e32 v2, 7, v26
	v_ffbh_u32_e32 v2, v2
	v_bfe_u32 v4, v26, 3, 4
	v_min_u32_e32 v2, 32, v2
	v_subrev_u32_e32 v18, 28, v2
	v_sub_u32_e32 v2, 29, v2
	v_cmp_eq_u32_e64 s[0:1], 0, v4
	s_nop 1
	v_cndmask_b32_e64 v2, v4, v2, s[0:1]
	v_cndmask_b32_e64 v4, 0, v18, s[0:1]
	v_lshlrev_b64 v[22:23], v4, v[26:27]
	v_lshlrev_b32_e32 v18, 8, v26
	v_lshl_add_u32 v2, v2, 10, v55
	v_lshlrev_b32_e32 v4, 7, v22
	v_and_or_b32 v2, v18, s25, v2
	v_and_or_b32 v2, v4, s26, v2
	v_cvt_f32_f16_e32 v28, v2
.LBB261_504:                            ;   in Loop: Header=BB261_431 Depth=1
	s_or_b64 exec, exec, s[6:7]
	v_lshrrev_b16_e32 v4, 8, v26
	v_cmp_lt_i16_e64 s[0:1], s17, v4
	s_mov_b64 s[6:7], 0
                                        ; implicit-def: $sgpr30
	s_and_saveexec_b64 s[8:9], s[0:1]
	s_xor_b64 s[8:9], exec, s[8:9]
	s_cbranch_execnz .LBB261_704
; %bb.505:                              ;   in Loop: Header=BB261_431 Depth=1
	s_or_saveexec_b64 s[8:9], s[8:9]
	v_mov_b32_e32 v32, s30
	s_xor_b64 exec, exec, s[8:9]
	s_cbranch_execnz .LBB261_707
.LBB261_506:                            ;   in Loop: Header=BB261_431 Depth=1
	s_or_b64 exec, exec, s[8:9]
	s_and_saveexec_b64 s[8:9], s[6:7]
	s_cbranch_execz .LBB261_508
.LBB261_507:                            ;   in Loop: Header=BB261_431 Depth=1
	v_and_b32_e32 v2, 7, v4
	v_ffbh_u32_e32 v19, v2
	v_bfe_u32 v18, v4, 3, 4
	v_min_u32_e32 v19, 32, v19
	v_subrev_u32_e32 v22, 28, v19
	v_sub_u32_e32 v19, 29, v19
	v_cmp_eq_u32_e64 s[0:1], 0, v18
	v_lshlrev_b64 v[22:23], v22, v[4:5]
	v_and_b32_e32 v22, 7, v22
	v_cndmask_b32_e64 v18, v18, v19, s[0:1]
	v_lshlrev_b32_e32 v4, 8, v4
	v_lshl_add_u32 v18, v18, 10, v55
	v_cndmask_b32_e64 v2, v2, v22, s[0:1]
	v_and_or_b32 v4, v4, s25, v18
	v_lshl_or_b32 v2, v2, 7, v4
	v_cvt_f32_f16_e32 v32, v2
.LBB261_508:                            ;   in Loop: Header=BB261_431 Depth=1
	s_or_b64 exec, exec, s[8:9]
	v_lshrrev_b32_e32 v4, 16, v26
	v_cmp_gt_i16_sdwa s[6:7], v4, s17 src0_sel:BYTE_0 src1_sel:DWORD
	s_mov_b64 s[0:1], 0
                                        ; implicit-def: $sgpr22
	s_and_saveexec_b64 s[8:9], s[6:7]
	s_xor_b64 s[6:7], exec, s[8:9]
	s_cbranch_execnz .LBB261_708
; %bb.509:                              ;   in Loop: Header=BB261_431 Depth=1
	s_or_saveexec_b64 s[6:7], s[6:7]
	v_mov_b32_e32 v29, s22
	s_xor_b64 exec, exec, s[6:7]
	s_cbranch_execnz .LBB261_711
.LBB261_510:                            ;   in Loop: Header=BB261_431 Depth=1
	s_or_b64 exec, exec, s[6:7]
	s_and_saveexec_b64 s[6:7], s[0:1]
	s_cbranch_execz .LBB261_512
.LBB261_511:                            ;   in Loop: Header=BB261_431 Depth=1
	v_bfe_u32 v2, v26, 16, 3
	v_ffbh_u32_e32 v19, v2
	v_bfe_u32 v18, v26, 19, 4
	v_min_u32_e32 v19, 32, v19
	v_subrev_u32_e32 v22, 28, v19
	v_sub_u32_e32 v19, 29, v19
	v_cmp_eq_u32_e64 s[0:1], 0, v18
	v_lshlrev_b64 v[22:23], v22, v[4:5]
	v_and_b32_e32 v22, 7, v22
	v_cndmask_b32_e64 v18, v18, v19, s[0:1]
	v_lshlrev_b32_e32 v4, 8, v4
	v_lshl_add_u32 v18, v18, 10, v55
	v_cndmask_b32_e64 v2, v2, v22, s[0:1]
	v_and_or_b32 v4, v4, s25, v18
	v_lshl_or_b32 v2, v2, 7, v4
	v_cvt_f32_f16_e32 v29, v2
.LBB261_512:                            ;   in Loop: Header=BB261_431 Depth=1
	s_or_b64 exec, exec, s[6:7]
	v_lshrrev_b32_e32 v4, 24, v26
	v_cmp_lt_i16_e64 s[0:1], s17, v4
	s_mov_b64 s[6:7], 0
                                        ; implicit-def: $sgpr30
	s_and_saveexec_b64 s[8:9], s[0:1]
	s_xor_b64 s[8:9], exec, s[8:9]
	s_cbranch_execnz .LBB261_712
; %bb.513:                              ;   in Loop: Header=BB261_431 Depth=1
	s_or_saveexec_b64 s[8:9], s[8:9]
	v_mov_b32_e32 v33, s30
	s_xor_b64 exec, exec, s[8:9]
	s_cbranch_execnz .LBB261_715
.LBB261_514:                            ;   in Loop: Header=BB261_431 Depth=1
	s_or_b64 exec, exec, s[8:9]
	s_and_saveexec_b64 s[8:9], s[6:7]
	s_cbranch_execz .LBB261_516
.LBB261_515:                            ;   in Loop: Header=BB261_431 Depth=1
	v_bfe_u32 v2, v26, 24, 3
	v_ffbh_u32_e32 v19, v2
	v_bfe_u32 v18, v26, 27, 4
	v_min_u32_e32 v19, 32, v19
	v_subrev_u32_e32 v22, 28, v19
	v_sub_u32_e32 v19, 29, v19
	v_cmp_eq_u32_e64 s[0:1], 0, v18
	v_lshlrev_b64 v[22:23], v22, v[4:5]
	v_and_b32_e32 v22, 7, v22
	v_cndmask_b32_e64 v18, v18, v19, s[0:1]
	v_lshlrev_b32_e32 v4, 8, v4
	v_lshl_add_u32 v18, v18, 10, v55
	v_cndmask_b32_e64 v2, v2, v22, s[0:1]
	v_and_or_b32 v4, v4, s25, v18
	v_lshl_or_b32 v2, v2, 7, v4
	v_cvt_f32_f16_e32 v33, v2
.LBB261_516:                            ;   in Loop: Header=BB261_431 Depth=1
	s_or_b64 exec, exec, s[8:9]
	v_cmp_gt_i16_sdwa s[6:7], v27, s17 src0_sel:BYTE_0 src1_sel:DWORD
	s_mov_b64 s[0:1], 0
                                        ; implicit-def: $sgpr22
	s_and_saveexec_b64 s[8:9], s[6:7]
	s_xor_b64 s[6:7], exec, s[8:9]
	s_cbranch_execnz .LBB261_716
; %bb.517:                              ;   in Loop: Header=BB261_431 Depth=1
	s_or_saveexec_b64 s[6:7], s[6:7]
	v_mov_b32_e32 v2, s22
	s_xor_b64 exec, exec, s[6:7]
	s_cbranch_execnz .LBB261_719
.LBB261_518:                            ;   in Loop: Header=BB261_431 Depth=1
	s_or_b64 exec, exec, s[6:7]
	v_mov_b32_e32 v4, v27
	s_and_saveexec_b64 s[6:7], s[0:1]
	s_cbranch_execz .LBB261_520
.LBB261_519:                            ;   in Loop: Header=BB261_431 Depth=1
	v_and_b32_e32 v2, 7, v27
	v_ffbh_u32_e32 v2, v2
	v_bfe_u32 v18, v27, 3, 4
	v_min_u32_e32 v2, 32, v2
	v_subrev_u32_e32 v19, 28, v2
	v_sub_u32_e32 v2, 29, v2
	v_cmp_eq_u32_e64 s[0:1], 0, v18
	s_nop 1
	v_cndmask_b32_e64 v2, v18, v2, s[0:1]
	v_cndmask_b32_e64 v18, 0, v19, s[0:1]
	v_lshlrev_b64 v[22:23], v18, v[4:5]
	v_lshlrev_b32_e32 v19, 8, v27
	v_lshl_add_u32 v2, v2, 10, v55
	v_lshlrev_b32_e32 v18, 7, v22
	v_and_or_b32 v2, v19, s25, v2
	v_and_or_b32 v2, v18, s26, v2
	v_cvt_f32_f16_e32 v2, v2
.LBB261_520:                            ;   in Loop: Header=BB261_431 Depth=1
	s_or_b64 exec, exec, s[6:7]
	v_lshrrev_b16_e32 v4, 8, v4
	v_cmp_lt_i16_e64 s[0:1], s17, v4
	s_mov_b64 s[6:7], 0
                                        ; implicit-def: $sgpr30
	s_and_saveexec_b64 s[8:9], s[0:1]
	s_xor_b64 s[8:9], exec, s[8:9]
	s_cbranch_execnz .LBB261_720
; %bb.521:                              ;   in Loop: Header=BB261_431 Depth=1
	s_or_saveexec_b64 s[8:9], s[8:9]
	v_mov_b32_e32 v18, s30
	s_xor_b64 exec, exec, s[8:9]
	s_cbranch_execnz .LBB261_723
.LBB261_522:                            ;   in Loop: Header=BB261_431 Depth=1
	s_or_b64 exec, exec, s[8:9]
	s_and_saveexec_b64 s[8:9], s[6:7]
	s_cbranch_execz .LBB261_524
.LBB261_523:                            ;   in Loop: Header=BB261_431 Depth=1
	v_and_b32_e32 v18, 7, v4
	v_ffbh_u32_e32 v22, v18
	v_min_u32_e32 v25, 32, v22
	v_subrev_u32_e32 v22, 28, v25
	v_bfe_u32 v19, v4, 3, 4
	v_lshlrev_b64 v[22:23], v22, v[4:5]
	v_sub_u32_e32 v23, 29, v25
	v_cmp_eq_u32_e64 s[0:1], 0, v19
	v_and_b32_e32 v22, 7, v22
	v_lshlrev_b32_e32 v4, 8, v4
	v_cndmask_b32_e64 v19, v19, v23, s[0:1]
	v_lshl_add_u32 v19, v19, 10, v55
	v_cndmask_b32_e64 v18, v18, v22, s[0:1]
	v_and_or_b32 v4, v4, s25, v19
	v_lshl_or_b32 v4, v18, 7, v4
	v_cvt_f32_f16_e32 v18, v4
.LBB261_524:                            ;   in Loop: Header=BB261_431 Depth=1
	s_or_b64 exec, exec, s[8:9]
	v_lshrrev_b32_e32 v4, 16, v27
	v_cmp_gt_i16_sdwa s[6:7], v4, s17 src0_sel:BYTE_0 src1_sel:DWORD
	s_mov_b64 s[0:1], 0
                                        ; implicit-def: $sgpr22
	s_and_saveexec_b64 s[8:9], s[6:7]
	s_xor_b64 s[6:7], exec, s[8:9]
	s_cbranch_execnz .LBB261_724
; %bb.525:                              ;   in Loop: Header=BB261_431 Depth=1
	s_or_saveexec_b64 s[6:7], s[6:7]
	v_mov_b32_e32 v22, s22
	s_xor_b64 exec, exec, s[6:7]
	s_cbranch_execnz .LBB261_727
.LBB261_526:                            ;   in Loop: Header=BB261_431 Depth=1
	s_or_b64 exec, exec, s[6:7]
	s_and_saveexec_b64 s[6:7], s[0:1]
	s_cbranch_execz .LBB261_528
.LBB261_527:                            ;   in Loop: Header=BB261_431 Depth=1
	v_bfe_u32 v19, v27, 16, 3
	v_ffbh_u32_e32 v22, v19
	v_min_u32_e32 v26, 32, v22
	v_subrev_u32_e32 v22, 28, v26
	v_bfe_u32 v25, v27, 19, 4
	v_lshlrev_b64 v[22:23], v22, v[4:5]
	v_sub_u32_e32 v23, 29, v26
	v_cmp_eq_u32_e64 s[0:1], 0, v25
	v_and_b32_e32 v22, 7, v22
	v_lshlrev_b32_e32 v4, 8, v4
	v_cndmask_b32_e64 v23, v25, v23, s[0:1]
	v_cndmask_b32_e64 v19, v19, v22, s[0:1]
	v_lshl_add_u32 v22, v23, 10, v55
	v_and_or_b32 v4, v4, s25, v22
	v_lshl_or_b32 v4, v19, 7, v4
	v_cvt_f32_f16_e32 v22, v4
.LBB261_528:                            ;   in Loop: Header=BB261_431 Depth=1
	s_or_b64 exec, exec, s[6:7]
	v_lshrrev_b32_e32 v4, 24, v27
	v_cmp_lt_i16_e64 s[0:1], s17, v4
	s_mov_b64 s[6:7], 0
                                        ; implicit-def: $sgpr30
	s_and_saveexec_b64 s[8:9], s[0:1]
	s_xor_b64 s[8:9], exec, s[8:9]
	s_cbranch_execnz .LBB261_728
; %bb.529:                              ;   in Loop: Header=BB261_431 Depth=1
	s_or_saveexec_b64 s[8:9], s[8:9]
	v_mov_b32_e32 v25, s30
	s_xor_b64 exec, exec, s[8:9]
	s_cbranch_execnz .LBB261_731
.LBB261_530:                            ;   in Loop: Header=BB261_431 Depth=1
	s_or_b64 exec, exec, s[8:9]
	s_and_saveexec_b64 s[8:9], s[6:7]
	s_cbranch_execz .LBB261_532
.LBB261_531:                            ;   in Loop: Header=BB261_431 Depth=1
	v_bfe_u32 v19, v27, 24, 3
	v_ffbh_u32_e32 v25, v19
	v_bfe_u32 v23, v27, 27, 4
	v_min_u32_e32 v25, 32, v25
	v_subrev_u32_e32 v26, 28, v25
	v_sub_u32_e32 v25, 29, v25
	v_cmp_eq_u32_e64 s[0:1], 0, v23
	v_lshlrev_b64 v[26:27], v26, v[4:5]
	v_and_b32_e32 v26, 7, v26
	v_cndmask_b32_e64 v23, v23, v25, s[0:1]
	v_lshlrev_b32_e32 v4, 8, v4
	v_lshl_add_u32 v23, v23, 10, v55
	v_cndmask_b32_e64 v19, v19, v26, s[0:1]
	v_and_or_b32 v4, v4, s25, v23
	v_lshl_or_b32 v4, v19, 7, v4
	v_cvt_f32_f16_e32 v25, v4
.LBB261_532:                            ;   in Loop: Header=BB261_431 Depth=1
	s_or_b64 exec, exec, s[8:9]
	v_pk_mul_f32 v[26:27], v[24:25], v[32:33] op_sel_hi:[0,1]
	v_pk_mul_f32 v[28:29], v[24:25], v[28:29] op_sel_hi:[0,1]
	v_cvt_f16_f32_e32 v4, v27
	v_cvt_f16_f32_e32 v19, v26
	;; [unrolled: 1-line block ×4, first 2 shown]
	v_fma_mixlo_f16 v18, v24, v18, 0
	v_lshlrev_b32_e32 v18, 16, v18
	v_fma_mixlo_f16 v2, v24, v2, 0
	v_or_b32_sdwa v2, v18, v2 dst_sel:DWORD dst_unused:UNUSED_PAD src0_sel:DWORD src1_sel:WORD_0
	v_fma_mixlo_f16 v18, v24, v25, 0
	v_pack_b32_f16 v19, v19, v4
	v_pack_b32_f16 v23, v26, v23
	v_fma_mixlo_f16 v22, v24, v22, 0
	v_lshlrev_b32_e32 v18, 16, v18
	v_perm_b32 v4, v23, v19, s27
	v_perm_b32 v23, v23, v19, s28
	v_or_b32_sdwa v18, v18, v22 dst_sel:DWORD dst_unused:UNUSED_PAD src0_sel:DWORD src1_sel:WORD_0
	s_and_saveexec_b64 s[6:7], vcc
	s_cbranch_execz .LBB261_534
; %bb.533:                              ;   in Loop: Header=BB261_431 Depth=1
	v_lshrrev_b32_e32 v19, 16, v23
	v_cmp_lt_i32_e64 s[0:1], v47, v3
	v_accvgpr_read_b32 v24, a8
	v_lshrrev_b32_e32 v18, 16, v18
	v_cndmask_b32_e64 v19, 0, v19, s[0:1]
	v_cmp_lt_i32_e64 s[0:1], v42, v24
	s_nop 1
	v_cndmask_b32_e64 v23, 0, v23, s[0:1]
	v_perm_b32 v23, v19, v23, s29
	v_lshrrev_b32_e32 v19, 16, v4
	v_cmp_lt_i32_e64 s[0:1], v46, v3
	s_nop 1
	v_cndmask_b32_e64 v19, 0, v19, s[0:1]
	v_cmp_lt_i32_e64 s[0:1], v45, v24
	s_nop 1
	v_cndmask_b32_e64 v4, 0, v4, s[0:1]
	v_perm_b32 v4, v19, v4, s29
	v_lshrrev_b32_e32 v19, 16, v2
	v_cmp_lt_i32_e64 s[0:1], v44, v3
	s_nop 1
	v_cndmask_b32_e64 v19, 0, v19, s[0:1]
	v_cmp_lt_i32_e64 s[0:1], v43, v24
	s_nop 1
	v_cndmask_b32_e64 v2, 0, v2, s[0:1]
	v_cmp_lt_i32_e64 s[0:1], v41, v3
	v_perm_b32 v2, v19, v2, s29
	s_nop 0
	v_cndmask_b32_e64 v18, 0, v18, s[0:1]
	v_cmp_lt_i32_e64 s[0:1], v40, v24
	s_nop 1
	v_cndmask_b32_e64 v19, 0, v22, s[0:1]
	v_perm_b32 v18, v18, v19, s29
.LBB261_534:                            ;   in Loop: Header=BB261_431 Depth=1
	s_or_b64 exec, exec, s[6:7]
	;;#ASMSTART
	v_pk_mul_f16 v19, v59, v23;

	;;#ASMEND
	;;#ASMSTART
	v_pk_mul_f16 v4, v58, v4;

	;;#ASMEND
	;; [unrolled: 4-line block ×4, first 2 shown]
	s_mov_b64 s[0:1], 0
	;;#ASMSTART
	v_pk_add_f16 v4, v19, v4;

	;;#ASMEND
                                        ; implicit-def: $sgpr22
	s_nop 0
	;;#ASMSTART
	v_pk_add_f16 v2, v4, v2;

	;;#ASMEND
	s_nop 0
	;;#ASMSTART
	v_pk_add_f16 v2, v2, v18;

	;;#ASMEND
	v_accvgpr_read_b32 v19, a5
	v_lshrrev_b32_e32 v4, 16, v2
	v_and_b32_e32 v2, 0xffff, v2
	;;#ASMSTART
	v_cvt_f32_f16 v31, v2;
	;;#ASMEND
	;;#ASMSTART
	v_cvt_f32_f16 v62, v4;
	;;#ASMEND
	flat_load_dwordx2 v[26:27], v[20:21] offset:1536
	v_accvgpr_read_b32 v18, a4
	flat_load_dword v24, v[18:19]
	s_waitcnt vmcnt(0) lgkmcnt(0)
	v_cmp_gt_i16_sdwa s[6:7], v26, s17 src0_sel:BYTE_0 src1_sel:DWORD
	s_and_saveexec_b64 s[8:9], s[6:7]
	s_xor_b64 s[6:7], exec, s[8:9]
	s_cbranch_execnz .LBB261_732
; %bb.535:                              ;   in Loop: Header=BB261_431 Depth=1
	s_or_saveexec_b64 s[6:7], s[6:7]
	v_mov_b32_e32 v28, s22
	s_xor_b64 exec, exec, s[6:7]
	s_cbranch_execnz .LBB261_735
.LBB261_536:                            ;   in Loop: Header=BB261_431 Depth=1
	s_or_b64 exec, exec, s[6:7]
	s_and_saveexec_b64 s[6:7], s[0:1]
	s_cbranch_execz .LBB261_538
.LBB261_537:                            ;   in Loop: Header=BB261_431 Depth=1
	v_and_b32_e32 v2, 7, v26
	v_ffbh_u32_e32 v2, v2
	v_bfe_u32 v4, v26, 3, 4
	v_min_u32_e32 v2, 32, v2
	v_subrev_u32_e32 v18, 28, v2
	v_sub_u32_e32 v2, 29, v2
	v_cmp_eq_u32_e64 s[0:1], 0, v4
	s_nop 1
	v_cndmask_b32_e64 v2, v4, v2, s[0:1]
	v_cndmask_b32_e64 v4, 0, v18, s[0:1]
	v_lshlrev_b64 v[22:23], v4, v[26:27]
	v_lshlrev_b32_e32 v18, 8, v26
	v_lshl_add_u32 v2, v2, 10, v55
	v_lshlrev_b32_e32 v4, 7, v22
	v_and_or_b32 v2, v18, s25, v2
	v_and_or_b32 v2, v4, s26, v2
	v_cvt_f32_f16_e32 v28, v2
.LBB261_538:                            ;   in Loop: Header=BB261_431 Depth=1
	s_or_b64 exec, exec, s[6:7]
	v_lshrrev_b16_e32 v4, 8, v26
	v_cmp_lt_i16_e64 s[0:1], s17, v4
	s_mov_b64 s[6:7], 0
                                        ; implicit-def: $sgpr30
	s_and_saveexec_b64 s[8:9], s[0:1]
	s_xor_b64 s[8:9], exec, s[8:9]
	s_cbranch_execnz .LBB261_736
; %bb.539:                              ;   in Loop: Header=BB261_431 Depth=1
	s_or_saveexec_b64 s[8:9], s[8:9]
	v_mov_b32_e32 v32, s30
	s_xor_b64 exec, exec, s[8:9]
	s_cbranch_execnz .LBB261_739
.LBB261_540:                            ;   in Loop: Header=BB261_431 Depth=1
	s_or_b64 exec, exec, s[8:9]
	s_and_saveexec_b64 s[8:9], s[6:7]
	s_cbranch_execz .LBB261_542
.LBB261_541:                            ;   in Loop: Header=BB261_431 Depth=1
	v_and_b32_e32 v2, 7, v4
	v_ffbh_u32_e32 v19, v2
	v_bfe_u32 v18, v4, 3, 4
	v_min_u32_e32 v19, 32, v19
	v_subrev_u32_e32 v22, 28, v19
	v_sub_u32_e32 v19, 29, v19
	v_cmp_eq_u32_e64 s[0:1], 0, v18
	v_lshlrev_b64 v[22:23], v22, v[4:5]
	v_and_b32_e32 v22, 7, v22
	v_cndmask_b32_e64 v18, v18, v19, s[0:1]
	v_lshlrev_b32_e32 v4, 8, v4
	v_lshl_add_u32 v18, v18, 10, v55
	v_cndmask_b32_e64 v2, v2, v22, s[0:1]
	v_and_or_b32 v4, v4, s25, v18
	v_lshl_or_b32 v2, v2, 7, v4
	v_cvt_f32_f16_e32 v32, v2
.LBB261_542:                            ;   in Loop: Header=BB261_431 Depth=1
	s_or_b64 exec, exec, s[8:9]
	v_lshrrev_b32_e32 v4, 16, v26
	v_cmp_gt_i16_sdwa s[6:7], v4, s17 src0_sel:BYTE_0 src1_sel:DWORD
	s_mov_b64 s[0:1], 0
                                        ; implicit-def: $sgpr22
	s_and_saveexec_b64 s[8:9], s[6:7]
	s_xor_b64 s[6:7], exec, s[8:9]
	s_cbranch_execnz .LBB261_740
; %bb.543:                              ;   in Loop: Header=BB261_431 Depth=1
	s_or_saveexec_b64 s[6:7], s[6:7]
	v_mov_b32_e32 v29, s22
	s_xor_b64 exec, exec, s[6:7]
	s_cbranch_execnz .LBB261_743
.LBB261_544:                            ;   in Loop: Header=BB261_431 Depth=1
	s_or_b64 exec, exec, s[6:7]
	s_and_saveexec_b64 s[6:7], s[0:1]
	s_cbranch_execz .LBB261_546
.LBB261_545:                            ;   in Loop: Header=BB261_431 Depth=1
	v_bfe_u32 v2, v26, 16, 3
	v_ffbh_u32_e32 v19, v2
	v_bfe_u32 v18, v26, 19, 4
	v_min_u32_e32 v19, 32, v19
	v_subrev_u32_e32 v22, 28, v19
	v_sub_u32_e32 v19, 29, v19
	v_cmp_eq_u32_e64 s[0:1], 0, v18
	v_lshlrev_b64 v[22:23], v22, v[4:5]
	v_and_b32_e32 v22, 7, v22
	v_cndmask_b32_e64 v18, v18, v19, s[0:1]
	v_lshlrev_b32_e32 v4, 8, v4
	v_lshl_add_u32 v18, v18, 10, v55
	v_cndmask_b32_e64 v2, v2, v22, s[0:1]
	v_and_or_b32 v4, v4, s25, v18
	v_lshl_or_b32 v2, v2, 7, v4
	v_cvt_f32_f16_e32 v29, v2
.LBB261_546:                            ;   in Loop: Header=BB261_431 Depth=1
	s_or_b64 exec, exec, s[6:7]
	v_lshrrev_b32_e32 v4, 24, v26
	v_cmp_lt_i16_e64 s[0:1], s17, v4
	s_mov_b64 s[6:7], 0
                                        ; implicit-def: $sgpr30
	s_and_saveexec_b64 s[8:9], s[0:1]
	s_xor_b64 s[8:9], exec, s[8:9]
	s_cbranch_execnz .LBB261_744
; %bb.547:                              ;   in Loop: Header=BB261_431 Depth=1
	s_or_saveexec_b64 s[8:9], s[8:9]
	v_mov_b32_e32 v33, s30
	s_xor_b64 exec, exec, s[8:9]
	s_cbranch_execnz .LBB261_747
.LBB261_548:                            ;   in Loop: Header=BB261_431 Depth=1
	s_or_b64 exec, exec, s[8:9]
	s_and_saveexec_b64 s[8:9], s[6:7]
	s_cbranch_execz .LBB261_550
.LBB261_549:                            ;   in Loop: Header=BB261_431 Depth=1
	v_bfe_u32 v2, v26, 24, 3
	v_ffbh_u32_e32 v19, v2
	v_bfe_u32 v18, v26, 27, 4
	v_min_u32_e32 v19, 32, v19
	v_subrev_u32_e32 v22, 28, v19
	v_sub_u32_e32 v19, 29, v19
	v_cmp_eq_u32_e64 s[0:1], 0, v18
	v_lshlrev_b64 v[22:23], v22, v[4:5]
	v_and_b32_e32 v22, 7, v22
	v_cndmask_b32_e64 v18, v18, v19, s[0:1]
	v_lshlrev_b32_e32 v4, 8, v4
	v_lshl_add_u32 v18, v18, 10, v55
	v_cndmask_b32_e64 v2, v2, v22, s[0:1]
	v_and_or_b32 v4, v4, s25, v18
	v_lshl_or_b32 v2, v2, 7, v4
	v_cvt_f32_f16_e32 v33, v2
.LBB261_550:                            ;   in Loop: Header=BB261_431 Depth=1
	s_or_b64 exec, exec, s[8:9]
	v_cmp_gt_i16_sdwa s[6:7], v27, s17 src0_sel:BYTE_0 src1_sel:DWORD
	s_mov_b64 s[0:1], 0
                                        ; implicit-def: $sgpr22
	s_and_saveexec_b64 s[8:9], s[6:7]
	s_xor_b64 s[6:7], exec, s[8:9]
	s_cbranch_execnz .LBB261_748
; %bb.551:                              ;   in Loop: Header=BB261_431 Depth=1
	s_or_saveexec_b64 s[6:7], s[6:7]
	v_mov_b32_e32 v2, s22
	s_xor_b64 exec, exec, s[6:7]
	s_cbranch_execnz .LBB261_751
.LBB261_552:                            ;   in Loop: Header=BB261_431 Depth=1
	s_or_b64 exec, exec, s[6:7]
	v_mov_b32_e32 v4, v27
	s_and_saveexec_b64 s[6:7], s[0:1]
	s_cbranch_execz .LBB261_554
.LBB261_553:                            ;   in Loop: Header=BB261_431 Depth=1
	v_and_b32_e32 v2, 7, v27
	v_ffbh_u32_e32 v2, v2
	v_bfe_u32 v18, v27, 3, 4
	v_min_u32_e32 v2, 32, v2
	v_subrev_u32_e32 v19, 28, v2
	v_sub_u32_e32 v2, 29, v2
	v_cmp_eq_u32_e64 s[0:1], 0, v18
	s_nop 1
	v_cndmask_b32_e64 v2, v18, v2, s[0:1]
	v_cndmask_b32_e64 v18, 0, v19, s[0:1]
	v_lshlrev_b64 v[22:23], v18, v[4:5]
	v_lshlrev_b32_e32 v19, 8, v27
	v_lshl_add_u32 v2, v2, 10, v55
	v_lshlrev_b32_e32 v18, 7, v22
	v_and_or_b32 v2, v19, s25, v2
	v_and_or_b32 v2, v18, s26, v2
	v_cvt_f32_f16_e32 v2, v2
.LBB261_554:                            ;   in Loop: Header=BB261_431 Depth=1
	s_or_b64 exec, exec, s[6:7]
	v_lshrrev_b16_e32 v4, 8, v4
	v_cmp_lt_i16_e64 s[0:1], s17, v4
	s_mov_b64 s[6:7], 0
                                        ; implicit-def: $sgpr30
	s_and_saveexec_b64 s[8:9], s[0:1]
	s_xor_b64 s[8:9], exec, s[8:9]
	s_cbranch_execnz .LBB261_752
; %bb.555:                              ;   in Loop: Header=BB261_431 Depth=1
	s_or_saveexec_b64 s[8:9], s[8:9]
	v_mov_b32_e32 v18, s30
	s_xor_b64 exec, exec, s[8:9]
	s_cbranch_execnz .LBB261_755
.LBB261_556:                            ;   in Loop: Header=BB261_431 Depth=1
	s_or_b64 exec, exec, s[8:9]
	s_and_saveexec_b64 s[8:9], s[6:7]
	s_cbranch_execz .LBB261_558
.LBB261_557:                            ;   in Loop: Header=BB261_431 Depth=1
	v_and_b32_e32 v18, 7, v4
	v_ffbh_u32_e32 v22, v18
	v_min_u32_e32 v25, 32, v22
	v_subrev_u32_e32 v22, 28, v25
	v_bfe_u32 v19, v4, 3, 4
	v_lshlrev_b64 v[22:23], v22, v[4:5]
	v_sub_u32_e32 v23, 29, v25
	v_cmp_eq_u32_e64 s[0:1], 0, v19
	v_and_b32_e32 v22, 7, v22
	v_lshlrev_b32_e32 v4, 8, v4
	v_cndmask_b32_e64 v19, v19, v23, s[0:1]
	v_lshl_add_u32 v19, v19, 10, v55
	v_cndmask_b32_e64 v18, v18, v22, s[0:1]
	v_and_or_b32 v4, v4, s25, v19
	v_lshl_or_b32 v4, v18, 7, v4
	v_cvt_f32_f16_e32 v18, v4
.LBB261_558:                            ;   in Loop: Header=BB261_431 Depth=1
	s_or_b64 exec, exec, s[8:9]
	v_lshrrev_b32_e32 v4, 16, v27
	v_cmp_gt_i16_sdwa s[6:7], v4, s17 src0_sel:BYTE_0 src1_sel:DWORD
	s_mov_b64 s[0:1], 0
                                        ; implicit-def: $sgpr22
	s_and_saveexec_b64 s[8:9], s[6:7]
	s_xor_b64 s[6:7], exec, s[8:9]
	s_cbranch_execnz .LBB261_756
; %bb.559:                              ;   in Loop: Header=BB261_431 Depth=1
	s_or_saveexec_b64 s[6:7], s[6:7]
	v_mov_b32_e32 v22, s22
	s_xor_b64 exec, exec, s[6:7]
	s_cbranch_execnz .LBB261_759
.LBB261_560:                            ;   in Loop: Header=BB261_431 Depth=1
	s_or_b64 exec, exec, s[6:7]
	s_and_saveexec_b64 s[6:7], s[0:1]
	s_cbranch_execz .LBB261_562
.LBB261_561:                            ;   in Loop: Header=BB261_431 Depth=1
	v_bfe_u32 v19, v27, 16, 3
	v_ffbh_u32_e32 v22, v19
	v_min_u32_e32 v26, 32, v22
	v_subrev_u32_e32 v22, 28, v26
	v_bfe_u32 v25, v27, 19, 4
	v_lshlrev_b64 v[22:23], v22, v[4:5]
	v_sub_u32_e32 v23, 29, v26
	v_cmp_eq_u32_e64 s[0:1], 0, v25
	v_and_b32_e32 v22, 7, v22
	v_lshlrev_b32_e32 v4, 8, v4
	v_cndmask_b32_e64 v23, v25, v23, s[0:1]
	v_cndmask_b32_e64 v19, v19, v22, s[0:1]
	v_lshl_add_u32 v22, v23, 10, v55
	v_and_or_b32 v4, v4, s25, v22
	v_lshl_or_b32 v4, v19, 7, v4
	v_cvt_f32_f16_e32 v22, v4
.LBB261_562:                            ;   in Loop: Header=BB261_431 Depth=1
	s_or_b64 exec, exec, s[6:7]
	v_lshrrev_b32_e32 v4, 24, v27
	v_cmp_lt_i16_e64 s[0:1], s17, v4
	s_mov_b64 s[6:7], 0
                                        ; implicit-def: $sgpr30
	s_and_saveexec_b64 s[8:9], s[0:1]
	s_xor_b64 s[8:9], exec, s[8:9]
	s_cbranch_execnz .LBB261_760
; %bb.563:                              ;   in Loop: Header=BB261_431 Depth=1
	s_or_saveexec_b64 s[8:9], s[8:9]
	v_mov_b32_e32 v25, s30
	s_xor_b64 exec, exec, s[8:9]
	s_cbranch_execnz .LBB261_763
.LBB261_564:                            ;   in Loop: Header=BB261_431 Depth=1
	s_or_b64 exec, exec, s[8:9]
	s_and_saveexec_b64 s[8:9], s[6:7]
	s_cbranch_execz .LBB261_566
.LBB261_565:                            ;   in Loop: Header=BB261_431 Depth=1
	v_bfe_u32 v19, v27, 24, 3
	v_ffbh_u32_e32 v25, v19
	v_bfe_u32 v23, v27, 27, 4
	v_min_u32_e32 v25, 32, v25
	v_subrev_u32_e32 v26, 28, v25
	v_sub_u32_e32 v25, 29, v25
	v_cmp_eq_u32_e64 s[0:1], 0, v23
	v_lshlrev_b64 v[26:27], v26, v[4:5]
	v_and_b32_e32 v26, 7, v26
	v_cndmask_b32_e64 v23, v23, v25, s[0:1]
	v_lshlrev_b32_e32 v4, 8, v4
	v_lshl_add_u32 v23, v23, 10, v55
	v_cndmask_b32_e64 v19, v19, v26, s[0:1]
	v_and_or_b32 v4, v4, s25, v23
	v_lshl_or_b32 v4, v19, 7, v4
	v_cvt_f32_f16_e32 v25, v4
.LBB261_566:                            ;   in Loop: Header=BB261_431 Depth=1
	s_or_b64 exec, exec, s[8:9]
	v_pk_mul_f32 v[26:27], v[24:25], v[32:33] op_sel_hi:[0,1]
	v_pk_mul_f32 v[28:29], v[24:25], v[28:29] op_sel_hi:[0,1]
	v_cvt_f16_f32_e32 v4, v27
	v_cvt_f16_f32_e32 v19, v26
	;; [unrolled: 1-line block ×4, first 2 shown]
	v_fma_mixlo_f16 v18, v24, v18, 0
	v_lshlrev_b32_e32 v18, 16, v18
	v_fma_mixlo_f16 v2, v24, v2, 0
	v_or_b32_sdwa v2, v18, v2 dst_sel:DWORD dst_unused:UNUSED_PAD src0_sel:DWORD src1_sel:WORD_0
	v_fma_mixlo_f16 v18, v24, v25, 0
	v_pack_b32_f16 v19, v19, v4
	v_pack_b32_f16 v23, v26, v23
	v_fma_mixlo_f16 v22, v24, v22, 0
	v_lshlrev_b32_e32 v18, 16, v18
	v_perm_b32 v4, v23, v19, s27
	v_perm_b32 v23, v23, v19, s28
	v_or_b32_sdwa v18, v18, v22 dst_sel:DWORD dst_unused:UNUSED_PAD src0_sel:DWORD src1_sel:WORD_0
	s_and_saveexec_b64 s[6:7], vcc
	s_cbranch_execz .LBB261_568
; %bb.567:                              ;   in Loop: Header=BB261_431 Depth=1
	v_lshrrev_b32_e32 v19, 16, v23
	v_cmp_lt_i32_e64 s[0:1], v47, v3
	v_accvgpr_read_b32 v24, a8
	v_lshrrev_b32_e32 v18, 16, v18
	v_cndmask_b32_e64 v19, 0, v19, s[0:1]
	v_cmp_lt_i32_e64 s[0:1], v42, v24
	s_nop 1
	v_cndmask_b32_e64 v23, 0, v23, s[0:1]
	v_perm_b32 v23, v19, v23, s29
	v_lshrrev_b32_e32 v19, 16, v4
	v_cmp_lt_i32_e64 s[0:1], v46, v3
	s_nop 1
	v_cndmask_b32_e64 v19, 0, v19, s[0:1]
	v_cmp_lt_i32_e64 s[0:1], v45, v24
	s_nop 1
	v_cndmask_b32_e64 v4, 0, v4, s[0:1]
	v_perm_b32 v4, v19, v4, s29
	v_lshrrev_b32_e32 v19, 16, v2
	v_cmp_lt_i32_e64 s[0:1], v44, v3
	s_nop 1
	v_cndmask_b32_e64 v19, 0, v19, s[0:1]
	v_cmp_lt_i32_e64 s[0:1], v43, v24
	s_nop 1
	v_cndmask_b32_e64 v2, 0, v2, s[0:1]
	v_cmp_lt_i32_e64 s[0:1], v41, v3
	v_perm_b32 v2, v19, v2, s29
	s_nop 0
	v_cndmask_b32_e64 v18, 0, v18, s[0:1]
	v_cmp_lt_i32_e64 s[0:1], v40, v24
	s_nop 1
	v_cndmask_b32_e64 v19, 0, v22, s[0:1]
	v_perm_b32 v18, v18, v19, s29
.LBB261_568:                            ;   in Loop: Header=BB261_431 Depth=1
	s_or_b64 exec, exec, s[6:7]
	;;#ASMSTART
	v_pk_mul_f16 v19, v59, v23;

	;;#ASMEND
	;;#ASMSTART
	v_pk_mul_f16 v4, v58, v4;

	;;#ASMEND
	;; [unrolled: 4-line block ×4, first 2 shown]
	s_mov_b64 s[0:1], 0
	;;#ASMSTART
	v_pk_add_f16 v4, v19, v4;

	;;#ASMEND
                                        ; implicit-def: $sgpr22
	s_nop 0
	;;#ASMSTART
	v_pk_add_f16 v2, v4, v2;

	;;#ASMEND
	s_nop 0
	;;#ASMSTART
	v_pk_add_f16 v2, v2, v18;

	;;#ASMEND
	v_accvgpr_read_b32 v19, a5
	v_lshrrev_b32_e32 v4, 16, v2
	v_and_b32_e32 v2, 0xffff, v2
	;;#ASMSTART
	v_cvt_f32_f16 v38, v2;
	;;#ASMEND
	;;#ASMSTART
	v_cvt_f32_f16 v50, v4;
	;;#ASMEND
	flat_load_dwordx2 v[26:27], v[20:21] offset:2048
	v_accvgpr_read_b32 v18, a4
	flat_load_dword v24, v[18:19]
	s_waitcnt vmcnt(0) lgkmcnt(0)
	v_cmp_gt_i16_sdwa s[6:7], v26, s17 src0_sel:BYTE_0 src1_sel:DWORD
	s_and_saveexec_b64 s[8:9], s[6:7]
	s_xor_b64 s[6:7], exec, s[8:9]
	s_cbranch_execnz .LBB261_764
; %bb.569:                              ;   in Loop: Header=BB261_431 Depth=1
	s_or_saveexec_b64 s[6:7], s[6:7]
	v_mov_b32_e32 v28, s22
	s_xor_b64 exec, exec, s[6:7]
	s_cbranch_execnz .LBB261_767
.LBB261_570:                            ;   in Loop: Header=BB261_431 Depth=1
	s_or_b64 exec, exec, s[6:7]
	s_and_saveexec_b64 s[6:7], s[0:1]
	s_cbranch_execz .LBB261_572
.LBB261_571:                            ;   in Loop: Header=BB261_431 Depth=1
	v_and_b32_e32 v2, 7, v26
	v_ffbh_u32_e32 v2, v2
	v_bfe_u32 v4, v26, 3, 4
	v_min_u32_e32 v2, 32, v2
	v_subrev_u32_e32 v18, 28, v2
	v_sub_u32_e32 v2, 29, v2
	v_cmp_eq_u32_e64 s[0:1], 0, v4
	s_nop 1
	v_cndmask_b32_e64 v2, v4, v2, s[0:1]
	v_cndmask_b32_e64 v4, 0, v18, s[0:1]
	v_lshlrev_b64 v[22:23], v4, v[26:27]
	v_lshlrev_b32_e32 v18, 8, v26
	v_lshl_add_u32 v2, v2, 10, v55
	v_lshlrev_b32_e32 v4, 7, v22
	v_and_or_b32 v2, v18, s25, v2
	v_and_or_b32 v2, v4, s26, v2
	v_cvt_f32_f16_e32 v28, v2
.LBB261_572:                            ;   in Loop: Header=BB261_431 Depth=1
	s_or_b64 exec, exec, s[6:7]
	v_lshrrev_b16_e32 v4, 8, v26
	v_cmp_lt_i16_e64 s[0:1], s17, v4
	s_mov_b64 s[6:7], 0
                                        ; implicit-def: $sgpr30
	s_and_saveexec_b64 s[8:9], s[0:1]
	s_xor_b64 s[8:9], exec, s[8:9]
	s_cbranch_execnz .LBB261_768
; %bb.573:                              ;   in Loop: Header=BB261_431 Depth=1
	s_or_saveexec_b64 s[8:9], s[8:9]
	v_mov_b32_e32 v32, s30
	s_xor_b64 exec, exec, s[8:9]
	s_cbranch_execnz .LBB261_771
.LBB261_574:                            ;   in Loop: Header=BB261_431 Depth=1
	s_or_b64 exec, exec, s[8:9]
	s_and_saveexec_b64 s[8:9], s[6:7]
	s_cbranch_execz .LBB261_576
.LBB261_575:                            ;   in Loop: Header=BB261_431 Depth=1
	v_and_b32_e32 v2, 7, v4
	v_ffbh_u32_e32 v19, v2
	v_bfe_u32 v18, v4, 3, 4
	v_min_u32_e32 v19, 32, v19
	v_subrev_u32_e32 v22, 28, v19
	v_sub_u32_e32 v19, 29, v19
	v_cmp_eq_u32_e64 s[0:1], 0, v18
	v_lshlrev_b64 v[22:23], v22, v[4:5]
	v_and_b32_e32 v22, 7, v22
	v_cndmask_b32_e64 v18, v18, v19, s[0:1]
	v_lshlrev_b32_e32 v4, 8, v4
	v_lshl_add_u32 v18, v18, 10, v55
	v_cndmask_b32_e64 v2, v2, v22, s[0:1]
	v_and_or_b32 v4, v4, s25, v18
	v_lshl_or_b32 v2, v2, 7, v4
	v_cvt_f32_f16_e32 v32, v2
.LBB261_576:                            ;   in Loop: Header=BB261_431 Depth=1
	s_or_b64 exec, exec, s[8:9]
	v_lshrrev_b32_e32 v4, 16, v26
	v_cmp_gt_i16_sdwa s[6:7], v4, s17 src0_sel:BYTE_0 src1_sel:DWORD
	s_mov_b64 s[0:1], 0
                                        ; implicit-def: $sgpr22
	s_and_saveexec_b64 s[8:9], s[6:7]
	s_xor_b64 s[6:7], exec, s[8:9]
	s_cbranch_execnz .LBB261_772
; %bb.577:                              ;   in Loop: Header=BB261_431 Depth=1
	s_or_saveexec_b64 s[6:7], s[6:7]
	v_mov_b32_e32 v29, s22
	s_xor_b64 exec, exec, s[6:7]
	s_cbranch_execnz .LBB261_775
.LBB261_578:                            ;   in Loop: Header=BB261_431 Depth=1
	s_or_b64 exec, exec, s[6:7]
	s_and_saveexec_b64 s[6:7], s[0:1]
	s_cbranch_execz .LBB261_580
.LBB261_579:                            ;   in Loop: Header=BB261_431 Depth=1
	v_bfe_u32 v2, v26, 16, 3
	v_ffbh_u32_e32 v19, v2
	v_bfe_u32 v18, v26, 19, 4
	v_min_u32_e32 v19, 32, v19
	v_subrev_u32_e32 v22, 28, v19
	v_sub_u32_e32 v19, 29, v19
	v_cmp_eq_u32_e64 s[0:1], 0, v18
	v_lshlrev_b64 v[22:23], v22, v[4:5]
	v_and_b32_e32 v22, 7, v22
	v_cndmask_b32_e64 v18, v18, v19, s[0:1]
	v_lshlrev_b32_e32 v4, 8, v4
	v_lshl_add_u32 v18, v18, 10, v55
	v_cndmask_b32_e64 v2, v2, v22, s[0:1]
	v_and_or_b32 v4, v4, s25, v18
	v_lshl_or_b32 v2, v2, 7, v4
	v_cvt_f32_f16_e32 v29, v2
.LBB261_580:                            ;   in Loop: Header=BB261_431 Depth=1
	s_or_b64 exec, exec, s[6:7]
	v_lshrrev_b32_e32 v4, 24, v26
	v_cmp_lt_i16_e64 s[0:1], s17, v4
	s_mov_b64 s[6:7], 0
                                        ; implicit-def: $sgpr30
	s_and_saveexec_b64 s[8:9], s[0:1]
	s_xor_b64 s[8:9], exec, s[8:9]
	s_cbranch_execnz .LBB261_776
; %bb.581:                              ;   in Loop: Header=BB261_431 Depth=1
	s_or_saveexec_b64 s[8:9], s[8:9]
	v_mov_b32_e32 v33, s30
	s_xor_b64 exec, exec, s[8:9]
	s_cbranch_execnz .LBB261_779
.LBB261_582:                            ;   in Loop: Header=BB261_431 Depth=1
	s_or_b64 exec, exec, s[8:9]
	s_and_saveexec_b64 s[8:9], s[6:7]
	s_cbranch_execz .LBB261_584
.LBB261_583:                            ;   in Loop: Header=BB261_431 Depth=1
	v_bfe_u32 v2, v26, 24, 3
	v_ffbh_u32_e32 v19, v2
	v_bfe_u32 v18, v26, 27, 4
	v_min_u32_e32 v19, 32, v19
	v_subrev_u32_e32 v22, 28, v19
	v_sub_u32_e32 v19, 29, v19
	v_cmp_eq_u32_e64 s[0:1], 0, v18
	v_lshlrev_b64 v[22:23], v22, v[4:5]
	v_and_b32_e32 v22, 7, v22
	v_cndmask_b32_e64 v18, v18, v19, s[0:1]
	v_lshlrev_b32_e32 v4, 8, v4
	v_lshl_add_u32 v18, v18, 10, v55
	v_cndmask_b32_e64 v2, v2, v22, s[0:1]
	v_and_or_b32 v4, v4, s25, v18
	v_lshl_or_b32 v2, v2, 7, v4
	v_cvt_f32_f16_e32 v33, v2
.LBB261_584:                            ;   in Loop: Header=BB261_431 Depth=1
	s_or_b64 exec, exec, s[8:9]
	v_cmp_gt_i16_sdwa s[6:7], v27, s17 src0_sel:BYTE_0 src1_sel:DWORD
	s_mov_b64 s[0:1], 0
                                        ; implicit-def: $sgpr22
	s_and_saveexec_b64 s[8:9], s[6:7]
	s_xor_b64 s[6:7], exec, s[8:9]
	s_cbranch_execnz .LBB261_780
; %bb.585:                              ;   in Loop: Header=BB261_431 Depth=1
	s_or_saveexec_b64 s[6:7], s[6:7]
	v_mov_b32_e32 v2, s22
	s_xor_b64 exec, exec, s[6:7]
	s_cbranch_execnz .LBB261_783
.LBB261_586:                            ;   in Loop: Header=BB261_431 Depth=1
	s_or_b64 exec, exec, s[6:7]
	v_mov_b32_e32 v4, v27
	s_and_saveexec_b64 s[6:7], s[0:1]
	s_cbranch_execz .LBB261_588
.LBB261_587:                            ;   in Loop: Header=BB261_431 Depth=1
	v_and_b32_e32 v2, 7, v27
	v_ffbh_u32_e32 v2, v2
	v_bfe_u32 v18, v27, 3, 4
	v_min_u32_e32 v2, 32, v2
	v_subrev_u32_e32 v19, 28, v2
	v_sub_u32_e32 v2, 29, v2
	v_cmp_eq_u32_e64 s[0:1], 0, v18
	s_nop 1
	v_cndmask_b32_e64 v2, v18, v2, s[0:1]
	v_cndmask_b32_e64 v18, 0, v19, s[0:1]
	v_lshlrev_b64 v[22:23], v18, v[4:5]
	v_lshlrev_b32_e32 v19, 8, v27
	v_lshl_add_u32 v2, v2, 10, v55
	v_lshlrev_b32_e32 v18, 7, v22
	v_and_or_b32 v2, v19, s25, v2
	v_and_or_b32 v2, v18, s26, v2
	v_cvt_f32_f16_e32 v2, v2
.LBB261_588:                            ;   in Loop: Header=BB261_431 Depth=1
	s_or_b64 exec, exec, s[6:7]
	v_lshrrev_b16_e32 v4, 8, v4
	v_cmp_lt_i16_e64 s[0:1], s17, v4
	s_mov_b64 s[6:7], 0
                                        ; implicit-def: $sgpr30
	s_and_saveexec_b64 s[8:9], s[0:1]
	s_xor_b64 s[8:9], exec, s[8:9]
	s_cbranch_execnz .LBB261_784
; %bb.589:                              ;   in Loop: Header=BB261_431 Depth=1
	s_or_saveexec_b64 s[8:9], s[8:9]
	v_mov_b32_e32 v18, s30
	s_xor_b64 exec, exec, s[8:9]
	s_cbranch_execnz .LBB261_787
.LBB261_590:                            ;   in Loop: Header=BB261_431 Depth=1
	s_or_b64 exec, exec, s[8:9]
	s_and_saveexec_b64 s[8:9], s[6:7]
	s_cbranch_execz .LBB261_592
.LBB261_591:                            ;   in Loop: Header=BB261_431 Depth=1
	v_and_b32_e32 v18, 7, v4
	v_ffbh_u32_e32 v22, v18
	v_min_u32_e32 v25, 32, v22
	v_subrev_u32_e32 v22, 28, v25
	v_bfe_u32 v19, v4, 3, 4
	v_lshlrev_b64 v[22:23], v22, v[4:5]
	v_sub_u32_e32 v23, 29, v25
	v_cmp_eq_u32_e64 s[0:1], 0, v19
	v_and_b32_e32 v22, 7, v22
	v_lshlrev_b32_e32 v4, 8, v4
	v_cndmask_b32_e64 v19, v19, v23, s[0:1]
	v_lshl_add_u32 v19, v19, 10, v55
	v_cndmask_b32_e64 v18, v18, v22, s[0:1]
	v_and_or_b32 v4, v4, s25, v19
	v_lshl_or_b32 v4, v18, 7, v4
	v_cvt_f32_f16_e32 v18, v4
.LBB261_592:                            ;   in Loop: Header=BB261_431 Depth=1
	s_or_b64 exec, exec, s[8:9]
	v_lshrrev_b32_e32 v4, 16, v27
	v_cmp_gt_i16_sdwa s[6:7], v4, s17 src0_sel:BYTE_0 src1_sel:DWORD
	s_mov_b64 s[0:1], 0
                                        ; implicit-def: $sgpr22
	s_and_saveexec_b64 s[8:9], s[6:7]
	s_xor_b64 s[6:7], exec, s[8:9]
	s_cbranch_execnz .LBB261_788
; %bb.593:                              ;   in Loop: Header=BB261_431 Depth=1
	s_or_saveexec_b64 s[6:7], s[6:7]
	v_mov_b32_e32 v22, s22
	s_xor_b64 exec, exec, s[6:7]
	s_cbranch_execnz .LBB261_791
.LBB261_594:                            ;   in Loop: Header=BB261_431 Depth=1
	s_or_b64 exec, exec, s[6:7]
	s_and_saveexec_b64 s[6:7], s[0:1]
	s_cbranch_execz .LBB261_596
.LBB261_595:                            ;   in Loop: Header=BB261_431 Depth=1
	v_bfe_u32 v19, v27, 16, 3
	v_ffbh_u32_e32 v22, v19
	v_min_u32_e32 v26, 32, v22
	v_subrev_u32_e32 v22, 28, v26
	v_bfe_u32 v25, v27, 19, 4
	v_lshlrev_b64 v[22:23], v22, v[4:5]
	v_sub_u32_e32 v23, 29, v26
	v_cmp_eq_u32_e64 s[0:1], 0, v25
	v_and_b32_e32 v22, 7, v22
	v_lshlrev_b32_e32 v4, 8, v4
	v_cndmask_b32_e64 v23, v25, v23, s[0:1]
	v_cndmask_b32_e64 v19, v19, v22, s[0:1]
	v_lshl_add_u32 v22, v23, 10, v55
	v_and_or_b32 v4, v4, s25, v22
	v_lshl_or_b32 v4, v19, 7, v4
	v_cvt_f32_f16_e32 v22, v4
.LBB261_596:                            ;   in Loop: Header=BB261_431 Depth=1
	s_or_b64 exec, exec, s[6:7]
	v_lshrrev_b32_e32 v4, 24, v27
	v_cmp_lt_i16_e64 s[0:1], s17, v4
	s_mov_b64 s[6:7], 0
                                        ; implicit-def: $sgpr30
	s_and_saveexec_b64 s[8:9], s[0:1]
	s_xor_b64 s[8:9], exec, s[8:9]
	s_cbranch_execnz .LBB261_792
; %bb.597:                              ;   in Loop: Header=BB261_431 Depth=1
	s_or_saveexec_b64 s[8:9], s[8:9]
	v_mov_b32_e32 v25, s30
	s_xor_b64 exec, exec, s[8:9]
	s_cbranch_execnz .LBB261_795
.LBB261_598:                            ;   in Loop: Header=BB261_431 Depth=1
	s_or_b64 exec, exec, s[8:9]
	s_and_saveexec_b64 s[8:9], s[6:7]
	s_cbranch_execz .LBB261_600
.LBB261_599:                            ;   in Loop: Header=BB261_431 Depth=1
	v_bfe_u32 v19, v27, 24, 3
	v_ffbh_u32_e32 v25, v19
	v_bfe_u32 v23, v27, 27, 4
	v_min_u32_e32 v25, 32, v25
	v_subrev_u32_e32 v26, 28, v25
	v_sub_u32_e32 v25, 29, v25
	v_cmp_eq_u32_e64 s[0:1], 0, v23
	v_lshlrev_b64 v[26:27], v26, v[4:5]
	v_and_b32_e32 v26, 7, v26
	v_cndmask_b32_e64 v23, v23, v25, s[0:1]
	v_lshlrev_b32_e32 v4, 8, v4
	v_lshl_add_u32 v23, v23, 10, v55
	v_cndmask_b32_e64 v19, v19, v26, s[0:1]
	v_and_or_b32 v4, v4, s25, v23
	v_lshl_or_b32 v4, v19, 7, v4
	v_cvt_f32_f16_e32 v25, v4
.LBB261_600:                            ;   in Loop: Header=BB261_431 Depth=1
	s_or_b64 exec, exec, s[8:9]
	v_pk_mul_f32 v[26:27], v[24:25], v[32:33] op_sel_hi:[0,1]
	v_pk_mul_f32 v[28:29], v[24:25], v[28:29] op_sel_hi:[0,1]
	v_cvt_f16_f32_e32 v4, v27
	v_cvt_f16_f32_e32 v19, v26
	;; [unrolled: 1-line block ×4, first 2 shown]
	v_fma_mixlo_f16 v18, v24, v18, 0
	v_lshlrev_b32_e32 v18, 16, v18
	v_fma_mixlo_f16 v2, v24, v2, 0
	v_or_b32_sdwa v2, v18, v2 dst_sel:DWORD dst_unused:UNUSED_PAD src0_sel:DWORD src1_sel:WORD_0
	v_fma_mixlo_f16 v18, v24, v25, 0
	v_pack_b32_f16 v19, v19, v4
	v_pack_b32_f16 v23, v26, v23
	v_fma_mixlo_f16 v22, v24, v22, 0
	v_lshlrev_b32_e32 v18, 16, v18
	v_perm_b32 v4, v23, v19, s27
	v_perm_b32 v23, v23, v19, s28
	v_or_b32_sdwa v18, v18, v22 dst_sel:DWORD dst_unused:UNUSED_PAD src0_sel:DWORD src1_sel:WORD_0
	s_and_saveexec_b64 s[6:7], vcc
	s_cbranch_execz .LBB261_602
; %bb.601:                              ;   in Loop: Header=BB261_431 Depth=1
	v_lshrrev_b32_e32 v19, 16, v23
	v_cmp_lt_i32_e64 s[0:1], v47, v3
	v_accvgpr_read_b32 v24, a8
	v_lshrrev_b32_e32 v18, 16, v18
	v_cndmask_b32_e64 v19, 0, v19, s[0:1]
	v_cmp_lt_i32_e64 s[0:1], v42, v24
	s_nop 1
	v_cndmask_b32_e64 v23, 0, v23, s[0:1]
	v_perm_b32 v23, v19, v23, s29
	v_lshrrev_b32_e32 v19, 16, v4
	v_cmp_lt_i32_e64 s[0:1], v46, v3
	s_nop 1
	v_cndmask_b32_e64 v19, 0, v19, s[0:1]
	v_cmp_lt_i32_e64 s[0:1], v45, v24
	s_nop 1
	v_cndmask_b32_e64 v4, 0, v4, s[0:1]
	v_perm_b32 v4, v19, v4, s29
	v_lshrrev_b32_e32 v19, 16, v2
	v_cmp_lt_i32_e64 s[0:1], v44, v3
	s_nop 1
	v_cndmask_b32_e64 v19, 0, v19, s[0:1]
	v_cmp_lt_i32_e64 s[0:1], v43, v24
	s_nop 1
	v_cndmask_b32_e64 v2, 0, v2, s[0:1]
	v_cmp_lt_i32_e64 s[0:1], v41, v3
	v_perm_b32 v2, v19, v2, s29
	s_nop 0
	v_cndmask_b32_e64 v18, 0, v18, s[0:1]
	v_cmp_lt_i32_e64 s[0:1], v40, v24
	s_nop 1
	v_cndmask_b32_e64 v19, 0, v22, s[0:1]
	v_perm_b32 v18, v18, v19, s29
.LBB261_602:                            ;   in Loop: Header=BB261_431 Depth=1
	s_or_b64 exec, exec, s[6:7]
	;;#ASMSTART
	v_pk_mul_f16 v19, v59, v23;

	;;#ASMEND
	;;#ASMSTART
	v_pk_mul_f16 v4, v58, v4;

	;;#ASMEND
	;; [unrolled: 4-line block ×4, first 2 shown]
	s_mov_b64 s[0:1], 0
	;;#ASMSTART
	v_pk_add_f16 v4, v19, v4;

	;;#ASMEND
                                        ; implicit-def: $sgpr22
	s_nop 0
	;;#ASMSTART
	v_pk_add_f16 v2, v4, v2;

	;;#ASMEND
	s_nop 0
	;;#ASMSTART
	v_pk_add_f16 v2, v2, v18;

	;;#ASMEND
	s_nop 0
	v_lshrrev_b32_e32 v4, 16, v2
	v_and_b32_e32 v2, 0xffff, v2
	;;#ASMSTART
	v_cvt_f32_f16 v18, v2;
	;;#ASMEND
	;;#ASMSTART
	v_cvt_f32_f16 v32, v4;
	;;#ASMEND
	flat_load_dwordx2 v[24:25], v[20:21] offset:2560
	v_accvgpr_read_b32 v21, a5
	v_accvgpr_read_b32 v20, a4
	flat_load_dword v20, v[20:21]
	s_waitcnt vmcnt(0) lgkmcnt(0)
	v_cmp_gt_i16_sdwa s[6:7], v24, s17 src0_sel:BYTE_0 src1_sel:DWORD
	s_and_saveexec_b64 s[8:9], s[6:7]
	s_xor_b64 s[6:7], exec, s[8:9]
	s_cbranch_execnz .LBB261_796
; %bb.603:                              ;   in Loop: Header=BB261_431 Depth=1
	s_or_saveexec_b64 s[6:7], s[6:7]
	v_mov_b32_e32 v26, s22
	s_xor_b64 exec, exec, s[6:7]
	s_cbranch_execnz .LBB261_799
.LBB261_604:                            ;   in Loop: Header=BB261_431 Depth=1
	s_or_b64 exec, exec, s[6:7]
	s_and_saveexec_b64 s[6:7], s[0:1]
	s_cbranch_execz .LBB261_606
.LBB261_605:                            ;   in Loop: Header=BB261_431 Depth=1
	v_and_b32_e32 v2, 7, v24
	v_ffbh_u32_e32 v2, v2
	v_bfe_u32 v4, v24, 3, 4
	v_min_u32_e32 v2, 32, v2
	v_subrev_u32_e32 v19, 28, v2
	v_sub_u32_e32 v2, 29, v2
	v_cmp_eq_u32_e64 s[0:1], 0, v4
	s_nop 1
	v_cndmask_b32_e64 v2, v4, v2, s[0:1]
	v_cndmask_b32_e64 v4, 0, v19, s[0:1]
	v_lshlrev_b64 v[22:23], v4, v[24:25]
	v_lshlrev_b32_e32 v19, 8, v24
	v_lshl_add_u32 v2, v2, 10, v55
	v_lshlrev_b32_e32 v4, 7, v22
	v_and_or_b32 v2, v19, s25, v2
	v_and_or_b32 v2, v4, s26, v2
	v_cvt_f32_f16_e32 v26, v2
.LBB261_606:                            ;   in Loop: Header=BB261_431 Depth=1
	s_or_b64 exec, exec, s[6:7]
	v_lshrrev_b16_e32 v4, 8, v24
	v_cmp_lt_i16_e64 s[0:1], s17, v4
	s_mov_b64 s[6:7], 0
                                        ; implicit-def: $sgpr30
	s_and_saveexec_b64 s[8:9], s[0:1]
	s_xor_b64 s[8:9], exec, s[8:9]
	s_cbranch_execnz .LBB261_800
; %bb.607:                              ;   in Loop: Header=BB261_431 Depth=1
	s_or_saveexec_b64 s[8:9], s[8:9]
	v_mov_b32_e32 v28, s30
	s_xor_b64 exec, exec, s[8:9]
	s_cbranch_execnz .LBB261_803
.LBB261_608:                            ;   in Loop: Header=BB261_431 Depth=1
	s_or_b64 exec, exec, s[8:9]
	s_and_saveexec_b64 s[8:9], s[6:7]
	s_cbranch_execz .LBB261_610
.LBB261_609:                            ;   in Loop: Header=BB261_431 Depth=1
	v_and_b32_e32 v2, 7, v4
	v_ffbh_u32_e32 v21, v2
	v_bfe_u32 v19, v4, 3, 4
	v_min_u32_e32 v21, 32, v21
	v_subrev_u32_e32 v22, 28, v21
	v_sub_u32_e32 v21, 29, v21
	v_cmp_eq_u32_e64 s[0:1], 0, v19
	v_lshlrev_b64 v[22:23], v22, v[4:5]
	v_and_b32_e32 v22, 7, v22
	v_cndmask_b32_e64 v19, v19, v21, s[0:1]
	v_lshlrev_b32_e32 v4, 8, v4
	v_lshl_add_u32 v19, v19, 10, v55
	v_cndmask_b32_e64 v2, v2, v22, s[0:1]
	v_and_or_b32 v4, v4, s25, v19
	v_lshl_or_b32 v2, v2, 7, v4
	v_cvt_f32_f16_e32 v28, v2
.LBB261_610:                            ;   in Loop: Header=BB261_431 Depth=1
	s_or_b64 exec, exec, s[8:9]
	v_lshrrev_b32_e32 v4, 16, v24
	v_cmp_gt_i16_sdwa s[6:7], v4, s17 src0_sel:BYTE_0 src1_sel:DWORD
	s_mov_b64 s[0:1], 0
                                        ; implicit-def: $sgpr22
	s_and_saveexec_b64 s[8:9], s[6:7]
	s_xor_b64 s[6:7], exec, s[8:9]
	s_cbranch_execnz .LBB261_804
; %bb.611:                              ;   in Loop: Header=BB261_431 Depth=1
	s_or_saveexec_b64 s[6:7], s[6:7]
	v_mov_b32_e32 v27, s22
	s_xor_b64 exec, exec, s[6:7]
	s_cbranch_execnz .LBB261_807
.LBB261_612:                            ;   in Loop: Header=BB261_431 Depth=1
	s_or_b64 exec, exec, s[6:7]
	s_and_saveexec_b64 s[6:7], s[0:1]
	s_cbranch_execz .LBB261_614
.LBB261_613:                            ;   in Loop: Header=BB261_431 Depth=1
	v_bfe_u32 v2, v24, 16, 3
	v_ffbh_u32_e32 v21, v2
	v_bfe_u32 v19, v24, 19, 4
	v_min_u32_e32 v21, 32, v21
	v_subrev_u32_e32 v22, 28, v21
	v_sub_u32_e32 v21, 29, v21
	v_cmp_eq_u32_e64 s[0:1], 0, v19
	v_lshlrev_b64 v[22:23], v22, v[4:5]
	v_and_b32_e32 v22, 7, v22
	v_cndmask_b32_e64 v19, v19, v21, s[0:1]
	v_lshlrev_b32_e32 v4, 8, v4
	v_lshl_add_u32 v19, v19, 10, v55
	v_cndmask_b32_e64 v2, v2, v22, s[0:1]
	v_and_or_b32 v4, v4, s25, v19
	v_lshl_or_b32 v2, v2, 7, v4
	v_cvt_f32_f16_e32 v27, v2
.LBB261_614:                            ;   in Loop: Header=BB261_431 Depth=1
	s_or_b64 exec, exec, s[6:7]
	v_lshrrev_b32_e32 v4, 24, v24
	v_cmp_lt_i16_e64 s[0:1], s17, v4
	s_mov_b64 s[6:7], 0
                                        ; implicit-def: $sgpr30
	s_and_saveexec_b64 s[8:9], s[0:1]
	s_xor_b64 s[8:9], exec, s[8:9]
	s_cbranch_execnz .LBB261_808
; %bb.615:                              ;   in Loop: Header=BB261_431 Depth=1
	s_or_saveexec_b64 s[8:9], s[8:9]
	v_mov_b32_e32 v29, s30
	s_xor_b64 exec, exec, s[8:9]
	s_cbranch_execnz .LBB261_811
.LBB261_616:                            ;   in Loop: Header=BB261_431 Depth=1
	s_or_b64 exec, exec, s[8:9]
	s_and_saveexec_b64 s[8:9], s[6:7]
	s_cbranch_execz .LBB261_618
.LBB261_617:                            ;   in Loop: Header=BB261_431 Depth=1
	v_bfe_u32 v2, v24, 24, 3
	v_ffbh_u32_e32 v21, v2
	v_bfe_u32 v19, v24, 27, 4
	v_min_u32_e32 v21, 32, v21
	v_subrev_u32_e32 v22, 28, v21
	v_sub_u32_e32 v21, 29, v21
	v_cmp_eq_u32_e64 s[0:1], 0, v19
	v_lshlrev_b64 v[22:23], v22, v[4:5]
	v_and_b32_e32 v22, 7, v22
	v_cndmask_b32_e64 v19, v19, v21, s[0:1]
	v_lshlrev_b32_e32 v4, 8, v4
	v_lshl_add_u32 v19, v19, 10, v55
	v_cndmask_b32_e64 v2, v2, v22, s[0:1]
	v_and_or_b32 v4, v4, s25, v19
	v_lshl_or_b32 v2, v2, 7, v4
	v_cvt_f32_f16_e32 v29, v2
.LBB261_618:                            ;   in Loop: Header=BB261_431 Depth=1
	s_or_b64 exec, exec, s[8:9]
	v_cmp_gt_i16_sdwa s[6:7], v25, s17 src0_sel:BYTE_0 src1_sel:DWORD
	s_mov_b64 s[0:1], 0
                                        ; implicit-def: $sgpr22
	s_and_saveexec_b64 s[8:9], s[6:7]
	s_xor_b64 s[6:7], exec, s[8:9]
	s_cbranch_execnz .LBB261_812
; %bb.619:                              ;   in Loop: Header=BB261_431 Depth=1
	s_or_saveexec_b64 s[6:7], s[6:7]
	v_mov_b32_e32 v2, s22
	s_xor_b64 exec, exec, s[6:7]
	s_cbranch_execnz .LBB261_815
.LBB261_620:                            ;   in Loop: Header=BB261_431 Depth=1
	s_or_b64 exec, exec, s[6:7]
	v_mov_b32_e32 v4, v25
	s_and_saveexec_b64 s[6:7], s[0:1]
	s_cbranch_execz .LBB261_622
.LBB261_621:                            ;   in Loop: Header=BB261_431 Depth=1
	v_and_b32_e32 v2, 7, v25
	v_ffbh_u32_e32 v2, v2
	v_bfe_u32 v19, v25, 3, 4
	v_min_u32_e32 v2, 32, v2
	v_subrev_u32_e32 v21, 28, v2
	v_sub_u32_e32 v2, 29, v2
	v_cmp_eq_u32_e64 s[0:1], 0, v19
	s_nop 1
	v_cndmask_b32_e64 v2, v19, v2, s[0:1]
	v_cndmask_b32_e64 v19, 0, v21, s[0:1]
	v_lshlrev_b64 v[22:23], v19, v[4:5]
	v_lshlrev_b32_e32 v21, 8, v25
	v_lshl_add_u32 v2, v2, 10, v55
	v_lshlrev_b32_e32 v19, 7, v22
	v_and_or_b32 v2, v21, s25, v2
	v_and_or_b32 v2, v19, s26, v2
	v_cvt_f32_f16_e32 v2, v2
.LBB261_622:                            ;   in Loop: Header=BB261_431 Depth=1
	s_or_b64 exec, exec, s[6:7]
	v_lshrrev_b16_e32 v4, 8, v4
	v_cmp_lt_i16_e64 s[0:1], s17, v4
	s_mov_b64 s[6:7], 0
                                        ; implicit-def: $sgpr30
	s_and_saveexec_b64 s[8:9], s[0:1]
	s_xor_b64 s[8:9], exec, s[8:9]
	s_cbranch_execnz .LBB261_816
; %bb.623:                              ;   in Loop: Header=BB261_431 Depth=1
	s_or_saveexec_b64 s[8:9], s[8:9]
	v_mov_b32_e32 v21, s30
	s_xor_b64 exec, exec, s[8:9]
	s_cbranch_execnz .LBB261_819
.LBB261_624:                            ;   in Loop: Header=BB261_431 Depth=1
	s_or_b64 exec, exec, s[8:9]
	s_and_saveexec_b64 s[8:9], s[6:7]
	s_cbranch_execz .LBB261_626
.LBB261_625:                            ;   in Loop: Header=BB261_431 Depth=1
	v_and_b32_e32 v19, 7, v4
	v_ffbh_u32_e32 v22, v19
	v_min_u32_e32 v24, 32, v22
	v_subrev_u32_e32 v22, 28, v24
	v_bfe_u32 v21, v4, 3, 4
	v_lshlrev_b64 v[22:23], v22, v[4:5]
	v_sub_u32_e32 v23, 29, v24
	v_cmp_eq_u32_e64 s[0:1], 0, v21
	v_and_b32_e32 v22, 7, v22
	v_lshlrev_b32_e32 v4, 8, v4
	v_cndmask_b32_e64 v21, v21, v23, s[0:1]
	v_lshl_add_u32 v21, v21, 10, v55
	v_cndmask_b32_e64 v19, v19, v22, s[0:1]
	v_and_or_b32 v4, v4, s25, v21
	v_lshl_or_b32 v4, v19, 7, v4
	v_cvt_f32_f16_e32 v21, v4
.LBB261_626:                            ;   in Loop: Header=BB261_431 Depth=1
	s_or_b64 exec, exec, s[8:9]
	v_lshrrev_b32_e32 v4, 16, v25
	v_cmp_gt_i16_sdwa s[6:7], v4, s17 src0_sel:BYTE_0 src1_sel:DWORD
	s_mov_b64 s[0:1], 0
                                        ; implicit-def: $sgpr22
	s_and_saveexec_b64 s[8:9], s[6:7]
	s_xor_b64 s[6:7], exec, s[8:9]
	s_cbranch_execnz .LBB261_820
; %bb.627:                              ;   in Loop: Header=BB261_431 Depth=1
	s_or_saveexec_b64 s[6:7], s[6:7]
	v_mov_b32_e32 v22, s22
	s_xor_b64 exec, exec, s[6:7]
	s_cbranch_execnz .LBB261_823
.LBB261_628:                            ;   in Loop: Header=BB261_431 Depth=1
	s_or_b64 exec, exec, s[6:7]
	s_and_saveexec_b64 s[6:7], s[0:1]
	s_cbranch_execz .LBB261_630
.LBB261_629:                            ;   in Loop: Header=BB261_431 Depth=1
	v_bfe_u32 v19, v25, 16, 3
	v_ffbh_u32_e32 v22, v19
	v_min_u32_e32 v30, 32, v22
	v_subrev_u32_e32 v22, 28, v30
	v_bfe_u32 v24, v25, 19, 4
	v_lshlrev_b64 v[22:23], v22, v[4:5]
	v_sub_u32_e32 v23, 29, v30
	v_cmp_eq_u32_e64 s[0:1], 0, v24
	v_and_b32_e32 v22, 7, v22
	v_lshlrev_b32_e32 v4, 8, v4
	v_cndmask_b32_e64 v23, v24, v23, s[0:1]
	v_cndmask_b32_e64 v19, v19, v22, s[0:1]
	v_lshl_add_u32 v22, v23, 10, v55
	v_and_or_b32 v4, v4, s25, v22
	v_lshl_or_b32 v4, v19, 7, v4
	v_cvt_f32_f16_e32 v22, v4
.LBB261_630:                            ;   in Loop: Header=BB261_431 Depth=1
	s_or_b64 exec, exec, s[6:7]
	v_lshrrev_b32_e32 v4, 24, v25
	v_cmp_lt_i16_e64 s[0:1], s17, v4
	s_mov_b64 s[6:7], 0
                                        ; implicit-def: $sgpr30
	s_and_saveexec_b64 s[8:9], s[0:1]
	s_xor_b64 s[8:9], exec, s[8:9]
	s_cbranch_execnz .LBB261_824
; %bb.631:                              ;   in Loop: Header=BB261_431 Depth=1
	s_or_saveexec_b64 s[8:9], s[8:9]
	v_mov_b32_e32 v24, s30
	s_xor_b64 exec, exec, s[8:9]
	s_cbranch_execnz .LBB261_827
.LBB261_632:                            ;   in Loop: Header=BB261_431 Depth=1
	s_or_b64 exec, exec, s[8:9]
	s_and_saveexec_b64 s[8:9], s[6:7]
	s_cbranch_execz .LBB261_634
.LBB261_633:                            ;   in Loop: Header=BB261_431 Depth=1
	v_bfe_u32 v19, v25, 24, 3
	v_ffbh_u32_e32 v24, v19
	v_min_u32_e32 v30, 32, v24
	v_subrev_u32_e32 v24, 28, v30
	v_bfe_u32 v23, v25, 27, 4
	v_lshlrev_b64 v[24:25], v24, v[4:5]
	v_sub_u32_e32 v25, 29, v30
	v_cmp_eq_u32_e64 s[0:1], 0, v23
	v_and_b32_e32 v24, 7, v24
	v_lshlrev_b32_e32 v4, 8, v4
	v_cndmask_b32_e64 v23, v23, v25, s[0:1]
	v_lshl_add_u32 v23, v23, 10, v55
	v_cndmask_b32_e64 v19, v19, v24, s[0:1]
	v_and_or_b32 v4, v4, s25, v23
	v_lshl_or_b32 v4, v19, 7, v4
	v_cvt_f32_f16_e32 v24, v4
.LBB261_634:                            ;   in Loop: Header=BB261_431 Depth=1
	s_or_b64 exec, exec, s[8:9]
	v_pk_mul_f32 v[28:29], v[20:21], v[28:29] op_sel_hi:[0,1]
	v_pk_mul_f32 v[26:27], v[20:21], v[26:27] op_sel_hi:[0,1]
	v_cvt_f16_f32_e32 v4, v29
	v_cvt_f16_f32_e32 v19, v28
	;; [unrolled: 1-line block ×4, first 2 shown]
	v_fma_mixlo_f16 v2, v20, v2, 0
	v_pack_b32_f16 v19, v19, v4
	v_pack_b32_f16 v23, v25, v23
	v_perm_b32 v4, v23, v19, s27
	v_perm_b32 v23, v23, v19, s28
	v_fma_mixlo_f16 v19, v20, v21, 0
	v_lshlrev_b32_e32 v19, 16, v19
	v_or_b32_sdwa v2, v19, v2 dst_sel:DWORD dst_unused:UNUSED_PAD src0_sel:DWORD src1_sel:WORD_0
	v_fma_mixlo_f16 v19, v20, v24, 0
	v_fma_mixlo_f16 v21, v20, v22, 0
	v_lshlrev_b32_e32 v19, 16, v19
	v_or_b32_sdwa v20, v19, v21 dst_sel:DWORD dst_unused:UNUSED_PAD src0_sel:DWORD src1_sel:WORD_0
	s_and_saveexec_b64 s[0:1], vcc
	s_cbranch_execz .LBB261_429
; %bb.635:                              ;   in Loop: Header=BB261_431 Depth=1
	v_lshrrev_b32_e32 v19, 16, v23
	v_cmp_lt_i32_e32 vcc, v47, v3
	v_accvgpr_read_b32 v24, a8
	s_nop 0
	v_cndmask_b32_e32 v19, 0, v19, vcc
	v_cmp_lt_i32_e32 vcc, v42, v24
	s_nop 1
	v_cndmask_b32_e32 v22, 0, v23, vcc
	v_perm_b32 v23, v19, v22, s29
	v_lshrrev_b32_e32 v19, 16, v4
	v_cmp_lt_i32_e32 vcc, v46, v3
	s_nop 1
	v_cndmask_b32_e32 v19, 0, v19, vcc
	v_cmp_lt_i32_e32 vcc, v45, v24
	s_nop 1
	v_cndmask_b32_e32 v4, 0, v4, vcc
	v_perm_b32 v4, v19, v4, s29
	v_lshrrev_b32_e32 v19, 16, v2
	v_cmp_lt_i32_e32 vcc, v44, v3
	;; [unrolled: 8-line block ×3, first 2 shown]
	s_nop 1
	v_cndmask_b32_e32 v19, 0, v19, vcc
	v_cmp_lt_i32_e32 vcc, v40, v24
	s_nop 1
	v_cndmask_b32_e32 v20, 0, v21, vcc
	v_perm_b32 v20, v19, v20, s29
	s_branch .LBB261_429
.LBB261_636:                            ;   in Loop: Header=BB261_431 Depth=1
	v_cmp_eq_u16_sdwa vcc, v26, s24 src0_sel:BYTE_0 src1_sel:DWORD
	s_mov_b64 s[0:1], -1
                                        ; implicit-def: $sgpr22
	s_and_saveexec_b64 s[8:9], vcc
; %bb.637:                              ;   in Loop: Header=BB261_431 Depth=1
	s_mov_b32 s22, 0x7fc02000
	s_xor_b64 s[0:1], exec, -1
; %bb.638:                              ;   in Loop: Header=BB261_431 Depth=1
	s_or_b64 exec, exec, s[8:9]
	s_and_b64 s[0:1], s[0:1], exec
	s_or_saveexec_b64 s[6:7], s[6:7]
	v_mov_b32_e32 v28, s22
	s_xor_b64 exec, exec, s[6:7]
	s_cbranch_execz .LBB261_434
.LBB261_639:                            ;   in Loop: Header=BB261_431 Depth=1
	v_cmp_ne_u16_sdwa s[8:9], v26, v5 src0_sel:BYTE_0 src1_sel:DWORD
	s_andn2_b64 s[0:1], s[0:1], exec
	s_and_b64 s[8:9], s[8:9], exec
	v_mov_b32_e32 v28, 0
	s_or_b64 s[0:1], s[0:1], s[8:9]
	s_or_b64 exec, exec, s[6:7]
	s_and_saveexec_b64 s[6:7], s[0:1]
	s_cbranch_execnz .LBB261_435
	s_branch .LBB261_436
.LBB261_640:                            ;   in Loop: Header=BB261_431 Depth=1
	v_cmp_eq_u16_e32 vcc, s24, v4
	s_mov_b64 s[0:1], -1
                                        ; implicit-def: $sgpr22
	s_and_saveexec_b64 s[8:9], vcc
; %bb.641:                              ;   in Loop: Header=BB261_431 Depth=1
	s_mov_b32 s22, 0x7fc02000
	s_xor_b64 s[0:1], exec, -1
; %bb.642:                              ;   in Loop: Header=BB261_431 Depth=1
	s_or_b64 exec, exec, s[8:9]
	s_and_b64 s[0:1], s[0:1], exec
	s_or_saveexec_b64 s[6:7], s[6:7]
	v_mov_b32_e32 v32, s22
	s_xor_b64 exec, exec, s[6:7]
	s_cbranch_execz .LBB261_438
.LBB261_643:                            ;   in Loop: Header=BB261_431 Depth=1
	v_cmp_ne_u16_e32 vcc, 0, v4
	s_andn2_b64 s[0:1], s[0:1], exec
	s_and_b64 s[8:9], vcc, exec
	v_mov_b32_e32 v32, 0
	s_or_b64 s[0:1], s[0:1], s[8:9]
	s_or_b64 exec, exec, s[6:7]
	s_and_saveexec_b64 s[6:7], s[0:1]
	s_cbranch_execnz .LBB261_439
	s_branch .LBB261_440
.LBB261_644:                            ;   in Loop: Header=BB261_431 Depth=1
	v_cmp_eq_u16_sdwa vcc, v4, s24 src0_sel:BYTE_0 src1_sel:DWORD
	s_mov_b64 s[0:1], -1
                                        ; implicit-def: $sgpr22
	s_and_saveexec_b64 s[8:9], vcc
; %bb.645:                              ;   in Loop: Header=BB261_431 Depth=1
	s_mov_b32 s22, 0x7fc02000
	s_xor_b64 s[0:1], exec, -1
; %bb.646:                              ;   in Loop: Header=BB261_431 Depth=1
	s_or_b64 exec, exec, s[8:9]
	s_and_b64 s[0:1], s[0:1], exec
	s_or_saveexec_b64 s[6:7], s[6:7]
	v_mov_b32_e32 v29, s22
	s_xor_b64 exec, exec, s[6:7]
	s_cbranch_execz .LBB261_442
.LBB261_647:                            ;   in Loop: Header=BB261_431 Depth=1
	v_cmp_ne_u16_sdwa s[8:9], v4, v5 src0_sel:BYTE_0 src1_sel:DWORD
	s_andn2_b64 s[0:1], s[0:1], exec
	s_and_b64 s[8:9], s[8:9], exec
	v_mov_b32_e32 v29, 0
	s_or_b64 s[0:1], s[0:1], s[8:9]
	s_or_b64 exec, exec, s[6:7]
	s_and_saveexec_b64 s[6:7], s[0:1]
	s_cbranch_execnz .LBB261_443
	s_branch .LBB261_444
.LBB261_648:                            ;   in Loop: Header=BB261_431 Depth=1
	v_cmp_eq_u16_e32 vcc, s24, v4
	s_mov_b64 s[0:1], -1
                                        ; implicit-def: $sgpr22
	s_and_saveexec_b64 s[8:9], vcc
; %bb.649:                              ;   in Loop: Header=BB261_431 Depth=1
	s_mov_b32 s22, 0x7fc02000
	s_xor_b64 s[0:1], exec, -1
; %bb.650:                              ;   in Loop: Header=BB261_431 Depth=1
	s_or_b64 exec, exec, s[8:9]
	s_and_b64 s[0:1], s[0:1], exec
	s_or_saveexec_b64 s[6:7], s[6:7]
	v_mov_b32_e32 v33, s22
	s_xor_b64 exec, exec, s[6:7]
	s_cbranch_execz .LBB261_446
.LBB261_651:                            ;   in Loop: Header=BB261_431 Depth=1
	v_cmp_ne_u16_e32 vcc, 0, v4
	s_andn2_b64 s[0:1], s[0:1], exec
	s_and_b64 s[8:9], vcc, exec
	v_mov_b32_e32 v33, 0
	s_or_b64 s[0:1], s[0:1], s[8:9]
	s_or_b64 exec, exec, s[6:7]
	s_and_saveexec_b64 s[6:7], s[0:1]
	s_cbranch_execnz .LBB261_447
	s_branch .LBB261_448
.LBB261_652:                            ;   in Loop: Header=BB261_431 Depth=1
	v_cmp_eq_u16_sdwa vcc, v27, s24 src0_sel:BYTE_0 src1_sel:DWORD
	s_mov_b64 s[0:1], -1
                                        ; implicit-def: $sgpr22
	s_and_saveexec_b64 s[8:9], vcc
; %bb.653:                              ;   in Loop: Header=BB261_431 Depth=1
	s_mov_b32 s22, 0x7fc02000
	s_xor_b64 s[0:1], exec, -1
; %bb.654:                              ;   in Loop: Header=BB261_431 Depth=1
	s_or_b64 exec, exec, s[8:9]
	s_and_b64 s[0:1], s[0:1], exec
	s_or_saveexec_b64 s[6:7], s[6:7]
	v_mov_b32_e32 v2, s22
	s_xor_b64 exec, exec, s[6:7]
	s_cbranch_execz .LBB261_450
.LBB261_655:                            ;   in Loop: Header=BB261_431 Depth=1
	v_cmp_ne_u16_sdwa s[8:9], v27, v5 src0_sel:BYTE_0 src1_sel:DWORD
	s_andn2_b64 s[0:1], s[0:1], exec
	s_and_b64 s[8:9], s[8:9], exec
	v_mov_b32_e32 v2, 0
	s_or_b64 s[0:1], s[0:1], s[8:9]
	s_or_b64 exec, exec, s[6:7]
	v_mov_b32_e32 v4, v27
	s_and_saveexec_b64 s[6:7], s[0:1]
	s_cbranch_execnz .LBB261_451
	s_branch .LBB261_452
.LBB261_656:                            ;   in Loop: Header=BB261_431 Depth=1
	v_cmp_eq_u16_e32 vcc, s24, v4
	s_mov_b64 s[0:1], -1
                                        ; implicit-def: $sgpr22
	s_and_saveexec_b64 s[8:9], vcc
; %bb.657:                              ;   in Loop: Header=BB261_431 Depth=1
	s_mov_b32 s22, 0x7fc02000
	s_xor_b64 s[0:1], exec, -1
; %bb.658:                              ;   in Loop: Header=BB261_431 Depth=1
	s_or_b64 exec, exec, s[8:9]
	s_and_b64 s[0:1], s[0:1], exec
	s_or_saveexec_b64 s[6:7], s[6:7]
	v_mov_b32_e32 v22, s22
	s_xor_b64 exec, exec, s[6:7]
	s_cbranch_execz .LBB261_454
.LBB261_659:                            ;   in Loop: Header=BB261_431 Depth=1
	v_cmp_ne_u16_e32 vcc, 0, v4
	s_andn2_b64 s[0:1], s[0:1], exec
	s_and_b64 s[8:9], vcc, exec
	v_mov_b32_e32 v22, 0
	s_or_b64 s[0:1], s[0:1], s[8:9]
	s_or_b64 exec, exec, s[6:7]
	s_and_saveexec_b64 s[6:7], s[0:1]
	s_cbranch_execnz .LBB261_455
	s_branch .LBB261_456
.LBB261_660:                            ;   in Loop: Header=BB261_431 Depth=1
	v_cmp_eq_u16_sdwa vcc, v4, s24 src0_sel:BYTE_0 src1_sel:DWORD
	s_mov_b64 s[0:1], -1
                                        ; implicit-def: $sgpr22
	s_and_saveexec_b64 s[8:9], vcc
; %bb.661:                              ;   in Loop: Header=BB261_431 Depth=1
	s_mov_b32 s22, 0x7fc02000
	s_xor_b64 s[0:1], exec, -1
; %bb.662:                              ;   in Loop: Header=BB261_431 Depth=1
	s_or_b64 exec, exec, s[8:9]
	s_and_b64 s[0:1], s[0:1], exec
	s_or_saveexec_b64 s[6:7], s[6:7]
	v_mov_b32_e32 v23, s22
	s_xor_b64 exec, exec, s[6:7]
	s_cbranch_execz .LBB261_458
.LBB261_663:                            ;   in Loop: Header=BB261_431 Depth=1
	v_cmp_ne_u16_sdwa s[8:9], v4, v5 src0_sel:BYTE_0 src1_sel:DWORD
	s_andn2_b64 s[0:1], s[0:1], exec
	s_and_b64 s[8:9], s[8:9], exec
	v_mov_b32_e32 v23, 0
	s_or_b64 s[0:1], s[0:1], s[8:9]
	s_or_b64 exec, exec, s[6:7]
	s_and_saveexec_b64 s[6:7], s[0:1]
	s_cbranch_execnz .LBB261_459
	s_branch .LBB261_460
.LBB261_664:                            ;   in Loop: Header=BB261_431 Depth=1
	v_cmp_eq_u16_e32 vcc, s24, v4
	s_mov_b64 s[0:1], -1
                                        ; implicit-def: $sgpr22
	s_and_saveexec_b64 s[8:9], vcc
; %bb.665:                              ;   in Loop: Header=BB261_431 Depth=1
	s_mov_b32 s22, 0x7fc02000
	s_xor_b64 s[0:1], exec, -1
; %bb.666:                              ;   in Loop: Header=BB261_431 Depth=1
	s_or_b64 exec, exec, s[8:9]
	s_and_b64 s[0:1], s[0:1], exec
	s_or_saveexec_b64 s[6:7], s[6:7]
	v_mov_b32_e32 v39, s22
	s_xor_b64 exec, exec, s[6:7]
	s_cbranch_execz .LBB261_462
.LBB261_667:                            ;   in Loop: Header=BB261_431 Depth=1
	v_cmp_ne_u16_e32 vcc, 0, v4
	s_andn2_b64 s[0:1], s[0:1], exec
	s_and_b64 s[8:9], vcc, exec
	v_mov_b32_e32 v39, 0
	s_or_b64 s[0:1], s[0:1], s[8:9]
	s_or_b64 exec, exec, s[6:7]
	s_and_saveexec_b64 s[6:7], s[0:1]
	s_cbranch_execnz .LBB261_463
	s_branch .LBB261_464
.LBB261_668:                            ;   in Loop: Header=BB261_431 Depth=1
	v_cmp_eq_u16_sdwa s[30:31], v26, s24 src0_sel:BYTE_0 src1_sel:DWORD
	s_mov_b64 s[0:1], -1
                                        ; implicit-def: $sgpr22
	s_and_saveexec_b64 s[8:9], s[30:31]
; %bb.669:                              ;   in Loop: Header=BB261_431 Depth=1
	s_mov_b32 s22, 0x7fc02000
	s_xor_b64 s[0:1], exec, -1
; %bb.670:                              ;   in Loop: Header=BB261_431 Depth=1
	s_or_b64 exec, exec, s[8:9]
	s_and_b64 s[0:1], s[0:1], exec
	s_or_saveexec_b64 s[6:7], s[6:7]
	v_mov_b32_e32 v28, s22
	s_xor_b64 exec, exec, s[6:7]
	s_cbranch_execz .LBB261_468
.LBB261_671:                            ;   in Loop: Header=BB261_431 Depth=1
	v_cmp_ne_u16_sdwa s[8:9], v26, v5 src0_sel:BYTE_0 src1_sel:DWORD
	s_andn2_b64 s[0:1], s[0:1], exec
	s_and_b64 s[8:9], s[8:9], exec
	v_mov_b32_e32 v28, 0
	s_or_b64 s[0:1], s[0:1], s[8:9]
	s_or_b64 exec, exec, s[6:7]
	s_and_saveexec_b64 s[6:7], s[0:1]
	s_cbranch_execnz .LBB261_469
	s_branch .LBB261_470
.LBB261_672:                            ;   in Loop: Header=BB261_431 Depth=1
	v_cmp_eq_u16_e64 s[0:1], s24, v4
	s_mov_b64 s[6:7], -1
                                        ; implicit-def: $sgpr30
	s_and_saveexec_b64 s[22:23], s[0:1]
; %bb.673:                              ;   in Loop: Header=BB261_431 Depth=1
	s_mov_b32 s30, 0x7fc02000
	s_xor_b64 s[6:7], exec, -1
; %bb.674:                              ;   in Loop: Header=BB261_431 Depth=1
	s_or_b64 exec, exec, s[22:23]
	s_and_b64 s[6:7], s[6:7], exec
	s_or_saveexec_b64 s[8:9], s[8:9]
	v_mov_b32_e32 v32, s30
	s_xor_b64 exec, exec, s[8:9]
	s_cbranch_execz .LBB261_472
.LBB261_675:                            ;   in Loop: Header=BB261_431 Depth=1
	v_cmp_ne_u16_e64 s[0:1], 0, v4
	s_andn2_b64 s[6:7], s[6:7], exec
	s_and_b64 s[0:1], s[0:1], exec
	v_mov_b32_e32 v32, 0
	s_or_b64 s[6:7], s[6:7], s[0:1]
	s_or_b64 exec, exec, s[8:9]
	s_and_saveexec_b64 s[8:9], s[6:7]
	s_cbranch_execnz .LBB261_473
	s_branch .LBB261_474
.LBB261_676:                            ;   in Loop: Header=BB261_431 Depth=1
	v_cmp_eq_u16_sdwa s[30:31], v4, s24 src0_sel:BYTE_0 src1_sel:DWORD
	s_mov_b64 s[0:1], -1
                                        ; implicit-def: $sgpr22
	s_and_saveexec_b64 s[8:9], s[30:31]
; %bb.677:                              ;   in Loop: Header=BB261_431 Depth=1
	s_mov_b32 s22, 0x7fc02000
	s_xor_b64 s[0:1], exec, -1
; %bb.678:                              ;   in Loop: Header=BB261_431 Depth=1
	s_or_b64 exec, exec, s[8:9]
	s_and_b64 s[0:1], s[0:1], exec
	s_or_saveexec_b64 s[6:7], s[6:7]
	v_mov_b32_e32 v29, s22
	s_xor_b64 exec, exec, s[6:7]
	s_cbranch_execz .LBB261_476
.LBB261_679:                            ;   in Loop: Header=BB261_431 Depth=1
	v_cmp_ne_u16_sdwa s[8:9], v4, v5 src0_sel:BYTE_0 src1_sel:DWORD
	s_andn2_b64 s[0:1], s[0:1], exec
	s_and_b64 s[8:9], s[8:9], exec
	v_mov_b32_e32 v29, 0
	s_or_b64 s[0:1], s[0:1], s[8:9]
	s_or_b64 exec, exec, s[6:7]
	s_and_saveexec_b64 s[6:7], s[0:1]
	s_cbranch_execnz .LBB261_477
	s_branch .LBB261_478
.LBB261_680:                            ;   in Loop: Header=BB261_431 Depth=1
	v_cmp_eq_u16_e64 s[0:1], s24, v4
	s_mov_b64 s[6:7], -1
                                        ; implicit-def: $sgpr30
	s_and_saveexec_b64 s[22:23], s[0:1]
; %bb.681:                              ;   in Loop: Header=BB261_431 Depth=1
	s_mov_b32 s30, 0x7fc02000
	s_xor_b64 s[6:7], exec, -1
; %bb.682:                              ;   in Loop: Header=BB261_431 Depth=1
	s_or_b64 exec, exec, s[22:23]
	s_and_b64 s[6:7], s[6:7], exec
	s_or_saveexec_b64 s[8:9], s[8:9]
	v_mov_b32_e32 v33, s30
	s_xor_b64 exec, exec, s[8:9]
	s_cbranch_execz .LBB261_480
.LBB261_683:                            ;   in Loop: Header=BB261_431 Depth=1
	v_cmp_ne_u16_e64 s[0:1], 0, v4
	s_andn2_b64 s[6:7], s[6:7], exec
	s_and_b64 s[0:1], s[0:1], exec
	v_mov_b32_e32 v33, 0
	s_or_b64 s[6:7], s[6:7], s[0:1]
	s_or_b64 exec, exec, s[8:9]
	s_and_saveexec_b64 s[8:9], s[6:7]
	s_cbranch_execnz .LBB261_481
	s_branch .LBB261_482
.LBB261_684:                            ;   in Loop: Header=BB261_431 Depth=1
	v_cmp_eq_u16_sdwa s[30:31], v27, s24 src0_sel:BYTE_0 src1_sel:DWORD
	s_mov_b64 s[0:1], -1
                                        ; implicit-def: $sgpr22
	s_and_saveexec_b64 s[8:9], s[30:31]
; %bb.685:                              ;   in Loop: Header=BB261_431 Depth=1
	s_mov_b32 s22, 0x7fc02000
	s_xor_b64 s[0:1], exec, -1
; %bb.686:                              ;   in Loop: Header=BB261_431 Depth=1
	s_or_b64 exec, exec, s[8:9]
	s_and_b64 s[0:1], s[0:1], exec
	s_or_saveexec_b64 s[6:7], s[6:7]
	v_mov_b32_e32 v0, s22
	s_xor_b64 exec, exec, s[6:7]
	s_cbranch_execz .LBB261_484
.LBB261_687:                            ;   in Loop: Header=BB261_431 Depth=1
	v_cmp_ne_u16_sdwa s[8:9], v27, v5 src0_sel:BYTE_0 src1_sel:DWORD
	s_andn2_b64 s[0:1], s[0:1], exec
	s_and_b64 s[8:9], s[8:9], exec
	v_mov_b32_e32 v0, 0
	s_or_b64 s[0:1], s[0:1], s[8:9]
	s_or_b64 exec, exec, s[6:7]
	v_mov_b32_e32 v4, v27
	s_and_saveexec_b64 s[6:7], s[0:1]
	s_cbranch_execnz .LBB261_485
	s_branch .LBB261_486
.LBB261_688:                            ;   in Loop: Header=BB261_431 Depth=1
	v_cmp_eq_u16_e64 s[0:1], s24, v4
	s_mov_b64 s[6:7], -1
                                        ; implicit-def: $sgpr30
	s_and_saveexec_b64 s[22:23], s[0:1]
; %bb.689:                              ;   in Loop: Header=BB261_431 Depth=1
	s_mov_b32 s30, 0x7fc02000
	s_xor_b64 s[6:7], exec, -1
; %bb.690:                              ;   in Loop: Header=BB261_431 Depth=1
	s_or_b64 exec, exec, s[22:23]
	s_and_b64 s[6:7], s[6:7], exec
	s_or_saveexec_b64 s[8:9], s[8:9]
	v_mov_b32_e32 v1, s30
	s_xor_b64 exec, exec, s[8:9]
	s_cbranch_execz .LBB261_488
.LBB261_691:                            ;   in Loop: Header=BB261_431 Depth=1
	v_cmp_ne_u16_e64 s[0:1], 0, v4
	s_andn2_b64 s[6:7], s[6:7], exec
	s_and_b64 s[0:1], s[0:1], exec
	v_mov_b32_e32 v1, 0
	s_or_b64 s[6:7], s[6:7], s[0:1]
	s_or_b64 exec, exec, s[8:9]
	s_and_saveexec_b64 s[8:9], s[6:7]
	s_cbranch_execnz .LBB261_489
	s_branch .LBB261_490
.LBB261_692:                            ;   in Loop: Header=BB261_431 Depth=1
	v_cmp_eq_u16_sdwa s[30:31], v4, s24 src0_sel:BYTE_0 src1_sel:DWORD
	s_mov_b64 s[0:1], -1
                                        ; implicit-def: $sgpr22
	s_and_saveexec_b64 s[8:9], s[30:31]
; %bb.693:                              ;   in Loop: Header=BB261_431 Depth=1
	s_mov_b32 s22, 0x7fc02000
	s_xor_b64 s[0:1], exec, -1
; %bb.694:                              ;   in Loop: Header=BB261_431 Depth=1
	s_or_b64 exec, exec, s[8:9]
	s_and_b64 s[0:1], s[0:1], exec
	s_or_saveexec_b64 s[6:7], s[6:7]
	v_mov_b32_e32 v2, s22
	s_xor_b64 exec, exec, s[6:7]
	s_cbranch_execz .LBB261_492
.LBB261_695:                            ;   in Loop: Header=BB261_431 Depth=1
	v_cmp_ne_u16_sdwa s[8:9], v4, v5 src0_sel:BYTE_0 src1_sel:DWORD
	s_andn2_b64 s[0:1], s[0:1], exec
	s_and_b64 s[8:9], s[8:9], exec
	v_mov_b32_e32 v2, 0
	s_or_b64 s[0:1], s[0:1], s[8:9]
	s_or_b64 exec, exec, s[6:7]
	s_and_saveexec_b64 s[6:7], s[0:1]
	s_cbranch_execnz .LBB261_493
	s_branch .LBB261_494
.LBB261_696:                            ;   in Loop: Header=BB261_431 Depth=1
	v_cmp_eq_u16_e64 s[0:1], s24, v4
	s_mov_b64 s[6:7], -1
                                        ; implicit-def: $sgpr30
	s_and_saveexec_b64 s[22:23], s[0:1]
; %bb.697:                              ;   in Loop: Header=BB261_431 Depth=1
	s_mov_b32 s30, 0x7fc02000
	s_xor_b64 s[6:7], exec, -1
; %bb.698:                              ;   in Loop: Header=BB261_431 Depth=1
	s_or_b64 exec, exec, s[22:23]
	s_and_b64 s[6:7], s[6:7], exec
	s_or_saveexec_b64 s[8:9], s[8:9]
	v_mov_b32_e32 v22, s30
	s_xor_b64 exec, exec, s[8:9]
	s_cbranch_execz .LBB261_496
.LBB261_699:                            ;   in Loop: Header=BB261_431 Depth=1
	v_cmp_ne_u16_e64 s[0:1], 0, v4
	s_andn2_b64 s[6:7], s[6:7], exec
	s_and_b64 s[0:1], s[0:1], exec
	v_mov_b32_e32 v22, 0
	s_or_b64 s[6:7], s[6:7], s[0:1]
	s_or_b64 exec, exec, s[8:9]
	s_and_saveexec_b64 s[8:9], s[6:7]
	s_cbranch_execnz .LBB261_497
	s_branch .LBB261_498
.LBB261_700:                            ;   in Loop: Header=BB261_431 Depth=1
	v_cmp_eq_u16_sdwa s[30:31], v26, s24 src0_sel:BYTE_0 src1_sel:DWORD
	s_mov_b64 s[0:1], -1
                                        ; implicit-def: $sgpr22
	s_and_saveexec_b64 s[8:9], s[30:31]
; %bb.701:                              ;   in Loop: Header=BB261_431 Depth=1
	s_mov_b32 s22, 0x7fc02000
	s_xor_b64 s[0:1], exec, -1
; %bb.702:                              ;   in Loop: Header=BB261_431 Depth=1
	s_or_b64 exec, exec, s[8:9]
	s_and_b64 s[0:1], s[0:1], exec
	s_or_saveexec_b64 s[6:7], s[6:7]
	v_mov_b32_e32 v28, s22
	s_xor_b64 exec, exec, s[6:7]
	s_cbranch_execz .LBB261_502
.LBB261_703:                            ;   in Loop: Header=BB261_431 Depth=1
	v_cmp_ne_u16_sdwa s[8:9], v26, v5 src0_sel:BYTE_0 src1_sel:DWORD
	s_andn2_b64 s[0:1], s[0:1], exec
	s_and_b64 s[8:9], s[8:9], exec
	v_mov_b32_e32 v28, 0
	s_or_b64 s[0:1], s[0:1], s[8:9]
	s_or_b64 exec, exec, s[6:7]
	s_and_saveexec_b64 s[6:7], s[0:1]
	s_cbranch_execnz .LBB261_503
	s_branch .LBB261_504
.LBB261_704:                            ;   in Loop: Header=BB261_431 Depth=1
	v_cmp_eq_u16_e64 s[0:1], s24, v4
	s_mov_b64 s[6:7], -1
                                        ; implicit-def: $sgpr30
	s_and_saveexec_b64 s[22:23], s[0:1]
; %bb.705:                              ;   in Loop: Header=BB261_431 Depth=1
	s_mov_b32 s30, 0x7fc02000
	s_xor_b64 s[6:7], exec, -1
; %bb.706:                              ;   in Loop: Header=BB261_431 Depth=1
	s_or_b64 exec, exec, s[22:23]
	s_and_b64 s[6:7], s[6:7], exec
	s_or_saveexec_b64 s[8:9], s[8:9]
	v_mov_b32_e32 v32, s30
	s_xor_b64 exec, exec, s[8:9]
	s_cbranch_execz .LBB261_506
.LBB261_707:                            ;   in Loop: Header=BB261_431 Depth=1
	v_cmp_ne_u16_e64 s[0:1], 0, v4
	s_andn2_b64 s[6:7], s[6:7], exec
	s_and_b64 s[0:1], s[0:1], exec
	v_mov_b32_e32 v32, 0
	s_or_b64 s[6:7], s[6:7], s[0:1]
	s_or_b64 exec, exec, s[8:9]
	s_and_saveexec_b64 s[8:9], s[6:7]
	s_cbranch_execnz .LBB261_507
	s_branch .LBB261_508
.LBB261_708:                            ;   in Loop: Header=BB261_431 Depth=1
	v_cmp_eq_u16_sdwa s[30:31], v4, s24 src0_sel:BYTE_0 src1_sel:DWORD
	s_mov_b64 s[0:1], -1
                                        ; implicit-def: $sgpr22
	s_and_saveexec_b64 s[8:9], s[30:31]
; %bb.709:                              ;   in Loop: Header=BB261_431 Depth=1
	s_mov_b32 s22, 0x7fc02000
	s_xor_b64 s[0:1], exec, -1
; %bb.710:                              ;   in Loop: Header=BB261_431 Depth=1
	s_or_b64 exec, exec, s[8:9]
	s_and_b64 s[0:1], s[0:1], exec
	s_or_saveexec_b64 s[6:7], s[6:7]
	v_mov_b32_e32 v29, s22
	s_xor_b64 exec, exec, s[6:7]
	s_cbranch_execz .LBB261_510
.LBB261_711:                            ;   in Loop: Header=BB261_431 Depth=1
	v_cmp_ne_u16_sdwa s[8:9], v4, v5 src0_sel:BYTE_0 src1_sel:DWORD
	s_andn2_b64 s[0:1], s[0:1], exec
	s_and_b64 s[8:9], s[8:9], exec
	v_mov_b32_e32 v29, 0
	s_or_b64 s[0:1], s[0:1], s[8:9]
	s_or_b64 exec, exec, s[6:7]
	s_and_saveexec_b64 s[6:7], s[0:1]
	s_cbranch_execnz .LBB261_511
	s_branch .LBB261_512
.LBB261_712:                            ;   in Loop: Header=BB261_431 Depth=1
	v_cmp_eq_u16_e64 s[0:1], s24, v4
	s_mov_b64 s[6:7], -1
                                        ; implicit-def: $sgpr30
	s_and_saveexec_b64 s[22:23], s[0:1]
; %bb.713:                              ;   in Loop: Header=BB261_431 Depth=1
	s_mov_b32 s30, 0x7fc02000
	s_xor_b64 s[6:7], exec, -1
; %bb.714:                              ;   in Loop: Header=BB261_431 Depth=1
	s_or_b64 exec, exec, s[22:23]
	s_and_b64 s[6:7], s[6:7], exec
	s_or_saveexec_b64 s[8:9], s[8:9]
	v_mov_b32_e32 v33, s30
	s_xor_b64 exec, exec, s[8:9]
	s_cbranch_execz .LBB261_514
.LBB261_715:                            ;   in Loop: Header=BB261_431 Depth=1
	v_cmp_ne_u16_e64 s[0:1], 0, v4
	s_andn2_b64 s[6:7], s[6:7], exec
	s_and_b64 s[0:1], s[0:1], exec
	v_mov_b32_e32 v33, 0
	s_or_b64 s[6:7], s[6:7], s[0:1]
	s_or_b64 exec, exec, s[8:9]
	s_and_saveexec_b64 s[8:9], s[6:7]
	s_cbranch_execnz .LBB261_515
	s_branch .LBB261_516
.LBB261_716:                            ;   in Loop: Header=BB261_431 Depth=1
	v_cmp_eq_u16_sdwa s[30:31], v27, s24 src0_sel:BYTE_0 src1_sel:DWORD
	s_mov_b64 s[0:1], -1
                                        ; implicit-def: $sgpr22
	s_and_saveexec_b64 s[8:9], s[30:31]
; %bb.717:                              ;   in Loop: Header=BB261_431 Depth=1
	s_mov_b32 s22, 0x7fc02000
	s_xor_b64 s[0:1], exec, -1
; %bb.718:                              ;   in Loop: Header=BB261_431 Depth=1
	s_or_b64 exec, exec, s[8:9]
	s_and_b64 s[0:1], s[0:1], exec
	s_or_saveexec_b64 s[6:7], s[6:7]
	v_mov_b32_e32 v2, s22
	s_xor_b64 exec, exec, s[6:7]
	s_cbranch_execz .LBB261_518
.LBB261_719:                            ;   in Loop: Header=BB261_431 Depth=1
	v_cmp_ne_u16_sdwa s[8:9], v27, v5 src0_sel:BYTE_0 src1_sel:DWORD
	s_andn2_b64 s[0:1], s[0:1], exec
	s_and_b64 s[8:9], s[8:9], exec
	v_mov_b32_e32 v2, 0
	s_or_b64 s[0:1], s[0:1], s[8:9]
	s_or_b64 exec, exec, s[6:7]
	v_mov_b32_e32 v4, v27
	s_and_saveexec_b64 s[6:7], s[0:1]
	s_cbranch_execnz .LBB261_519
	s_branch .LBB261_520
.LBB261_720:                            ;   in Loop: Header=BB261_431 Depth=1
	v_cmp_eq_u16_e64 s[0:1], s24, v4
	s_mov_b64 s[6:7], -1
                                        ; implicit-def: $sgpr30
	s_and_saveexec_b64 s[22:23], s[0:1]
; %bb.721:                              ;   in Loop: Header=BB261_431 Depth=1
	s_mov_b32 s30, 0x7fc02000
	s_xor_b64 s[6:7], exec, -1
; %bb.722:                              ;   in Loop: Header=BB261_431 Depth=1
	s_or_b64 exec, exec, s[22:23]
	s_and_b64 s[6:7], s[6:7], exec
	s_or_saveexec_b64 s[8:9], s[8:9]
	v_mov_b32_e32 v18, s30
	s_xor_b64 exec, exec, s[8:9]
	s_cbranch_execz .LBB261_522
.LBB261_723:                            ;   in Loop: Header=BB261_431 Depth=1
	v_cmp_ne_u16_e64 s[0:1], 0, v4
	s_andn2_b64 s[6:7], s[6:7], exec
	s_and_b64 s[0:1], s[0:1], exec
	v_mov_b32_e32 v18, 0
	s_or_b64 s[6:7], s[6:7], s[0:1]
	s_or_b64 exec, exec, s[8:9]
	s_and_saveexec_b64 s[8:9], s[6:7]
	s_cbranch_execnz .LBB261_523
	s_branch .LBB261_524
.LBB261_724:                            ;   in Loop: Header=BB261_431 Depth=1
	v_cmp_eq_u16_sdwa s[30:31], v4, s24 src0_sel:BYTE_0 src1_sel:DWORD
	s_mov_b64 s[0:1], -1
                                        ; implicit-def: $sgpr22
	s_and_saveexec_b64 s[8:9], s[30:31]
; %bb.725:                              ;   in Loop: Header=BB261_431 Depth=1
	s_mov_b32 s22, 0x7fc02000
	s_xor_b64 s[0:1], exec, -1
; %bb.726:                              ;   in Loop: Header=BB261_431 Depth=1
	s_or_b64 exec, exec, s[8:9]
	s_and_b64 s[0:1], s[0:1], exec
	s_or_saveexec_b64 s[6:7], s[6:7]
	v_mov_b32_e32 v22, s22
	s_xor_b64 exec, exec, s[6:7]
	s_cbranch_execz .LBB261_526
.LBB261_727:                            ;   in Loop: Header=BB261_431 Depth=1
	v_cmp_ne_u16_sdwa s[8:9], v4, v5 src0_sel:BYTE_0 src1_sel:DWORD
	s_andn2_b64 s[0:1], s[0:1], exec
	s_and_b64 s[8:9], s[8:9], exec
	v_mov_b32_e32 v22, 0
	s_or_b64 s[0:1], s[0:1], s[8:9]
	s_or_b64 exec, exec, s[6:7]
	s_and_saveexec_b64 s[6:7], s[0:1]
	s_cbranch_execnz .LBB261_527
	s_branch .LBB261_528
.LBB261_728:                            ;   in Loop: Header=BB261_431 Depth=1
	v_cmp_eq_u16_e64 s[0:1], s24, v4
	s_mov_b64 s[6:7], -1
                                        ; implicit-def: $sgpr30
	s_and_saveexec_b64 s[22:23], s[0:1]
; %bb.729:                              ;   in Loop: Header=BB261_431 Depth=1
	s_mov_b32 s30, 0x7fc02000
	s_xor_b64 s[6:7], exec, -1
; %bb.730:                              ;   in Loop: Header=BB261_431 Depth=1
	s_or_b64 exec, exec, s[22:23]
	s_and_b64 s[6:7], s[6:7], exec
	s_or_saveexec_b64 s[8:9], s[8:9]
	v_mov_b32_e32 v25, s30
	s_xor_b64 exec, exec, s[8:9]
	s_cbranch_execz .LBB261_530
.LBB261_731:                            ;   in Loop: Header=BB261_431 Depth=1
	v_cmp_ne_u16_e64 s[0:1], 0, v4
	s_andn2_b64 s[6:7], s[6:7], exec
	s_and_b64 s[0:1], s[0:1], exec
	v_mov_b32_e32 v25, 0
	s_or_b64 s[6:7], s[6:7], s[0:1]
	s_or_b64 exec, exec, s[8:9]
	s_and_saveexec_b64 s[8:9], s[6:7]
	s_cbranch_execnz .LBB261_531
	s_branch .LBB261_532
.LBB261_732:                            ;   in Loop: Header=BB261_431 Depth=1
	v_cmp_eq_u16_sdwa s[30:31], v26, s24 src0_sel:BYTE_0 src1_sel:DWORD
	s_mov_b64 s[0:1], -1
                                        ; implicit-def: $sgpr22
	s_and_saveexec_b64 s[8:9], s[30:31]
; %bb.733:                              ;   in Loop: Header=BB261_431 Depth=1
	s_mov_b32 s22, 0x7fc02000
	s_xor_b64 s[0:1], exec, -1
; %bb.734:                              ;   in Loop: Header=BB261_431 Depth=1
	s_or_b64 exec, exec, s[8:9]
	s_and_b64 s[0:1], s[0:1], exec
	s_or_saveexec_b64 s[6:7], s[6:7]
	v_mov_b32_e32 v28, s22
	s_xor_b64 exec, exec, s[6:7]
	s_cbranch_execz .LBB261_536
.LBB261_735:                            ;   in Loop: Header=BB261_431 Depth=1
	v_cmp_ne_u16_sdwa s[8:9], v26, v5 src0_sel:BYTE_0 src1_sel:DWORD
	s_andn2_b64 s[0:1], s[0:1], exec
	s_and_b64 s[8:9], s[8:9], exec
	v_mov_b32_e32 v28, 0
	s_or_b64 s[0:1], s[0:1], s[8:9]
	s_or_b64 exec, exec, s[6:7]
	s_and_saveexec_b64 s[6:7], s[0:1]
	s_cbranch_execnz .LBB261_537
	s_branch .LBB261_538
.LBB261_736:                            ;   in Loop: Header=BB261_431 Depth=1
	v_cmp_eq_u16_e64 s[0:1], s24, v4
	s_mov_b64 s[6:7], -1
                                        ; implicit-def: $sgpr30
	s_and_saveexec_b64 s[22:23], s[0:1]
; %bb.737:                              ;   in Loop: Header=BB261_431 Depth=1
	s_mov_b32 s30, 0x7fc02000
	s_xor_b64 s[6:7], exec, -1
; %bb.738:                              ;   in Loop: Header=BB261_431 Depth=1
	s_or_b64 exec, exec, s[22:23]
	s_and_b64 s[6:7], s[6:7], exec
	s_or_saveexec_b64 s[8:9], s[8:9]
	v_mov_b32_e32 v32, s30
	s_xor_b64 exec, exec, s[8:9]
	s_cbranch_execz .LBB261_540
.LBB261_739:                            ;   in Loop: Header=BB261_431 Depth=1
	v_cmp_ne_u16_e64 s[0:1], 0, v4
	s_andn2_b64 s[6:7], s[6:7], exec
	s_and_b64 s[0:1], s[0:1], exec
	v_mov_b32_e32 v32, 0
	s_or_b64 s[6:7], s[6:7], s[0:1]
	s_or_b64 exec, exec, s[8:9]
	s_and_saveexec_b64 s[8:9], s[6:7]
	s_cbranch_execnz .LBB261_541
	s_branch .LBB261_542
.LBB261_740:                            ;   in Loop: Header=BB261_431 Depth=1
	v_cmp_eq_u16_sdwa s[30:31], v4, s24 src0_sel:BYTE_0 src1_sel:DWORD
	s_mov_b64 s[0:1], -1
                                        ; implicit-def: $sgpr22
	s_and_saveexec_b64 s[8:9], s[30:31]
; %bb.741:                              ;   in Loop: Header=BB261_431 Depth=1
	s_mov_b32 s22, 0x7fc02000
	s_xor_b64 s[0:1], exec, -1
; %bb.742:                              ;   in Loop: Header=BB261_431 Depth=1
	s_or_b64 exec, exec, s[8:9]
	s_and_b64 s[0:1], s[0:1], exec
	s_or_saveexec_b64 s[6:7], s[6:7]
	v_mov_b32_e32 v29, s22
	s_xor_b64 exec, exec, s[6:7]
	s_cbranch_execz .LBB261_544
.LBB261_743:                            ;   in Loop: Header=BB261_431 Depth=1
	v_cmp_ne_u16_sdwa s[8:9], v4, v5 src0_sel:BYTE_0 src1_sel:DWORD
	s_andn2_b64 s[0:1], s[0:1], exec
	s_and_b64 s[8:9], s[8:9], exec
	v_mov_b32_e32 v29, 0
	s_or_b64 s[0:1], s[0:1], s[8:9]
	s_or_b64 exec, exec, s[6:7]
	s_and_saveexec_b64 s[6:7], s[0:1]
	s_cbranch_execnz .LBB261_545
	s_branch .LBB261_546
.LBB261_744:                            ;   in Loop: Header=BB261_431 Depth=1
	v_cmp_eq_u16_e64 s[0:1], s24, v4
	s_mov_b64 s[6:7], -1
                                        ; implicit-def: $sgpr30
	s_and_saveexec_b64 s[22:23], s[0:1]
; %bb.745:                              ;   in Loop: Header=BB261_431 Depth=1
	s_mov_b32 s30, 0x7fc02000
	s_xor_b64 s[6:7], exec, -1
; %bb.746:                              ;   in Loop: Header=BB261_431 Depth=1
	s_or_b64 exec, exec, s[22:23]
	s_and_b64 s[6:7], s[6:7], exec
	s_or_saveexec_b64 s[8:9], s[8:9]
	v_mov_b32_e32 v33, s30
	s_xor_b64 exec, exec, s[8:9]
	s_cbranch_execz .LBB261_548
.LBB261_747:                            ;   in Loop: Header=BB261_431 Depth=1
	v_cmp_ne_u16_e64 s[0:1], 0, v4
	s_andn2_b64 s[6:7], s[6:7], exec
	s_and_b64 s[0:1], s[0:1], exec
	v_mov_b32_e32 v33, 0
	s_or_b64 s[6:7], s[6:7], s[0:1]
	s_or_b64 exec, exec, s[8:9]
	s_and_saveexec_b64 s[8:9], s[6:7]
	s_cbranch_execnz .LBB261_549
	s_branch .LBB261_550
.LBB261_748:                            ;   in Loop: Header=BB261_431 Depth=1
	v_cmp_eq_u16_sdwa s[30:31], v27, s24 src0_sel:BYTE_0 src1_sel:DWORD
	s_mov_b64 s[0:1], -1
                                        ; implicit-def: $sgpr22
	s_and_saveexec_b64 s[8:9], s[30:31]
; %bb.749:                              ;   in Loop: Header=BB261_431 Depth=1
	s_mov_b32 s22, 0x7fc02000
	s_xor_b64 s[0:1], exec, -1
; %bb.750:                              ;   in Loop: Header=BB261_431 Depth=1
	s_or_b64 exec, exec, s[8:9]
	s_and_b64 s[0:1], s[0:1], exec
	s_or_saveexec_b64 s[6:7], s[6:7]
	v_mov_b32_e32 v2, s22
	s_xor_b64 exec, exec, s[6:7]
	s_cbranch_execz .LBB261_552
.LBB261_751:                            ;   in Loop: Header=BB261_431 Depth=1
	v_cmp_ne_u16_sdwa s[8:9], v27, v5 src0_sel:BYTE_0 src1_sel:DWORD
	s_andn2_b64 s[0:1], s[0:1], exec
	s_and_b64 s[8:9], s[8:9], exec
	v_mov_b32_e32 v2, 0
	s_or_b64 s[0:1], s[0:1], s[8:9]
	s_or_b64 exec, exec, s[6:7]
	v_mov_b32_e32 v4, v27
	s_and_saveexec_b64 s[6:7], s[0:1]
	s_cbranch_execnz .LBB261_553
	s_branch .LBB261_554
.LBB261_752:                            ;   in Loop: Header=BB261_431 Depth=1
	v_cmp_eq_u16_e64 s[0:1], s24, v4
	s_mov_b64 s[6:7], -1
                                        ; implicit-def: $sgpr30
	s_and_saveexec_b64 s[22:23], s[0:1]
; %bb.753:                              ;   in Loop: Header=BB261_431 Depth=1
	s_mov_b32 s30, 0x7fc02000
	s_xor_b64 s[6:7], exec, -1
; %bb.754:                              ;   in Loop: Header=BB261_431 Depth=1
	s_or_b64 exec, exec, s[22:23]
	s_and_b64 s[6:7], s[6:7], exec
	s_or_saveexec_b64 s[8:9], s[8:9]
	v_mov_b32_e32 v18, s30
	s_xor_b64 exec, exec, s[8:9]
	s_cbranch_execz .LBB261_556
.LBB261_755:                            ;   in Loop: Header=BB261_431 Depth=1
	v_cmp_ne_u16_e64 s[0:1], 0, v4
	s_andn2_b64 s[6:7], s[6:7], exec
	s_and_b64 s[0:1], s[0:1], exec
	v_mov_b32_e32 v18, 0
	s_or_b64 s[6:7], s[6:7], s[0:1]
	s_or_b64 exec, exec, s[8:9]
	s_and_saveexec_b64 s[8:9], s[6:7]
	s_cbranch_execnz .LBB261_557
	s_branch .LBB261_558
.LBB261_756:                            ;   in Loop: Header=BB261_431 Depth=1
	v_cmp_eq_u16_sdwa s[30:31], v4, s24 src0_sel:BYTE_0 src1_sel:DWORD
	s_mov_b64 s[0:1], -1
                                        ; implicit-def: $sgpr22
	s_and_saveexec_b64 s[8:9], s[30:31]
; %bb.757:                              ;   in Loop: Header=BB261_431 Depth=1
	s_mov_b32 s22, 0x7fc02000
	s_xor_b64 s[0:1], exec, -1
; %bb.758:                              ;   in Loop: Header=BB261_431 Depth=1
	s_or_b64 exec, exec, s[8:9]
	s_and_b64 s[0:1], s[0:1], exec
	s_or_saveexec_b64 s[6:7], s[6:7]
	v_mov_b32_e32 v22, s22
	s_xor_b64 exec, exec, s[6:7]
	s_cbranch_execz .LBB261_560
.LBB261_759:                            ;   in Loop: Header=BB261_431 Depth=1
	v_cmp_ne_u16_sdwa s[8:9], v4, v5 src0_sel:BYTE_0 src1_sel:DWORD
	s_andn2_b64 s[0:1], s[0:1], exec
	s_and_b64 s[8:9], s[8:9], exec
	v_mov_b32_e32 v22, 0
	s_or_b64 s[0:1], s[0:1], s[8:9]
	s_or_b64 exec, exec, s[6:7]
	s_and_saveexec_b64 s[6:7], s[0:1]
	s_cbranch_execnz .LBB261_561
	s_branch .LBB261_562
.LBB261_760:                            ;   in Loop: Header=BB261_431 Depth=1
	v_cmp_eq_u16_e64 s[0:1], s24, v4
	s_mov_b64 s[6:7], -1
                                        ; implicit-def: $sgpr30
	s_and_saveexec_b64 s[22:23], s[0:1]
; %bb.761:                              ;   in Loop: Header=BB261_431 Depth=1
	s_mov_b32 s30, 0x7fc02000
	s_xor_b64 s[6:7], exec, -1
; %bb.762:                              ;   in Loop: Header=BB261_431 Depth=1
	s_or_b64 exec, exec, s[22:23]
	s_and_b64 s[6:7], s[6:7], exec
	s_or_saveexec_b64 s[8:9], s[8:9]
	v_mov_b32_e32 v25, s30
	s_xor_b64 exec, exec, s[8:9]
	s_cbranch_execz .LBB261_564
.LBB261_763:                            ;   in Loop: Header=BB261_431 Depth=1
	v_cmp_ne_u16_e64 s[0:1], 0, v4
	s_andn2_b64 s[6:7], s[6:7], exec
	s_and_b64 s[0:1], s[0:1], exec
	v_mov_b32_e32 v25, 0
	s_or_b64 s[6:7], s[6:7], s[0:1]
	s_or_b64 exec, exec, s[8:9]
	s_and_saveexec_b64 s[8:9], s[6:7]
	s_cbranch_execnz .LBB261_565
	s_branch .LBB261_566
.LBB261_764:                            ;   in Loop: Header=BB261_431 Depth=1
	v_cmp_eq_u16_sdwa s[30:31], v26, s24 src0_sel:BYTE_0 src1_sel:DWORD
	s_mov_b64 s[0:1], -1
                                        ; implicit-def: $sgpr22
	s_and_saveexec_b64 s[8:9], s[30:31]
; %bb.765:                              ;   in Loop: Header=BB261_431 Depth=1
	s_mov_b32 s22, 0x7fc02000
	s_xor_b64 s[0:1], exec, -1
; %bb.766:                              ;   in Loop: Header=BB261_431 Depth=1
	s_or_b64 exec, exec, s[8:9]
	s_and_b64 s[0:1], s[0:1], exec
	s_or_saveexec_b64 s[6:7], s[6:7]
	v_mov_b32_e32 v28, s22
	s_xor_b64 exec, exec, s[6:7]
	s_cbranch_execz .LBB261_570
.LBB261_767:                            ;   in Loop: Header=BB261_431 Depth=1
	v_cmp_ne_u16_sdwa s[8:9], v26, v5 src0_sel:BYTE_0 src1_sel:DWORD
	s_andn2_b64 s[0:1], s[0:1], exec
	s_and_b64 s[8:9], s[8:9], exec
	v_mov_b32_e32 v28, 0
	s_or_b64 s[0:1], s[0:1], s[8:9]
	s_or_b64 exec, exec, s[6:7]
	s_and_saveexec_b64 s[6:7], s[0:1]
	s_cbranch_execnz .LBB261_571
	s_branch .LBB261_572
.LBB261_768:                            ;   in Loop: Header=BB261_431 Depth=1
	v_cmp_eq_u16_e64 s[0:1], s24, v4
	s_mov_b64 s[6:7], -1
                                        ; implicit-def: $sgpr30
	s_and_saveexec_b64 s[22:23], s[0:1]
; %bb.769:                              ;   in Loop: Header=BB261_431 Depth=1
	s_mov_b32 s30, 0x7fc02000
	s_xor_b64 s[6:7], exec, -1
; %bb.770:                              ;   in Loop: Header=BB261_431 Depth=1
	s_or_b64 exec, exec, s[22:23]
	s_and_b64 s[6:7], s[6:7], exec
	s_or_saveexec_b64 s[8:9], s[8:9]
	v_mov_b32_e32 v32, s30
	s_xor_b64 exec, exec, s[8:9]
	s_cbranch_execz .LBB261_574
.LBB261_771:                            ;   in Loop: Header=BB261_431 Depth=1
	v_cmp_ne_u16_e64 s[0:1], 0, v4
	s_andn2_b64 s[6:7], s[6:7], exec
	s_and_b64 s[0:1], s[0:1], exec
	v_mov_b32_e32 v32, 0
	s_or_b64 s[6:7], s[6:7], s[0:1]
	s_or_b64 exec, exec, s[8:9]
	s_and_saveexec_b64 s[8:9], s[6:7]
	s_cbranch_execnz .LBB261_575
	s_branch .LBB261_576
.LBB261_772:                            ;   in Loop: Header=BB261_431 Depth=1
	v_cmp_eq_u16_sdwa s[30:31], v4, s24 src0_sel:BYTE_0 src1_sel:DWORD
	s_mov_b64 s[0:1], -1
                                        ; implicit-def: $sgpr22
	s_and_saveexec_b64 s[8:9], s[30:31]
; %bb.773:                              ;   in Loop: Header=BB261_431 Depth=1
	s_mov_b32 s22, 0x7fc02000
	s_xor_b64 s[0:1], exec, -1
; %bb.774:                              ;   in Loop: Header=BB261_431 Depth=1
	s_or_b64 exec, exec, s[8:9]
	s_and_b64 s[0:1], s[0:1], exec
	s_or_saveexec_b64 s[6:7], s[6:7]
	v_mov_b32_e32 v29, s22
	s_xor_b64 exec, exec, s[6:7]
	s_cbranch_execz .LBB261_578
.LBB261_775:                            ;   in Loop: Header=BB261_431 Depth=1
	v_cmp_ne_u16_sdwa s[8:9], v4, v5 src0_sel:BYTE_0 src1_sel:DWORD
	s_andn2_b64 s[0:1], s[0:1], exec
	s_and_b64 s[8:9], s[8:9], exec
	v_mov_b32_e32 v29, 0
	s_or_b64 s[0:1], s[0:1], s[8:9]
	s_or_b64 exec, exec, s[6:7]
	s_and_saveexec_b64 s[6:7], s[0:1]
	s_cbranch_execnz .LBB261_579
	s_branch .LBB261_580
.LBB261_776:                            ;   in Loop: Header=BB261_431 Depth=1
	v_cmp_eq_u16_e64 s[0:1], s24, v4
	s_mov_b64 s[6:7], -1
                                        ; implicit-def: $sgpr30
	s_and_saveexec_b64 s[22:23], s[0:1]
; %bb.777:                              ;   in Loop: Header=BB261_431 Depth=1
	s_mov_b32 s30, 0x7fc02000
	s_xor_b64 s[6:7], exec, -1
; %bb.778:                              ;   in Loop: Header=BB261_431 Depth=1
	s_or_b64 exec, exec, s[22:23]
	s_and_b64 s[6:7], s[6:7], exec
	s_or_saveexec_b64 s[8:9], s[8:9]
	v_mov_b32_e32 v33, s30
	s_xor_b64 exec, exec, s[8:9]
	s_cbranch_execz .LBB261_582
.LBB261_779:                            ;   in Loop: Header=BB261_431 Depth=1
	v_cmp_ne_u16_e64 s[0:1], 0, v4
	s_andn2_b64 s[6:7], s[6:7], exec
	s_and_b64 s[0:1], s[0:1], exec
	v_mov_b32_e32 v33, 0
	s_or_b64 s[6:7], s[6:7], s[0:1]
	s_or_b64 exec, exec, s[8:9]
	s_and_saveexec_b64 s[8:9], s[6:7]
	s_cbranch_execnz .LBB261_583
	s_branch .LBB261_584
.LBB261_780:                            ;   in Loop: Header=BB261_431 Depth=1
	v_cmp_eq_u16_sdwa s[30:31], v27, s24 src0_sel:BYTE_0 src1_sel:DWORD
	s_mov_b64 s[0:1], -1
                                        ; implicit-def: $sgpr22
	s_and_saveexec_b64 s[8:9], s[30:31]
; %bb.781:                              ;   in Loop: Header=BB261_431 Depth=1
	s_mov_b32 s22, 0x7fc02000
	s_xor_b64 s[0:1], exec, -1
; %bb.782:                              ;   in Loop: Header=BB261_431 Depth=1
	s_or_b64 exec, exec, s[8:9]
	s_and_b64 s[0:1], s[0:1], exec
	s_or_saveexec_b64 s[6:7], s[6:7]
	v_mov_b32_e32 v2, s22
	s_xor_b64 exec, exec, s[6:7]
	s_cbranch_execz .LBB261_586
.LBB261_783:                            ;   in Loop: Header=BB261_431 Depth=1
	v_cmp_ne_u16_sdwa s[8:9], v27, v5 src0_sel:BYTE_0 src1_sel:DWORD
	s_andn2_b64 s[0:1], s[0:1], exec
	s_and_b64 s[8:9], s[8:9], exec
	v_mov_b32_e32 v2, 0
	s_or_b64 s[0:1], s[0:1], s[8:9]
	s_or_b64 exec, exec, s[6:7]
	v_mov_b32_e32 v4, v27
	s_and_saveexec_b64 s[6:7], s[0:1]
	s_cbranch_execnz .LBB261_587
	s_branch .LBB261_588
.LBB261_784:                            ;   in Loop: Header=BB261_431 Depth=1
	v_cmp_eq_u16_e64 s[0:1], s24, v4
	s_mov_b64 s[6:7], -1
                                        ; implicit-def: $sgpr30
	s_and_saveexec_b64 s[22:23], s[0:1]
; %bb.785:                              ;   in Loop: Header=BB261_431 Depth=1
	s_mov_b32 s30, 0x7fc02000
	s_xor_b64 s[6:7], exec, -1
; %bb.786:                              ;   in Loop: Header=BB261_431 Depth=1
	s_or_b64 exec, exec, s[22:23]
	s_and_b64 s[6:7], s[6:7], exec
	s_or_saveexec_b64 s[8:9], s[8:9]
	v_mov_b32_e32 v18, s30
	s_xor_b64 exec, exec, s[8:9]
	s_cbranch_execz .LBB261_590
.LBB261_787:                            ;   in Loop: Header=BB261_431 Depth=1
	v_cmp_ne_u16_e64 s[0:1], 0, v4
	s_andn2_b64 s[6:7], s[6:7], exec
	s_and_b64 s[0:1], s[0:1], exec
	v_mov_b32_e32 v18, 0
	s_or_b64 s[6:7], s[6:7], s[0:1]
	s_or_b64 exec, exec, s[8:9]
	s_and_saveexec_b64 s[8:9], s[6:7]
	s_cbranch_execnz .LBB261_591
	s_branch .LBB261_592
.LBB261_788:                            ;   in Loop: Header=BB261_431 Depth=1
	v_cmp_eq_u16_sdwa s[30:31], v4, s24 src0_sel:BYTE_0 src1_sel:DWORD
	s_mov_b64 s[0:1], -1
                                        ; implicit-def: $sgpr22
	s_and_saveexec_b64 s[8:9], s[30:31]
; %bb.789:                              ;   in Loop: Header=BB261_431 Depth=1
	s_mov_b32 s22, 0x7fc02000
	s_xor_b64 s[0:1], exec, -1
; %bb.790:                              ;   in Loop: Header=BB261_431 Depth=1
	s_or_b64 exec, exec, s[8:9]
	s_and_b64 s[0:1], s[0:1], exec
	s_or_saveexec_b64 s[6:7], s[6:7]
	v_mov_b32_e32 v22, s22
	s_xor_b64 exec, exec, s[6:7]
	s_cbranch_execz .LBB261_594
.LBB261_791:                            ;   in Loop: Header=BB261_431 Depth=1
	v_cmp_ne_u16_sdwa s[8:9], v4, v5 src0_sel:BYTE_0 src1_sel:DWORD
	s_andn2_b64 s[0:1], s[0:1], exec
	s_and_b64 s[8:9], s[8:9], exec
	v_mov_b32_e32 v22, 0
	s_or_b64 s[0:1], s[0:1], s[8:9]
	s_or_b64 exec, exec, s[6:7]
	s_and_saveexec_b64 s[6:7], s[0:1]
	s_cbranch_execnz .LBB261_595
	s_branch .LBB261_596
.LBB261_792:                            ;   in Loop: Header=BB261_431 Depth=1
	v_cmp_eq_u16_e64 s[0:1], s24, v4
	s_mov_b64 s[6:7], -1
                                        ; implicit-def: $sgpr30
	s_and_saveexec_b64 s[22:23], s[0:1]
; %bb.793:                              ;   in Loop: Header=BB261_431 Depth=1
	s_mov_b32 s30, 0x7fc02000
	s_xor_b64 s[6:7], exec, -1
; %bb.794:                              ;   in Loop: Header=BB261_431 Depth=1
	s_or_b64 exec, exec, s[22:23]
	s_and_b64 s[6:7], s[6:7], exec
	s_or_saveexec_b64 s[8:9], s[8:9]
	v_mov_b32_e32 v25, s30
	s_xor_b64 exec, exec, s[8:9]
	s_cbranch_execz .LBB261_598
.LBB261_795:                            ;   in Loop: Header=BB261_431 Depth=1
	v_cmp_ne_u16_e64 s[0:1], 0, v4
	s_andn2_b64 s[6:7], s[6:7], exec
	s_and_b64 s[0:1], s[0:1], exec
	v_mov_b32_e32 v25, 0
	s_or_b64 s[6:7], s[6:7], s[0:1]
	s_or_b64 exec, exec, s[8:9]
	s_and_saveexec_b64 s[8:9], s[6:7]
	s_cbranch_execnz .LBB261_599
	s_branch .LBB261_600
.LBB261_796:                            ;   in Loop: Header=BB261_431 Depth=1
	v_cmp_eq_u16_sdwa s[30:31], v24, s24 src0_sel:BYTE_0 src1_sel:DWORD
	s_mov_b64 s[0:1], -1
                                        ; implicit-def: $sgpr22
	s_and_saveexec_b64 s[8:9], s[30:31]
; %bb.797:                              ;   in Loop: Header=BB261_431 Depth=1
	s_mov_b32 s22, 0x7fc02000
	s_xor_b64 s[0:1], exec, -1
; %bb.798:                              ;   in Loop: Header=BB261_431 Depth=1
	s_or_b64 exec, exec, s[8:9]
	s_and_b64 s[0:1], s[0:1], exec
	s_or_saveexec_b64 s[6:7], s[6:7]
	v_mov_b32_e32 v26, s22
	s_xor_b64 exec, exec, s[6:7]
	s_cbranch_execz .LBB261_604
.LBB261_799:                            ;   in Loop: Header=BB261_431 Depth=1
	v_cmp_ne_u16_sdwa s[8:9], v24, v5 src0_sel:BYTE_0 src1_sel:DWORD
	s_andn2_b64 s[0:1], s[0:1], exec
	s_and_b64 s[8:9], s[8:9], exec
	v_mov_b32_e32 v26, 0
	s_or_b64 s[0:1], s[0:1], s[8:9]
	s_or_b64 exec, exec, s[6:7]
	s_and_saveexec_b64 s[6:7], s[0:1]
	s_cbranch_execnz .LBB261_605
	s_branch .LBB261_606
.LBB261_800:                            ;   in Loop: Header=BB261_431 Depth=1
	v_cmp_eq_u16_e64 s[0:1], s24, v4
	s_mov_b64 s[6:7], -1
                                        ; implicit-def: $sgpr30
	s_and_saveexec_b64 s[22:23], s[0:1]
; %bb.801:                              ;   in Loop: Header=BB261_431 Depth=1
	s_mov_b32 s30, 0x7fc02000
	s_xor_b64 s[6:7], exec, -1
; %bb.802:                              ;   in Loop: Header=BB261_431 Depth=1
	s_or_b64 exec, exec, s[22:23]
	s_and_b64 s[6:7], s[6:7], exec
	s_or_saveexec_b64 s[8:9], s[8:9]
	v_mov_b32_e32 v28, s30
	s_xor_b64 exec, exec, s[8:9]
	s_cbranch_execz .LBB261_608
.LBB261_803:                            ;   in Loop: Header=BB261_431 Depth=1
	v_cmp_ne_u16_e64 s[0:1], 0, v4
	s_andn2_b64 s[6:7], s[6:7], exec
	s_and_b64 s[0:1], s[0:1], exec
	v_mov_b32_e32 v28, 0
	s_or_b64 s[6:7], s[6:7], s[0:1]
	s_or_b64 exec, exec, s[8:9]
	s_and_saveexec_b64 s[8:9], s[6:7]
	s_cbranch_execnz .LBB261_609
	s_branch .LBB261_610
.LBB261_804:                            ;   in Loop: Header=BB261_431 Depth=1
	v_cmp_eq_u16_sdwa s[30:31], v4, s24 src0_sel:BYTE_0 src1_sel:DWORD
	s_mov_b64 s[0:1], -1
                                        ; implicit-def: $sgpr22
	s_and_saveexec_b64 s[8:9], s[30:31]
; %bb.805:                              ;   in Loop: Header=BB261_431 Depth=1
	s_mov_b32 s22, 0x7fc02000
	s_xor_b64 s[0:1], exec, -1
; %bb.806:                              ;   in Loop: Header=BB261_431 Depth=1
	s_or_b64 exec, exec, s[8:9]
	s_and_b64 s[0:1], s[0:1], exec
	s_or_saveexec_b64 s[6:7], s[6:7]
	v_mov_b32_e32 v27, s22
	s_xor_b64 exec, exec, s[6:7]
	s_cbranch_execz .LBB261_612
.LBB261_807:                            ;   in Loop: Header=BB261_431 Depth=1
	v_cmp_ne_u16_sdwa s[8:9], v4, v5 src0_sel:BYTE_0 src1_sel:DWORD
	s_andn2_b64 s[0:1], s[0:1], exec
	s_and_b64 s[8:9], s[8:9], exec
	v_mov_b32_e32 v27, 0
	s_or_b64 s[0:1], s[0:1], s[8:9]
	s_or_b64 exec, exec, s[6:7]
	s_and_saveexec_b64 s[6:7], s[0:1]
	s_cbranch_execnz .LBB261_613
	s_branch .LBB261_614
.LBB261_808:                            ;   in Loop: Header=BB261_431 Depth=1
	v_cmp_eq_u16_e64 s[0:1], s24, v4
	s_mov_b64 s[6:7], -1
                                        ; implicit-def: $sgpr30
	s_and_saveexec_b64 s[22:23], s[0:1]
; %bb.809:                              ;   in Loop: Header=BB261_431 Depth=1
	s_mov_b32 s30, 0x7fc02000
	s_xor_b64 s[6:7], exec, -1
; %bb.810:                              ;   in Loop: Header=BB261_431 Depth=1
	s_or_b64 exec, exec, s[22:23]
	s_and_b64 s[6:7], s[6:7], exec
	s_or_saveexec_b64 s[8:9], s[8:9]
	v_mov_b32_e32 v29, s30
	s_xor_b64 exec, exec, s[8:9]
	s_cbranch_execz .LBB261_616
.LBB261_811:                            ;   in Loop: Header=BB261_431 Depth=1
	v_cmp_ne_u16_e64 s[0:1], 0, v4
	s_andn2_b64 s[6:7], s[6:7], exec
	s_and_b64 s[0:1], s[0:1], exec
	v_mov_b32_e32 v29, 0
	s_or_b64 s[6:7], s[6:7], s[0:1]
	s_or_b64 exec, exec, s[8:9]
	s_and_saveexec_b64 s[8:9], s[6:7]
	s_cbranch_execnz .LBB261_617
	s_branch .LBB261_618
.LBB261_812:                            ;   in Loop: Header=BB261_431 Depth=1
	v_cmp_eq_u16_sdwa s[30:31], v25, s24 src0_sel:BYTE_0 src1_sel:DWORD
	s_mov_b64 s[0:1], -1
                                        ; implicit-def: $sgpr22
	s_and_saveexec_b64 s[8:9], s[30:31]
; %bb.813:                              ;   in Loop: Header=BB261_431 Depth=1
	s_mov_b32 s22, 0x7fc02000
	s_xor_b64 s[0:1], exec, -1
; %bb.814:                              ;   in Loop: Header=BB261_431 Depth=1
	s_or_b64 exec, exec, s[8:9]
	s_and_b64 s[0:1], s[0:1], exec
	s_or_saveexec_b64 s[6:7], s[6:7]
	v_mov_b32_e32 v2, s22
	s_xor_b64 exec, exec, s[6:7]
	s_cbranch_execz .LBB261_620
.LBB261_815:                            ;   in Loop: Header=BB261_431 Depth=1
	v_cmp_ne_u16_sdwa s[8:9], v25, v5 src0_sel:BYTE_0 src1_sel:DWORD
	s_andn2_b64 s[0:1], s[0:1], exec
	s_and_b64 s[8:9], s[8:9], exec
	v_mov_b32_e32 v2, 0
	s_or_b64 s[0:1], s[0:1], s[8:9]
	s_or_b64 exec, exec, s[6:7]
	v_mov_b32_e32 v4, v25
	s_and_saveexec_b64 s[6:7], s[0:1]
	s_cbranch_execnz .LBB261_621
	s_branch .LBB261_622
.LBB261_816:                            ;   in Loop: Header=BB261_431 Depth=1
	v_cmp_eq_u16_e64 s[0:1], s24, v4
	s_mov_b64 s[6:7], -1
                                        ; implicit-def: $sgpr30
	s_and_saveexec_b64 s[22:23], s[0:1]
; %bb.817:                              ;   in Loop: Header=BB261_431 Depth=1
	s_mov_b32 s30, 0x7fc02000
	s_xor_b64 s[6:7], exec, -1
; %bb.818:                              ;   in Loop: Header=BB261_431 Depth=1
	s_or_b64 exec, exec, s[22:23]
	s_and_b64 s[6:7], s[6:7], exec
	s_or_saveexec_b64 s[8:9], s[8:9]
	v_mov_b32_e32 v21, s30
	s_xor_b64 exec, exec, s[8:9]
	s_cbranch_execz .LBB261_624
.LBB261_819:                            ;   in Loop: Header=BB261_431 Depth=1
	v_cmp_ne_u16_e64 s[0:1], 0, v4
	s_andn2_b64 s[6:7], s[6:7], exec
	s_and_b64 s[0:1], s[0:1], exec
	v_mov_b32_e32 v21, 0
	s_or_b64 s[6:7], s[6:7], s[0:1]
	s_or_b64 exec, exec, s[8:9]
	s_and_saveexec_b64 s[8:9], s[6:7]
	s_cbranch_execnz .LBB261_625
	s_branch .LBB261_626
.LBB261_820:                            ;   in Loop: Header=BB261_431 Depth=1
	v_cmp_eq_u16_sdwa s[30:31], v4, s24 src0_sel:BYTE_0 src1_sel:DWORD
	s_mov_b64 s[0:1], -1
                                        ; implicit-def: $sgpr22
	s_and_saveexec_b64 s[8:9], s[30:31]
; %bb.821:                              ;   in Loop: Header=BB261_431 Depth=1
	s_mov_b32 s22, 0x7fc02000
	s_xor_b64 s[0:1], exec, -1
; %bb.822:                              ;   in Loop: Header=BB261_431 Depth=1
	s_or_b64 exec, exec, s[8:9]
	s_and_b64 s[0:1], s[0:1], exec
	s_or_saveexec_b64 s[6:7], s[6:7]
	v_mov_b32_e32 v22, s22
	s_xor_b64 exec, exec, s[6:7]
	s_cbranch_execz .LBB261_628
.LBB261_823:                            ;   in Loop: Header=BB261_431 Depth=1
	v_cmp_ne_u16_sdwa s[8:9], v4, v5 src0_sel:BYTE_0 src1_sel:DWORD
	s_andn2_b64 s[0:1], s[0:1], exec
	s_and_b64 s[8:9], s[8:9], exec
	v_mov_b32_e32 v22, 0
	s_or_b64 s[0:1], s[0:1], s[8:9]
	s_or_b64 exec, exec, s[6:7]
	s_and_saveexec_b64 s[6:7], s[0:1]
	s_cbranch_execnz .LBB261_629
	s_branch .LBB261_630
.LBB261_824:                            ;   in Loop: Header=BB261_431 Depth=1
	v_cmp_eq_u16_e64 s[0:1], s24, v4
	s_mov_b64 s[6:7], -1
                                        ; implicit-def: $sgpr30
	s_and_saveexec_b64 s[22:23], s[0:1]
; %bb.825:                              ;   in Loop: Header=BB261_431 Depth=1
	s_mov_b32 s30, 0x7fc02000
	s_xor_b64 s[6:7], exec, -1
; %bb.826:                              ;   in Loop: Header=BB261_431 Depth=1
	s_or_b64 exec, exec, s[22:23]
	s_and_b64 s[6:7], s[6:7], exec
	s_or_saveexec_b64 s[8:9], s[8:9]
	v_mov_b32_e32 v24, s30
	s_xor_b64 exec, exec, s[8:9]
	s_cbranch_execz .LBB261_632
.LBB261_827:                            ;   in Loop: Header=BB261_431 Depth=1
	v_cmp_ne_u16_e64 s[0:1], 0, v4
	s_andn2_b64 s[6:7], s[6:7], exec
	s_and_b64 s[0:1], s[0:1], exec
	v_mov_b32_e32 v24, 0
	s_or_b64 s[6:7], s[6:7], s[0:1]
	s_or_b64 exec, exec, s[8:9]
	s_and_saveexec_b64 s[8:9], s[6:7]
	s_cbranch_execnz .LBB261_633
	s_branch .LBB261_634
.LBB261_828:
	s_or_b64 exec, exec, s[20:21]
.LBB261_829:
	s_or_b64 exec, exec, s[2:3]
	ds_bpermute_b32 v0, v35, v12
	ds_bpermute_b32 v1, v35, v13
	;; [unrolled: 1-line block ×6, first 2 shown]
	s_waitcnt lgkmcnt(4)
	v_pk_add_f32 v[0:1], v[12:13], v[0:1]
	ds_bpermute_b32 v6, v36, v0
	ds_bpermute_b32 v7, v36, v1
	s_waitcnt lgkmcnt(4)
	v_pk_add_f32 v[2:3], v[14:15], v[2:3]
	s_waitcnt lgkmcnt(2)
	v_pk_add_f32 v[10:11], v[16:17], v[4:5]
	ds_bpermute_b32 v8, v36, v2
	ds_bpermute_b32 v9, v36, v3
	;; [unrolled: 1-line block ×4, first 2 shown]
	s_waitcnt lgkmcnt(4)
	v_pk_add_f32 v[6:7], v[0:1], v[6:7]
	v_accvgpr_read_b32 v0, a2
	v_and_b32_e32 v0, 0x3c3, v0
	s_waitcnt lgkmcnt(2)
	v_pk_add_f32 v[4:5], v[2:3], v[8:9]
	s_waitcnt lgkmcnt(0)
	v_pk_add_f32 v[2:3], v[10:11], v[12:13]
	v_cmp_eq_u32_e32 vcc, 64, v0
	s_barrier
	s_and_saveexec_b64 s[0:1], vcc
	s_cbranch_execz .LBB261_831
; %bb.830:
	s_ashr_i32 s17, s16, 31
	s_lshl_b64 s[2:3], s[16:17], 2
	s_getpc_b64 s[4:5]
	s_add_u32 s4, s4, llvm.amdgcn.dynlds.offset.table@rel32@lo+4
	s_addc_u32 s5, s5, llvm.amdgcn.dynlds.offset.table@rel32@hi+12
	s_add_u32 s2, s2, s4
	s_addc_u32 s3, s3, s5
	s_load_dword s2, s[2:3], 0x0
	s_waitcnt lgkmcnt(0)
	v_add_u32_e32 v1, s2, v34
	ds_write2_b32 v1, v6, v7 offset1:16
	ds_write2_b32 v1, v4, v5 offset0:32 offset1:48
	ds_write2_b32 v1, v2, v3 offset0:64 offset1:80
.LBB261_831:
	s_or_b64 exec, exec, s[0:1]
	v_accvgpr_read_b32 v1, a2
	v_cmp_gt_u32_e32 vcc, 64, v1
	s_waitcnt lgkmcnt(0)
	s_barrier
	s_and_saveexec_b64 s[0:1], vcc
	s_cbranch_execz .LBB261_840
; %bb.832:
	v_accvgpr_read_b32 v1, a2
	v_cmp_eq_u32_e32 vcc, 0, v51
	v_lshrrev_b32_e32 v1, 2, v1
	s_and_saveexec_b64 s[2:3], vcc
	s_cbranch_execnz .LBB261_843
; %bb.833:
	s_or_b64 exec, exec, s[2:3]
	s_and_saveexec_b64 s[2:3], vcc
	s_cbranch_execnz .LBB261_844
.LBB261_834:
	s_or_b64 exec, exec, s[2:3]
	s_and_saveexec_b64 s[2:3], vcc
	s_cbranch_execnz .LBB261_845
.LBB261_835:
	s_or_b64 exec, exec, s[2:3]
	s_and_saveexec_b64 s[2:3], vcc
	s_cbranch_execnz .LBB261_846
.LBB261_836:
	s_or_b64 exec, exec, s[2:3]
	s_and_saveexec_b64 s[2:3], vcc
	s_cbranch_execnz .LBB261_847
.LBB261_837:
	s_or_b64 exec, exec, s[2:3]
	s_and_saveexec_b64 s[2:3], vcc
	s_cbranch_execz .LBB261_839
.LBB261_838:
	s_ashr_i32 s17, s16, 31
	s_lshl_b64 s[4:5], s[16:17], 2
	s_getpc_b64 s[6:7]
	s_add_u32 s6, s6, llvm.amdgcn.dynlds.offset.table@rel32@lo+4
	s_addc_u32 s7, s7, llvm.amdgcn.dynlds.offset.table@rel32@hi+12
	s_add_u32 s4, s4, s6
	s_addc_u32 s5, s5, s7
	s_load_dword s4, s[4:5], 0x0
	s_waitcnt lgkmcnt(0)
	v_lshl_add_u32 v1, v1, 2, s4
	ds_read_b32 v1, v1 offset:320
	s_waitcnt lgkmcnt(0)
	v_add_f32_e32 v3, v3, v1
.LBB261_839:
	s_or_b64 exec, exec, s[2:3]
.LBB261_840:
	s_or_b64 exec, exec, s[0:1]
	v_cmp_eq_u32_e32 vcc, 0, v0
	s_barrier
	s_and_saveexec_b64 s[0:1], vcc
	s_cbranch_execz .LBB261_842
; %bb.841:
	v_cmp_ne_u16_e64 s[2:3], s19, 0
	s_cmp_lg_u64 s[2:3], 0
	s_addc_u32 s4, s15, 0
	s_mul_i32 s2, s4, s10
	s_mul_i32 s2, s2, s11
	s_mulk_i32 s2, 0x60
	s_mul_i32 s4, s18, s4
	s_mul_i32 s6, s14, 0x60
	s_ashr_i32 s3, s2, 31
	s_ashr_i32 s5, s4, 31
	;; [unrolled: 1-line block ×3, first 2 shown]
	s_lshl_b64 s[2:3], s[2:3], 1
	s_lshl_b64 s[4:5], s[4:5], 1
	;; [unrolled: 1-line block ×3, first 2 shown]
	s_add_u32 s4, s6, s4
	s_addc_u32 s5, s7, s5
	s_add_u32 s2, s4, s2
	v_accvgpr_read_b32 v0, a0
	s_addc_u32 s3, s5, s3
	v_accvgpr_read_b32 v1, a1
	v_accvgpr_read_b32 v8, a2
	v_lshl_add_u64 v[0:1], s[2:3], 0, v[0:1]
	v_lshrrev_b32_e32 v8, 1, v8
	v_mov_b32_e32 v9, 0
	v_lshl_add_u64 v[0:1], v[0:1], 0, v[8:9]
	;;#ASMSTART
	v_cvt_f16_f32 v6, v6;

	;;#ASMEND
	flat_store_short v[0:1], v6
	;;#ASMSTART
	v_cvt_f16_f32 v6, v7;

	;;#ASMEND
	flat_store_short v[0:1], v6 offset:32
	;;#ASMSTART
	v_cvt_f16_f32 v4, v4;

	;;#ASMEND
	flat_store_short v[0:1], v4 offset:64
	;; [unrolled: 5-line block ×5, first 2 shown]
.LBB261_842:
	s_or_b64 exec, exec, s[0:1]
	scratch_load_dword a43, off, s32        ; 4-byte Folded Reload
	scratch_load_dword a42, off, s32 offset:4 ; 4-byte Folded Reload
	scratch_load_dword a41, off, s32 offset:8 ; 4-byte Folded Reload
	;; [unrolled: 1-line block ×26, first 2 shown]
	v_readlane_b32 s30, v63, 0
	v_readlane_b32 s31, v63, 1
	s_or_saveexec_b64 s[0:1], -1
	scratch_load_dword v63, off, s32 offset:116 ; 4-byte Folded Reload
	s_mov_b64 exec, s[0:1]
	s_waitcnt vmcnt(0) lgkmcnt(0)
	s_setpc_b64 s[30:31]
.LBB261_843:
	s_ashr_i32 s17, s16, 31
	s_lshl_b64 s[4:5], s[16:17], 2
	s_getpc_b64 s[6:7]
	s_add_u32 s6, s6, llvm.amdgcn.dynlds.offset.table@rel32@lo+4
	s_addc_u32 s7, s7, llvm.amdgcn.dynlds.offset.table@rel32@hi+12
	s_add_u32 s4, s4, s6
	s_addc_u32 s5, s5, s7
	s_load_dword s4, s[4:5], 0x0
	s_waitcnt lgkmcnt(0)
	v_lshl_add_u32 v8, v1, 2, s4
	ds_read_b32 v8, v8
	s_waitcnt lgkmcnt(0)
	v_add_f32_e32 v6, v6, v8
	s_or_b64 exec, exec, s[2:3]
	s_and_saveexec_b64 s[2:3], vcc
	s_cbranch_execz .LBB261_834
.LBB261_844:
	s_ashr_i32 s17, s16, 31
	s_lshl_b64 s[4:5], s[16:17], 2
	s_getpc_b64 s[6:7]
	s_add_u32 s6, s6, llvm.amdgcn.dynlds.offset.table@rel32@lo+4
	s_addc_u32 s7, s7, llvm.amdgcn.dynlds.offset.table@rel32@hi+12
	s_add_u32 s4, s4, s6
	s_addc_u32 s5, s5, s7
	s_load_dword s4, s[4:5], 0x0
	s_waitcnt lgkmcnt(0)
	v_lshl_add_u32 v8, v1, 2, s4
	ds_read_b32 v8, v8 offset:64
	s_waitcnt lgkmcnt(0)
	v_add_f32_e32 v7, v7, v8
	s_or_b64 exec, exec, s[2:3]
	s_and_saveexec_b64 s[2:3], vcc
	s_cbranch_execz .LBB261_835
.LBB261_845:
	s_ashr_i32 s17, s16, 31
	s_lshl_b64 s[4:5], s[16:17], 2
	s_getpc_b64 s[6:7]
	s_add_u32 s6, s6, llvm.amdgcn.dynlds.offset.table@rel32@lo+4
	s_addc_u32 s7, s7, llvm.amdgcn.dynlds.offset.table@rel32@hi+12
	s_add_u32 s4, s4, s6
	s_addc_u32 s5, s5, s7
	s_load_dword s4, s[4:5], 0x0
	s_waitcnt lgkmcnt(0)
	v_lshl_add_u32 v8, v1, 2, s4
	ds_read_b32 v8, v8 offset:128
	s_waitcnt lgkmcnt(0)
	v_add_f32_e32 v4, v4, v8
	s_or_b64 exec, exec, s[2:3]
	s_and_saveexec_b64 s[2:3], vcc
	s_cbranch_execz .LBB261_836
.LBB261_846:
	s_ashr_i32 s17, s16, 31
	s_lshl_b64 s[4:5], s[16:17], 2
	s_getpc_b64 s[6:7]
	s_add_u32 s6, s6, llvm.amdgcn.dynlds.offset.table@rel32@lo+4
	s_addc_u32 s7, s7, llvm.amdgcn.dynlds.offset.table@rel32@hi+12
	s_add_u32 s4, s4, s6
	s_addc_u32 s5, s5, s7
	s_load_dword s4, s[4:5], 0x0
	s_waitcnt lgkmcnt(0)
	v_lshl_add_u32 v8, v1, 2, s4
	ds_read_b32 v8, v8 offset:192
	s_waitcnt lgkmcnt(0)
	v_add_f32_e32 v5, v5, v8
	s_or_b64 exec, exec, s[2:3]
	s_and_saveexec_b64 s[2:3], vcc
	s_cbranch_execz .LBB261_837
.LBB261_847:
	s_ashr_i32 s17, s16, 31
	s_lshl_b64 s[4:5], s[16:17], 2
	s_getpc_b64 s[6:7]
	s_add_u32 s6, s6, llvm.amdgcn.dynlds.offset.table@rel32@lo+4
	s_addc_u32 s7, s7, llvm.amdgcn.dynlds.offset.table@rel32@hi+12
	s_add_u32 s4, s4, s6
	s_addc_u32 s5, s5, s7
	s_load_dword s4, s[4:5], 0x0
	s_waitcnt lgkmcnt(0)
	v_lshl_add_u32 v8, v1, 2, s4
	ds_read_b32 v8, v8 offset:256
	s_waitcnt lgkmcnt(0)
	v_add_f32_e32 v2, v2, v8
	s_or_b64 exec, exec, s[2:3]
	s_and_saveexec_b64 s[2:3], vcc
	s_cbranch_execnz .LBB261_838
	s_branch .LBB261_839
.Lfunc_end261:
	.size	_ZN4vllm22paged_attention_kernelIthLi96ELi32ELi128ELNS_18Fp8KVCacheDataTypeE1ELb1ELi0EEEvPfS2_PT_PKS3_PKT0_S9_ifPKiSB_iPKfiiiSD_SD_iiiii, .Lfunc_end261-_ZN4vllm22paged_attention_kernelIthLi96ELi32ELi128ELNS_18Fp8KVCacheDataTypeE1ELb1ELi0EEEvPfS2_PT_PKS3_PKT0_S9_ifPKiSB_iPKfiiiSD_SD_iiiii
                                        ; -- End function
	.section	.AMDGPU.csdata,"",@progbits
; Function info:
; codeLenInByte = 36128
; NumSgprs: 39
; NumVgprs: 64
; NumAgprs: 44
; TotalNumVgprs: 108
; ScratchSize: 124
; MemoryBound: 0
	.section	.text._ZN4vllm25paged_attention_v1_kernelIthLi96ELi32ELi128ELNS_18Fp8KVCacheDataTypeE1ELb1EEEvPT_PKS2_PKT0_S8_ifPKiSA_iPKfiiiSC_SC_iiiii,"axG",@progbits,_ZN4vllm25paged_attention_v1_kernelIthLi96ELi32ELi128ELNS_18Fp8KVCacheDataTypeE1ELb1EEEvPT_PKS2_PKT0_S8_ifPKiSA_iPKfiiiSC_SC_iiiii,comdat
	.protected	_ZN4vllm25paged_attention_v1_kernelIthLi96ELi32ELi128ELNS_18Fp8KVCacheDataTypeE1ELb1EEEvPT_PKS2_PKT0_S8_ifPKiSA_iPKfiiiSC_SC_iiiii ; -- Begin function _ZN4vllm25paged_attention_v1_kernelIthLi96ELi32ELi128ELNS_18Fp8KVCacheDataTypeE1ELb1EEEvPT_PKS2_PKT0_S8_ifPKiSA_iPKfiiiSC_SC_iiiii
	.globl	_ZN4vllm25paged_attention_v1_kernelIthLi96ELi32ELi128ELNS_18Fp8KVCacheDataTypeE1ELb1EEEvPT_PKS2_PKT0_S8_ifPKiSA_iPKfiiiSC_SC_iiiii
	.p2align	8
	.type	_ZN4vllm25paged_attention_v1_kernelIthLi96ELi32ELi128ELNS_18Fp8KVCacheDataTypeE1ELb1EEEvPT_PKS2_PKT0_S8_ifPKiSA_iPKfiiiSC_SC_iiiii,@function
_ZN4vllm25paged_attention_v1_kernelIthLi96ELi32ELi128ELNS_18Fp8KVCacheDataTypeE1ELb1EEEvPT_PKS2_PKT0_S8_ifPKiSA_iPKfiiiSC_SC_iiiii: ; @_ZN4vllm25paged_attention_v1_kernelIthLi96ELi32ELi128ELNS_18Fp8KVCacheDataTypeE1ELb1EEEvPT_PKS2_PKT0_S8_ifPKiSA_iPKfiiiSC_SC_iiiii
; %bb.0:
	s_load_dwordx8 s[16:23], s[0:1], 0x0
	s_load_dwordx4 s[36:39], s[0:1], 0x20
	s_load_dwordx2 s[6:7], s[0:1], 0x30
	s_load_dword s5, s[0:1], 0x38
	s_load_dwordx2 s[10:11], s[0:1], 0x40
	s_load_dwordx8 s[24:31], s[0:1], 0x48
	s_waitcnt lgkmcnt(0)
	s_load_dword s27, s[0:1], 0x78
	s_load_dwordx4 s[40:43], s[0:1], 0x68
	s_add_u32 s8, s0, 0x80
	s_addc_u32 s9, s1, 0
	s_mov_b32 s12, s2
	s_mov_b32 s13, s3
	;; [unrolled: 1-line block ×4, first 2 shown]
	v_mov_b32_e32 v31, v0
	v_mov_b32_e32 v0, s16
	;; [unrolled: 1-line block ×25, first 2 shown]
	s_waitcnt lgkmcnt(0)
	v_mov_b32_e32 v24, s40
	v_mov_b32_e32 v25, s41
	;; [unrolled: 1-line block ×5, first 2 shown]
	s_mov_b32 s32, 0
	s_getpc_b64 s[0:1]
	s_add_u32 s0, s0, _ZN4vllm22paged_attention_kernelIthLi96ELi32ELi128ELNS_18Fp8KVCacheDataTypeE1ELb1ELi0EEEvPfS2_PT_PKS3_PKT0_S9_ifPKiSB_iPKfiiiSD_SD_iiiii@rel32@lo+4
	s_addc_u32 s1, s1, _ZN4vllm22paged_attention_kernelIthLi96ELi32ELi128ELNS_18Fp8KVCacheDataTypeE1ELb1ELi0EEEvPfS2_PT_PKS3_PKT0_S9_ifPKiSB_iPKfiiiSD_SD_iiiii@rel32@hi+12
	s_swappc_b64 s[30:31], s[0:1]
	s_endpgm
	.section	.rodata,"a",@progbits
	.p2align	6, 0x0
	.amdhsa_kernel _ZN4vllm25paged_attention_v1_kernelIthLi96ELi32ELi128ELNS_18Fp8KVCacheDataTypeE1ELb1EEEvPT_PKS2_PKT0_S8_ifPKiSA_iPKfiiiSC_SC_iiiii
		.amdhsa_group_segment_fixed_size 208
		.amdhsa_private_segment_fixed_size 124
		.amdhsa_kernarg_size 384
		.amdhsa_user_sgpr_count 2
		.amdhsa_user_sgpr_dispatch_ptr 0
		.amdhsa_user_sgpr_queue_ptr 0
		.amdhsa_user_sgpr_kernarg_segment_ptr 1
		.amdhsa_user_sgpr_dispatch_id 0
		.amdhsa_user_sgpr_kernarg_preload_length 0
		.amdhsa_user_sgpr_kernarg_preload_offset 0
		.amdhsa_user_sgpr_private_segment_size 0
		.amdhsa_uses_dynamic_stack 0
		.amdhsa_enable_private_segment 1
		.amdhsa_system_sgpr_workgroup_id_x 1
		.amdhsa_system_sgpr_workgroup_id_y 1
		.amdhsa_system_sgpr_workgroup_id_z 1
		.amdhsa_system_sgpr_workgroup_info 0
		.amdhsa_system_vgpr_workitem_id 0
		.amdhsa_next_free_vgpr 108
		.amdhsa_next_free_sgpr 44
		.amdhsa_accum_offset 64
		.amdhsa_reserve_vcc 1
		.amdhsa_float_round_mode_32 0
		.amdhsa_float_round_mode_16_64 0
		.amdhsa_float_denorm_mode_32 3
		.amdhsa_float_denorm_mode_16_64 3
		.amdhsa_dx10_clamp 1
		.amdhsa_ieee_mode 1
		.amdhsa_fp16_overflow 0
		.amdhsa_tg_split 0
		.amdhsa_exception_fp_ieee_invalid_op 0
		.amdhsa_exception_fp_denorm_src 0
		.amdhsa_exception_fp_ieee_div_zero 0
		.amdhsa_exception_fp_ieee_overflow 0
		.amdhsa_exception_fp_ieee_underflow 0
		.amdhsa_exception_fp_ieee_inexact 0
		.amdhsa_exception_int_div_zero 0
	.end_amdhsa_kernel
	.section	.text._ZN4vllm25paged_attention_v1_kernelIthLi96ELi32ELi128ELNS_18Fp8KVCacheDataTypeE1ELb1EEEvPT_PKS2_PKT0_S8_ifPKiSA_iPKfiiiSC_SC_iiiii,"axG",@progbits,_ZN4vllm25paged_attention_v1_kernelIthLi96ELi32ELi128ELNS_18Fp8KVCacheDataTypeE1ELb1EEEvPT_PKS2_PKT0_S8_ifPKiSA_iPKfiiiSC_SC_iiiii,comdat
.Lfunc_end262:
	.size	_ZN4vllm25paged_attention_v1_kernelIthLi96ELi32ELi128ELNS_18Fp8KVCacheDataTypeE1ELb1EEEvPT_PKS2_PKT0_S8_ifPKiSA_iPKfiiiSC_SC_iiiii, .Lfunc_end262-_ZN4vllm25paged_attention_v1_kernelIthLi96ELi32ELi128ELNS_18Fp8KVCacheDataTypeE1ELb1EEEvPT_PKS2_PKT0_S8_ifPKiSA_iPKfiiiSC_SC_iiiii
                                        ; -- End function
	.section	.AMDGPU.csdata,"",@progbits
; Kernel info:
; codeLenInByte = 252
; NumSgprs: 50
; NumVgprs: 64
; NumAgprs: 44
; TotalNumVgprs: 108
; ScratchSize: 124
; MemoryBound: 0
; FloatMode: 240
; IeeeMode: 1
; LDSByteSize: 208 bytes/workgroup (compile time only)
; SGPRBlocks: 6
; VGPRBlocks: 13
; NumSGPRsForWavesPerEU: 50
; NumVGPRsForWavesPerEU: 108
; AccumOffset: 64
; Occupancy: 4
; WaveLimiterHint : 1
; COMPUTE_PGM_RSRC2:SCRATCH_EN: 1
; COMPUTE_PGM_RSRC2:USER_SGPR: 2
; COMPUTE_PGM_RSRC2:TRAP_HANDLER: 0
; COMPUTE_PGM_RSRC2:TGID_X_EN: 1
; COMPUTE_PGM_RSRC2:TGID_Y_EN: 1
; COMPUTE_PGM_RSRC2:TGID_Z_EN: 1
; COMPUTE_PGM_RSRC2:TIDIG_COMP_CNT: 0
; COMPUTE_PGM_RSRC3_GFX90A:ACCUM_OFFSET: 15
; COMPUTE_PGM_RSRC3_GFX90A:TG_SPLIT: 0
	.text
	.p2align	2                               ; -- Begin function _ZN4vllm22paged_attention_kernelIthLi112ELi32ELi128ELNS_18Fp8KVCacheDataTypeE1ELb1ELi0EEEvPfS2_PT_PKS3_PKT0_S9_ifPKiSB_iPKfiiiSD_SD_iiiii
	.type	_ZN4vllm22paged_attention_kernelIthLi112ELi32ELi128ELNS_18Fp8KVCacheDataTypeE1ELb1ELi0EEEvPfS2_PT_PKS3_PKT0_S9_ifPKiSB_iPKfiiiSD_SD_iiiii,@function
_ZN4vllm22paged_attention_kernelIthLi112ELi32ELi128ELNS_18Fp8KVCacheDataTypeE1ELb1ELi0EEEvPfS2_PT_PKS3_PKT0_S9_ifPKiSB_iPKfiiiSD_SD_iiiii: ; @_ZN4vllm22paged_attention_kernelIthLi112ELi32ELi128ELNS_18Fp8KVCacheDataTypeE1ELb1ELi0EEEvPfS2_PT_PKS3_PKT0_S9_ifPKiSB_iPKfiiiSD_SD_iiiii
; %bb.0:
	s_waitcnt vmcnt(0) expcnt(0) lgkmcnt(0)
	s_or_saveexec_b64 s[0:1], -1
	scratch_store_dword off, v63, s32 offset:156 ; 4-byte Folded Spill
	s_mov_b64 exec, s[0:1]
	scratch_store_dword off, v40, s32 offset:144 ; 4-byte Folded Spill
	scratch_store_dword off, v41, s32 offset:140 ; 4-byte Folded Spill
	;; [unrolled: 1-line block ×36, first 2 shown]
	scratch_store_dword off, a53, s32       ; 4-byte Folded Spill
	v_writelane_b32 v63, s30, 0
	s_nop 1
	v_writelane_b32 v63, s31, 1
	s_mov_b32 s16, s13
	v_accvgpr_write_b32 a0, v0
	s_ashr_i32 s17, s13, 31
	v_accvgpr_write_b32 a1, v1
	v_lshl_add_u64 v[0:1], s[16:17], 2, v[12:13]
	flat_load_dword a8, v[0:1]
	v_sub_u32_e32 v0, 0, v8
	v_max_i32_e32 v0, v8, v0
	v_cvt_f32_u32_e32 v1, v0
	s_load_dword s0, s[8:9], 0x10
	s_load_dword s2, s[8:9], 0x0
	v_accvgpr_write_b32 a29, v21
	v_accvgpr_write_b32 a28, v20
	v_rcp_iflag_f32_e32 v1, v1
	s_waitcnt lgkmcnt(0)
	s_lshr_b32 s0, s0, 16
	s_cmp_lg_u32 s0, 0
	v_mov_b32_e32 v21, v7
	v_mul_f32_e32 v1, 0x4f7ffffe, v1
	v_cvt_u32_f32_e32 v1, v1
	s_cselect_b64 s[0:1], -1, 0
	v_sub_u32_e32 v7, 0, v0
	s_cmp_lg_u64 s[0:1], 0
	v_mul_lo_u32 v7, v7, v1
	s_mov_b32 s18, s15
	s_addc_u32 s15, s2, 0
	v_mul_hi_u32 v7, v1, v7
	s_abs_i32 s0, s15
	v_add_u32_e32 v1, v1, v7
	v_mul_hi_u32 v1, s0, v1
	v_mul_lo_u32 v7, v1, v0
	v_sub_u32_e32 v7, s0, v7
	v_accvgpr_write_b32 a27, v9
	v_add_u32_e32 v9, 1, v1
	v_cmp_ge_u32_e32 vcc, v7, v0
	v_mov_b32_e32 v20, v6
	v_xor_b32_e32 v6, s15, v8
	v_cndmask_b32_e32 v1, v1, v9, vcc
	v_sub_u32_e32 v9, v7, v0
	v_cndmask_b32_e32 v7, v7, v9, vcc
	v_add_u32_e32 v9, 1, v1
	v_cmp_ge_u32_e32 vcc, v7, v0
	v_ashrrev_i32_e32 v6, 31, v6
	v_mov_b32_e32 v33, v16
	v_cndmask_b32_e32 v0, v1, v9, vcc
	v_xor_b32_e32 v0, v0, v6
	v_sub_u32_e32 v0, v0, v6
	v_sub_u32_e32 v1, 0, v0
	v_max_i32_e32 v1, v0, v1
	v_cvt_f32_u32_e32 v6, v1
	v_sub_u32_e32 v7, 0, v1
	v_mov_b32_e32 v32, v15
	v_accvgpr_write_b32 a4, v22
	v_rcp_iflag_f32_e32 v6, v6
	v_accvgpr_write_b32 a17, v11
	s_abs_i32 s2, s12
	v_accvgpr_write_b32 a5, v23
	v_mul_f32_e32 v6, 0x4f7ffffe, v6
	v_cvt_u32_f32_e32 v6, v6
	v_accvgpr_write_b32 a6, v18
	v_accvgpr_write_b32 a16, v10
	v_cmp_ne_u64_e32 vcc, 0, v[32:33]
	v_mul_lo_u32 v7, v7, v6
	v_mul_hi_u32 v7, v6, v7
	v_add_u32_e32 v6, v6, v7
	v_mad_u64_u32 v[34:35], s[0:1], s2, v6, 0
	v_mov_b32_e32 v6, 0
	scratch_store_dword off, v6, s32 offset:152 ; 4-byte Folded Spill
	s_and_saveexec_b64 s[0:1], vcc
	s_cbranch_execz .LBB263_2
; %bb.1:
	s_ashr_i32 s13, s12, 31
	v_lshl_add_u64 v[6:7], s[12:13], 2, v[32:33]
	flat_load_dword v6, v[6:7]
	s_waitcnt vmcnt(0) lgkmcnt(0)
	scratch_store_dword off, v6, s32 offset:152 ; 4-byte Folded Spill
.LBB263_2:
	s_or_b64 exec, exec, s[0:1]
	v_and_b32_e32 v49, 0x3ff, v31
	s_ashr_i32 s3, s12, 31
	v_ashrrev_i32_e32 v6, 31, v0
	v_and_b32_e32 v0, 1, v49
	s_movk_i32 s4, 0x70
	s_mul_i32 s20, s12, 0x70
	v_cmp_gt_u32_e32 vcc, 28, v49
	v_lshlrev_b32_e32 v22, 3, v49
	s_and_saveexec_b64 s[0:1], vcc
	s_cbranch_execz .LBB263_4
; %bb.3:
	v_mul_lo_u32 v10, s16, v17
	v_ashrrev_i32_e32 v11, 31, v10
	v_lshl_add_u64 v[2:3], v[10:11], 1, v[2:3]
	s_ashr_i32 s21, s20, 31
	v_lshl_add_u64 v[2:3], s[20:21], 1, v[2:3]
	v_mov_b32_e32 v23, 0
	v_lshl_add_u64 v[2:3], v[2:3], 0, v[22:23]
	flat_load_dwordx2 v[2:3], v[2:3]
	v_lshlrev_b32_e32 v7, 2, v49
	v_and_b32_e32 v7, 0xff8, v7
	v_mad_u32_u24 v7, v0, s4, v7
	s_waitcnt vmcnt(0) lgkmcnt(0)
	ds_write_b64 v7, v[2:3]
.LBB263_4:
	s_or_b64 exec, exec, s[0:1]
	v_mul_lo_u32 v3, v35, v1
	v_sub_u32_e32 v3, s2, v3
	v_xor_b32_e32 v2, s3, v6
	v_add_u32_e32 v6, 1, v35
	v_cmp_ge_u32_e32 vcc, v3, v1
	v_sub_u32_e32 v7, v3, v1
	s_waitcnt lgkmcnt(0)
	v_cndmask_b32_e32 v6, v35, v6, vcc
	v_cndmask_b32_e32 v3, v3, v7, vcc
	v_add_u32_e32 v7, 1, v6
	v_cmp_ge_u32_e32 vcc, v3, v1
	v_sub_u32_e32 v3, 0, v27
	s_barrier
	v_cndmask_b32_e32 v1, v6, v7, vcc
	v_max_i32_e32 v6, v27, v3
	v_cvt_f32_u32_e32 v3, v6
	v_xor_b32_e32 v1, v1, v2
	v_sub_u32_e32 v30, v1, v2
	s_waitcnt vmcnt(0)
	v_accvgpr_read_b32 v2, a8
	v_rcp_iflag_f32_e32 v1, v3
	v_accvgpr_write_b32 a3, v6
	v_sub_u32_e32 v6, 0, v6
	v_add_u32_e32 v2, -1, v2
	v_mul_f32_e32 v1, 0x4f7ffffe, v1
	v_cvt_u32_f32_e32 v3, v1
	v_sub_u32_e32 v1, 0, v2
	v_max_i32_e32 v1, v2, v1
	v_cmp_gt_i32_e32 vcc, 0, v28
	v_mul_lo_u32 v6, v6, v3
	v_mul_hi_u32 v6, v3, v6
	v_add_u32_e32 v3, v3, v6
	v_accvgpr_write_b32 a7, v3
	v_mad_u64_u32 v[32:33], s[0:1], v1, v3, 0
	s_waitcnt lgkmcnt(0)
                                        ; implicit-def: $agpr10
	s_and_saveexec_b64 s[0:1], vcc
	s_xor_b64 s[0:1], exec, s[0:1]
; %bb.5:
	v_mad_u64_u32 v[6:7], s[2:3], v24, v8, v[30:31]
	v_mul_lo_u32 v3, v6, v28
	v_sub_u32_e32 v6, 1, v3
	v_accvgpr_write_b32 a10, v6
                                        ; implicit-def: $vgpr24
                                        ; implicit-def: $vgpr28
; %bb.6:
	s_or_saveexec_b64 s[0:1], s[0:1]
	v_ashrrev_i32_e32 v3, 31, v27
	v_ashrrev_i32_e32 v2, 31, v2
	v_accvgpr_write_b32 a9, v3
	s_xor_b64 exec, exec, s[0:1]
; %bb.7:
	v_mul_lo_u32 v3, s15, v24
	v_add_u32_e32 v3, s12, v3
	v_mad_u64_u32 v[6:7], s[2:3], v3, v28, 1
	v_accvgpr_write_b32 a10, v6
; %bb.8:
	s_or_b64 exec, exec, s[0:1]
	v_mul_lo_u32 v6, s16, v14
	v_ashrrev_i32_e32 v7, 31, v6
	v_accvgpr_write_b32 a23, v7
	v_accvgpr_write_b32 a22, v6
	v_accvgpr_read_b32 v3, a9
	v_accvgpr_read_b32 v7, a3
	v_xor_b32_e32 v2, v2, v3
	v_mul_lo_u32 v3, v33, v7
	v_sub_u32_e32 v1, v1, v3
	v_add_u32_e32 v3, 1, v33
	v_cmp_ge_u32_e32 vcc, v1, v7
	v_sub_u32_e32 v6, v1, v7
	s_load_dword s21, s[8:9], 0x14
	s_load_dword s17, s[8:9], 0x8
	v_cndmask_b32_e32 v3, v33, v3, vcc
	v_cndmask_b32_e32 v1, v1, v6, vcc
	v_add_u32_e32 v6, 1, v3
	v_cmp_ge_u32_e32 vcc, v1, v7
	v_mul_lo_u32 v18, v30, v19
	v_ashrrev_i32_e32 v19, 31, v18
	v_cndmask_b32_e32 v1, v3, v6, vcc
	v_xor_b32_e32 v1, v1, v2
	v_sub_u32_e32 v1, v1, v2
	v_accvgpr_read_b32 v2, a8
	v_add_u32_e32 v2, 31, v2
	v_ashrrev_i32_e32 v3, 31, v2
	v_lshrrev_b32_e32 v3, 27, v3
	v_add_u32_e32 v2, v2, v3
	v_ashrrev_i32_e32 v2, 5, v2
	v_lshrrev_b32_e32 v3, 6, v49
	v_accvgpr_write_b32 a11, v2
	v_cmp_lt_i32_e64 s[0:1], v3, v2
	v_mov_b32_e32 v2, 0xff7fffff
	scratch_store_dword off, v2, s32 offset:148 ; 4-byte Folded Spill
	v_sub_u32_e32 v1, v1, v25
	v_lshrrev_b32_e32 v2, 4, v49
	v_accvgpr_write_b32 a13, v1
	v_sub_u32_e32 v13, 0, v26
	v_accvgpr_write_b32 a12, v3
	v_accvgpr_write_b32 a21, v2
	v_mbcnt_lo_u32_b32 v2, -1, 0
	v_lshlrev_b32_e32 v1, 5, v3
	s_mov_b64 s[8:9], exec
	s_and_b64 s[2:3], s[8:9], s[0:1]
	v_accvgpr_write_b32 a14, v1
	s_mov_b64 exec, s[2:3]
	s_cbranch_execz .LBB263_466
; %bb.9:
	v_max_i32_e32 v7, v26, v13
	v_cvt_f32_u32_e32 v1, v7
	v_bfe_u32 v6, v49, 1, 5
	v_mov_b32_e32 v8, v2
	v_lshl_add_u64 v[2:3], v[4:5], 0, v[18:19]
	v_lshlrev_b32_e32 v4, 4, v6
	v_mov_b32_e32 v5, 0
	v_rcp_iflag_f32_e32 v1, v1
	v_lshl_add_u64 v[2:3], v[2:3], 0, v[4:5]
	v_accvgpr_write_b32 a35, v3
	v_cmp_eq_u32_e32 vcc, 0, v0
	v_accvgpr_write_b32 a34, v2
	v_lshlrev_b32_e32 v2, 2, v0
	v_mul_u32_u24_e32 v0, 0x70, v0
	v_accvgpr_write_b32 a33, v0
	v_mul_f32_e32 v0, 0x4f7ffffe, v1
	scratch_load_dword v1, off, s32 offset:152 ; 4-byte Folded Reload
	v_cvt_u32_f32_e32 v0, v0
	v_mov_b32_e32 v3, v5
	v_accvgpr_write_b32 a37, v3
	v_accvgpr_write_b32 a36, v2
	v_accvgpr_read_b32 v2, a12
	v_accvgpr_write_b32 a32, v7
	v_accvgpr_write_b32 a31, v6
	s_ashr_i32 s19, s18, 31
	s_lshl_b64 s[4:5], s[18:19], 2
	s_getpc_b64 s[6:7]
	s_add_u32 s6, s6, llvm.amdgcn.dynlds.offset.table@rel32@lo+4
	s_addc_u32 s7, s7, llvm.amdgcn.dynlds.offset.table@rel32@hi+12
	v_accvgpr_write_b32 a18, v20
	v_accvgpr_write_b32 a25, v19
	s_add_u32 s10, s4, s6
	v_lshlrev_b32_e32 v3, 5, v2
	v_accvgpr_write_b32 a20, v22
	v_accvgpr_write_b32 a19, v21
	;; [unrolled: 1-line block ×6, first 2 shown]
	s_addc_u32 s11, s5, s7
	s_mov_b64 s[12:13], 0
	s_movk_i32 s19, 0x7f
	s_movk_i32 s28, 0x80
	s_mov_b32 s29, 0x8000
	v_accvgpr_write_b32 a30, v8
	s_waitcnt vmcnt(0)
	v_cmp_neq_f32_e64 s[2:3], 0, v1
	v_sub_u32_e32 v1, 0, v7
	v_mul_lo_u32 v1, v1, v0
	v_mul_hi_u32 v1, v0, v1
	v_add_u32_e32 v0, v0, v1
	v_accvgpr_write_b32 a38, v0
	v_accvgpr_read_b32 v0, a8
	v_sub_u32_e32 v0, v6, v0
	v_add_u32_e32 v0, 1, v0
	v_accvgpr_write_b32 a40, v0
	v_lshlrev_b32_e32 v0, 2, v6
	v_lshl_or_b32 v0, v2, 7, v0
	v_accvgpr_write_b32 a41, v0
	v_accvgpr_read_b32 v0, a21
	v_and_b32_e32 v4, 60, v0
	v_accvgpr_read_b32 v0, a22
	v_accvgpr_read_b32 v1, a23
	;; [unrolled: 1-line block ×3, first 2 shown]
	v_lshl_add_u64 v[0:1], v[0:1], 2, v[4:5]
	v_accvgpr_read_b32 v7, a17
	v_lshl_add_u64 v[0:1], v[6:7], 0, v[0:1]
	v_accvgpr_write_b32 a43, v1
	v_accvgpr_write_b32 a42, v0
	v_mbcnt_hi_u32_b32 v0, -1, v8
	v_mov_b32_e32 v1, v3
	v_accvgpr_write_b32 a44, v0
	v_mov_b32_e32 v0, 0xff7fffff
	v_accvgpr_read_b32 v4, a12
	scratch_store_dword off, v0, s32 offset:148 ; 4-byte Folded Spill
	s_branch .LBB263_12
.LBB263_10:                             ;   in Loop: Header=BB263_12 Depth=1
	s_or_b64 exec, exec, s[22:23]
.LBB263_11:                             ;   in Loop: Header=BB263_12 Depth=1
	s_or_b64 exec, exec, s[6:7]
	v_accvgpr_read_b32 v0, a41
	v_accvgpr_read_b32 v2, a42
	;; [unrolled: 1-line block ×3, first 2 shown]
	v_add_u32_e32 v0, 0x100, v0
	v_accvgpr_read_b32 v3, a43
	v_add_u32_e32 v4, 2, v4
	v_accvgpr_write_b32 a41, v0
	v_accvgpr_read_b32 v0, a11
	v_lshl_add_u64 v[2:3], v[2:3], 0, 8
	s_waitcnt lgkmcnt(0)
	v_accvgpr_read_b32 v1, a39
	v_cmp_ge_i32_e64 s[4:5], v4, v0
	v_accvgpr_write_b32 a43, v3
	v_add_u32_e32 v1, 64, v1
	s_or_b64 s[12:13], s[4:5], s[12:13]
	v_accvgpr_write_b32 a42, v2
	s_andn2_b64 exec, exec, s[12:13]
	s_cbranch_execz .LBB263_465
.LBB263_12:                             ; =>This Inner Loop Header: Depth=1
	v_accvgpr_read_b32 v0, a7
	v_mul_hi_u32 v0, v1, v0
	v_accvgpr_read_b32 v3, a3
	v_mov_b32_e32 v2, v1
	v_mul_lo_u32 v1, v0, v3
	v_sub_u32_e32 v1, v2, v1
	v_accvgpr_write_b32 a39, v2
	v_add_u32_e32 v2, 1, v0
	v_cmp_ge_u32_e64 s[4:5], v1, v3
	v_accvgpr_write_b32 a45, v4
	v_accvgpr_read_b32 v4, a38
	v_cndmask_b32_e64 v0, v0, v2, s[4:5]
	v_sub_u32_e32 v2, v1, v3
	v_cndmask_b32_e64 v1, v1, v2, s[4:5]
	v_add_u32_e32 v2, 1, v0
	v_cmp_ge_u32_e64 s[4:5], v1, v3
	v_accvgpr_read_b32 v1, a9
	s_nop 0
	v_cndmask_b32_e64 v0, v0, v2, s[4:5]
	v_xor_b32_e32 v0, v0, v1
	v_sub_u32_e32 v0, v0, v1
	v_accvgpr_read_b32 v2, a10
	v_add_u32_e32 v1, v0, v2
	v_sub_u32_e32 v3, 0, v1
	v_ashrrev_i32_e32 v2, 31, v1
	v_max_i32_e32 v1, v1, v3
	v_mul_hi_u32 v3, v1, v4
	v_accvgpr_read_b32 v4, a32
	v_mul_lo_u32 v3, v3, v4
	v_sub_u32_e32 v1, v1, v3
	v_sub_u32_e32 v3, v1, v4
	v_cmp_ge_u32_e64 s[4:5], v1, v4
	s_nop 1
	v_cndmask_b32_e64 v1, v1, v3, s[4:5]
	v_sub_u32_e32 v3, v1, v4
	v_cmp_ge_u32_e64 s[4:5], v1, v4
	s_nop 1
	v_cndmask_b32_e64 v1, v1, v3, s[4:5]
	v_xor_b32_e32 v1, v1, v2
	v_sub_u32_e32 v1, v1, v2
	v_cmp_ne_u32_e64 s[4:5], 0, v1
	v_accvgpr_read_b32 v1, a13
	v_cmp_le_i32_e64 s[6:7], v0, v1
	s_and_b64 s[4:5], s[4:5], s[6:7]
	s_and_b64 s[22:23], vcc, s[4:5]
	s_and_saveexec_b64 s[6:7], s[22:23]
	s_cbranch_execz .LBB263_14
; %bb.13:                               ;   in Loop: Header=BB263_12 Depth=1
	s_load_dword s22, s[10:11], 0x0
	v_accvgpr_read_b32 v0, a41
	v_mov_b32_e32 v1, 0xff7fffff
	s_waitcnt lgkmcnt(0)
	v_add_u32_e32 v0, s22, v0
	ds_write_b32 v0, v1
.LBB263_14:                             ;   in Loop: Header=BB263_12 Depth=1
	s_or_b64 exec, exec, s[6:7]
	s_xor_b64 s[4:5], s[4:5], -1
	s_and_saveexec_b64 s[6:7], s[4:5]
	s_cbranch_execz .LBB263_11
; %bb.15:                               ;   in Loop: Header=BB263_12 Depth=1
	v_accvgpr_read_b32 v0, a42
	v_accvgpr_read_b32 v1, a43
	flat_load_dword v0, v[0:1]
	v_accvgpr_read_b32 v6, a34
	v_accvgpr_read_b32 v2, a6
	;; [unrolled: 1-line block ×3, first 2 shown]
                                        ; implicit-def: $sgpr26
	s_waitcnt vmcnt(0) lgkmcnt(0)
	v_mad_i64_i32 v[0:1], s[4:5], v0, v2, v[6:7]
	v_accvgpr_read_b32 v2, a36
	v_accvgpr_read_b32 v3, a37
	v_lshl_add_u64 v[34:35], v[0:1], 0, v[2:3]
	v_accvgpr_read_b32 v0, a28
	flat_load_dword v36, v[34:35]
	v_accvgpr_read_b32 v1, a29
	flat_load_dword v47, v[0:1]
	s_mov_b64 s[4:5], 0
	s_waitcnt vmcnt(0) lgkmcnt(0)
	v_cmp_gt_i16_sdwa s[22:23], v36, s19 src0_sel:BYTE_0 src1_sel:DWORD
	s_and_saveexec_b64 s[24:25], s[22:23]
	s_xor_b64 s[22:23], exec, s[24:25]
	s_cbranch_execnz .LBB263_245
; %bb.16:                               ;   in Loop: Header=BB263_12 Depth=1
	s_or_saveexec_b64 s[22:23], s[22:23]
	v_mov_b32_e32 v0, s26
	s_xor_b64 exec, exec, s[22:23]
	s_cbranch_execnz .LBB263_248
.LBB263_17:                             ;   in Loop: Header=BB263_12 Depth=1
	s_or_b64 exec, exec, s[22:23]
	s_and_saveexec_b64 s[22:23], s[4:5]
	s_cbranch_execz .LBB263_19
.LBB263_18:                             ;   in Loop: Header=BB263_12 Depth=1
	v_and_b32_e32 v2, 7, v36
	v_ffbh_u32_e32 v0, v2
	v_min_u32_e32 v4, 32, v0
	v_subrev_u32_e32 v0, 28, v4
	v_bfe_u32 v3, v36, 3, 4
	v_lshlrev_b64 v[0:1], v0, v[36:37]
	v_sub_u32_e32 v1, 29, v4
	v_cmp_eq_u32_e64 s[4:5], 0, v3
	v_and_b32_e32 v0, 7, v0
	s_nop 0
	v_cndmask_b32_e64 v1, v3, v1, s[4:5]
	v_mov_b32_e32 v3, 0x1c00
	v_cndmask_b32_e64 v0, v2, v0, s[4:5]
	v_lshlrev_b32_e32 v2, 8, v36
	v_lshl_add_u32 v1, v1, 10, v3
	v_and_or_b32 v1, v2, s29, v1
	v_lshl_or_b32 v0, v0, 7, v1
	v_cvt_f32_f16_e32 v0, v0
.LBB263_19:                             ;   in Loop: Header=BB263_12 Depth=1
	s_or_b64 exec, exec, s[22:23]
	v_lshrrev_b16_e32 v4, 8, v36
	v_accvgpr_write_b32 a53, v0
	v_cmp_lt_i16_e64 s[4:5], s19, v4
	s_mov_b64 s[22:23], 0
                                        ; implicit-def: $sgpr30
	s_and_saveexec_b64 s[24:25], s[4:5]
	s_xor_b64 s[24:25], exec, s[24:25]
	s_cbranch_execnz .LBB263_249
; %bb.20:                               ;   in Loop: Header=BB263_12 Depth=1
	s_or_saveexec_b64 s[24:25], s[24:25]
	v_mov_b32_e32 v13, s30
	s_xor_b64 exec, exec, s[24:25]
	s_cbranch_execnz .LBB263_252
.LBB263_21:                             ;   in Loop: Header=BB263_12 Depth=1
	s_or_b64 exec, exec, s[24:25]
	s_and_saveexec_b64 s[24:25], s[22:23]
	s_cbranch_execz .LBB263_23
.LBB263_22:                             ;   in Loop: Header=BB263_12 Depth=1
	v_and_b32_e32 v2, 7, v4
	v_ffbh_u32_e32 v0, v2
	v_min_u32_e32 v6, 32, v0
	v_subrev_u32_e32 v0, 28, v6
	v_bfe_u32 v3, v4, 3, 4
	v_lshlrev_b64 v[0:1], v0, v[4:5]
	v_sub_u32_e32 v1, 29, v6
	v_cmp_eq_u32_e64 s[4:5], 0, v3
	v_and_b32_e32 v0, 7, v0
	s_nop 0
	v_cndmask_b32_e64 v1, v3, v1, s[4:5]
	v_mov_b32_e32 v3, 0x1c00
	v_cndmask_b32_e64 v0, v2, v0, s[4:5]
	v_lshlrev_b32_e32 v2, 8, v4
	v_lshl_add_u32 v1, v1, 10, v3
	v_and_or_b32 v1, v2, s29, v1
	v_lshl_or_b32 v0, v0, 7, v1
	v_cvt_f32_f16_e32 v13, v0
.LBB263_23:                             ;   in Loop: Header=BB263_12 Depth=1
	s_or_b64 exec, exec, s[24:25]
	v_lshrrev_b32_e32 v4, 16, v36
	v_cmp_gt_i16_sdwa s[22:23], v4, s19 src0_sel:BYTE_0 src1_sel:DWORD
	s_mov_b64 s[4:5], 0
                                        ; implicit-def: $sgpr26
	s_and_saveexec_b64 s[24:25], s[22:23]
	s_xor_b64 s[22:23], exec, s[24:25]
	s_cbranch_execnz .LBB263_253
; %bb.24:                               ;   in Loop: Header=BB263_12 Depth=1
	s_or_saveexec_b64 s[22:23], s[22:23]
	v_mov_b32_e32 v16, s26
	s_xor_b64 exec, exec, s[22:23]
	s_cbranch_execnz .LBB263_256
.LBB263_25:                             ;   in Loop: Header=BB263_12 Depth=1
	s_or_b64 exec, exec, s[22:23]
	s_and_saveexec_b64 s[22:23], s[4:5]
	s_cbranch_execz .LBB263_27
.LBB263_26:                             ;   in Loop: Header=BB263_12 Depth=1
	v_bfe_u32 v2, v36, 16, 3
	v_ffbh_u32_e32 v0, v2
	v_min_u32_e32 v6, 32, v0
	v_subrev_u32_e32 v0, 28, v6
	v_bfe_u32 v3, v36, 19, 4
	v_lshlrev_b64 v[0:1], v0, v[4:5]
	v_sub_u32_e32 v1, 29, v6
	v_cmp_eq_u32_e64 s[4:5], 0, v3
	v_and_b32_e32 v0, 7, v0
	s_nop 0
	v_cndmask_b32_e64 v1, v3, v1, s[4:5]
	v_mov_b32_e32 v3, 0x1c00
	v_cndmask_b32_e64 v0, v2, v0, s[4:5]
	v_lshlrev_b32_e32 v2, 8, v4
	v_lshl_add_u32 v1, v1, 10, v3
	v_and_or_b32 v1, v2, s29, v1
	v_lshl_or_b32 v0, v0, 7, v1
	v_cvt_f32_f16_e32 v16, v0
.LBB263_27:                             ;   in Loop: Header=BB263_12 Depth=1
	s_or_b64 exec, exec, s[22:23]
	v_lshrrev_b32_e32 v4, 24, v36
	v_cmp_lt_i16_e64 s[4:5], s19, v4
	s_mov_b64 s[22:23], 0
                                        ; implicit-def: $sgpr30
	s_and_saveexec_b64 s[24:25], s[4:5]
	s_xor_b64 s[24:25], exec, s[24:25]
	s_cbranch_execnz .LBB263_257
; %bb.28:                               ;   in Loop: Header=BB263_12 Depth=1
	s_or_saveexec_b64 s[24:25], s[24:25]
	v_mov_b32_e32 v19, s30
	s_xor_b64 exec, exec, s[24:25]
	s_cbranch_execnz .LBB263_260
.LBB263_29:                             ;   in Loop: Header=BB263_12 Depth=1
	s_or_b64 exec, exec, s[24:25]
	s_and_saveexec_b64 s[24:25], s[22:23]
	s_cbranch_execz .LBB263_31
.LBB263_30:                             ;   in Loop: Header=BB263_12 Depth=1
	v_bfe_u32 v2, v36, 24, 3
	v_ffbh_u32_e32 v0, v2
	v_min_u32_e32 v6, 32, v0
	v_subrev_u32_e32 v0, 28, v6
	v_bfe_u32 v3, v36, 27, 4
	v_lshlrev_b64 v[0:1], v0, v[4:5]
	v_sub_u32_e32 v1, 29, v6
	v_cmp_eq_u32_e64 s[4:5], 0, v3
	v_and_b32_e32 v0, 7, v0
	s_nop 0
	v_cndmask_b32_e64 v1, v3, v1, s[4:5]
	v_mov_b32_e32 v3, 0x1c00
	v_cndmask_b32_e64 v0, v2, v0, s[4:5]
	v_lshlrev_b32_e32 v2, 8, v4
	v_lshl_add_u32 v1, v1, 10, v3
	v_and_or_b32 v1, v2, s29, v1
	v_lshl_or_b32 v0, v0, 7, v1
	v_cvt_f32_f16_e32 v19, v0
.LBB263_31:                             ;   in Loop: Header=BB263_12 Depth=1
	s_or_b64 exec, exec, s[24:25]
	flat_load_dword v36, v[34:35] offset:8
	s_mov_b64 s[4:5], 0
                                        ; implicit-def: $sgpr26
	s_waitcnt vmcnt(0) lgkmcnt(0)
	v_cmp_gt_i16_sdwa s[22:23], v36, s19 src0_sel:BYTE_0 src1_sel:DWORD
	s_and_saveexec_b64 s[24:25], s[22:23]
	s_xor_b64 s[22:23], exec, s[24:25]
	s_cbranch_execnz .LBB263_261
; %bb.32:                               ;   in Loop: Header=BB263_12 Depth=1
	s_or_saveexec_b64 s[22:23], s[22:23]
	v_mov_b32_e32 v24, s26
	s_xor_b64 exec, exec, s[22:23]
	s_cbranch_execnz .LBB263_264
.LBB263_33:                             ;   in Loop: Header=BB263_12 Depth=1
	s_or_b64 exec, exec, s[22:23]
	s_and_saveexec_b64 s[22:23], s[4:5]
	s_cbranch_execz .LBB263_35
.LBB263_34:                             ;   in Loop: Header=BB263_12 Depth=1
	v_and_b32_e32 v2, 7, v36
	v_ffbh_u32_e32 v0, v2
	v_min_u32_e32 v4, 32, v0
	v_subrev_u32_e32 v0, 28, v4
	v_bfe_u32 v3, v36, 3, 4
	v_lshlrev_b64 v[0:1], v0, v[36:37]
	v_sub_u32_e32 v1, 29, v4
	v_cmp_eq_u32_e64 s[4:5], 0, v3
	v_and_b32_e32 v0, 7, v0
	s_nop 0
	v_cndmask_b32_e64 v1, v3, v1, s[4:5]
	v_mov_b32_e32 v3, 0x1c00
	v_cndmask_b32_e64 v0, v2, v0, s[4:5]
	v_lshlrev_b32_e32 v2, 8, v36
	v_lshl_add_u32 v1, v1, 10, v3
	v_and_or_b32 v1, v2, s29, v1
	v_lshl_or_b32 v0, v0, 7, v1
	v_cvt_f32_f16_e32 v24, v0
.LBB263_35:                             ;   in Loop: Header=BB263_12 Depth=1
	s_or_b64 exec, exec, s[22:23]
	v_lshrrev_b16_e32 v4, 8, v36
	v_cmp_lt_i16_e64 s[4:5], s19, v4
	s_mov_b64 s[22:23], 0
                                        ; implicit-def: $sgpr30
	s_and_saveexec_b64 s[24:25], s[4:5]
	s_xor_b64 s[24:25], exec, s[24:25]
	s_cbranch_execnz .LBB263_265
; %bb.36:                               ;   in Loop: Header=BB263_12 Depth=1
	s_or_saveexec_b64 s[24:25], s[24:25]
	v_mov_b32_e32 v32, s30
	s_xor_b64 exec, exec, s[24:25]
	s_cbranch_execnz .LBB263_268
.LBB263_37:                             ;   in Loop: Header=BB263_12 Depth=1
	s_or_b64 exec, exec, s[24:25]
	s_and_saveexec_b64 s[24:25], s[22:23]
	s_cbranch_execz .LBB263_39
.LBB263_38:                             ;   in Loop: Header=BB263_12 Depth=1
	v_and_b32_e32 v2, 7, v4
	v_ffbh_u32_e32 v0, v2
	v_min_u32_e32 v6, 32, v0
	v_subrev_u32_e32 v0, 28, v6
	v_bfe_u32 v3, v4, 3, 4
	v_lshlrev_b64 v[0:1], v0, v[4:5]
	v_sub_u32_e32 v1, 29, v6
	v_cmp_eq_u32_e64 s[4:5], 0, v3
	v_and_b32_e32 v0, 7, v0
	s_nop 0
	v_cndmask_b32_e64 v1, v3, v1, s[4:5]
	v_mov_b32_e32 v3, 0x1c00
	v_cndmask_b32_e64 v0, v2, v0, s[4:5]
	v_lshlrev_b32_e32 v2, 8, v4
	v_lshl_add_u32 v1, v1, 10, v3
	v_and_or_b32 v1, v2, s29, v1
	v_lshl_or_b32 v0, v0, 7, v1
	v_cvt_f32_f16_e32 v32, v0
.LBB263_39:                             ;   in Loop: Header=BB263_12 Depth=1
	s_or_b64 exec, exec, s[24:25]
	v_lshrrev_b32_e32 v4, 16, v36
	v_cmp_gt_i16_sdwa s[22:23], v4, s19 src0_sel:BYTE_0 src1_sel:DWORD
	s_mov_b64 s[4:5], 0
                                        ; implicit-def: $sgpr26
	s_and_saveexec_b64 s[24:25], s[22:23]
	s_xor_b64 s[22:23], exec, s[24:25]
	s_cbranch_execnz .LBB263_269
; %bb.40:                               ;   in Loop: Header=BB263_12 Depth=1
	s_or_saveexec_b64 s[22:23], s[22:23]
	v_mov_b32_e32 v33, s26
	s_xor_b64 exec, exec, s[22:23]
	s_cbranch_execnz .LBB263_272
.LBB263_41:                             ;   in Loop: Header=BB263_12 Depth=1
	s_or_b64 exec, exec, s[22:23]
	s_and_saveexec_b64 s[22:23], s[4:5]
	s_cbranch_execz .LBB263_43
.LBB263_42:                             ;   in Loop: Header=BB263_12 Depth=1
	v_bfe_u32 v2, v36, 16, 3
	v_ffbh_u32_e32 v0, v2
	v_min_u32_e32 v6, 32, v0
	v_subrev_u32_e32 v0, 28, v6
	v_bfe_u32 v3, v36, 19, 4
	v_lshlrev_b64 v[0:1], v0, v[4:5]
	v_sub_u32_e32 v1, 29, v6
	v_cmp_eq_u32_e64 s[4:5], 0, v3
	v_and_b32_e32 v0, 7, v0
	s_nop 0
	v_cndmask_b32_e64 v1, v3, v1, s[4:5]
	v_mov_b32_e32 v3, 0x1c00
	v_cndmask_b32_e64 v0, v2, v0, s[4:5]
	v_lshlrev_b32_e32 v2, 8, v4
	v_lshl_add_u32 v1, v1, 10, v3
	v_and_or_b32 v1, v2, s29, v1
	v_lshl_or_b32 v0, v0, 7, v1
	v_cvt_f32_f16_e32 v33, v0
.LBB263_43:                             ;   in Loop: Header=BB263_12 Depth=1
	s_or_b64 exec, exec, s[22:23]
	v_lshrrev_b32_e32 v4, 24, v36
	v_cmp_lt_i16_e64 s[4:5], s19, v4
	s_mov_b64 s[22:23], 0
                                        ; implicit-def: $sgpr30
	s_and_saveexec_b64 s[24:25], s[4:5]
	s_xor_b64 s[24:25], exec, s[24:25]
	s_cbranch_execnz .LBB263_273
; %bb.44:                               ;   in Loop: Header=BB263_12 Depth=1
	s_or_saveexec_b64 s[24:25], s[24:25]
	v_mov_b32_e32 v26, s30
	s_xor_b64 exec, exec, s[24:25]
	s_cbranch_execnz .LBB263_276
.LBB263_45:                             ;   in Loop: Header=BB263_12 Depth=1
	s_or_b64 exec, exec, s[24:25]
	s_and_saveexec_b64 s[24:25], s[22:23]
	s_cbranch_execz .LBB263_47
.LBB263_46:                             ;   in Loop: Header=BB263_12 Depth=1
	v_bfe_u32 v2, v36, 24, 3
	v_ffbh_u32_e32 v0, v2
	v_min_u32_e32 v6, 32, v0
	v_subrev_u32_e32 v0, 28, v6
	v_bfe_u32 v3, v36, 27, 4
	v_lshlrev_b64 v[0:1], v0, v[4:5]
	v_sub_u32_e32 v1, 29, v6
	v_cmp_eq_u32_e64 s[4:5], 0, v3
	v_and_b32_e32 v0, 7, v0
	s_nop 0
	v_cndmask_b32_e64 v1, v3, v1, s[4:5]
	v_mov_b32_e32 v3, 0x1c00
	v_cndmask_b32_e64 v0, v2, v0, s[4:5]
	v_lshlrev_b32_e32 v2, 8, v4
	v_lshl_add_u32 v1, v1, 10, v3
	v_and_or_b32 v1, v2, s29, v1
	v_lshl_or_b32 v0, v0, 7, v1
	v_cvt_f32_f16_e32 v26, v0
.LBB263_47:                             ;   in Loop: Header=BB263_12 Depth=1
	s_or_b64 exec, exec, s[24:25]
	flat_load_dword v36, v[34:35] offset:512
	s_mov_b64 s[4:5], 0
                                        ; implicit-def: $sgpr26
	s_waitcnt vmcnt(0) lgkmcnt(0)
	v_cmp_gt_i16_sdwa s[22:23], v36, s19 src0_sel:BYTE_0 src1_sel:DWORD
	s_and_saveexec_b64 s[24:25], s[22:23]
	s_xor_b64 s[22:23], exec, s[24:25]
	s_cbranch_execnz .LBB263_277
; %bb.48:                               ;   in Loop: Header=BB263_12 Depth=1
	s_or_saveexec_b64 s[22:23], s[22:23]
	v_mov_b32_e32 v42, s26
	s_xor_b64 exec, exec, s[22:23]
	s_cbranch_execnz .LBB263_280
.LBB263_49:                             ;   in Loop: Header=BB263_12 Depth=1
	s_or_b64 exec, exec, s[22:23]
	s_and_saveexec_b64 s[22:23], s[4:5]
	s_cbranch_execz .LBB263_51
.LBB263_50:                             ;   in Loop: Header=BB263_12 Depth=1
	v_and_b32_e32 v2, 7, v36
	v_ffbh_u32_e32 v0, v2
	v_min_u32_e32 v4, 32, v0
	v_subrev_u32_e32 v0, 28, v4
	v_bfe_u32 v3, v36, 3, 4
	v_lshlrev_b64 v[0:1], v0, v[36:37]
	v_sub_u32_e32 v1, 29, v4
	v_cmp_eq_u32_e64 s[4:5], 0, v3
	v_and_b32_e32 v0, 7, v0
	s_nop 0
	v_cndmask_b32_e64 v1, v3, v1, s[4:5]
	v_mov_b32_e32 v3, 0x1c00
	v_cndmask_b32_e64 v0, v2, v0, s[4:5]
	v_lshlrev_b32_e32 v2, 8, v36
	v_lshl_add_u32 v1, v1, 10, v3
	v_and_or_b32 v1, v2, s29, v1
	v_lshl_or_b32 v0, v0, 7, v1
	v_cvt_f32_f16_e32 v42, v0
.LBB263_51:                             ;   in Loop: Header=BB263_12 Depth=1
	s_or_b64 exec, exec, s[22:23]
	v_lshrrev_b16_e32 v4, 8, v36
	v_cmp_lt_i16_e64 s[4:5], s19, v4
	s_mov_b64 s[22:23], 0
                                        ; implicit-def: $sgpr30
	s_and_saveexec_b64 s[24:25], s[4:5]
	s_xor_b64 s[24:25], exec, s[24:25]
	s_cbranch_execnz .LBB263_281
; %bb.52:                               ;   in Loop: Header=BB263_12 Depth=1
	s_or_saveexec_b64 s[24:25], s[24:25]
	v_mov_b32_e32 v44, s30
	s_xor_b64 exec, exec, s[24:25]
	s_cbranch_execnz .LBB263_284
.LBB263_53:                             ;   in Loop: Header=BB263_12 Depth=1
	s_or_b64 exec, exec, s[24:25]
	s_and_saveexec_b64 s[24:25], s[22:23]
	s_cbranch_execz .LBB263_55
.LBB263_54:                             ;   in Loop: Header=BB263_12 Depth=1
	v_and_b32_e32 v2, 7, v4
	v_ffbh_u32_e32 v0, v2
	v_min_u32_e32 v6, 32, v0
	v_subrev_u32_e32 v0, 28, v6
	v_bfe_u32 v3, v4, 3, 4
	v_lshlrev_b64 v[0:1], v0, v[4:5]
	v_sub_u32_e32 v1, 29, v6
	v_cmp_eq_u32_e64 s[4:5], 0, v3
	v_and_b32_e32 v0, 7, v0
	s_nop 0
	v_cndmask_b32_e64 v1, v3, v1, s[4:5]
	v_mov_b32_e32 v3, 0x1c00
	v_cndmask_b32_e64 v0, v2, v0, s[4:5]
	v_lshlrev_b32_e32 v2, 8, v4
	v_lshl_add_u32 v1, v1, 10, v3
	v_and_or_b32 v1, v2, s29, v1
	v_lshl_or_b32 v0, v0, 7, v1
	v_cvt_f32_f16_e32 v44, v0
.LBB263_55:                             ;   in Loop: Header=BB263_12 Depth=1
	s_or_b64 exec, exec, s[24:25]
	v_lshrrev_b32_e32 v4, 16, v36
	v_cmp_gt_i16_sdwa s[22:23], v4, s19 src0_sel:BYTE_0 src1_sel:DWORD
	s_mov_b64 s[4:5], 0
                                        ; implicit-def: $sgpr26
	s_and_saveexec_b64 s[24:25], s[22:23]
	s_xor_b64 s[22:23], exec, s[24:25]
	s_cbranch_execnz .LBB263_285
; %bb.56:                               ;   in Loop: Header=BB263_12 Depth=1
	s_or_saveexec_b64 s[22:23], s[22:23]
	v_mov_b32_e32 v46, s26
	s_xor_b64 exec, exec, s[22:23]
	s_cbranch_execnz .LBB263_288
.LBB263_57:                             ;   in Loop: Header=BB263_12 Depth=1
	s_or_b64 exec, exec, s[22:23]
	s_and_saveexec_b64 s[22:23], s[4:5]
	s_cbranch_execz .LBB263_59
.LBB263_58:                             ;   in Loop: Header=BB263_12 Depth=1
	v_bfe_u32 v2, v36, 16, 3
	v_ffbh_u32_e32 v0, v2
	v_min_u32_e32 v6, 32, v0
	v_subrev_u32_e32 v0, 28, v6
	v_bfe_u32 v3, v36, 19, 4
	v_lshlrev_b64 v[0:1], v0, v[4:5]
	v_sub_u32_e32 v1, 29, v6
	v_cmp_eq_u32_e64 s[4:5], 0, v3
	v_and_b32_e32 v0, 7, v0
	s_nop 0
	v_cndmask_b32_e64 v1, v3, v1, s[4:5]
	v_mov_b32_e32 v3, 0x1c00
	v_cndmask_b32_e64 v0, v2, v0, s[4:5]
	v_lshlrev_b32_e32 v2, 8, v4
	v_lshl_add_u32 v1, v1, 10, v3
	v_and_or_b32 v1, v2, s29, v1
	v_lshl_or_b32 v0, v0, 7, v1
	v_cvt_f32_f16_e32 v46, v0
.LBB263_59:                             ;   in Loop: Header=BB263_12 Depth=1
	s_or_b64 exec, exec, s[22:23]
	v_lshrrev_b32_e32 v4, 24, v36
	v_cmp_lt_i16_e64 s[4:5], s19, v4
	s_mov_b64 s[22:23], 0
                                        ; implicit-def: $sgpr30
	s_and_saveexec_b64 s[24:25], s[4:5]
	s_xor_b64 s[24:25], exec, s[24:25]
	s_cbranch_execnz .LBB263_289
; %bb.60:                               ;   in Loop: Header=BB263_12 Depth=1
	s_or_saveexec_b64 s[24:25], s[24:25]
	v_mov_b32_e32 v49, s30
	s_xor_b64 exec, exec, s[24:25]
	s_cbranch_execnz .LBB263_292
.LBB263_61:                             ;   in Loop: Header=BB263_12 Depth=1
	s_or_b64 exec, exec, s[24:25]
	s_and_saveexec_b64 s[24:25], s[22:23]
	s_cbranch_execz .LBB263_63
.LBB263_62:                             ;   in Loop: Header=BB263_12 Depth=1
	v_bfe_u32 v2, v36, 24, 3
	v_ffbh_u32_e32 v0, v2
	v_min_u32_e32 v6, 32, v0
	v_subrev_u32_e32 v0, 28, v6
	v_bfe_u32 v3, v36, 27, 4
	v_lshlrev_b64 v[0:1], v0, v[4:5]
	v_sub_u32_e32 v1, 29, v6
	v_cmp_eq_u32_e64 s[4:5], 0, v3
	v_and_b32_e32 v0, 7, v0
	s_nop 0
	v_cndmask_b32_e64 v1, v3, v1, s[4:5]
	v_mov_b32_e32 v3, 0x1c00
	v_cndmask_b32_e64 v0, v2, v0, s[4:5]
	v_lshlrev_b32_e32 v2, 8, v4
	v_lshl_add_u32 v1, v1, 10, v3
	v_and_or_b32 v1, v2, s29, v1
	v_lshl_or_b32 v0, v0, 7, v1
	v_cvt_f32_f16_e32 v49, v0
.LBB263_63:                             ;   in Loop: Header=BB263_12 Depth=1
	s_or_b64 exec, exec, s[24:25]
	flat_load_dword v36, v[34:35] offset:520
	s_mov_b64 s[4:5], 0
                                        ; implicit-def: $sgpr26
	s_waitcnt vmcnt(0) lgkmcnt(0)
	v_cmp_gt_i16_sdwa s[22:23], v36, s19 src0_sel:BYTE_0 src1_sel:DWORD
	s_and_saveexec_b64 s[24:25], s[22:23]
	s_xor_b64 s[22:23], exec, s[24:25]
	s_cbranch_execnz .LBB263_293
; %bb.64:                               ;   in Loop: Header=BB263_12 Depth=1
	s_or_saveexec_b64 s[22:23], s[22:23]
	v_mov_b32_e32 v0, s26
	s_xor_b64 exec, exec, s[22:23]
	s_cbranch_execnz .LBB263_296
.LBB263_65:                             ;   in Loop: Header=BB263_12 Depth=1
	s_or_b64 exec, exec, s[22:23]
	s_and_saveexec_b64 s[22:23], s[4:5]
	s_cbranch_execz .LBB263_67
.LBB263_66:                             ;   in Loop: Header=BB263_12 Depth=1
	v_and_b32_e32 v2, 7, v36
	v_ffbh_u32_e32 v0, v2
	v_min_u32_e32 v4, 32, v0
	v_subrev_u32_e32 v0, 28, v4
	v_bfe_u32 v3, v36, 3, 4
	v_lshlrev_b64 v[0:1], v0, v[36:37]
	v_sub_u32_e32 v1, 29, v4
	v_cmp_eq_u32_e64 s[4:5], 0, v3
	v_and_b32_e32 v0, 7, v0
	s_nop 0
	v_cndmask_b32_e64 v1, v3, v1, s[4:5]
	v_mov_b32_e32 v3, 0x1c00
	v_cndmask_b32_e64 v0, v2, v0, s[4:5]
	v_lshlrev_b32_e32 v2, 8, v36
	v_lshl_add_u32 v1, v1, 10, v3
	v_and_or_b32 v1, v2, s29, v1
	v_lshl_or_b32 v0, v0, 7, v1
	v_cvt_f32_f16_e32 v0, v0
.LBB263_67:                             ;   in Loop: Header=BB263_12 Depth=1
	s_or_b64 exec, exec, s[22:23]
	v_lshrrev_b16_e32 v4, 8, v36
	v_accvgpr_write_b32 a48, v0
	v_cmp_lt_i16_e64 s[4:5], s19, v4
	s_mov_b64 s[22:23], 0
                                        ; implicit-def: $sgpr30
	s_and_saveexec_b64 s[24:25], s[4:5]
	s_xor_b64 s[24:25], exec, s[24:25]
	s_cbranch_execnz .LBB263_297
; %bb.68:                               ;   in Loop: Header=BB263_12 Depth=1
	s_or_saveexec_b64 s[24:25], s[24:25]
	v_mov_b32_e32 v54, s30
	s_xor_b64 exec, exec, s[24:25]
	s_cbranch_execnz .LBB263_300
.LBB263_69:                             ;   in Loop: Header=BB263_12 Depth=1
	s_or_b64 exec, exec, s[24:25]
	s_and_saveexec_b64 s[24:25], s[22:23]
	s_cbranch_execz .LBB263_71
.LBB263_70:                             ;   in Loop: Header=BB263_12 Depth=1
	v_and_b32_e32 v1, 7, v4
	v_ffbh_u32_e32 v2, v1
	v_min_u32_e32 v7, 32, v2
	v_subrev_u32_e32 v2, 28, v7
	v_bfe_u32 v6, v4, 3, 4
	v_lshlrev_b64 v[2:3], v2, v[4:5]
	v_sub_u32_e32 v3, 29, v7
	v_cmp_eq_u32_e64 s[4:5], 0, v6
	v_and_b32_e32 v2, 7, v2
	v_mov_b32_e32 v0, 0x1c00
	v_cndmask_b32_e64 v3, v6, v3, s[4:5]
	v_cndmask_b32_e64 v1, v1, v2, s[4:5]
	v_lshlrev_b32_e32 v2, 8, v4
	v_lshl_add_u32 v3, v3, 10, v0
	v_and_or_b32 v2, v2, s29, v3
	v_lshl_or_b32 v1, v1, 7, v2
	v_cvt_f32_f16_e32 v54, v1
.LBB263_71:                             ;   in Loop: Header=BB263_12 Depth=1
	s_or_b64 exec, exec, s[24:25]
	v_lshrrev_b32_e32 v4, 16, v36
	v_cmp_gt_i16_sdwa s[22:23], v4, s19 src0_sel:BYTE_0 src1_sel:DWORD
	s_mov_b64 s[4:5], 0
                                        ; implicit-def: $sgpr26
	s_and_saveexec_b64 s[24:25], s[22:23]
	s_xor_b64 s[22:23], exec, s[24:25]
	s_cbranch_execnz .LBB263_301
; %bb.72:                               ;   in Loop: Header=BB263_12 Depth=1
	s_or_saveexec_b64 s[22:23], s[22:23]
	v_mov_b32_e32 v1, s26
	s_xor_b64 exec, exec, s[22:23]
	s_cbranch_execnz .LBB263_304
.LBB263_73:                             ;   in Loop: Header=BB263_12 Depth=1
	s_or_b64 exec, exec, s[22:23]
	s_and_saveexec_b64 s[22:23], s[4:5]
	s_cbranch_execz .LBB263_75
.LBB263_74:                             ;   in Loop: Header=BB263_12 Depth=1
	v_bfe_u32 v6, v36, 16, 3
	v_ffbh_u32_e32 v2, v6
	v_min_u32_e32 v8, 32, v2
	v_subrev_u32_e32 v2, 28, v8
	v_bfe_u32 v7, v36, 19, 4
	v_lshlrev_b64 v[2:3], v2, v[4:5]
	v_sub_u32_e32 v3, 29, v8
	v_cmp_eq_u32_e64 s[4:5], 0, v7
	v_mov_b32_e32 v0, 0x1c00
	v_and_b32_e32 v2, 7, v2
	v_cndmask_b32_e64 v3, v7, v3, s[4:5]
	v_lshlrev_b32_e32 v4, 8, v4
	v_lshl_add_u32 v3, v3, 10, v0
	v_cndmask_b32_e64 v2, v6, v2, s[4:5]
	v_and_or_b32 v3, v4, s29, v3
	v_lshl_or_b32 v2, v2, 7, v3
	v_cvt_f32_f16_e32 v1, v2
.LBB263_75:                             ;   in Loop: Header=BB263_12 Depth=1
	s_or_b64 exec, exec, s[22:23]
	v_lshrrev_b32_e32 v4, 24, v36
	v_cmp_lt_i16_e64 s[4:5], s19, v4
	s_mov_b64 s[22:23], 0
                                        ; implicit-def: $sgpr30
	s_and_saveexec_b64 s[24:25], s[4:5]
	s_xor_b64 s[24:25], exec, s[24:25]
	s_cbranch_execnz .LBB263_305
; %bb.76:                               ;   in Loop: Header=BB263_12 Depth=1
	s_or_saveexec_b64 s[24:25], s[24:25]
	v_mov_b32_e32 v52, s30
	s_xor_b64 exec, exec, s[24:25]
	s_cbranch_execnz .LBB263_308
.LBB263_77:                             ;   in Loop: Header=BB263_12 Depth=1
	s_or_b64 exec, exec, s[24:25]
	s_and_saveexec_b64 s[24:25], s[22:23]
	s_cbranch_execz .LBB263_79
.LBB263_78:                             ;   in Loop: Header=BB263_12 Depth=1
	v_bfe_u32 v6, v36, 24, 3
	v_ffbh_u32_e32 v2, v6
	v_min_u32_e32 v8, 32, v2
	v_subrev_u32_e32 v2, 28, v8
	v_bfe_u32 v7, v36, 27, 4
	v_lshlrev_b64 v[2:3], v2, v[4:5]
	v_sub_u32_e32 v3, 29, v8
	v_cmp_eq_u32_e64 s[4:5], 0, v7
	v_mov_b32_e32 v0, 0x1c00
	v_and_b32_e32 v2, 7, v2
	v_cndmask_b32_e64 v3, v7, v3, s[4:5]
	v_lshlrev_b32_e32 v4, 8, v4
	v_lshl_add_u32 v3, v3, 10, v0
	v_cndmask_b32_e64 v2, v6, v2, s[4:5]
	v_and_or_b32 v3, v4, s29, v3
	v_lshl_or_b32 v2, v2, 7, v3
	v_cvt_f32_f16_e32 v52, v2
.LBB263_79:                             ;   in Loop: Header=BB263_12 Depth=1
	s_or_b64 exec, exec, s[24:25]
	flat_load_dword v36, v[34:35] offset:1024
	s_mov_b64 s[4:5], 0
                                        ; implicit-def: $sgpr26
	s_waitcnt vmcnt(0) lgkmcnt(0)
	v_cmp_gt_i16_sdwa s[22:23], v36, s19 src0_sel:BYTE_0 src1_sel:DWORD
	s_and_saveexec_b64 s[24:25], s[22:23]
	s_xor_b64 s[22:23], exec, s[24:25]
	s_cbranch_execnz .LBB263_309
; %bb.80:                               ;   in Loop: Header=BB263_12 Depth=1
	s_or_saveexec_b64 s[22:23], s[22:23]
	v_mov_b32_e32 v53, s26
	s_xor_b64 exec, exec, s[22:23]
	s_cbranch_execnz .LBB263_312
.LBB263_81:                             ;   in Loop: Header=BB263_12 Depth=1
	s_or_b64 exec, exec, s[22:23]
	s_and_saveexec_b64 s[22:23], s[4:5]
	s_cbranch_execz .LBB263_83
.LBB263_82:                             ;   in Loop: Header=BB263_12 Depth=1
	v_and_b32_e32 v4, 7, v36
	v_ffbh_u32_e32 v2, v4
	v_min_u32_e32 v7, 32, v2
	v_subrev_u32_e32 v2, 28, v7
	v_bfe_u32 v6, v36, 3, 4
	v_lshlrev_b64 v[2:3], v2, v[36:37]
	v_sub_u32_e32 v3, 29, v7
	v_cmp_eq_u32_e64 s[4:5], 0, v6
	v_and_b32_e32 v2, 7, v2
	v_mov_b32_e32 v0, 0x1c00
	v_cndmask_b32_e64 v3, v6, v3, s[4:5]
	v_cndmask_b32_e64 v2, v4, v2, s[4:5]
	v_lshlrev_b32_e32 v4, 8, v36
	v_lshl_add_u32 v3, v3, 10, v0
	v_and_or_b32 v3, v4, s29, v3
	v_lshl_or_b32 v2, v2, 7, v3
	v_cvt_f32_f16_e32 v53, v2
.LBB263_83:                             ;   in Loop: Header=BB263_12 Depth=1
	s_or_b64 exec, exec, s[22:23]
	v_lshrrev_b16_e32 v4, 8, v36
	v_cmp_lt_i16_e64 s[4:5], s19, v4
	s_mov_b64 s[22:23], 0
                                        ; implicit-def: $sgpr30
	s_and_saveexec_b64 s[24:25], s[4:5]
	s_xor_b64 s[24:25], exec, s[24:25]
	s_cbranch_execnz .LBB263_313
; %bb.84:                               ;   in Loop: Header=BB263_12 Depth=1
	s_or_saveexec_b64 s[24:25], s[24:25]
	v_mov_b32_e32 v40, s30
	s_xor_b64 exec, exec, s[24:25]
	s_cbranch_execnz .LBB263_316
.LBB263_85:                             ;   in Loop: Header=BB263_12 Depth=1
	s_or_b64 exec, exec, s[24:25]
	s_and_saveexec_b64 s[24:25], s[22:23]
	s_cbranch_execz .LBB263_87
.LBB263_86:                             ;   in Loop: Header=BB263_12 Depth=1
	v_and_b32_e32 v6, 7, v4
	v_ffbh_u32_e32 v2, v6
	v_min_u32_e32 v8, 32, v2
	v_subrev_u32_e32 v2, 28, v8
	v_bfe_u32 v7, v4, 3, 4
	v_lshlrev_b64 v[2:3], v2, v[4:5]
	v_sub_u32_e32 v3, 29, v8
	v_cmp_eq_u32_e64 s[4:5], 0, v7
	v_mov_b32_e32 v0, 0x1c00
	v_and_b32_e32 v2, 7, v2
	v_cndmask_b32_e64 v3, v7, v3, s[4:5]
	v_lshlrev_b32_e32 v4, 8, v4
	v_lshl_add_u32 v3, v3, 10, v0
	v_cndmask_b32_e64 v2, v6, v2, s[4:5]
	v_and_or_b32 v3, v4, s29, v3
	v_lshl_or_b32 v2, v2, 7, v3
	v_cvt_f32_f16_e32 v40, v2
.LBB263_87:                             ;   in Loop: Header=BB263_12 Depth=1
	s_or_b64 exec, exec, s[24:25]
	v_lshrrev_b32_e32 v4, 16, v36
	v_cmp_gt_i16_sdwa s[22:23], v4, s19 src0_sel:BYTE_0 src1_sel:DWORD
	s_mov_b64 s[4:5], 0
                                        ; implicit-def: $sgpr26
	s_and_saveexec_b64 s[24:25], s[22:23]
	s_xor_b64 s[22:23], exec, s[24:25]
	s_cbranch_execnz .LBB263_317
; %bb.88:                               ;   in Loop: Header=BB263_12 Depth=1
	s_or_saveexec_b64 s[22:23], s[22:23]
	v_mov_b32_e32 v41, s26
	s_xor_b64 exec, exec, s[22:23]
	s_cbranch_execnz .LBB263_320
.LBB263_89:                             ;   in Loop: Header=BB263_12 Depth=1
	s_or_b64 exec, exec, s[22:23]
	s_and_saveexec_b64 s[22:23], s[4:5]
	s_cbranch_execz .LBB263_91
.LBB263_90:                             ;   in Loop: Header=BB263_12 Depth=1
	v_bfe_u32 v6, v36, 16, 3
	v_ffbh_u32_e32 v2, v6
	v_min_u32_e32 v8, 32, v2
	v_subrev_u32_e32 v2, 28, v8
	v_bfe_u32 v7, v36, 19, 4
	v_lshlrev_b64 v[2:3], v2, v[4:5]
	v_sub_u32_e32 v3, 29, v8
	v_cmp_eq_u32_e64 s[4:5], 0, v7
	v_mov_b32_e32 v0, 0x1c00
	v_and_b32_e32 v2, 7, v2
	v_cndmask_b32_e64 v3, v7, v3, s[4:5]
	v_lshlrev_b32_e32 v4, 8, v4
	v_lshl_add_u32 v3, v3, 10, v0
	v_cndmask_b32_e64 v2, v6, v2, s[4:5]
	v_and_or_b32 v3, v4, s29, v3
	v_lshl_or_b32 v2, v2, 7, v3
	v_cvt_f32_f16_e32 v41, v2
.LBB263_91:                             ;   in Loop: Header=BB263_12 Depth=1
	s_or_b64 exec, exec, s[22:23]
	v_lshrrev_b32_e32 v4, 24, v36
	v_cmp_lt_i16_e64 s[4:5], s19, v4
	s_mov_b64 s[22:23], 0
                                        ; implicit-def: $sgpr30
	s_and_saveexec_b64 s[24:25], s[4:5]
	s_xor_b64 s[24:25], exec, s[24:25]
	s_cbranch_execnz .LBB263_321
; %bb.92:                               ;   in Loop: Header=BB263_12 Depth=1
	s_or_saveexec_b64 s[24:25], s[24:25]
	v_mov_b32_e32 v12, s30
	s_xor_b64 exec, exec, s[24:25]
	s_cbranch_execnz .LBB263_324
.LBB263_93:                             ;   in Loop: Header=BB263_12 Depth=1
	s_or_b64 exec, exec, s[24:25]
	s_and_saveexec_b64 s[24:25], s[22:23]
	s_cbranch_execz .LBB263_95
.LBB263_94:                             ;   in Loop: Header=BB263_12 Depth=1
	v_bfe_u32 v6, v36, 24, 3
	v_ffbh_u32_e32 v2, v6
	v_min_u32_e32 v8, 32, v2
	v_subrev_u32_e32 v2, 28, v8
	v_bfe_u32 v7, v36, 27, 4
	v_lshlrev_b64 v[2:3], v2, v[4:5]
	v_sub_u32_e32 v3, 29, v8
	v_cmp_eq_u32_e64 s[4:5], 0, v7
	v_mov_b32_e32 v0, 0x1c00
	v_and_b32_e32 v2, 7, v2
	v_cndmask_b32_e64 v3, v7, v3, s[4:5]
	v_lshlrev_b32_e32 v4, 8, v4
	v_lshl_add_u32 v3, v3, 10, v0
	v_cndmask_b32_e64 v2, v6, v2, s[4:5]
	v_and_or_b32 v3, v4, s29, v3
	v_lshl_or_b32 v2, v2, 7, v3
	v_cvt_f32_f16_e32 v12, v2
.LBB263_95:                             ;   in Loop: Header=BB263_12 Depth=1
	s_or_b64 exec, exec, s[24:25]
	flat_load_dword v36, v[34:35] offset:1032
	s_mov_b64 s[4:5], 0
                                        ; implicit-def: $sgpr26
	s_waitcnt vmcnt(0) lgkmcnt(0)
	v_cmp_gt_i16_sdwa s[22:23], v36, s19 src0_sel:BYTE_0 src1_sel:DWORD
	s_and_saveexec_b64 s[24:25], s[22:23]
	s_xor_b64 s[22:23], exec, s[24:25]
	s_cbranch_execnz .LBB263_325
; %bb.96:                               ;   in Loop: Header=BB263_12 Depth=1
	s_or_saveexec_b64 s[22:23], s[22:23]
	v_mov_b32_e32 v25, s26
	s_xor_b64 exec, exec, s[22:23]
	s_cbranch_execnz .LBB263_328
.LBB263_97:                             ;   in Loop: Header=BB263_12 Depth=1
	s_or_b64 exec, exec, s[22:23]
	s_and_saveexec_b64 s[22:23], s[4:5]
	s_cbranch_execz .LBB263_99
.LBB263_98:                             ;   in Loop: Header=BB263_12 Depth=1
	v_and_b32_e32 v4, 7, v36
	v_ffbh_u32_e32 v2, v4
	v_min_u32_e32 v7, 32, v2
	v_subrev_u32_e32 v2, 28, v7
	v_bfe_u32 v6, v36, 3, 4
	v_lshlrev_b64 v[2:3], v2, v[36:37]
	v_sub_u32_e32 v3, 29, v7
	v_cmp_eq_u32_e64 s[4:5], 0, v6
	v_and_b32_e32 v2, 7, v2
	v_mov_b32_e32 v0, 0x1c00
	v_cndmask_b32_e64 v3, v6, v3, s[4:5]
	v_cndmask_b32_e64 v2, v4, v2, s[4:5]
	v_lshlrev_b32_e32 v4, 8, v36
	v_lshl_add_u32 v3, v3, 10, v0
	v_and_or_b32 v3, v4, s29, v3
	v_lshl_or_b32 v2, v2, 7, v3
	v_cvt_f32_f16_e32 v25, v2
.LBB263_99:                             ;   in Loop: Header=BB263_12 Depth=1
	s_or_b64 exec, exec, s[22:23]
	v_lshrrev_b16_e32 v4, 8, v36
	v_cmp_lt_i16_e64 s[4:5], s19, v4
	s_mov_b64 s[22:23], 0
                                        ; implicit-def: $sgpr30
	s_and_saveexec_b64 s[24:25], s[4:5]
	s_xor_b64 s[24:25], exec, s[24:25]
	s_cbranch_execnz .LBB263_329
; %bb.100:                              ;   in Loop: Header=BB263_12 Depth=1
	s_or_saveexec_b64 s[24:25], s[24:25]
	v_mov_b32_e32 v6, s30
	s_xor_b64 exec, exec, s[24:25]
	s_cbranch_execnz .LBB263_332
.LBB263_101:                            ;   in Loop: Header=BB263_12 Depth=1
	s_or_b64 exec, exec, s[24:25]
	s_and_saveexec_b64 s[24:25], s[22:23]
	s_cbranch_execz .LBB263_103
.LBB263_102:                            ;   in Loop: Header=BB263_12 Depth=1
	v_and_b32_e32 v6, 7, v4
	v_ffbh_u32_e32 v2, v6
	v_min_u32_e32 v8, 32, v2
	v_subrev_u32_e32 v2, 28, v8
	v_bfe_u32 v7, v4, 3, 4
	v_lshlrev_b64 v[2:3], v2, v[4:5]
	v_sub_u32_e32 v3, 29, v8
	v_cmp_eq_u32_e64 s[4:5], 0, v7
	v_mov_b32_e32 v0, 0x1c00
	v_and_b32_e32 v2, 7, v2
	v_cndmask_b32_e64 v3, v7, v3, s[4:5]
	v_lshlrev_b32_e32 v4, 8, v4
	v_lshl_add_u32 v3, v3, 10, v0
	v_cndmask_b32_e64 v2, v6, v2, s[4:5]
	v_and_or_b32 v3, v4, s29, v3
	v_lshl_or_b32 v2, v2, 7, v3
	v_cvt_f32_f16_e32 v6, v2
.LBB263_103:                            ;   in Loop: Header=BB263_12 Depth=1
	s_or_b64 exec, exec, s[24:25]
	v_lshrrev_b32_e32 v4, 16, v36
	v_cmp_gt_i16_sdwa s[22:23], v4, s19 src0_sel:BYTE_0 src1_sel:DWORD
	s_mov_b64 s[4:5], 0
                                        ; implicit-def: $sgpr26
	s_and_saveexec_b64 s[24:25], s[22:23]
	s_xor_b64 s[22:23], exec, s[24:25]
	s_cbranch_execnz .LBB263_333
; %bb.104:                              ;   in Loop: Header=BB263_12 Depth=1
	s_or_saveexec_b64 s[22:23], s[22:23]
	v_mov_b32_e32 v7, s26
	s_xor_b64 exec, exec, s[22:23]
	s_cbranch_execnz .LBB263_336
.LBB263_105:                            ;   in Loop: Header=BB263_12 Depth=1
	s_or_b64 exec, exec, s[22:23]
	s_and_saveexec_b64 s[22:23], s[4:5]
	s_cbranch_execz .LBB263_107
.LBB263_106:                            ;   in Loop: Header=BB263_12 Depth=1
	v_bfe_u32 v7, v36, 16, 3
	v_ffbh_u32_e32 v2, v7
	v_min_u32_e32 v9, 32, v2
	v_subrev_u32_e32 v2, 28, v9
	v_bfe_u32 v8, v36, 19, 4
	v_lshlrev_b64 v[2:3], v2, v[4:5]
	v_sub_u32_e32 v3, 29, v9
	v_cmp_eq_u32_e64 s[4:5], 0, v8
	v_mov_b32_e32 v0, 0x1c00
	v_and_b32_e32 v2, 7, v2
	v_cndmask_b32_e64 v3, v8, v3, s[4:5]
	v_lshlrev_b32_e32 v4, 8, v4
	v_lshl_add_u32 v3, v3, 10, v0
	v_cndmask_b32_e64 v2, v7, v2, s[4:5]
	v_and_or_b32 v3, v4, s29, v3
	v_lshl_or_b32 v2, v2, 7, v3
	v_cvt_f32_f16_e32 v7, v2
.LBB263_107:                            ;   in Loop: Header=BB263_12 Depth=1
	s_or_b64 exec, exec, s[22:23]
	v_lshrrev_b32_e32 v4, 24, v36
	v_cmp_lt_i16_e64 s[4:5], s19, v4
	s_mov_b64 s[22:23], 0
                                        ; implicit-def: $sgpr30
	s_and_saveexec_b64 s[24:25], s[4:5]
	s_xor_b64 s[24:25], exec, s[24:25]
	s_cbranch_execnz .LBB263_337
; %bb.108:                              ;   in Loop: Header=BB263_12 Depth=1
	s_or_saveexec_b64 s[24:25], s[24:25]
	v_mov_b32_e32 v10, s30
	s_xor_b64 exec, exec, s[24:25]
	s_cbranch_execnz .LBB263_340
.LBB263_109:                            ;   in Loop: Header=BB263_12 Depth=1
	s_or_b64 exec, exec, s[24:25]
	s_and_saveexec_b64 s[24:25], s[22:23]
	s_cbranch_execz .LBB263_111
.LBB263_110:                            ;   in Loop: Header=BB263_12 Depth=1
	v_bfe_u32 v8, v36, 24, 3
	v_ffbh_u32_e32 v2, v8
	v_min_u32_e32 v10, 32, v2
	v_subrev_u32_e32 v2, 28, v10
	v_bfe_u32 v9, v36, 27, 4
	v_lshlrev_b64 v[2:3], v2, v[4:5]
	v_sub_u32_e32 v3, 29, v10
	v_cmp_eq_u32_e64 s[4:5], 0, v9
	v_mov_b32_e32 v0, 0x1c00
	v_and_b32_e32 v2, 7, v2
	v_cndmask_b32_e64 v3, v9, v3, s[4:5]
	v_lshlrev_b32_e32 v4, 8, v4
	v_lshl_add_u32 v3, v3, 10, v0
	v_cndmask_b32_e64 v2, v8, v2, s[4:5]
	v_and_or_b32 v3, v4, s29, v3
	v_lshl_or_b32 v2, v2, 7, v3
	v_cvt_f32_f16_e32 v10, v2
.LBB263_111:                            ;   in Loop: Header=BB263_12 Depth=1
	s_or_b64 exec, exec, s[24:25]
	flat_load_dword v36, v[34:35] offset:1536
	s_mov_b64 s[4:5], 0
                                        ; implicit-def: $sgpr26
	s_waitcnt vmcnt(0) lgkmcnt(0)
	v_cmp_gt_i16_sdwa s[22:23], v36, s19 src0_sel:BYTE_0 src1_sel:DWORD
	s_and_saveexec_b64 s[24:25], s[22:23]
	s_xor_b64 s[22:23], exec, s[24:25]
	s_cbranch_execnz .LBB263_341
; %bb.112:                              ;   in Loop: Header=BB263_12 Depth=1
	s_or_saveexec_b64 s[22:23], s[22:23]
	v_mov_b32_e32 v11, s26
	s_xor_b64 exec, exec, s[22:23]
	s_cbranch_execnz .LBB263_344
.LBB263_113:                            ;   in Loop: Header=BB263_12 Depth=1
	s_or_b64 exec, exec, s[22:23]
	s_and_saveexec_b64 s[22:23], s[4:5]
	s_cbranch_execz .LBB263_115
.LBB263_114:                            ;   in Loop: Header=BB263_12 Depth=1
	v_and_b32_e32 v4, 7, v36
	v_ffbh_u32_e32 v2, v4
	v_min_u32_e32 v9, 32, v2
	v_subrev_u32_e32 v2, 28, v9
	v_bfe_u32 v8, v36, 3, 4
	v_lshlrev_b64 v[2:3], v2, v[36:37]
	v_sub_u32_e32 v3, 29, v9
	v_cmp_eq_u32_e64 s[4:5], 0, v8
	v_and_b32_e32 v2, 7, v2
	v_mov_b32_e32 v0, 0x1c00
	v_cndmask_b32_e64 v3, v8, v3, s[4:5]
	v_cndmask_b32_e64 v2, v4, v2, s[4:5]
	v_lshlrev_b32_e32 v4, 8, v36
	v_lshl_add_u32 v3, v3, 10, v0
	v_and_or_b32 v3, v4, s29, v3
	v_lshl_or_b32 v2, v2, 7, v3
	v_cvt_f32_f16_e32 v11, v2
.LBB263_115:                            ;   in Loop: Header=BB263_12 Depth=1
	s_or_b64 exec, exec, s[22:23]
	v_lshrrev_b16_e32 v4, 8, v36
	v_cmp_lt_i16_e64 s[4:5], s19, v4
	s_mov_b64 s[22:23], 0
                                        ; implicit-def: $sgpr30
	s_and_saveexec_b64 s[24:25], s[4:5]
	s_xor_b64 s[24:25], exec, s[24:25]
	s_cbranch_execnz .LBB263_345
; %bb.116:                              ;   in Loop: Header=BB263_12 Depth=1
	s_or_saveexec_b64 s[24:25], s[24:25]
	v_mov_b32_e32 v43, s30
	s_xor_b64 exec, exec, s[24:25]
	s_cbranch_execnz .LBB263_348
.LBB263_117:                            ;   in Loop: Header=BB263_12 Depth=1
	s_or_b64 exec, exec, s[24:25]
	s_and_saveexec_b64 s[24:25], s[22:23]
	s_cbranch_execz .LBB263_119
.LBB263_118:                            ;   in Loop: Header=BB263_12 Depth=1
	v_and_b32_e32 v8, 7, v4
	v_ffbh_u32_e32 v2, v8
	v_min_u32_e32 v14, 32, v2
	v_subrev_u32_e32 v2, 28, v14
	v_bfe_u32 v9, v4, 3, 4
	v_lshlrev_b64 v[2:3], v2, v[4:5]
	v_sub_u32_e32 v3, 29, v14
	v_cmp_eq_u32_e64 s[4:5], 0, v9
	v_mov_b32_e32 v0, 0x1c00
	v_and_b32_e32 v2, 7, v2
	v_cndmask_b32_e64 v3, v9, v3, s[4:5]
	v_lshlrev_b32_e32 v4, 8, v4
	v_lshl_add_u32 v3, v3, 10, v0
	v_cndmask_b32_e64 v2, v8, v2, s[4:5]
	v_and_or_b32 v3, v4, s29, v3
	v_lshl_or_b32 v2, v2, 7, v3
	v_cvt_f32_f16_e32 v43, v2
.LBB263_119:                            ;   in Loop: Header=BB263_12 Depth=1
	s_or_b64 exec, exec, s[24:25]
	v_lshrrev_b32_e32 v4, 16, v36
	v_cmp_gt_i16_sdwa s[22:23], v4, s19 src0_sel:BYTE_0 src1_sel:DWORD
	s_mov_b64 s[4:5], 0
                                        ; implicit-def: $sgpr26
	s_and_saveexec_b64 s[24:25], s[22:23]
	s_xor_b64 s[22:23], exec, s[24:25]
	s_cbranch_execnz .LBB263_349
; %bb.120:                              ;   in Loop: Header=BB263_12 Depth=1
	s_or_saveexec_b64 s[22:23], s[22:23]
	v_mov_b32_e32 v51, s26
	s_xor_b64 exec, exec, s[22:23]
	s_cbranch_execnz .LBB263_352
.LBB263_121:                            ;   in Loop: Header=BB263_12 Depth=1
	s_or_b64 exec, exec, s[22:23]
	s_and_saveexec_b64 s[22:23], s[4:5]
	s_cbranch_execz .LBB263_123
.LBB263_122:                            ;   in Loop: Header=BB263_12 Depth=1
	v_bfe_u32 v8, v36, 16, 3
	v_ffbh_u32_e32 v2, v8
	v_min_u32_e32 v14, 32, v2
	v_subrev_u32_e32 v2, 28, v14
	v_bfe_u32 v9, v36, 19, 4
	v_lshlrev_b64 v[2:3], v2, v[4:5]
	v_sub_u32_e32 v3, 29, v14
	v_cmp_eq_u32_e64 s[4:5], 0, v9
	v_mov_b32_e32 v0, 0x1c00
	v_and_b32_e32 v2, 7, v2
	v_cndmask_b32_e64 v3, v9, v3, s[4:5]
	v_lshlrev_b32_e32 v4, 8, v4
	v_lshl_add_u32 v3, v3, 10, v0
	v_cndmask_b32_e64 v2, v8, v2, s[4:5]
	v_and_or_b32 v3, v4, s29, v3
	v_lshl_or_b32 v2, v2, 7, v3
	v_cvt_f32_f16_e32 v51, v2
.LBB263_123:                            ;   in Loop: Header=BB263_12 Depth=1
	s_or_b64 exec, exec, s[22:23]
	v_lshrrev_b32_e32 v4, 24, v36
	v_cmp_lt_i16_e64 s[4:5], s19, v4
	s_mov_b64 s[22:23], 0
                                        ; implicit-def: $sgpr30
	s_and_saveexec_b64 s[24:25], s[4:5]
	s_xor_b64 s[24:25], exec, s[24:25]
	s_cbranch_execnz .LBB263_353
; %bb.124:                              ;   in Loop: Header=BB263_12 Depth=1
	s_or_saveexec_b64 s[24:25], s[24:25]
	v_mov_b32_e32 v9, s30
	s_xor_b64 exec, exec, s[24:25]
	s_cbranch_execnz .LBB263_356
.LBB263_125:                            ;   in Loop: Header=BB263_12 Depth=1
	s_or_b64 exec, exec, s[24:25]
	s_and_saveexec_b64 s[24:25], s[22:23]
	s_cbranch_execz .LBB263_127
.LBB263_126:                            ;   in Loop: Header=BB263_12 Depth=1
	v_bfe_u32 v8, v36, 24, 3
	v_ffbh_u32_e32 v2, v8
	v_min_u32_e32 v14, 32, v2
	v_subrev_u32_e32 v2, 28, v14
	v_bfe_u32 v9, v36, 27, 4
	v_lshlrev_b64 v[2:3], v2, v[4:5]
	v_sub_u32_e32 v3, 29, v14
	v_cmp_eq_u32_e64 s[4:5], 0, v9
	v_mov_b32_e32 v0, 0x1c00
	v_and_b32_e32 v2, 7, v2
	v_cndmask_b32_e64 v3, v9, v3, s[4:5]
	v_lshlrev_b32_e32 v4, 8, v4
	v_lshl_add_u32 v3, v3, 10, v0
	v_cndmask_b32_e64 v2, v8, v2, s[4:5]
	v_and_or_b32 v3, v4, s29, v3
	v_lshl_or_b32 v2, v2, 7, v3
	v_cvt_f32_f16_e32 v9, v2
.LBB263_127:                            ;   in Loop: Header=BB263_12 Depth=1
	s_or_b64 exec, exec, s[24:25]
	flat_load_dword v36, v[34:35] offset:1544
	s_mov_b64 s[4:5], 0
                                        ; implicit-def: $sgpr26
	s_waitcnt vmcnt(0) lgkmcnt(0)
	v_cmp_gt_i16_sdwa s[22:23], v36, s19 src0_sel:BYTE_0 src1_sel:DWORD
	s_and_saveexec_b64 s[24:25], s[22:23]
	s_xor_b64 s[22:23], exec, s[24:25]
	s_cbranch_execnz .LBB263_357
; %bb.128:                              ;   in Loop: Header=BB263_12 Depth=1
	s_or_saveexec_b64 s[22:23], s[22:23]
	v_mov_b32_e32 v50, s26
	s_xor_b64 exec, exec, s[22:23]
	s_cbranch_execnz .LBB263_360
.LBB263_129:                            ;   in Loop: Header=BB263_12 Depth=1
	s_or_b64 exec, exec, s[22:23]
	s_and_saveexec_b64 s[22:23], s[4:5]
	s_cbranch_execz .LBB263_131
.LBB263_130:                            ;   in Loop: Header=BB263_12 Depth=1
	v_and_b32_e32 v4, 7, v36
	v_ffbh_u32_e32 v2, v4
	v_min_u32_e32 v14, 32, v2
	v_subrev_u32_e32 v2, 28, v14
	v_bfe_u32 v8, v36, 3, 4
	v_lshlrev_b64 v[2:3], v2, v[36:37]
	v_sub_u32_e32 v3, 29, v14
	v_cmp_eq_u32_e64 s[4:5], 0, v8
	v_and_b32_e32 v2, 7, v2
	v_mov_b32_e32 v0, 0x1c00
	v_cndmask_b32_e64 v3, v8, v3, s[4:5]
	v_cndmask_b32_e64 v2, v4, v2, s[4:5]
	v_lshlrev_b32_e32 v4, 8, v36
	v_lshl_add_u32 v3, v3, 10, v0
	v_and_or_b32 v3, v4, s29, v3
	v_lshl_or_b32 v2, v2, 7, v3
	v_cvt_f32_f16_e32 v50, v2
.LBB263_131:                            ;   in Loop: Header=BB263_12 Depth=1
	s_or_b64 exec, exec, s[22:23]
	v_lshrrev_b16_e32 v4, 8, v36
	v_cmp_lt_i16_e64 s[4:5], s19, v4
	s_mov_b64 s[22:23], 0
                                        ; implicit-def: $sgpr30
	s_and_saveexec_b64 s[24:25], s[4:5]
	s_xor_b64 s[24:25], exec, s[24:25]
	s_cbranch_execnz .LBB263_361
; %bb.132:                              ;   in Loop: Header=BB263_12 Depth=1
	s_or_saveexec_b64 s[24:25], s[24:25]
	v_mov_b32_e32 v38, s30
	s_xor_b64 exec, exec, s[24:25]
	s_cbranch_execnz .LBB263_364
.LBB263_133:                            ;   in Loop: Header=BB263_12 Depth=1
	s_or_b64 exec, exec, s[24:25]
	s_and_saveexec_b64 s[24:25], s[22:23]
	s_cbranch_execz .LBB263_135
.LBB263_134:                            ;   in Loop: Header=BB263_12 Depth=1
	v_and_b32_e32 v8, 7, v4
	v_ffbh_u32_e32 v2, v8
	v_min_u32_e32 v15, 32, v2
	v_subrev_u32_e32 v2, 28, v15
	v_bfe_u32 v14, v4, 3, 4
	v_lshlrev_b64 v[2:3], v2, v[4:5]
	v_sub_u32_e32 v3, 29, v15
	v_cmp_eq_u32_e64 s[4:5], 0, v14
	v_mov_b32_e32 v0, 0x1c00
	v_and_b32_e32 v2, 7, v2
	v_cndmask_b32_e64 v3, v14, v3, s[4:5]
	v_lshlrev_b32_e32 v4, 8, v4
	v_lshl_add_u32 v3, v3, 10, v0
	v_cndmask_b32_e64 v2, v8, v2, s[4:5]
	v_and_or_b32 v3, v4, s29, v3
	v_lshl_or_b32 v2, v2, 7, v3
	v_cvt_f32_f16_e32 v38, v2
.LBB263_135:                            ;   in Loop: Header=BB263_12 Depth=1
	s_or_b64 exec, exec, s[24:25]
	v_lshrrev_b32_e32 v4, 16, v36
	v_cmp_gt_i16_sdwa s[22:23], v4, s19 src0_sel:BYTE_0 src1_sel:DWORD
	s_mov_b64 s[4:5], 0
                                        ; implicit-def: $sgpr26
	s_and_saveexec_b64 s[24:25], s[22:23]
	s_xor_b64 s[22:23], exec, s[24:25]
	s_cbranch_execnz .LBB263_365
; %bb.136:                              ;   in Loop: Header=BB263_12 Depth=1
	s_or_saveexec_b64 s[22:23], s[22:23]
	v_mov_b32_e32 v18, s26
	s_xor_b64 exec, exec, s[22:23]
	s_cbranch_execnz .LBB263_368
.LBB263_137:                            ;   in Loop: Header=BB263_12 Depth=1
	s_or_b64 exec, exec, s[22:23]
	s_and_saveexec_b64 s[22:23], s[4:5]
	s_cbranch_execz .LBB263_139
.LBB263_138:                            ;   in Loop: Header=BB263_12 Depth=1
	v_bfe_u32 v8, v36, 16, 3
	v_ffbh_u32_e32 v2, v8
	v_min_u32_e32 v15, 32, v2
	v_subrev_u32_e32 v2, 28, v15
	v_bfe_u32 v14, v36, 19, 4
	v_lshlrev_b64 v[2:3], v2, v[4:5]
	v_sub_u32_e32 v3, 29, v15
	v_cmp_eq_u32_e64 s[4:5], 0, v14
	v_mov_b32_e32 v0, 0x1c00
	v_and_b32_e32 v2, 7, v2
	v_cndmask_b32_e64 v3, v14, v3, s[4:5]
	v_lshlrev_b32_e32 v4, 8, v4
	v_lshl_add_u32 v3, v3, 10, v0
	v_cndmask_b32_e64 v2, v8, v2, s[4:5]
	v_and_or_b32 v3, v4, s29, v3
	v_lshl_or_b32 v2, v2, 7, v3
	v_cvt_f32_f16_e32 v18, v2
.LBB263_139:                            ;   in Loop: Header=BB263_12 Depth=1
	s_or_b64 exec, exec, s[22:23]
	v_lshrrev_b32_e32 v4, 24, v36
	v_cmp_lt_i16_e64 s[4:5], s19, v4
	s_mov_b64 s[22:23], 0
                                        ; implicit-def: $sgpr30
	s_and_saveexec_b64 s[24:25], s[4:5]
	s_xor_b64 s[24:25], exec, s[24:25]
	s_cbranch_execnz .LBB263_369
; %bb.140:                              ;   in Loop: Header=BB263_12 Depth=1
	s_or_saveexec_b64 s[24:25], s[24:25]
	v_mov_b32_e32 v8, s30
	s_xor_b64 exec, exec, s[24:25]
	s_cbranch_execnz .LBB263_372
.LBB263_141:                            ;   in Loop: Header=BB263_12 Depth=1
	s_or_b64 exec, exec, s[24:25]
	s_and_saveexec_b64 s[24:25], s[22:23]
	s_cbranch_execz .LBB263_143
.LBB263_142:                            ;   in Loop: Header=BB263_12 Depth=1
	v_bfe_u32 v8, v36, 24, 3
	v_ffbh_u32_e32 v2, v8
	v_min_u32_e32 v15, 32, v2
	v_subrev_u32_e32 v2, 28, v15
	v_bfe_u32 v14, v36, 27, 4
	v_lshlrev_b64 v[2:3], v2, v[4:5]
	v_sub_u32_e32 v3, 29, v15
	v_cmp_eq_u32_e64 s[4:5], 0, v14
	v_mov_b32_e32 v0, 0x1c00
	v_and_b32_e32 v2, 7, v2
	v_cndmask_b32_e64 v3, v14, v3, s[4:5]
	v_lshlrev_b32_e32 v4, 8, v4
	v_lshl_add_u32 v3, v3, 10, v0
	v_cndmask_b32_e64 v2, v8, v2, s[4:5]
	v_and_or_b32 v3, v4, s29, v3
	v_lshl_or_b32 v2, v2, 7, v3
	v_cvt_f32_f16_e32 v8, v2
.LBB263_143:                            ;   in Loop: Header=BB263_12 Depth=1
	s_or_b64 exec, exec, s[24:25]
	flat_load_dword v36, v[34:35] offset:2048
	s_mov_b64 s[4:5], 0
                                        ; implicit-def: $sgpr26
	s_waitcnt vmcnt(0) lgkmcnt(0)
	v_cmp_gt_i16_sdwa s[22:23], v36, s19 src0_sel:BYTE_0 src1_sel:DWORD
	s_and_saveexec_b64 s[24:25], s[22:23]
	s_xor_b64 s[22:23], exec, s[24:25]
	s_cbranch_execnz .LBB263_373
; %bb.144:                              ;   in Loop: Header=BB263_12 Depth=1
	s_or_saveexec_b64 s[22:23], s[22:23]
	v_mov_b32_e32 v48, s26
	s_xor_b64 exec, exec, s[22:23]
	s_cbranch_execnz .LBB263_376
.LBB263_145:                            ;   in Loop: Header=BB263_12 Depth=1
	s_or_b64 exec, exec, s[22:23]
	s_and_saveexec_b64 s[22:23], s[4:5]
	s_cbranch_execz .LBB263_147
.LBB263_146:                            ;   in Loop: Header=BB263_12 Depth=1
	v_and_b32_e32 v4, 7, v36
	v_ffbh_u32_e32 v2, v4
	v_min_u32_e32 v15, 32, v2
	v_subrev_u32_e32 v2, 28, v15
	v_bfe_u32 v14, v36, 3, 4
	v_lshlrev_b64 v[2:3], v2, v[36:37]
	v_sub_u32_e32 v3, 29, v15
	v_cmp_eq_u32_e64 s[4:5], 0, v14
	v_and_b32_e32 v2, 7, v2
	v_mov_b32_e32 v0, 0x1c00
	v_cndmask_b32_e64 v3, v14, v3, s[4:5]
	v_cndmask_b32_e64 v2, v4, v2, s[4:5]
	v_lshlrev_b32_e32 v4, 8, v36
	v_lshl_add_u32 v3, v3, 10, v0
	v_and_or_b32 v3, v4, s29, v3
	v_lshl_or_b32 v2, v2, 7, v3
	v_cvt_f32_f16_e32 v48, v2
.LBB263_147:                            ;   in Loop: Header=BB263_12 Depth=1
	s_or_b64 exec, exec, s[22:23]
	v_lshrrev_b16_e32 v4, 8, v36
	v_cmp_lt_i16_e64 s[4:5], s19, v4
	s_mov_b64 s[22:23], 0
                                        ; implicit-def: $sgpr30
	s_and_saveexec_b64 s[24:25], s[4:5]
	s_xor_b64 s[24:25], exec, s[24:25]
	s_cbranch_execnz .LBB263_377
; %bb.148:                              ;   in Loop: Header=BB263_12 Depth=1
	s_or_saveexec_b64 s[24:25], s[24:25]
	v_mov_b32_e32 v28, s30
	s_xor_b64 exec, exec, s[24:25]
	s_cbranch_execnz .LBB263_380
.LBB263_149:                            ;   in Loop: Header=BB263_12 Depth=1
	s_or_b64 exec, exec, s[24:25]
	s_and_saveexec_b64 s[24:25], s[22:23]
	s_cbranch_execz .LBB263_151
.LBB263_150:                            ;   in Loop: Header=BB263_12 Depth=1
	v_and_b32_e32 v14, 7, v4
	v_ffbh_u32_e32 v2, v14
	v_min_u32_e32 v17, 32, v2
	v_subrev_u32_e32 v2, 28, v17
	v_bfe_u32 v15, v4, 3, 4
	v_lshlrev_b64 v[2:3], v2, v[4:5]
	v_sub_u32_e32 v3, 29, v17
	v_cmp_eq_u32_e64 s[4:5], 0, v15
	v_mov_b32_e32 v0, 0x1c00
	v_and_b32_e32 v2, 7, v2
	v_cndmask_b32_e64 v3, v15, v3, s[4:5]
	v_lshlrev_b32_e32 v4, 8, v4
	v_lshl_add_u32 v3, v3, 10, v0
	v_cndmask_b32_e64 v2, v14, v2, s[4:5]
	v_and_or_b32 v3, v4, s29, v3
	v_lshl_or_b32 v2, v2, 7, v3
	v_cvt_f32_f16_e32 v28, v2
.LBB263_151:                            ;   in Loop: Header=BB263_12 Depth=1
	s_or_b64 exec, exec, s[24:25]
	v_lshrrev_b32_e32 v4, 16, v36
	v_cmp_gt_i16_sdwa s[22:23], v4, s19 src0_sel:BYTE_0 src1_sel:DWORD
	s_mov_b64 s[4:5], 0
                                        ; implicit-def: $sgpr26
	s_and_saveexec_b64 s[24:25], s[22:23]
	s_xor_b64 s[22:23], exec, s[24:25]
	s_cbranch_execnz .LBB263_381
; %bb.152:                              ;   in Loop: Header=BB263_12 Depth=1
	s_or_saveexec_b64 s[22:23], s[22:23]
	v_mov_b32_e32 v29, s26
	s_xor_b64 exec, exec, s[22:23]
	s_cbranch_execnz .LBB263_384
.LBB263_153:                            ;   in Loop: Header=BB263_12 Depth=1
	s_or_b64 exec, exec, s[22:23]
	s_and_saveexec_b64 s[22:23], s[4:5]
	s_cbranch_execz .LBB263_155
.LBB263_154:                            ;   in Loop: Header=BB263_12 Depth=1
	v_bfe_u32 v14, v36, 16, 3
	v_ffbh_u32_e32 v2, v14
	v_min_u32_e32 v17, 32, v2
	v_subrev_u32_e32 v2, 28, v17
	v_bfe_u32 v15, v36, 19, 4
	v_lshlrev_b64 v[2:3], v2, v[4:5]
	v_sub_u32_e32 v3, 29, v17
	v_cmp_eq_u32_e64 s[4:5], 0, v15
	v_mov_b32_e32 v0, 0x1c00
	v_and_b32_e32 v2, 7, v2
	v_cndmask_b32_e64 v3, v15, v3, s[4:5]
	v_lshlrev_b32_e32 v4, 8, v4
	v_lshl_add_u32 v3, v3, 10, v0
	v_cndmask_b32_e64 v2, v14, v2, s[4:5]
	v_and_or_b32 v3, v4, s29, v3
	v_lshl_or_b32 v2, v2, 7, v3
	v_cvt_f32_f16_e32 v29, v2
.LBB263_155:                            ;   in Loop: Header=BB263_12 Depth=1
	s_or_b64 exec, exec, s[22:23]
	v_lshrrev_b32_e32 v4, 24, v36
	v_cmp_lt_i16_e64 s[4:5], s19, v4
	s_mov_b64 s[22:23], 0
                                        ; implicit-def: $sgpr30
	s_and_saveexec_b64 s[24:25], s[4:5]
	s_xor_b64 s[24:25], exec, s[24:25]
	s_cbranch_execnz .LBB263_385
; %bb.156:                              ;   in Loop: Header=BB263_12 Depth=1
	s_or_saveexec_b64 s[24:25], s[24:25]
	v_mov_b32_e32 v30, s30
	s_xor_b64 exec, exec, s[24:25]
	s_cbranch_execnz .LBB263_388
.LBB263_157:                            ;   in Loop: Header=BB263_12 Depth=1
	s_or_b64 exec, exec, s[24:25]
	s_and_saveexec_b64 s[24:25], s[22:23]
	s_cbranch_execz .LBB263_159
.LBB263_158:                            ;   in Loop: Header=BB263_12 Depth=1
	v_bfe_u32 v14, v36, 24, 3
	v_ffbh_u32_e32 v2, v14
	v_min_u32_e32 v17, 32, v2
	v_subrev_u32_e32 v2, 28, v17
	v_bfe_u32 v15, v36, 27, 4
	v_lshlrev_b64 v[2:3], v2, v[4:5]
	v_sub_u32_e32 v3, 29, v17
	v_cmp_eq_u32_e64 s[4:5], 0, v15
	v_mov_b32_e32 v0, 0x1c00
	v_and_b32_e32 v2, 7, v2
	v_cndmask_b32_e64 v3, v15, v3, s[4:5]
	v_lshlrev_b32_e32 v4, 8, v4
	v_lshl_add_u32 v3, v3, 10, v0
	v_cndmask_b32_e64 v2, v14, v2, s[4:5]
	v_and_or_b32 v3, v4, s29, v3
	v_lshl_or_b32 v2, v2, 7, v3
	v_cvt_f32_f16_e32 v30, v2
.LBB263_159:                            ;   in Loop: Header=BB263_12 Depth=1
	s_or_b64 exec, exec, s[24:25]
	flat_load_dword v36, v[34:35] offset:2056
	s_mov_b64 s[4:5], 0
                                        ; implicit-def: $sgpr26
	s_waitcnt vmcnt(0) lgkmcnt(0)
	v_cmp_gt_i16_sdwa s[22:23], v36, s19 src0_sel:BYTE_0 src1_sel:DWORD
	s_and_saveexec_b64 s[24:25], s[22:23]
	s_xor_b64 s[22:23], exec, s[24:25]
	s_cbranch_execnz .LBB263_389
; %bb.160:                              ;   in Loop: Header=BB263_12 Depth=1
	s_or_saveexec_b64 s[22:23], s[22:23]
	v_mov_b32_e32 v31, s26
	s_xor_b64 exec, exec, s[22:23]
	s_cbranch_execnz .LBB263_392
.LBB263_161:                            ;   in Loop: Header=BB263_12 Depth=1
	s_or_b64 exec, exec, s[22:23]
	s_and_saveexec_b64 s[22:23], s[4:5]
	s_cbranch_execz .LBB263_163
.LBB263_162:                            ;   in Loop: Header=BB263_12 Depth=1
	v_and_b32_e32 v4, 7, v36
	v_ffbh_u32_e32 v2, v4
	v_min_u32_e32 v15, 32, v2
	v_subrev_u32_e32 v2, 28, v15
	v_bfe_u32 v14, v36, 3, 4
	v_lshlrev_b64 v[2:3], v2, v[36:37]
	v_sub_u32_e32 v3, 29, v15
	v_cmp_eq_u32_e64 s[4:5], 0, v14
	v_and_b32_e32 v2, 7, v2
	v_mov_b32_e32 v0, 0x1c00
	v_cndmask_b32_e64 v3, v14, v3, s[4:5]
	v_cndmask_b32_e64 v2, v4, v2, s[4:5]
	v_lshlrev_b32_e32 v4, 8, v36
	v_lshl_add_u32 v3, v3, 10, v0
	v_and_or_b32 v3, v4, s29, v3
	v_lshl_or_b32 v2, v2, 7, v3
	v_cvt_f32_f16_e32 v31, v2
.LBB263_163:                            ;   in Loop: Header=BB263_12 Depth=1
	s_or_b64 exec, exec, s[22:23]
	v_lshrrev_b16_e32 v4, 8, v36
	v_cmp_lt_i16_e64 s[4:5], s19, v4
	s_mov_b64 s[22:23], 0
                                        ; implicit-def: $sgpr30
	s_and_saveexec_b64 s[24:25], s[4:5]
	s_xor_b64 s[24:25], exec, s[24:25]
	s_cbranch_execnz .LBB263_393
; %bb.164:                              ;   in Loop: Header=BB263_12 Depth=1
	s_or_saveexec_b64 s[24:25], s[24:25]
	v_mov_b32_e32 v45, s30
	s_xor_b64 exec, exec, s[24:25]
	s_cbranch_execnz .LBB263_396
.LBB263_165:                            ;   in Loop: Header=BB263_12 Depth=1
	s_or_b64 exec, exec, s[24:25]
	s_and_saveexec_b64 s[24:25], s[22:23]
	s_cbranch_execz .LBB263_167
.LBB263_166:                            ;   in Loop: Header=BB263_12 Depth=1
	v_and_b32_e32 v14, 7, v4
	v_ffbh_u32_e32 v2, v14
	v_min_u32_e32 v17, 32, v2
	v_subrev_u32_e32 v2, 28, v17
	v_bfe_u32 v15, v4, 3, 4
	v_lshlrev_b64 v[2:3], v2, v[4:5]
	v_sub_u32_e32 v3, 29, v17
	v_cmp_eq_u32_e64 s[4:5], 0, v15
	v_mov_b32_e32 v0, 0x1c00
	v_and_b32_e32 v2, 7, v2
	v_cndmask_b32_e64 v3, v15, v3, s[4:5]
	v_lshlrev_b32_e32 v4, 8, v4
	v_lshl_add_u32 v3, v3, 10, v0
	v_cndmask_b32_e64 v2, v14, v2, s[4:5]
	v_and_or_b32 v3, v4, s29, v3
	v_lshl_or_b32 v2, v2, 7, v3
	v_cvt_f32_f16_e32 v45, v2
.LBB263_167:                            ;   in Loop: Header=BB263_12 Depth=1
	s_or_b64 exec, exec, s[24:25]
	v_lshrrev_b32_e32 v4, 16, v36
	v_cmp_gt_i16_sdwa s[22:23], v4, s19 src0_sel:BYTE_0 src1_sel:DWORD
	s_mov_b64 s[4:5], 0
                                        ; implicit-def: $sgpr26
	s_and_saveexec_b64 s[24:25], s[22:23]
	s_xor_b64 s[22:23], exec, s[24:25]
	s_cbranch_execnz .LBB263_397
; %bb.168:                              ;   in Loop: Header=BB263_12 Depth=1
	s_or_saveexec_b64 s[22:23], s[22:23]
	v_mov_b32_e32 v21, s26
	s_xor_b64 exec, exec, s[22:23]
	s_cbranch_execnz .LBB263_400
.LBB263_169:                            ;   in Loop: Header=BB263_12 Depth=1
	s_or_b64 exec, exec, s[22:23]
	s_and_saveexec_b64 s[22:23], s[4:5]
	s_cbranch_execz .LBB263_171
.LBB263_170:                            ;   in Loop: Header=BB263_12 Depth=1
	v_bfe_u32 v14, v36, 16, 3
	v_ffbh_u32_e32 v2, v14
	v_min_u32_e32 v17, 32, v2
	v_subrev_u32_e32 v2, 28, v17
	v_bfe_u32 v15, v36, 19, 4
	v_lshlrev_b64 v[2:3], v2, v[4:5]
	v_sub_u32_e32 v3, 29, v17
	v_cmp_eq_u32_e64 s[4:5], 0, v15
	v_mov_b32_e32 v0, 0x1c00
	v_and_b32_e32 v2, 7, v2
	v_cndmask_b32_e64 v3, v15, v3, s[4:5]
	v_lshlrev_b32_e32 v4, 8, v4
	v_lshl_add_u32 v3, v3, 10, v0
	v_cndmask_b32_e64 v2, v14, v2, s[4:5]
	v_and_or_b32 v3, v4, s29, v3
	v_lshl_or_b32 v2, v2, 7, v3
	v_cvt_f32_f16_e32 v21, v2
.LBB263_171:                            ;   in Loop: Header=BB263_12 Depth=1
	s_or_b64 exec, exec, s[22:23]
	v_lshrrev_b32_e32 v4, 24, v36
	v_cmp_lt_i16_e64 s[4:5], s19, v4
	s_mov_b64 s[22:23], 0
                                        ; implicit-def: $sgpr30
	s_and_saveexec_b64 s[24:25], s[4:5]
	s_xor_b64 s[24:25], exec, s[24:25]
	s_cbranch_execnz .LBB263_401
; %bb.172:                              ;   in Loop: Header=BB263_12 Depth=1
	s_or_saveexec_b64 s[24:25], s[24:25]
	v_mov_b32_e32 v20, s30
	s_xor_b64 exec, exec, s[24:25]
	s_cbranch_execnz .LBB263_404
.LBB263_173:                            ;   in Loop: Header=BB263_12 Depth=1
	s_or_b64 exec, exec, s[24:25]
	s_and_saveexec_b64 s[24:25], s[22:23]
	s_cbranch_execz .LBB263_175
.LBB263_174:                            ;   in Loop: Header=BB263_12 Depth=1
	v_bfe_u32 v14, v36, 24, 3
	v_ffbh_u32_e32 v2, v14
	v_min_u32_e32 v17, 32, v2
	v_subrev_u32_e32 v2, 28, v17
	v_bfe_u32 v15, v36, 27, 4
	v_lshlrev_b64 v[2:3], v2, v[4:5]
	v_sub_u32_e32 v3, 29, v17
	v_cmp_eq_u32_e64 s[4:5], 0, v15
	v_mov_b32_e32 v0, 0x1c00
	v_and_b32_e32 v2, 7, v2
	v_cndmask_b32_e64 v3, v15, v3, s[4:5]
	v_lshlrev_b32_e32 v4, 8, v4
	v_lshl_add_u32 v3, v3, 10, v0
	v_cndmask_b32_e64 v2, v14, v2, s[4:5]
	v_and_or_b32 v3, v4, s29, v3
	v_lshl_or_b32 v2, v2, 7, v3
	v_cvt_f32_f16_e32 v20, v2
.LBB263_175:                            ;   in Loop: Header=BB263_12 Depth=1
	s_or_b64 exec, exec, s[24:25]
	flat_load_dword v36, v[34:35] offset:2560
	s_mov_b64 s[4:5], 0
                                        ; implicit-def: $sgpr26
	s_waitcnt vmcnt(0) lgkmcnt(0)
	v_cmp_gt_i16_sdwa s[22:23], v36, s19 src0_sel:BYTE_0 src1_sel:DWORD
	s_and_saveexec_b64 s[24:25], s[22:23]
	s_xor_b64 s[22:23], exec, s[24:25]
	s_cbranch_execnz .LBB263_405
; %bb.176:                              ;   in Loop: Header=BB263_12 Depth=1
	s_or_saveexec_b64 s[22:23], s[22:23]
	v_mov_b32_e32 v2, s26
	s_xor_b64 exec, exec, s[22:23]
	s_cbranch_execnz .LBB263_408
.LBB263_177:                            ;   in Loop: Header=BB263_12 Depth=1
	s_or_b64 exec, exec, s[22:23]
	s_and_saveexec_b64 s[22:23], s[4:5]
	s_cbranch_execz .LBB263_179
.LBB263_178:                            ;   in Loop: Header=BB263_12 Depth=1
	v_and_b32_e32 v4, 7, v36
	v_ffbh_u32_e32 v2, v4
	v_min_u32_e32 v15, 32, v2
	v_subrev_u32_e32 v2, 28, v15
	v_bfe_u32 v14, v36, 3, 4
	v_lshlrev_b64 v[2:3], v2, v[36:37]
	v_sub_u32_e32 v3, 29, v15
	v_cmp_eq_u32_e64 s[4:5], 0, v14
	v_and_b32_e32 v2, 7, v2
	v_mov_b32_e32 v0, 0x1c00
	v_cndmask_b32_e64 v3, v14, v3, s[4:5]
	v_cndmask_b32_e64 v2, v4, v2, s[4:5]
	v_lshlrev_b32_e32 v4, 8, v36
	v_lshl_add_u32 v3, v3, 10, v0
	v_and_or_b32 v3, v4, s29, v3
	v_lshl_or_b32 v2, v2, 7, v3
	v_cvt_f32_f16_e32 v2, v2
.LBB263_179:                            ;   in Loop: Header=BB263_12 Depth=1
	s_or_b64 exec, exec, s[22:23]
	v_lshrrev_b16_e32 v4, 8, v36
	v_cmp_lt_i16_e64 s[4:5], s19, v4
	s_mov_b64 s[22:23], 0
                                        ; implicit-def: $sgpr30
	s_and_saveexec_b64 s[24:25], s[4:5]
	s_xor_b64 s[24:25], exec, s[24:25]
	s_cbranch_execnz .LBB263_409
; %bb.180:                              ;   in Loop: Header=BB263_12 Depth=1
	s_or_saveexec_b64 s[24:25], s[24:25]
	v_mov_b32_e32 v39, s30
	s_xor_b64 exec, exec, s[24:25]
	s_cbranch_execnz .LBB263_412
.LBB263_181:                            ;   in Loop: Header=BB263_12 Depth=1
	s_or_b64 exec, exec, s[24:25]
	s_and_saveexec_b64 s[24:25], s[22:23]
	s_cbranch_execz .LBB263_183
.LBB263_182:                            ;   in Loop: Header=BB263_12 Depth=1
	v_and_b32_e32 v3, 7, v4
	v_ffbh_u32_e32 v15, v3
	v_bfe_u32 v14, v4, 3, 4
	v_min_u32_e32 v15, 32, v15
	v_subrev_u32_e32 v17, 28, v15
	v_sub_u32_e32 v15, 29, v15
	v_cmp_eq_u32_e64 s[4:5], 0, v14
	v_lshlrev_b64 v[22:23], v17, v[4:5]
	v_mov_b32_e32 v0, 0x1c00
	v_cndmask_b32_e64 v14, v14, v15, s[4:5]
	v_and_b32_e32 v17, 7, v22
	v_lshlrev_b32_e32 v4, 8, v4
	v_lshl_add_u32 v14, v14, 10, v0
	v_cndmask_b32_e64 v3, v3, v17, s[4:5]
	v_and_or_b32 v4, v4, s29, v14
	v_lshl_or_b32 v3, v3, 7, v4
	v_cvt_f32_f16_e32 v39, v3
.LBB263_183:                            ;   in Loop: Header=BB263_12 Depth=1
	s_or_b64 exec, exec, s[24:25]
	v_lshrrev_b32_e32 v4, 16, v36
	v_cmp_gt_i16_sdwa s[22:23], v4, s19 src0_sel:BYTE_0 src1_sel:DWORD
	s_mov_b64 s[4:5], 0
                                        ; implicit-def: $sgpr26
	s_and_saveexec_b64 s[24:25], s[22:23]
	s_xor_b64 s[22:23], exec, s[24:25]
	s_cbranch_execnz .LBB263_413
; %bb.184:                              ;   in Loop: Header=BB263_12 Depth=1
	s_or_saveexec_b64 s[22:23], s[22:23]
	v_mov_b32_e32 v55, s26
	s_xor_b64 exec, exec, s[22:23]
	s_cbranch_execnz .LBB263_416
.LBB263_185:                            ;   in Loop: Header=BB263_12 Depth=1
	s_or_b64 exec, exec, s[22:23]
	s_and_saveexec_b64 s[22:23], s[4:5]
	s_cbranch_execz .LBB263_187
.LBB263_186:                            ;   in Loop: Header=BB263_12 Depth=1
	v_bfe_u32 v3, v36, 16, 3
	v_ffbh_u32_e32 v15, v3
	v_bfe_u32 v14, v36, 19, 4
	v_min_u32_e32 v15, 32, v15
	v_subrev_u32_e32 v17, 28, v15
	v_sub_u32_e32 v15, 29, v15
	v_cmp_eq_u32_e64 s[4:5], 0, v14
	v_lshlrev_b64 v[22:23], v17, v[4:5]
	v_mov_b32_e32 v0, 0x1c00
	v_cndmask_b32_e64 v14, v14, v15, s[4:5]
	v_and_b32_e32 v17, 7, v22
	v_lshlrev_b32_e32 v4, 8, v4
	v_lshl_add_u32 v14, v14, 10, v0
	v_cndmask_b32_e64 v3, v3, v17, s[4:5]
	v_and_or_b32 v4, v4, s29, v14
	v_lshl_or_b32 v3, v3, 7, v4
	v_cvt_f32_f16_e32 v55, v3
.LBB263_187:                            ;   in Loop: Header=BB263_12 Depth=1
	s_or_b64 exec, exec, s[22:23]
	v_lshrrev_b32_e32 v4, 24, v36
	v_cmp_lt_i16_e64 s[4:5], s19, v4
	s_mov_b64 s[22:23], 0
                                        ; implicit-def: $sgpr30
	s_and_saveexec_b64 s[24:25], s[4:5]
	s_xor_b64 s[24:25], exec, s[24:25]
	s_cbranch_execnz .LBB263_417
; %bb.188:                              ;   in Loop: Header=BB263_12 Depth=1
	s_or_saveexec_b64 s[24:25], s[24:25]
	v_mov_b32_e32 v56, s30
	s_xor_b64 exec, exec, s[24:25]
	s_cbranch_execnz .LBB263_420
.LBB263_189:                            ;   in Loop: Header=BB263_12 Depth=1
	s_or_b64 exec, exec, s[24:25]
	s_and_saveexec_b64 s[24:25], s[22:23]
	s_cbranch_execz .LBB263_191
.LBB263_190:                            ;   in Loop: Header=BB263_12 Depth=1
	v_bfe_u32 v3, v36, 24, 3
	v_ffbh_u32_e32 v15, v3
	v_bfe_u32 v14, v36, 27, 4
	v_min_u32_e32 v15, 32, v15
	v_subrev_u32_e32 v17, 28, v15
	v_sub_u32_e32 v15, 29, v15
	v_cmp_eq_u32_e64 s[4:5], 0, v14
	v_lshlrev_b64 v[22:23], v17, v[4:5]
	v_mov_b32_e32 v0, 0x1c00
	v_cndmask_b32_e64 v14, v14, v15, s[4:5]
	v_and_b32_e32 v17, 7, v22
	v_lshlrev_b32_e32 v4, 8, v4
	v_lshl_add_u32 v14, v14, 10, v0
	v_cndmask_b32_e64 v3, v3, v17, s[4:5]
	v_and_or_b32 v4, v4, s29, v14
	v_lshl_or_b32 v3, v3, 7, v4
	v_cvt_f32_f16_e32 v56, v3
.LBB263_191:                            ;   in Loop: Header=BB263_12 Depth=1
	s_or_b64 exec, exec, s[24:25]
	flat_load_dword v36, v[34:35] offset:2568
	s_mov_b64 s[4:5], 0
                                        ; implicit-def: $sgpr26
	s_waitcnt vmcnt(0) lgkmcnt(0)
	v_cmp_gt_i16_sdwa s[22:23], v36, s19 src0_sel:BYTE_0 src1_sel:DWORD
	s_and_saveexec_b64 s[24:25], s[22:23]
	s_xor_b64 s[22:23], exec, s[24:25]
	s_cbranch_execnz .LBB263_421
; %bb.192:                              ;   in Loop: Header=BB263_12 Depth=1
	s_or_saveexec_b64 s[22:23], s[22:23]
	v_mov_b32_e32 v57, s26
	s_xor_b64 exec, exec, s[22:23]
	s_cbranch_execnz .LBB263_424
.LBB263_193:                            ;   in Loop: Header=BB263_12 Depth=1
	s_or_b64 exec, exec, s[22:23]
	s_and_saveexec_b64 s[22:23], s[4:5]
	s_cbranch_execz .LBB263_195
.LBB263_194:                            ;   in Loop: Header=BB263_12 Depth=1
	v_and_b32_e32 v3, 7, v36
	v_ffbh_u32_e32 v14, v3
	v_bfe_u32 v4, v36, 3, 4
	v_min_u32_e32 v14, 32, v14
	v_subrev_u32_e32 v15, 28, v14
	v_sub_u32_e32 v14, 29, v14
	v_cmp_eq_u32_e64 s[4:5], 0, v4
	v_lshlrev_b64 v[22:23], v15, v[36:37]
	v_mov_b32_e32 v0, 0x1c00
	v_cndmask_b32_e64 v4, v4, v14, s[4:5]
	v_and_b32_e32 v15, 7, v22
	v_lshlrev_b32_e32 v14, 8, v36
	v_lshl_add_u32 v4, v4, 10, v0
	v_cndmask_b32_e64 v3, v3, v15, s[4:5]
	v_and_or_b32 v4, v14, s29, v4
	v_lshl_or_b32 v3, v3, 7, v4
	v_cvt_f32_f16_e32 v57, v3
.LBB263_195:                            ;   in Loop: Header=BB263_12 Depth=1
	s_or_b64 exec, exec, s[22:23]
	v_lshrrev_b16_e32 v4, 8, v36
	v_cmp_lt_i16_e64 s[4:5], s19, v4
	s_mov_b64 s[22:23], 0
                                        ; implicit-def: $sgpr30
	s_and_saveexec_b64 s[24:25], s[4:5]
	s_xor_b64 s[24:25], exec, s[24:25]
	s_cbranch_execnz .LBB263_425
; %bb.196:                              ;   in Loop: Header=BB263_12 Depth=1
	s_or_saveexec_b64 s[24:25], s[24:25]
	v_mov_b32_e32 v23, s30
	s_xor_b64 exec, exec, s[24:25]
	s_cbranch_execnz .LBB263_428
.LBB263_197:                            ;   in Loop: Header=BB263_12 Depth=1
	s_or_b64 exec, exec, s[24:25]
	s_and_saveexec_b64 s[24:25], s[22:23]
	s_cbranch_execz .LBB263_199
.LBB263_198:                            ;   in Loop: Header=BB263_12 Depth=1
	v_and_b32_e32 v3, 7, v4
	v_ffbh_u32_e32 v15, v3
	v_bfe_u32 v14, v4, 3, 4
	v_min_u32_e32 v15, 32, v15
	v_subrev_u32_e32 v17, 28, v15
	v_sub_u32_e32 v15, 29, v15
	v_cmp_eq_u32_e64 s[4:5], 0, v14
	v_lshlrev_b64 v[22:23], v17, v[4:5]
	v_mov_b32_e32 v0, 0x1c00
	v_cndmask_b32_e64 v14, v14, v15, s[4:5]
	v_and_b32_e32 v17, 7, v22
	v_lshlrev_b32_e32 v4, 8, v4
	v_lshl_add_u32 v14, v14, 10, v0
	v_cndmask_b32_e64 v3, v3, v17, s[4:5]
	v_and_or_b32 v4, v4, s29, v14
	v_lshl_or_b32 v3, v3, 7, v4
	v_cvt_f32_f16_e32 v23, v3
.LBB263_199:                            ;   in Loop: Header=BB263_12 Depth=1
	s_or_b64 exec, exec, s[24:25]
	v_lshrrev_b32_e32 v4, 16, v36
	v_cmp_gt_i16_sdwa s[22:23], v4, s19 src0_sel:BYTE_0 src1_sel:DWORD
	s_mov_b64 s[4:5], 0
                                        ; implicit-def: $sgpr26
	s_and_saveexec_b64 s[24:25], s[22:23]
	s_xor_b64 s[22:23], exec, s[24:25]
	s_cbranch_execnz .LBB263_429
; %bb.200:                              ;   in Loop: Header=BB263_12 Depth=1
	s_or_saveexec_b64 s[22:23], s[22:23]
	v_mov_b32_e32 v22, s26
	s_xor_b64 exec, exec, s[22:23]
	s_cbranch_execnz .LBB263_432
.LBB263_201:                            ;   in Loop: Header=BB263_12 Depth=1
	s_or_b64 exec, exec, s[22:23]
	s_and_saveexec_b64 s[22:23], s[4:5]
	s_cbranch_execz .LBB263_203
.LBB263_202:                            ;   in Loop: Header=BB263_12 Depth=1
	v_bfe_u32 v3, v36, 16, 3
	v_ffbh_u32_e32 v15, v3
	v_bfe_u32 v14, v36, 19, 4
	v_min_u32_e32 v15, 32, v15
	v_subrev_u32_e32 v17, 28, v15
	v_sub_u32_e32 v15, 29, v15
	v_cmp_eq_u32_e64 s[4:5], 0, v14
	v_lshlrev_b64 v[58:59], v17, v[4:5]
	v_mov_b32_e32 v0, 0x1c00
	v_cndmask_b32_e64 v14, v14, v15, s[4:5]
	v_and_b32_e32 v17, 7, v58
	v_lshlrev_b32_e32 v4, 8, v4
	v_lshl_add_u32 v14, v14, 10, v0
	v_cndmask_b32_e64 v3, v3, v17, s[4:5]
	v_and_or_b32 v4, v4, s29, v14
	v_lshl_or_b32 v3, v3, 7, v4
	v_cvt_f32_f16_e32 v22, v3
.LBB263_203:                            ;   in Loop: Header=BB263_12 Depth=1
	s_or_b64 exec, exec, s[22:23]
	v_lshrrev_b32_e32 v4, 24, v36
	v_cmp_lt_i16_e64 s[4:5], s19, v4
	s_mov_b64 s[22:23], 0
                                        ; implicit-def: $sgpr30
	s_and_saveexec_b64 s[24:25], s[4:5]
	s_xor_b64 s[24:25], exec, s[24:25]
	s_cbranch_execnz .LBB263_433
; %bb.204:                              ;   in Loop: Header=BB263_12 Depth=1
	s_or_saveexec_b64 s[24:25], s[24:25]
	v_mov_b32_e32 v58, s30
	s_xor_b64 exec, exec, s[24:25]
	s_cbranch_execnz .LBB263_436
.LBB263_205:                            ;   in Loop: Header=BB263_12 Depth=1
	s_or_b64 exec, exec, s[24:25]
	s_and_saveexec_b64 s[24:25], s[22:23]
	s_cbranch_execz .LBB263_207
.LBB263_206:                            ;   in Loop: Header=BB263_12 Depth=1
	v_bfe_u32 v3, v36, 24, 3
	v_ffbh_u32_e32 v15, v3
	v_bfe_u32 v14, v36, 27, 4
	v_min_u32_e32 v15, 32, v15
	v_subrev_u32_e32 v17, 28, v15
	v_sub_u32_e32 v15, 29, v15
	v_cmp_eq_u32_e64 s[4:5], 0, v14
	v_lshlrev_b64 v[36:37], v17, v[4:5]
	v_mov_b32_e32 v0, 0x1c00
	v_cndmask_b32_e64 v14, v14, v15, s[4:5]
	v_and_b32_e32 v17, 7, v36
	v_lshlrev_b32_e32 v4, 8, v4
	v_lshl_add_u32 v14, v14, 10, v0
	v_cndmask_b32_e64 v3, v3, v17, s[4:5]
	v_and_or_b32 v4, v4, s29, v14
	v_lshl_or_b32 v3, v3, 7, v4
	v_cvt_f32_f16_e32 v58, v3
.LBB263_207:                            ;   in Loop: Header=BB263_12 Depth=1
	s_or_b64 exec, exec, s[24:25]
	flat_load_dword v36, v[34:35] offset:3072
	s_mov_b64 s[4:5], 0
                                        ; implicit-def: $sgpr26
	s_waitcnt vmcnt(0) lgkmcnt(0)
	v_cmp_gt_i16_sdwa s[22:23], v36, s19 src0_sel:BYTE_0 src1_sel:DWORD
	s_and_saveexec_b64 s[24:25], s[22:23]
	s_xor_b64 s[22:23], exec, s[24:25]
	s_cbranch_execnz .LBB263_437
; %bb.208:                              ;   in Loop: Header=BB263_12 Depth=1
	s_or_saveexec_b64 s[22:23], s[22:23]
	v_mov_b32_e32 v59, s26
	s_xor_b64 exec, exec, s[22:23]
	s_cbranch_execnz .LBB263_440
.LBB263_209:                            ;   in Loop: Header=BB263_12 Depth=1
	s_or_b64 exec, exec, s[22:23]
	s_and_saveexec_b64 s[22:23], s[4:5]
	s_cbranch_execz .LBB263_211
.LBB263_210:                            ;   in Loop: Header=BB263_12 Depth=1
	v_and_b32_e32 v3, 7, v36
	v_ffbh_u32_e32 v14, v3
	v_bfe_u32 v4, v36, 3, 4
	v_min_u32_e32 v14, 32, v14
	v_subrev_u32_e32 v15, 28, v14
	v_sub_u32_e32 v14, 29, v14
	v_cmp_eq_u32_e64 s[4:5], 0, v4
	v_lshlrev_b64 v[60:61], v15, v[36:37]
	v_mov_b32_e32 v0, 0x1c00
	v_cndmask_b32_e64 v4, v4, v14, s[4:5]
	v_and_b32_e32 v15, 7, v60
	v_lshlrev_b32_e32 v14, 8, v36
	v_lshl_add_u32 v4, v4, 10, v0
	v_cndmask_b32_e64 v3, v3, v15, s[4:5]
	v_and_or_b32 v4, v14, s29, v4
	v_lshl_or_b32 v3, v3, 7, v4
	v_cvt_f32_f16_e32 v59, v3
.LBB263_211:                            ;   in Loop: Header=BB263_12 Depth=1
	s_or_b64 exec, exec, s[22:23]
	v_lshrrev_b16_e32 v4, 8, v36
	v_cmp_lt_i16_e64 s[4:5], s19, v4
	s_mov_b64 s[22:23], 0
                                        ; implicit-def: $sgpr30
	s_and_saveexec_b64 s[24:25], s[4:5]
	s_xor_b64 s[24:25], exec, s[24:25]
	s_cbranch_execnz .LBB263_441
; %bb.212:                              ;   in Loop: Header=BB263_12 Depth=1
	s_or_saveexec_b64 s[24:25], s[24:25]
	v_mov_b32_e32 v60, s30
	s_xor_b64 exec, exec, s[24:25]
	s_cbranch_execnz .LBB263_444
.LBB263_213:                            ;   in Loop: Header=BB263_12 Depth=1
	s_or_b64 exec, exec, s[24:25]
	s_and_saveexec_b64 s[24:25], s[22:23]
	s_cbranch_execz .LBB263_215
.LBB263_214:                            ;   in Loop: Header=BB263_12 Depth=1
	v_and_b32_e32 v3, 7, v4
	v_ffbh_u32_e32 v15, v3
	v_bfe_u32 v14, v4, 3, 4
	v_min_u32_e32 v15, 32, v15
	v_subrev_u32_e32 v17, 28, v15
	v_sub_u32_e32 v15, 29, v15
	v_cmp_eq_u32_e64 s[4:5], 0, v14
	v_lshlrev_b64 v[60:61], v17, v[4:5]
	v_mov_b32_e32 v0, 0x1c00
	v_cndmask_b32_e64 v14, v14, v15, s[4:5]
	v_and_b32_e32 v17, 7, v60
	v_lshlrev_b32_e32 v4, 8, v4
	v_lshl_add_u32 v14, v14, 10, v0
	v_cndmask_b32_e64 v3, v3, v17, s[4:5]
	v_and_or_b32 v4, v4, s29, v14
	v_lshl_or_b32 v3, v3, 7, v4
	v_cvt_f32_f16_e32 v60, v3
.LBB263_215:                            ;   in Loop: Header=BB263_12 Depth=1
	s_or_b64 exec, exec, s[24:25]
	v_lshrrev_b32_e32 v4, 16, v36
	v_cmp_gt_i16_sdwa s[22:23], v4, s19 src0_sel:BYTE_0 src1_sel:DWORD
	s_mov_b64 s[4:5], 0
                                        ; implicit-def: $sgpr26
	s_and_saveexec_b64 s[24:25], s[22:23]
	s_xor_b64 s[22:23], exec, s[24:25]
	s_cbranch_execnz .LBB263_445
; %bb.216:                              ;   in Loop: Header=BB263_12 Depth=1
	s_or_saveexec_b64 s[22:23], s[22:23]
	v_mov_b32_e32 v61, s26
	s_xor_b64 exec, exec, s[22:23]
	s_cbranch_execnz .LBB263_448
.LBB263_217:                            ;   in Loop: Header=BB263_12 Depth=1
	s_or_b64 exec, exec, s[22:23]
	s_and_saveexec_b64 s[22:23], s[4:5]
	s_cbranch_execz .LBB263_219
.LBB263_218:                            ;   in Loop: Header=BB263_12 Depth=1
	v_bfe_u32 v3, v36, 16, 3
	v_ffbh_u32_e32 v14, v3
	v_min_u32_e32 v27, 32, v14
	v_subrev_u32_e32 v14, 28, v27
	v_bfe_u32 v17, v36, 19, 4
	v_lshlrev_b64 v[14:15], v14, v[4:5]
	v_sub_u32_e32 v15, 29, v27
	v_cmp_eq_u32_e64 s[4:5], 0, v17
	v_and_b32_e32 v14, 7, v14
	v_mov_b32_e32 v0, 0x1c00
	v_cndmask_b32_e64 v15, v17, v15, s[4:5]
	v_cndmask_b32_e64 v3, v3, v14, s[4:5]
	v_lshlrev_b32_e32 v4, 8, v4
	v_lshl_add_u32 v14, v15, 10, v0
	v_and_or_b32 v4, v4, s29, v14
	v_lshl_or_b32 v3, v3, 7, v4
	v_cvt_f32_f16_e32 v61, v3
.LBB263_219:                            ;   in Loop: Header=BB263_12 Depth=1
	s_or_b64 exec, exec, s[22:23]
	v_lshrrev_b32_e32 v4, 24, v36
	v_cmp_lt_i16_e64 s[4:5], s19, v4
	s_mov_b64 s[22:23], 0
                                        ; implicit-def: $sgpr30
	s_and_saveexec_b64 s[24:25], s[4:5]
	s_xor_b64 s[24:25], exec, s[24:25]
	s_cbranch_execnz .LBB263_449
; %bb.220:                              ;   in Loop: Header=BB263_12 Depth=1
	s_or_saveexec_b64 s[24:25], s[24:25]
	v_mov_b32_e32 v62, s30
	s_xor_b64 exec, exec, s[24:25]
	s_cbranch_execnz .LBB263_452
.LBB263_221:                            ;   in Loop: Header=BB263_12 Depth=1
	s_or_b64 exec, exec, s[24:25]
	s_and_saveexec_b64 s[24:25], s[22:23]
	s_cbranch_execz .LBB263_223
.LBB263_222:                            ;   in Loop: Header=BB263_12 Depth=1
	v_bfe_u32 v3, v36, 24, 3
	v_ffbh_u32_e32 v14, v3
	v_min_u32_e32 v27, 32, v14
	v_subrev_u32_e32 v14, 28, v27
	v_bfe_u32 v17, v36, 27, 4
	v_lshlrev_b64 v[14:15], v14, v[4:5]
	v_sub_u32_e32 v15, 29, v27
	v_cmp_eq_u32_e64 s[4:5], 0, v17
	v_and_b32_e32 v14, 7, v14
	v_mov_b32_e32 v0, 0x1c00
	v_cndmask_b32_e64 v15, v17, v15, s[4:5]
	v_cndmask_b32_e64 v3, v3, v14, s[4:5]
	v_lshlrev_b32_e32 v4, 8, v4
	v_lshl_add_u32 v14, v15, 10, v0
	v_and_or_b32 v4, v4, s29, v14
	v_lshl_or_b32 v3, v3, 7, v4
	v_cvt_f32_f16_e32 v62, v3
.LBB263_223:                            ;   in Loop: Header=BB263_12 Depth=1
	s_or_b64 exec, exec, s[24:25]
	flat_load_dword v34, v[34:35] offset:3080
	s_mov_b64 s[4:5], 0
                                        ; implicit-def: $sgpr26
	s_waitcnt vmcnt(0) lgkmcnt(0)
	v_cmp_gt_i16_sdwa s[22:23], v34, s19 src0_sel:BYTE_0 src1_sel:DWORD
	s_and_saveexec_b64 s[24:25], s[22:23]
	s_xor_b64 s[22:23], exec, s[24:25]
	s_cbranch_execnz .LBB263_453
; %bb.224:                              ;   in Loop: Header=BB263_12 Depth=1
	s_or_saveexec_b64 s[22:23], s[22:23]
	v_mov_b32_e32 v35, s26
	s_xor_b64 exec, exec, s[22:23]
	s_cbranch_execnz .LBB263_456
.LBB263_225:                            ;   in Loop: Header=BB263_12 Depth=1
	s_or_b64 exec, exec, s[22:23]
	s_and_saveexec_b64 s[22:23], s[4:5]
	s_cbranch_execz .LBB263_227
.LBB263_226:                            ;   in Loop: Header=BB263_12 Depth=1
	v_and_b32_e32 v3, 7, v34
	v_ffbh_u32_e32 v14, v3
	v_min_u32_e32 v17, 32, v14
	v_subrev_u32_e32 v14, 28, v17
	v_bfe_u32 v4, v34, 3, 4
	v_lshlrev_b64 v[14:15], v14, v[34:35]
	v_sub_u32_e32 v15, 29, v17
	v_cmp_eq_u32_e64 s[4:5], 0, v4
	v_and_b32_e32 v14, 7, v14
	v_mov_b32_e32 v0, 0x1c00
	v_cndmask_b32_e64 v4, v4, v15, s[4:5]
	v_cndmask_b32_e64 v3, v3, v14, s[4:5]
	v_lshlrev_b32_e32 v14, 8, v34
	v_lshl_add_u32 v4, v4, 10, v0
	v_and_or_b32 v4, v14, s29, v4
	v_lshl_or_b32 v3, v3, 7, v4
	v_cvt_f32_f16_e32 v35, v3
.LBB263_227:                            ;   in Loop: Header=BB263_12 Depth=1
	s_or_b64 exec, exec, s[22:23]
	v_lshrrev_b16_e32 v4, 8, v34
	v_cmp_lt_i16_e64 s[4:5], s19, v4
	s_mov_b64 s[22:23], 0
                                        ; implicit-def: $sgpr30
	s_and_saveexec_b64 s[24:25], s[4:5]
	s_xor_b64 s[24:25], exec, s[24:25]
	s_cbranch_execnz .LBB263_457
; %bb.228:                              ;   in Loop: Header=BB263_12 Depth=1
	s_or_saveexec_b64 s[24:25], s[24:25]
	v_mov_b32_e32 v17, s30
	s_xor_b64 exec, exec, s[24:25]
	s_cbranch_execnz .LBB263_460
.LBB263_229:                            ;   in Loop: Header=BB263_12 Depth=1
	s_or_b64 exec, exec, s[24:25]
	s_and_saveexec_b64 s[24:25], s[22:23]
	s_cbranch_execz .LBB263_231
.LBB263_230:                            ;   in Loop: Header=BB263_12 Depth=1
	v_and_b32_e32 v3, 7, v4
	v_ffbh_u32_e32 v14, v3
	v_min_u32_e32 v27, 32, v14
	v_subrev_u32_e32 v14, 28, v27
	v_bfe_u32 v17, v4, 3, 4
	v_lshlrev_b64 v[14:15], v14, v[4:5]
	v_sub_u32_e32 v15, 29, v27
	v_cmp_eq_u32_e64 s[4:5], 0, v17
	v_and_b32_e32 v14, 7, v14
	v_mov_b32_e32 v0, 0x1c00
	v_cndmask_b32_e64 v15, v17, v15, s[4:5]
	v_cndmask_b32_e64 v3, v3, v14, s[4:5]
	v_lshlrev_b32_e32 v4, 8, v4
	v_lshl_add_u32 v14, v15, 10, v0
	v_and_or_b32 v4, v4, s29, v14
	v_lshl_or_b32 v3, v3, 7, v4
	v_cvt_f32_f16_e32 v17, v3
.LBB263_231:                            ;   in Loop: Header=BB263_12 Depth=1
	s_or_b64 exec, exec, s[24:25]
	v_lshrrev_b32_e32 v4, 16, v34
	v_cmp_gt_i16_sdwa s[22:23], v4, s19 src0_sel:BYTE_0 src1_sel:DWORD
	s_mov_b64 s[4:5], 0
                                        ; implicit-def: $sgpr26
	s_and_saveexec_b64 s[24:25], s[22:23]
	s_xor_b64 s[22:23], exec, s[24:25]
	s_cbranch_execnz .LBB263_461
; %bb.232:                              ;   in Loop: Header=BB263_12 Depth=1
	s_or_saveexec_b64 s[22:23], s[22:23]
	v_mov_b32_e32 v27, s26
	s_xor_b64 exec, exec, s[22:23]
	s_cbranch_execnz .LBB263_464
.LBB263_233:                            ;   in Loop: Header=BB263_12 Depth=1
	s_or_b64 exec, exec, s[22:23]
	s_and_saveexec_b64 s[22:23], s[4:5]
	s_cbranch_execz .LBB263_235
.LBB263_234:                            ;   in Loop: Header=BB263_12 Depth=1
	v_bfe_u32 v3, v34, 16, 3
	v_ffbh_u32_e32 v14, v3
	v_min_u32_e32 v36, 32, v14
	v_subrev_u32_e32 v14, 28, v36
	v_bfe_u32 v27, v34, 19, 4
	v_lshlrev_b64 v[14:15], v14, v[4:5]
	v_sub_u32_e32 v15, 29, v36
	v_cmp_eq_u32_e64 s[4:5], 0, v27
	v_and_b32_e32 v14, 7, v14
	v_mov_b32_e32 v0, 0x1c00
	v_cndmask_b32_e64 v15, v27, v15, s[4:5]
	v_cndmask_b32_e64 v3, v3, v14, s[4:5]
	v_lshlrev_b32_e32 v4, 8, v4
	v_lshl_add_u32 v14, v15, 10, v0
	v_and_or_b32 v4, v4, s29, v14
	v_lshl_or_b32 v3, v3, 7, v4
	v_cvt_f32_f16_e32 v27, v3
.LBB263_235:                            ;   in Loop: Header=BB263_12 Depth=1
	s_or_b64 exec, exec, s[22:23]
	v_lshrrev_b32_e32 v4, 24, v34
	v_cmp_lt_i16_e64 s[4:5], s19, v4
	s_mov_b64 s[22:23], 0
                                        ; implicit-def: $sgpr30
	s_and_saveexec_b64 s[24:25], s[4:5]
	s_xor_b64 s[24:25], exec, s[24:25]
	s_cbranch_execz .LBB263_239
; %bb.236:                              ;   in Loop: Header=BB263_12 Depth=1
	v_cmp_eq_u16_e64 s[4:5], s28, v4
	s_mov_b64 s[22:23], -1
                                        ; implicit-def: $sgpr30
	s_and_saveexec_b64 s[26:27], s[4:5]
; %bb.237:                              ;   in Loop: Header=BB263_12 Depth=1
	s_mov_b32 s30, 0x7fc02000
	s_xor_b64 s[22:23], exec, -1
; %bb.238:                              ;   in Loop: Header=BB263_12 Depth=1
	s_or_b64 exec, exec, s[26:27]
	s_and_b64 s[22:23], s[22:23], exec
.LBB263_239:                            ;   in Loop: Header=BB263_12 Depth=1
	s_or_saveexec_b64 s[24:25], s[24:25]
	v_mov_b32_e32 v14, s30
	s_xor_b64 exec, exec, s[24:25]
; %bb.240:                              ;   in Loop: Header=BB263_12 Depth=1
	v_cmp_ne_u16_e64 s[4:5], 0, v4
	s_andn2_b64 s[22:23], s[22:23], exec
	s_and_b64 s[4:5], s[4:5], exec
	v_mov_b32_e32 v14, 0
	s_or_b64 s[22:23], s[22:23], s[4:5]
; %bb.241:                              ;   in Loop: Header=BB263_12 Depth=1
	s_or_b64 exec, exec, s[24:25]
	v_accvgpr_write_b32 a52, v41
	v_accvgpr_write_b32 a51, v40
	;; [unrolled: 1-line block ×6, first 2 shown]
	s_and_saveexec_b64 s[24:25], s[22:23]
	s_cbranch_execz .LBB263_243
; %bb.242:                              ;   in Loop: Header=BB263_12 Depth=1
	v_bfe_u32 v3, v34, 24, 3
	v_ffbh_u32_e32 v14, v3
	v_min_u32_e32 v36, 32, v14
	v_subrev_u32_e32 v14, 28, v36
	v_bfe_u32 v34, v34, 27, 4
	v_lshlrev_b64 v[14:15], v14, v[4:5]
	v_sub_u32_e32 v15, 29, v36
	v_cmp_eq_u32_e64 s[4:5], 0, v34
	v_and_b32_e32 v14, 7, v14
	v_mov_b32_e32 v0, 0x1c00
	v_cndmask_b32_e64 v15, v34, v15, s[4:5]
	v_cndmask_b32_e64 v3, v3, v14, s[4:5]
	v_lshlrev_b32_e32 v4, 8, v4
	v_lshl_add_u32 v14, v15, 10, v0
	v_and_or_b32 v4, v4, s29, v14
	v_lshl_or_b32 v3, v3, 7, v4
	v_cvt_f32_f16_e32 v14, v3
.LBB263_243:                            ;   in Loop: Header=BB263_12 Depth=1
	s_or_b64 exec, exec, s[24:25]
	v_accvgpr_read_b32 v40, a33
	ds_read_b64 v[36:37], v40
	v_accvgpr_read_b32 v1, a53
	v_fma_mixlo_f16 v41, v47, v19, 0
	v_fma_mixlo_f16 v0, v47, v24, 0
	v_and_b32_e32 v0, 0xffff, v0
	s_waitcnt lgkmcnt(0)
	v_and_b32_e32 v4, 0xffff, v36
	v_lshrrev_b32_e32 v15, 16, v37
	v_and_b32_e32 v34, 0xffff, v37
	v_fma_mixlo_f16 v37, v47, v1, 0
	v_lshrrev_b32_e32 v3, 16, v36
	v_fma_mixlo_f16 v36, v47, v13, 0
	v_fma_mixlo_f16 v1, v47, v16, 0
	;;#ASMSTART
	v_cvt_f32_f16 v52, v4;
	;;#ASMEND
	v_and_b32_e32 v4, 0xffff, v37
	;;#ASMSTART
	v_cvt_f32_f16 v3, v3;
	;;#ASMEND
	;;#ASMSTART
	v_cvt_f32_f16 v26, v4;
	;;#ASMEND
	v_and_b32_e32 v4, 0xffff, v36
	v_and_b32_e32 v1, 0xffff, v1
	;;#ASMSTART
	v_cvt_f32_f16 v16, v4;
	;;#ASMEND
	;;#ASMSTART
	v_cvt_f32_f16 v13, v34;
	;;#ASMEND
	;; [unrolled: 3-line block ×4, first 2 shown]
	v_and_b32_e32 v4, 0xffff, v41
	;;#ASMSTART
	v_cvt_f32_f16 v41, v4;
	;;#ASMEND
	ds_read_b64 v[36:37], v40 offset:8
	v_fma_mixlo_f16 v24, v47, v53, 0
	v_fma_mixlo_f16 v42, v47, v42, 0
	;; [unrolled: 1-line block ×4, first 2 shown]
	s_waitcnt lgkmcnt(0)
	v_and_b32_e32 v4, 0xffff, v36
	v_lshrrev_b32_e32 v34, 16, v36
	;;#ASMSTART
	v_cvt_f32_f16 v4, v4;
	;;#ASMEND
	;;#ASMSTART
	v_cvt_f32_f16 v34, v34;
	;;#ASMEND
	;; [unrolled: 3-line block ×3, first 2 shown]
	v_and_b32_e32 v12, 0xffff, v12
	v_mul_f32_e32 v4, v4, v0
	v_fma_mixlo_f16 v0, v47, v32, 0
	v_and_b32_e32 v0, 0xffff, v0
	;;#ASMSTART
	v_cvt_f32_f16 v0, v0;
	;;#ASMEND
	v_fmac_f32_e32 v4, v52, v26
	v_mul_f32_e32 v34, v34, v0
	v_fmac_f32_e32 v34, v3, v16
	v_lshrrev_b32_e32 v0, 16, v37
	v_and_b32_e32 v3, 0xffff, v37
	v_fma_mixlo_f16 v37, v47, v59, 0
	v_fma_mixlo_f16 v59, v47, v62, 0
	;; [unrolled: 1-line block ×3, first 2 shown]
	v_accvgpr_read_b32 v2, a51
	v_fma_mixlo_f16 v52, v47, v2, 0
	v_accvgpr_read_b32 v2, a52
	v_fma_mixlo_f16 v53, v47, v2, 0
	;; [unrolled: 2-line block ×5, first 2 shown]
	v_fma_mixlo_f16 v32, v47, v2, 0
	v_accvgpr_read_b32 v2, a47
	v_and_b32_e32 v16, 0xffff, v16
	v_fma_mixlo_f16 v33, v47, v44, 0
	v_fma_mixlo_f16 v44, v47, v46, 0
	;; [unrolled: 1-line block ×3, first 2 shown]
	v_accvgpr_read_b32 v2, a46
	;;#ASMSTART
	v_cvt_f32_f16 v3, v3;
	;;#ASMEND
	;;#ASMSTART
	v_cvt_f32_f16 v0, v0;
	;;#ASMEND
	;; [unrolled: 3-line block ×3, first 2 shown]
	v_fma_mixlo_f16 v26, v47, v6, 0
	v_fma_mixlo_f16 v6, v47, v2, 0
	v_mul_f32_e32 v36, v3, v16
	v_fma_mixlo_f16 v3, v47, v60, 0
	v_fma_mixlo_f16 v60, v47, v61, 0
	;; [unrolled: 1-line block ×18, first 2 shown]
	v_and_b32_e32 v6, 0xffff, v6
	;;#ASMSTART
	v_cvt_f32_f16 v35, v6;
	;;#ASMEND
	ds_read_b64 v[16:17], v40 offset:16
	v_fmac_f32_e32 v36, v13, v1
	v_fma_mixlo_f16 v1, v47, v14, 0
	v_fma_mixlo_f16 v6, v47, v27, 0
	v_mul_f32_e32 v0, v0, v35
	s_waitcnt lgkmcnt(0)
	v_and_b32_e32 v14, 0xffff, v16
	v_lshrrev_b32_e32 v13, 16, v16
	;;#ASMSTART
	v_cvt_f32_f16 v16, v14;
	;;#ASMEND
	v_and_b32_e32 v14, 0xffff, v42
	;;#ASMSTART
	v_cvt_f32_f16 v13, v13;
	;;#ASMEND
	;;#ASMSTART
	v_cvt_f32_f16 v27, v14;
	;;#ASMEND
	v_and_b32_e32 v14, 0xffff, v33
	;;#ASMSTART
	v_cvt_f32_f16 v33, v14;
	;;#ASMEND
	v_lshrrev_b32_e32 v14, 16, v17
	v_fmac_f32_e32 v0, v15, v41
	v_and_b32_e32 v15, 0xffff, v17
	;;#ASMSTART
	v_cvt_f32_f16 v17, v15;
	;;#ASMEND
	;;#ASMSTART
	v_cvt_f32_f16 v35, v14;
	;;#ASMEND
	v_and_b32_e32 v14, 0xffff, v44
	;;#ASMSTART
	v_cvt_f32_f16 v41, v14;
	;;#ASMEND
	v_and_b32_e32 v14, 0xffff, v46
	;;#ASMSTART
	v_cvt_f32_f16 v42, v14;
	;;#ASMEND
	ds_read_b64 v[14:15], v40 offset:24
	v_fmac_f32_e32 v34, v13, v33
	v_fmac_f32_e32 v4, v16, v27
	;; [unrolled: 1-line block ×4, first 2 shown]
	s_waitcnt lgkmcnt(0)
	v_lshrrev_b32_e32 v13, 16, v14
	v_and_b32_e32 v14, 0xffff, v14
	;;#ASMSTART
	v_cvt_f32_f16 v16, v14;
	;;#ASMEND
	v_and_b32_e32 v14, 0xffff, v49
	;;#ASMSTART
	v_cvt_f32_f16 v13, v13;
	;;#ASMEND
	;;#ASMSTART
	v_cvt_f32_f16 v17, v14;
	;;#ASMEND
	v_and_b32_e32 v14, 0xffff, v54
	;;#ASMSTART
	v_cvt_f32_f16 v27, v14;
	;;#ASMEND
	v_lshrrev_b32_e32 v14, 16, v15
	v_and_b32_e32 v15, 0xffff, v15
	;;#ASMSTART
	v_cvt_f32_f16 v33, v15;
	;;#ASMEND
	;;#ASMSTART
	v_cvt_f32_f16 v35, v14;
	;;#ASMEND
	v_and_b32_e32 v14, 0xffff, v19
	;;#ASMSTART
	v_cvt_f32_f16 v19, v14;
	;;#ASMEND
	v_and_b32_e32 v14, 0xffff, v32
	;;#ASMSTART
	v_cvt_f32_f16 v32, v14;
	;;#ASMEND
	ds_read_b64 v[14:15], v40 offset:32
	v_fmac_f32_e32 v34, v13, v27
	v_fmac_f32_e32 v4, v16, v17
	v_fmac_f32_e32 v36, v33, v19
	v_fmac_f32_e32 v0, v35, v32
	s_waitcnt lgkmcnt(0)
	v_lshrrev_b32_e32 v13, 16, v14
	v_and_b32_e32 v14, 0xffff, v14
	;;#ASMSTART
	v_cvt_f32_f16 v16, v14;
	;;#ASMEND
	v_and_b32_e32 v14, 0xffff, v24
	;;#ASMSTART
	v_cvt_f32_f16 v13, v13;
	;;#ASMEND
	;;#ASMSTART
	v_cvt_f32_f16 v17, v14;
	;;#ASMEND
	v_and_b32_e32 v14, 0xffff, v52
	;;#ASMSTART
	v_cvt_f32_f16 v19, v14;
	;;#ASMEND
	v_lshrrev_b32_e32 v14, 16, v15
	v_and_b32_e32 v15, 0xffff, v15
	;;#ASMSTART
	v_cvt_f32_f16 v24, v15;
	;;#ASMEND
	;;#ASMSTART
	v_cvt_f32_f16 v27, v14;
	;;#ASMEND
	v_and_b32_e32 v14, 0xffff, v53
	;;#ASMSTART
	v_cvt_f32_f16 v32, v14;
	;;#ASMEND
	;;#ASMSTART
	v_cvt_f32_f16 v12, v12;
	;;#ASMEND
	ds_read_b64 v[14:15], v40 offset:40
	v_fmac_f32_e32 v34, v13, v19
	v_fmac_f32_e32 v0, v27, v12
	;; [unrolled: 1-line block ×3, first 2 shown]
	v_fma_mixlo_f16 v10, v47, v10, 0
	s_waitcnt lgkmcnt(0)
	v_lshrrev_b32_e32 v12, 16, v14
	v_and_b32_e32 v13, 0xffff, v14
	v_and_b32_e32 v14, 0xffff, v51
	;;#ASMSTART
	v_cvt_f32_f16 v13, v13;
	;;#ASMEND
	;;#ASMSTART
	v_cvt_f32_f16 v12, v12;
	;;#ASMEND
	;; [unrolled: 3-line block ×3, first 2 shown]
	v_and_b32_e32 v14, 0xffff, v26
	;;#ASMSTART
	v_cvt_f32_f16 v17, v14;
	;;#ASMEND
	v_lshrrev_b32_e32 v14, 16, v15
	v_fmac_f32_e32 v36, v24, v32
	v_and_b32_e32 v15, 0xffff, v15
	;;#ASMSTART
	v_cvt_f32_f16 v19, v15;
	;;#ASMEND
	;;#ASMSTART
	v_cvt_f32_f16 v24, v14;
	;;#ASMEND
	v_and_b32_e32 v14, 0xffff, v25
	v_and_b32_e32 v10, 0xffff, v10
	;;#ASMSTART
	v_cvt_f32_f16 v25, v14;
	;;#ASMEND
	;;#ASMSTART
	v_cvt_f32_f16 v10, v10;
	;;#ASMEND
	ds_read_b64 v[14:15], v40 offset:48
	v_fmac_f32_e32 v34, v12, v17
	v_fmac_f32_e32 v0, v24, v10
	;; [unrolled: 1-line block ×3, first 2 shown]
	v_fma_mixlo_f16 v9, v47, v9, 0
	s_waitcnt lgkmcnt(0)
	v_lshrrev_b32_e32 v10, 16, v14
	v_and_b32_e32 v12, 0xffff, v14
	;;#ASMSTART
	v_cvt_f32_f16 v12, v12;
	;;#ASMEND
	;;#ASMSTART
	v_cvt_f32_f16 v13, v10;
	;;#ASMEND
	v_and_b32_e32 v10, 0xffff, v43
	;;#ASMSTART
	v_cvt_f32_f16 v14, v10;
	;;#ASMEND
	v_and_b32_e32 v10, 0xffff, v50
	;;#ASMSTART
	v_cvt_f32_f16 v16, v10;
	;;#ASMEND
	v_lshrrev_b32_e32 v10, 16, v15
	v_and_b32_e32 v15, 0xffff, v15
	;;#ASMSTART
	v_cvt_f32_f16 v15, v15;
	;;#ASMEND
	;;#ASMSTART
	v_cvt_f32_f16 v17, v10;
	;;#ASMEND
	v_and_b32_e32 v10, 0xffff, v11
	v_and_b32_e32 v9, 0xffff, v9
	v_fmac_f32_e32 v36, v19, v25
	;;#ASMSTART
	v_cvt_f32_f16 v19, v10;
	;;#ASMEND
	;;#ASMSTART
	v_cvt_f32_f16 v9, v9;
	;;#ASMEND
	ds_read_b64 v[10:11], v40 offset:56
	v_fmac_f32_e32 v0, v17, v9
	v_fmac_f32_e32 v4, v12, v14
	;; [unrolled: 1-line block ×3, first 2 shown]
	v_fma_mixlo_f16 v18, v47, v18, 0
	s_waitcnt lgkmcnt(0)
	v_lshrrev_b32_e32 v9, 16, v10
	v_and_b32_e32 v10, 0xffff, v10
	;;#ASMSTART
	v_cvt_f32_f16 v10, v10;
	;;#ASMEND
	;;#ASMSTART
	v_cvt_f32_f16 v12, v9;
	;;#ASMEND
	v_and_b32_e32 v9, 0xffff, v38
	;;#ASMSTART
	v_cvt_f32_f16 v13, v9;
	;;#ASMEND
	v_and_b32_e32 v9, 0xffff, v30
	v_fma_mixlo_f16 v8, v47, v8, 0
	;;#ASMSTART
	v_cvt_f32_f16 v14, v9;
	;;#ASMEND
	v_lshrrev_b32_e32 v9, 16, v11
	v_and_b32_e32 v11, 0xffff, v11
	v_fmac_f32_e32 v36, v15, v19
	;;#ASMSTART
	v_cvt_f32_f16 v11, v11;
	;;#ASMEND
	;;#ASMSTART
	v_cvt_f32_f16 v15, v9;
	;;#ASMEND
	v_and_b32_e32 v9, 0xffff, v18
	v_and_b32_e32 v8, 0xffff, v8
	;;#ASMSTART
	v_cvt_f32_f16 v16, v9;
	;;#ASMEND
	;;#ASMSTART
	v_cvt_f32_f16 v17, v8;
	;;#ASMEND
	ds_read_b64 v[8:9], v40 offset:64
	v_fma_mixlo_f16 v48, v47, v48, 0
	v_fmac_f32_e32 v4, v10, v13
	v_fmac_f32_e32 v36, v11, v16
	;; [unrolled: 1-line block ×3, first 2 shown]
	s_waitcnt lgkmcnt(0)
	v_lshrrev_b32_e32 v10, 16, v8
	v_and_b32_e32 v8, 0xffff, v8
	;;#ASMSTART
	v_cvt_f32_f16 v11, v8;
	;;#ASMEND
	v_and_b32_e32 v8, 0xffff, v48
	;;#ASMSTART
	v_cvt_f32_f16 v10, v10;
	;;#ASMEND
	;;#ASMSTART
	v_cvt_f32_f16 v12, v8;
	;;#ASMEND
	v_and_b32_e32 v8, 0xffff, v56
	v_fma_mixlo_f16 v29, v47, v29, 0
	;;#ASMSTART
	v_cvt_f32_f16 v13, v8;
	;;#ASMEND
	v_lshrrev_b32_e32 v8, 16, v9
	v_fmac_f32_e32 v0, v15, v17
	v_and_b32_e32 v9, 0xffff, v9
	;;#ASMSTART
	v_cvt_f32_f16 v14, v9;
	;;#ASMEND
	;;#ASMSTART
	v_cvt_f32_f16 v15, v8;
	;;#ASMEND
	v_and_b32_e32 v8, 0xffff, v29
	;;#ASMSTART
	v_cvt_f32_f16 v16, v8;
	;;#ASMEND
	v_and_b32_e32 v8, 0xffff, v28
	;;#ASMSTART
	v_cvt_f32_f16 v17, v8;
	;;#ASMEND
	ds_read_b64 v[8:9], v40 offset:72
	v_fma_mixlo_f16 v31, v47, v31, 0
	v_fmac_f32_e32 v34, v10, v13
	v_fma_mixlo_f16 v45, v47, v45, 0
	v_fmac_f32_e32 v4, v11, v12
	s_waitcnt lgkmcnt(0)
	v_lshrrev_b32_e32 v10, 16, v8
	v_and_b32_e32 v8, 0xffff, v8
	;;#ASMSTART
	v_cvt_f32_f16 v11, v8;
	;;#ASMEND
	v_and_b32_e32 v8, 0xffff, v31
	;;#ASMSTART
	v_cvt_f32_f16 v10, v10;
	;;#ASMEND
	;;#ASMSTART
	v_cvt_f32_f16 v12, v8;
	;;#ASMEND
	v_and_b32_e32 v8, 0xffff, v45
	v_fma_mixlo_f16 v21, v47, v21, 0
	;;#ASMSTART
	v_cvt_f32_f16 v13, v8;
	;;#ASMEND
	v_lshrrev_b32_e32 v8, 16, v9
	v_fma_mixlo_f16 v20, v47, v20, 0
	v_fmac_f32_e32 v36, v14, v16
	v_fmac_f32_e32 v0, v15, v17
	v_and_b32_e32 v9, 0xffff, v9
	;;#ASMSTART
	v_cvt_f32_f16 v14, v9;
	;;#ASMEND
	;;#ASMSTART
	v_cvt_f32_f16 v15, v8;
	;;#ASMEND
	v_and_b32_e32 v8, 0xffff, v21
	;;#ASMSTART
	v_cvt_f32_f16 v16, v8;
	;;#ASMEND
	v_and_b32_e32 v8, 0xffff, v20
	;;#ASMSTART
	v_cvt_f32_f16 v17, v8;
	;;#ASMEND
	ds_read_b64 v[8:9], v40 offset:80
	v_fmac_f32_e32 v34, v10, v13
	v_fmac_f32_e32 v4, v11, v12
	v_fma_mixlo_f16 v55, v47, v55, 0
	v_fmac_f32_e32 v36, v14, v16
	s_waitcnt lgkmcnt(0)
	v_lshrrev_b32_e32 v10, 16, v8
	v_and_b32_e32 v8, 0xffff, v8
	;;#ASMSTART
	v_cvt_f32_f16 v11, v8;
	;;#ASMEND
	v_and_b32_e32 v8, 0xffff, v62
	;;#ASMSTART
	v_cvt_f32_f16 v10, v10;
	;;#ASMEND
	;;#ASMSTART
	v_cvt_f32_f16 v12, v8;
	;;#ASMEND
	v_and_b32_e32 v8, 0xffff, v58
	;;#ASMSTART
	v_cvt_f32_f16 v13, v8;
	;;#ASMEND
	v_lshrrev_b32_e32 v8, 16, v9
	v_fmac_f32_e32 v0, v15, v17
	v_and_b32_e32 v9, 0xffff, v9
	;;#ASMSTART
	v_cvt_f32_f16 v14, v9;
	;;#ASMEND
	;;#ASMSTART
	v_cvt_f32_f16 v15, v8;
	;;#ASMEND
	v_and_b32_e32 v8, 0xffff, v55
	;;#ASMSTART
	v_cvt_f32_f16 v16, v8;
	;;#ASMEND
	v_and_b32_e32 v8, 0xffff, v39
	;;#ASMSTART
	v_cvt_f32_f16 v17, v8;
	;;#ASMEND
	ds_read_b64 v[8:9], v40 offset:88
	v_fma_mixlo_f16 v57, v47, v57, 0
	v_fmac_f32_e32 v34, v10, v13
	v_fmac_f32_e32 v4, v11, v12
	;; [unrolled: 1-line block ×3, first 2 shown]
	s_waitcnt lgkmcnt(0)
	v_lshrrev_b32_e32 v10, 16, v8
	v_and_b32_e32 v8, 0xffff, v8
	;;#ASMSTART
	v_cvt_f32_f16 v11, v8;
	;;#ASMEND
	v_and_b32_e32 v8, 0xffff, v57
	;;#ASMSTART
	v_cvt_f32_f16 v10, v10;
	;;#ASMEND
	;;#ASMSTART
	v_cvt_f32_f16 v12, v8;
	;;#ASMEND
	v_and_b32_e32 v8, 0xffff, v61
	;;#ASMSTART
	v_cvt_f32_f16 v13, v8;
	;;#ASMEND
	v_lshrrev_b32_e32 v8, 16, v9
	v_fmac_f32_e32 v0, v15, v17
	v_and_b32_e32 v9, 0xffff, v9
	;;#ASMSTART
	v_cvt_f32_f16 v14, v9;
	;;#ASMEND
	;;#ASMSTART
	v_cvt_f32_f16 v15, v8;
	;;#ASMEND
	v_and_b32_e32 v8, 0xffff, v23
	;;#ASMSTART
	v_cvt_f32_f16 v16, v8;
	;;#ASMEND
	v_and_b32_e32 v8, 0xffff, v22
	;;#ASMSTART
	v_cvt_f32_f16 v17, v8;
	;;#ASMEND
	ds_read_b64 v[8:9], v40 offset:96
	v_fmac_f32_e32 v34, v10, v13
	v_fmac_f32_e32 v4, v11, v12
	v_and_b32_e32 v3, 0xffff, v3
	v_fmac_f32_e32 v36, v14, v16
	s_waitcnt lgkmcnt(0)
	v_lshrrev_b32_e32 v10, 16, v8
	v_and_b32_e32 v8, 0xffff, v8
	;;#ASMSTART
	v_cvt_f32_f16 v11, v8;
	;;#ASMEND
	v_and_b32_e32 v8, 0xffff, v37
	;;#ASMSTART
	v_cvt_f32_f16 v10, v10;
	;;#ASMEND
	;;#ASMSTART
	v_cvt_f32_f16 v12, v8;
	;;#ASMEND
	v_lshrrev_b32_e32 v8, 16, v9
	;;#ASMSTART
	v_cvt_f32_f16 v3, v3;
	;;#ASMEND
	v_and_b32_e32 v9, 0xffff, v9
	;;#ASMSTART
	v_cvt_f32_f16 v13, v9;
	;;#ASMEND
	;;#ASMSTART
	v_cvt_f32_f16 v14, v8;
	;;#ASMEND
	v_and_b32_e32 v8, 0xffff, v60
	v_fmac_f32_e32 v0, v15, v17
	;;#ASMSTART
	v_cvt_f32_f16 v15, v8;
	;;#ASMEND
	v_and_b32_e32 v8, 0xffff, v59
	;;#ASMSTART
	v_cvt_f32_f16 v16, v8;
	;;#ASMEND
	ds_read_b64 v[8:9], v40 offset:104
	v_fmac_f32_e32 v34, v10, v3
	v_and_b32_e32 v7, 0xffff, v7
	v_and_b32_e32 v2, 0xffff, v2
	v_fmac_f32_e32 v4, v11, v12
	s_waitcnt lgkmcnt(0)
	v_lshrrev_b32_e32 v3, 16, v8
	v_and_b32_e32 v8, 0xffff, v8
	;;#ASMSTART
	v_cvt_f32_f16 v8, v8;
	;;#ASMEND
	;;#ASMSTART
	v_cvt_f32_f16 v3, v3;
	;;#ASMEND
	;; [unrolled: 3-line block ×4, first 2 shown]
	v_and_b32_e32 v6, 0xffff, v6
	v_fmac_f32_e32 v34, v3, v2
	v_lshrrev_b32_e32 v2, 16, v9
	v_and_b32_e32 v3, 0xffff, v9
	v_and_b32_e32 v1, 0xffff, v1
	v_fmac_f32_e32 v36, v13, v15
	v_fmac_f32_e32 v0, v14, v16
	;; [unrolled: 1-line block ×3, first 2 shown]
	;;#ASMSTART
	v_cvt_f32_f16 v3, v3;
	;;#ASMEND
	;;#ASMSTART
	v_cvt_f32_f16 v2, v2;
	;;#ASMEND
	;;#ASMSTART
	v_cvt_f32_f16 v6, v6;
	;;#ASMEND
	;;#ASMSTART
	v_cvt_f32_f16 v1, v1;
	;;#ASMEND
	s_nop 0
	v_fmac_f32_e32 v36, v3, v6
	v_fmac_f32_e32 v0, v2, v1
	v_add_f32_e32 v1, v4, v34
	v_accvgpr_read_b32 v3, a44
	v_add_f32_e32 v1, v1, v36
	v_and_b32_e32 v2, 64, v3
	v_add_f32_e32 v0, v0, v1
	v_xor_b32_e32 v1, 1, v3
	v_add_u32_e32 v2, 64, v2
	v_cmp_lt_i32_e64 s[4:5], v1, v2
	s_nop 1
	v_cndmask_b32_e64 v1, v3, v1, s[4:5]
	v_lshlrev_b32_e32 v1, 2, v1
	ds_bpermute_b32 v1, v1, v0
	s_and_saveexec_b64 s[22:23], vcc
	s_cbranch_execz .LBB263_10
; %bb.244:                              ;   in Loop: Header=BB263_12 Depth=1
	v_accvgpr_read_b32 v4, a39
	v_accvgpr_read_b32 v2, a40
	;; [unrolled: 1-line block ×3, first 2 shown]
	v_add_u32_e32 v2, v2, v4
	v_add_u32_e32 v3, v3, v4
	scratch_load_dword v4, off, s32 offset:152 ; 4-byte Folded Reload
	v_cvt_f32_i32_e32 v2, v2
	s_waitcnt lgkmcnt(0)
	v_add_f32_e32 v0, v0, v1
	v_accvgpr_read_b32 v1, a27
	s_load_dword s4, s[10:11], 0x0
	s_waitcnt vmcnt(0)
	v_mul_f32_e32 v2, v4, v2
	v_cndmask_b32_e64 v2, 0, v2, s[2:3]
	v_fmac_f32_e32 v2, v0, v1
	scratch_load_dword v1, off, s32 offset:148 ; 4-byte Folded Reload
	v_accvgpr_read_b32 v4, a41
	v_accvgpr_read_b32 v0, a8
	s_waitcnt lgkmcnt(0)
	v_add_u32_e32 v4, s4, v4
	v_cmp_lt_i32_e64 s[4:5], v3, v0
	s_nop 1
	v_cndmask_b32_e64 v0, 0, v2, s[4:5]
	ds_write_b32 v4, v0
	s_waitcnt vmcnt(0)
	v_max_f32_e32 v0, v1, v1
	v_max_f32_e32 v0, v0, v2
	v_cndmask_b32_e64 v1, v1, v0, s[4:5]
	scratch_store_dword off, v1, s32 offset:148 ; 4-byte Folded Spill
	s_branch .LBB263_10
.LBB263_245:                            ;   in Loop: Header=BB263_12 Depth=1
	v_cmp_eq_u16_sdwa s[30:31], v36, s28 src0_sel:BYTE_0 src1_sel:DWORD
	s_mov_b64 s[4:5], -1
                                        ; implicit-def: $sgpr26
	s_and_saveexec_b64 s[24:25], s[30:31]
; %bb.246:                              ;   in Loop: Header=BB263_12 Depth=1
	s_mov_b32 s26, 0x7fc02000
	s_xor_b64 s[4:5], exec, -1
; %bb.247:                              ;   in Loop: Header=BB263_12 Depth=1
	s_or_b64 exec, exec, s[24:25]
	s_and_b64 s[4:5], s[4:5], exec
	s_or_saveexec_b64 s[22:23], s[22:23]
	v_mov_b32_e32 v0, s26
	s_xor_b64 exec, exec, s[22:23]
	s_cbranch_execz .LBB263_17
.LBB263_248:                            ;   in Loop: Header=BB263_12 Depth=1
	v_cmp_ne_u16_sdwa s[24:25], v36, v5 src0_sel:BYTE_0 src1_sel:DWORD
	s_andn2_b64 s[4:5], s[4:5], exec
	s_and_b64 s[24:25], s[24:25], exec
	v_mov_b32_e32 v0, 0
	s_or_b64 s[4:5], s[4:5], s[24:25]
	s_or_b64 exec, exec, s[22:23]
	s_and_saveexec_b64 s[22:23], s[4:5]
	s_cbranch_execnz .LBB263_18
	s_branch .LBB263_19
.LBB263_249:                            ;   in Loop: Header=BB263_12 Depth=1
	v_cmp_eq_u16_e64 s[4:5], s28, v4
	s_mov_b64 s[22:23], -1
                                        ; implicit-def: $sgpr30
	s_and_saveexec_b64 s[26:27], s[4:5]
; %bb.250:                              ;   in Loop: Header=BB263_12 Depth=1
	s_mov_b32 s30, 0x7fc02000
	s_xor_b64 s[22:23], exec, -1
; %bb.251:                              ;   in Loop: Header=BB263_12 Depth=1
	s_or_b64 exec, exec, s[26:27]
	s_and_b64 s[22:23], s[22:23], exec
	s_or_saveexec_b64 s[24:25], s[24:25]
	v_mov_b32_e32 v13, s30
	s_xor_b64 exec, exec, s[24:25]
	s_cbranch_execz .LBB263_21
.LBB263_252:                            ;   in Loop: Header=BB263_12 Depth=1
	v_cmp_ne_u16_e64 s[4:5], 0, v4
	s_andn2_b64 s[22:23], s[22:23], exec
	s_and_b64 s[4:5], s[4:5], exec
	v_mov_b32_e32 v13, 0
	s_or_b64 s[22:23], s[22:23], s[4:5]
	s_or_b64 exec, exec, s[24:25]
	s_and_saveexec_b64 s[24:25], s[22:23]
	s_cbranch_execnz .LBB263_22
	s_branch .LBB263_23
.LBB263_253:                            ;   in Loop: Header=BB263_12 Depth=1
	v_cmp_eq_u16_sdwa s[30:31], v4, s28 src0_sel:BYTE_0 src1_sel:DWORD
	s_mov_b64 s[4:5], -1
                                        ; implicit-def: $sgpr26
	s_and_saveexec_b64 s[24:25], s[30:31]
; %bb.254:                              ;   in Loop: Header=BB263_12 Depth=1
	s_mov_b32 s26, 0x7fc02000
	s_xor_b64 s[4:5], exec, -1
; %bb.255:                              ;   in Loop: Header=BB263_12 Depth=1
	s_or_b64 exec, exec, s[24:25]
	s_and_b64 s[4:5], s[4:5], exec
	s_or_saveexec_b64 s[22:23], s[22:23]
	v_mov_b32_e32 v16, s26
	s_xor_b64 exec, exec, s[22:23]
	s_cbranch_execz .LBB263_25
.LBB263_256:                            ;   in Loop: Header=BB263_12 Depth=1
	v_cmp_ne_u16_sdwa s[24:25], v4, v5 src0_sel:BYTE_0 src1_sel:DWORD
	s_andn2_b64 s[4:5], s[4:5], exec
	s_and_b64 s[24:25], s[24:25], exec
	v_mov_b32_e32 v16, 0
	s_or_b64 s[4:5], s[4:5], s[24:25]
	s_or_b64 exec, exec, s[22:23]
	s_and_saveexec_b64 s[22:23], s[4:5]
	s_cbranch_execnz .LBB263_26
	s_branch .LBB263_27
.LBB263_257:                            ;   in Loop: Header=BB263_12 Depth=1
	v_cmp_eq_u16_e64 s[4:5], s28, v4
	s_mov_b64 s[22:23], -1
                                        ; implicit-def: $sgpr30
	s_and_saveexec_b64 s[26:27], s[4:5]
; %bb.258:                              ;   in Loop: Header=BB263_12 Depth=1
	s_mov_b32 s30, 0x7fc02000
	s_xor_b64 s[22:23], exec, -1
; %bb.259:                              ;   in Loop: Header=BB263_12 Depth=1
	s_or_b64 exec, exec, s[26:27]
	s_and_b64 s[22:23], s[22:23], exec
	s_or_saveexec_b64 s[24:25], s[24:25]
	v_mov_b32_e32 v19, s30
	s_xor_b64 exec, exec, s[24:25]
	s_cbranch_execz .LBB263_29
.LBB263_260:                            ;   in Loop: Header=BB263_12 Depth=1
	v_cmp_ne_u16_e64 s[4:5], 0, v4
	s_andn2_b64 s[22:23], s[22:23], exec
	s_and_b64 s[4:5], s[4:5], exec
	v_mov_b32_e32 v19, 0
	s_or_b64 s[22:23], s[22:23], s[4:5]
	s_or_b64 exec, exec, s[24:25]
	s_and_saveexec_b64 s[24:25], s[22:23]
	s_cbranch_execnz .LBB263_30
	s_branch .LBB263_31
.LBB263_261:                            ;   in Loop: Header=BB263_12 Depth=1
	v_cmp_eq_u16_sdwa s[30:31], v36, s28 src0_sel:BYTE_0 src1_sel:DWORD
	s_mov_b64 s[4:5], -1
                                        ; implicit-def: $sgpr26
	s_and_saveexec_b64 s[24:25], s[30:31]
; %bb.262:                              ;   in Loop: Header=BB263_12 Depth=1
	s_mov_b32 s26, 0x7fc02000
	s_xor_b64 s[4:5], exec, -1
; %bb.263:                              ;   in Loop: Header=BB263_12 Depth=1
	s_or_b64 exec, exec, s[24:25]
	s_and_b64 s[4:5], s[4:5], exec
	s_or_saveexec_b64 s[22:23], s[22:23]
	v_mov_b32_e32 v24, s26
	s_xor_b64 exec, exec, s[22:23]
	s_cbranch_execz .LBB263_33
.LBB263_264:                            ;   in Loop: Header=BB263_12 Depth=1
	v_cmp_ne_u16_sdwa s[24:25], v36, v5 src0_sel:BYTE_0 src1_sel:DWORD
	s_andn2_b64 s[4:5], s[4:5], exec
	s_and_b64 s[24:25], s[24:25], exec
	v_mov_b32_e32 v24, 0
	s_or_b64 s[4:5], s[4:5], s[24:25]
	s_or_b64 exec, exec, s[22:23]
	s_and_saveexec_b64 s[22:23], s[4:5]
	s_cbranch_execnz .LBB263_34
	s_branch .LBB263_35
.LBB263_265:                            ;   in Loop: Header=BB263_12 Depth=1
	v_cmp_eq_u16_e64 s[4:5], s28, v4
	s_mov_b64 s[22:23], -1
                                        ; implicit-def: $sgpr30
	s_and_saveexec_b64 s[26:27], s[4:5]
; %bb.266:                              ;   in Loop: Header=BB263_12 Depth=1
	s_mov_b32 s30, 0x7fc02000
	s_xor_b64 s[22:23], exec, -1
; %bb.267:                              ;   in Loop: Header=BB263_12 Depth=1
	s_or_b64 exec, exec, s[26:27]
	s_and_b64 s[22:23], s[22:23], exec
	s_or_saveexec_b64 s[24:25], s[24:25]
	v_mov_b32_e32 v32, s30
	s_xor_b64 exec, exec, s[24:25]
	s_cbranch_execz .LBB263_37
.LBB263_268:                            ;   in Loop: Header=BB263_12 Depth=1
	v_cmp_ne_u16_e64 s[4:5], 0, v4
	s_andn2_b64 s[22:23], s[22:23], exec
	s_and_b64 s[4:5], s[4:5], exec
	v_mov_b32_e32 v32, 0
	s_or_b64 s[22:23], s[22:23], s[4:5]
	s_or_b64 exec, exec, s[24:25]
	s_and_saveexec_b64 s[24:25], s[22:23]
	s_cbranch_execnz .LBB263_38
	s_branch .LBB263_39
.LBB263_269:                            ;   in Loop: Header=BB263_12 Depth=1
	v_cmp_eq_u16_sdwa s[30:31], v4, s28 src0_sel:BYTE_0 src1_sel:DWORD
	s_mov_b64 s[4:5], -1
                                        ; implicit-def: $sgpr26
	s_and_saveexec_b64 s[24:25], s[30:31]
; %bb.270:                              ;   in Loop: Header=BB263_12 Depth=1
	s_mov_b32 s26, 0x7fc02000
	s_xor_b64 s[4:5], exec, -1
; %bb.271:                              ;   in Loop: Header=BB263_12 Depth=1
	s_or_b64 exec, exec, s[24:25]
	s_and_b64 s[4:5], s[4:5], exec
	s_or_saveexec_b64 s[22:23], s[22:23]
	v_mov_b32_e32 v33, s26
	s_xor_b64 exec, exec, s[22:23]
	s_cbranch_execz .LBB263_41
.LBB263_272:                            ;   in Loop: Header=BB263_12 Depth=1
	v_cmp_ne_u16_sdwa s[24:25], v4, v5 src0_sel:BYTE_0 src1_sel:DWORD
	s_andn2_b64 s[4:5], s[4:5], exec
	s_and_b64 s[24:25], s[24:25], exec
	v_mov_b32_e32 v33, 0
	s_or_b64 s[4:5], s[4:5], s[24:25]
	s_or_b64 exec, exec, s[22:23]
	s_and_saveexec_b64 s[22:23], s[4:5]
	s_cbranch_execnz .LBB263_42
	s_branch .LBB263_43
.LBB263_273:                            ;   in Loop: Header=BB263_12 Depth=1
	v_cmp_eq_u16_e64 s[4:5], s28, v4
	s_mov_b64 s[22:23], -1
                                        ; implicit-def: $sgpr30
	s_and_saveexec_b64 s[26:27], s[4:5]
; %bb.274:                              ;   in Loop: Header=BB263_12 Depth=1
	s_mov_b32 s30, 0x7fc02000
	s_xor_b64 s[22:23], exec, -1
; %bb.275:                              ;   in Loop: Header=BB263_12 Depth=1
	s_or_b64 exec, exec, s[26:27]
	s_and_b64 s[22:23], s[22:23], exec
	s_or_saveexec_b64 s[24:25], s[24:25]
	v_mov_b32_e32 v26, s30
	s_xor_b64 exec, exec, s[24:25]
	s_cbranch_execz .LBB263_45
.LBB263_276:                            ;   in Loop: Header=BB263_12 Depth=1
	v_cmp_ne_u16_e64 s[4:5], 0, v4
	s_andn2_b64 s[22:23], s[22:23], exec
	s_and_b64 s[4:5], s[4:5], exec
	v_mov_b32_e32 v26, 0
	s_or_b64 s[22:23], s[22:23], s[4:5]
	s_or_b64 exec, exec, s[24:25]
	s_and_saveexec_b64 s[24:25], s[22:23]
	s_cbranch_execnz .LBB263_46
	s_branch .LBB263_47
.LBB263_277:                            ;   in Loop: Header=BB263_12 Depth=1
	v_cmp_eq_u16_sdwa s[30:31], v36, s28 src0_sel:BYTE_0 src1_sel:DWORD
	s_mov_b64 s[4:5], -1
                                        ; implicit-def: $sgpr26
	s_and_saveexec_b64 s[24:25], s[30:31]
; %bb.278:                              ;   in Loop: Header=BB263_12 Depth=1
	s_mov_b32 s26, 0x7fc02000
	s_xor_b64 s[4:5], exec, -1
; %bb.279:                              ;   in Loop: Header=BB263_12 Depth=1
	s_or_b64 exec, exec, s[24:25]
	s_and_b64 s[4:5], s[4:5], exec
	s_or_saveexec_b64 s[22:23], s[22:23]
	v_mov_b32_e32 v42, s26
	s_xor_b64 exec, exec, s[22:23]
	s_cbranch_execz .LBB263_49
.LBB263_280:                            ;   in Loop: Header=BB263_12 Depth=1
	v_cmp_ne_u16_sdwa s[24:25], v36, v5 src0_sel:BYTE_0 src1_sel:DWORD
	s_andn2_b64 s[4:5], s[4:5], exec
	s_and_b64 s[24:25], s[24:25], exec
	v_mov_b32_e32 v42, 0
	s_or_b64 s[4:5], s[4:5], s[24:25]
	s_or_b64 exec, exec, s[22:23]
	s_and_saveexec_b64 s[22:23], s[4:5]
	s_cbranch_execnz .LBB263_50
	s_branch .LBB263_51
.LBB263_281:                            ;   in Loop: Header=BB263_12 Depth=1
	v_cmp_eq_u16_e64 s[4:5], s28, v4
	s_mov_b64 s[22:23], -1
                                        ; implicit-def: $sgpr30
	s_and_saveexec_b64 s[26:27], s[4:5]
; %bb.282:                              ;   in Loop: Header=BB263_12 Depth=1
	s_mov_b32 s30, 0x7fc02000
	s_xor_b64 s[22:23], exec, -1
; %bb.283:                              ;   in Loop: Header=BB263_12 Depth=1
	s_or_b64 exec, exec, s[26:27]
	s_and_b64 s[22:23], s[22:23], exec
	s_or_saveexec_b64 s[24:25], s[24:25]
	v_mov_b32_e32 v44, s30
	s_xor_b64 exec, exec, s[24:25]
	s_cbranch_execz .LBB263_53
.LBB263_284:                            ;   in Loop: Header=BB263_12 Depth=1
	v_cmp_ne_u16_e64 s[4:5], 0, v4
	s_andn2_b64 s[22:23], s[22:23], exec
	s_and_b64 s[4:5], s[4:5], exec
	v_mov_b32_e32 v44, 0
	s_or_b64 s[22:23], s[22:23], s[4:5]
	s_or_b64 exec, exec, s[24:25]
	s_and_saveexec_b64 s[24:25], s[22:23]
	s_cbranch_execnz .LBB263_54
	s_branch .LBB263_55
.LBB263_285:                            ;   in Loop: Header=BB263_12 Depth=1
	v_cmp_eq_u16_sdwa s[30:31], v4, s28 src0_sel:BYTE_0 src1_sel:DWORD
	s_mov_b64 s[4:5], -1
                                        ; implicit-def: $sgpr26
	s_and_saveexec_b64 s[24:25], s[30:31]
; %bb.286:                              ;   in Loop: Header=BB263_12 Depth=1
	s_mov_b32 s26, 0x7fc02000
	s_xor_b64 s[4:5], exec, -1
; %bb.287:                              ;   in Loop: Header=BB263_12 Depth=1
	s_or_b64 exec, exec, s[24:25]
	s_and_b64 s[4:5], s[4:5], exec
	s_or_saveexec_b64 s[22:23], s[22:23]
	v_mov_b32_e32 v46, s26
	s_xor_b64 exec, exec, s[22:23]
	s_cbranch_execz .LBB263_57
.LBB263_288:                            ;   in Loop: Header=BB263_12 Depth=1
	v_cmp_ne_u16_sdwa s[24:25], v4, v5 src0_sel:BYTE_0 src1_sel:DWORD
	s_andn2_b64 s[4:5], s[4:5], exec
	s_and_b64 s[24:25], s[24:25], exec
	v_mov_b32_e32 v46, 0
	s_or_b64 s[4:5], s[4:5], s[24:25]
	s_or_b64 exec, exec, s[22:23]
	s_and_saveexec_b64 s[22:23], s[4:5]
	s_cbranch_execnz .LBB263_58
	s_branch .LBB263_59
.LBB263_289:                            ;   in Loop: Header=BB263_12 Depth=1
	v_cmp_eq_u16_e64 s[4:5], s28, v4
	s_mov_b64 s[22:23], -1
                                        ; implicit-def: $sgpr30
	s_and_saveexec_b64 s[26:27], s[4:5]
; %bb.290:                              ;   in Loop: Header=BB263_12 Depth=1
	s_mov_b32 s30, 0x7fc02000
	s_xor_b64 s[22:23], exec, -1
; %bb.291:                              ;   in Loop: Header=BB263_12 Depth=1
	s_or_b64 exec, exec, s[26:27]
	s_and_b64 s[22:23], s[22:23], exec
	s_or_saveexec_b64 s[24:25], s[24:25]
	v_mov_b32_e32 v49, s30
	s_xor_b64 exec, exec, s[24:25]
	s_cbranch_execz .LBB263_61
.LBB263_292:                            ;   in Loop: Header=BB263_12 Depth=1
	v_cmp_ne_u16_e64 s[4:5], 0, v4
	s_andn2_b64 s[22:23], s[22:23], exec
	s_and_b64 s[4:5], s[4:5], exec
	v_mov_b32_e32 v49, 0
	s_or_b64 s[22:23], s[22:23], s[4:5]
	s_or_b64 exec, exec, s[24:25]
	s_and_saveexec_b64 s[24:25], s[22:23]
	s_cbranch_execnz .LBB263_62
	s_branch .LBB263_63
.LBB263_293:                            ;   in Loop: Header=BB263_12 Depth=1
	v_cmp_eq_u16_sdwa s[30:31], v36, s28 src0_sel:BYTE_0 src1_sel:DWORD
	s_mov_b64 s[4:5], -1
                                        ; implicit-def: $sgpr26
	s_and_saveexec_b64 s[24:25], s[30:31]
; %bb.294:                              ;   in Loop: Header=BB263_12 Depth=1
	s_mov_b32 s26, 0x7fc02000
	s_xor_b64 s[4:5], exec, -1
; %bb.295:                              ;   in Loop: Header=BB263_12 Depth=1
	s_or_b64 exec, exec, s[24:25]
	s_and_b64 s[4:5], s[4:5], exec
	s_or_saveexec_b64 s[22:23], s[22:23]
	v_mov_b32_e32 v0, s26
	s_xor_b64 exec, exec, s[22:23]
	s_cbranch_execz .LBB263_65
.LBB263_296:                            ;   in Loop: Header=BB263_12 Depth=1
	v_cmp_ne_u16_sdwa s[24:25], v36, v5 src0_sel:BYTE_0 src1_sel:DWORD
	s_andn2_b64 s[4:5], s[4:5], exec
	s_and_b64 s[24:25], s[24:25], exec
	v_mov_b32_e32 v0, 0
	s_or_b64 s[4:5], s[4:5], s[24:25]
	s_or_b64 exec, exec, s[22:23]
	s_and_saveexec_b64 s[22:23], s[4:5]
	s_cbranch_execnz .LBB263_66
	s_branch .LBB263_67
.LBB263_297:                            ;   in Loop: Header=BB263_12 Depth=1
	v_cmp_eq_u16_e64 s[4:5], s28, v4
	s_mov_b64 s[22:23], -1
                                        ; implicit-def: $sgpr30
	s_and_saveexec_b64 s[26:27], s[4:5]
; %bb.298:                              ;   in Loop: Header=BB263_12 Depth=1
	s_mov_b32 s30, 0x7fc02000
	s_xor_b64 s[22:23], exec, -1
; %bb.299:                              ;   in Loop: Header=BB263_12 Depth=1
	s_or_b64 exec, exec, s[26:27]
	s_and_b64 s[22:23], s[22:23], exec
	s_or_saveexec_b64 s[24:25], s[24:25]
	v_mov_b32_e32 v54, s30
	s_xor_b64 exec, exec, s[24:25]
	s_cbranch_execz .LBB263_69
.LBB263_300:                            ;   in Loop: Header=BB263_12 Depth=1
	v_cmp_ne_u16_e64 s[4:5], 0, v4
	s_andn2_b64 s[22:23], s[22:23], exec
	s_and_b64 s[4:5], s[4:5], exec
	v_mov_b32_e32 v54, 0
	s_or_b64 s[22:23], s[22:23], s[4:5]
	s_or_b64 exec, exec, s[24:25]
	s_and_saveexec_b64 s[24:25], s[22:23]
	s_cbranch_execnz .LBB263_70
	s_branch .LBB263_71
.LBB263_301:                            ;   in Loop: Header=BB263_12 Depth=1
	v_cmp_eq_u16_sdwa s[30:31], v4, s28 src0_sel:BYTE_0 src1_sel:DWORD
	s_mov_b64 s[4:5], -1
                                        ; implicit-def: $sgpr26
	s_and_saveexec_b64 s[24:25], s[30:31]
; %bb.302:                              ;   in Loop: Header=BB263_12 Depth=1
	s_mov_b32 s26, 0x7fc02000
	s_xor_b64 s[4:5], exec, -1
; %bb.303:                              ;   in Loop: Header=BB263_12 Depth=1
	s_or_b64 exec, exec, s[24:25]
	s_and_b64 s[4:5], s[4:5], exec
	s_or_saveexec_b64 s[22:23], s[22:23]
	v_mov_b32_e32 v1, s26
	s_xor_b64 exec, exec, s[22:23]
	s_cbranch_execz .LBB263_73
.LBB263_304:                            ;   in Loop: Header=BB263_12 Depth=1
	v_cmp_ne_u16_sdwa s[24:25], v4, v5 src0_sel:BYTE_0 src1_sel:DWORD
	s_andn2_b64 s[4:5], s[4:5], exec
	s_and_b64 s[24:25], s[24:25], exec
	v_mov_b32_e32 v1, 0
	s_or_b64 s[4:5], s[4:5], s[24:25]
	s_or_b64 exec, exec, s[22:23]
	s_and_saveexec_b64 s[22:23], s[4:5]
	s_cbranch_execnz .LBB263_74
	s_branch .LBB263_75
.LBB263_305:                            ;   in Loop: Header=BB263_12 Depth=1
	v_cmp_eq_u16_e64 s[4:5], s28, v4
	s_mov_b64 s[22:23], -1
                                        ; implicit-def: $sgpr30
	s_and_saveexec_b64 s[26:27], s[4:5]
; %bb.306:                              ;   in Loop: Header=BB263_12 Depth=1
	s_mov_b32 s30, 0x7fc02000
	s_xor_b64 s[22:23], exec, -1
; %bb.307:                              ;   in Loop: Header=BB263_12 Depth=1
	s_or_b64 exec, exec, s[26:27]
	s_and_b64 s[22:23], s[22:23], exec
	s_or_saveexec_b64 s[24:25], s[24:25]
	v_mov_b32_e32 v52, s30
	s_xor_b64 exec, exec, s[24:25]
	s_cbranch_execz .LBB263_77
.LBB263_308:                            ;   in Loop: Header=BB263_12 Depth=1
	v_cmp_ne_u16_e64 s[4:5], 0, v4
	s_andn2_b64 s[22:23], s[22:23], exec
	s_and_b64 s[4:5], s[4:5], exec
	v_mov_b32_e32 v52, 0
	s_or_b64 s[22:23], s[22:23], s[4:5]
	s_or_b64 exec, exec, s[24:25]
	s_and_saveexec_b64 s[24:25], s[22:23]
	s_cbranch_execnz .LBB263_78
	s_branch .LBB263_79
.LBB263_309:                            ;   in Loop: Header=BB263_12 Depth=1
	v_cmp_eq_u16_sdwa s[30:31], v36, s28 src0_sel:BYTE_0 src1_sel:DWORD
	s_mov_b64 s[4:5], -1
                                        ; implicit-def: $sgpr26
	s_and_saveexec_b64 s[24:25], s[30:31]
; %bb.310:                              ;   in Loop: Header=BB263_12 Depth=1
	s_mov_b32 s26, 0x7fc02000
	s_xor_b64 s[4:5], exec, -1
; %bb.311:                              ;   in Loop: Header=BB263_12 Depth=1
	s_or_b64 exec, exec, s[24:25]
	s_and_b64 s[4:5], s[4:5], exec
	s_or_saveexec_b64 s[22:23], s[22:23]
	v_mov_b32_e32 v53, s26
	s_xor_b64 exec, exec, s[22:23]
	s_cbranch_execz .LBB263_81
.LBB263_312:                            ;   in Loop: Header=BB263_12 Depth=1
	v_cmp_ne_u16_sdwa s[24:25], v36, v5 src0_sel:BYTE_0 src1_sel:DWORD
	s_andn2_b64 s[4:5], s[4:5], exec
	s_and_b64 s[24:25], s[24:25], exec
	v_mov_b32_e32 v53, 0
	s_or_b64 s[4:5], s[4:5], s[24:25]
	s_or_b64 exec, exec, s[22:23]
	s_and_saveexec_b64 s[22:23], s[4:5]
	s_cbranch_execnz .LBB263_82
	s_branch .LBB263_83
.LBB263_313:                            ;   in Loop: Header=BB263_12 Depth=1
	v_cmp_eq_u16_e64 s[4:5], s28, v4
	s_mov_b64 s[22:23], -1
                                        ; implicit-def: $sgpr30
	s_and_saveexec_b64 s[26:27], s[4:5]
; %bb.314:                              ;   in Loop: Header=BB263_12 Depth=1
	s_mov_b32 s30, 0x7fc02000
	s_xor_b64 s[22:23], exec, -1
; %bb.315:                              ;   in Loop: Header=BB263_12 Depth=1
	s_or_b64 exec, exec, s[26:27]
	s_and_b64 s[22:23], s[22:23], exec
	s_or_saveexec_b64 s[24:25], s[24:25]
	v_mov_b32_e32 v40, s30
	s_xor_b64 exec, exec, s[24:25]
	s_cbranch_execz .LBB263_85
.LBB263_316:                            ;   in Loop: Header=BB263_12 Depth=1
	v_cmp_ne_u16_e64 s[4:5], 0, v4
	s_andn2_b64 s[22:23], s[22:23], exec
	s_and_b64 s[4:5], s[4:5], exec
	v_mov_b32_e32 v40, 0
	s_or_b64 s[22:23], s[22:23], s[4:5]
	s_or_b64 exec, exec, s[24:25]
	s_and_saveexec_b64 s[24:25], s[22:23]
	s_cbranch_execnz .LBB263_86
	s_branch .LBB263_87
.LBB263_317:                            ;   in Loop: Header=BB263_12 Depth=1
	v_cmp_eq_u16_sdwa s[30:31], v4, s28 src0_sel:BYTE_0 src1_sel:DWORD
	s_mov_b64 s[4:5], -1
                                        ; implicit-def: $sgpr26
	s_and_saveexec_b64 s[24:25], s[30:31]
; %bb.318:                              ;   in Loop: Header=BB263_12 Depth=1
	s_mov_b32 s26, 0x7fc02000
	s_xor_b64 s[4:5], exec, -1
; %bb.319:                              ;   in Loop: Header=BB263_12 Depth=1
	s_or_b64 exec, exec, s[24:25]
	s_and_b64 s[4:5], s[4:5], exec
	s_or_saveexec_b64 s[22:23], s[22:23]
	v_mov_b32_e32 v41, s26
	s_xor_b64 exec, exec, s[22:23]
	s_cbranch_execz .LBB263_89
.LBB263_320:                            ;   in Loop: Header=BB263_12 Depth=1
	v_cmp_ne_u16_sdwa s[24:25], v4, v5 src0_sel:BYTE_0 src1_sel:DWORD
	s_andn2_b64 s[4:5], s[4:5], exec
	s_and_b64 s[24:25], s[24:25], exec
	v_mov_b32_e32 v41, 0
	s_or_b64 s[4:5], s[4:5], s[24:25]
	s_or_b64 exec, exec, s[22:23]
	s_and_saveexec_b64 s[22:23], s[4:5]
	s_cbranch_execnz .LBB263_90
	s_branch .LBB263_91
.LBB263_321:                            ;   in Loop: Header=BB263_12 Depth=1
	v_cmp_eq_u16_e64 s[4:5], s28, v4
	s_mov_b64 s[22:23], -1
                                        ; implicit-def: $sgpr30
	s_and_saveexec_b64 s[26:27], s[4:5]
; %bb.322:                              ;   in Loop: Header=BB263_12 Depth=1
	s_mov_b32 s30, 0x7fc02000
	s_xor_b64 s[22:23], exec, -1
; %bb.323:                              ;   in Loop: Header=BB263_12 Depth=1
	s_or_b64 exec, exec, s[26:27]
	s_and_b64 s[22:23], s[22:23], exec
	s_or_saveexec_b64 s[24:25], s[24:25]
	v_mov_b32_e32 v12, s30
	s_xor_b64 exec, exec, s[24:25]
	s_cbranch_execz .LBB263_93
.LBB263_324:                            ;   in Loop: Header=BB263_12 Depth=1
	v_cmp_ne_u16_e64 s[4:5], 0, v4
	s_andn2_b64 s[22:23], s[22:23], exec
	s_and_b64 s[4:5], s[4:5], exec
	v_mov_b32_e32 v12, 0
	s_or_b64 s[22:23], s[22:23], s[4:5]
	s_or_b64 exec, exec, s[24:25]
	s_and_saveexec_b64 s[24:25], s[22:23]
	s_cbranch_execnz .LBB263_94
	s_branch .LBB263_95
.LBB263_325:                            ;   in Loop: Header=BB263_12 Depth=1
	v_cmp_eq_u16_sdwa s[30:31], v36, s28 src0_sel:BYTE_0 src1_sel:DWORD
	s_mov_b64 s[4:5], -1
                                        ; implicit-def: $sgpr26
	s_and_saveexec_b64 s[24:25], s[30:31]
; %bb.326:                              ;   in Loop: Header=BB263_12 Depth=1
	s_mov_b32 s26, 0x7fc02000
	s_xor_b64 s[4:5], exec, -1
; %bb.327:                              ;   in Loop: Header=BB263_12 Depth=1
	s_or_b64 exec, exec, s[24:25]
	s_and_b64 s[4:5], s[4:5], exec
	s_or_saveexec_b64 s[22:23], s[22:23]
	v_mov_b32_e32 v25, s26
	s_xor_b64 exec, exec, s[22:23]
	s_cbranch_execz .LBB263_97
.LBB263_328:                            ;   in Loop: Header=BB263_12 Depth=1
	v_cmp_ne_u16_sdwa s[24:25], v36, v5 src0_sel:BYTE_0 src1_sel:DWORD
	s_andn2_b64 s[4:5], s[4:5], exec
	s_and_b64 s[24:25], s[24:25], exec
	v_mov_b32_e32 v25, 0
	s_or_b64 s[4:5], s[4:5], s[24:25]
	s_or_b64 exec, exec, s[22:23]
	s_and_saveexec_b64 s[22:23], s[4:5]
	s_cbranch_execnz .LBB263_98
	s_branch .LBB263_99
.LBB263_329:                            ;   in Loop: Header=BB263_12 Depth=1
	v_cmp_eq_u16_e64 s[4:5], s28, v4
	s_mov_b64 s[22:23], -1
                                        ; implicit-def: $sgpr30
	s_and_saveexec_b64 s[26:27], s[4:5]
; %bb.330:                              ;   in Loop: Header=BB263_12 Depth=1
	s_mov_b32 s30, 0x7fc02000
	s_xor_b64 s[22:23], exec, -1
; %bb.331:                              ;   in Loop: Header=BB263_12 Depth=1
	s_or_b64 exec, exec, s[26:27]
	s_and_b64 s[22:23], s[22:23], exec
	s_or_saveexec_b64 s[24:25], s[24:25]
	v_mov_b32_e32 v6, s30
	s_xor_b64 exec, exec, s[24:25]
	s_cbranch_execz .LBB263_101
.LBB263_332:                            ;   in Loop: Header=BB263_12 Depth=1
	v_cmp_ne_u16_e64 s[4:5], 0, v4
	s_andn2_b64 s[22:23], s[22:23], exec
	s_and_b64 s[4:5], s[4:5], exec
	v_mov_b32_e32 v6, 0
	s_or_b64 s[22:23], s[22:23], s[4:5]
	s_or_b64 exec, exec, s[24:25]
	s_and_saveexec_b64 s[24:25], s[22:23]
	s_cbranch_execnz .LBB263_102
	s_branch .LBB263_103
.LBB263_333:                            ;   in Loop: Header=BB263_12 Depth=1
	v_cmp_eq_u16_sdwa s[30:31], v4, s28 src0_sel:BYTE_0 src1_sel:DWORD
	s_mov_b64 s[4:5], -1
                                        ; implicit-def: $sgpr26
	s_and_saveexec_b64 s[24:25], s[30:31]
; %bb.334:                              ;   in Loop: Header=BB263_12 Depth=1
	s_mov_b32 s26, 0x7fc02000
	s_xor_b64 s[4:5], exec, -1
; %bb.335:                              ;   in Loop: Header=BB263_12 Depth=1
	s_or_b64 exec, exec, s[24:25]
	s_and_b64 s[4:5], s[4:5], exec
	s_or_saveexec_b64 s[22:23], s[22:23]
	v_mov_b32_e32 v7, s26
	s_xor_b64 exec, exec, s[22:23]
	s_cbranch_execz .LBB263_105
.LBB263_336:                            ;   in Loop: Header=BB263_12 Depth=1
	v_cmp_ne_u16_sdwa s[24:25], v4, v5 src0_sel:BYTE_0 src1_sel:DWORD
	s_andn2_b64 s[4:5], s[4:5], exec
	s_and_b64 s[24:25], s[24:25], exec
	v_mov_b32_e32 v7, 0
	s_or_b64 s[4:5], s[4:5], s[24:25]
	s_or_b64 exec, exec, s[22:23]
	s_and_saveexec_b64 s[22:23], s[4:5]
	s_cbranch_execnz .LBB263_106
	s_branch .LBB263_107
.LBB263_337:                            ;   in Loop: Header=BB263_12 Depth=1
	v_cmp_eq_u16_e64 s[4:5], s28, v4
	s_mov_b64 s[22:23], -1
                                        ; implicit-def: $sgpr30
	s_and_saveexec_b64 s[26:27], s[4:5]
; %bb.338:                              ;   in Loop: Header=BB263_12 Depth=1
	s_mov_b32 s30, 0x7fc02000
	s_xor_b64 s[22:23], exec, -1
; %bb.339:                              ;   in Loop: Header=BB263_12 Depth=1
	s_or_b64 exec, exec, s[26:27]
	s_and_b64 s[22:23], s[22:23], exec
	s_or_saveexec_b64 s[24:25], s[24:25]
	v_mov_b32_e32 v10, s30
	s_xor_b64 exec, exec, s[24:25]
	s_cbranch_execz .LBB263_109
.LBB263_340:                            ;   in Loop: Header=BB263_12 Depth=1
	v_cmp_ne_u16_e64 s[4:5], 0, v4
	s_andn2_b64 s[22:23], s[22:23], exec
	s_and_b64 s[4:5], s[4:5], exec
	v_mov_b32_e32 v10, 0
	s_or_b64 s[22:23], s[22:23], s[4:5]
	s_or_b64 exec, exec, s[24:25]
	s_and_saveexec_b64 s[24:25], s[22:23]
	s_cbranch_execnz .LBB263_110
	s_branch .LBB263_111
.LBB263_341:                            ;   in Loop: Header=BB263_12 Depth=1
	v_cmp_eq_u16_sdwa s[30:31], v36, s28 src0_sel:BYTE_0 src1_sel:DWORD
	s_mov_b64 s[4:5], -1
                                        ; implicit-def: $sgpr26
	s_and_saveexec_b64 s[24:25], s[30:31]
; %bb.342:                              ;   in Loop: Header=BB263_12 Depth=1
	s_mov_b32 s26, 0x7fc02000
	s_xor_b64 s[4:5], exec, -1
; %bb.343:                              ;   in Loop: Header=BB263_12 Depth=1
	s_or_b64 exec, exec, s[24:25]
	s_and_b64 s[4:5], s[4:5], exec
	s_or_saveexec_b64 s[22:23], s[22:23]
	v_mov_b32_e32 v11, s26
	s_xor_b64 exec, exec, s[22:23]
	s_cbranch_execz .LBB263_113
.LBB263_344:                            ;   in Loop: Header=BB263_12 Depth=1
	v_cmp_ne_u16_sdwa s[24:25], v36, v5 src0_sel:BYTE_0 src1_sel:DWORD
	s_andn2_b64 s[4:5], s[4:5], exec
	s_and_b64 s[24:25], s[24:25], exec
	v_mov_b32_e32 v11, 0
	s_or_b64 s[4:5], s[4:5], s[24:25]
	s_or_b64 exec, exec, s[22:23]
	s_and_saveexec_b64 s[22:23], s[4:5]
	s_cbranch_execnz .LBB263_114
	s_branch .LBB263_115
.LBB263_345:                            ;   in Loop: Header=BB263_12 Depth=1
	v_cmp_eq_u16_e64 s[4:5], s28, v4
	s_mov_b64 s[22:23], -1
                                        ; implicit-def: $sgpr30
	s_and_saveexec_b64 s[26:27], s[4:5]
; %bb.346:                              ;   in Loop: Header=BB263_12 Depth=1
	s_mov_b32 s30, 0x7fc02000
	s_xor_b64 s[22:23], exec, -1
; %bb.347:                              ;   in Loop: Header=BB263_12 Depth=1
	s_or_b64 exec, exec, s[26:27]
	s_and_b64 s[22:23], s[22:23], exec
	s_or_saveexec_b64 s[24:25], s[24:25]
	v_mov_b32_e32 v43, s30
	s_xor_b64 exec, exec, s[24:25]
	s_cbranch_execz .LBB263_117
.LBB263_348:                            ;   in Loop: Header=BB263_12 Depth=1
	v_cmp_ne_u16_e64 s[4:5], 0, v4
	s_andn2_b64 s[22:23], s[22:23], exec
	s_and_b64 s[4:5], s[4:5], exec
	v_mov_b32_e32 v43, 0
	s_or_b64 s[22:23], s[22:23], s[4:5]
	s_or_b64 exec, exec, s[24:25]
	s_and_saveexec_b64 s[24:25], s[22:23]
	s_cbranch_execnz .LBB263_118
	s_branch .LBB263_119
.LBB263_349:                            ;   in Loop: Header=BB263_12 Depth=1
	v_cmp_eq_u16_sdwa s[30:31], v4, s28 src0_sel:BYTE_0 src1_sel:DWORD
	s_mov_b64 s[4:5], -1
                                        ; implicit-def: $sgpr26
	s_and_saveexec_b64 s[24:25], s[30:31]
; %bb.350:                              ;   in Loop: Header=BB263_12 Depth=1
	s_mov_b32 s26, 0x7fc02000
	s_xor_b64 s[4:5], exec, -1
; %bb.351:                              ;   in Loop: Header=BB263_12 Depth=1
	s_or_b64 exec, exec, s[24:25]
	s_and_b64 s[4:5], s[4:5], exec
	s_or_saveexec_b64 s[22:23], s[22:23]
	v_mov_b32_e32 v51, s26
	s_xor_b64 exec, exec, s[22:23]
	s_cbranch_execz .LBB263_121
.LBB263_352:                            ;   in Loop: Header=BB263_12 Depth=1
	v_cmp_ne_u16_sdwa s[24:25], v4, v5 src0_sel:BYTE_0 src1_sel:DWORD
	s_andn2_b64 s[4:5], s[4:5], exec
	s_and_b64 s[24:25], s[24:25], exec
	v_mov_b32_e32 v51, 0
	s_or_b64 s[4:5], s[4:5], s[24:25]
	s_or_b64 exec, exec, s[22:23]
	s_and_saveexec_b64 s[22:23], s[4:5]
	s_cbranch_execnz .LBB263_122
	s_branch .LBB263_123
.LBB263_353:                            ;   in Loop: Header=BB263_12 Depth=1
	v_cmp_eq_u16_e64 s[4:5], s28, v4
	s_mov_b64 s[22:23], -1
                                        ; implicit-def: $sgpr30
	s_and_saveexec_b64 s[26:27], s[4:5]
; %bb.354:                              ;   in Loop: Header=BB263_12 Depth=1
	s_mov_b32 s30, 0x7fc02000
	s_xor_b64 s[22:23], exec, -1
; %bb.355:                              ;   in Loop: Header=BB263_12 Depth=1
	s_or_b64 exec, exec, s[26:27]
	s_and_b64 s[22:23], s[22:23], exec
	s_or_saveexec_b64 s[24:25], s[24:25]
	v_mov_b32_e32 v9, s30
	s_xor_b64 exec, exec, s[24:25]
	s_cbranch_execz .LBB263_125
.LBB263_356:                            ;   in Loop: Header=BB263_12 Depth=1
	v_cmp_ne_u16_e64 s[4:5], 0, v4
	s_andn2_b64 s[22:23], s[22:23], exec
	s_and_b64 s[4:5], s[4:5], exec
	v_mov_b32_e32 v9, 0
	s_or_b64 s[22:23], s[22:23], s[4:5]
	s_or_b64 exec, exec, s[24:25]
	s_and_saveexec_b64 s[24:25], s[22:23]
	s_cbranch_execnz .LBB263_126
	s_branch .LBB263_127
.LBB263_357:                            ;   in Loop: Header=BB263_12 Depth=1
	v_cmp_eq_u16_sdwa s[30:31], v36, s28 src0_sel:BYTE_0 src1_sel:DWORD
	s_mov_b64 s[4:5], -1
                                        ; implicit-def: $sgpr26
	s_and_saveexec_b64 s[24:25], s[30:31]
; %bb.358:                              ;   in Loop: Header=BB263_12 Depth=1
	s_mov_b32 s26, 0x7fc02000
	s_xor_b64 s[4:5], exec, -1
; %bb.359:                              ;   in Loop: Header=BB263_12 Depth=1
	s_or_b64 exec, exec, s[24:25]
	s_and_b64 s[4:5], s[4:5], exec
	s_or_saveexec_b64 s[22:23], s[22:23]
	v_mov_b32_e32 v50, s26
	s_xor_b64 exec, exec, s[22:23]
	s_cbranch_execz .LBB263_129
.LBB263_360:                            ;   in Loop: Header=BB263_12 Depth=1
	v_cmp_ne_u16_sdwa s[24:25], v36, v5 src0_sel:BYTE_0 src1_sel:DWORD
	s_andn2_b64 s[4:5], s[4:5], exec
	s_and_b64 s[24:25], s[24:25], exec
	v_mov_b32_e32 v50, 0
	s_or_b64 s[4:5], s[4:5], s[24:25]
	s_or_b64 exec, exec, s[22:23]
	s_and_saveexec_b64 s[22:23], s[4:5]
	s_cbranch_execnz .LBB263_130
	s_branch .LBB263_131
.LBB263_361:                            ;   in Loop: Header=BB263_12 Depth=1
	v_cmp_eq_u16_e64 s[4:5], s28, v4
	s_mov_b64 s[22:23], -1
                                        ; implicit-def: $sgpr30
	s_and_saveexec_b64 s[26:27], s[4:5]
; %bb.362:                              ;   in Loop: Header=BB263_12 Depth=1
	s_mov_b32 s30, 0x7fc02000
	s_xor_b64 s[22:23], exec, -1
; %bb.363:                              ;   in Loop: Header=BB263_12 Depth=1
	s_or_b64 exec, exec, s[26:27]
	s_and_b64 s[22:23], s[22:23], exec
	s_or_saveexec_b64 s[24:25], s[24:25]
	v_mov_b32_e32 v38, s30
	s_xor_b64 exec, exec, s[24:25]
	s_cbranch_execz .LBB263_133
.LBB263_364:                            ;   in Loop: Header=BB263_12 Depth=1
	v_cmp_ne_u16_e64 s[4:5], 0, v4
	s_andn2_b64 s[22:23], s[22:23], exec
	s_and_b64 s[4:5], s[4:5], exec
	v_mov_b32_e32 v38, 0
	s_or_b64 s[22:23], s[22:23], s[4:5]
	s_or_b64 exec, exec, s[24:25]
	s_and_saveexec_b64 s[24:25], s[22:23]
	s_cbranch_execnz .LBB263_134
	s_branch .LBB263_135
.LBB263_365:                            ;   in Loop: Header=BB263_12 Depth=1
	v_cmp_eq_u16_sdwa s[30:31], v4, s28 src0_sel:BYTE_0 src1_sel:DWORD
	s_mov_b64 s[4:5], -1
                                        ; implicit-def: $sgpr26
	s_and_saveexec_b64 s[24:25], s[30:31]
; %bb.366:                              ;   in Loop: Header=BB263_12 Depth=1
	s_mov_b32 s26, 0x7fc02000
	s_xor_b64 s[4:5], exec, -1
; %bb.367:                              ;   in Loop: Header=BB263_12 Depth=1
	s_or_b64 exec, exec, s[24:25]
	s_and_b64 s[4:5], s[4:5], exec
	s_or_saveexec_b64 s[22:23], s[22:23]
	v_mov_b32_e32 v18, s26
	s_xor_b64 exec, exec, s[22:23]
	s_cbranch_execz .LBB263_137
.LBB263_368:                            ;   in Loop: Header=BB263_12 Depth=1
	v_cmp_ne_u16_sdwa s[24:25], v4, v5 src0_sel:BYTE_0 src1_sel:DWORD
	s_andn2_b64 s[4:5], s[4:5], exec
	s_and_b64 s[24:25], s[24:25], exec
	v_mov_b32_e32 v18, 0
	s_or_b64 s[4:5], s[4:5], s[24:25]
	s_or_b64 exec, exec, s[22:23]
	s_and_saveexec_b64 s[22:23], s[4:5]
	s_cbranch_execnz .LBB263_138
	s_branch .LBB263_139
.LBB263_369:                            ;   in Loop: Header=BB263_12 Depth=1
	v_cmp_eq_u16_e64 s[4:5], s28, v4
	s_mov_b64 s[22:23], -1
                                        ; implicit-def: $sgpr30
	s_and_saveexec_b64 s[26:27], s[4:5]
; %bb.370:                              ;   in Loop: Header=BB263_12 Depth=1
	s_mov_b32 s30, 0x7fc02000
	s_xor_b64 s[22:23], exec, -1
; %bb.371:                              ;   in Loop: Header=BB263_12 Depth=1
	s_or_b64 exec, exec, s[26:27]
	s_and_b64 s[22:23], s[22:23], exec
	s_or_saveexec_b64 s[24:25], s[24:25]
	v_mov_b32_e32 v8, s30
	s_xor_b64 exec, exec, s[24:25]
	s_cbranch_execz .LBB263_141
.LBB263_372:                            ;   in Loop: Header=BB263_12 Depth=1
	v_cmp_ne_u16_e64 s[4:5], 0, v4
	s_andn2_b64 s[22:23], s[22:23], exec
	s_and_b64 s[4:5], s[4:5], exec
	v_mov_b32_e32 v8, 0
	s_or_b64 s[22:23], s[22:23], s[4:5]
	s_or_b64 exec, exec, s[24:25]
	s_and_saveexec_b64 s[24:25], s[22:23]
	s_cbranch_execnz .LBB263_142
	s_branch .LBB263_143
.LBB263_373:                            ;   in Loop: Header=BB263_12 Depth=1
	v_cmp_eq_u16_sdwa s[30:31], v36, s28 src0_sel:BYTE_0 src1_sel:DWORD
	s_mov_b64 s[4:5], -1
                                        ; implicit-def: $sgpr26
	s_and_saveexec_b64 s[24:25], s[30:31]
; %bb.374:                              ;   in Loop: Header=BB263_12 Depth=1
	s_mov_b32 s26, 0x7fc02000
	s_xor_b64 s[4:5], exec, -1
; %bb.375:                              ;   in Loop: Header=BB263_12 Depth=1
	s_or_b64 exec, exec, s[24:25]
	s_and_b64 s[4:5], s[4:5], exec
	s_or_saveexec_b64 s[22:23], s[22:23]
	v_mov_b32_e32 v48, s26
	s_xor_b64 exec, exec, s[22:23]
	s_cbranch_execz .LBB263_145
.LBB263_376:                            ;   in Loop: Header=BB263_12 Depth=1
	v_cmp_ne_u16_sdwa s[24:25], v36, v5 src0_sel:BYTE_0 src1_sel:DWORD
	s_andn2_b64 s[4:5], s[4:5], exec
	s_and_b64 s[24:25], s[24:25], exec
	v_mov_b32_e32 v48, 0
	s_or_b64 s[4:5], s[4:5], s[24:25]
	s_or_b64 exec, exec, s[22:23]
	s_and_saveexec_b64 s[22:23], s[4:5]
	s_cbranch_execnz .LBB263_146
	s_branch .LBB263_147
.LBB263_377:                            ;   in Loop: Header=BB263_12 Depth=1
	v_cmp_eq_u16_e64 s[4:5], s28, v4
	s_mov_b64 s[22:23], -1
                                        ; implicit-def: $sgpr30
	s_and_saveexec_b64 s[26:27], s[4:5]
; %bb.378:                              ;   in Loop: Header=BB263_12 Depth=1
	s_mov_b32 s30, 0x7fc02000
	s_xor_b64 s[22:23], exec, -1
; %bb.379:                              ;   in Loop: Header=BB263_12 Depth=1
	s_or_b64 exec, exec, s[26:27]
	s_and_b64 s[22:23], s[22:23], exec
	s_or_saveexec_b64 s[24:25], s[24:25]
	v_mov_b32_e32 v28, s30
	s_xor_b64 exec, exec, s[24:25]
	s_cbranch_execz .LBB263_149
.LBB263_380:                            ;   in Loop: Header=BB263_12 Depth=1
	v_cmp_ne_u16_e64 s[4:5], 0, v4
	s_andn2_b64 s[22:23], s[22:23], exec
	s_and_b64 s[4:5], s[4:5], exec
	v_mov_b32_e32 v28, 0
	s_or_b64 s[22:23], s[22:23], s[4:5]
	s_or_b64 exec, exec, s[24:25]
	s_and_saveexec_b64 s[24:25], s[22:23]
	s_cbranch_execnz .LBB263_150
	s_branch .LBB263_151
.LBB263_381:                            ;   in Loop: Header=BB263_12 Depth=1
	v_cmp_eq_u16_sdwa s[30:31], v4, s28 src0_sel:BYTE_0 src1_sel:DWORD
	s_mov_b64 s[4:5], -1
                                        ; implicit-def: $sgpr26
	s_and_saveexec_b64 s[24:25], s[30:31]
; %bb.382:                              ;   in Loop: Header=BB263_12 Depth=1
	s_mov_b32 s26, 0x7fc02000
	s_xor_b64 s[4:5], exec, -1
; %bb.383:                              ;   in Loop: Header=BB263_12 Depth=1
	s_or_b64 exec, exec, s[24:25]
	s_and_b64 s[4:5], s[4:5], exec
	s_or_saveexec_b64 s[22:23], s[22:23]
	v_mov_b32_e32 v29, s26
	s_xor_b64 exec, exec, s[22:23]
	s_cbranch_execz .LBB263_153
.LBB263_384:                            ;   in Loop: Header=BB263_12 Depth=1
	v_cmp_ne_u16_sdwa s[24:25], v4, v5 src0_sel:BYTE_0 src1_sel:DWORD
	s_andn2_b64 s[4:5], s[4:5], exec
	s_and_b64 s[24:25], s[24:25], exec
	v_mov_b32_e32 v29, 0
	s_or_b64 s[4:5], s[4:5], s[24:25]
	s_or_b64 exec, exec, s[22:23]
	s_and_saveexec_b64 s[22:23], s[4:5]
	s_cbranch_execnz .LBB263_154
	s_branch .LBB263_155
.LBB263_385:                            ;   in Loop: Header=BB263_12 Depth=1
	v_cmp_eq_u16_e64 s[4:5], s28, v4
	s_mov_b64 s[22:23], -1
                                        ; implicit-def: $sgpr30
	s_and_saveexec_b64 s[26:27], s[4:5]
; %bb.386:                              ;   in Loop: Header=BB263_12 Depth=1
	s_mov_b32 s30, 0x7fc02000
	s_xor_b64 s[22:23], exec, -1
; %bb.387:                              ;   in Loop: Header=BB263_12 Depth=1
	s_or_b64 exec, exec, s[26:27]
	s_and_b64 s[22:23], s[22:23], exec
	s_or_saveexec_b64 s[24:25], s[24:25]
	v_mov_b32_e32 v30, s30
	s_xor_b64 exec, exec, s[24:25]
	s_cbranch_execz .LBB263_157
.LBB263_388:                            ;   in Loop: Header=BB263_12 Depth=1
	v_cmp_ne_u16_e64 s[4:5], 0, v4
	s_andn2_b64 s[22:23], s[22:23], exec
	s_and_b64 s[4:5], s[4:5], exec
	v_mov_b32_e32 v30, 0
	s_or_b64 s[22:23], s[22:23], s[4:5]
	s_or_b64 exec, exec, s[24:25]
	s_and_saveexec_b64 s[24:25], s[22:23]
	s_cbranch_execnz .LBB263_158
	s_branch .LBB263_159
.LBB263_389:                            ;   in Loop: Header=BB263_12 Depth=1
	v_cmp_eq_u16_sdwa s[30:31], v36, s28 src0_sel:BYTE_0 src1_sel:DWORD
	s_mov_b64 s[4:5], -1
                                        ; implicit-def: $sgpr26
	s_and_saveexec_b64 s[24:25], s[30:31]
; %bb.390:                              ;   in Loop: Header=BB263_12 Depth=1
	s_mov_b32 s26, 0x7fc02000
	s_xor_b64 s[4:5], exec, -1
; %bb.391:                              ;   in Loop: Header=BB263_12 Depth=1
	s_or_b64 exec, exec, s[24:25]
	s_and_b64 s[4:5], s[4:5], exec
	s_or_saveexec_b64 s[22:23], s[22:23]
	v_mov_b32_e32 v31, s26
	s_xor_b64 exec, exec, s[22:23]
	s_cbranch_execz .LBB263_161
.LBB263_392:                            ;   in Loop: Header=BB263_12 Depth=1
	v_cmp_ne_u16_sdwa s[24:25], v36, v5 src0_sel:BYTE_0 src1_sel:DWORD
	s_andn2_b64 s[4:5], s[4:5], exec
	s_and_b64 s[24:25], s[24:25], exec
	v_mov_b32_e32 v31, 0
	s_or_b64 s[4:5], s[4:5], s[24:25]
	s_or_b64 exec, exec, s[22:23]
	s_and_saveexec_b64 s[22:23], s[4:5]
	s_cbranch_execnz .LBB263_162
	s_branch .LBB263_163
.LBB263_393:                            ;   in Loop: Header=BB263_12 Depth=1
	v_cmp_eq_u16_e64 s[4:5], s28, v4
	s_mov_b64 s[22:23], -1
                                        ; implicit-def: $sgpr30
	s_and_saveexec_b64 s[26:27], s[4:5]
; %bb.394:                              ;   in Loop: Header=BB263_12 Depth=1
	s_mov_b32 s30, 0x7fc02000
	s_xor_b64 s[22:23], exec, -1
; %bb.395:                              ;   in Loop: Header=BB263_12 Depth=1
	s_or_b64 exec, exec, s[26:27]
	s_and_b64 s[22:23], s[22:23], exec
	s_or_saveexec_b64 s[24:25], s[24:25]
	v_mov_b32_e32 v45, s30
	s_xor_b64 exec, exec, s[24:25]
	s_cbranch_execz .LBB263_165
.LBB263_396:                            ;   in Loop: Header=BB263_12 Depth=1
	v_cmp_ne_u16_e64 s[4:5], 0, v4
	s_andn2_b64 s[22:23], s[22:23], exec
	s_and_b64 s[4:5], s[4:5], exec
	v_mov_b32_e32 v45, 0
	s_or_b64 s[22:23], s[22:23], s[4:5]
	s_or_b64 exec, exec, s[24:25]
	s_and_saveexec_b64 s[24:25], s[22:23]
	s_cbranch_execnz .LBB263_166
	s_branch .LBB263_167
.LBB263_397:                            ;   in Loop: Header=BB263_12 Depth=1
	v_cmp_eq_u16_sdwa s[30:31], v4, s28 src0_sel:BYTE_0 src1_sel:DWORD
	s_mov_b64 s[4:5], -1
                                        ; implicit-def: $sgpr26
	s_and_saveexec_b64 s[24:25], s[30:31]
; %bb.398:                              ;   in Loop: Header=BB263_12 Depth=1
	s_mov_b32 s26, 0x7fc02000
	s_xor_b64 s[4:5], exec, -1
; %bb.399:                              ;   in Loop: Header=BB263_12 Depth=1
	s_or_b64 exec, exec, s[24:25]
	s_and_b64 s[4:5], s[4:5], exec
	s_or_saveexec_b64 s[22:23], s[22:23]
	v_mov_b32_e32 v21, s26
	s_xor_b64 exec, exec, s[22:23]
	s_cbranch_execz .LBB263_169
.LBB263_400:                            ;   in Loop: Header=BB263_12 Depth=1
	v_cmp_ne_u16_sdwa s[24:25], v4, v5 src0_sel:BYTE_0 src1_sel:DWORD
	s_andn2_b64 s[4:5], s[4:5], exec
	s_and_b64 s[24:25], s[24:25], exec
	v_mov_b32_e32 v21, 0
	s_or_b64 s[4:5], s[4:5], s[24:25]
	s_or_b64 exec, exec, s[22:23]
	s_and_saveexec_b64 s[22:23], s[4:5]
	s_cbranch_execnz .LBB263_170
	s_branch .LBB263_171
.LBB263_401:                            ;   in Loop: Header=BB263_12 Depth=1
	v_cmp_eq_u16_e64 s[4:5], s28, v4
	s_mov_b64 s[22:23], -1
                                        ; implicit-def: $sgpr30
	s_and_saveexec_b64 s[26:27], s[4:5]
; %bb.402:                              ;   in Loop: Header=BB263_12 Depth=1
	s_mov_b32 s30, 0x7fc02000
	s_xor_b64 s[22:23], exec, -1
; %bb.403:                              ;   in Loop: Header=BB263_12 Depth=1
	s_or_b64 exec, exec, s[26:27]
	s_and_b64 s[22:23], s[22:23], exec
	s_or_saveexec_b64 s[24:25], s[24:25]
	v_mov_b32_e32 v20, s30
	s_xor_b64 exec, exec, s[24:25]
	s_cbranch_execz .LBB263_173
.LBB263_404:                            ;   in Loop: Header=BB263_12 Depth=1
	v_cmp_ne_u16_e64 s[4:5], 0, v4
	s_andn2_b64 s[22:23], s[22:23], exec
	s_and_b64 s[4:5], s[4:5], exec
	v_mov_b32_e32 v20, 0
	s_or_b64 s[22:23], s[22:23], s[4:5]
	s_or_b64 exec, exec, s[24:25]
	s_and_saveexec_b64 s[24:25], s[22:23]
	s_cbranch_execnz .LBB263_174
	s_branch .LBB263_175
.LBB263_405:                            ;   in Loop: Header=BB263_12 Depth=1
	v_cmp_eq_u16_sdwa s[30:31], v36, s28 src0_sel:BYTE_0 src1_sel:DWORD
	s_mov_b64 s[4:5], -1
                                        ; implicit-def: $sgpr26
	s_and_saveexec_b64 s[24:25], s[30:31]
; %bb.406:                              ;   in Loop: Header=BB263_12 Depth=1
	s_mov_b32 s26, 0x7fc02000
	s_xor_b64 s[4:5], exec, -1
; %bb.407:                              ;   in Loop: Header=BB263_12 Depth=1
	s_or_b64 exec, exec, s[24:25]
	s_and_b64 s[4:5], s[4:5], exec
	s_or_saveexec_b64 s[22:23], s[22:23]
	v_mov_b32_e32 v2, s26
	s_xor_b64 exec, exec, s[22:23]
	s_cbranch_execz .LBB263_177
.LBB263_408:                            ;   in Loop: Header=BB263_12 Depth=1
	v_cmp_ne_u16_sdwa s[24:25], v36, v5 src0_sel:BYTE_0 src1_sel:DWORD
	s_andn2_b64 s[4:5], s[4:5], exec
	s_and_b64 s[24:25], s[24:25], exec
	v_mov_b32_e32 v2, 0
	s_or_b64 s[4:5], s[4:5], s[24:25]
	s_or_b64 exec, exec, s[22:23]
	s_and_saveexec_b64 s[22:23], s[4:5]
	s_cbranch_execnz .LBB263_178
	s_branch .LBB263_179
.LBB263_409:                            ;   in Loop: Header=BB263_12 Depth=1
	v_cmp_eq_u16_e64 s[4:5], s28, v4
	s_mov_b64 s[22:23], -1
                                        ; implicit-def: $sgpr30
	s_and_saveexec_b64 s[26:27], s[4:5]
; %bb.410:                              ;   in Loop: Header=BB263_12 Depth=1
	s_mov_b32 s30, 0x7fc02000
	s_xor_b64 s[22:23], exec, -1
; %bb.411:                              ;   in Loop: Header=BB263_12 Depth=1
	s_or_b64 exec, exec, s[26:27]
	s_and_b64 s[22:23], s[22:23], exec
	s_or_saveexec_b64 s[24:25], s[24:25]
	v_mov_b32_e32 v39, s30
	s_xor_b64 exec, exec, s[24:25]
	s_cbranch_execz .LBB263_181
.LBB263_412:                            ;   in Loop: Header=BB263_12 Depth=1
	v_cmp_ne_u16_e64 s[4:5], 0, v4
	s_andn2_b64 s[22:23], s[22:23], exec
	s_and_b64 s[4:5], s[4:5], exec
	v_mov_b32_e32 v39, 0
	s_or_b64 s[22:23], s[22:23], s[4:5]
	s_or_b64 exec, exec, s[24:25]
	s_and_saveexec_b64 s[24:25], s[22:23]
	s_cbranch_execnz .LBB263_182
	s_branch .LBB263_183
.LBB263_413:                            ;   in Loop: Header=BB263_12 Depth=1
	v_cmp_eq_u16_sdwa s[30:31], v4, s28 src0_sel:BYTE_0 src1_sel:DWORD
	s_mov_b64 s[4:5], -1
                                        ; implicit-def: $sgpr26
	s_and_saveexec_b64 s[24:25], s[30:31]
; %bb.414:                              ;   in Loop: Header=BB263_12 Depth=1
	s_mov_b32 s26, 0x7fc02000
	s_xor_b64 s[4:5], exec, -1
; %bb.415:                              ;   in Loop: Header=BB263_12 Depth=1
	s_or_b64 exec, exec, s[24:25]
	s_and_b64 s[4:5], s[4:5], exec
	s_or_saveexec_b64 s[22:23], s[22:23]
	v_mov_b32_e32 v55, s26
	s_xor_b64 exec, exec, s[22:23]
	s_cbranch_execz .LBB263_185
.LBB263_416:                            ;   in Loop: Header=BB263_12 Depth=1
	v_cmp_ne_u16_sdwa s[24:25], v4, v5 src0_sel:BYTE_0 src1_sel:DWORD
	s_andn2_b64 s[4:5], s[4:5], exec
	s_and_b64 s[24:25], s[24:25], exec
	v_mov_b32_e32 v55, 0
	s_or_b64 s[4:5], s[4:5], s[24:25]
	s_or_b64 exec, exec, s[22:23]
	s_and_saveexec_b64 s[22:23], s[4:5]
	s_cbranch_execnz .LBB263_186
	s_branch .LBB263_187
.LBB263_417:                            ;   in Loop: Header=BB263_12 Depth=1
	v_cmp_eq_u16_e64 s[4:5], s28, v4
	s_mov_b64 s[22:23], -1
                                        ; implicit-def: $sgpr30
	s_and_saveexec_b64 s[26:27], s[4:5]
; %bb.418:                              ;   in Loop: Header=BB263_12 Depth=1
	s_mov_b32 s30, 0x7fc02000
	s_xor_b64 s[22:23], exec, -1
; %bb.419:                              ;   in Loop: Header=BB263_12 Depth=1
	s_or_b64 exec, exec, s[26:27]
	s_and_b64 s[22:23], s[22:23], exec
	s_or_saveexec_b64 s[24:25], s[24:25]
	v_mov_b32_e32 v56, s30
	s_xor_b64 exec, exec, s[24:25]
	s_cbranch_execz .LBB263_189
.LBB263_420:                            ;   in Loop: Header=BB263_12 Depth=1
	v_cmp_ne_u16_e64 s[4:5], 0, v4
	s_andn2_b64 s[22:23], s[22:23], exec
	s_and_b64 s[4:5], s[4:5], exec
	v_mov_b32_e32 v56, 0
	s_or_b64 s[22:23], s[22:23], s[4:5]
	s_or_b64 exec, exec, s[24:25]
	s_and_saveexec_b64 s[24:25], s[22:23]
	s_cbranch_execnz .LBB263_190
	s_branch .LBB263_191
.LBB263_421:                            ;   in Loop: Header=BB263_12 Depth=1
	v_cmp_eq_u16_sdwa s[30:31], v36, s28 src0_sel:BYTE_0 src1_sel:DWORD
	s_mov_b64 s[4:5], -1
                                        ; implicit-def: $sgpr26
	s_and_saveexec_b64 s[24:25], s[30:31]
; %bb.422:                              ;   in Loop: Header=BB263_12 Depth=1
	s_mov_b32 s26, 0x7fc02000
	s_xor_b64 s[4:5], exec, -1
; %bb.423:                              ;   in Loop: Header=BB263_12 Depth=1
	s_or_b64 exec, exec, s[24:25]
	s_and_b64 s[4:5], s[4:5], exec
	s_or_saveexec_b64 s[22:23], s[22:23]
	v_mov_b32_e32 v57, s26
	s_xor_b64 exec, exec, s[22:23]
	s_cbranch_execz .LBB263_193
.LBB263_424:                            ;   in Loop: Header=BB263_12 Depth=1
	v_cmp_ne_u16_sdwa s[24:25], v36, v5 src0_sel:BYTE_0 src1_sel:DWORD
	s_andn2_b64 s[4:5], s[4:5], exec
	s_and_b64 s[24:25], s[24:25], exec
	v_mov_b32_e32 v57, 0
	s_or_b64 s[4:5], s[4:5], s[24:25]
	s_or_b64 exec, exec, s[22:23]
	s_and_saveexec_b64 s[22:23], s[4:5]
	s_cbranch_execnz .LBB263_194
	s_branch .LBB263_195
.LBB263_425:                            ;   in Loop: Header=BB263_12 Depth=1
	v_cmp_eq_u16_e64 s[4:5], s28, v4
	s_mov_b64 s[22:23], -1
                                        ; implicit-def: $sgpr30
	s_and_saveexec_b64 s[26:27], s[4:5]
; %bb.426:                              ;   in Loop: Header=BB263_12 Depth=1
	s_mov_b32 s30, 0x7fc02000
	s_xor_b64 s[22:23], exec, -1
; %bb.427:                              ;   in Loop: Header=BB263_12 Depth=1
	s_or_b64 exec, exec, s[26:27]
	s_and_b64 s[22:23], s[22:23], exec
	s_or_saveexec_b64 s[24:25], s[24:25]
	v_mov_b32_e32 v23, s30
	s_xor_b64 exec, exec, s[24:25]
	s_cbranch_execz .LBB263_197
.LBB263_428:                            ;   in Loop: Header=BB263_12 Depth=1
	v_cmp_ne_u16_e64 s[4:5], 0, v4
	s_andn2_b64 s[22:23], s[22:23], exec
	s_and_b64 s[4:5], s[4:5], exec
	v_mov_b32_e32 v23, 0
	s_or_b64 s[22:23], s[22:23], s[4:5]
	s_or_b64 exec, exec, s[24:25]
	s_and_saveexec_b64 s[24:25], s[22:23]
	s_cbranch_execnz .LBB263_198
	s_branch .LBB263_199
.LBB263_429:                            ;   in Loop: Header=BB263_12 Depth=1
	v_cmp_eq_u16_sdwa s[30:31], v4, s28 src0_sel:BYTE_0 src1_sel:DWORD
	s_mov_b64 s[4:5], -1
                                        ; implicit-def: $sgpr26
	s_and_saveexec_b64 s[24:25], s[30:31]
; %bb.430:                              ;   in Loop: Header=BB263_12 Depth=1
	s_mov_b32 s26, 0x7fc02000
	s_xor_b64 s[4:5], exec, -1
; %bb.431:                              ;   in Loop: Header=BB263_12 Depth=1
	s_or_b64 exec, exec, s[24:25]
	s_and_b64 s[4:5], s[4:5], exec
	s_or_saveexec_b64 s[22:23], s[22:23]
	v_mov_b32_e32 v22, s26
	s_xor_b64 exec, exec, s[22:23]
	s_cbranch_execz .LBB263_201
.LBB263_432:                            ;   in Loop: Header=BB263_12 Depth=1
	v_cmp_ne_u16_sdwa s[24:25], v4, v5 src0_sel:BYTE_0 src1_sel:DWORD
	s_andn2_b64 s[4:5], s[4:5], exec
	s_and_b64 s[24:25], s[24:25], exec
	v_mov_b32_e32 v22, 0
	s_or_b64 s[4:5], s[4:5], s[24:25]
	s_or_b64 exec, exec, s[22:23]
	s_and_saveexec_b64 s[22:23], s[4:5]
	s_cbranch_execnz .LBB263_202
	s_branch .LBB263_203
.LBB263_433:                            ;   in Loop: Header=BB263_12 Depth=1
	v_cmp_eq_u16_e64 s[4:5], s28, v4
	s_mov_b64 s[22:23], -1
                                        ; implicit-def: $sgpr30
	s_and_saveexec_b64 s[26:27], s[4:5]
; %bb.434:                              ;   in Loop: Header=BB263_12 Depth=1
	s_mov_b32 s30, 0x7fc02000
	s_xor_b64 s[22:23], exec, -1
; %bb.435:                              ;   in Loop: Header=BB263_12 Depth=1
	s_or_b64 exec, exec, s[26:27]
	s_and_b64 s[22:23], s[22:23], exec
	s_or_saveexec_b64 s[24:25], s[24:25]
	v_mov_b32_e32 v58, s30
	s_xor_b64 exec, exec, s[24:25]
	s_cbranch_execz .LBB263_205
.LBB263_436:                            ;   in Loop: Header=BB263_12 Depth=1
	v_cmp_ne_u16_e64 s[4:5], 0, v4
	s_andn2_b64 s[22:23], s[22:23], exec
	s_and_b64 s[4:5], s[4:5], exec
	v_mov_b32_e32 v58, 0
	s_or_b64 s[22:23], s[22:23], s[4:5]
	s_or_b64 exec, exec, s[24:25]
	s_and_saveexec_b64 s[24:25], s[22:23]
	s_cbranch_execnz .LBB263_206
	s_branch .LBB263_207
.LBB263_437:                            ;   in Loop: Header=BB263_12 Depth=1
	v_cmp_eq_u16_sdwa s[30:31], v36, s28 src0_sel:BYTE_0 src1_sel:DWORD
	s_mov_b64 s[4:5], -1
                                        ; implicit-def: $sgpr26
	s_and_saveexec_b64 s[24:25], s[30:31]
; %bb.438:                              ;   in Loop: Header=BB263_12 Depth=1
	s_mov_b32 s26, 0x7fc02000
	s_xor_b64 s[4:5], exec, -1
; %bb.439:                              ;   in Loop: Header=BB263_12 Depth=1
	s_or_b64 exec, exec, s[24:25]
	s_and_b64 s[4:5], s[4:5], exec
	s_or_saveexec_b64 s[22:23], s[22:23]
	v_mov_b32_e32 v59, s26
	s_xor_b64 exec, exec, s[22:23]
	s_cbranch_execz .LBB263_209
.LBB263_440:                            ;   in Loop: Header=BB263_12 Depth=1
	v_cmp_ne_u16_sdwa s[24:25], v36, v5 src0_sel:BYTE_0 src1_sel:DWORD
	s_andn2_b64 s[4:5], s[4:5], exec
	s_and_b64 s[24:25], s[24:25], exec
	v_mov_b32_e32 v59, 0
	s_or_b64 s[4:5], s[4:5], s[24:25]
	s_or_b64 exec, exec, s[22:23]
	s_and_saveexec_b64 s[22:23], s[4:5]
	s_cbranch_execnz .LBB263_210
	s_branch .LBB263_211
.LBB263_441:                            ;   in Loop: Header=BB263_12 Depth=1
	v_cmp_eq_u16_e64 s[4:5], s28, v4
	s_mov_b64 s[22:23], -1
                                        ; implicit-def: $sgpr30
	s_and_saveexec_b64 s[26:27], s[4:5]
; %bb.442:                              ;   in Loop: Header=BB263_12 Depth=1
	s_mov_b32 s30, 0x7fc02000
	s_xor_b64 s[22:23], exec, -1
; %bb.443:                              ;   in Loop: Header=BB263_12 Depth=1
	s_or_b64 exec, exec, s[26:27]
	s_and_b64 s[22:23], s[22:23], exec
	s_or_saveexec_b64 s[24:25], s[24:25]
	v_mov_b32_e32 v60, s30
	s_xor_b64 exec, exec, s[24:25]
	s_cbranch_execz .LBB263_213
.LBB263_444:                            ;   in Loop: Header=BB263_12 Depth=1
	v_cmp_ne_u16_e64 s[4:5], 0, v4
	s_andn2_b64 s[22:23], s[22:23], exec
	s_and_b64 s[4:5], s[4:5], exec
	v_mov_b32_e32 v60, 0
	s_or_b64 s[22:23], s[22:23], s[4:5]
	s_or_b64 exec, exec, s[24:25]
	s_and_saveexec_b64 s[24:25], s[22:23]
	s_cbranch_execnz .LBB263_214
	s_branch .LBB263_215
.LBB263_445:                            ;   in Loop: Header=BB263_12 Depth=1
	v_cmp_eq_u16_sdwa s[30:31], v4, s28 src0_sel:BYTE_0 src1_sel:DWORD
	s_mov_b64 s[4:5], -1
                                        ; implicit-def: $sgpr26
	s_and_saveexec_b64 s[24:25], s[30:31]
; %bb.446:                              ;   in Loop: Header=BB263_12 Depth=1
	s_mov_b32 s26, 0x7fc02000
	s_xor_b64 s[4:5], exec, -1
; %bb.447:                              ;   in Loop: Header=BB263_12 Depth=1
	s_or_b64 exec, exec, s[24:25]
	s_and_b64 s[4:5], s[4:5], exec
	s_or_saveexec_b64 s[22:23], s[22:23]
	v_mov_b32_e32 v61, s26
	s_xor_b64 exec, exec, s[22:23]
	s_cbranch_execz .LBB263_217
.LBB263_448:                            ;   in Loop: Header=BB263_12 Depth=1
	v_cmp_ne_u16_sdwa s[24:25], v4, v5 src0_sel:BYTE_0 src1_sel:DWORD
	s_andn2_b64 s[4:5], s[4:5], exec
	s_and_b64 s[24:25], s[24:25], exec
	v_mov_b32_e32 v61, 0
	s_or_b64 s[4:5], s[4:5], s[24:25]
	s_or_b64 exec, exec, s[22:23]
	s_and_saveexec_b64 s[22:23], s[4:5]
	s_cbranch_execnz .LBB263_218
	s_branch .LBB263_219
.LBB263_449:                            ;   in Loop: Header=BB263_12 Depth=1
	v_cmp_eq_u16_e64 s[4:5], s28, v4
	s_mov_b64 s[22:23], -1
                                        ; implicit-def: $sgpr30
	s_and_saveexec_b64 s[26:27], s[4:5]
; %bb.450:                              ;   in Loop: Header=BB263_12 Depth=1
	s_mov_b32 s30, 0x7fc02000
	s_xor_b64 s[22:23], exec, -1
; %bb.451:                              ;   in Loop: Header=BB263_12 Depth=1
	s_or_b64 exec, exec, s[26:27]
	s_and_b64 s[22:23], s[22:23], exec
	s_or_saveexec_b64 s[24:25], s[24:25]
	v_mov_b32_e32 v62, s30
	s_xor_b64 exec, exec, s[24:25]
	s_cbranch_execz .LBB263_221
.LBB263_452:                            ;   in Loop: Header=BB263_12 Depth=1
	v_cmp_ne_u16_e64 s[4:5], 0, v4
	s_andn2_b64 s[22:23], s[22:23], exec
	s_and_b64 s[4:5], s[4:5], exec
	v_mov_b32_e32 v62, 0
	s_or_b64 s[22:23], s[22:23], s[4:5]
	s_or_b64 exec, exec, s[24:25]
	s_and_saveexec_b64 s[24:25], s[22:23]
	s_cbranch_execnz .LBB263_222
	s_branch .LBB263_223
.LBB263_453:                            ;   in Loop: Header=BB263_12 Depth=1
	v_cmp_eq_u16_sdwa s[30:31], v34, s28 src0_sel:BYTE_0 src1_sel:DWORD
	s_mov_b64 s[4:5], -1
                                        ; implicit-def: $sgpr26
	s_and_saveexec_b64 s[24:25], s[30:31]
; %bb.454:                              ;   in Loop: Header=BB263_12 Depth=1
	s_mov_b32 s26, 0x7fc02000
	s_xor_b64 s[4:5], exec, -1
; %bb.455:                              ;   in Loop: Header=BB263_12 Depth=1
	s_or_b64 exec, exec, s[24:25]
	s_and_b64 s[4:5], s[4:5], exec
	s_or_saveexec_b64 s[22:23], s[22:23]
	v_mov_b32_e32 v35, s26
	s_xor_b64 exec, exec, s[22:23]
	s_cbranch_execz .LBB263_225
.LBB263_456:                            ;   in Loop: Header=BB263_12 Depth=1
	v_cmp_ne_u16_sdwa s[24:25], v34, v5 src0_sel:BYTE_0 src1_sel:DWORD
	s_andn2_b64 s[4:5], s[4:5], exec
	s_and_b64 s[24:25], s[24:25], exec
	v_mov_b32_e32 v35, 0
	s_or_b64 s[4:5], s[4:5], s[24:25]
	s_or_b64 exec, exec, s[22:23]
	s_and_saveexec_b64 s[22:23], s[4:5]
	s_cbranch_execnz .LBB263_226
	s_branch .LBB263_227
.LBB263_457:                            ;   in Loop: Header=BB263_12 Depth=1
	v_cmp_eq_u16_e64 s[4:5], s28, v4
	s_mov_b64 s[22:23], -1
                                        ; implicit-def: $sgpr30
	s_and_saveexec_b64 s[26:27], s[4:5]
; %bb.458:                              ;   in Loop: Header=BB263_12 Depth=1
	s_mov_b32 s30, 0x7fc02000
	s_xor_b64 s[22:23], exec, -1
; %bb.459:                              ;   in Loop: Header=BB263_12 Depth=1
	s_or_b64 exec, exec, s[26:27]
	s_and_b64 s[22:23], s[22:23], exec
	s_or_saveexec_b64 s[24:25], s[24:25]
	v_mov_b32_e32 v17, s30
	s_xor_b64 exec, exec, s[24:25]
	s_cbranch_execz .LBB263_229
.LBB263_460:                            ;   in Loop: Header=BB263_12 Depth=1
	v_cmp_ne_u16_e64 s[4:5], 0, v4
	s_andn2_b64 s[22:23], s[22:23], exec
	s_and_b64 s[4:5], s[4:5], exec
	v_mov_b32_e32 v17, 0
	s_or_b64 s[22:23], s[22:23], s[4:5]
	s_or_b64 exec, exec, s[24:25]
	s_and_saveexec_b64 s[24:25], s[22:23]
	s_cbranch_execnz .LBB263_230
	s_branch .LBB263_231
.LBB263_461:                            ;   in Loop: Header=BB263_12 Depth=1
	v_cmp_eq_u16_sdwa s[30:31], v4, s28 src0_sel:BYTE_0 src1_sel:DWORD
	s_mov_b64 s[4:5], -1
                                        ; implicit-def: $sgpr26
	s_and_saveexec_b64 s[24:25], s[30:31]
; %bb.462:                              ;   in Loop: Header=BB263_12 Depth=1
	s_mov_b32 s26, 0x7fc02000
	s_xor_b64 s[4:5], exec, -1
; %bb.463:                              ;   in Loop: Header=BB263_12 Depth=1
	s_or_b64 exec, exec, s[24:25]
	s_and_b64 s[4:5], s[4:5], exec
	s_or_saveexec_b64 s[22:23], s[22:23]
	v_mov_b32_e32 v27, s26
	s_xor_b64 exec, exec, s[22:23]
	s_cbranch_execz .LBB263_233
.LBB263_464:                            ;   in Loop: Header=BB263_12 Depth=1
	v_cmp_ne_u16_sdwa s[24:25], v4, v5 src0_sel:BYTE_0 src1_sel:DWORD
	s_andn2_b64 s[4:5], s[4:5], exec
	s_and_b64 s[24:25], s[24:25], exec
	v_mov_b32_e32 v27, 0
	s_or_b64 s[4:5], s[4:5], s[24:25]
	s_or_b64 exec, exec, s[22:23]
	s_and_saveexec_b64 s[22:23], s[4:5]
	s_cbranch_execnz .LBB263_234
	s_branch .LBB263_235
.LBB263_465:
	s_or_b64 exec, exec, s[12:13]
	v_accvgpr_read_b32 v21, a19
	v_accvgpr_read_b32 v18, a24
	;; [unrolled: 1-line block ×9, first 2 shown]
.LBB263_466:
	s_or_b64 exec, exec, s[8:9]
	scratch_load_dword v3, off, s32 offset:148 ; 4-byte Folded Reload
	v_mbcnt_hi_u32_b32 v0, -1, v2
	v_and_b32_e32 v1, 64, v0
	v_add_u32_e32 v7, 64, v1
	v_xor_b32_e32 v1, 32, v0
	v_cmp_lt_i32_e32 vcc, v1, v7
	v_xor_b32_e32 v4, 16, v0
	v_xor_b32_e32 v5, 8, v0
	v_cndmask_b32_e32 v1, v0, v1, vcc
	v_lshlrev_b32_e32 v1, 2, v1
	v_cmp_lt_i32_e32 vcc, v4, v7
	v_xor_b32_e32 v6, 4, v0
	v_xor_b32_e32 v8, 2, v0
	v_and_b32_e32 v35, 63, v49
	s_waitcnt lgkmcnt(0)
	s_lshr_b32 s21, s21, 16
	s_waitcnt vmcnt(0)
	ds_bpermute_b32 v2, v1, v3
	v_max_f32_e32 v3, v3, v3
	s_waitcnt lgkmcnt(0)
	v_max_f32_e32 v2, v2, v2
	v_max_f32_e32 v3, v3, v2
	v_cndmask_b32_e32 v2, v0, v4, vcc
	v_lshlrev_b32_e32 v2, 2, v2
	ds_bpermute_b32 v4, v2, v3
	v_cmp_lt_i32_e32 vcc, v5, v7
	s_waitcnt lgkmcnt(0)
	v_max_f32_e32 v4, v4, v4
	v_max_f32_e32 v4, v3, v4
	v_cndmask_b32_e32 v3, v0, v5, vcc
	v_lshlrev_b32_e32 v3, 2, v3
	ds_bpermute_b32 v5, v3, v4
	v_cmp_lt_i32_e32 vcc, v6, v7
	;; [unrolled: 7-line block ×3, first 2 shown]
	s_waitcnt lgkmcnt(0)
	v_max_f32_e32 v6, v6, v6
	v_max_f32_e32 v6, v5, v6
	v_cndmask_b32_e32 v5, v0, v8, vcc
	v_lshlrev_b32_e32 v36, 2, v5
	ds_bpermute_b32 v8, v36, v6
	v_accvgpr_read_b32 v5, a12
	v_cmp_eq_u32_e32 vcc, 0, v35
	v_lshlrev_b32_e32 v5, 2, v5
	s_and_saveexec_b64 s[2:3], vcc
	s_cbranch_execz .LBB263_468
; %bb.467:
	s_waitcnt lgkmcnt(0)
	v_max_f32_e32 v8, v8, v8
	v_max_f32_e32 v6, v6, v6
	v_max_f32_e32 v6, v6, v8
	ds_write_b32 v5, v6 offset:224
.LBB263_468:
	s_or_b64 exec, exec, s[2:3]
	v_cmp_gt_u32_e64 s[2:3], 2, v35
	s_waitcnt lgkmcnt(0)
	v_mov_b32_e32 v8, 0xff7fffff
	v_lshlrev_b32_e32 v6, 2, v35
	s_barrier
	s_and_saveexec_b64 s[4:5], s[2:3]
	s_cbranch_execz .LBB263_470
; %bb.469:
	ds_read_b32 v8, v6 offset:224
.LBB263_470:
	s_or_b64 exec, exec, s[4:5]
	v_xor_b32_e32 v9, 1, v0
	v_cmp_lt_i32_e64 s[4:5], v9, v7
	v_accvgpr_read_b32 v10, a8
	s_nop 0
	v_cndmask_b32_e64 v7, v0, v9, s[4:5]
	v_lshlrev_b32_e32 v51, 2, v7
	s_waitcnt lgkmcnt(0)
	ds_bpermute_b32 v7, v51, v8
	v_max_f32_e32 v8, v8, v8
	v_lshlrev_b32_e32 v0, 2, v0
	v_mov_b32_e32 v9, 0
	s_waitcnt lgkmcnt(0)
	v_max_f32_e32 v7, v7, v7
	v_max_f32_e32 v8, v8, v7
	v_and_b32_e32 v7, 0x100, v0
	ds_bpermute_b32 v8, v7, v8
	v_accvgpr_read_b32 v0, a11
	v_lshlrev_b32_e32 v0, 5, v0
	v_min_i32_e32 v0, v0, v10
	v_cmp_lt_i32_e64 s[4:5], v49, v0
	s_and_saveexec_b64 s[8:9], s[4:5]
	s_cbranch_execz .LBB263_474
; %bb.471:
	s_ashr_i32 s19, s18, 31
	s_lshl_b64 s[6:7], s[18:19], 2
	s_getpc_b64 s[10:11]
	s_add_u32 s10, s10, llvm.amdgcn.dynlds.offset.table@rel32@lo+4
	s_addc_u32 s11, s11, llvm.amdgcn.dynlds.offset.table@rel32@hi+12
	s_add_u32 s6, s6, s10
	s_addc_u32 s7, s7, s11
	s_load_dword s6, s[6:7], 0x0
	s_mov_b64 s[10:11], 0
	v_mov_b32_e32 v9, 0
	v_mov_b32_e32 v11, v49
	s_waitcnt lgkmcnt(0)
	v_lshl_add_u32 v10, v49, 2, s6
.LBB263_472:                            ; =>This Inner Loop Header: Depth=1
	ds_read_b32 v12, v10
	v_add_u32_e32 v11, 0x80, v11
	v_cmp_ge_i32_e64 s[6:7], v11, v0
	s_or_b64 s[10:11], s[6:7], s[10:11]
	s_waitcnt lgkmcnt(0)
	v_sub_f32_e32 v12, v12, v8
	v_mul_f32_e32 v12, 0x3fb8aa3b, v12
	v_exp_f32_e32 v12, v12
	ds_write_b32 v10, v12
	v_add_f32_e32 v9, v9, v12
	v_add_u32_e32 v10, 0x200, v10
	s_andn2_b64 exec, exec, s[10:11]
	s_cbranch_execnz .LBB263_472
; %bb.473:
	s_or_b64 exec, exec, s[10:11]
.LBB263_474:
	s_or_b64 exec, exec, s[8:9]
	ds_bpermute_b32 v1, v1, v9
	s_waitcnt lgkmcnt(0)
	v_add_f32_e32 v1, v9, v1
	ds_bpermute_b32 v2, v2, v1
	s_waitcnt lgkmcnt(0)
	v_add_f32_e32 v1, v1, v2
	;; [unrolled: 3-line block ×6, first 2 shown]
	s_and_saveexec_b64 s[6:7], vcc
	s_cbranch_execz .LBB263_476
; %bb.475:
	ds_write_b32 v5, v1 offset:232
.LBB263_476:
	s_or_b64 exec, exec, s[6:7]
	s_waitcnt lgkmcnt(0)
	s_barrier
	s_and_saveexec_b64 s[6:7], s[2:3]
	s_cbranch_execz .LBB263_478
; %bb.477:
	ds_read_b32 v1, v6 offset:232
.LBB263_478:
	s_or_b64 exec, exec, s[6:7]
	s_waitcnt lgkmcnt(0)
	ds_bpermute_b32 v2, v51, v1
	s_waitcnt lgkmcnt(0)
	v_add_f32_e32 v1, v1, v2
	ds_bpermute_b32 v1, v7, v1
	s_and_saveexec_b64 s[2:3], s[4:5]
	s_cbranch_execz .LBB263_491
; %bb.479:
	s_waitcnt lgkmcnt(0)
	v_add_f32_e32 v1, 0x358637bd, v1
	v_div_scale_f32 v2, s[4:5], v1, v1, 1.0
	v_rcp_f32_e32 v3, v2
	v_div_scale_f32 v4, vcc, 1.0, v1, 1.0
	s_movk_i32 s4, 0x7f
	v_fma_f32 v5, -v2, v3, 1.0
	v_fmac_f32_e32 v3, v5, v3
	v_mul_f32_e32 v5, v4, v3
	v_fma_f32 v6, -v2, v5, v4
	v_fmac_f32_e32 v5, v6, v3
	v_fma_f32 v2, -v2, v5, v4
	v_div_fmas_f32 v2, v2, v3, v5
	v_div_fixup_f32 v4, v2, v1, 1.0
	v_xad_u32 v2, v49, -1, v0
	v_cmp_lt_u32_e32 vcc, s4, v2
	s_mov_b64 s[6:7], -1
	v_mov_b32_e32 v1, v49
	s_and_saveexec_b64 s[4:5], vcc
	s_cbranch_execz .LBB263_488
; %bb.480:
	v_lshrrev_b32_e32 v1, 7, v2
	v_add_u32_e32 v3, -1, v1
	v_lshrrev_b32_e32 v2, 1, v3
	v_mov_b32_e32 v5, v4
	v_add_u32_e32 v2, 1, v2
	v_cmp_lt_u32_e32 vcc, 13, v3
	v_mov_b32_e32 v7, 0
	s_and_saveexec_b64 s[6:7], vcc
	s_cbranch_execz .LBB263_484
; %bb.481:
	s_ashr_i32 s19, s18, 31
	s_lshl_b64 s[8:9], s[18:19], 2
	s_getpc_b64 s[10:11]
	s_add_u32 s10, s10, llvm.amdgcn.dynlds.offset.table@rel32@lo+4
	s_addc_u32 s11, s11, llvm.amdgcn.dynlds.offset.table@rel32@hi+12
	s_add_u32 s8, s8, s10
	s_addc_u32 s9, s9, s11
	s_load_dword s8, s[8:9], 0x0
	v_and_b32_e32 v3, -8, v2
	s_mov_b32 s10, 0
	s_waitcnt lgkmcnt(0)
	v_lshl_add_u32 v6, v49, 2, s8
	s_mov_b64 s[8:9], 0
.LBB263_482:                            ; =>This Inner Loop Header: Depth=1
	ds_read2st64_b32 v[8:9], v6 offset1:2
	ds_read2st64_b32 v[10:11], v6 offset0:4 offset1:6
	ds_read2st64_b32 v[14:15], v6 offset0:8 offset1:10
	;; [unrolled: 1-line block ×3, first 2 shown]
	v_add_u32_e32 v3, -8, v3
	s_waitcnt lgkmcnt(3)
	v_pk_mul_f32 v[8:9], v[4:5], v[8:9]
	s_waitcnt lgkmcnt(2)
	v_pk_mul_f32 v[10:11], v[4:5], v[10:11]
	ds_write2st64_b32 v6, v8, v9 offset1:2
	ds_write2st64_b32 v6, v10, v11 offset0:4 offset1:6
	ds_read2st64_b32 v[10:11], v6 offset0:16 offset1:18
	s_waitcnt lgkmcnt(4)
	v_pk_mul_f32 v[8:9], v[4:5], v[14:15]
	ds_write2st64_b32 v6, v8, v9 offset0:8 offset1:10
	s_waitcnt lgkmcnt(4)
	v_pk_mul_f32 v[8:9], v[4:5], v[16:17]
	ds_write2st64_b32 v6, v8, v9 offset0:12 offset1:14
	ds_read2st64_b32 v[8:9], v6 offset0:20 offset1:22
	s_waitcnt lgkmcnt(3)
	v_pk_mul_f32 v[10:11], v[4:5], v[10:11]
	ds_read2st64_b32 v[14:15], v6 offset0:24 offset1:26
	ds_write2st64_b32 v6, v10, v11 offset0:16 offset1:18
	ds_read2st64_b32 v[10:11], v6 offset0:28 offset1:30
	s_waitcnt lgkmcnt(3)
	v_pk_mul_f32 v[8:9], v[4:5], v[8:9]
	ds_write2st64_b32 v6, v8, v9 offset0:20 offset1:22
	s_waitcnt lgkmcnt(3)
	v_pk_mul_f32 v[8:9], v[4:5], v[14:15]
	ds_write2st64_b32 v6, v8, v9 offset0:24 offset1:26
	s_waitcnt lgkmcnt(2)
	v_pk_mul_f32 v[8:9], v[4:5], v[10:11]
	s_add_i32 s10, s10, 16
	v_cmp_eq_u32_e32 vcc, 0, v3
	ds_write2st64_b32 v6, v8, v9 offset0:28 offset1:30
	v_add_u32_e32 v6, 0x2000, v6
	s_or_b64 s[8:9], vcc, s[8:9]
	v_mov_b32_e32 v7, s10
	s_andn2_b64 exec, exec, s[8:9]
	s_cbranch_execnz .LBB263_482
; %bb.483:
	s_or_b64 exec, exec, s[8:9]
.LBB263_484:
	s_or_b64 exec, exec, s[6:7]
	v_and_b32_e32 v2, 7, v2
	v_cmp_ne_u32_e32 vcc, 0, v2
	s_and_saveexec_b64 s[6:7], vcc
	s_cbranch_execz .LBB263_487
; %bb.485:
	s_ashr_i32 s19, s18, 31
	s_lshl_b64 s[8:9], s[18:19], 2
	s_getpc_b64 s[10:11]
	s_add_u32 s10, s10, llvm.amdgcn.dynlds.offset.table@rel32@lo+4
	s_addc_u32 s11, s11, llvm.amdgcn.dynlds.offset.table@rel32@hi+12
	s_add_u32 s8, s8, s10
	s_addc_u32 s9, s9, s11
	s_load_dword s8, s[8:9], 0x0
	v_lshlrev_b32_e32 v3, 9, v7
	v_lshlrev_b32_e32 v6, 2, v49
	s_waitcnt lgkmcnt(0)
	v_add3_u32 v3, v3, v6, s8
	s_mov_b64 s[8:9], 0
.LBB263_486:                            ; =>This Inner Loop Header: Depth=1
	ds_read2st64_b32 v[6:7], v3 offset1:2
	v_add_u32_e32 v2, -1, v2
	v_cmp_eq_u32_e32 vcc, 0, v2
	s_or_b64 s[8:9], vcc, s[8:9]
	s_waitcnt lgkmcnt(0)
	v_pk_mul_f32 v[6:7], v[4:5], v[6:7]
	ds_write2st64_b32 v3, v6, v7 offset1:2
	v_add_u32_e32 v3, 0x400, v3
	s_andn2_b64 exec, exec, s[8:9]
	s_cbranch_execnz .LBB263_486
.LBB263_487:
	s_or_b64 exec, exec, s[6:7]
	v_add_u32_e32 v2, 1, v1
	v_and_b32_e32 v3, 0x3fffffe, v2
	v_cmp_ne_u32_e32 vcc, v2, v3
	v_lshl_add_u32 v1, v3, 7, v49
	s_orn2_b64 s[6:7], vcc, exec
.LBB263_488:
	s_or_b64 exec, exec, s[4:5]
	s_and_b64 exec, exec, s[6:7]
	s_cbranch_execz .LBB263_491
; %bb.489:
	s_ashr_i32 s19, s18, 31
	s_lshl_b64 s[4:5], s[18:19], 2
	s_getpc_b64 s[6:7]
	s_add_u32 s6, s6, llvm.amdgcn.dynlds.offset.table@rel32@lo+4
	s_addc_u32 s7, s7, llvm.amdgcn.dynlds.offset.table@rel32@hi+12
	s_add_u32 s4, s4, s6
	s_addc_u32 s5, s5, s7
	s_load_dword s4, s[4:5], 0x0
	s_waitcnt lgkmcnt(0)
	v_lshl_add_u32 v2, v1, 2, s4
	s_mov_b64 s[4:5], 0
.LBB263_490:                            ; =>This Inner Loop Header: Depth=1
	ds_read_b32 v3, v2
	v_add_u32_e32 v1, 0x80, v1
	v_cmp_ge_i32_e32 vcc, v1, v0
	s_or_b64 s[4:5], vcc, s[4:5]
	s_waitcnt lgkmcnt(0)
	v_mul_f32_e32 v3, v4, v3
	ds_write_b32 v2, v3
	v_add_u32_e32 v2, 0x200, v2
	s_andn2_b64 exec, exec, s[4:5]
	s_cbranch_execnz .LBB263_490
.LBB263_491:
	s_or_b64 exec, exec, s[2:3]
	s_mov_b32 s4, 0
	v_mov_b32_e32 v34, 0
	v_and_b32_e32 v16, 3, v49
	v_mov_b32_e32 v33, 0
	v_mov_b32_e32 v32, 0
	;; [unrolled: 1-line block ×6, first 2 shown]
	s_waitcnt lgkmcnt(0)
	s_barrier
	s_and_saveexec_b64 s[2:3], s[0:1]
	s_cbranch_execz .LBB263_959
; %bb.492:
	v_max_i32_e32 v53, v26, v13
	v_cvt_f32_u32_e32 v2, v53
	v_lshl_add_u64 v[0:1], v[20:21], 0, v[18:19]
	v_and_b32_e32 v4, 0x1f8, v22
	v_mov_b32_e32 v5, 0
	v_rcp_iflag_f32_e32 v2, v2
	s_ashr_i32 s19, s18, 31
	v_lshl_add_u64 v[8:9], v[0:1], 0, v[4:5]
	v_lshlrev_b32_e32 v0, 5, v16
	v_mul_f32_e32 v2, 0x4f7ffffe, v2
	v_cvt_u32_f32_e32 v2, v2
	v_accvgpr_read_b32 v1, a12
	s_lshl_b64 s[0:1], s[18:19], 2
	v_lshl_or_b32 v55, v1, 7, v0
	v_accvgpr_read_b32 v0, a21
	v_sub_u32_e32 v6, 0, v53
	s_getpc_b64 s[6:7]
	s_add_u32 s6, s6, llvm.amdgcn.dynlds.offset.table@rel32@lo+4
	s_addc_u32 s7, s7, llvm.amdgcn.dynlds.offset.table@rel32@hi+12
	v_and_b32_e32 v4, 60, v0
	v_accvgpr_read_b32 v0, a22
	v_mul_lo_u32 v6, v6, v2
	s_add_u32 s12, s0, s6
	v_accvgpr_read_b32 v1, a23
	v_accvgpr_read_b32 v10, a16
	s_mov_b32 s10, s4
	v_accvgpr_read_b32 v3, a11
	v_mul_hi_u32 v6, v2, v6
	s_addc_u32 s13, s1, s7
	v_lshl_add_u64 v[0:1], v[0:1], 2, v[4:5]
	v_accvgpr_read_b32 v11, a17
	s_mov_b32 s5, s4
	s_mov_b32 s6, s4
	;; [unrolled: 1-line block ×5, first 2 shown]
	v_mov_b32_e32 v34, s10
	v_and_b32_e32 v54, 24, v22
	v_add_u32_e32 v7, -1, v3
	v_accvgpr_read_b32 v3, a8
	v_add_u32_e32 v6, v2, v6
	v_accvgpr_write_b32 a15, v16
	v_lshl_add_u64 v[10:11], v[10:11], 0, v[0:1]
	s_mov_b64 s[22:23], 0
	v_mov_b32_e32 v33, s9
	v_mov_b32_e32 v32, s8
	;; [unrolled: 1-line block ×6, first 2 shown]
	s_movk_i32 s19, 0x7f
	s_movk_i32 s24, 0x80
	s_mov_b32 s25, 0x8000
	s_movk_i32 s26, 0x380
	s_mov_b32 s27, 0x3020706
	s_mov_b32 s28, 0x1000504
	;; [unrolled: 1-line block ×3, first 2 shown]
	v_mov_b32_e32 v40, 0x1c00
	v_accvgpr_read_b32 v2, a14
	s_branch .LBB263_495
.LBB263_493:                            ;   in Loop: Header=BB263_495 Depth=1
	s_or_b64 exec, exec, s[0:1]
	v_add_f32_e32 v0, v0, v1
	v_add_f32_e32 v29, v29, v0
	;; [unrolled: 1-line block ×10, first 2 shown]
	;;#ASMSTART
	v_pk_mul_f16 v0, v60, v17;

	;;#ASMEND
	;;#ASMSTART
	v_pk_mul_f16 v1, v59, v4;

	;;#ASMEND
	;; [unrolled: 4-line block ×4, first 2 shown]
	v_add_f32_e32 v12, v61, v62
	;;#ASMSTART
	v_pk_add_f16 v0, v0, v1;

	;;#ASMEND
	v_add_f32_e32 v28, v28, v12
	;;#ASMSTART
	v_pk_add_f16 v0, v0, v2;

	;;#ASMEND
	s_nop 0
	;;#ASMSTART
	v_pk_add_f16 v0, v0, v4;

	;;#ASMEND
	s_nop 0
	v_lshrrev_b32_e32 v1, 16, v0
	v_and_b32_e32 v0, 0xffff, v0
	;;#ASMSTART
	v_cvt_f32_f16 v0, v0;
	;;#ASMEND
	;;#ASMSTART
	v_cvt_f32_f16 v1, v1;
	;;#ASMEND
	s_nop 0
	v_add_f32_e32 v0, v0, v1
	v_add_f32_e32 v34, v34, v0
.LBB263_494:                            ;   in Loop: Header=BB263_495 Depth=1
	s_or_b64 exec, exec, s[4:5]
	v_accvgpr_read_b32 v1, a12
	v_add_u32_e32 v1, 2, v1
	v_accvgpr_read_b32 v0, a11
	v_accvgpr_read_b32 v2, a2
	v_cmp_ge_i32_e32 vcc, v1, v0
	v_add_u32_e32 v2, 64, v2
	v_add_u32_e32 v55, 0x100, v55
	v_accvgpr_write_b32 a12, v1
	s_or_b64 s[22:23], vcc, s[22:23]
	v_lshl_add_u64 v[10:11], v[10:11], 0, 8
	s_andn2_b64 exec, exec, s[22:23]
	s_cbranch_execz .LBB263_958
.LBB263_495:                            ; =>This Inner Loop Header: Depth=1
	v_accvgpr_read_b32 v0, a7
	v_mul_hi_u32 v0, v2, v0
	v_accvgpr_read_b32 v4, a3
	v_mul_lo_u32 v1, v0, v4
	v_sub_u32_e32 v1, v2, v1
	v_accvgpr_write_b32 a2, v2
	v_add_u32_e32 v2, 1, v0
	v_cmp_ge_u32_e32 vcc, v1, v4
	s_nop 1
	v_cndmask_b32_e32 v0, v0, v2, vcc
	v_sub_u32_e32 v2, v1, v4
	v_cndmask_b32_e32 v1, v1, v2, vcc
	v_add_u32_e32 v2, 1, v0
	v_cmp_ge_u32_e32 vcc, v1, v4
	v_accvgpr_read_b32 v1, a9
	s_nop 0
	v_cndmask_b32_e32 v0, v0, v2, vcc
	v_xor_b32_e32 v0, v0, v1
	v_sub_u32_e32 v0, v0, v1
	v_accvgpr_read_b32 v2, a10
	v_add_u32_e32 v1, v0, v2
	v_sub_u32_e32 v4, 0, v1
	v_ashrrev_i32_e32 v2, 31, v1
	v_max_i32_e32 v1, v1, v4
	v_mul_hi_u32 v4, v1, v6
	v_mul_lo_u32 v4, v4, v53
	v_sub_u32_e32 v1, v1, v4
	v_sub_u32_e32 v4, v1, v53
	v_cmp_ge_u32_e32 vcc, v1, v53
	s_nop 1
	v_cndmask_b32_e32 v1, v1, v4, vcc
	v_sub_u32_e32 v4, v1, v53
	v_cmp_ge_u32_e32 vcc, v1, v53
	s_nop 1
	v_cndmask_b32_e32 v1, v1, v4, vcc
	v_xor_b32_e32 v1, v1, v2
	v_sub_u32_e32 v1, v1, v2
	v_cmp_eq_u32_e32 vcc, 0, v1
	v_accvgpr_read_b32 v1, a13
	v_cmp_gt_i32_e64 s[0:1], v0, v1
	s_or_b64 s[0:1], vcc, s[0:1]
	s_and_saveexec_b64 s[4:5], s[0:1]
	s_cbranch_execz .LBB263_494
; %bb.496:                              ;   in Loop: Header=BB263_495 Depth=1
	s_load_dword s0, s[12:13], 0x0
	v_accvgpr_read_b32 v12, a6
	v_accvgpr_read_b32 v25, a5
	v_accvgpr_read_b32 v24, a4
                                        ; implicit-def: $sgpr10
	s_waitcnt lgkmcnt(0)
	v_add_u32_e32 v0, s0, v55
	ds_read2_b64 v[14:17], v0 offset1:1
	ds_read2_b64 v[20:23], v0 offset0:2 offset1:3
	s_waitcnt lgkmcnt(1)
	;;#ASMSTART
	v_cvt_f16_f32 v0, v14;

	;;#ASMEND
	;;#ASMSTART
	v_cvt_f16_f32 v1, v15;

	;;#ASMEND
	;; [unrolled: 4-line block ×4, first 2 shown]
	s_waitcnt lgkmcnt(0)
	;;#ASMSTART
	v_cvt_f16_f32 v17, v20;

	;;#ASMEND
	;;#ASMSTART
	v_cvt_f16_f32 v18, v21;

	;;#ASMEND
	;; [unrolled: 4-line block ×4, first 2 shown]
	flat_load_dword v4, v[10:11]
	flat_load_dword v16, v[24:25]
	s_waitcnt vmcnt(0) lgkmcnt(0)
	v_mad_i64_i32 v[14:15], s[0:1], v4, v12, v[8:9]
	flat_load_dwordx2 v[20:21], v[14:15]
	s_mov_b64 s[0:1], 0
	s_waitcnt vmcnt(0) lgkmcnt(0)
	v_cmp_gt_i16_sdwa s[6:7], v20, s19 src0_sel:BYTE_0 src1_sel:DWORD
	s_and_saveexec_b64 s[8:9], s[6:7]
	s_xor_b64 s[6:7], exec, s[8:9]
	s_cbranch_execnz .LBB263_734
; %bb.497:                              ;   in Loop: Header=BB263_495 Depth=1
	s_or_saveexec_b64 s[6:7], s[6:7]
	v_mov_b32_e32 v24, s10
	s_xor_b64 exec, exec, s[6:7]
	s_cbranch_execnz .LBB263_737
.LBB263_498:                            ;   in Loop: Header=BB263_495 Depth=1
	s_or_b64 exec, exec, s[6:7]
	s_and_saveexec_b64 s[6:7], s[0:1]
	s_cbranch_execz .LBB263_500
.LBB263_499:                            ;   in Loop: Header=BB263_495 Depth=1
	v_and_b32_e32 v4, 7, v20
	v_ffbh_u32_e32 v4, v4
	v_bfe_u32 v12, v20, 3, 4
	v_min_u32_e32 v4, 32, v4
	v_subrev_u32_e32 v19, 28, v4
	v_sub_u32_e32 v4, 29, v4
	v_cmp_eq_u32_e32 vcc, 0, v12
	s_nop 1
	v_cndmask_b32_e32 v4, v12, v4, vcc
	v_cndmask_b32_e32 v12, 0, v19, vcc
	v_lshlrev_b64 v[24:25], v12, v[20:21]
	v_lshlrev_b32_e32 v19, 8, v20
	v_lshl_add_u32 v4, v4, 10, v40
	v_lshlrev_b32_e32 v12, 7, v24
	v_and_or_b32 v4, v19, s25, v4
	v_and_or_b32 v4, v12, s26, v4
	v_cvt_f32_f16_e32 v24, v4
.LBB263_500:                            ;   in Loop: Header=BB263_495 Depth=1
	s_or_b64 exec, exec, s[6:7]
	v_lshrrev_b16_e32 v4, 8, v20
	v_cmp_lt_i16_e32 vcc, s19, v4
	s_mov_b64 s[0:1], 0
                                        ; implicit-def: $sgpr10
	s_and_saveexec_b64 s[6:7], vcc
	s_xor_b64 s[6:7], exec, s[6:7]
	s_cbranch_execnz .LBB263_738
; %bb.501:                              ;   in Loop: Header=BB263_495 Depth=1
	s_or_saveexec_b64 s[6:7], s[6:7]
	v_mov_b32_e32 v26, s10
	s_xor_b64 exec, exec, s[6:7]
	s_cbranch_execnz .LBB263_741
.LBB263_502:                            ;   in Loop: Header=BB263_495 Depth=1
	s_or_b64 exec, exec, s[6:7]
	s_and_saveexec_b64 s[6:7], s[0:1]
	s_cbranch_execz .LBB263_504
.LBB263_503:                            ;   in Loop: Header=BB263_495 Depth=1
	v_and_b32_e32 v12, 7, v4
	v_ffbh_u32_e32 v25, v12
	v_bfe_u32 v19, v4, 3, 4
	v_min_u32_e32 v25, 32, v25
	v_subrev_u32_e32 v26, 28, v25
	v_sub_u32_e32 v25, 29, v25
	v_cmp_eq_u32_e32 vcc, 0, v19
	v_lshlrev_b64 v[26:27], v26, v[4:5]
	v_and_b32_e32 v26, 7, v26
	v_cndmask_b32_e32 v19, v19, v25, vcc
	v_lshlrev_b32_e32 v4, 8, v4
	v_lshl_add_u32 v19, v19, 10, v40
	v_cndmask_b32_e32 v12, v12, v26, vcc
	v_and_or_b32 v4, v4, s25, v19
	v_lshl_or_b32 v4, v12, 7, v4
	v_cvt_f32_f16_e32 v26, v4
.LBB263_504:                            ;   in Loop: Header=BB263_495 Depth=1
	s_or_b64 exec, exec, s[6:7]
	v_lshrrev_b32_e32 v4, 16, v20
	v_cmp_gt_i16_sdwa s[6:7], v4, s19 src0_sel:BYTE_0 src1_sel:DWORD
	s_mov_b64 s[0:1], 0
                                        ; implicit-def: $sgpr10
	s_and_saveexec_b64 s[8:9], s[6:7]
	s_xor_b64 s[6:7], exec, s[8:9]
	s_cbranch_execnz .LBB263_742
; %bb.505:                              ;   in Loop: Header=BB263_495 Depth=1
	s_or_saveexec_b64 s[6:7], s[6:7]
	v_mov_b32_e32 v25, s10
	s_xor_b64 exec, exec, s[6:7]
	s_cbranch_execnz .LBB263_745
.LBB263_506:                            ;   in Loop: Header=BB263_495 Depth=1
	s_or_b64 exec, exec, s[6:7]
	s_and_saveexec_b64 s[6:7], s[0:1]
	s_cbranch_execz .LBB263_508
.LBB263_507:                            ;   in Loop: Header=BB263_495 Depth=1
	v_bfe_u32 v12, v20, 16, 3
	v_ffbh_u32_e32 v25, v12
	v_bfe_u32 v19, v20, 19, 4
	v_min_u32_e32 v25, 32, v25
	v_subrev_u32_e32 v27, 28, v25
	v_sub_u32_e32 v25, 29, v25
	v_cmp_eq_u32_e32 vcc, 0, v19
	v_lshlrev_b64 v[38:39], v27, v[4:5]
	v_and_b32_e32 v27, 7, v38
	v_cndmask_b32_e32 v19, v19, v25, vcc
	v_lshlrev_b32_e32 v4, 8, v4
	v_lshl_add_u32 v19, v19, 10, v40
	v_cndmask_b32_e32 v12, v12, v27, vcc
	v_and_or_b32 v4, v4, s25, v19
	v_lshl_or_b32 v4, v12, 7, v4
	v_cvt_f32_f16_e32 v25, v4
.LBB263_508:                            ;   in Loop: Header=BB263_495 Depth=1
	s_or_b64 exec, exec, s[6:7]
	v_lshrrev_b32_e32 v4, 24, v20
	v_cmp_lt_i16_e32 vcc, s19, v4
	s_mov_b64 s[0:1], 0
                                        ; implicit-def: $sgpr10
	s_and_saveexec_b64 s[6:7], vcc
	s_xor_b64 s[6:7], exec, s[6:7]
	s_cbranch_execnz .LBB263_746
; %bb.509:                              ;   in Loop: Header=BB263_495 Depth=1
	s_or_saveexec_b64 s[6:7], s[6:7]
	v_mov_b32_e32 v27, s10
	s_xor_b64 exec, exec, s[6:7]
	s_cbranch_execnz .LBB263_749
.LBB263_510:                            ;   in Loop: Header=BB263_495 Depth=1
	s_or_b64 exec, exec, s[6:7]
	s_and_saveexec_b64 s[6:7], s[0:1]
	s_cbranch_execz .LBB263_512
.LBB263_511:                            ;   in Loop: Header=BB263_495 Depth=1
	v_bfe_u32 v12, v20, 24, 3
	v_bfe_u32 v19, v20, 27, 4
	v_ffbh_u32_e32 v20, v12
	v_min_u32_e32 v20, 32, v20
	v_subrev_u32_e32 v27, 28, v20
	v_sub_u32_e32 v20, 29, v20
	v_cmp_eq_u32_e32 vcc, 0, v19
	v_lshlrev_b64 v[38:39], v27, v[4:5]
	v_and_b32_e32 v27, 7, v38
	v_cndmask_b32_e32 v19, v19, v20, vcc
	v_lshlrev_b32_e32 v4, 8, v4
	v_lshl_add_u32 v19, v19, 10, v40
	v_cndmask_b32_e32 v12, v12, v27, vcc
	v_and_or_b32 v4, v4, s25, v19
	v_lshl_or_b32 v4, v12, 7, v4
	v_cvt_f32_f16_e32 v27, v4
.LBB263_512:                            ;   in Loop: Header=BB263_495 Depth=1
	s_or_b64 exec, exec, s[6:7]
	v_cmp_gt_i16_sdwa s[6:7], v21, s19 src0_sel:BYTE_0 src1_sel:DWORD
	s_mov_b64 s[0:1], 0
                                        ; implicit-def: $sgpr10
	s_and_saveexec_b64 s[8:9], s[6:7]
	s_xor_b64 s[6:7], exec, s[8:9]
	s_cbranch_execnz .LBB263_750
; %bb.513:                              ;   in Loop: Header=BB263_495 Depth=1
	s_or_saveexec_b64 s[6:7], s[6:7]
	v_mov_b32_e32 v20, s10
	s_xor_b64 exec, exec, s[6:7]
	s_cbranch_execnz .LBB263_753
.LBB263_514:                            ;   in Loop: Header=BB263_495 Depth=1
	s_or_b64 exec, exec, s[6:7]
	v_mov_b32_e32 v4, v21
	s_and_saveexec_b64 s[6:7], s[0:1]
	s_cbranch_execz .LBB263_516
.LBB263_515:                            ;   in Loop: Header=BB263_495 Depth=1
	v_and_b32_e32 v12, 7, v21
	v_ffbh_u32_e32 v12, v12
	v_bfe_u32 v19, v21, 3, 4
	v_min_u32_e32 v12, 32, v12
	v_subrev_u32_e32 v20, 28, v12
	v_sub_u32_e32 v12, 29, v12
	v_cmp_eq_u32_e32 vcc, 0, v19
	s_nop 1
	v_cndmask_b32_e32 v12, v19, v12, vcc
	v_cndmask_b32_e32 v19, 0, v20, vcc
	v_lshlrev_b64 v[38:39], v19, v[4:5]
	v_lshlrev_b32_e32 v20, 8, v21
	v_lshl_add_u32 v12, v12, 10, v40
	v_lshlrev_b32_e32 v19, 7, v38
	v_and_or_b32 v12, v20, s25, v12
	v_and_or_b32 v12, v19, s26, v12
	v_cvt_f32_f16_e32 v20, v12
.LBB263_516:                            ;   in Loop: Header=BB263_495 Depth=1
	s_or_b64 exec, exec, s[6:7]
	v_lshrrev_b16_e32 v4, 8, v4
	v_cmp_lt_i16_e32 vcc, s19, v4
	s_mov_b64 s[0:1], 0
                                        ; implicit-def: $sgpr10
	s_and_saveexec_b64 s[6:7], vcc
	s_xor_b64 s[6:7], exec, s[6:7]
	s_cbranch_execnz .LBB263_754
; %bb.517:                              ;   in Loop: Header=BB263_495 Depth=1
	s_or_saveexec_b64 s[6:7], s[6:7]
	v_mov_b32_e32 v37, s10
	s_xor_b64 exec, exec, s[6:7]
	s_cbranch_execnz .LBB263_757
.LBB263_518:                            ;   in Loop: Header=BB263_495 Depth=1
	s_or_b64 exec, exec, s[6:7]
	s_and_saveexec_b64 s[6:7], s[0:1]
	s_cbranch_execz .LBB263_520
.LBB263_519:                            ;   in Loop: Header=BB263_495 Depth=1
	v_and_b32_e32 v12, 7, v4
	v_ffbh_u32_e32 v37, v12
	v_bfe_u32 v19, v4, 3, 4
	v_min_u32_e32 v37, 32, v37
	v_subrev_u32_e32 v38, 28, v37
	v_sub_u32_e32 v37, 29, v37
	v_cmp_eq_u32_e32 vcc, 0, v19
	v_lshlrev_b64 v[38:39], v38, v[4:5]
	v_and_b32_e32 v38, 7, v38
	v_cndmask_b32_e32 v19, v19, v37, vcc
	v_lshlrev_b32_e32 v4, 8, v4
	v_lshl_add_u32 v19, v19, 10, v40
	v_cndmask_b32_e32 v12, v12, v38, vcc
	v_and_or_b32 v4, v4, s25, v19
	v_lshl_or_b32 v4, v12, 7, v4
	v_cvt_f32_f16_e32 v37, v4
.LBB263_520:                            ;   in Loop: Header=BB263_495 Depth=1
	s_or_b64 exec, exec, s[6:7]
	v_lshrrev_b32_e32 v4, 16, v21
	v_cmp_gt_i16_sdwa s[6:7], v4, s19 src0_sel:BYTE_0 src1_sel:DWORD
	s_mov_b64 s[0:1], 0
                                        ; implicit-def: $sgpr10
	s_and_saveexec_b64 s[8:9], s[6:7]
	s_xor_b64 s[6:7], exec, s[8:9]
	s_cbranch_execnz .LBB263_758
; %bb.521:                              ;   in Loop: Header=BB263_495 Depth=1
	s_or_saveexec_b64 s[6:7], s[6:7]
	v_mov_b32_e32 v38, s10
	s_xor_b64 exec, exec, s[6:7]
	s_cbranch_execnz .LBB263_761
.LBB263_522:                            ;   in Loop: Header=BB263_495 Depth=1
	s_or_b64 exec, exec, s[6:7]
	s_and_saveexec_b64 s[6:7], s[0:1]
	s_cbranch_execz .LBB263_524
.LBB263_523:                            ;   in Loop: Header=BB263_495 Depth=1
	v_bfe_u32 v12, v21, 16, 3
	v_ffbh_u32_e32 v38, v12
	v_min_u32_e32 v48, 32, v38
	v_subrev_u32_e32 v38, 28, v48
	v_bfe_u32 v19, v21, 19, 4
	v_lshlrev_b64 v[38:39], v38, v[4:5]
	v_sub_u32_e32 v39, 29, v48
	v_cmp_eq_u32_e32 vcc, 0, v19
	v_and_b32_e32 v38, 7, v38
	v_lshlrev_b32_e32 v4, 8, v4
	v_cndmask_b32_e32 v19, v19, v39, vcc
	v_lshl_add_u32 v19, v19, 10, v40
	v_cndmask_b32_e32 v12, v12, v38, vcc
	v_and_or_b32 v4, v4, s25, v19
	v_lshl_or_b32 v4, v12, 7, v4
	v_cvt_f32_f16_e32 v38, v4
.LBB263_524:                            ;   in Loop: Header=BB263_495 Depth=1
	s_or_b64 exec, exec, s[6:7]
	v_lshrrev_b32_e32 v4, 24, v21
	v_cmp_lt_i16_e32 vcc, s19, v4
	s_mov_b64 s[0:1], 0
                                        ; implicit-def: $sgpr10
	s_and_saveexec_b64 s[6:7], vcc
	s_xor_b64 s[6:7], exec, s[6:7]
	s_cbranch_execnz .LBB263_762
; %bb.525:                              ;   in Loop: Header=BB263_495 Depth=1
	s_or_saveexec_b64 s[6:7], s[6:7]
	v_mov_b32_e32 v39, s10
	s_xor_b64 exec, exec, s[6:7]
	s_cbranch_execnz .LBB263_765
.LBB263_526:                            ;   in Loop: Header=BB263_495 Depth=1
	s_or_b64 exec, exec, s[6:7]
	s_and_saveexec_b64 s[6:7], s[0:1]
	s_cbranch_execz .LBB263_528
.LBB263_527:                            ;   in Loop: Header=BB263_495 Depth=1
	v_bfe_u32 v12, v21, 24, 3
	v_bfe_u32 v19, v21, 27, 4
	v_ffbh_u32_e32 v21, v12
	v_min_u32_e32 v21, 32, v21
	v_subrev_u32_e32 v39, 28, v21
	v_sub_u32_e32 v21, 29, v21
	v_cmp_eq_u32_e32 vcc, 0, v19
	v_lshlrev_b64 v[42:43], v39, v[4:5]
	v_and_b32_e32 v39, 7, v42
	v_cndmask_b32_e32 v19, v19, v21, vcc
	v_lshlrev_b32_e32 v4, 8, v4
	v_lshl_add_u32 v19, v19, 10, v40
	v_cndmask_b32_e32 v12, v12, v39, vcc
	v_and_or_b32 v4, v4, s25, v19
	v_lshl_or_b32 v4, v12, 7, v4
	v_cvt_f32_f16_e32 v39, v4
.LBB263_528:                            ;   in Loop: Header=BB263_495 Depth=1
	s_or_b64 exec, exec, s[6:7]
	v_pk_mul_f32 v[26:27], v[16:17], v[26:27] op_sel_hi:[0,1]
	v_pk_mul_f32 v[24:25], v[16:17], v[24:25] op_sel_hi:[0,1]
	v_cvt_f16_f32_e32 v4, v27
	v_cvt_f16_f32_e32 v12, v26
	;; [unrolled: 1-line block ×4, first 2 shown]
	v_accvgpr_read_b32 v24, a2
	v_pack_b32_f16 v12, v12, v4
	v_add_u32_e32 v43, v54, v24
	v_pack_b32_f16 v19, v21, v19
	v_perm_b32 v4, v19, v12, s27
	v_perm_b32 v21, v19, v12, s28
	v_fma_mixlo_f16 v12, v16, v37, 0
	v_lshlrev_b32_e32 v12, 16, v12
	v_fma_mixlo_f16 v19, v16, v20, 0
	v_accvgpr_read_b32 v24, a12
	v_or_b32_sdwa v20, v12, v19 dst_sel:DWORD dst_unused:UNUSED_PAD src0_sel:DWORD src1_sel:WORD_0
	v_fma_mixlo_f16 v12, v16, v39, 0
	v_cmp_eq_u32_e32 vcc, v7, v24
	v_fma_mixlo_f16 v24, v16, v38, 0
	v_lshlrev_b32_e32 v12, 16, v12
	v_or_b32_sdwa v16, v12, v24 dst_sel:DWORD dst_unused:UNUSED_PAD src0_sel:DWORD src1_sel:WORD_0
	v_add_u32_e32 v56, 1, v43
	v_or_b32_e32 v47, 3, v43
	v_or_b32_e32 v46, 2, v43
	;; [unrolled: 1-line block ×6, first 2 shown]
	s_and_saveexec_b64 s[6:7], vcc
	s_cbranch_execz .LBB263_530
; %bb.529:                              ;   in Loop: Header=BB263_495 Depth=1
	v_lshrrev_b32_e32 v12, 16, v21
	v_cmp_lt_i32_e64 s[0:1], v56, v3
	v_accvgpr_read_b32 v26, a8
	s_nop 0
	v_cndmask_b32_e64 v12, 0, v12, s[0:1]
	v_cmp_lt_i32_e64 s[0:1], v43, v26
	s_nop 1
	v_cndmask_b32_e64 v19, 0, v21, s[0:1]
	v_perm_b32 v21, v12, v19, s29
	v_lshrrev_b32_e32 v12, 16, v4
	v_cmp_lt_i32_e64 s[0:1], v47, v3
	s_nop 1
	v_cndmask_b32_e64 v12, 0, v12, s[0:1]
	v_cmp_lt_i32_e64 s[0:1], v46, v26
	s_nop 1
	v_cndmask_b32_e64 v4, 0, v4, s[0:1]
	v_perm_b32 v4, v12, v4, s29
	v_lshrrev_b32_e32 v12, 16, v20
	v_cmp_lt_i32_e64 s[0:1], v45, v3
	;; [unrolled: 8-line block ×3, first 2 shown]
	s_nop 1
	v_cndmask_b32_e64 v12, 0, v12, s[0:1]
	v_cmp_lt_i32_e64 s[0:1], v41, v26
	s_nop 1
	v_cndmask_b32_e64 v16, 0, v24, s[0:1]
	v_perm_b32 v16, v12, v16, s29
.LBB263_530:                            ;   in Loop: Header=BB263_495 Depth=1
	s_or_b64 exec, exec, s[6:7]
	v_and_b32_e32 v0, 0xffff, v0
	v_lshl_or_b32 v60, v1, 16, v0
	v_and_b32_e32 v0, 0xffff, v2
	v_lshl_or_b32 v59, v13, 16, v0
	;; [unrolled: 2-line block ×4, first 2 shown]
	;;#ASMSTART
	v_pk_mul_f16 v0, v60, v21;

	;;#ASMEND
	;;#ASMSTART
	v_pk_mul_f16 v1, v59, v4;

	;;#ASMEND
	;; [unrolled: 4-line block ×4, first 2 shown]
	s_mov_b64 s[0:1], 0
	;;#ASMSTART
	v_pk_add_f16 v0, v0, v1;

	;;#ASMEND
                                        ; implicit-def: $sgpr10
	s_nop 0
	;;#ASMSTART
	v_pk_add_f16 v0, v0, v2;

	;;#ASMEND
	s_nop 0
	;;#ASMSTART
	v_pk_add_f16 v0, v0, v4;

	;;#ASMEND
	s_nop 0
	v_lshrrev_b32_e32 v1, 16, v0
	v_and_b32_e32 v0, 0xffff, v0
	;;#ASMSTART
	v_cvt_f32_f16 v61, v0;
	;;#ASMEND
	;;#ASMSTART
	v_cvt_f32_f16 v62, v1;
	;;#ASMEND
	v_accvgpr_read_b32 v0, a4
	flat_load_dwordx2 v[20:21], v[14:15] offset:512
	v_accvgpr_read_b32 v1, a5
	flat_load_dword v16, v[0:1]
	s_waitcnt vmcnt(0) lgkmcnt(0)
	v_cmp_gt_i16_sdwa s[6:7], v20, s19 src0_sel:BYTE_0 src1_sel:DWORD
	s_and_saveexec_b64 s[8:9], s[6:7]
	s_xor_b64 s[6:7], exec, s[8:9]
	s_cbranch_execnz .LBB263_766
; %bb.531:                              ;   in Loop: Header=BB263_495 Depth=1
	s_or_saveexec_b64 s[6:7], s[6:7]
	v_mov_b32_e32 v24, s10
	s_xor_b64 exec, exec, s[6:7]
	s_cbranch_execnz .LBB263_769
.LBB263_532:                            ;   in Loop: Header=BB263_495 Depth=1
	s_or_b64 exec, exec, s[6:7]
	s_and_saveexec_b64 s[6:7], s[0:1]
	s_cbranch_execz .LBB263_534
.LBB263_533:                            ;   in Loop: Header=BB263_495 Depth=1
	v_and_b32_e32 v0, 7, v20
	v_ffbh_u32_e32 v0, v0
	v_bfe_u32 v1, v20, 3, 4
	v_min_u32_e32 v0, 32, v0
	v_subrev_u32_e32 v2, 28, v0
	v_sub_u32_e32 v0, 29, v0
	v_cmp_eq_u32_e64 s[0:1], 0, v1
	s_nop 1
	v_cndmask_b32_e64 v4, v1, v0, s[0:1]
	v_cndmask_b32_e64 v0, 0, v2, s[0:1]
	v_lshlrev_b64 v[0:1], v0, v[20:21]
	v_lshlrev_b32_e32 v1, 8, v20
	v_lshl_add_u32 v2, v4, 10, v40
	v_lshlrev_b32_e32 v0, 7, v0
	v_and_or_b32 v1, v1, s25, v2
	v_and_or_b32 v0, v0, s26, v1
	v_cvt_f32_f16_e32 v24, v0
.LBB263_534:                            ;   in Loop: Header=BB263_495 Depth=1
	s_or_b64 exec, exec, s[6:7]
	v_lshrrev_b16_e32 v4, 8, v20
	v_cmp_lt_i16_e64 s[0:1], s19, v4
	s_mov_b64 s[6:7], 0
                                        ; implicit-def: $sgpr30
	s_and_saveexec_b64 s[8:9], s[0:1]
	s_xor_b64 s[8:9], exec, s[8:9]
	s_cbranch_execnz .LBB263_770
; %bb.535:                              ;   in Loop: Header=BB263_495 Depth=1
	s_or_saveexec_b64 s[8:9], s[8:9]
	v_mov_b32_e32 v26, s30
	s_xor_b64 exec, exec, s[8:9]
	s_cbranch_execnz .LBB263_773
.LBB263_536:                            ;   in Loop: Header=BB263_495 Depth=1
	s_or_b64 exec, exec, s[8:9]
	s_and_saveexec_b64 s[8:9], s[6:7]
	s_cbranch_execz .LBB263_538
.LBB263_537:                            ;   in Loop: Header=BB263_495 Depth=1
	v_and_b32_e32 v2, 7, v4
	v_ffbh_u32_e32 v0, v2
	v_min_u32_e32 v13, 32, v0
	v_subrev_u32_e32 v0, 28, v13
	v_bfe_u32 v12, v4, 3, 4
	v_lshlrev_b64 v[0:1], v0, v[4:5]
	v_sub_u32_e32 v1, 29, v13
	v_cmp_eq_u32_e64 s[0:1], 0, v12
	v_and_b32_e32 v0, 7, v0
	s_nop 0
	v_cndmask_b32_e64 v1, v12, v1, s[0:1]
	v_cndmask_b32_e64 v0, v2, v0, s[0:1]
	v_lshlrev_b32_e32 v2, 8, v4
	v_lshl_add_u32 v1, v1, 10, v40
	v_and_or_b32 v1, v2, s25, v1
	v_lshl_or_b32 v0, v0, 7, v1
	v_cvt_f32_f16_e32 v26, v0
.LBB263_538:                            ;   in Loop: Header=BB263_495 Depth=1
	s_or_b64 exec, exec, s[8:9]
	v_lshrrev_b32_e32 v4, 16, v20
	v_cmp_gt_i16_sdwa s[6:7], v4, s19 src0_sel:BYTE_0 src1_sel:DWORD
	s_mov_b64 s[0:1], 0
                                        ; implicit-def: $sgpr10
	s_and_saveexec_b64 s[8:9], s[6:7]
	s_xor_b64 s[6:7], exec, s[8:9]
	s_cbranch_execnz .LBB263_774
; %bb.539:                              ;   in Loop: Header=BB263_495 Depth=1
	s_or_saveexec_b64 s[6:7], s[6:7]
	v_mov_b32_e32 v25, s10
	s_xor_b64 exec, exec, s[6:7]
	s_cbranch_execnz .LBB263_777
.LBB263_540:                            ;   in Loop: Header=BB263_495 Depth=1
	s_or_b64 exec, exec, s[6:7]
	s_and_saveexec_b64 s[6:7], s[0:1]
	s_cbranch_execz .LBB263_542
.LBB263_541:                            ;   in Loop: Header=BB263_495 Depth=1
	v_bfe_u32 v2, v20, 16, 3
	v_ffbh_u32_e32 v0, v2
	v_min_u32_e32 v13, 32, v0
	v_subrev_u32_e32 v0, 28, v13
	v_bfe_u32 v12, v20, 19, 4
	v_lshlrev_b64 v[0:1], v0, v[4:5]
	v_sub_u32_e32 v1, 29, v13
	v_cmp_eq_u32_e64 s[0:1], 0, v12
	v_and_b32_e32 v0, 7, v0
	s_nop 0
	v_cndmask_b32_e64 v1, v12, v1, s[0:1]
	v_cndmask_b32_e64 v0, v2, v0, s[0:1]
	v_lshlrev_b32_e32 v2, 8, v4
	v_lshl_add_u32 v1, v1, 10, v40
	v_and_or_b32 v1, v2, s25, v1
	v_lshl_or_b32 v0, v0, 7, v1
	v_cvt_f32_f16_e32 v25, v0
.LBB263_542:                            ;   in Loop: Header=BB263_495 Depth=1
	s_or_b64 exec, exec, s[6:7]
	v_lshrrev_b32_e32 v4, 24, v20
	v_cmp_lt_i16_e64 s[0:1], s19, v4
	s_mov_b64 s[6:7], 0
                                        ; implicit-def: $sgpr30
	s_and_saveexec_b64 s[8:9], s[0:1]
	s_xor_b64 s[8:9], exec, s[8:9]
	s_cbranch_execnz .LBB263_778
; %bb.543:                              ;   in Loop: Header=BB263_495 Depth=1
	s_or_saveexec_b64 s[8:9], s[8:9]
	v_mov_b32_e32 v27, s30
	s_xor_b64 exec, exec, s[8:9]
	s_cbranch_execnz .LBB263_781
.LBB263_544:                            ;   in Loop: Header=BB263_495 Depth=1
	s_or_b64 exec, exec, s[8:9]
	s_and_saveexec_b64 s[8:9], s[6:7]
	s_cbranch_execz .LBB263_546
.LBB263_545:                            ;   in Loop: Header=BB263_495 Depth=1
	v_bfe_u32 v2, v20, 24, 3
	v_ffbh_u32_e32 v0, v2
	v_min_u32_e32 v13, 32, v0
	v_subrev_u32_e32 v0, 28, v13
	v_bfe_u32 v12, v20, 27, 4
	v_lshlrev_b64 v[0:1], v0, v[4:5]
	v_sub_u32_e32 v1, 29, v13
	v_cmp_eq_u32_e64 s[0:1], 0, v12
	v_and_b32_e32 v0, 7, v0
	s_nop 0
	v_cndmask_b32_e64 v1, v12, v1, s[0:1]
	v_cndmask_b32_e64 v0, v2, v0, s[0:1]
	v_lshlrev_b32_e32 v2, 8, v4
	v_lshl_add_u32 v1, v1, 10, v40
	v_and_or_b32 v1, v2, s25, v1
	v_lshl_or_b32 v0, v0, 7, v1
	v_cvt_f32_f16_e32 v27, v0
.LBB263_546:                            ;   in Loop: Header=BB263_495 Depth=1
	s_or_b64 exec, exec, s[8:9]
	v_cmp_gt_i16_sdwa s[6:7], v21, s19 src0_sel:BYTE_0 src1_sel:DWORD
	s_mov_b64 s[0:1], 0
                                        ; implicit-def: $sgpr10
	s_and_saveexec_b64 s[8:9], s[6:7]
	s_xor_b64 s[6:7], exec, s[8:9]
	s_cbranch_execnz .LBB263_782
; %bb.547:                              ;   in Loop: Header=BB263_495 Depth=1
	s_or_saveexec_b64 s[6:7], s[6:7]
	v_mov_b32_e32 v0, s10
	s_xor_b64 exec, exec, s[6:7]
	s_cbranch_execnz .LBB263_785
.LBB263_548:                            ;   in Loop: Header=BB263_495 Depth=1
	s_or_b64 exec, exec, s[6:7]
	v_mov_b32_e32 v4, v21
	s_and_saveexec_b64 s[6:7], s[0:1]
	s_cbranch_execz .LBB263_550
.LBB263_549:                            ;   in Loop: Header=BB263_495 Depth=1
	v_and_b32_e32 v0, 7, v21
	v_ffbh_u32_e32 v0, v0
	v_bfe_u32 v1, v21, 3, 4
	v_min_u32_e32 v0, 32, v0
	v_subrev_u32_e32 v2, 28, v0
	v_sub_u32_e32 v0, 29, v0
	v_cmp_eq_u32_e64 s[0:1], 0, v1
	s_nop 1
	v_cndmask_b32_e64 v12, v1, v0, s[0:1]
	v_cndmask_b32_e64 v0, 0, v2, s[0:1]
	v_lshlrev_b64 v[0:1], v0, v[4:5]
	v_lshlrev_b32_e32 v1, 8, v21
	v_lshl_add_u32 v2, v12, 10, v40
	v_lshlrev_b32_e32 v0, 7, v0
	v_and_or_b32 v1, v1, s25, v2
	v_and_or_b32 v0, v0, s26, v1
	v_cvt_f32_f16_e32 v0, v0
.LBB263_550:                            ;   in Loop: Header=BB263_495 Depth=1
	s_or_b64 exec, exec, s[6:7]
	v_lshrrev_b16_e32 v4, 8, v4
	v_cmp_lt_i16_e64 s[0:1], s19, v4
	s_mov_b64 s[6:7], 0
                                        ; implicit-def: $sgpr30
	s_and_saveexec_b64 s[8:9], s[0:1]
	s_xor_b64 s[8:9], exec, s[8:9]
	s_cbranch_execnz .LBB263_786
; %bb.551:                              ;   in Loop: Header=BB263_495 Depth=1
	s_or_saveexec_b64 s[8:9], s[8:9]
	v_mov_b32_e32 v1, s30
	s_xor_b64 exec, exec, s[8:9]
	s_cbranch_execnz .LBB263_789
.LBB263_552:                            ;   in Loop: Header=BB263_495 Depth=1
	s_or_b64 exec, exec, s[8:9]
	s_and_saveexec_b64 s[8:9], s[6:7]
	s_cbranch_execz .LBB263_554
.LBB263_553:                            ;   in Loop: Header=BB263_495 Depth=1
	v_and_b32_e32 v1, 7, v4
	v_ffbh_u32_e32 v12, v1
	v_bfe_u32 v2, v4, 3, 4
	v_min_u32_e32 v12, 32, v12
	v_subrev_u32_e32 v13, 28, v12
	v_sub_u32_e32 v12, 29, v12
	v_cmp_eq_u32_e64 s[0:1], 0, v2
	v_lshlrev_b64 v[22:23], v13, v[4:5]
	v_and_b32_e32 v13, 7, v22
	v_cndmask_b32_e64 v2, v2, v12, s[0:1]
	v_lshlrev_b32_e32 v4, 8, v4
	v_lshl_add_u32 v2, v2, 10, v40
	v_cndmask_b32_e64 v1, v1, v13, s[0:1]
	v_and_or_b32 v2, v4, s25, v2
	v_lshl_or_b32 v1, v1, 7, v2
	v_cvt_f32_f16_e32 v1, v1
.LBB263_554:                            ;   in Loop: Header=BB263_495 Depth=1
	s_or_b64 exec, exec, s[8:9]
	v_lshrrev_b32_e32 v4, 16, v21
	v_cmp_gt_i16_sdwa s[6:7], v4, s19 src0_sel:BYTE_0 src1_sel:DWORD
	s_mov_b64 s[0:1], 0
                                        ; implicit-def: $sgpr10
	s_and_saveexec_b64 s[8:9], s[6:7]
	s_xor_b64 s[6:7], exec, s[8:9]
	s_cbranch_execnz .LBB263_790
; %bb.555:                              ;   in Loop: Header=BB263_495 Depth=1
	s_or_saveexec_b64 s[6:7], s[6:7]
	v_mov_b32_e32 v2, s10
	s_xor_b64 exec, exec, s[6:7]
	s_cbranch_execnz .LBB263_793
.LBB263_556:                            ;   in Loop: Header=BB263_495 Depth=1
	s_or_b64 exec, exec, s[6:7]
	s_and_saveexec_b64 s[6:7], s[0:1]
	s_cbranch_execz .LBB263_558
.LBB263_557:                            ;   in Loop: Header=BB263_495 Depth=1
	v_bfe_u32 v2, v21, 16, 3
	v_ffbh_u32_e32 v13, v2
	v_bfe_u32 v12, v21, 19, 4
	v_min_u32_e32 v13, 32, v13
	v_subrev_u32_e32 v17, 28, v13
	v_sub_u32_e32 v13, 29, v13
	v_cmp_eq_u32_e64 s[0:1], 0, v12
	v_lshlrev_b64 v[22:23], v17, v[4:5]
	v_and_b32_e32 v17, 7, v22
	v_cndmask_b32_e64 v12, v12, v13, s[0:1]
	v_lshlrev_b32_e32 v4, 8, v4
	v_lshl_add_u32 v12, v12, 10, v40
	v_cndmask_b32_e64 v2, v2, v17, s[0:1]
	v_and_or_b32 v4, v4, s25, v12
	v_lshl_or_b32 v2, v2, 7, v4
	v_cvt_f32_f16_e32 v2, v2
.LBB263_558:                            ;   in Loop: Header=BB263_495 Depth=1
	s_or_b64 exec, exec, s[6:7]
	v_lshrrev_b32_e32 v4, 24, v21
	v_cmp_lt_i16_e64 s[0:1], s19, v4
	s_mov_b64 s[6:7], 0
                                        ; implicit-def: $sgpr30
	s_and_saveexec_b64 s[8:9], s[0:1]
	s_xor_b64 s[8:9], exec, s[8:9]
	s_cbranch_execnz .LBB263_794
; %bb.559:                              ;   in Loop: Header=BB263_495 Depth=1
	s_or_saveexec_b64 s[8:9], s[8:9]
	v_mov_b32_e32 v17, s30
	s_xor_b64 exec, exec, s[8:9]
	s_cbranch_execnz .LBB263_797
.LBB263_560:                            ;   in Loop: Header=BB263_495 Depth=1
	s_or_b64 exec, exec, s[8:9]
	s_and_saveexec_b64 s[8:9], s[6:7]
	s_cbranch_execz .LBB263_562
.LBB263_561:                            ;   in Loop: Header=BB263_495 Depth=1
	v_bfe_u32 v12, v21, 24, 3
	v_ffbh_u32_e32 v17, v12
	v_bfe_u32 v13, v21, 27, 4
	v_min_u32_e32 v17, 32, v17
	v_subrev_u32_e32 v18, 28, v17
	v_sub_u32_e32 v17, 29, v17
	v_cmp_eq_u32_e64 s[0:1], 0, v13
	v_lshlrev_b64 v[20:21], v18, v[4:5]
	v_and_b32_e32 v18, 7, v20
	v_cndmask_b32_e64 v13, v13, v17, s[0:1]
	v_lshlrev_b32_e32 v4, 8, v4
	v_lshl_add_u32 v13, v13, 10, v40
	v_cndmask_b32_e64 v12, v12, v18, s[0:1]
	v_and_or_b32 v4, v4, s25, v13
	v_lshl_or_b32 v4, v12, 7, v4
	v_cvt_f32_f16_e32 v17, v4
.LBB263_562:                            ;   in Loop: Header=BB263_495 Depth=1
	s_or_b64 exec, exec, s[8:9]
	v_pk_mul_f32 v[20:21], v[16:17], v[26:27] op_sel_hi:[0,1]
	v_pk_mul_f32 v[22:23], v[16:17], v[24:25] op_sel_hi:[0,1]
	v_cvt_f16_f32_e32 v4, v21
	v_cvt_f16_f32_e32 v12, v20
	;; [unrolled: 1-line block ×4, first 2 shown]
	v_fma_mixlo_f16 v1, v16, v1, 0
	v_lshlrev_b32_e32 v1, 16, v1
	v_fma_mixlo_f16 v0, v16, v0, 0
	v_or_b32_sdwa v0, v1, v0 dst_sel:DWORD dst_unused:UNUSED_PAD src0_sel:DWORD src1_sel:WORD_0
	v_fma_mixlo_f16 v1, v16, v17, 0
	v_pack_b32_f16 v12, v12, v4
	v_pack_b32_f16 v13, v18, v13
	v_fma_mixlo_f16 v2, v16, v2, 0
	v_lshlrev_b32_e32 v1, 16, v1
	v_perm_b32 v4, v13, v12, s27
	v_perm_b32 v13, v13, v12, s28
	v_or_b32_sdwa v1, v1, v2 dst_sel:DWORD dst_unused:UNUSED_PAD src0_sel:DWORD src1_sel:WORD_0
	s_and_saveexec_b64 s[6:7], vcc
	s_cbranch_execz .LBB263_564
; %bb.563:                              ;   in Loop: Header=BB263_495 Depth=1
	v_lshrrev_b32_e32 v12, 16, v13
	v_cmp_lt_i32_e64 s[0:1], v56, v3
	v_accvgpr_read_b32 v16, a8
	v_lshrrev_b32_e32 v1, 16, v1
	v_cndmask_b32_e64 v12, 0, v12, s[0:1]
	v_cmp_lt_i32_e64 s[0:1], v43, v16
	s_nop 1
	v_cndmask_b32_e64 v13, 0, v13, s[0:1]
	v_perm_b32 v13, v12, v13, s29
	v_lshrrev_b32_e32 v12, 16, v4
	v_cmp_lt_i32_e64 s[0:1], v47, v3
	s_nop 1
	v_cndmask_b32_e64 v12, 0, v12, s[0:1]
	v_cmp_lt_i32_e64 s[0:1], v46, v16
	s_nop 1
	v_cndmask_b32_e64 v4, 0, v4, s[0:1]
	v_perm_b32 v4, v12, v4, s29
	v_lshrrev_b32_e32 v12, 16, v0
	v_cmp_lt_i32_e64 s[0:1], v45, v3
	s_nop 1
	v_cndmask_b32_e64 v12, 0, v12, s[0:1]
	v_cmp_lt_i32_e64 s[0:1], v44, v16
	s_nop 1
	v_cndmask_b32_e64 v0, 0, v0, s[0:1]
	v_cmp_lt_i32_e64 s[0:1], v42, v3
	v_perm_b32 v0, v12, v0, s29
	s_nop 0
	v_cndmask_b32_e64 v1, 0, v1, s[0:1]
	v_cmp_lt_i32_e64 s[0:1], v41, v16
	s_nop 1
	v_cndmask_b32_e64 v2, 0, v2, s[0:1]
	v_perm_b32 v1, v1, v2, s29
.LBB263_564:                            ;   in Loop: Header=BB263_495 Depth=1
	s_or_b64 exec, exec, s[6:7]
	;;#ASMSTART
	v_pk_mul_f16 v2, v60, v13;

	;;#ASMEND
	;;#ASMSTART
	v_pk_mul_f16 v4, v59, v4;

	;;#ASMEND
	;; [unrolled: 4-line block ×4, first 2 shown]
	v_accvgpr_read_b32 v13, a5
	;;#ASMSTART
	v_pk_add_f16 v2, v2, v4;

	;;#ASMEND
	v_accvgpr_read_b32 v12, a4
	;;#ASMSTART
	v_pk_add_f16 v0, v2, v0;

	;;#ASMEND
	s_mov_b64 s[0:1], 0
	;;#ASMSTART
	v_pk_add_f16 v0, v0, v1;

	;;#ASMEND
                                        ; implicit-def: $sgpr10
	s_nop 0
	v_lshrrev_b32_e32 v1, 16, v0
	v_and_b32_e32 v0, 0xffff, v0
	;;#ASMSTART
	v_cvt_f32_f16 v0, v0;
	;;#ASMEND
	;;#ASMSTART
	v_cvt_f32_f16 v1, v1;
	;;#ASMEND
	flat_load_dwordx2 v[20:21], v[14:15] offset:1024
	flat_load_dword v16, v[12:13]
	s_waitcnt vmcnt(0) lgkmcnt(0)
	v_cmp_gt_i16_sdwa s[6:7], v20, s19 src0_sel:BYTE_0 src1_sel:DWORD
	s_and_saveexec_b64 s[8:9], s[6:7]
	s_xor_b64 s[6:7], exec, s[8:9]
	s_cbranch_execnz .LBB263_798
; %bb.565:                              ;   in Loop: Header=BB263_495 Depth=1
	s_or_saveexec_b64 s[6:7], s[6:7]
	v_mov_b32_e32 v24, s10
	s_xor_b64 exec, exec, s[6:7]
	s_cbranch_execnz .LBB263_801
.LBB263_566:                            ;   in Loop: Header=BB263_495 Depth=1
	s_or_b64 exec, exec, s[6:7]
	s_and_saveexec_b64 s[6:7], s[0:1]
	s_cbranch_execz .LBB263_568
.LBB263_567:                            ;   in Loop: Header=BB263_495 Depth=1
	v_and_b32_e32 v2, 7, v20
	v_ffbh_u32_e32 v2, v2
	v_bfe_u32 v4, v20, 3, 4
	v_min_u32_e32 v2, 32, v2
	v_subrev_u32_e32 v12, 28, v2
	v_sub_u32_e32 v2, 29, v2
	v_cmp_eq_u32_e64 s[0:1], 0, v4
	s_nop 1
	v_cndmask_b32_e64 v2, v4, v2, s[0:1]
	v_cndmask_b32_e64 v4, 0, v12, s[0:1]
	v_lshlrev_b64 v[22:23], v4, v[20:21]
	v_lshlrev_b32_e32 v12, 8, v20
	v_lshl_add_u32 v2, v2, 10, v40
	v_lshlrev_b32_e32 v4, 7, v22
	v_and_or_b32 v2, v12, s25, v2
	v_and_or_b32 v2, v4, s26, v2
	v_cvt_f32_f16_e32 v24, v2
.LBB263_568:                            ;   in Loop: Header=BB263_495 Depth=1
	s_or_b64 exec, exec, s[6:7]
	v_lshrrev_b16_e32 v4, 8, v20
	v_cmp_lt_i16_e64 s[0:1], s19, v4
	s_mov_b64 s[6:7], 0
                                        ; implicit-def: $sgpr30
	s_and_saveexec_b64 s[8:9], s[0:1]
	s_xor_b64 s[8:9], exec, s[8:9]
	s_cbranch_execnz .LBB263_802
; %bb.569:                              ;   in Loop: Header=BB263_495 Depth=1
	s_or_saveexec_b64 s[8:9], s[8:9]
	v_mov_b32_e32 v26, s30
	s_xor_b64 exec, exec, s[8:9]
	s_cbranch_execnz .LBB263_805
.LBB263_570:                            ;   in Loop: Header=BB263_495 Depth=1
	s_or_b64 exec, exec, s[8:9]
	s_and_saveexec_b64 s[8:9], s[6:7]
	s_cbranch_execz .LBB263_572
.LBB263_571:                            ;   in Loop: Header=BB263_495 Depth=1
	v_and_b32_e32 v2, 7, v4
	v_ffbh_u32_e32 v13, v2
	v_bfe_u32 v12, v4, 3, 4
	v_min_u32_e32 v13, 32, v13
	v_subrev_u32_e32 v17, 28, v13
	v_sub_u32_e32 v13, 29, v13
	v_cmp_eq_u32_e64 s[0:1], 0, v12
	v_lshlrev_b64 v[22:23], v17, v[4:5]
	v_and_b32_e32 v17, 7, v22
	v_cndmask_b32_e64 v12, v12, v13, s[0:1]
	v_lshlrev_b32_e32 v4, 8, v4
	v_lshl_add_u32 v12, v12, 10, v40
	v_cndmask_b32_e64 v2, v2, v17, s[0:1]
	v_and_or_b32 v4, v4, s25, v12
	v_lshl_or_b32 v2, v2, 7, v4
	v_cvt_f32_f16_e32 v26, v2
.LBB263_572:                            ;   in Loop: Header=BB263_495 Depth=1
	s_or_b64 exec, exec, s[8:9]
	v_lshrrev_b32_e32 v4, 16, v20
	v_cmp_gt_i16_sdwa s[6:7], v4, s19 src0_sel:BYTE_0 src1_sel:DWORD
	s_mov_b64 s[0:1], 0
                                        ; implicit-def: $sgpr10
	s_and_saveexec_b64 s[8:9], s[6:7]
	s_xor_b64 s[6:7], exec, s[8:9]
	s_cbranch_execnz .LBB263_806
; %bb.573:                              ;   in Loop: Header=BB263_495 Depth=1
	s_or_saveexec_b64 s[6:7], s[6:7]
	v_mov_b32_e32 v25, s10
	s_xor_b64 exec, exec, s[6:7]
	s_cbranch_execnz .LBB263_809
.LBB263_574:                            ;   in Loop: Header=BB263_495 Depth=1
	s_or_b64 exec, exec, s[6:7]
	s_and_saveexec_b64 s[6:7], s[0:1]
	s_cbranch_execz .LBB263_576
.LBB263_575:                            ;   in Loop: Header=BB263_495 Depth=1
	v_bfe_u32 v2, v20, 16, 3
	v_ffbh_u32_e32 v13, v2
	v_bfe_u32 v12, v20, 19, 4
	v_min_u32_e32 v13, 32, v13
	v_subrev_u32_e32 v17, 28, v13
	v_sub_u32_e32 v13, 29, v13
	v_cmp_eq_u32_e64 s[0:1], 0, v12
	v_lshlrev_b64 v[22:23], v17, v[4:5]
	v_and_b32_e32 v17, 7, v22
	v_cndmask_b32_e64 v12, v12, v13, s[0:1]
	v_lshlrev_b32_e32 v4, 8, v4
	v_lshl_add_u32 v12, v12, 10, v40
	v_cndmask_b32_e64 v2, v2, v17, s[0:1]
	v_and_or_b32 v4, v4, s25, v12
	v_lshl_or_b32 v2, v2, 7, v4
	v_cvt_f32_f16_e32 v25, v2
.LBB263_576:                            ;   in Loop: Header=BB263_495 Depth=1
	s_or_b64 exec, exec, s[6:7]
	v_lshrrev_b32_e32 v4, 24, v20
	v_cmp_lt_i16_e64 s[0:1], s19, v4
	s_mov_b64 s[6:7], 0
                                        ; implicit-def: $sgpr30
	s_and_saveexec_b64 s[8:9], s[0:1]
	s_xor_b64 s[8:9], exec, s[8:9]
	s_cbranch_execnz .LBB263_810
; %bb.577:                              ;   in Loop: Header=BB263_495 Depth=1
	s_or_saveexec_b64 s[8:9], s[8:9]
	v_mov_b32_e32 v27, s30
	s_xor_b64 exec, exec, s[8:9]
	s_cbranch_execnz .LBB263_813
.LBB263_578:                            ;   in Loop: Header=BB263_495 Depth=1
	s_or_b64 exec, exec, s[8:9]
	s_and_saveexec_b64 s[8:9], s[6:7]
	s_cbranch_execz .LBB263_580
.LBB263_579:                            ;   in Loop: Header=BB263_495 Depth=1
	v_bfe_u32 v2, v20, 24, 3
	v_ffbh_u32_e32 v13, v2
	v_bfe_u32 v12, v20, 27, 4
	v_min_u32_e32 v13, 32, v13
	v_subrev_u32_e32 v17, 28, v13
	v_sub_u32_e32 v13, 29, v13
	v_cmp_eq_u32_e64 s[0:1], 0, v12
	v_lshlrev_b64 v[22:23], v17, v[4:5]
	v_and_b32_e32 v17, 7, v22
	v_cndmask_b32_e64 v12, v12, v13, s[0:1]
	v_lshlrev_b32_e32 v4, 8, v4
	v_lshl_add_u32 v12, v12, 10, v40
	v_cndmask_b32_e64 v2, v2, v17, s[0:1]
	v_and_or_b32 v4, v4, s25, v12
	v_lshl_or_b32 v2, v2, 7, v4
	v_cvt_f32_f16_e32 v27, v2
.LBB263_580:                            ;   in Loop: Header=BB263_495 Depth=1
	s_or_b64 exec, exec, s[8:9]
	v_cmp_gt_i16_sdwa s[6:7], v21, s19 src0_sel:BYTE_0 src1_sel:DWORD
	s_mov_b64 s[0:1], 0
                                        ; implicit-def: $sgpr10
	s_and_saveexec_b64 s[8:9], s[6:7]
	s_xor_b64 s[6:7], exec, s[8:9]
	s_cbranch_execnz .LBB263_814
; %bb.581:                              ;   in Loop: Header=BB263_495 Depth=1
	s_or_saveexec_b64 s[6:7], s[6:7]
	v_mov_b32_e32 v2, s10
	s_xor_b64 exec, exec, s[6:7]
	s_cbranch_execnz .LBB263_817
.LBB263_582:                            ;   in Loop: Header=BB263_495 Depth=1
	s_or_b64 exec, exec, s[6:7]
	v_mov_b32_e32 v4, v21
	s_and_saveexec_b64 s[6:7], s[0:1]
	s_cbranch_execz .LBB263_584
.LBB263_583:                            ;   in Loop: Header=BB263_495 Depth=1
	v_and_b32_e32 v2, 7, v21
	v_ffbh_u32_e32 v2, v2
	v_bfe_u32 v12, v21, 3, 4
	v_min_u32_e32 v2, 32, v2
	v_subrev_u32_e32 v13, 28, v2
	v_sub_u32_e32 v2, 29, v2
	v_cmp_eq_u32_e64 s[0:1], 0, v12
	s_nop 1
	v_cndmask_b32_e64 v2, v12, v2, s[0:1]
	v_cndmask_b32_e64 v12, 0, v13, s[0:1]
	v_lshlrev_b64 v[22:23], v12, v[4:5]
	v_lshlrev_b32_e32 v13, 8, v21
	v_lshl_add_u32 v2, v2, 10, v40
	v_lshlrev_b32_e32 v12, 7, v22
	v_and_or_b32 v2, v13, s25, v2
	v_and_or_b32 v2, v12, s26, v2
	v_cvt_f32_f16_e32 v2, v2
.LBB263_584:                            ;   in Loop: Header=BB263_495 Depth=1
	s_or_b64 exec, exec, s[6:7]
	v_lshrrev_b16_e32 v4, 8, v4
	v_cmp_lt_i16_e64 s[0:1], s19, v4
	s_mov_b64 s[6:7], 0
                                        ; implicit-def: $sgpr30
	s_and_saveexec_b64 s[8:9], s[0:1]
	s_xor_b64 s[8:9], exec, s[8:9]
	s_cbranch_execnz .LBB263_818
; %bb.585:                              ;   in Loop: Header=BB263_495 Depth=1
	s_or_saveexec_b64 s[8:9], s[8:9]
	v_mov_b32_e32 v13, s30
	s_xor_b64 exec, exec, s[8:9]
	s_cbranch_execnz .LBB263_821
.LBB263_586:                            ;   in Loop: Header=BB263_495 Depth=1
	s_or_b64 exec, exec, s[8:9]
	s_and_saveexec_b64 s[8:9], s[6:7]
	s_cbranch_execz .LBB263_588
.LBB263_587:                            ;   in Loop: Header=BB263_495 Depth=1
	v_and_b32_e32 v12, 7, v4
	v_ffbh_u32_e32 v17, v12
	v_bfe_u32 v13, v4, 3, 4
	v_min_u32_e32 v17, 32, v17
	v_subrev_u32_e32 v18, 28, v17
	v_sub_u32_e32 v17, 29, v17
	v_cmp_eq_u32_e64 s[0:1], 0, v13
	v_lshlrev_b64 v[22:23], v18, v[4:5]
	v_and_b32_e32 v18, 7, v22
	v_cndmask_b32_e64 v13, v13, v17, s[0:1]
	v_lshlrev_b32_e32 v4, 8, v4
	v_lshl_add_u32 v13, v13, 10, v40
	v_cndmask_b32_e64 v12, v12, v18, s[0:1]
	v_and_or_b32 v4, v4, s25, v13
	v_lshl_or_b32 v4, v12, 7, v4
	v_cvt_f32_f16_e32 v13, v4
.LBB263_588:                            ;   in Loop: Header=BB263_495 Depth=1
	s_or_b64 exec, exec, s[8:9]
	v_lshrrev_b32_e32 v4, 16, v21
	v_cmp_gt_i16_sdwa s[6:7], v4, s19 src0_sel:BYTE_0 src1_sel:DWORD
	s_mov_b64 s[0:1], 0
                                        ; implicit-def: $sgpr10
	s_and_saveexec_b64 s[8:9], s[6:7]
	s_xor_b64 s[6:7], exec, s[8:9]
	s_cbranch_execnz .LBB263_822
; %bb.589:                              ;   in Loop: Header=BB263_495 Depth=1
	s_or_saveexec_b64 s[6:7], s[6:7]
	v_mov_b32_e32 v17, s10
	s_xor_b64 exec, exec, s[6:7]
	s_cbranch_execnz .LBB263_825
.LBB263_590:                            ;   in Loop: Header=BB263_495 Depth=1
	s_or_b64 exec, exec, s[6:7]
	s_and_saveexec_b64 s[6:7], s[0:1]
	s_cbranch_execz .LBB263_592
.LBB263_591:                            ;   in Loop: Header=BB263_495 Depth=1
	v_bfe_u32 v12, v21, 16, 3
	v_ffbh_u32_e32 v18, v12
	v_bfe_u32 v17, v21, 19, 4
	v_min_u32_e32 v18, 32, v18
	v_subrev_u32_e32 v19, 28, v18
	v_sub_u32_e32 v18, 29, v18
	v_cmp_eq_u32_e64 s[0:1], 0, v17
	v_lshlrev_b64 v[22:23], v19, v[4:5]
	v_and_b32_e32 v19, 7, v22
	v_cndmask_b32_e64 v17, v17, v18, s[0:1]
	v_lshlrev_b32_e32 v4, 8, v4
	v_lshl_add_u32 v17, v17, 10, v40
	v_cndmask_b32_e64 v12, v12, v19, s[0:1]
	v_and_or_b32 v4, v4, s25, v17
	v_lshl_or_b32 v4, v12, 7, v4
	v_cvt_f32_f16_e32 v17, v4
.LBB263_592:                            ;   in Loop: Header=BB263_495 Depth=1
	s_or_b64 exec, exec, s[6:7]
	v_lshrrev_b32_e32 v4, 24, v21
	v_cmp_lt_i16_e64 s[0:1], s19, v4
	s_mov_b64 s[6:7], 0
                                        ; implicit-def: $sgpr30
	s_and_saveexec_b64 s[8:9], s[0:1]
	s_xor_b64 s[8:9], exec, s[8:9]
	s_cbranch_execnz .LBB263_826
; %bb.593:                              ;   in Loop: Header=BB263_495 Depth=1
	s_or_saveexec_b64 s[8:9], s[8:9]
	v_mov_b32_e32 v20, s30
	s_xor_b64 exec, exec, s[8:9]
	s_cbranch_execnz .LBB263_829
.LBB263_594:                            ;   in Loop: Header=BB263_495 Depth=1
	s_or_b64 exec, exec, s[8:9]
	s_and_saveexec_b64 s[8:9], s[6:7]
	s_cbranch_execz .LBB263_596
.LBB263_595:                            ;   in Loop: Header=BB263_495 Depth=1
	v_bfe_u32 v12, v21, 24, 3
	v_ffbh_u32_e32 v19, v12
	v_bfe_u32 v18, v21, 27, 4
	v_min_u32_e32 v19, 32, v19
	v_subrev_u32_e32 v20, 28, v19
	v_sub_u32_e32 v19, 29, v19
	v_cmp_eq_u32_e64 s[0:1], 0, v18
	v_lshlrev_b64 v[20:21], v20, v[4:5]
	v_and_b32_e32 v20, 7, v20
	v_cndmask_b32_e64 v18, v18, v19, s[0:1]
	v_lshlrev_b32_e32 v4, 8, v4
	v_lshl_add_u32 v18, v18, 10, v40
	v_cndmask_b32_e64 v12, v12, v20, s[0:1]
	v_and_or_b32 v4, v4, s25, v18
	v_lshl_or_b32 v4, v12, 7, v4
	v_cvt_f32_f16_e32 v20, v4
.LBB263_596:                            ;   in Loop: Header=BB263_495 Depth=1
	s_or_b64 exec, exec, s[8:9]
	v_pk_mul_f32 v[22:23], v[16:17], v[26:27] op_sel_hi:[0,1]
	v_pk_mul_f32 v[24:25], v[16:17], v[24:25] op_sel_hi:[0,1]
	v_cvt_f16_f32_e32 v4, v23
	v_cvt_f16_f32_e32 v12, v22
	;; [unrolled: 1-line block ×4, first 2 shown]
	v_fma_mixlo_f16 v2, v16, v2, 0
	v_pack_b32_f16 v12, v12, v4
	v_fma_mixlo_f16 v17, v16, v17, 0
	v_pack_b32_f16 v18, v19, v18
	v_perm_b32 v4, v18, v12, s27
	v_perm_b32 v18, v18, v12, s28
	v_fma_mixlo_f16 v12, v16, v13, 0
	v_lshlrev_b32_e32 v12, 16, v12
	v_or_b32_sdwa v2, v12, v2 dst_sel:DWORD dst_unused:UNUSED_PAD src0_sel:DWORD src1_sel:WORD_0
	v_fma_mixlo_f16 v12, v16, v20, 0
	v_lshlrev_b32_e32 v12, 16, v12
	v_or_b32_sdwa v13, v12, v17 dst_sel:DWORD dst_unused:UNUSED_PAD src0_sel:DWORD src1_sel:WORD_0
	s_and_saveexec_b64 s[6:7], vcc
	s_cbranch_execz .LBB263_598
; %bb.597:                              ;   in Loop: Header=BB263_495 Depth=1
	v_lshrrev_b32_e32 v12, 16, v18
	v_cmp_lt_i32_e64 s[0:1], v56, v3
	v_accvgpr_read_b32 v20, a8
	s_nop 0
	v_cndmask_b32_e64 v12, 0, v12, s[0:1]
	v_cmp_lt_i32_e64 s[0:1], v43, v20
	s_nop 1
	v_cndmask_b32_e64 v16, 0, v18, s[0:1]
	v_perm_b32 v18, v12, v16, s29
	v_lshrrev_b32_e32 v12, 16, v4
	v_cmp_lt_i32_e64 s[0:1], v47, v3
	s_nop 1
	v_cndmask_b32_e64 v12, 0, v12, s[0:1]
	v_cmp_lt_i32_e64 s[0:1], v46, v20
	s_nop 1
	v_cndmask_b32_e64 v4, 0, v4, s[0:1]
	v_perm_b32 v4, v12, v4, s29
	v_lshrrev_b32_e32 v12, 16, v2
	v_cmp_lt_i32_e64 s[0:1], v45, v3
	s_nop 1
	v_cndmask_b32_e64 v12, 0, v12, s[0:1]
	v_cmp_lt_i32_e64 s[0:1], v44, v20
	s_nop 1
	v_cndmask_b32_e64 v2, 0, v2, s[0:1]
	v_perm_b32 v2, v12, v2, s29
	v_lshrrev_b32_e32 v12, 16, v13
	v_cmp_lt_i32_e64 s[0:1], v42, v3
	s_nop 1
	v_cndmask_b32_e64 v12, 0, v12, s[0:1]
	v_cmp_lt_i32_e64 s[0:1], v41, v20
	s_nop 1
	v_cndmask_b32_e64 v13, 0, v17, s[0:1]
	v_perm_b32 v13, v12, v13, s29
.LBB263_598:                            ;   in Loop: Header=BB263_495 Depth=1
	s_or_b64 exec, exec, s[6:7]
	;;#ASMSTART
	v_pk_mul_f16 v12, v60, v18;

	;;#ASMEND
	;;#ASMSTART
	v_pk_mul_f16 v4, v59, v4;

	;;#ASMEND
	;;#ASMSTART
	v_pk_mul_f16 v2, v58, v2;

	;;#ASMEND
	;;#ASMSTART
	v_pk_mul_f16 v13, v57, v13;

	;;#ASMEND
	v_accvgpr_read_b32 v17, a5
	;;#ASMSTART
	v_pk_add_f16 v4, v12, v4;

	;;#ASMEND
	v_accvgpr_read_b32 v16, a4
	;;#ASMSTART
	v_pk_add_f16 v2, v4, v2;

	;;#ASMEND
	s_mov_b64 s[0:1], 0
	;;#ASMSTART
	v_pk_add_f16 v2, v2, v13;

	;;#ASMEND
                                        ; implicit-def: $sgpr10
	s_nop 0
	v_lshrrev_b32_e32 v4, 16, v2
	v_and_b32_e32 v2, 0xffff, v2
	;;#ASMSTART
	v_cvt_f32_f16 v13, v2;
	;;#ASMEND
	;;#ASMSTART
	v_cvt_f32_f16 v52, v4;
	;;#ASMEND
	flat_load_dwordx2 v[20:21], v[14:15] offset:1536
	s_waitcnt vmcnt(0) lgkmcnt(0)
	v_cmp_gt_i16_sdwa s[6:7], v20, s19 src0_sel:BYTE_0 src1_sel:DWORD
	flat_load_dword v16, v[16:17]
	s_and_saveexec_b64 s[8:9], s[6:7]
	s_xor_b64 s[6:7], exec, s[8:9]
	s_cbranch_execnz .LBB263_830
; %bb.599:                              ;   in Loop: Header=BB263_495 Depth=1
	s_or_saveexec_b64 s[6:7], s[6:7]
	v_mov_b32_e32 v24, s10
	s_xor_b64 exec, exec, s[6:7]
	s_cbranch_execnz .LBB263_833
.LBB263_600:                            ;   in Loop: Header=BB263_495 Depth=1
	s_or_b64 exec, exec, s[6:7]
	s_and_saveexec_b64 s[6:7], s[0:1]
	s_cbranch_execz .LBB263_602
.LBB263_601:                            ;   in Loop: Header=BB263_495 Depth=1
	v_and_b32_e32 v2, 7, v20
	v_ffbh_u32_e32 v2, v2
	v_bfe_u32 v4, v20, 3, 4
	v_min_u32_e32 v2, 32, v2
	v_subrev_u32_e32 v12, 28, v2
	v_sub_u32_e32 v2, 29, v2
	v_cmp_eq_u32_e64 s[0:1], 0, v4
	s_nop 1
	v_cndmask_b32_e64 v2, v4, v2, s[0:1]
	v_cndmask_b32_e64 v4, 0, v12, s[0:1]
	v_lshlrev_b64 v[22:23], v4, v[20:21]
	v_lshlrev_b32_e32 v12, 8, v20
	v_lshl_add_u32 v2, v2, 10, v40
	v_lshlrev_b32_e32 v4, 7, v22
	v_and_or_b32 v2, v12, s25, v2
	v_and_or_b32 v2, v4, s26, v2
	v_cvt_f32_f16_e32 v24, v2
.LBB263_602:                            ;   in Loop: Header=BB263_495 Depth=1
	s_or_b64 exec, exec, s[6:7]
	v_lshrrev_b16_e32 v4, 8, v20
	v_cmp_lt_i16_e64 s[0:1], s19, v4
	s_mov_b64 s[6:7], 0
                                        ; implicit-def: $sgpr30
	s_and_saveexec_b64 s[8:9], s[0:1]
	s_xor_b64 s[8:9], exec, s[8:9]
	s_cbranch_execnz .LBB263_834
; %bb.603:                              ;   in Loop: Header=BB263_495 Depth=1
	s_or_saveexec_b64 s[8:9], s[8:9]
	v_mov_b32_e32 v26, s30
	s_xor_b64 exec, exec, s[8:9]
	s_cbranch_execnz .LBB263_837
.LBB263_604:                            ;   in Loop: Header=BB263_495 Depth=1
	s_or_b64 exec, exec, s[8:9]
	s_and_saveexec_b64 s[8:9], s[6:7]
	s_cbranch_execz .LBB263_606
.LBB263_605:                            ;   in Loop: Header=BB263_495 Depth=1
	v_and_b32_e32 v2, 7, v4
	v_ffbh_u32_e32 v17, v2
	v_bfe_u32 v12, v4, 3, 4
	v_min_u32_e32 v17, 32, v17
	v_subrev_u32_e32 v18, 28, v17
	v_sub_u32_e32 v17, 29, v17
	v_cmp_eq_u32_e64 s[0:1], 0, v12
	v_lshlrev_b64 v[22:23], v18, v[4:5]
	v_and_b32_e32 v18, 7, v22
	v_cndmask_b32_e64 v12, v12, v17, s[0:1]
	v_lshlrev_b32_e32 v4, 8, v4
	v_lshl_add_u32 v12, v12, 10, v40
	v_cndmask_b32_e64 v2, v2, v18, s[0:1]
	v_and_or_b32 v4, v4, s25, v12
	v_lshl_or_b32 v2, v2, 7, v4
	v_cvt_f32_f16_e32 v26, v2
.LBB263_606:                            ;   in Loop: Header=BB263_495 Depth=1
	s_or_b64 exec, exec, s[8:9]
	v_lshrrev_b32_e32 v4, 16, v20
	v_cmp_gt_i16_sdwa s[6:7], v4, s19 src0_sel:BYTE_0 src1_sel:DWORD
	s_mov_b64 s[0:1], 0
                                        ; implicit-def: $sgpr10
	s_and_saveexec_b64 s[8:9], s[6:7]
	s_xor_b64 s[6:7], exec, s[8:9]
	s_cbranch_execnz .LBB263_838
; %bb.607:                              ;   in Loop: Header=BB263_495 Depth=1
	s_or_saveexec_b64 s[6:7], s[6:7]
	v_mov_b32_e32 v25, s10
	s_xor_b64 exec, exec, s[6:7]
	s_cbranch_execnz .LBB263_841
.LBB263_608:                            ;   in Loop: Header=BB263_495 Depth=1
	s_or_b64 exec, exec, s[6:7]
	s_and_saveexec_b64 s[6:7], s[0:1]
	s_cbranch_execz .LBB263_610
.LBB263_609:                            ;   in Loop: Header=BB263_495 Depth=1
	v_bfe_u32 v2, v20, 16, 3
	v_ffbh_u32_e32 v17, v2
	v_bfe_u32 v12, v20, 19, 4
	v_min_u32_e32 v17, 32, v17
	v_subrev_u32_e32 v18, 28, v17
	v_sub_u32_e32 v17, 29, v17
	v_cmp_eq_u32_e64 s[0:1], 0, v12
	v_lshlrev_b64 v[22:23], v18, v[4:5]
	v_and_b32_e32 v18, 7, v22
	v_cndmask_b32_e64 v12, v12, v17, s[0:1]
	v_lshlrev_b32_e32 v4, 8, v4
	v_lshl_add_u32 v12, v12, 10, v40
	v_cndmask_b32_e64 v2, v2, v18, s[0:1]
	v_and_or_b32 v4, v4, s25, v12
	v_lshl_or_b32 v2, v2, 7, v4
	v_cvt_f32_f16_e32 v25, v2
.LBB263_610:                            ;   in Loop: Header=BB263_495 Depth=1
	s_or_b64 exec, exec, s[6:7]
	v_lshrrev_b32_e32 v4, 24, v20
	v_cmp_lt_i16_e64 s[0:1], s19, v4
	s_mov_b64 s[6:7], 0
                                        ; implicit-def: $sgpr30
	s_and_saveexec_b64 s[8:9], s[0:1]
	s_xor_b64 s[8:9], exec, s[8:9]
	s_cbranch_execnz .LBB263_842
; %bb.611:                              ;   in Loop: Header=BB263_495 Depth=1
	s_or_saveexec_b64 s[8:9], s[8:9]
	v_mov_b32_e32 v27, s30
	s_xor_b64 exec, exec, s[8:9]
	s_cbranch_execnz .LBB263_845
.LBB263_612:                            ;   in Loop: Header=BB263_495 Depth=1
	s_or_b64 exec, exec, s[8:9]
	s_and_saveexec_b64 s[8:9], s[6:7]
	s_cbranch_execz .LBB263_614
.LBB263_613:                            ;   in Loop: Header=BB263_495 Depth=1
	v_bfe_u32 v2, v20, 24, 3
	v_ffbh_u32_e32 v17, v2
	v_bfe_u32 v12, v20, 27, 4
	v_min_u32_e32 v17, 32, v17
	v_subrev_u32_e32 v18, 28, v17
	v_sub_u32_e32 v17, 29, v17
	v_cmp_eq_u32_e64 s[0:1], 0, v12
	v_lshlrev_b64 v[22:23], v18, v[4:5]
	v_and_b32_e32 v18, 7, v22
	v_cndmask_b32_e64 v12, v12, v17, s[0:1]
	v_lshlrev_b32_e32 v4, 8, v4
	v_lshl_add_u32 v12, v12, 10, v40
	v_cndmask_b32_e64 v2, v2, v18, s[0:1]
	v_and_or_b32 v4, v4, s25, v12
	v_lshl_or_b32 v2, v2, 7, v4
	v_cvt_f32_f16_e32 v27, v2
.LBB263_614:                            ;   in Loop: Header=BB263_495 Depth=1
	s_or_b64 exec, exec, s[8:9]
	v_cmp_gt_i16_sdwa s[6:7], v21, s19 src0_sel:BYTE_0 src1_sel:DWORD
	s_mov_b64 s[0:1], 0
                                        ; implicit-def: $sgpr10
	s_and_saveexec_b64 s[8:9], s[6:7]
	s_xor_b64 s[6:7], exec, s[8:9]
	s_cbranch_execnz .LBB263_846
; %bb.615:                              ;   in Loop: Header=BB263_495 Depth=1
	s_or_saveexec_b64 s[6:7], s[6:7]
	v_mov_b32_e32 v2, s10
	s_xor_b64 exec, exec, s[6:7]
	s_cbranch_execnz .LBB263_849
.LBB263_616:                            ;   in Loop: Header=BB263_495 Depth=1
	s_or_b64 exec, exec, s[6:7]
	v_mov_b32_e32 v4, v21
	s_and_saveexec_b64 s[6:7], s[0:1]
	s_cbranch_execz .LBB263_618
.LBB263_617:                            ;   in Loop: Header=BB263_495 Depth=1
	v_and_b32_e32 v2, 7, v21
	v_ffbh_u32_e32 v2, v2
	v_bfe_u32 v12, v21, 3, 4
	v_min_u32_e32 v2, 32, v2
	v_subrev_u32_e32 v17, 28, v2
	v_sub_u32_e32 v2, 29, v2
	v_cmp_eq_u32_e64 s[0:1], 0, v12
	s_nop 1
	v_cndmask_b32_e64 v2, v12, v2, s[0:1]
	v_cndmask_b32_e64 v12, 0, v17, s[0:1]
	v_lshlrev_b64 v[22:23], v12, v[4:5]
	v_lshlrev_b32_e32 v17, 8, v21
	v_lshl_add_u32 v2, v2, 10, v40
	v_lshlrev_b32_e32 v12, 7, v22
	v_and_or_b32 v2, v17, s25, v2
	v_and_or_b32 v2, v12, s26, v2
	v_cvt_f32_f16_e32 v2, v2
.LBB263_618:                            ;   in Loop: Header=BB263_495 Depth=1
	s_or_b64 exec, exec, s[6:7]
	v_lshrrev_b16_e32 v4, 8, v4
	v_cmp_lt_i16_e64 s[0:1], s19, v4
	s_mov_b64 s[6:7], 0
                                        ; implicit-def: $sgpr30
	s_and_saveexec_b64 s[8:9], s[0:1]
	s_xor_b64 s[8:9], exec, s[8:9]
	s_cbranch_execnz .LBB263_850
; %bb.619:                              ;   in Loop: Header=BB263_495 Depth=1
	s_or_saveexec_b64 s[8:9], s[8:9]
	v_mov_b32_e32 v17, s30
	s_xor_b64 exec, exec, s[8:9]
	s_cbranch_execnz .LBB263_853
.LBB263_620:                            ;   in Loop: Header=BB263_495 Depth=1
	s_or_b64 exec, exec, s[8:9]
	s_and_saveexec_b64 s[8:9], s[6:7]
	s_cbranch_execz .LBB263_622
.LBB263_621:                            ;   in Loop: Header=BB263_495 Depth=1
	v_and_b32_e32 v12, 7, v4
	v_ffbh_u32_e32 v18, v12
	v_bfe_u32 v17, v4, 3, 4
	v_min_u32_e32 v18, 32, v18
	v_subrev_u32_e32 v19, 28, v18
	v_sub_u32_e32 v18, 29, v18
	v_cmp_eq_u32_e64 s[0:1], 0, v17
	v_lshlrev_b64 v[22:23], v19, v[4:5]
	v_and_b32_e32 v19, 7, v22
	v_cndmask_b32_e64 v17, v17, v18, s[0:1]
	v_lshlrev_b32_e32 v4, 8, v4
	v_lshl_add_u32 v17, v17, 10, v40
	v_cndmask_b32_e64 v12, v12, v19, s[0:1]
	v_and_or_b32 v4, v4, s25, v17
	v_lshl_or_b32 v4, v12, 7, v4
	v_cvt_f32_f16_e32 v17, v4
.LBB263_622:                            ;   in Loop: Header=BB263_495 Depth=1
	s_or_b64 exec, exec, s[8:9]
	v_lshrrev_b32_e32 v4, 16, v21
	v_cmp_gt_i16_sdwa s[6:7], v4, s19 src0_sel:BYTE_0 src1_sel:DWORD
	s_mov_b64 s[0:1], 0
                                        ; implicit-def: $sgpr10
	s_and_saveexec_b64 s[8:9], s[6:7]
	s_xor_b64 s[6:7], exec, s[8:9]
	s_cbranch_execnz .LBB263_854
; %bb.623:                              ;   in Loop: Header=BB263_495 Depth=1
	s_or_saveexec_b64 s[6:7], s[6:7]
	v_mov_b32_e32 v18, s10
	s_xor_b64 exec, exec, s[6:7]
	s_cbranch_execnz .LBB263_857
.LBB263_624:                            ;   in Loop: Header=BB263_495 Depth=1
	s_or_b64 exec, exec, s[6:7]
	s_and_saveexec_b64 s[6:7], s[0:1]
	s_cbranch_execz .LBB263_626
.LBB263_625:                            ;   in Loop: Header=BB263_495 Depth=1
	v_bfe_u32 v12, v21, 16, 3
	v_ffbh_u32_e32 v19, v12
	v_bfe_u32 v18, v21, 19, 4
	v_min_u32_e32 v19, 32, v19
	v_subrev_u32_e32 v20, 28, v19
	v_sub_u32_e32 v19, 29, v19
	v_cmp_eq_u32_e64 s[0:1], 0, v18
	v_lshlrev_b64 v[22:23], v20, v[4:5]
	v_and_b32_e32 v20, 7, v22
	v_cndmask_b32_e64 v18, v18, v19, s[0:1]
	v_lshlrev_b32_e32 v4, 8, v4
	v_lshl_add_u32 v18, v18, 10, v40
	v_cndmask_b32_e64 v12, v12, v20, s[0:1]
	v_and_or_b32 v4, v4, s25, v18
	v_lshl_or_b32 v4, v12, 7, v4
	v_cvt_f32_f16_e32 v18, v4
.LBB263_626:                            ;   in Loop: Header=BB263_495 Depth=1
	s_or_b64 exec, exec, s[6:7]
	v_lshrrev_b32_e32 v4, 24, v21
	v_cmp_lt_i16_e64 s[0:1], s19, v4
	s_mov_b64 s[6:7], 0
                                        ; implicit-def: $sgpr30
	s_and_saveexec_b64 s[8:9], s[0:1]
	s_xor_b64 s[8:9], exec, s[8:9]
	s_cbranch_execnz .LBB263_858
; %bb.627:                              ;   in Loop: Header=BB263_495 Depth=1
	s_or_saveexec_b64 s[8:9], s[8:9]
	v_mov_b32_e32 v22, s30
	s_xor_b64 exec, exec, s[8:9]
	s_cbranch_execnz .LBB263_861
.LBB263_628:                            ;   in Loop: Header=BB263_495 Depth=1
	s_or_b64 exec, exec, s[8:9]
	s_and_saveexec_b64 s[8:9], s[6:7]
	s_cbranch_execz .LBB263_630
.LBB263_629:                            ;   in Loop: Header=BB263_495 Depth=1
	v_bfe_u32 v12, v21, 24, 3
	v_ffbh_u32_e32 v20, v12
	v_min_u32_e32 v22, 32, v20
	v_subrev_u32_e32 v20, 28, v22
	v_bfe_u32 v19, v21, 27, 4
	v_lshlrev_b64 v[20:21], v20, v[4:5]
	v_sub_u32_e32 v21, 29, v22
	v_cmp_eq_u32_e64 s[0:1], 0, v19
	v_and_b32_e32 v20, 7, v20
	v_lshlrev_b32_e32 v4, 8, v4
	v_cndmask_b32_e64 v19, v19, v21, s[0:1]
	v_lshl_add_u32 v19, v19, 10, v40
	v_cndmask_b32_e64 v12, v12, v20, s[0:1]
	v_and_or_b32 v4, v4, s25, v19
	v_lshl_or_b32 v4, v12, 7, v4
	v_cvt_f32_f16_e32 v22, v4
.LBB263_630:                            ;   in Loop: Header=BB263_495 Depth=1
	s_or_b64 exec, exec, s[8:9]
	s_waitcnt vmcnt(0) lgkmcnt(0)
	v_pk_mul_f32 v[20:21], v[16:17], v[26:27] op_sel_hi:[0,1]
	v_pk_mul_f32 v[24:25], v[16:17], v[24:25] op_sel_hi:[0,1]
	v_cvt_f16_f32_e32 v4, v21
	v_cvt_f16_f32_e32 v12, v20
	;; [unrolled: 1-line block ×4, first 2 shown]
	v_fma_mixlo_f16 v2, v16, v2, 0
	v_pack_b32_f16 v12, v12, v4
	v_pack_b32_f16 v19, v20, v19
	v_perm_b32 v4, v19, v12, s27
	v_perm_b32 v20, v19, v12, s28
	v_fma_mixlo_f16 v12, v16, v17, 0
	v_lshlrev_b32_e32 v12, 16, v12
	v_or_b32_sdwa v2, v12, v2 dst_sel:DWORD dst_unused:UNUSED_PAD src0_sel:DWORD src1_sel:WORD_0
	v_fma_mixlo_f16 v12, v16, v22, 0
	v_fma_mixlo_f16 v17, v16, v18, 0
	v_lshlrev_b32_e32 v12, 16, v12
	v_or_b32_sdwa v16, v12, v17 dst_sel:DWORD dst_unused:UNUSED_PAD src0_sel:DWORD src1_sel:WORD_0
	s_and_saveexec_b64 s[6:7], vcc
	s_cbranch_execz .LBB263_632
; %bb.631:                              ;   in Loop: Header=BB263_495 Depth=1
	v_lshrrev_b32_e32 v12, 16, v20
	v_cmp_lt_i32_e64 s[0:1], v56, v3
	v_accvgpr_read_b32 v22, a8
	s_nop 0
	v_cndmask_b32_e64 v12, 0, v12, s[0:1]
	v_cmp_lt_i32_e64 s[0:1], v43, v22
	s_nop 1
	v_cndmask_b32_e64 v18, 0, v20, s[0:1]
	v_perm_b32 v20, v12, v18, s29
	v_lshrrev_b32_e32 v12, 16, v4
	v_cmp_lt_i32_e64 s[0:1], v47, v3
	s_nop 1
	v_cndmask_b32_e64 v12, 0, v12, s[0:1]
	v_cmp_lt_i32_e64 s[0:1], v46, v22
	s_nop 1
	v_cndmask_b32_e64 v4, 0, v4, s[0:1]
	v_perm_b32 v4, v12, v4, s29
	v_lshrrev_b32_e32 v12, 16, v2
	v_cmp_lt_i32_e64 s[0:1], v45, v3
	;; [unrolled: 8-line block ×3, first 2 shown]
	s_nop 1
	v_cndmask_b32_e64 v12, 0, v12, s[0:1]
	v_cmp_lt_i32_e64 s[0:1], v41, v22
	s_nop 1
	v_cndmask_b32_e64 v16, 0, v17, s[0:1]
	v_perm_b32 v16, v12, v16, s29
.LBB263_632:                            ;   in Loop: Header=BB263_495 Depth=1
	s_or_b64 exec, exec, s[6:7]
	;;#ASMSTART
	v_pk_mul_f16 v12, v60, v20;

	;;#ASMEND
	;;#ASMSTART
	v_pk_mul_f16 v4, v59, v4;

	;;#ASMEND
	;;#ASMSTART
	v_pk_mul_f16 v2, v58, v2;

	;;#ASMEND
	;;#ASMSTART
	v_pk_mul_f16 v16, v57, v16;

	;;#ASMEND
	s_mov_b64 s[0:1], 0
	;;#ASMSTART
	v_pk_add_f16 v4, v12, v4;

	;;#ASMEND
                                        ; implicit-def: $sgpr10
	s_nop 0
	;;#ASMSTART
	v_pk_add_f16 v2, v4, v2;

	;;#ASMEND
	s_nop 0
	;;#ASMSTART
	v_pk_add_f16 v2, v2, v16;

	;;#ASMEND
	v_accvgpr_read_b32 v17, a5
	v_lshrrev_b32_e32 v4, 16, v2
	v_and_b32_e32 v2, 0xffff, v2
	;;#ASMSTART
	v_cvt_f32_f16 v38, v2;
	;;#ASMEND
	;;#ASMSTART
	v_cvt_f32_f16 v50, v4;
	;;#ASMEND
	flat_load_dwordx2 v[20:21], v[14:15] offset:2048
	v_accvgpr_read_b32 v16, a4
	flat_load_dword v16, v[16:17]
	s_waitcnt vmcnt(0) lgkmcnt(0)
	v_cmp_gt_i16_sdwa s[6:7], v20, s19 src0_sel:BYTE_0 src1_sel:DWORD
	s_and_saveexec_b64 s[8:9], s[6:7]
	s_xor_b64 s[6:7], exec, s[8:9]
	s_cbranch_execnz .LBB263_862
; %bb.633:                              ;   in Loop: Header=BB263_495 Depth=1
	s_or_saveexec_b64 s[6:7], s[6:7]
	v_mov_b32_e32 v24, s10
	s_xor_b64 exec, exec, s[6:7]
	s_cbranch_execnz .LBB263_865
.LBB263_634:                            ;   in Loop: Header=BB263_495 Depth=1
	s_or_b64 exec, exec, s[6:7]
	s_and_saveexec_b64 s[6:7], s[0:1]
	s_cbranch_execz .LBB263_636
.LBB263_635:                            ;   in Loop: Header=BB263_495 Depth=1
	v_and_b32_e32 v2, 7, v20
	v_ffbh_u32_e32 v2, v2
	v_bfe_u32 v4, v20, 3, 4
	v_min_u32_e32 v2, 32, v2
	v_subrev_u32_e32 v12, 28, v2
	v_sub_u32_e32 v2, 29, v2
	v_cmp_eq_u32_e64 s[0:1], 0, v4
	s_nop 1
	v_cndmask_b32_e64 v2, v4, v2, s[0:1]
	v_cndmask_b32_e64 v4, 0, v12, s[0:1]
	v_lshlrev_b64 v[22:23], v4, v[20:21]
	v_lshlrev_b32_e32 v12, 8, v20
	v_lshl_add_u32 v2, v2, 10, v40
	v_lshlrev_b32_e32 v4, 7, v22
	v_and_or_b32 v2, v12, s25, v2
	v_and_or_b32 v2, v4, s26, v2
	v_cvt_f32_f16_e32 v24, v2
.LBB263_636:                            ;   in Loop: Header=BB263_495 Depth=1
	s_or_b64 exec, exec, s[6:7]
	v_lshrrev_b16_e32 v4, 8, v20
	v_cmp_lt_i16_e64 s[0:1], s19, v4
	s_mov_b64 s[6:7], 0
                                        ; implicit-def: $sgpr30
	s_and_saveexec_b64 s[8:9], s[0:1]
	s_xor_b64 s[8:9], exec, s[8:9]
	s_cbranch_execnz .LBB263_866
; %bb.637:                              ;   in Loop: Header=BB263_495 Depth=1
	s_or_saveexec_b64 s[8:9], s[8:9]
	v_mov_b32_e32 v26, s30
	s_xor_b64 exec, exec, s[8:9]
	s_cbranch_execnz .LBB263_869
.LBB263_638:                            ;   in Loop: Header=BB263_495 Depth=1
	s_or_b64 exec, exec, s[8:9]
	s_and_saveexec_b64 s[8:9], s[6:7]
	s_cbranch_execz .LBB263_640
.LBB263_639:                            ;   in Loop: Header=BB263_495 Depth=1
	v_and_b32_e32 v2, 7, v4
	v_ffbh_u32_e32 v17, v2
	v_bfe_u32 v12, v4, 3, 4
	v_min_u32_e32 v17, 32, v17
	v_subrev_u32_e32 v18, 28, v17
	v_sub_u32_e32 v17, 29, v17
	v_cmp_eq_u32_e64 s[0:1], 0, v12
	v_lshlrev_b64 v[22:23], v18, v[4:5]
	v_and_b32_e32 v18, 7, v22
	v_cndmask_b32_e64 v12, v12, v17, s[0:1]
	v_lshlrev_b32_e32 v4, 8, v4
	v_lshl_add_u32 v12, v12, 10, v40
	v_cndmask_b32_e64 v2, v2, v18, s[0:1]
	v_and_or_b32 v4, v4, s25, v12
	v_lshl_or_b32 v2, v2, 7, v4
	v_cvt_f32_f16_e32 v26, v2
.LBB263_640:                            ;   in Loop: Header=BB263_495 Depth=1
	s_or_b64 exec, exec, s[8:9]
	v_lshrrev_b32_e32 v4, 16, v20
	v_cmp_gt_i16_sdwa s[6:7], v4, s19 src0_sel:BYTE_0 src1_sel:DWORD
	s_mov_b64 s[0:1], 0
                                        ; implicit-def: $sgpr10
	s_and_saveexec_b64 s[8:9], s[6:7]
	s_xor_b64 s[6:7], exec, s[8:9]
	s_cbranch_execnz .LBB263_870
; %bb.641:                              ;   in Loop: Header=BB263_495 Depth=1
	s_or_saveexec_b64 s[6:7], s[6:7]
	v_mov_b32_e32 v25, s10
	s_xor_b64 exec, exec, s[6:7]
	s_cbranch_execnz .LBB263_873
.LBB263_642:                            ;   in Loop: Header=BB263_495 Depth=1
	s_or_b64 exec, exec, s[6:7]
	s_and_saveexec_b64 s[6:7], s[0:1]
	s_cbranch_execz .LBB263_644
.LBB263_643:                            ;   in Loop: Header=BB263_495 Depth=1
	v_bfe_u32 v2, v20, 16, 3
	v_ffbh_u32_e32 v17, v2
	v_bfe_u32 v12, v20, 19, 4
	v_min_u32_e32 v17, 32, v17
	v_subrev_u32_e32 v18, 28, v17
	v_sub_u32_e32 v17, 29, v17
	v_cmp_eq_u32_e64 s[0:1], 0, v12
	v_lshlrev_b64 v[22:23], v18, v[4:5]
	v_and_b32_e32 v18, 7, v22
	v_cndmask_b32_e64 v12, v12, v17, s[0:1]
	v_lshlrev_b32_e32 v4, 8, v4
	v_lshl_add_u32 v12, v12, 10, v40
	v_cndmask_b32_e64 v2, v2, v18, s[0:1]
	v_and_or_b32 v4, v4, s25, v12
	v_lshl_or_b32 v2, v2, 7, v4
	v_cvt_f32_f16_e32 v25, v2
.LBB263_644:                            ;   in Loop: Header=BB263_495 Depth=1
	s_or_b64 exec, exec, s[6:7]
	v_lshrrev_b32_e32 v4, 24, v20
	v_cmp_lt_i16_e64 s[0:1], s19, v4
	s_mov_b64 s[6:7], 0
                                        ; implicit-def: $sgpr30
	s_and_saveexec_b64 s[8:9], s[0:1]
	s_xor_b64 s[8:9], exec, s[8:9]
	s_cbranch_execnz .LBB263_874
; %bb.645:                              ;   in Loop: Header=BB263_495 Depth=1
	s_or_saveexec_b64 s[8:9], s[8:9]
	v_mov_b32_e32 v27, s30
	s_xor_b64 exec, exec, s[8:9]
	s_cbranch_execnz .LBB263_877
.LBB263_646:                            ;   in Loop: Header=BB263_495 Depth=1
	s_or_b64 exec, exec, s[8:9]
	s_and_saveexec_b64 s[8:9], s[6:7]
	s_cbranch_execz .LBB263_648
.LBB263_647:                            ;   in Loop: Header=BB263_495 Depth=1
	v_bfe_u32 v2, v20, 24, 3
	v_ffbh_u32_e32 v17, v2
	v_bfe_u32 v12, v20, 27, 4
	v_min_u32_e32 v17, 32, v17
	v_subrev_u32_e32 v18, 28, v17
	v_sub_u32_e32 v17, 29, v17
	v_cmp_eq_u32_e64 s[0:1], 0, v12
	v_lshlrev_b64 v[22:23], v18, v[4:5]
	v_and_b32_e32 v18, 7, v22
	v_cndmask_b32_e64 v12, v12, v17, s[0:1]
	v_lshlrev_b32_e32 v4, 8, v4
	v_lshl_add_u32 v12, v12, 10, v40
	v_cndmask_b32_e64 v2, v2, v18, s[0:1]
	v_and_or_b32 v4, v4, s25, v12
	v_lshl_or_b32 v2, v2, 7, v4
	v_cvt_f32_f16_e32 v27, v2
.LBB263_648:                            ;   in Loop: Header=BB263_495 Depth=1
	s_or_b64 exec, exec, s[8:9]
	v_cmp_gt_i16_sdwa s[6:7], v21, s19 src0_sel:BYTE_0 src1_sel:DWORD
	s_mov_b64 s[0:1], 0
                                        ; implicit-def: $sgpr10
	s_and_saveexec_b64 s[8:9], s[6:7]
	s_xor_b64 s[6:7], exec, s[8:9]
	s_cbranch_execnz .LBB263_878
; %bb.649:                              ;   in Loop: Header=BB263_495 Depth=1
	s_or_saveexec_b64 s[6:7], s[6:7]
	v_mov_b32_e32 v2, s10
	s_xor_b64 exec, exec, s[6:7]
	s_cbranch_execnz .LBB263_881
.LBB263_650:                            ;   in Loop: Header=BB263_495 Depth=1
	s_or_b64 exec, exec, s[6:7]
	v_mov_b32_e32 v4, v21
	s_and_saveexec_b64 s[6:7], s[0:1]
	s_cbranch_execz .LBB263_652
.LBB263_651:                            ;   in Loop: Header=BB263_495 Depth=1
	v_and_b32_e32 v2, 7, v21
	v_ffbh_u32_e32 v2, v2
	v_bfe_u32 v12, v21, 3, 4
	v_min_u32_e32 v2, 32, v2
	v_subrev_u32_e32 v17, 28, v2
	v_sub_u32_e32 v2, 29, v2
	v_cmp_eq_u32_e64 s[0:1], 0, v12
	s_nop 1
	v_cndmask_b32_e64 v2, v12, v2, s[0:1]
	v_cndmask_b32_e64 v12, 0, v17, s[0:1]
	v_lshlrev_b64 v[22:23], v12, v[4:5]
	v_lshlrev_b32_e32 v17, 8, v21
	v_lshl_add_u32 v2, v2, 10, v40
	v_lshlrev_b32_e32 v12, 7, v22
	v_and_or_b32 v2, v17, s25, v2
	v_and_or_b32 v2, v12, s26, v2
	v_cvt_f32_f16_e32 v2, v2
.LBB263_652:                            ;   in Loop: Header=BB263_495 Depth=1
	s_or_b64 exec, exec, s[6:7]
	v_lshrrev_b16_e32 v4, 8, v4
	v_cmp_lt_i16_e64 s[0:1], s19, v4
	s_mov_b64 s[6:7], 0
                                        ; implicit-def: $sgpr30
	s_and_saveexec_b64 s[8:9], s[0:1]
	s_xor_b64 s[8:9], exec, s[8:9]
	s_cbranch_execnz .LBB263_882
; %bb.653:                              ;   in Loop: Header=BB263_495 Depth=1
	s_or_saveexec_b64 s[8:9], s[8:9]
	v_mov_b32_e32 v17, s30
	s_xor_b64 exec, exec, s[8:9]
	s_cbranch_execnz .LBB263_885
.LBB263_654:                            ;   in Loop: Header=BB263_495 Depth=1
	s_or_b64 exec, exec, s[8:9]
	s_and_saveexec_b64 s[8:9], s[6:7]
	s_cbranch_execz .LBB263_656
.LBB263_655:                            ;   in Loop: Header=BB263_495 Depth=1
	v_and_b32_e32 v12, 7, v4
	v_ffbh_u32_e32 v18, v12
	v_bfe_u32 v17, v4, 3, 4
	v_min_u32_e32 v18, 32, v18
	v_subrev_u32_e32 v19, 28, v18
	v_sub_u32_e32 v18, 29, v18
	v_cmp_eq_u32_e64 s[0:1], 0, v17
	v_lshlrev_b64 v[22:23], v19, v[4:5]
	v_and_b32_e32 v19, 7, v22
	v_cndmask_b32_e64 v17, v17, v18, s[0:1]
	v_lshlrev_b32_e32 v4, 8, v4
	v_lshl_add_u32 v17, v17, 10, v40
	v_cndmask_b32_e64 v12, v12, v19, s[0:1]
	v_and_or_b32 v4, v4, s25, v17
	v_lshl_or_b32 v4, v12, 7, v4
	v_cvt_f32_f16_e32 v17, v4
.LBB263_656:                            ;   in Loop: Header=BB263_495 Depth=1
	s_or_b64 exec, exec, s[8:9]
	v_lshrrev_b32_e32 v4, 16, v21
	v_cmp_gt_i16_sdwa s[6:7], v4, s19 src0_sel:BYTE_0 src1_sel:DWORD
	s_mov_b64 s[0:1], 0
                                        ; implicit-def: $sgpr10
	s_and_saveexec_b64 s[8:9], s[6:7]
	s_xor_b64 s[6:7], exec, s[8:9]
	s_cbranch_execnz .LBB263_886
; %bb.657:                              ;   in Loop: Header=BB263_495 Depth=1
	s_or_saveexec_b64 s[6:7], s[6:7]
	v_mov_b32_e32 v18, s10
	s_xor_b64 exec, exec, s[6:7]
	s_cbranch_execnz .LBB263_889
.LBB263_658:                            ;   in Loop: Header=BB263_495 Depth=1
	s_or_b64 exec, exec, s[6:7]
	s_and_saveexec_b64 s[6:7], s[0:1]
	s_cbranch_execz .LBB263_660
.LBB263_659:                            ;   in Loop: Header=BB263_495 Depth=1
	v_bfe_u32 v12, v21, 16, 3
	v_ffbh_u32_e32 v19, v12
	v_bfe_u32 v18, v21, 19, 4
	v_min_u32_e32 v19, 32, v19
	v_subrev_u32_e32 v20, 28, v19
	v_sub_u32_e32 v19, 29, v19
	v_cmp_eq_u32_e64 s[0:1], 0, v18
	v_lshlrev_b64 v[22:23], v20, v[4:5]
	v_and_b32_e32 v20, 7, v22
	v_cndmask_b32_e64 v18, v18, v19, s[0:1]
	v_lshlrev_b32_e32 v4, 8, v4
	v_lshl_add_u32 v18, v18, 10, v40
	v_cndmask_b32_e64 v12, v12, v20, s[0:1]
	v_and_or_b32 v4, v4, s25, v18
	v_lshl_or_b32 v4, v12, 7, v4
	v_cvt_f32_f16_e32 v18, v4
.LBB263_660:                            ;   in Loop: Header=BB263_495 Depth=1
	s_or_b64 exec, exec, s[6:7]
	v_lshrrev_b32_e32 v4, 24, v21
	v_cmp_lt_i16_e64 s[0:1], s19, v4
	s_mov_b64 s[6:7], 0
                                        ; implicit-def: $sgpr30
	s_and_saveexec_b64 s[8:9], s[0:1]
	s_xor_b64 s[8:9], exec, s[8:9]
	s_cbranch_execnz .LBB263_890
; %bb.661:                              ;   in Loop: Header=BB263_495 Depth=1
	s_or_saveexec_b64 s[8:9], s[8:9]
	v_mov_b32_e32 v22, s30
	s_xor_b64 exec, exec, s[8:9]
	s_cbranch_execnz .LBB263_893
.LBB263_662:                            ;   in Loop: Header=BB263_495 Depth=1
	s_or_b64 exec, exec, s[8:9]
	s_and_saveexec_b64 s[8:9], s[6:7]
	s_cbranch_execz .LBB263_664
.LBB263_663:                            ;   in Loop: Header=BB263_495 Depth=1
	v_bfe_u32 v12, v21, 24, 3
	v_ffbh_u32_e32 v20, v12
	v_min_u32_e32 v22, 32, v20
	v_subrev_u32_e32 v20, 28, v22
	v_bfe_u32 v19, v21, 27, 4
	v_lshlrev_b64 v[20:21], v20, v[4:5]
	v_sub_u32_e32 v21, 29, v22
	v_cmp_eq_u32_e64 s[0:1], 0, v19
	v_and_b32_e32 v20, 7, v20
	v_lshlrev_b32_e32 v4, 8, v4
	v_cndmask_b32_e64 v19, v19, v21, s[0:1]
	v_lshl_add_u32 v19, v19, 10, v40
	v_cndmask_b32_e64 v12, v12, v20, s[0:1]
	v_and_or_b32 v4, v4, s25, v19
	v_lshl_or_b32 v4, v12, 7, v4
	v_cvt_f32_f16_e32 v22, v4
.LBB263_664:                            ;   in Loop: Header=BB263_495 Depth=1
	s_or_b64 exec, exec, s[8:9]
	v_pk_mul_f32 v[20:21], v[16:17], v[26:27] op_sel_hi:[0,1]
	v_pk_mul_f32 v[24:25], v[16:17], v[24:25] op_sel_hi:[0,1]
	v_cvt_f16_f32_e32 v4, v21
	v_cvt_f16_f32_e32 v12, v20
	v_cvt_f16_f32_e32 v19, v25
	v_cvt_f16_f32_e32 v20, v24
	v_fma_mixlo_f16 v2, v16, v2, 0
	v_pack_b32_f16 v12, v12, v4
	v_pack_b32_f16 v19, v20, v19
	v_perm_b32 v4, v19, v12, s27
	v_perm_b32 v20, v19, v12, s28
	v_fma_mixlo_f16 v12, v16, v17, 0
	v_lshlrev_b32_e32 v12, 16, v12
	v_or_b32_sdwa v2, v12, v2 dst_sel:DWORD dst_unused:UNUSED_PAD src0_sel:DWORD src1_sel:WORD_0
	v_fma_mixlo_f16 v12, v16, v22, 0
	v_fma_mixlo_f16 v17, v16, v18, 0
	v_lshlrev_b32_e32 v12, 16, v12
	v_or_b32_sdwa v16, v12, v17 dst_sel:DWORD dst_unused:UNUSED_PAD src0_sel:DWORD src1_sel:WORD_0
	s_and_saveexec_b64 s[6:7], vcc
	s_cbranch_execz .LBB263_666
; %bb.665:                              ;   in Loop: Header=BB263_495 Depth=1
	v_lshrrev_b32_e32 v12, 16, v20
	v_cmp_lt_i32_e64 s[0:1], v56, v3
	v_accvgpr_read_b32 v22, a8
	s_nop 0
	v_cndmask_b32_e64 v12, 0, v12, s[0:1]
	v_cmp_lt_i32_e64 s[0:1], v43, v22
	s_nop 1
	v_cndmask_b32_e64 v18, 0, v20, s[0:1]
	v_perm_b32 v20, v12, v18, s29
	v_lshrrev_b32_e32 v12, 16, v4
	v_cmp_lt_i32_e64 s[0:1], v47, v3
	s_nop 1
	v_cndmask_b32_e64 v12, 0, v12, s[0:1]
	v_cmp_lt_i32_e64 s[0:1], v46, v22
	s_nop 1
	v_cndmask_b32_e64 v4, 0, v4, s[0:1]
	v_perm_b32 v4, v12, v4, s29
	v_lshrrev_b32_e32 v12, 16, v2
	v_cmp_lt_i32_e64 s[0:1], v45, v3
	;; [unrolled: 8-line block ×3, first 2 shown]
	s_nop 1
	v_cndmask_b32_e64 v12, 0, v12, s[0:1]
	v_cmp_lt_i32_e64 s[0:1], v41, v22
	s_nop 1
	v_cndmask_b32_e64 v16, 0, v17, s[0:1]
	v_perm_b32 v16, v12, v16, s29
.LBB263_666:                            ;   in Loop: Header=BB263_495 Depth=1
	s_or_b64 exec, exec, s[6:7]
	;;#ASMSTART
	v_pk_mul_f16 v12, v60, v20;

	;;#ASMEND
	;;#ASMSTART
	v_pk_mul_f16 v4, v59, v4;

	;;#ASMEND
	;; [unrolled: 4-line block ×4, first 2 shown]
	s_mov_b64 s[0:1], 0
	;;#ASMSTART
	v_pk_add_f16 v4, v12, v4;

	;;#ASMEND
                                        ; implicit-def: $sgpr10
	s_nop 0
	;;#ASMSTART
	v_pk_add_f16 v2, v4, v2;

	;;#ASMEND
	s_nop 0
	;;#ASMSTART
	v_pk_add_f16 v2, v2, v16;

	;;#ASMEND
	v_accvgpr_read_b32 v17, a5
	v_lshrrev_b32_e32 v4, 16, v2
	v_and_b32_e32 v2, 0xffff, v2
	;;#ASMSTART
	v_cvt_f32_f16 v18, v2;
	;;#ASMEND
	;;#ASMSTART
	v_cvt_f32_f16 v48, v4;
	;;#ASMEND
	flat_load_dwordx2 v[20:21], v[14:15] offset:2560
	v_accvgpr_read_b32 v16, a4
	flat_load_dword v16, v[16:17]
	s_waitcnt vmcnt(0) lgkmcnt(0)
	v_cmp_gt_i16_sdwa s[6:7], v20, s19 src0_sel:BYTE_0 src1_sel:DWORD
	s_and_saveexec_b64 s[8:9], s[6:7]
	s_xor_b64 s[6:7], exec, s[8:9]
	s_cbranch_execnz .LBB263_894
; %bb.667:                              ;   in Loop: Header=BB263_495 Depth=1
	s_or_saveexec_b64 s[6:7], s[6:7]
	v_mov_b32_e32 v24, s10
	s_xor_b64 exec, exec, s[6:7]
	s_cbranch_execnz .LBB263_897
.LBB263_668:                            ;   in Loop: Header=BB263_495 Depth=1
	s_or_b64 exec, exec, s[6:7]
	s_and_saveexec_b64 s[6:7], s[0:1]
	s_cbranch_execz .LBB263_670
.LBB263_669:                            ;   in Loop: Header=BB263_495 Depth=1
	v_and_b32_e32 v2, 7, v20
	v_ffbh_u32_e32 v2, v2
	v_bfe_u32 v4, v20, 3, 4
	v_min_u32_e32 v2, 32, v2
	v_subrev_u32_e32 v12, 28, v2
	v_sub_u32_e32 v2, 29, v2
	v_cmp_eq_u32_e64 s[0:1], 0, v4
	s_nop 1
	v_cndmask_b32_e64 v2, v4, v2, s[0:1]
	v_cndmask_b32_e64 v4, 0, v12, s[0:1]
	v_lshlrev_b64 v[22:23], v4, v[20:21]
	v_lshlrev_b32_e32 v12, 8, v20
	v_lshl_add_u32 v2, v2, 10, v40
	v_lshlrev_b32_e32 v4, 7, v22
	v_and_or_b32 v2, v12, s25, v2
	v_and_or_b32 v2, v4, s26, v2
	v_cvt_f32_f16_e32 v24, v2
.LBB263_670:                            ;   in Loop: Header=BB263_495 Depth=1
	s_or_b64 exec, exec, s[6:7]
	v_lshrrev_b16_e32 v4, 8, v20
	v_cmp_lt_i16_e64 s[0:1], s19, v4
	s_mov_b64 s[6:7], 0
                                        ; implicit-def: $sgpr30
	s_and_saveexec_b64 s[8:9], s[0:1]
	s_xor_b64 s[8:9], exec, s[8:9]
	s_cbranch_execnz .LBB263_898
; %bb.671:                              ;   in Loop: Header=BB263_495 Depth=1
	s_or_saveexec_b64 s[8:9], s[8:9]
	v_mov_b32_e32 v26, s30
	s_xor_b64 exec, exec, s[8:9]
	s_cbranch_execnz .LBB263_901
.LBB263_672:                            ;   in Loop: Header=BB263_495 Depth=1
	s_or_b64 exec, exec, s[8:9]
	s_and_saveexec_b64 s[8:9], s[6:7]
	s_cbranch_execz .LBB263_674
.LBB263_673:                            ;   in Loop: Header=BB263_495 Depth=1
	v_and_b32_e32 v2, 7, v4
	v_ffbh_u32_e32 v17, v2
	v_bfe_u32 v12, v4, 3, 4
	v_min_u32_e32 v17, 32, v17
	v_subrev_u32_e32 v19, 28, v17
	v_sub_u32_e32 v17, 29, v17
	v_cmp_eq_u32_e64 s[0:1], 0, v12
	v_lshlrev_b64 v[22:23], v19, v[4:5]
	v_and_b32_e32 v19, 7, v22
	v_cndmask_b32_e64 v12, v12, v17, s[0:1]
	v_lshlrev_b32_e32 v4, 8, v4
	v_lshl_add_u32 v12, v12, 10, v40
	v_cndmask_b32_e64 v2, v2, v19, s[0:1]
	v_and_or_b32 v4, v4, s25, v12
	v_lshl_or_b32 v2, v2, 7, v4
	v_cvt_f32_f16_e32 v26, v2
.LBB263_674:                            ;   in Loop: Header=BB263_495 Depth=1
	s_or_b64 exec, exec, s[8:9]
	v_lshrrev_b32_e32 v4, 16, v20
	v_cmp_gt_i16_sdwa s[6:7], v4, s19 src0_sel:BYTE_0 src1_sel:DWORD
	s_mov_b64 s[0:1], 0
                                        ; implicit-def: $sgpr10
	s_and_saveexec_b64 s[8:9], s[6:7]
	s_xor_b64 s[6:7], exec, s[8:9]
	s_cbranch_execnz .LBB263_902
; %bb.675:                              ;   in Loop: Header=BB263_495 Depth=1
	s_or_saveexec_b64 s[6:7], s[6:7]
	v_mov_b32_e32 v25, s10
	s_xor_b64 exec, exec, s[6:7]
	s_cbranch_execnz .LBB263_905
.LBB263_676:                            ;   in Loop: Header=BB263_495 Depth=1
	s_or_b64 exec, exec, s[6:7]
	s_and_saveexec_b64 s[6:7], s[0:1]
	s_cbranch_execz .LBB263_678
.LBB263_677:                            ;   in Loop: Header=BB263_495 Depth=1
	v_bfe_u32 v2, v20, 16, 3
	v_ffbh_u32_e32 v17, v2
	v_bfe_u32 v12, v20, 19, 4
	v_min_u32_e32 v17, 32, v17
	v_subrev_u32_e32 v19, 28, v17
	v_sub_u32_e32 v17, 29, v17
	v_cmp_eq_u32_e64 s[0:1], 0, v12
	v_lshlrev_b64 v[22:23], v19, v[4:5]
	v_and_b32_e32 v19, 7, v22
	v_cndmask_b32_e64 v12, v12, v17, s[0:1]
	v_lshlrev_b32_e32 v4, 8, v4
	v_lshl_add_u32 v12, v12, 10, v40
	v_cndmask_b32_e64 v2, v2, v19, s[0:1]
	v_and_or_b32 v4, v4, s25, v12
	v_lshl_or_b32 v2, v2, 7, v4
	v_cvt_f32_f16_e32 v25, v2
.LBB263_678:                            ;   in Loop: Header=BB263_495 Depth=1
	s_or_b64 exec, exec, s[6:7]
	v_lshrrev_b32_e32 v4, 24, v20
	v_cmp_lt_i16_e64 s[0:1], s19, v4
	s_mov_b64 s[6:7], 0
                                        ; implicit-def: $sgpr30
	s_and_saveexec_b64 s[8:9], s[0:1]
	s_xor_b64 s[8:9], exec, s[8:9]
	s_cbranch_execnz .LBB263_906
; %bb.679:                              ;   in Loop: Header=BB263_495 Depth=1
	s_or_saveexec_b64 s[8:9], s[8:9]
	v_mov_b32_e32 v27, s30
	s_xor_b64 exec, exec, s[8:9]
	s_cbranch_execnz .LBB263_909
.LBB263_680:                            ;   in Loop: Header=BB263_495 Depth=1
	s_or_b64 exec, exec, s[8:9]
	s_and_saveexec_b64 s[8:9], s[6:7]
	s_cbranch_execz .LBB263_682
.LBB263_681:                            ;   in Loop: Header=BB263_495 Depth=1
	v_bfe_u32 v2, v20, 24, 3
	v_ffbh_u32_e32 v17, v2
	v_bfe_u32 v12, v20, 27, 4
	v_min_u32_e32 v17, 32, v17
	v_subrev_u32_e32 v19, 28, v17
	v_sub_u32_e32 v17, 29, v17
	v_cmp_eq_u32_e64 s[0:1], 0, v12
	v_lshlrev_b64 v[22:23], v19, v[4:5]
	v_and_b32_e32 v19, 7, v22
	v_cndmask_b32_e64 v12, v12, v17, s[0:1]
	v_lshlrev_b32_e32 v4, 8, v4
	v_lshl_add_u32 v12, v12, 10, v40
	v_cndmask_b32_e64 v2, v2, v19, s[0:1]
	v_and_or_b32 v4, v4, s25, v12
	v_lshl_or_b32 v2, v2, 7, v4
	v_cvt_f32_f16_e32 v27, v2
.LBB263_682:                            ;   in Loop: Header=BB263_495 Depth=1
	s_or_b64 exec, exec, s[8:9]
	v_cmp_gt_i16_sdwa s[6:7], v21, s19 src0_sel:BYTE_0 src1_sel:DWORD
	s_mov_b64 s[0:1], 0
                                        ; implicit-def: $sgpr10
	s_and_saveexec_b64 s[8:9], s[6:7]
	s_xor_b64 s[6:7], exec, s[8:9]
	s_cbranch_execnz .LBB263_910
; %bb.683:                              ;   in Loop: Header=BB263_495 Depth=1
	s_or_saveexec_b64 s[6:7], s[6:7]
	v_mov_b32_e32 v2, s10
	s_xor_b64 exec, exec, s[6:7]
	s_cbranch_execnz .LBB263_913
.LBB263_684:                            ;   in Loop: Header=BB263_495 Depth=1
	s_or_b64 exec, exec, s[6:7]
	v_mov_b32_e32 v4, v21
	s_and_saveexec_b64 s[6:7], s[0:1]
	s_cbranch_execz .LBB263_686
.LBB263_685:                            ;   in Loop: Header=BB263_495 Depth=1
	v_and_b32_e32 v2, 7, v21
	v_ffbh_u32_e32 v2, v2
	v_bfe_u32 v12, v21, 3, 4
	v_min_u32_e32 v2, 32, v2
	v_subrev_u32_e32 v17, 28, v2
	v_sub_u32_e32 v2, 29, v2
	v_cmp_eq_u32_e64 s[0:1], 0, v12
	s_nop 1
	v_cndmask_b32_e64 v2, v12, v2, s[0:1]
	v_cndmask_b32_e64 v12, 0, v17, s[0:1]
	v_lshlrev_b64 v[22:23], v12, v[4:5]
	v_lshlrev_b32_e32 v17, 8, v21
	v_lshl_add_u32 v2, v2, 10, v40
	v_lshlrev_b32_e32 v12, 7, v22
	v_and_or_b32 v2, v17, s25, v2
	v_and_or_b32 v2, v12, s26, v2
	v_cvt_f32_f16_e32 v2, v2
.LBB263_686:                            ;   in Loop: Header=BB263_495 Depth=1
	s_or_b64 exec, exec, s[6:7]
	v_lshrrev_b16_e32 v4, 8, v4
	v_cmp_lt_i16_e64 s[0:1], s19, v4
	s_mov_b64 s[6:7], 0
                                        ; implicit-def: $sgpr30
	s_and_saveexec_b64 s[8:9], s[0:1]
	s_xor_b64 s[8:9], exec, s[8:9]
	s_cbranch_execnz .LBB263_914
; %bb.687:                              ;   in Loop: Header=BB263_495 Depth=1
	s_or_saveexec_b64 s[8:9], s[8:9]
	v_mov_b32_e32 v17, s30
	s_xor_b64 exec, exec, s[8:9]
	s_cbranch_execnz .LBB263_917
.LBB263_688:                            ;   in Loop: Header=BB263_495 Depth=1
	s_or_b64 exec, exec, s[8:9]
	s_and_saveexec_b64 s[8:9], s[6:7]
	s_cbranch_execz .LBB263_690
.LBB263_689:                            ;   in Loop: Header=BB263_495 Depth=1
	v_and_b32_e32 v12, 7, v4
	v_ffbh_u32_e32 v19, v12
	v_bfe_u32 v17, v4, 3, 4
	v_min_u32_e32 v19, 32, v19
	v_subrev_u32_e32 v20, 28, v19
	v_sub_u32_e32 v19, 29, v19
	v_cmp_eq_u32_e64 s[0:1], 0, v17
	v_lshlrev_b64 v[22:23], v20, v[4:5]
	v_and_b32_e32 v20, 7, v22
	v_cndmask_b32_e64 v17, v17, v19, s[0:1]
	v_lshlrev_b32_e32 v4, 8, v4
	v_lshl_add_u32 v17, v17, 10, v40
	v_cndmask_b32_e64 v12, v12, v20, s[0:1]
	v_and_or_b32 v4, v4, s25, v17
	v_lshl_or_b32 v4, v12, 7, v4
	v_cvt_f32_f16_e32 v17, v4
.LBB263_690:                            ;   in Loop: Header=BB263_495 Depth=1
	s_or_b64 exec, exec, s[8:9]
	v_lshrrev_b32_e32 v4, 16, v21
	v_cmp_gt_i16_sdwa s[6:7], v4, s19 src0_sel:BYTE_0 src1_sel:DWORD
	s_mov_b64 s[0:1], 0
                                        ; implicit-def: $sgpr10
	s_and_saveexec_b64 s[8:9], s[6:7]
	s_xor_b64 s[6:7], exec, s[8:9]
	s_cbranch_execnz .LBB263_918
; %bb.691:                              ;   in Loop: Header=BB263_495 Depth=1
	s_or_saveexec_b64 s[6:7], s[6:7]
	v_mov_b32_e32 v20, s10
	s_xor_b64 exec, exec, s[6:7]
	s_cbranch_execnz .LBB263_921
.LBB263_692:                            ;   in Loop: Header=BB263_495 Depth=1
	s_or_b64 exec, exec, s[6:7]
	s_and_saveexec_b64 s[6:7], s[0:1]
	s_cbranch_execz .LBB263_694
.LBB263_693:                            ;   in Loop: Header=BB263_495 Depth=1
	v_bfe_u32 v12, v21, 16, 3
	v_ffbh_u32_e32 v20, v12
	v_bfe_u32 v19, v21, 19, 4
	v_min_u32_e32 v20, 32, v20
	v_subrev_u32_e32 v22, 28, v20
	v_sub_u32_e32 v20, 29, v20
	v_cmp_eq_u32_e64 s[0:1], 0, v19
	v_lshlrev_b64 v[22:23], v22, v[4:5]
	v_and_b32_e32 v22, 7, v22
	v_cndmask_b32_e64 v19, v19, v20, s[0:1]
	v_lshlrev_b32_e32 v4, 8, v4
	v_lshl_add_u32 v19, v19, 10, v40
	v_cndmask_b32_e64 v12, v12, v22, s[0:1]
	v_and_or_b32 v4, v4, s25, v19
	v_lshl_or_b32 v4, v12, 7, v4
	v_cvt_f32_f16_e32 v20, v4
.LBB263_694:                            ;   in Loop: Header=BB263_495 Depth=1
	s_or_b64 exec, exec, s[6:7]
	v_lshrrev_b32_e32 v4, 24, v21
	v_cmp_lt_i16_e64 s[0:1], s19, v4
	s_mov_b64 s[6:7], 0
                                        ; implicit-def: $sgpr30
	s_and_saveexec_b64 s[8:9], s[0:1]
	s_xor_b64 s[8:9], exec, s[8:9]
	s_cbranch_execnz .LBB263_922
; %bb.695:                              ;   in Loop: Header=BB263_495 Depth=1
	s_or_saveexec_b64 s[8:9], s[8:9]
	v_mov_b32_e32 v22, s30
	s_xor_b64 exec, exec, s[8:9]
	s_cbranch_execnz .LBB263_925
.LBB263_696:                            ;   in Loop: Header=BB263_495 Depth=1
	s_or_b64 exec, exec, s[8:9]
	s_and_saveexec_b64 s[8:9], s[6:7]
	s_cbranch_execz .LBB263_698
.LBB263_697:                            ;   in Loop: Header=BB263_495 Depth=1
	v_bfe_u32 v12, v21, 24, 3
	v_bfe_u32 v19, v21, 27, 4
	v_ffbh_u32_e32 v21, v12
	v_min_u32_e32 v21, 32, v21
	v_subrev_u32_e32 v22, 28, v21
	v_sub_u32_e32 v21, 29, v21
	v_cmp_eq_u32_e64 s[0:1], 0, v19
	v_lshlrev_b64 v[22:23], v22, v[4:5]
	v_and_b32_e32 v22, 7, v22
	v_cndmask_b32_e64 v19, v19, v21, s[0:1]
	v_lshlrev_b32_e32 v4, 8, v4
	v_lshl_add_u32 v19, v19, 10, v40
	v_cndmask_b32_e64 v12, v12, v22, s[0:1]
	v_and_or_b32 v4, v4, s25, v19
	v_lshl_or_b32 v4, v12, 7, v4
	v_cvt_f32_f16_e32 v22, v4
.LBB263_698:                            ;   in Loop: Header=BB263_495 Depth=1
	s_or_b64 exec, exec, s[8:9]
	v_pk_mul_f32 v[26:27], v[16:17], v[26:27] op_sel_hi:[0,1]
	v_pk_mul_f32 v[24:25], v[16:17], v[24:25] op_sel_hi:[0,1]
	v_cvt_f16_f32_e32 v4, v27
	v_cvt_f16_f32_e32 v12, v26
	;; [unrolled: 1-line block ×4, first 2 shown]
	v_fma_mixlo_f16 v2, v16, v2, 0
	v_pack_b32_f16 v12, v12, v4
	v_pack_b32_f16 v19, v21, v19
	v_perm_b32 v4, v19, v12, s27
	v_perm_b32 v21, v19, v12, s28
	v_fma_mixlo_f16 v12, v16, v17, 0
	v_lshlrev_b32_e32 v12, 16, v12
	v_or_b32_sdwa v2, v12, v2 dst_sel:DWORD dst_unused:UNUSED_PAD src0_sel:DWORD src1_sel:WORD_0
	v_fma_mixlo_f16 v12, v16, v22, 0
	v_fma_mixlo_f16 v17, v16, v20, 0
	v_lshlrev_b32_e32 v12, 16, v12
	v_or_b32_sdwa v16, v12, v17 dst_sel:DWORD dst_unused:UNUSED_PAD src0_sel:DWORD src1_sel:WORD_0
	s_and_saveexec_b64 s[6:7], vcc
	s_cbranch_execz .LBB263_700
; %bb.699:                              ;   in Loop: Header=BB263_495 Depth=1
	v_lshrrev_b32_e32 v12, 16, v21
	v_cmp_lt_i32_e64 s[0:1], v56, v3
	v_accvgpr_read_b32 v20, a8
	s_nop 0
	v_cndmask_b32_e64 v12, 0, v12, s[0:1]
	v_cmp_lt_i32_e64 s[0:1], v43, v20
	s_nop 1
	v_cndmask_b32_e64 v19, 0, v21, s[0:1]
	v_perm_b32 v21, v12, v19, s29
	v_lshrrev_b32_e32 v12, 16, v4
	v_cmp_lt_i32_e64 s[0:1], v47, v3
	s_nop 1
	v_cndmask_b32_e64 v12, 0, v12, s[0:1]
	v_cmp_lt_i32_e64 s[0:1], v46, v20
	s_nop 1
	v_cndmask_b32_e64 v4, 0, v4, s[0:1]
	v_perm_b32 v4, v12, v4, s29
	v_lshrrev_b32_e32 v12, 16, v2
	v_cmp_lt_i32_e64 s[0:1], v45, v3
	;; [unrolled: 8-line block ×3, first 2 shown]
	s_nop 1
	v_cndmask_b32_e64 v12, 0, v12, s[0:1]
	v_cmp_lt_i32_e64 s[0:1], v41, v20
	s_nop 1
	v_cndmask_b32_e64 v16, 0, v17, s[0:1]
	v_perm_b32 v16, v12, v16, s29
.LBB263_700:                            ;   in Loop: Header=BB263_495 Depth=1
	s_or_b64 exec, exec, s[6:7]
	;;#ASMSTART
	v_pk_mul_f16 v12, v60, v21;

	;;#ASMEND
	;;#ASMSTART
	v_pk_mul_f16 v4, v59, v4;

	;;#ASMEND
	;; [unrolled: 4-line block ×4, first 2 shown]
	s_mov_b64 s[0:1], 0
	;;#ASMSTART
	v_pk_add_f16 v4, v12, v4;

	;;#ASMEND
                                        ; implicit-def: $sgpr10
	s_nop 0
	;;#ASMSTART
	v_pk_add_f16 v2, v4, v2;

	;;#ASMEND
	s_nop 0
	;;#ASMSTART
	v_pk_add_f16 v2, v2, v16;

	;;#ASMEND
	s_nop 0
	v_lshrrev_b32_e32 v4, 16, v2
	v_and_b32_e32 v2, 0xffff, v2
	;;#ASMSTART
	v_cvt_f32_f16 v2, v2;
	;;#ASMEND
	;;#ASMSTART
	v_cvt_f32_f16 v22, v4;
	;;#ASMEND
	flat_load_dwordx2 v[16:17], v[14:15] offset:3072
	v_accvgpr_read_b32 v15, a5
	v_accvgpr_read_b32 v14, a4
	flat_load_dword v14, v[14:15]
	s_waitcnt vmcnt(0) lgkmcnt(0)
	v_cmp_gt_i16_sdwa s[6:7], v16, s19 src0_sel:BYTE_0 src1_sel:DWORD
	s_and_saveexec_b64 s[8:9], s[6:7]
	s_xor_b64 s[6:7], exec, s[8:9]
	s_cbranch_execnz .LBB263_926
; %bb.701:                              ;   in Loop: Header=BB263_495 Depth=1
	s_or_saveexec_b64 s[6:7], s[6:7]
	v_mov_b32_e32 v20, s10
	s_xor_b64 exec, exec, s[6:7]
	s_cbranch_execnz .LBB263_929
.LBB263_702:                            ;   in Loop: Header=BB263_495 Depth=1
	s_or_b64 exec, exec, s[6:7]
	s_and_saveexec_b64 s[6:7], s[0:1]
	s_cbranch_execz .LBB263_704
.LBB263_703:                            ;   in Loop: Header=BB263_495 Depth=1
	v_and_b32_e32 v4, 7, v16
	v_ffbh_u32_e32 v4, v4
	v_bfe_u32 v12, v16, 3, 4
	v_min_u32_e32 v4, 32, v4
	v_subrev_u32_e32 v15, 28, v4
	v_sub_u32_e32 v4, 29, v4
	v_cmp_eq_u32_e64 s[0:1], 0, v12
	s_nop 1
	v_cndmask_b32_e64 v4, v12, v4, s[0:1]
	v_cndmask_b32_e64 v12, 0, v15, s[0:1]
	v_lshlrev_b64 v[20:21], v12, v[16:17]
	v_lshlrev_b32_e32 v15, 8, v16
	v_lshl_add_u32 v4, v4, 10, v40
	v_lshlrev_b32_e32 v12, 7, v20
	v_and_or_b32 v4, v15, s25, v4
	v_and_or_b32 v4, v12, s26, v4
	v_cvt_f32_f16_e32 v20, v4
.LBB263_704:                            ;   in Loop: Header=BB263_495 Depth=1
	s_or_b64 exec, exec, s[6:7]
	v_lshrrev_b16_e32 v4, 8, v16
	v_cmp_lt_i16_e64 s[0:1], s19, v4
	s_mov_b64 s[6:7], 0
                                        ; implicit-def: $sgpr30
	s_and_saveexec_b64 s[8:9], s[0:1]
	s_xor_b64 s[8:9], exec, s[8:9]
	s_cbranch_execnz .LBB263_930
; %bb.705:                              ;   in Loop: Header=BB263_495 Depth=1
	s_or_saveexec_b64 s[8:9], s[8:9]
	v_mov_b32_e32 v24, s30
	s_xor_b64 exec, exec, s[8:9]
	s_cbranch_execnz .LBB263_933
.LBB263_706:                            ;   in Loop: Header=BB263_495 Depth=1
	s_or_b64 exec, exec, s[8:9]
	s_and_saveexec_b64 s[8:9], s[6:7]
	s_cbranch_execz .LBB263_708
.LBB263_707:                            ;   in Loop: Header=BB263_495 Depth=1
	v_and_b32_e32 v12, 7, v4
	v_ffbh_u32_e32 v19, v12
	v_bfe_u32 v15, v4, 3, 4
	v_min_u32_e32 v19, 32, v19
	v_subrev_u32_e32 v21, 28, v19
	v_sub_u32_e32 v19, 29, v19
	v_cmp_eq_u32_e64 s[0:1], 0, v15
	v_lshlrev_b64 v[24:25], v21, v[4:5]
	v_and_b32_e32 v21, 7, v24
	v_cndmask_b32_e64 v15, v15, v19, s[0:1]
	v_lshlrev_b32_e32 v4, 8, v4
	v_lshl_add_u32 v15, v15, 10, v40
	v_cndmask_b32_e64 v12, v12, v21, s[0:1]
	v_and_or_b32 v4, v4, s25, v15
	v_lshl_or_b32 v4, v12, 7, v4
	v_cvt_f32_f16_e32 v24, v4
.LBB263_708:                            ;   in Loop: Header=BB263_495 Depth=1
	s_or_b64 exec, exec, s[8:9]
	v_lshrrev_b32_e32 v4, 16, v16
	v_cmp_gt_i16_sdwa s[6:7], v4, s19 src0_sel:BYTE_0 src1_sel:DWORD
	s_mov_b64 s[0:1], 0
                                        ; implicit-def: $sgpr10
	s_and_saveexec_b64 s[8:9], s[6:7]
	s_xor_b64 s[6:7], exec, s[8:9]
	s_cbranch_execnz .LBB263_934
; %bb.709:                              ;   in Loop: Header=BB263_495 Depth=1
	s_or_saveexec_b64 s[6:7], s[6:7]
	v_mov_b32_e32 v21, s10
	s_xor_b64 exec, exec, s[6:7]
	s_cbranch_execnz .LBB263_937
.LBB263_710:                            ;   in Loop: Header=BB263_495 Depth=1
	s_or_b64 exec, exec, s[6:7]
	s_and_saveexec_b64 s[6:7], s[0:1]
	s_cbranch_execz .LBB263_712
.LBB263_711:                            ;   in Loop: Header=BB263_495 Depth=1
	v_bfe_u32 v12, v16, 16, 3
	v_ffbh_u32_e32 v19, v12
	v_bfe_u32 v15, v16, 19, 4
	v_min_u32_e32 v19, 32, v19
	v_subrev_u32_e32 v21, 28, v19
	v_sub_u32_e32 v19, 29, v19
	v_cmp_eq_u32_e64 s[0:1], 0, v15
	v_lshlrev_b64 v[26:27], v21, v[4:5]
	v_and_b32_e32 v21, 7, v26
	v_cndmask_b32_e64 v15, v15, v19, s[0:1]
	v_lshlrev_b32_e32 v4, 8, v4
	v_lshl_add_u32 v15, v15, 10, v40
	v_cndmask_b32_e64 v12, v12, v21, s[0:1]
	v_and_or_b32 v4, v4, s25, v15
	v_lshl_or_b32 v4, v12, 7, v4
	v_cvt_f32_f16_e32 v21, v4
.LBB263_712:                            ;   in Loop: Header=BB263_495 Depth=1
	s_or_b64 exec, exec, s[6:7]
	v_lshrrev_b32_e32 v4, 24, v16
	v_cmp_lt_i16_e64 s[0:1], s19, v4
	s_mov_b64 s[6:7], 0
                                        ; implicit-def: $sgpr30
	s_and_saveexec_b64 s[8:9], s[0:1]
	s_xor_b64 s[8:9], exec, s[8:9]
	s_cbranch_execnz .LBB263_938
; %bb.713:                              ;   in Loop: Header=BB263_495 Depth=1
	s_or_saveexec_b64 s[8:9], s[8:9]
	v_mov_b32_e32 v25, s30
	s_xor_b64 exec, exec, s[8:9]
	s_cbranch_execnz .LBB263_941
.LBB263_714:                            ;   in Loop: Header=BB263_495 Depth=1
	s_or_b64 exec, exec, s[8:9]
	s_and_saveexec_b64 s[8:9], s[6:7]
	s_cbranch_execz .LBB263_716
.LBB263_715:                            ;   in Loop: Header=BB263_495 Depth=1
	v_bfe_u32 v12, v16, 24, 3
	v_bfe_u32 v15, v16, 27, 4
	v_ffbh_u32_e32 v16, v12
	v_min_u32_e32 v16, 32, v16
	v_subrev_u32_e32 v19, 28, v16
	v_sub_u32_e32 v16, 29, v16
	v_cmp_eq_u32_e64 s[0:1], 0, v15
	v_lshlrev_b64 v[26:27], v19, v[4:5]
	v_and_b32_e32 v19, 7, v26
	v_cndmask_b32_e64 v15, v15, v16, s[0:1]
	v_lshlrev_b32_e32 v4, 8, v4
	v_lshl_add_u32 v15, v15, 10, v40
	v_cndmask_b32_e64 v12, v12, v19, s[0:1]
	v_and_or_b32 v4, v4, s25, v15
	v_lshl_or_b32 v4, v12, 7, v4
	v_cvt_f32_f16_e32 v25, v4
.LBB263_716:                            ;   in Loop: Header=BB263_495 Depth=1
	s_or_b64 exec, exec, s[8:9]
	v_cmp_gt_i16_sdwa s[6:7], v17, s19 src0_sel:BYTE_0 src1_sel:DWORD
	s_mov_b64 s[0:1], 0
                                        ; implicit-def: $sgpr10
	s_and_saveexec_b64 s[8:9], s[6:7]
	s_xor_b64 s[6:7], exec, s[8:9]
	s_cbranch_execnz .LBB263_942
; %bb.717:                              ;   in Loop: Header=BB263_495 Depth=1
	s_or_saveexec_b64 s[6:7], s[6:7]
	v_mov_b32_e32 v15, s10
	s_xor_b64 exec, exec, s[6:7]
	s_cbranch_execnz .LBB263_945
.LBB263_718:                            ;   in Loop: Header=BB263_495 Depth=1
	s_or_b64 exec, exec, s[6:7]
	v_mov_b32_e32 v4, v17
	s_and_saveexec_b64 s[6:7], s[0:1]
	s_cbranch_execz .LBB263_720
.LBB263_719:                            ;   in Loop: Header=BB263_495 Depth=1
	v_and_b32_e32 v12, 7, v17
	v_ffbh_u32_e32 v12, v12
	v_bfe_u32 v15, v17, 3, 4
	v_min_u32_e32 v12, 32, v12
	v_subrev_u32_e32 v16, 28, v12
	v_sub_u32_e32 v12, 29, v12
	v_cmp_eq_u32_e64 s[0:1], 0, v15
	s_nop 1
	v_cndmask_b32_e64 v12, v15, v12, s[0:1]
	v_cndmask_b32_e64 v15, 0, v16, s[0:1]
	v_lshlrev_b64 v[26:27], v15, v[4:5]
	v_lshlrev_b32_e32 v16, 8, v17
	v_lshl_add_u32 v12, v12, 10, v40
	v_lshlrev_b32_e32 v15, 7, v26
	v_and_or_b32 v12, v16, s25, v12
	v_and_or_b32 v12, v15, s26, v12
	v_cvt_f32_f16_e32 v15, v12
.LBB263_720:                            ;   in Loop: Header=BB263_495 Depth=1
	s_or_b64 exec, exec, s[6:7]
	v_lshrrev_b16_e32 v4, 8, v4
	v_cmp_lt_i16_e64 s[0:1], s19, v4
	s_mov_b64 s[6:7], 0
                                        ; implicit-def: $sgpr30
	s_and_saveexec_b64 s[8:9], s[0:1]
	s_xor_b64 s[8:9], exec, s[8:9]
	s_cbranch_execnz .LBB263_946
; %bb.721:                              ;   in Loop: Header=BB263_495 Depth=1
	s_or_saveexec_b64 s[8:9], s[8:9]
	v_mov_b32_e32 v16, s30
	s_xor_b64 exec, exec, s[8:9]
	s_cbranch_execnz .LBB263_949
.LBB263_722:                            ;   in Loop: Header=BB263_495 Depth=1
	s_or_b64 exec, exec, s[8:9]
	s_and_saveexec_b64 s[8:9], s[6:7]
	s_cbranch_execz .LBB263_724
.LBB263_723:                            ;   in Loop: Header=BB263_495 Depth=1
	v_and_b32_e32 v12, 7, v4
	v_ffbh_u32_e32 v19, v12
	v_bfe_u32 v16, v4, 3, 4
	v_min_u32_e32 v19, 32, v19
	v_subrev_u32_e32 v23, 28, v19
	v_sub_u32_e32 v19, 29, v19
	v_cmp_eq_u32_e64 s[0:1], 0, v16
	v_lshlrev_b64 v[26:27], v23, v[4:5]
	v_and_b32_e32 v23, 7, v26
	v_cndmask_b32_e64 v16, v16, v19, s[0:1]
	v_lshlrev_b32_e32 v4, 8, v4
	v_lshl_add_u32 v16, v16, 10, v40
	v_cndmask_b32_e64 v12, v12, v23, s[0:1]
	v_and_or_b32 v4, v4, s25, v16
	v_lshl_or_b32 v4, v12, 7, v4
	v_cvt_f32_f16_e32 v16, v4
.LBB263_724:                            ;   in Loop: Header=BB263_495 Depth=1
	s_or_b64 exec, exec, s[8:9]
	v_lshrrev_b32_e32 v4, 16, v17
	v_cmp_gt_i16_sdwa s[6:7], v4, s19 src0_sel:BYTE_0 src1_sel:DWORD
	s_mov_b64 s[0:1], 0
                                        ; implicit-def: $sgpr10
	s_and_saveexec_b64 s[8:9], s[6:7]
	s_xor_b64 s[6:7], exec, s[8:9]
	s_cbranch_execnz .LBB263_950
; %bb.725:                              ;   in Loop: Header=BB263_495 Depth=1
	s_or_saveexec_b64 s[6:7], s[6:7]
	v_mov_b32_e32 v23, s10
	s_xor_b64 exec, exec, s[6:7]
	s_cbranch_execnz .LBB263_953
.LBB263_726:                            ;   in Loop: Header=BB263_495 Depth=1
	s_or_b64 exec, exec, s[6:7]
	s_and_saveexec_b64 s[6:7], s[0:1]
	s_cbranch_execz .LBB263_728
.LBB263_727:                            ;   in Loop: Header=BB263_495 Depth=1
	v_bfe_u32 v12, v17, 16, 3
	v_ffbh_u32_e32 v23, v12
	v_bfe_u32 v19, v17, 19, 4
	v_min_u32_e32 v23, 32, v23
	v_subrev_u32_e32 v26, 28, v23
	v_sub_u32_e32 v23, 29, v23
	v_cmp_eq_u32_e64 s[0:1], 0, v19
	v_lshlrev_b64 v[26:27], v26, v[4:5]
	v_and_b32_e32 v26, 7, v26
	v_cndmask_b32_e64 v19, v19, v23, s[0:1]
	v_lshlrev_b32_e32 v4, 8, v4
	v_lshl_add_u32 v19, v19, 10, v40
	v_cndmask_b32_e64 v12, v12, v26, s[0:1]
	v_and_or_b32 v4, v4, s25, v19
	v_lshl_or_b32 v4, v12, 7, v4
	v_cvt_f32_f16_e32 v23, v4
.LBB263_728:                            ;   in Loop: Header=BB263_495 Depth=1
	s_or_b64 exec, exec, s[6:7]
	v_lshrrev_b32_e32 v4, 24, v17
	v_cmp_lt_i16_e64 s[0:1], s19, v4
	s_mov_b64 s[6:7], 0
                                        ; implicit-def: $sgpr30
	s_and_saveexec_b64 s[8:9], s[0:1]
	s_xor_b64 s[8:9], exec, s[8:9]
	s_cbranch_execnz .LBB263_954
; %bb.729:                              ;   in Loop: Header=BB263_495 Depth=1
	s_or_saveexec_b64 s[8:9], s[8:9]
	v_mov_b32_e32 v26, s30
	s_xor_b64 exec, exec, s[8:9]
	s_cbranch_execnz .LBB263_957
.LBB263_730:                            ;   in Loop: Header=BB263_495 Depth=1
	s_or_b64 exec, exec, s[8:9]
	s_and_saveexec_b64 s[8:9], s[6:7]
	s_cbranch_execz .LBB263_732
.LBB263_731:                            ;   in Loop: Header=BB263_495 Depth=1
	v_bfe_u32 v12, v17, 24, 3
	v_ffbh_u32_e32 v19, v12
	v_bfe_u32 v17, v17, 27, 4
	v_min_u32_e32 v19, 32, v19
	v_subrev_u32_e32 v26, 28, v19
	v_sub_u32_e32 v19, 29, v19
	v_cmp_eq_u32_e64 s[0:1], 0, v17
	v_lshlrev_b64 v[26:27], v26, v[4:5]
	v_and_b32_e32 v26, 7, v26
	v_cndmask_b32_e64 v17, v17, v19, s[0:1]
	v_lshlrev_b32_e32 v4, 8, v4
	v_lshl_add_u32 v17, v17, 10, v40
	v_cndmask_b32_e64 v12, v12, v26, s[0:1]
	v_and_or_b32 v4, v4, s25, v17
	v_lshl_or_b32 v4, v12, 7, v4
	v_cvt_f32_f16_e32 v26, v4
.LBB263_732:                            ;   in Loop: Header=BB263_495 Depth=1
	s_or_b64 exec, exec, s[8:9]
	v_pk_mul_f32 v[24:25], v[14:15], v[24:25] op_sel_hi:[0,1]
	v_pk_mul_f32 v[20:21], v[14:15], v[20:21] op_sel_hi:[0,1]
	v_cvt_f16_f32_e32 v4, v25
	v_cvt_f16_f32_e32 v12, v24
	;; [unrolled: 1-line block ×4, first 2 shown]
	v_fma_mixlo_f16 v15, v14, v15, 0
	v_pack_b32_f16 v12, v12, v4
	v_pack_b32_f16 v17, v19, v17
	v_perm_b32 v4, v17, v12, s27
	v_perm_b32 v17, v17, v12, s28
	v_fma_mixlo_f16 v12, v14, v16, 0
	v_lshlrev_b32_e32 v12, 16, v12
	v_or_b32_sdwa v15, v12, v15 dst_sel:DWORD dst_unused:UNUSED_PAD src0_sel:DWORD src1_sel:WORD_0
	v_fma_mixlo_f16 v12, v14, v26, 0
	v_fma_mixlo_f16 v16, v14, v23, 0
	v_lshlrev_b32_e32 v12, 16, v12
	v_or_b32_sdwa v14, v12, v16 dst_sel:DWORD dst_unused:UNUSED_PAD src0_sel:DWORD src1_sel:WORD_0
	s_and_saveexec_b64 s[0:1], vcc
	s_cbranch_execz .LBB263_493
; %bb.733:                              ;   in Loop: Header=BB263_495 Depth=1
	v_lshrrev_b32_e32 v12, 16, v17
	v_cmp_lt_i32_e32 vcc, v56, v3
	v_accvgpr_read_b32 v20, a8
	s_nop 0
	v_cndmask_b32_e32 v12, 0, v12, vcc
	v_cmp_lt_i32_e32 vcc, v43, v20
	s_nop 1
	v_cndmask_b32_e32 v17, 0, v17, vcc
	v_perm_b32 v17, v12, v17, s29
	v_lshrrev_b32_e32 v12, 16, v4
	v_cmp_lt_i32_e32 vcc, v47, v3
	s_nop 1
	v_cndmask_b32_e32 v12, 0, v12, vcc
	v_cmp_lt_i32_e32 vcc, v46, v20
	s_nop 1
	v_cndmask_b32_e32 v4, 0, v4, vcc
	v_perm_b32 v4, v12, v4, s29
	v_lshrrev_b32_e32 v12, 16, v15
	v_cmp_lt_i32_e32 vcc, v45, v3
	;; [unrolled: 8-line block ×3, first 2 shown]
	s_nop 1
	v_cndmask_b32_e32 v12, 0, v12, vcc
	v_cmp_lt_i32_e32 vcc, v41, v20
	s_nop 1
	v_cndmask_b32_e32 v14, 0, v16, vcc
	v_perm_b32 v14, v12, v14, s29
	s_branch .LBB263_493
.LBB263_734:                            ;   in Loop: Header=BB263_495 Depth=1
	v_cmp_eq_u16_sdwa vcc, v20, s24 src0_sel:BYTE_0 src1_sel:DWORD
	s_mov_b64 s[0:1], -1
                                        ; implicit-def: $sgpr10
	s_and_saveexec_b64 s[8:9], vcc
; %bb.735:                              ;   in Loop: Header=BB263_495 Depth=1
	s_mov_b32 s10, 0x7fc02000
	s_xor_b64 s[0:1], exec, -1
; %bb.736:                              ;   in Loop: Header=BB263_495 Depth=1
	s_or_b64 exec, exec, s[8:9]
	s_and_b64 s[0:1], s[0:1], exec
	s_or_saveexec_b64 s[6:7], s[6:7]
	v_mov_b32_e32 v24, s10
	s_xor_b64 exec, exec, s[6:7]
	s_cbranch_execz .LBB263_498
.LBB263_737:                            ;   in Loop: Header=BB263_495 Depth=1
	v_cmp_ne_u16_sdwa s[8:9], v20, v5 src0_sel:BYTE_0 src1_sel:DWORD
	s_andn2_b64 s[0:1], s[0:1], exec
	s_and_b64 s[8:9], s[8:9], exec
	v_mov_b32_e32 v24, 0
	s_or_b64 s[0:1], s[0:1], s[8:9]
	s_or_b64 exec, exec, s[6:7]
	s_and_saveexec_b64 s[6:7], s[0:1]
	s_cbranch_execnz .LBB263_499
	s_branch .LBB263_500
.LBB263_738:                            ;   in Loop: Header=BB263_495 Depth=1
	v_cmp_eq_u16_e32 vcc, s24, v4
	s_mov_b64 s[0:1], -1
                                        ; implicit-def: $sgpr10
	s_and_saveexec_b64 s[8:9], vcc
; %bb.739:                              ;   in Loop: Header=BB263_495 Depth=1
	s_mov_b32 s10, 0x7fc02000
	s_xor_b64 s[0:1], exec, -1
; %bb.740:                              ;   in Loop: Header=BB263_495 Depth=1
	s_or_b64 exec, exec, s[8:9]
	s_and_b64 s[0:1], s[0:1], exec
	s_or_saveexec_b64 s[6:7], s[6:7]
	v_mov_b32_e32 v26, s10
	s_xor_b64 exec, exec, s[6:7]
	s_cbranch_execz .LBB263_502
.LBB263_741:                            ;   in Loop: Header=BB263_495 Depth=1
	v_cmp_ne_u16_e32 vcc, 0, v4
	s_andn2_b64 s[0:1], s[0:1], exec
	s_and_b64 s[8:9], vcc, exec
	v_mov_b32_e32 v26, 0
	s_or_b64 s[0:1], s[0:1], s[8:9]
	s_or_b64 exec, exec, s[6:7]
	s_and_saveexec_b64 s[6:7], s[0:1]
	s_cbranch_execnz .LBB263_503
	s_branch .LBB263_504
.LBB263_742:                            ;   in Loop: Header=BB263_495 Depth=1
	v_cmp_eq_u16_sdwa vcc, v4, s24 src0_sel:BYTE_0 src1_sel:DWORD
	s_mov_b64 s[0:1], -1
                                        ; implicit-def: $sgpr10
	s_and_saveexec_b64 s[8:9], vcc
; %bb.743:                              ;   in Loop: Header=BB263_495 Depth=1
	s_mov_b32 s10, 0x7fc02000
	s_xor_b64 s[0:1], exec, -1
; %bb.744:                              ;   in Loop: Header=BB263_495 Depth=1
	s_or_b64 exec, exec, s[8:9]
	s_and_b64 s[0:1], s[0:1], exec
	s_or_saveexec_b64 s[6:7], s[6:7]
	v_mov_b32_e32 v25, s10
	s_xor_b64 exec, exec, s[6:7]
	s_cbranch_execz .LBB263_506
.LBB263_745:                            ;   in Loop: Header=BB263_495 Depth=1
	v_cmp_ne_u16_sdwa s[8:9], v4, v5 src0_sel:BYTE_0 src1_sel:DWORD
	s_andn2_b64 s[0:1], s[0:1], exec
	s_and_b64 s[8:9], s[8:9], exec
	v_mov_b32_e32 v25, 0
	s_or_b64 s[0:1], s[0:1], s[8:9]
	s_or_b64 exec, exec, s[6:7]
	s_and_saveexec_b64 s[6:7], s[0:1]
	s_cbranch_execnz .LBB263_507
	s_branch .LBB263_508
.LBB263_746:                            ;   in Loop: Header=BB263_495 Depth=1
	v_cmp_eq_u16_e32 vcc, s24, v4
	s_mov_b64 s[0:1], -1
                                        ; implicit-def: $sgpr10
	s_and_saveexec_b64 s[8:9], vcc
; %bb.747:                              ;   in Loop: Header=BB263_495 Depth=1
	s_mov_b32 s10, 0x7fc02000
	s_xor_b64 s[0:1], exec, -1
; %bb.748:                              ;   in Loop: Header=BB263_495 Depth=1
	s_or_b64 exec, exec, s[8:9]
	s_and_b64 s[0:1], s[0:1], exec
	s_or_saveexec_b64 s[6:7], s[6:7]
	v_mov_b32_e32 v27, s10
	s_xor_b64 exec, exec, s[6:7]
	s_cbranch_execz .LBB263_510
.LBB263_749:                            ;   in Loop: Header=BB263_495 Depth=1
	v_cmp_ne_u16_e32 vcc, 0, v4
	s_andn2_b64 s[0:1], s[0:1], exec
	s_and_b64 s[8:9], vcc, exec
	v_mov_b32_e32 v27, 0
	s_or_b64 s[0:1], s[0:1], s[8:9]
	s_or_b64 exec, exec, s[6:7]
	s_and_saveexec_b64 s[6:7], s[0:1]
	s_cbranch_execnz .LBB263_511
	s_branch .LBB263_512
.LBB263_750:                            ;   in Loop: Header=BB263_495 Depth=1
	v_cmp_eq_u16_sdwa vcc, v21, s24 src0_sel:BYTE_0 src1_sel:DWORD
	s_mov_b64 s[0:1], -1
                                        ; implicit-def: $sgpr10
	s_and_saveexec_b64 s[8:9], vcc
; %bb.751:                              ;   in Loop: Header=BB263_495 Depth=1
	s_mov_b32 s10, 0x7fc02000
	s_xor_b64 s[0:1], exec, -1
; %bb.752:                              ;   in Loop: Header=BB263_495 Depth=1
	s_or_b64 exec, exec, s[8:9]
	s_and_b64 s[0:1], s[0:1], exec
	s_or_saveexec_b64 s[6:7], s[6:7]
	v_mov_b32_e32 v20, s10
	s_xor_b64 exec, exec, s[6:7]
	s_cbranch_execz .LBB263_514
.LBB263_753:                            ;   in Loop: Header=BB263_495 Depth=1
	v_cmp_ne_u16_sdwa s[8:9], v21, v5 src0_sel:BYTE_0 src1_sel:DWORD
	s_andn2_b64 s[0:1], s[0:1], exec
	s_and_b64 s[8:9], s[8:9], exec
	v_mov_b32_e32 v20, 0
	s_or_b64 s[0:1], s[0:1], s[8:9]
	s_or_b64 exec, exec, s[6:7]
	v_mov_b32_e32 v4, v21
	s_and_saveexec_b64 s[6:7], s[0:1]
	s_cbranch_execnz .LBB263_515
	s_branch .LBB263_516
.LBB263_754:                            ;   in Loop: Header=BB263_495 Depth=1
	v_cmp_eq_u16_e32 vcc, s24, v4
	s_mov_b64 s[0:1], -1
                                        ; implicit-def: $sgpr10
	s_and_saveexec_b64 s[8:9], vcc
; %bb.755:                              ;   in Loop: Header=BB263_495 Depth=1
	s_mov_b32 s10, 0x7fc02000
	s_xor_b64 s[0:1], exec, -1
; %bb.756:                              ;   in Loop: Header=BB263_495 Depth=1
	s_or_b64 exec, exec, s[8:9]
	s_and_b64 s[0:1], s[0:1], exec
	s_or_saveexec_b64 s[6:7], s[6:7]
	v_mov_b32_e32 v37, s10
	s_xor_b64 exec, exec, s[6:7]
	s_cbranch_execz .LBB263_518
.LBB263_757:                            ;   in Loop: Header=BB263_495 Depth=1
	v_cmp_ne_u16_e32 vcc, 0, v4
	s_andn2_b64 s[0:1], s[0:1], exec
	s_and_b64 s[8:9], vcc, exec
	v_mov_b32_e32 v37, 0
	s_or_b64 s[0:1], s[0:1], s[8:9]
	s_or_b64 exec, exec, s[6:7]
	s_and_saveexec_b64 s[6:7], s[0:1]
	s_cbranch_execnz .LBB263_519
	s_branch .LBB263_520
.LBB263_758:                            ;   in Loop: Header=BB263_495 Depth=1
	v_cmp_eq_u16_sdwa vcc, v4, s24 src0_sel:BYTE_0 src1_sel:DWORD
	s_mov_b64 s[0:1], -1
                                        ; implicit-def: $sgpr10
	s_and_saveexec_b64 s[8:9], vcc
; %bb.759:                              ;   in Loop: Header=BB263_495 Depth=1
	s_mov_b32 s10, 0x7fc02000
	s_xor_b64 s[0:1], exec, -1
; %bb.760:                              ;   in Loop: Header=BB263_495 Depth=1
	s_or_b64 exec, exec, s[8:9]
	s_and_b64 s[0:1], s[0:1], exec
	s_or_saveexec_b64 s[6:7], s[6:7]
	v_mov_b32_e32 v38, s10
	s_xor_b64 exec, exec, s[6:7]
	s_cbranch_execz .LBB263_522
.LBB263_761:                            ;   in Loop: Header=BB263_495 Depth=1
	v_cmp_ne_u16_sdwa s[8:9], v4, v5 src0_sel:BYTE_0 src1_sel:DWORD
	s_andn2_b64 s[0:1], s[0:1], exec
	s_and_b64 s[8:9], s[8:9], exec
	v_mov_b32_e32 v38, 0
	s_or_b64 s[0:1], s[0:1], s[8:9]
	s_or_b64 exec, exec, s[6:7]
	s_and_saveexec_b64 s[6:7], s[0:1]
	s_cbranch_execnz .LBB263_523
	s_branch .LBB263_524
.LBB263_762:                            ;   in Loop: Header=BB263_495 Depth=1
	v_cmp_eq_u16_e32 vcc, s24, v4
	s_mov_b64 s[0:1], -1
                                        ; implicit-def: $sgpr10
	s_and_saveexec_b64 s[8:9], vcc
; %bb.763:                              ;   in Loop: Header=BB263_495 Depth=1
	s_mov_b32 s10, 0x7fc02000
	s_xor_b64 s[0:1], exec, -1
; %bb.764:                              ;   in Loop: Header=BB263_495 Depth=1
	s_or_b64 exec, exec, s[8:9]
	s_and_b64 s[0:1], s[0:1], exec
	s_or_saveexec_b64 s[6:7], s[6:7]
	v_mov_b32_e32 v39, s10
	s_xor_b64 exec, exec, s[6:7]
	s_cbranch_execz .LBB263_526
.LBB263_765:                            ;   in Loop: Header=BB263_495 Depth=1
	v_cmp_ne_u16_e32 vcc, 0, v4
	s_andn2_b64 s[0:1], s[0:1], exec
	s_and_b64 s[8:9], vcc, exec
	v_mov_b32_e32 v39, 0
	s_or_b64 s[0:1], s[0:1], s[8:9]
	s_or_b64 exec, exec, s[6:7]
	s_and_saveexec_b64 s[6:7], s[0:1]
	s_cbranch_execnz .LBB263_527
	s_branch .LBB263_528
.LBB263_766:                            ;   in Loop: Header=BB263_495 Depth=1
	v_cmp_eq_u16_sdwa s[30:31], v20, s24 src0_sel:BYTE_0 src1_sel:DWORD
	s_mov_b64 s[0:1], -1
                                        ; implicit-def: $sgpr10
	s_and_saveexec_b64 s[8:9], s[30:31]
; %bb.767:                              ;   in Loop: Header=BB263_495 Depth=1
	s_mov_b32 s10, 0x7fc02000
	s_xor_b64 s[0:1], exec, -1
; %bb.768:                              ;   in Loop: Header=BB263_495 Depth=1
	s_or_b64 exec, exec, s[8:9]
	s_and_b64 s[0:1], s[0:1], exec
	s_or_saveexec_b64 s[6:7], s[6:7]
	v_mov_b32_e32 v24, s10
	s_xor_b64 exec, exec, s[6:7]
	s_cbranch_execz .LBB263_532
.LBB263_769:                            ;   in Loop: Header=BB263_495 Depth=1
	v_cmp_ne_u16_sdwa s[8:9], v20, v5 src0_sel:BYTE_0 src1_sel:DWORD
	s_andn2_b64 s[0:1], s[0:1], exec
	s_and_b64 s[8:9], s[8:9], exec
	v_mov_b32_e32 v24, 0
	s_or_b64 s[0:1], s[0:1], s[8:9]
	s_or_b64 exec, exec, s[6:7]
	s_and_saveexec_b64 s[6:7], s[0:1]
	s_cbranch_execnz .LBB263_533
	s_branch .LBB263_534
.LBB263_770:                            ;   in Loop: Header=BB263_495 Depth=1
	v_cmp_eq_u16_e64 s[0:1], s24, v4
	s_mov_b64 s[6:7], -1
                                        ; implicit-def: $sgpr30
	s_and_saveexec_b64 s[10:11], s[0:1]
; %bb.771:                              ;   in Loop: Header=BB263_495 Depth=1
	s_mov_b32 s30, 0x7fc02000
	s_xor_b64 s[6:7], exec, -1
; %bb.772:                              ;   in Loop: Header=BB263_495 Depth=1
	s_or_b64 exec, exec, s[10:11]
	s_and_b64 s[6:7], s[6:7], exec
	s_or_saveexec_b64 s[8:9], s[8:9]
	v_mov_b32_e32 v26, s30
	s_xor_b64 exec, exec, s[8:9]
	s_cbranch_execz .LBB263_536
.LBB263_773:                            ;   in Loop: Header=BB263_495 Depth=1
	v_cmp_ne_u16_e64 s[0:1], 0, v4
	s_andn2_b64 s[6:7], s[6:7], exec
	s_and_b64 s[0:1], s[0:1], exec
	v_mov_b32_e32 v26, 0
	s_or_b64 s[6:7], s[6:7], s[0:1]
	s_or_b64 exec, exec, s[8:9]
	s_and_saveexec_b64 s[8:9], s[6:7]
	s_cbranch_execnz .LBB263_537
	s_branch .LBB263_538
.LBB263_774:                            ;   in Loop: Header=BB263_495 Depth=1
	v_cmp_eq_u16_sdwa s[30:31], v4, s24 src0_sel:BYTE_0 src1_sel:DWORD
	s_mov_b64 s[0:1], -1
                                        ; implicit-def: $sgpr10
	s_and_saveexec_b64 s[8:9], s[30:31]
; %bb.775:                              ;   in Loop: Header=BB263_495 Depth=1
	s_mov_b32 s10, 0x7fc02000
	s_xor_b64 s[0:1], exec, -1
; %bb.776:                              ;   in Loop: Header=BB263_495 Depth=1
	s_or_b64 exec, exec, s[8:9]
	s_and_b64 s[0:1], s[0:1], exec
	s_or_saveexec_b64 s[6:7], s[6:7]
	v_mov_b32_e32 v25, s10
	s_xor_b64 exec, exec, s[6:7]
	s_cbranch_execz .LBB263_540
.LBB263_777:                            ;   in Loop: Header=BB263_495 Depth=1
	v_cmp_ne_u16_sdwa s[8:9], v4, v5 src0_sel:BYTE_0 src1_sel:DWORD
	s_andn2_b64 s[0:1], s[0:1], exec
	s_and_b64 s[8:9], s[8:9], exec
	v_mov_b32_e32 v25, 0
	s_or_b64 s[0:1], s[0:1], s[8:9]
	s_or_b64 exec, exec, s[6:7]
	s_and_saveexec_b64 s[6:7], s[0:1]
	s_cbranch_execnz .LBB263_541
	s_branch .LBB263_542
.LBB263_778:                            ;   in Loop: Header=BB263_495 Depth=1
	v_cmp_eq_u16_e64 s[0:1], s24, v4
	s_mov_b64 s[6:7], -1
                                        ; implicit-def: $sgpr30
	s_and_saveexec_b64 s[10:11], s[0:1]
; %bb.779:                              ;   in Loop: Header=BB263_495 Depth=1
	s_mov_b32 s30, 0x7fc02000
	s_xor_b64 s[6:7], exec, -1
; %bb.780:                              ;   in Loop: Header=BB263_495 Depth=1
	s_or_b64 exec, exec, s[10:11]
	s_and_b64 s[6:7], s[6:7], exec
	s_or_saveexec_b64 s[8:9], s[8:9]
	v_mov_b32_e32 v27, s30
	s_xor_b64 exec, exec, s[8:9]
	s_cbranch_execz .LBB263_544
.LBB263_781:                            ;   in Loop: Header=BB263_495 Depth=1
	v_cmp_ne_u16_e64 s[0:1], 0, v4
	s_andn2_b64 s[6:7], s[6:7], exec
	s_and_b64 s[0:1], s[0:1], exec
	v_mov_b32_e32 v27, 0
	s_or_b64 s[6:7], s[6:7], s[0:1]
	s_or_b64 exec, exec, s[8:9]
	s_and_saveexec_b64 s[8:9], s[6:7]
	s_cbranch_execnz .LBB263_545
	s_branch .LBB263_546
.LBB263_782:                            ;   in Loop: Header=BB263_495 Depth=1
	v_cmp_eq_u16_sdwa s[30:31], v21, s24 src0_sel:BYTE_0 src1_sel:DWORD
	s_mov_b64 s[0:1], -1
                                        ; implicit-def: $sgpr10
	s_and_saveexec_b64 s[8:9], s[30:31]
; %bb.783:                              ;   in Loop: Header=BB263_495 Depth=1
	s_mov_b32 s10, 0x7fc02000
	s_xor_b64 s[0:1], exec, -1
; %bb.784:                              ;   in Loop: Header=BB263_495 Depth=1
	s_or_b64 exec, exec, s[8:9]
	s_and_b64 s[0:1], s[0:1], exec
	s_or_saveexec_b64 s[6:7], s[6:7]
	v_mov_b32_e32 v0, s10
	s_xor_b64 exec, exec, s[6:7]
	s_cbranch_execz .LBB263_548
.LBB263_785:                            ;   in Loop: Header=BB263_495 Depth=1
	v_cmp_ne_u16_sdwa s[8:9], v21, v5 src0_sel:BYTE_0 src1_sel:DWORD
	s_andn2_b64 s[0:1], s[0:1], exec
	s_and_b64 s[8:9], s[8:9], exec
	v_mov_b32_e32 v0, 0
	s_or_b64 s[0:1], s[0:1], s[8:9]
	s_or_b64 exec, exec, s[6:7]
	v_mov_b32_e32 v4, v21
	s_and_saveexec_b64 s[6:7], s[0:1]
	s_cbranch_execnz .LBB263_549
	s_branch .LBB263_550
.LBB263_786:                            ;   in Loop: Header=BB263_495 Depth=1
	v_cmp_eq_u16_e64 s[0:1], s24, v4
	s_mov_b64 s[6:7], -1
                                        ; implicit-def: $sgpr30
	s_and_saveexec_b64 s[10:11], s[0:1]
; %bb.787:                              ;   in Loop: Header=BB263_495 Depth=1
	s_mov_b32 s30, 0x7fc02000
	s_xor_b64 s[6:7], exec, -1
; %bb.788:                              ;   in Loop: Header=BB263_495 Depth=1
	s_or_b64 exec, exec, s[10:11]
	s_and_b64 s[6:7], s[6:7], exec
	s_or_saveexec_b64 s[8:9], s[8:9]
	v_mov_b32_e32 v1, s30
	s_xor_b64 exec, exec, s[8:9]
	s_cbranch_execz .LBB263_552
.LBB263_789:                            ;   in Loop: Header=BB263_495 Depth=1
	v_cmp_ne_u16_e64 s[0:1], 0, v4
	s_andn2_b64 s[6:7], s[6:7], exec
	s_and_b64 s[0:1], s[0:1], exec
	v_mov_b32_e32 v1, 0
	s_or_b64 s[6:7], s[6:7], s[0:1]
	s_or_b64 exec, exec, s[8:9]
	s_and_saveexec_b64 s[8:9], s[6:7]
	s_cbranch_execnz .LBB263_553
	s_branch .LBB263_554
.LBB263_790:                            ;   in Loop: Header=BB263_495 Depth=1
	v_cmp_eq_u16_sdwa s[30:31], v4, s24 src0_sel:BYTE_0 src1_sel:DWORD
	s_mov_b64 s[0:1], -1
                                        ; implicit-def: $sgpr10
	s_and_saveexec_b64 s[8:9], s[30:31]
; %bb.791:                              ;   in Loop: Header=BB263_495 Depth=1
	s_mov_b32 s10, 0x7fc02000
	s_xor_b64 s[0:1], exec, -1
; %bb.792:                              ;   in Loop: Header=BB263_495 Depth=1
	s_or_b64 exec, exec, s[8:9]
	s_and_b64 s[0:1], s[0:1], exec
	s_or_saveexec_b64 s[6:7], s[6:7]
	v_mov_b32_e32 v2, s10
	s_xor_b64 exec, exec, s[6:7]
	s_cbranch_execz .LBB263_556
.LBB263_793:                            ;   in Loop: Header=BB263_495 Depth=1
	v_cmp_ne_u16_sdwa s[8:9], v4, v5 src0_sel:BYTE_0 src1_sel:DWORD
	s_andn2_b64 s[0:1], s[0:1], exec
	s_and_b64 s[8:9], s[8:9], exec
	v_mov_b32_e32 v2, 0
	s_or_b64 s[0:1], s[0:1], s[8:9]
	s_or_b64 exec, exec, s[6:7]
	s_and_saveexec_b64 s[6:7], s[0:1]
	s_cbranch_execnz .LBB263_557
	s_branch .LBB263_558
.LBB263_794:                            ;   in Loop: Header=BB263_495 Depth=1
	v_cmp_eq_u16_e64 s[0:1], s24, v4
	s_mov_b64 s[6:7], -1
                                        ; implicit-def: $sgpr30
	s_and_saveexec_b64 s[10:11], s[0:1]
; %bb.795:                              ;   in Loop: Header=BB263_495 Depth=1
	s_mov_b32 s30, 0x7fc02000
	s_xor_b64 s[6:7], exec, -1
; %bb.796:                              ;   in Loop: Header=BB263_495 Depth=1
	s_or_b64 exec, exec, s[10:11]
	s_and_b64 s[6:7], s[6:7], exec
	s_or_saveexec_b64 s[8:9], s[8:9]
	v_mov_b32_e32 v17, s30
	s_xor_b64 exec, exec, s[8:9]
	s_cbranch_execz .LBB263_560
.LBB263_797:                            ;   in Loop: Header=BB263_495 Depth=1
	v_cmp_ne_u16_e64 s[0:1], 0, v4
	s_andn2_b64 s[6:7], s[6:7], exec
	s_and_b64 s[0:1], s[0:1], exec
	v_mov_b32_e32 v17, 0
	s_or_b64 s[6:7], s[6:7], s[0:1]
	s_or_b64 exec, exec, s[8:9]
	s_and_saveexec_b64 s[8:9], s[6:7]
	s_cbranch_execnz .LBB263_561
	s_branch .LBB263_562
.LBB263_798:                            ;   in Loop: Header=BB263_495 Depth=1
	v_cmp_eq_u16_sdwa s[30:31], v20, s24 src0_sel:BYTE_0 src1_sel:DWORD
	s_mov_b64 s[0:1], -1
                                        ; implicit-def: $sgpr10
	s_and_saveexec_b64 s[8:9], s[30:31]
; %bb.799:                              ;   in Loop: Header=BB263_495 Depth=1
	s_mov_b32 s10, 0x7fc02000
	s_xor_b64 s[0:1], exec, -1
; %bb.800:                              ;   in Loop: Header=BB263_495 Depth=1
	s_or_b64 exec, exec, s[8:9]
	s_and_b64 s[0:1], s[0:1], exec
	s_or_saveexec_b64 s[6:7], s[6:7]
	v_mov_b32_e32 v24, s10
	s_xor_b64 exec, exec, s[6:7]
	s_cbranch_execz .LBB263_566
.LBB263_801:                            ;   in Loop: Header=BB263_495 Depth=1
	v_cmp_ne_u16_sdwa s[8:9], v20, v5 src0_sel:BYTE_0 src1_sel:DWORD
	s_andn2_b64 s[0:1], s[0:1], exec
	s_and_b64 s[8:9], s[8:9], exec
	v_mov_b32_e32 v24, 0
	s_or_b64 s[0:1], s[0:1], s[8:9]
	s_or_b64 exec, exec, s[6:7]
	s_and_saveexec_b64 s[6:7], s[0:1]
	s_cbranch_execnz .LBB263_567
	s_branch .LBB263_568
.LBB263_802:                            ;   in Loop: Header=BB263_495 Depth=1
	v_cmp_eq_u16_e64 s[0:1], s24, v4
	s_mov_b64 s[6:7], -1
                                        ; implicit-def: $sgpr30
	s_and_saveexec_b64 s[10:11], s[0:1]
; %bb.803:                              ;   in Loop: Header=BB263_495 Depth=1
	s_mov_b32 s30, 0x7fc02000
	s_xor_b64 s[6:7], exec, -1
; %bb.804:                              ;   in Loop: Header=BB263_495 Depth=1
	s_or_b64 exec, exec, s[10:11]
	s_and_b64 s[6:7], s[6:7], exec
	s_or_saveexec_b64 s[8:9], s[8:9]
	v_mov_b32_e32 v26, s30
	s_xor_b64 exec, exec, s[8:9]
	s_cbranch_execz .LBB263_570
.LBB263_805:                            ;   in Loop: Header=BB263_495 Depth=1
	v_cmp_ne_u16_e64 s[0:1], 0, v4
	s_andn2_b64 s[6:7], s[6:7], exec
	s_and_b64 s[0:1], s[0:1], exec
	v_mov_b32_e32 v26, 0
	s_or_b64 s[6:7], s[6:7], s[0:1]
	s_or_b64 exec, exec, s[8:9]
	s_and_saveexec_b64 s[8:9], s[6:7]
	s_cbranch_execnz .LBB263_571
	s_branch .LBB263_572
.LBB263_806:                            ;   in Loop: Header=BB263_495 Depth=1
	v_cmp_eq_u16_sdwa s[30:31], v4, s24 src0_sel:BYTE_0 src1_sel:DWORD
	s_mov_b64 s[0:1], -1
                                        ; implicit-def: $sgpr10
	s_and_saveexec_b64 s[8:9], s[30:31]
; %bb.807:                              ;   in Loop: Header=BB263_495 Depth=1
	s_mov_b32 s10, 0x7fc02000
	s_xor_b64 s[0:1], exec, -1
; %bb.808:                              ;   in Loop: Header=BB263_495 Depth=1
	s_or_b64 exec, exec, s[8:9]
	s_and_b64 s[0:1], s[0:1], exec
	s_or_saveexec_b64 s[6:7], s[6:7]
	v_mov_b32_e32 v25, s10
	s_xor_b64 exec, exec, s[6:7]
	s_cbranch_execz .LBB263_574
.LBB263_809:                            ;   in Loop: Header=BB263_495 Depth=1
	v_cmp_ne_u16_sdwa s[8:9], v4, v5 src0_sel:BYTE_0 src1_sel:DWORD
	s_andn2_b64 s[0:1], s[0:1], exec
	s_and_b64 s[8:9], s[8:9], exec
	v_mov_b32_e32 v25, 0
	s_or_b64 s[0:1], s[0:1], s[8:9]
	s_or_b64 exec, exec, s[6:7]
	s_and_saveexec_b64 s[6:7], s[0:1]
	s_cbranch_execnz .LBB263_575
	s_branch .LBB263_576
.LBB263_810:                            ;   in Loop: Header=BB263_495 Depth=1
	v_cmp_eq_u16_e64 s[0:1], s24, v4
	s_mov_b64 s[6:7], -1
                                        ; implicit-def: $sgpr30
	s_and_saveexec_b64 s[10:11], s[0:1]
; %bb.811:                              ;   in Loop: Header=BB263_495 Depth=1
	s_mov_b32 s30, 0x7fc02000
	s_xor_b64 s[6:7], exec, -1
; %bb.812:                              ;   in Loop: Header=BB263_495 Depth=1
	s_or_b64 exec, exec, s[10:11]
	s_and_b64 s[6:7], s[6:7], exec
	s_or_saveexec_b64 s[8:9], s[8:9]
	v_mov_b32_e32 v27, s30
	s_xor_b64 exec, exec, s[8:9]
	s_cbranch_execz .LBB263_578
.LBB263_813:                            ;   in Loop: Header=BB263_495 Depth=1
	v_cmp_ne_u16_e64 s[0:1], 0, v4
	s_andn2_b64 s[6:7], s[6:7], exec
	s_and_b64 s[0:1], s[0:1], exec
	v_mov_b32_e32 v27, 0
	s_or_b64 s[6:7], s[6:7], s[0:1]
	s_or_b64 exec, exec, s[8:9]
	s_and_saveexec_b64 s[8:9], s[6:7]
	s_cbranch_execnz .LBB263_579
	s_branch .LBB263_580
.LBB263_814:                            ;   in Loop: Header=BB263_495 Depth=1
	v_cmp_eq_u16_sdwa s[30:31], v21, s24 src0_sel:BYTE_0 src1_sel:DWORD
	s_mov_b64 s[0:1], -1
                                        ; implicit-def: $sgpr10
	s_and_saveexec_b64 s[8:9], s[30:31]
; %bb.815:                              ;   in Loop: Header=BB263_495 Depth=1
	s_mov_b32 s10, 0x7fc02000
	s_xor_b64 s[0:1], exec, -1
; %bb.816:                              ;   in Loop: Header=BB263_495 Depth=1
	s_or_b64 exec, exec, s[8:9]
	s_and_b64 s[0:1], s[0:1], exec
	s_or_saveexec_b64 s[6:7], s[6:7]
	v_mov_b32_e32 v2, s10
	s_xor_b64 exec, exec, s[6:7]
	s_cbranch_execz .LBB263_582
.LBB263_817:                            ;   in Loop: Header=BB263_495 Depth=1
	v_cmp_ne_u16_sdwa s[8:9], v21, v5 src0_sel:BYTE_0 src1_sel:DWORD
	s_andn2_b64 s[0:1], s[0:1], exec
	s_and_b64 s[8:9], s[8:9], exec
	v_mov_b32_e32 v2, 0
	s_or_b64 s[0:1], s[0:1], s[8:9]
	s_or_b64 exec, exec, s[6:7]
	v_mov_b32_e32 v4, v21
	s_and_saveexec_b64 s[6:7], s[0:1]
	s_cbranch_execnz .LBB263_583
	s_branch .LBB263_584
.LBB263_818:                            ;   in Loop: Header=BB263_495 Depth=1
	v_cmp_eq_u16_e64 s[0:1], s24, v4
	s_mov_b64 s[6:7], -1
                                        ; implicit-def: $sgpr30
	s_and_saveexec_b64 s[10:11], s[0:1]
; %bb.819:                              ;   in Loop: Header=BB263_495 Depth=1
	s_mov_b32 s30, 0x7fc02000
	s_xor_b64 s[6:7], exec, -1
; %bb.820:                              ;   in Loop: Header=BB263_495 Depth=1
	s_or_b64 exec, exec, s[10:11]
	s_and_b64 s[6:7], s[6:7], exec
	s_or_saveexec_b64 s[8:9], s[8:9]
	v_mov_b32_e32 v13, s30
	s_xor_b64 exec, exec, s[8:9]
	s_cbranch_execz .LBB263_586
.LBB263_821:                            ;   in Loop: Header=BB263_495 Depth=1
	v_cmp_ne_u16_e64 s[0:1], 0, v4
	s_andn2_b64 s[6:7], s[6:7], exec
	s_and_b64 s[0:1], s[0:1], exec
	v_mov_b32_e32 v13, 0
	s_or_b64 s[6:7], s[6:7], s[0:1]
	s_or_b64 exec, exec, s[8:9]
	s_and_saveexec_b64 s[8:9], s[6:7]
	s_cbranch_execnz .LBB263_587
	s_branch .LBB263_588
.LBB263_822:                            ;   in Loop: Header=BB263_495 Depth=1
	v_cmp_eq_u16_sdwa s[30:31], v4, s24 src0_sel:BYTE_0 src1_sel:DWORD
	s_mov_b64 s[0:1], -1
                                        ; implicit-def: $sgpr10
	s_and_saveexec_b64 s[8:9], s[30:31]
; %bb.823:                              ;   in Loop: Header=BB263_495 Depth=1
	s_mov_b32 s10, 0x7fc02000
	s_xor_b64 s[0:1], exec, -1
; %bb.824:                              ;   in Loop: Header=BB263_495 Depth=1
	s_or_b64 exec, exec, s[8:9]
	s_and_b64 s[0:1], s[0:1], exec
	s_or_saveexec_b64 s[6:7], s[6:7]
	v_mov_b32_e32 v17, s10
	s_xor_b64 exec, exec, s[6:7]
	s_cbranch_execz .LBB263_590
.LBB263_825:                            ;   in Loop: Header=BB263_495 Depth=1
	v_cmp_ne_u16_sdwa s[8:9], v4, v5 src0_sel:BYTE_0 src1_sel:DWORD
	s_andn2_b64 s[0:1], s[0:1], exec
	s_and_b64 s[8:9], s[8:9], exec
	v_mov_b32_e32 v17, 0
	s_or_b64 s[0:1], s[0:1], s[8:9]
	s_or_b64 exec, exec, s[6:7]
	s_and_saveexec_b64 s[6:7], s[0:1]
	s_cbranch_execnz .LBB263_591
	s_branch .LBB263_592
.LBB263_826:                            ;   in Loop: Header=BB263_495 Depth=1
	v_cmp_eq_u16_e64 s[0:1], s24, v4
	s_mov_b64 s[6:7], -1
                                        ; implicit-def: $sgpr30
	s_and_saveexec_b64 s[10:11], s[0:1]
; %bb.827:                              ;   in Loop: Header=BB263_495 Depth=1
	s_mov_b32 s30, 0x7fc02000
	s_xor_b64 s[6:7], exec, -1
; %bb.828:                              ;   in Loop: Header=BB263_495 Depth=1
	s_or_b64 exec, exec, s[10:11]
	s_and_b64 s[6:7], s[6:7], exec
	s_or_saveexec_b64 s[8:9], s[8:9]
	v_mov_b32_e32 v20, s30
	s_xor_b64 exec, exec, s[8:9]
	s_cbranch_execz .LBB263_594
.LBB263_829:                            ;   in Loop: Header=BB263_495 Depth=1
	v_cmp_ne_u16_e64 s[0:1], 0, v4
	s_andn2_b64 s[6:7], s[6:7], exec
	s_and_b64 s[0:1], s[0:1], exec
	v_mov_b32_e32 v20, 0
	s_or_b64 s[6:7], s[6:7], s[0:1]
	s_or_b64 exec, exec, s[8:9]
	s_and_saveexec_b64 s[8:9], s[6:7]
	s_cbranch_execnz .LBB263_595
	s_branch .LBB263_596
.LBB263_830:                            ;   in Loop: Header=BB263_495 Depth=1
	v_cmp_eq_u16_sdwa s[30:31], v20, s24 src0_sel:BYTE_0 src1_sel:DWORD
	s_mov_b64 s[0:1], -1
                                        ; implicit-def: $sgpr10
	s_and_saveexec_b64 s[8:9], s[30:31]
; %bb.831:                              ;   in Loop: Header=BB263_495 Depth=1
	s_mov_b32 s10, 0x7fc02000
	s_xor_b64 s[0:1], exec, -1
; %bb.832:                              ;   in Loop: Header=BB263_495 Depth=1
	s_or_b64 exec, exec, s[8:9]
	s_and_b64 s[0:1], s[0:1], exec
	s_or_saveexec_b64 s[6:7], s[6:7]
	v_mov_b32_e32 v24, s10
	s_xor_b64 exec, exec, s[6:7]
	s_cbranch_execz .LBB263_600
.LBB263_833:                            ;   in Loop: Header=BB263_495 Depth=1
	v_cmp_ne_u16_sdwa s[8:9], v20, v5 src0_sel:BYTE_0 src1_sel:DWORD
	s_andn2_b64 s[0:1], s[0:1], exec
	s_and_b64 s[8:9], s[8:9], exec
	v_mov_b32_e32 v24, 0
	s_or_b64 s[0:1], s[0:1], s[8:9]
	s_or_b64 exec, exec, s[6:7]
	s_and_saveexec_b64 s[6:7], s[0:1]
	s_cbranch_execnz .LBB263_601
	s_branch .LBB263_602
.LBB263_834:                            ;   in Loop: Header=BB263_495 Depth=1
	v_cmp_eq_u16_e64 s[0:1], s24, v4
	s_mov_b64 s[6:7], -1
                                        ; implicit-def: $sgpr30
	s_and_saveexec_b64 s[10:11], s[0:1]
; %bb.835:                              ;   in Loop: Header=BB263_495 Depth=1
	s_mov_b32 s30, 0x7fc02000
	s_xor_b64 s[6:7], exec, -1
; %bb.836:                              ;   in Loop: Header=BB263_495 Depth=1
	s_or_b64 exec, exec, s[10:11]
	s_and_b64 s[6:7], s[6:7], exec
	s_or_saveexec_b64 s[8:9], s[8:9]
	v_mov_b32_e32 v26, s30
	s_xor_b64 exec, exec, s[8:9]
	s_cbranch_execz .LBB263_604
.LBB263_837:                            ;   in Loop: Header=BB263_495 Depth=1
	v_cmp_ne_u16_e64 s[0:1], 0, v4
	s_andn2_b64 s[6:7], s[6:7], exec
	s_and_b64 s[0:1], s[0:1], exec
	v_mov_b32_e32 v26, 0
	s_or_b64 s[6:7], s[6:7], s[0:1]
	s_or_b64 exec, exec, s[8:9]
	s_and_saveexec_b64 s[8:9], s[6:7]
	s_cbranch_execnz .LBB263_605
	s_branch .LBB263_606
.LBB263_838:                            ;   in Loop: Header=BB263_495 Depth=1
	v_cmp_eq_u16_sdwa s[30:31], v4, s24 src0_sel:BYTE_0 src1_sel:DWORD
	s_mov_b64 s[0:1], -1
                                        ; implicit-def: $sgpr10
	s_and_saveexec_b64 s[8:9], s[30:31]
; %bb.839:                              ;   in Loop: Header=BB263_495 Depth=1
	s_mov_b32 s10, 0x7fc02000
	s_xor_b64 s[0:1], exec, -1
; %bb.840:                              ;   in Loop: Header=BB263_495 Depth=1
	s_or_b64 exec, exec, s[8:9]
	s_and_b64 s[0:1], s[0:1], exec
	s_or_saveexec_b64 s[6:7], s[6:7]
	v_mov_b32_e32 v25, s10
	s_xor_b64 exec, exec, s[6:7]
	s_cbranch_execz .LBB263_608
.LBB263_841:                            ;   in Loop: Header=BB263_495 Depth=1
	v_cmp_ne_u16_sdwa s[8:9], v4, v5 src0_sel:BYTE_0 src1_sel:DWORD
	s_andn2_b64 s[0:1], s[0:1], exec
	s_and_b64 s[8:9], s[8:9], exec
	v_mov_b32_e32 v25, 0
	s_or_b64 s[0:1], s[0:1], s[8:9]
	s_or_b64 exec, exec, s[6:7]
	s_and_saveexec_b64 s[6:7], s[0:1]
	s_cbranch_execnz .LBB263_609
	s_branch .LBB263_610
.LBB263_842:                            ;   in Loop: Header=BB263_495 Depth=1
	v_cmp_eq_u16_e64 s[0:1], s24, v4
	s_mov_b64 s[6:7], -1
                                        ; implicit-def: $sgpr30
	s_and_saveexec_b64 s[10:11], s[0:1]
; %bb.843:                              ;   in Loop: Header=BB263_495 Depth=1
	s_mov_b32 s30, 0x7fc02000
	s_xor_b64 s[6:7], exec, -1
; %bb.844:                              ;   in Loop: Header=BB263_495 Depth=1
	s_or_b64 exec, exec, s[10:11]
	s_and_b64 s[6:7], s[6:7], exec
	s_or_saveexec_b64 s[8:9], s[8:9]
	v_mov_b32_e32 v27, s30
	s_xor_b64 exec, exec, s[8:9]
	s_cbranch_execz .LBB263_612
.LBB263_845:                            ;   in Loop: Header=BB263_495 Depth=1
	v_cmp_ne_u16_e64 s[0:1], 0, v4
	s_andn2_b64 s[6:7], s[6:7], exec
	s_and_b64 s[0:1], s[0:1], exec
	v_mov_b32_e32 v27, 0
	s_or_b64 s[6:7], s[6:7], s[0:1]
	s_or_b64 exec, exec, s[8:9]
	s_and_saveexec_b64 s[8:9], s[6:7]
	s_cbranch_execnz .LBB263_613
	s_branch .LBB263_614
.LBB263_846:                            ;   in Loop: Header=BB263_495 Depth=1
	v_cmp_eq_u16_sdwa s[30:31], v21, s24 src0_sel:BYTE_0 src1_sel:DWORD
	s_mov_b64 s[0:1], -1
                                        ; implicit-def: $sgpr10
	s_and_saveexec_b64 s[8:9], s[30:31]
; %bb.847:                              ;   in Loop: Header=BB263_495 Depth=1
	s_mov_b32 s10, 0x7fc02000
	s_xor_b64 s[0:1], exec, -1
; %bb.848:                              ;   in Loop: Header=BB263_495 Depth=1
	s_or_b64 exec, exec, s[8:9]
	s_and_b64 s[0:1], s[0:1], exec
	s_or_saveexec_b64 s[6:7], s[6:7]
	v_mov_b32_e32 v2, s10
	s_xor_b64 exec, exec, s[6:7]
	s_cbranch_execz .LBB263_616
.LBB263_849:                            ;   in Loop: Header=BB263_495 Depth=1
	v_cmp_ne_u16_sdwa s[8:9], v21, v5 src0_sel:BYTE_0 src1_sel:DWORD
	s_andn2_b64 s[0:1], s[0:1], exec
	s_and_b64 s[8:9], s[8:9], exec
	v_mov_b32_e32 v2, 0
	s_or_b64 s[0:1], s[0:1], s[8:9]
	s_or_b64 exec, exec, s[6:7]
	v_mov_b32_e32 v4, v21
	s_and_saveexec_b64 s[6:7], s[0:1]
	s_cbranch_execnz .LBB263_617
	s_branch .LBB263_618
.LBB263_850:                            ;   in Loop: Header=BB263_495 Depth=1
	v_cmp_eq_u16_e64 s[0:1], s24, v4
	s_mov_b64 s[6:7], -1
                                        ; implicit-def: $sgpr30
	s_and_saveexec_b64 s[10:11], s[0:1]
; %bb.851:                              ;   in Loop: Header=BB263_495 Depth=1
	s_mov_b32 s30, 0x7fc02000
	s_xor_b64 s[6:7], exec, -1
; %bb.852:                              ;   in Loop: Header=BB263_495 Depth=1
	s_or_b64 exec, exec, s[10:11]
	s_and_b64 s[6:7], s[6:7], exec
	s_or_saveexec_b64 s[8:9], s[8:9]
	v_mov_b32_e32 v17, s30
	s_xor_b64 exec, exec, s[8:9]
	s_cbranch_execz .LBB263_620
.LBB263_853:                            ;   in Loop: Header=BB263_495 Depth=1
	v_cmp_ne_u16_e64 s[0:1], 0, v4
	s_andn2_b64 s[6:7], s[6:7], exec
	s_and_b64 s[0:1], s[0:1], exec
	v_mov_b32_e32 v17, 0
	s_or_b64 s[6:7], s[6:7], s[0:1]
	s_or_b64 exec, exec, s[8:9]
	s_and_saveexec_b64 s[8:9], s[6:7]
	s_cbranch_execnz .LBB263_621
	s_branch .LBB263_622
.LBB263_854:                            ;   in Loop: Header=BB263_495 Depth=1
	v_cmp_eq_u16_sdwa s[30:31], v4, s24 src0_sel:BYTE_0 src1_sel:DWORD
	s_mov_b64 s[0:1], -1
                                        ; implicit-def: $sgpr10
	s_and_saveexec_b64 s[8:9], s[30:31]
; %bb.855:                              ;   in Loop: Header=BB263_495 Depth=1
	s_mov_b32 s10, 0x7fc02000
	s_xor_b64 s[0:1], exec, -1
; %bb.856:                              ;   in Loop: Header=BB263_495 Depth=1
	s_or_b64 exec, exec, s[8:9]
	s_and_b64 s[0:1], s[0:1], exec
	s_or_saveexec_b64 s[6:7], s[6:7]
	v_mov_b32_e32 v18, s10
	s_xor_b64 exec, exec, s[6:7]
	s_cbranch_execz .LBB263_624
.LBB263_857:                            ;   in Loop: Header=BB263_495 Depth=1
	v_cmp_ne_u16_sdwa s[8:9], v4, v5 src0_sel:BYTE_0 src1_sel:DWORD
	s_andn2_b64 s[0:1], s[0:1], exec
	s_and_b64 s[8:9], s[8:9], exec
	v_mov_b32_e32 v18, 0
	s_or_b64 s[0:1], s[0:1], s[8:9]
	s_or_b64 exec, exec, s[6:7]
	s_and_saveexec_b64 s[6:7], s[0:1]
	s_cbranch_execnz .LBB263_625
	s_branch .LBB263_626
.LBB263_858:                            ;   in Loop: Header=BB263_495 Depth=1
	v_cmp_eq_u16_e64 s[0:1], s24, v4
	s_mov_b64 s[6:7], -1
                                        ; implicit-def: $sgpr30
	s_and_saveexec_b64 s[10:11], s[0:1]
; %bb.859:                              ;   in Loop: Header=BB263_495 Depth=1
	s_mov_b32 s30, 0x7fc02000
	s_xor_b64 s[6:7], exec, -1
; %bb.860:                              ;   in Loop: Header=BB263_495 Depth=1
	s_or_b64 exec, exec, s[10:11]
	s_and_b64 s[6:7], s[6:7], exec
	s_or_saveexec_b64 s[8:9], s[8:9]
	v_mov_b32_e32 v22, s30
	s_xor_b64 exec, exec, s[8:9]
	s_cbranch_execz .LBB263_628
.LBB263_861:                            ;   in Loop: Header=BB263_495 Depth=1
	v_cmp_ne_u16_e64 s[0:1], 0, v4
	s_andn2_b64 s[6:7], s[6:7], exec
	s_and_b64 s[0:1], s[0:1], exec
	v_mov_b32_e32 v22, 0
	s_or_b64 s[6:7], s[6:7], s[0:1]
	s_or_b64 exec, exec, s[8:9]
	s_and_saveexec_b64 s[8:9], s[6:7]
	s_cbranch_execnz .LBB263_629
	s_branch .LBB263_630
.LBB263_862:                            ;   in Loop: Header=BB263_495 Depth=1
	v_cmp_eq_u16_sdwa s[30:31], v20, s24 src0_sel:BYTE_0 src1_sel:DWORD
	s_mov_b64 s[0:1], -1
                                        ; implicit-def: $sgpr10
	s_and_saveexec_b64 s[8:9], s[30:31]
; %bb.863:                              ;   in Loop: Header=BB263_495 Depth=1
	s_mov_b32 s10, 0x7fc02000
	s_xor_b64 s[0:1], exec, -1
; %bb.864:                              ;   in Loop: Header=BB263_495 Depth=1
	s_or_b64 exec, exec, s[8:9]
	s_and_b64 s[0:1], s[0:1], exec
	s_or_saveexec_b64 s[6:7], s[6:7]
	v_mov_b32_e32 v24, s10
	s_xor_b64 exec, exec, s[6:7]
	s_cbranch_execz .LBB263_634
.LBB263_865:                            ;   in Loop: Header=BB263_495 Depth=1
	v_cmp_ne_u16_sdwa s[8:9], v20, v5 src0_sel:BYTE_0 src1_sel:DWORD
	s_andn2_b64 s[0:1], s[0:1], exec
	s_and_b64 s[8:9], s[8:9], exec
	v_mov_b32_e32 v24, 0
	s_or_b64 s[0:1], s[0:1], s[8:9]
	s_or_b64 exec, exec, s[6:7]
	s_and_saveexec_b64 s[6:7], s[0:1]
	s_cbranch_execnz .LBB263_635
	s_branch .LBB263_636
.LBB263_866:                            ;   in Loop: Header=BB263_495 Depth=1
	v_cmp_eq_u16_e64 s[0:1], s24, v4
	s_mov_b64 s[6:7], -1
                                        ; implicit-def: $sgpr30
	s_and_saveexec_b64 s[10:11], s[0:1]
; %bb.867:                              ;   in Loop: Header=BB263_495 Depth=1
	s_mov_b32 s30, 0x7fc02000
	s_xor_b64 s[6:7], exec, -1
; %bb.868:                              ;   in Loop: Header=BB263_495 Depth=1
	s_or_b64 exec, exec, s[10:11]
	s_and_b64 s[6:7], s[6:7], exec
	s_or_saveexec_b64 s[8:9], s[8:9]
	v_mov_b32_e32 v26, s30
	s_xor_b64 exec, exec, s[8:9]
	s_cbranch_execz .LBB263_638
.LBB263_869:                            ;   in Loop: Header=BB263_495 Depth=1
	v_cmp_ne_u16_e64 s[0:1], 0, v4
	s_andn2_b64 s[6:7], s[6:7], exec
	s_and_b64 s[0:1], s[0:1], exec
	v_mov_b32_e32 v26, 0
	s_or_b64 s[6:7], s[6:7], s[0:1]
	s_or_b64 exec, exec, s[8:9]
	s_and_saveexec_b64 s[8:9], s[6:7]
	s_cbranch_execnz .LBB263_639
	s_branch .LBB263_640
.LBB263_870:                            ;   in Loop: Header=BB263_495 Depth=1
	v_cmp_eq_u16_sdwa s[30:31], v4, s24 src0_sel:BYTE_0 src1_sel:DWORD
	s_mov_b64 s[0:1], -1
                                        ; implicit-def: $sgpr10
	s_and_saveexec_b64 s[8:9], s[30:31]
; %bb.871:                              ;   in Loop: Header=BB263_495 Depth=1
	s_mov_b32 s10, 0x7fc02000
	s_xor_b64 s[0:1], exec, -1
; %bb.872:                              ;   in Loop: Header=BB263_495 Depth=1
	s_or_b64 exec, exec, s[8:9]
	s_and_b64 s[0:1], s[0:1], exec
	s_or_saveexec_b64 s[6:7], s[6:7]
	v_mov_b32_e32 v25, s10
	s_xor_b64 exec, exec, s[6:7]
	s_cbranch_execz .LBB263_642
.LBB263_873:                            ;   in Loop: Header=BB263_495 Depth=1
	v_cmp_ne_u16_sdwa s[8:9], v4, v5 src0_sel:BYTE_0 src1_sel:DWORD
	s_andn2_b64 s[0:1], s[0:1], exec
	s_and_b64 s[8:9], s[8:9], exec
	v_mov_b32_e32 v25, 0
	s_or_b64 s[0:1], s[0:1], s[8:9]
	s_or_b64 exec, exec, s[6:7]
	s_and_saveexec_b64 s[6:7], s[0:1]
	s_cbranch_execnz .LBB263_643
	s_branch .LBB263_644
.LBB263_874:                            ;   in Loop: Header=BB263_495 Depth=1
	v_cmp_eq_u16_e64 s[0:1], s24, v4
	s_mov_b64 s[6:7], -1
                                        ; implicit-def: $sgpr30
	s_and_saveexec_b64 s[10:11], s[0:1]
; %bb.875:                              ;   in Loop: Header=BB263_495 Depth=1
	s_mov_b32 s30, 0x7fc02000
	s_xor_b64 s[6:7], exec, -1
; %bb.876:                              ;   in Loop: Header=BB263_495 Depth=1
	s_or_b64 exec, exec, s[10:11]
	s_and_b64 s[6:7], s[6:7], exec
	s_or_saveexec_b64 s[8:9], s[8:9]
	v_mov_b32_e32 v27, s30
	s_xor_b64 exec, exec, s[8:9]
	s_cbranch_execz .LBB263_646
.LBB263_877:                            ;   in Loop: Header=BB263_495 Depth=1
	v_cmp_ne_u16_e64 s[0:1], 0, v4
	s_andn2_b64 s[6:7], s[6:7], exec
	s_and_b64 s[0:1], s[0:1], exec
	v_mov_b32_e32 v27, 0
	s_or_b64 s[6:7], s[6:7], s[0:1]
	s_or_b64 exec, exec, s[8:9]
	s_and_saveexec_b64 s[8:9], s[6:7]
	s_cbranch_execnz .LBB263_647
	s_branch .LBB263_648
.LBB263_878:                            ;   in Loop: Header=BB263_495 Depth=1
	v_cmp_eq_u16_sdwa s[30:31], v21, s24 src0_sel:BYTE_0 src1_sel:DWORD
	s_mov_b64 s[0:1], -1
                                        ; implicit-def: $sgpr10
	s_and_saveexec_b64 s[8:9], s[30:31]
; %bb.879:                              ;   in Loop: Header=BB263_495 Depth=1
	s_mov_b32 s10, 0x7fc02000
	s_xor_b64 s[0:1], exec, -1
; %bb.880:                              ;   in Loop: Header=BB263_495 Depth=1
	s_or_b64 exec, exec, s[8:9]
	s_and_b64 s[0:1], s[0:1], exec
	s_or_saveexec_b64 s[6:7], s[6:7]
	v_mov_b32_e32 v2, s10
	s_xor_b64 exec, exec, s[6:7]
	s_cbranch_execz .LBB263_650
.LBB263_881:                            ;   in Loop: Header=BB263_495 Depth=1
	v_cmp_ne_u16_sdwa s[8:9], v21, v5 src0_sel:BYTE_0 src1_sel:DWORD
	s_andn2_b64 s[0:1], s[0:1], exec
	s_and_b64 s[8:9], s[8:9], exec
	v_mov_b32_e32 v2, 0
	s_or_b64 s[0:1], s[0:1], s[8:9]
	s_or_b64 exec, exec, s[6:7]
	v_mov_b32_e32 v4, v21
	s_and_saveexec_b64 s[6:7], s[0:1]
	s_cbranch_execnz .LBB263_651
	s_branch .LBB263_652
.LBB263_882:                            ;   in Loop: Header=BB263_495 Depth=1
	v_cmp_eq_u16_e64 s[0:1], s24, v4
	s_mov_b64 s[6:7], -1
                                        ; implicit-def: $sgpr30
	s_and_saveexec_b64 s[10:11], s[0:1]
; %bb.883:                              ;   in Loop: Header=BB263_495 Depth=1
	s_mov_b32 s30, 0x7fc02000
	s_xor_b64 s[6:7], exec, -1
; %bb.884:                              ;   in Loop: Header=BB263_495 Depth=1
	s_or_b64 exec, exec, s[10:11]
	s_and_b64 s[6:7], s[6:7], exec
	s_or_saveexec_b64 s[8:9], s[8:9]
	v_mov_b32_e32 v17, s30
	s_xor_b64 exec, exec, s[8:9]
	s_cbranch_execz .LBB263_654
.LBB263_885:                            ;   in Loop: Header=BB263_495 Depth=1
	v_cmp_ne_u16_e64 s[0:1], 0, v4
	s_andn2_b64 s[6:7], s[6:7], exec
	s_and_b64 s[0:1], s[0:1], exec
	v_mov_b32_e32 v17, 0
	s_or_b64 s[6:7], s[6:7], s[0:1]
	s_or_b64 exec, exec, s[8:9]
	s_and_saveexec_b64 s[8:9], s[6:7]
	s_cbranch_execnz .LBB263_655
	s_branch .LBB263_656
.LBB263_886:                            ;   in Loop: Header=BB263_495 Depth=1
	v_cmp_eq_u16_sdwa s[30:31], v4, s24 src0_sel:BYTE_0 src1_sel:DWORD
	s_mov_b64 s[0:1], -1
                                        ; implicit-def: $sgpr10
	s_and_saveexec_b64 s[8:9], s[30:31]
; %bb.887:                              ;   in Loop: Header=BB263_495 Depth=1
	s_mov_b32 s10, 0x7fc02000
	s_xor_b64 s[0:1], exec, -1
; %bb.888:                              ;   in Loop: Header=BB263_495 Depth=1
	s_or_b64 exec, exec, s[8:9]
	s_and_b64 s[0:1], s[0:1], exec
	s_or_saveexec_b64 s[6:7], s[6:7]
	v_mov_b32_e32 v18, s10
	s_xor_b64 exec, exec, s[6:7]
	s_cbranch_execz .LBB263_658
.LBB263_889:                            ;   in Loop: Header=BB263_495 Depth=1
	v_cmp_ne_u16_sdwa s[8:9], v4, v5 src0_sel:BYTE_0 src1_sel:DWORD
	s_andn2_b64 s[0:1], s[0:1], exec
	s_and_b64 s[8:9], s[8:9], exec
	v_mov_b32_e32 v18, 0
	s_or_b64 s[0:1], s[0:1], s[8:9]
	s_or_b64 exec, exec, s[6:7]
	s_and_saveexec_b64 s[6:7], s[0:1]
	s_cbranch_execnz .LBB263_659
	s_branch .LBB263_660
.LBB263_890:                            ;   in Loop: Header=BB263_495 Depth=1
	v_cmp_eq_u16_e64 s[0:1], s24, v4
	s_mov_b64 s[6:7], -1
                                        ; implicit-def: $sgpr30
	s_and_saveexec_b64 s[10:11], s[0:1]
; %bb.891:                              ;   in Loop: Header=BB263_495 Depth=1
	s_mov_b32 s30, 0x7fc02000
	s_xor_b64 s[6:7], exec, -1
; %bb.892:                              ;   in Loop: Header=BB263_495 Depth=1
	s_or_b64 exec, exec, s[10:11]
	s_and_b64 s[6:7], s[6:7], exec
	s_or_saveexec_b64 s[8:9], s[8:9]
	v_mov_b32_e32 v22, s30
	s_xor_b64 exec, exec, s[8:9]
	s_cbranch_execz .LBB263_662
.LBB263_893:                            ;   in Loop: Header=BB263_495 Depth=1
	v_cmp_ne_u16_e64 s[0:1], 0, v4
	s_andn2_b64 s[6:7], s[6:7], exec
	s_and_b64 s[0:1], s[0:1], exec
	v_mov_b32_e32 v22, 0
	s_or_b64 s[6:7], s[6:7], s[0:1]
	s_or_b64 exec, exec, s[8:9]
	s_and_saveexec_b64 s[8:9], s[6:7]
	s_cbranch_execnz .LBB263_663
	s_branch .LBB263_664
.LBB263_894:                            ;   in Loop: Header=BB263_495 Depth=1
	v_cmp_eq_u16_sdwa s[30:31], v20, s24 src0_sel:BYTE_0 src1_sel:DWORD
	s_mov_b64 s[0:1], -1
                                        ; implicit-def: $sgpr10
	s_and_saveexec_b64 s[8:9], s[30:31]
; %bb.895:                              ;   in Loop: Header=BB263_495 Depth=1
	s_mov_b32 s10, 0x7fc02000
	s_xor_b64 s[0:1], exec, -1
; %bb.896:                              ;   in Loop: Header=BB263_495 Depth=1
	s_or_b64 exec, exec, s[8:9]
	s_and_b64 s[0:1], s[0:1], exec
	s_or_saveexec_b64 s[6:7], s[6:7]
	v_mov_b32_e32 v24, s10
	s_xor_b64 exec, exec, s[6:7]
	s_cbranch_execz .LBB263_668
.LBB263_897:                            ;   in Loop: Header=BB263_495 Depth=1
	v_cmp_ne_u16_sdwa s[8:9], v20, v5 src0_sel:BYTE_0 src1_sel:DWORD
	s_andn2_b64 s[0:1], s[0:1], exec
	s_and_b64 s[8:9], s[8:9], exec
	v_mov_b32_e32 v24, 0
	s_or_b64 s[0:1], s[0:1], s[8:9]
	s_or_b64 exec, exec, s[6:7]
	s_and_saveexec_b64 s[6:7], s[0:1]
	s_cbranch_execnz .LBB263_669
	s_branch .LBB263_670
.LBB263_898:                            ;   in Loop: Header=BB263_495 Depth=1
	v_cmp_eq_u16_e64 s[0:1], s24, v4
	s_mov_b64 s[6:7], -1
                                        ; implicit-def: $sgpr30
	s_and_saveexec_b64 s[10:11], s[0:1]
; %bb.899:                              ;   in Loop: Header=BB263_495 Depth=1
	s_mov_b32 s30, 0x7fc02000
	s_xor_b64 s[6:7], exec, -1
; %bb.900:                              ;   in Loop: Header=BB263_495 Depth=1
	s_or_b64 exec, exec, s[10:11]
	s_and_b64 s[6:7], s[6:7], exec
	s_or_saveexec_b64 s[8:9], s[8:9]
	v_mov_b32_e32 v26, s30
	s_xor_b64 exec, exec, s[8:9]
	s_cbranch_execz .LBB263_672
.LBB263_901:                            ;   in Loop: Header=BB263_495 Depth=1
	v_cmp_ne_u16_e64 s[0:1], 0, v4
	s_andn2_b64 s[6:7], s[6:7], exec
	s_and_b64 s[0:1], s[0:1], exec
	v_mov_b32_e32 v26, 0
	s_or_b64 s[6:7], s[6:7], s[0:1]
	s_or_b64 exec, exec, s[8:9]
	s_and_saveexec_b64 s[8:9], s[6:7]
	s_cbranch_execnz .LBB263_673
	s_branch .LBB263_674
.LBB263_902:                            ;   in Loop: Header=BB263_495 Depth=1
	v_cmp_eq_u16_sdwa s[30:31], v4, s24 src0_sel:BYTE_0 src1_sel:DWORD
	s_mov_b64 s[0:1], -1
                                        ; implicit-def: $sgpr10
	s_and_saveexec_b64 s[8:9], s[30:31]
; %bb.903:                              ;   in Loop: Header=BB263_495 Depth=1
	s_mov_b32 s10, 0x7fc02000
	s_xor_b64 s[0:1], exec, -1
; %bb.904:                              ;   in Loop: Header=BB263_495 Depth=1
	s_or_b64 exec, exec, s[8:9]
	s_and_b64 s[0:1], s[0:1], exec
	s_or_saveexec_b64 s[6:7], s[6:7]
	v_mov_b32_e32 v25, s10
	s_xor_b64 exec, exec, s[6:7]
	s_cbranch_execz .LBB263_676
.LBB263_905:                            ;   in Loop: Header=BB263_495 Depth=1
	v_cmp_ne_u16_sdwa s[8:9], v4, v5 src0_sel:BYTE_0 src1_sel:DWORD
	s_andn2_b64 s[0:1], s[0:1], exec
	s_and_b64 s[8:9], s[8:9], exec
	v_mov_b32_e32 v25, 0
	s_or_b64 s[0:1], s[0:1], s[8:9]
	s_or_b64 exec, exec, s[6:7]
	s_and_saveexec_b64 s[6:7], s[0:1]
	s_cbranch_execnz .LBB263_677
	s_branch .LBB263_678
.LBB263_906:                            ;   in Loop: Header=BB263_495 Depth=1
	v_cmp_eq_u16_e64 s[0:1], s24, v4
	s_mov_b64 s[6:7], -1
                                        ; implicit-def: $sgpr30
	s_and_saveexec_b64 s[10:11], s[0:1]
; %bb.907:                              ;   in Loop: Header=BB263_495 Depth=1
	s_mov_b32 s30, 0x7fc02000
	s_xor_b64 s[6:7], exec, -1
; %bb.908:                              ;   in Loop: Header=BB263_495 Depth=1
	s_or_b64 exec, exec, s[10:11]
	s_and_b64 s[6:7], s[6:7], exec
	s_or_saveexec_b64 s[8:9], s[8:9]
	v_mov_b32_e32 v27, s30
	s_xor_b64 exec, exec, s[8:9]
	s_cbranch_execz .LBB263_680
.LBB263_909:                            ;   in Loop: Header=BB263_495 Depth=1
	v_cmp_ne_u16_e64 s[0:1], 0, v4
	s_andn2_b64 s[6:7], s[6:7], exec
	s_and_b64 s[0:1], s[0:1], exec
	v_mov_b32_e32 v27, 0
	s_or_b64 s[6:7], s[6:7], s[0:1]
	s_or_b64 exec, exec, s[8:9]
	s_and_saveexec_b64 s[8:9], s[6:7]
	s_cbranch_execnz .LBB263_681
	s_branch .LBB263_682
.LBB263_910:                            ;   in Loop: Header=BB263_495 Depth=1
	v_cmp_eq_u16_sdwa s[30:31], v21, s24 src0_sel:BYTE_0 src1_sel:DWORD
	s_mov_b64 s[0:1], -1
                                        ; implicit-def: $sgpr10
	s_and_saveexec_b64 s[8:9], s[30:31]
; %bb.911:                              ;   in Loop: Header=BB263_495 Depth=1
	s_mov_b32 s10, 0x7fc02000
	s_xor_b64 s[0:1], exec, -1
; %bb.912:                              ;   in Loop: Header=BB263_495 Depth=1
	s_or_b64 exec, exec, s[8:9]
	s_and_b64 s[0:1], s[0:1], exec
	s_or_saveexec_b64 s[6:7], s[6:7]
	v_mov_b32_e32 v2, s10
	s_xor_b64 exec, exec, s[6:7]
	s_cbranch_execz .LBB263_684
.LBB263_913:                            ;   in Loop: Header=BB263_495 Depth=1
	v_cmp_ne_u16_sdwa s[8:9], v21, v5 src0_sel:BYTE_0 src1_sel:DWORD
	s_andn2_b64 s[0:1], s[0:1], exec
	s_and_b64 s[8:9], s[8:9], exec
	v_mov_b32_e32 v2, 0
	s_or_b64 s[0:1], s[0:1], s[8:9]
	s_or_b64 exec, exec, s[6:7]
	v_mov_b32_e32 v4, v21
	s_and_saveexec_b64 s[6:7], s[0:1]
	s_cbranch_execnz .LBB263_685
	s_branch .LBB263_686
.LBB263_914:                            ;   in Loop: Header=BB263_495 Depth=1
	v_cmp_eq_u16_e64 s[0:1], s24, v4
	s_mov_b64 s[6:7], -1
                                        ; implicit-def: $sgpr30
	s_and_saveexec_b64 s[10:11], s[0:1]
; %bb.915:                              ;   in Loop: Header=BB263_495 Depth=1
	s_mov_b32 s30, 0x7fc02000
	s_xor_b64 s[6:7], exec, -1
; %bb.916:                              ;   in Loop: Header=BB263_495 Depth=1
	s_or_b64 exec, exec, s[10:11]
	s_and_b64 s[6:7], s[6:7], exec
	s_or_saveexec_b64 s[8:9], s[8:9]
	v_mov_b32_e32 v17, s30
	s_xor_b64 exec, exec, s[8:9]
	s_cbranch_execz .LBB263_688
.LBB263_917:                            ;   in Loop: Header=BB263_495 Depth=1
	v_cmp_ne_u16_e64 s[0:1], 0, v4
	s_andn2_b64 s[6:7], s[6:7], exec
	s_and_b64 s[0:1], s[0:1], exec
	v_mov_b32_e32 v17, 0
	s_or_b64 s[6:7], s[6:7], s[0:1]
	s_or_b64 exec, exec, s[8:9]
	s_and_saveexec_b64 s[8:9], s[6:7]
	s_cbranch_execnz .LBB263_689
	s_branch .LBB263_690
.LBB263_918:                            ;   in Loop: Header=BB263_495 Depth=1
	v_cmp_eq_u16_sdwa s[30:31], v4, s24 src0_sel:BYTE_0 src1_sel:DWORD
	s_mov_b64 s[0:1], -1
                                        ; implicit-def: $sgpr10
	s_and_saveexec_b64 s[8:9], s[30:31]
; %bb.919:                              ;   in Loop: Header=BB263_495 Depth=1
	s_mov_b32 s10, 0x7fc02000
	s_xor_b64 s[0:1], exec, -1
; %bb.920:                              ;   in Loop: Header=BB263_495 Depth=1
	s_or_b64 exec, exec, s[8:9]
	s_and_b64 s[0:1], s[0:1], exec
	s_or_saveexec_b64 s[6:7], s[6:7]
	v_mov_b32_e32 v20, s10
	s_xor_b64 exec, exec, s[6:7]
	s_cbranch_execz .LBB263_692
.LBB263_921:                            ;   in Loop: Header=BB263_495 Depth=1
	v_cmp_ne_u16_sdwa s[8:9], v4, v5 src0_sel:BYTE_0 src1_sel:DWORD
	s_andn2_b64 s[0:1], s[0:1], exec
	s_and_b64 s[8:9], s[8:9], exec
	v_mov_b32_e32 v20, 0
	s_or_b64 s[0:1], s[0:1], s[8:9]
	s_or_b64 exec, exec, s[6:7]
	s_and_saveexec_b64 s[6:7], s[0:1]
	s_cbranch_execnz .LBB263_693
	s_branch .LBB263_694
.LBB263_922:                            ;   in Loop: Header=BB263_495 Depth=1
	v_cmp_eq_u16_e64 s[0:1], s24, v4
	s_mov_b64 s[6:7], -1
                                        ; implicit-def: $sgpr30
	s_and_saveexec_b64 s[10:11], s[0:1]
; %bb.923:                              ;   in Loop: Header=BB263_495 Depth=1
	s_mov_b32 s30, 0x7fc02000
	s_xor_b64 s[6:7], exec, -1
; %bb.924:                              ;   in Loop: Header=BB263_495 Depth=1
	s_or_b64 exec, exec, s[10:11]
	s_and_b64 s[6:7], s[6:7], exec
	s_or_saveexec_b64 s[8:9], s[8:9]
	v_mov_b32_e32 v22, s30
	s_xor_b64 exec, exec, s[8:9]
	s_cbranch_execz .LBB263_696
.LBB263_925:                            ;   in Loop: Header=BB263_495 Depth=1
	v_cmp_ne_u16_e64 s[0:1], 0, v4
	s_andn2_b64 s[6:7], s[6:7], exec
	s_and_b64 s[0:1], s[0:1], exec
	v_mov_b32_e32 v22, 0
	s_or_b64 s[6:7], s[6:7], s[0:1]
	s_or_b64 exec, exec, s[8:9]
	s_and_saveexec_b64 s[8:9], s[6:7]
	s_cbranch_execnz .LBB263_697
	s_branch .LBB263_698
.LBB263_926:                            ;   in Loop: Header=BB263_495 Depth=1
	v_cmp_eq_u16_sdwa s[30:31], v16, s24 src0_sel:BYTE_0 src1_sel:DWORD
	s_mov_b64 s[0:1], -1
                                        ; implicit-def: $sgpr10
	s_and_saveexec_b64 s[8:9], s[30:31]
; %bb.927:                              ;   in Loop: Header=BB263_495 Depth=1
	s_mov_b32 s10, 0x7fc02000
	s_xor_b64 s[0:1], exec, -1
; %bb.928:                              ;   in Loop: Header=BB263_495 Depth=1
	s_or_b64 exec, exec, s[8:9]
	s_and_b64 s[0:1], s[0:1], exec
	s_or_saveexec_b64 s[6:7], s[6:7]
	v_mov_b32_e32 v20, s10
	s_xor_b64 exec, exec, s[6:7]
	s_cbranch_execz .LBB263_702
.LBB263_929:                            ;   in Loop: Header=BB263_495 Depth=1
	v_cmp_ne_u16_sdwa s[8:9], v16, v5 src0_sel:BYTE_0 src1_sel:DWORD
	s_andn2_b64 s[0:1], s[0:1], exec
	s_and_b64 s[8:9], s[8:9], exec
	v_mov_b32_e32 v20, 0
	s_or_b64 s[0:1], s[0:1], s[8:9]
	s_or_b64 exec, exec, s[6:7]
	s_and_saveexec_b64 s[6:7], s[0:1]
	s_cbranch_execnz .LBB263_703
	s_branch .LBB263_704
.LBB263_930:                            ;   in Loop: Header=BB263_495 Depth=1
	v_cmp_eq_u16_e64 s[0:1], s24, v4
	s_mov_b64 s[6:7], -1
                                        ; implicit-def: $sgpr30
	s_and_saveexec_b64 s[10:11], s[0:1]
; %bb.931:                              ;   in Loop: Header=BB263_495 Depth=1
	s_mov_b32 s30, 0x7fc02000
	s_xor_b64 s[6:7], exec, -1
; %bb.932:                              ;   in Loop: Header=BB263_495 Depth=1
	s_or_b64 exec, exec, s[10:11]
	s_and_b64 s[6:7], s[6:7], exec
	s_or_saveexec_b64 s[8:9], s[8:9]
	v_mov_b32_e32 v24, s30
	s_xor_b64 exec, exec, s[8:9]
	s_cbranch_execz .LBB263_706
.LBB263_933:                            ;   in Loop: Header=BB263_495 Depth=1
	v_cmp_ne_u16_e64 s[0:1], 0, v4
	s_andn2_b64 s[6:7], s[6:7], exec
	s_and_b64 s[0:1], s[0:1], exec
	v_mov_b32_e32 v24, 0
	s_or_b64 s[6:7], s[6:7], s[0:1]
	s_or_b64 exec, exec, s[8:9]
	s_and_saveexec_b64 s[8:9], s[6:7]
	s_cbranch_execnz .LBB263_707
	s_branch .LBB263_708
.LBB263_934:                            ;   in Loop: Header=BB263_495 Depth=1
	v_cmp_eq_u16_sdwa s[30:31], v4, s24 src0_sel:BYTE_0 src1_sel:DWORD
	s_mov_b64 s[0:1], -1
                                        ; implicit-def: $sgpr10
	s_and_saveexec_b64 s[8:9], s[30:31]
; %bb.935:                              ;   in Loop: Header=BB263_495 Depth=1
	s_mov_b32 s10, 0x7fc02000
	s_xor_b64 s[0:1], exec, -1
; %bb.936:                              ;   in Loop: Header=BB263_495 Depth=1
	s_or_b64 exec, exec, s[8:9]
	s_and_b64 s[0:1], s[0:1], exec
	s_or_saveexec_b64 s[6:7], s[6:7]
	v_mov_b32_e32 v21, s10
	s_xor_b64 exec, exec, s[6:7]
	s_cbranch_execz .LBB263_710
.LBB263_937:                            ;   in Loop: Header=BB263_495 Depth=1
	v_cmp_ne_u16_sdwa s[8:9], v4, v5 src0_sel:BYTE_0 src1_sel:DWORD
	s_andn2_b64 s[0:1], s[0:1], exec
	s_and_b64 s[8:9], s[8:9], exec
	v_mov_b32_e32 v21, 0
	s_or_b64 s[0:1], s[0:1], s[8:9]
	s_or_b64 exec, exec, s[6:7]
	s_and_saveexec_b64 s[6:7], s[0:1]
	s_cbranch_execnz .LBB263_711
	s_branch .LBB263_712
.LBB263_938:                            ;   in Loop: Header=BB263_495 Depth=1
	v_cmp_eq_u16_e64 s[0:1], s24, v4
	s_mov_b64 s[6:7], -1
                                        ; implicit-def: $sgpr30
	s_and_saveexec_b64 s[10:11], s[0:1]
; %bb.939:                              ;   in Loop: Header=BB263_495 Depth=1
	s_mov_b32 s30, 0x7fc02000
	s_xor_b64 s[6:7], exec, -1
; %bb.940:                              ;   in Loop: Header=BB263_495 Depth=1
	s_or_b64 exec, exec, s[10:11]
	s_and_b64 s[6:7], s[6:7], exec
	s_or_saveexec_b64 s[8:9], s[8:9]
	v_mov_b32_e32 v25, s30
	s_xor_b64 exec, exec, s[8:9]
	s_cbranch_execz .LBB263_714
.LBB263_941:                            ;   in Loop: Header=BB263_495 Depth=1
	v_cmp_ne_u16_e64 s[0:1], 0, v4
	s_andn2_b64 s[6:7], s[6:7], exec
	s_and_b64 s[0:1], s[0:1], exec
	v_mov_b32_e32 v25, 0
	s_or_b64 s[6:7], s[6:7], s[0:1]
	s_or_b64 exec, exec, s[8:9]
	s_and_saveexec_b64 s[8:9], s[6:7]
	s_cbranch_execnz .LBB263_715
	s_branch .LBB263_716
.LBB263_942:                            ;   in Loop: Header=BB263_495 Depth=1
	v_cmp_eq_u16_sdwa s[30:31], v17, s24 src0_sel:BYTE_0 src1_sel:DWORD
	s_mov_b64 s[0:1], -1
                                        ; implicit-def: $sgpr10
	s_and_saveexec_b64 s[8:9], s[30:31]
; %bb.943:                              ;   in Loop: Header=BB263_495 Depth=1
	s_mov_b32 s10, 0x7fc02000
	s_xor_b64 s[0:1], exec, -1
; %bb.944:                              ;   in Loop: Header=BB263_495 Depth=1
	s_or_b64 exec, exec, s[8:9]
	s_and_b64 s[0:1], s[0:1], exec
	s_or_saveexec_b64 s[6:7], s[6:7]
	v_mov_b32_e32 v15, s10
	s_xor_b64 exec, exec, s[6:7]
	s_cbranch_execz .LBB263_718
.LBB263_945:                            ;   in Loop: Header=BB263_495 Depth=1
	v_cmp_ne_u16_sdwa s[8:9], v17, v5 src0_sel:BYTE_0 src1_sel:DWORD
	s_andn2_b64 s[0:1], s[0:1], exec
	s_and_b64 s[8:9], s[8:9], exec
	v_mov_b32_e32 v15, 0
	s_or_b64 s[0:1], s[0:1], s[8:9]
	s_or_b64 exec, exec, s[6:7]
	v_mov_b32_e32 v4, v17
	s_and_saveexec_b64 s[6:7], s[0:1]
	s_cbranch_execnz .LBB263_719
	s_branch .LBB263_720
.LBB263_946:                            ;   in Loop: Header=BB263_495 Depth=1
	v_cmp_eq_u16_e64 s[0:1], s24, v4
	s_mov_b64 s[6:7], -1
                                        ; implicit-def: $sgpr30
	s_and_saveexec_b64 s[10:11], s[0:1]
; %bb.947:                              ;   in Loop: Header=BB263_495 Depth=1
	s_mov_b32 s30, 0x7fc02000
	s_xor_b64 s[6:7], exec, -1
; %bb.948:                              ;   in Loop: Header=BB263_495 Depth=1
	s_or_b64 exec, exec, s[10:11]
	s_and_b64 s[6:7], s[6:7], exec
	s_or_saveexec_b64 s[8:9], s[8:9]
	v_mov_b32_e32 v16, s30
	s_xor_b64 exec, exec, s[8:9]
	s_cbranch_execz .LBB263_722
.LBB263_949:                            ;   in Loop: Header=BB263_495 Depth=1
	v_cmp_ne_u16_e64 s[0:1], 0, v4
	s_andn2_b64 s[6:7], s[6:7], exec
	s_and_b64 s[0:1], s[0:1], exec
	v_mov_b32_e32 v16, 0
	s_or_b64 s[6:7], s[6:7], s[0:1]
	s_or_b64 exec, exec, s[8:9]
	s_and_saveexec_b64 s[8:9], s[6:7]
	s_cbranch_execnz .LBB263_723
	s_branch .LBB263_724
.LBB263_950:                            ;   in Loop: Header=BB263_495 Depth=1
	v_cmp_eq_u16_sdwa s[30:31], v4, s24 src0_sel:BYTE_0 src1_sel:DWORD
	s_mov_b64 s[0:1], -1
                                        ; implicit-def: $sgpr10
	s_and_saveexec_b64 s[8:9], s[30:31]
; %bb.951:                              ;   in Loop: Header=BB263_495 Depth=1
	s_mov_b32 s10, 0x7fc02000
	s_xor_b64 s[0:1], exec, -1
; %bb.952:                              ;   in Loop: Header=BB263_495 Depth=1
	s_or_b64 exec, exec, s[8:9]
	s_and_b64 s[0:1], s[0:1], exec
	s_or_saveexec_b64 s[6:7], s[6:7]
	v_mov_b32_e32 v23, s10
	s_xor_b64 exec, exec, s[6:7]
	s_cbranch_execz .LBB263_726
.LBB263_953:                            ;   in Loop: Header=BB263_495 Depth=1
	v_cmp_ne_u16_sdwa s[8:9], v4, v5 src0_sel:BYTE_0 src1_sel:DWORD
	s_andn2_b64 s[0:1], s[0:1], exec
	s_and_b64 s[8:9], s[8:9], exec
	v_mov_b32_e32 v23, 0
	s_or_b64 s[0:1], s[0:1], s[8:9]
	s_or_b64 exec, exec, s[6:7]
	s_and_saveexec_b64 s[6:7], s[0:1]
	s_cbranch_execnz .LBB263_727
	s_branch .LBB263_728
.LBB263_954:                            ;   in Loop: Header=BB263_495 Depth=1
	v_cmp_eq_u16_e64 s[0:1], s24, v4
	s_mov_b64 s[6:7], -1
                                        ; implicit-def: $sgpr30
	s_and_saveexec_b64 s[10:11], s[0:1]
; %bb.955:                              ;   in Loop: Header=BB263_495 Depth=1
	s_mov_b32 s30, 0x7fc02000
	s_xor_b64 s[6:7], exec, -1
; %bb.956:                              ;   in Loop: Header=BB263_495 Depth=1
	s_or_b64 exec, exec, s[10:11]
	s_and_b64 s[6:7], s[6:7], exec
	s_or_saveexec_b64 s[8:9], s[8:9]
	v_mov_b32_e32 v26, s30
	s_xor_b64 exec, exec, s[8:9]
	s_cbranch_execz .LBB263_730
.LBB263_957:                            ;   in Loop: Header=BB263_495 Depth=1
	v_cmp_ne_u16_e64 s[0:1], 0, v4
	s_andn2_b64 s[6:7], s[6:7], exec
	s_and_b64 s[0:1], s[0:1], exec
	v_mov_b32_e32 v26, 0
	s_or_b64 s[6:7], s[6:7], s[0:1]
	s_or_b64 exec, exec, s[8:9]
	s_and_saveexec_b64 s[8:9], s[6:7]
	s_cbranch_execnz .LBB263_731
	s_branch .LBB263_732
.LBB263_958:
	s_or_b64 exec, exec, s[22:23]
	v_accvgpr_read_b32 v16, a15
.LBB263_959:
	s_or_b64 exec, exec, s[2:3]
	ds_bpermute_b32 v0, v36, v28
	ds_bpermute_b32 v1, v36, v29
	;; [unrolled: 1-line block ×7, first 2 shown]
	s_waitcnt lgkmcnt(5)
	v_pk_add_f32 v[0:1], v[28:29], v[0:1]
	ds_bpermute_b32 v4, v51, v0
	ds_bpermute_b32 v5, v51, v1
	s_waitcnt lgkmcnt(5)
	v_pk_add_f32 v[2:3], v[30:31], v[2:3]
	s_waitcnt lgkmcnt(3)
	v_pk_add_f32 v[6:7], v[32:33], v[6:7]
	s_waitcnt lgkmcnt(2)
	v_add_f32_e32 v14, v34, v8
	ds_bpermute_b32 v10, v51, v2
	ds_bpermute_b32 v11, v51, v3
	ds_bpermute_b32 v12, v51, v6
	ds_bpermute_b32 v13, v51, v7
	ds_bpermute_b32 v15, v51, v14
	s_waitcnt lgkmcnt(5)
	v_pk_add_f32 v[8:9], v[0:1], v[4:5]
	v_and_b32_e32 v0, 0x3c3, v49
	s_waitcnt lgkmcnt(3)
	v_pk_add_f32 v[4:5], v[2:3], v[10:11]
	s_waitcnt lgkmcnt(1)
	v_pk_add_f32 v[2:3], v[6:7], v[12:13]
	s_waitcnt lgkmcnt(0)
	v_add_f32_e32 v6, v14, v15
	v_cmp_eq_u32_e32 vcc, 64, v0
	s_barrier
	s_and_saveexec_b64 s[0:1], vcc
	s_cbranch_execz .LBB263_961
; %bb.960:
	s_ashr_i32 s19, s18, 31
	s_lshl_b64 s[2:3], s[18:19], 2
	s_getpc_b64 s[4:5]
	s_add_u32 s4, s4, llvm.amdgcn.dynlds.offset.table@rel32@lo+4
	s_addc_u32 s5, s5, llvm.amdgcn.dynlds.offset.table@rel32@hi+12
	s_add_u32 s2, s2, s4
	s_addc_u32 s3, s3, s5
	s_load_dword s2, s[2:3], 0x0
	s_waitcnt lgkmcnt(0)
	v_add_u32_e32 v1, s2, v35
	ds_write2_b32 v1, v8, v9 offset1:16
	ds_write2_b32 v1, v4, v5 offset0:32 offset1:48
	ds_write2_b32 v1, v2, v3 offset0:64 offset1:80
	ds_write_b32 v1, v6 offset:384
.LBB263_961:
	s_or_b64 exec, exec, s[0:1]
	v_cmp_gt_u32_e32 vcc, 64, v49
	s_waitcnt lgkmcnt(0)
	s_barrier
	s_and_saveexec_b64 s[0:1], vcc
	s_cbranch_execz .LBB263_971
; %bb.962:
	v_cmp_eq_u32_e32 vcc, 0, v16
	v_lshrrev_b32_e32 v1, 2, v49
	s_and_saveexec_b64 s[2:3], vcc
	s_cbranch_execnz .LBB263_974
; %bb.963:
	s_or_b64 exec, exec, s[2:3]
	s_and_saveexec_b64 s[2:3], vcc
	s_cbranch_execnz .LBB263_975
.LBB263_964:
	s_or_b64 exec, exec, s[2:3]
	s_and_saveexec_b64 s[2:3], vcc
	s_cbranch_execnz .LBB263_976
.LBB263_965:
	s_or_b64 exec, exec, s[2:3]
	s_and_saveexec_b64 s[2:3], vcc
	s_cbranch_execnz .LBB263_977
.LBB263_966:
	s_or_b64 exec, exec, s[2:3]
	s_and_saveexec_b64 s[2:3], vcc
	s_cbranch_execnz .LBB263_978
.LBB263_967:
	s_or_b64 exec, exec, s[2:3]
	s_and_saveexec_b64 s[2:3], vcc
	s_cbranch_execnz .LBB263_979
.LBB263_968:
	s_or_b64 exec, exec, s[2:3]
	s_and_saveexec_b64 s[2:3], vcc
	s_cbranch_execz .LBB263_970
.LBB263_969:
	s_ashr_i32 s19, s18, 31
	s_lshl_b64 s[4:5], s[18:19], 2
	s_getpc_b64 s[6:7]
	s_add_u32 s6, s6, llvm.amdgcn.dynlds.offset.table@rel32@lo+4
	s_addc_u32 s7, s7, llvm.amdgcn.dynlds.offset.table@rel32@hi+12
	s_add_u32 s4, s4, s6
	s_addc_u32 s5, s5, s7
	s_load_dword s4, s[4:5], 0x0
	s_waitcnt lgkmcnt(0)
	v_lshl_add_u32 v1, v1, 2, s4
	ds_read_b32 v1, v1 offset:384
	s_waitcnt lgkmcnt(0)
	v_add_f32_e32 v6, v6, v1
.LBB263_970:
	s_or_b64 exec, exec, s[2:3]
.LBB263_971:
	s_or_b64 exec, exec, s[0:1]
	v_cmp_eq_u32_e32 vcc, 0, v0
	s_barrier
	s_and_saveexec_b64 s[0:1], vcc
	s_cbranch_execz .LBB263_973
; %bb.972:
	v_cmp_ne_u16_e64 s[2:3], s21, 0
	s_cmp_lg_u64 s[2:3], 0
	s_addc_u32 s4, s17, 0
	s_mul_i32 s2, s4, s16
	s_mul_i32 s2, s2, s15
	s_mulk_i32 s2, 0x70
	s_mul_i32 s4, s20, s4
	s_mul_i32 s6, s14, 0x70
	s_ashr_i32 s3, s2, 31
	s_ashr_i32 s5, s4, 31
	;; [unrolled: 1-line block ×3, first 2 shown]
	s_lshl_b64 s[2:3], s[2:3], 1
	s_lshl_b64 s[4:5], s[4:5], 1
	;; [unrolled: 1-line block ×3, first 2 shown]
	s_add_u32 s4, s6, s4
	s_addc_u32 s5, s7, s5
	s_add_u32 s2, s4, s2
	v_accvgpr_read_b32 v0, a0
	s_addc_u32 s3, s5, s3
	v_accvgpr_read_b32 v1, a1
	v_lshl_add_u64 v[0:1], s[2:3], 0, v[0:1]
	v_lshrrev_b32_e32 v10, 1, v49
	v_mov_b32_e32 v11, 0
	v_lshl_add_u64 v[0:1], v[0:1], 0, v[10:11]
	;;#ASMSTART
	v_cvt_f16_f32 v7, v8;

	;;#ASMEND
	flat_store_short v[0:1], v7
	;;#ASMSTART
	v_cvt_f16_f32 v7, v9;

	;;#ASMEND
	flat_store_short v[0:1], v7 offset:32
	;;#ASMSTART
	v_cvt_f16_f32 v4, v4;

	;;#ASMEND
	flat_store_short v[0:1], v4 offset:64
	;; [unrolled: 5-line block ×6, first 2 shown]
.LBB263_973:
	s_or_b64 exec, exec, s[0:1]
	scratch_load_dword a53, off, s32        ; 4-byte Folded Reload
	scratch_load_dword a52, off, s32 offset:4 ; 4-byte Folded Reload
	scratch_load_dword a51, off, s32 offset:8 ; 4-byte Folded Reload
	;; [unrolled: 1-line block ×36, first 2 shown]
	v_readlane_b32 s30, v63, 0
	v_readlane_b32 s31, v63, 1
	s_or_saveexec_b64 s[0:1], -1
	scratch_load_dword v63, off, s32 offset:156 ; 4-byte Folded Reload
	s_mov_b64 exec, s[0:1]
	s_waitcnt vmcnt(0) lgkmcnt(0)
	s_setpc_b64 s[30:31]
.LBB263_974:
	s_ashr_i32 s19, s18, 31
	s_lshl_b64 s[4:5], s[18:19], 2
	s_getpc_b64 s[6:7]
	s_add_u32 s6, s6, llvm.amdgcn.dynlds.offset.table@rel32@lo+4
	s_addc_u32 s7, s7, llvm.amdgcn.dynlds.offset.table@rel32@hi+12
	s_add_u32 s4, s4, s6
	s_addc_u32 s5, s5, s7
	s_load_dword s4, s[4:5], 0x0
	s_waitcnt lgkmcnt(0)
	v_lshl_add_u32 v7, v1, 2, s4
	ds_read_b32 v7, v7
	s_waitcnt lgkmcnt(0)
	v_add_f32_e32 v8, v8, v7
	s_or_b64 exec, exec, s[2:3]
	s_and_saveexec_b64 s[2:3], vcc
	s_cbranch_execz .LBB263_964
.LBB263_975:
	s_ashr_i32 s19, s18, 31
	s_lshl_b64 s[4:5], s[18:19], 2
	s_getpc_b64 s[6:7]
	s_add_u32 s6, s6, llvm.amdgcn.dynlds.offset.table@rel32@lo+4
	s_addc_u32 s7, s7, llvm.amdgcn.dynlds.offset.table@rel32@hi+12
	s_add_u32 s4, s4, s6
	s_addc_u32 s5, s5, s7
	s_load_dword s4, s[4:5], 0x0
	s_waitcnt lgkmcnt(0)
	v_lshl_add_u32 v7, v1, 2, s4
	ds_read_b32 v7, v7 offset:64
	s_waitcnt lgkmcnt(0)
	v_add_f32_e32 v9, v9, v7
	s_or_b64 exec, exec, s[2:3]
	s_and_saveexec_b64 s[2:3], vcc
	s_cbranch_execz .LBB263_965
.LBB263_976:
	s_ashr_i32 s19, s18, 31
	s_lshl_b64 s[4:5], s[18:19], 2
	s_getpc_b64 s[6:7]
	s_add_u32 s6, s6, llvm.amdgcn.dynlds.offset.table@rel32@lo+4
	s_addc_u32 s7, s7, llvm.amdgcn.dynlds.offset.table@rel32@hi+12
	s_add_u32 s4, s4, s6
	s_addc_u32 s5, s5, s7
	s_load_dword s4, s[4:5], 0x0
	s_waitcnt lgkmcnt(0)
	v_lshl_add_u32 v7, v1, 2, s4
	ds_read_b32 v7, v7 offset:128
	s_waitcnt lgkmcnt(0)
	v_add_f32_e32 v4, v4, v7
	s_or_b64 exec, exec, s[2:3]
	s_and_saveexec_b64 s[2:3], vcc
	s_cbranch_execz .LBB263_966
.LBB263_977:
	s_ashr_i32 s19, s18, 31
	s_lshl_b64 s[4:5], s[18:19], 2
	s_getpc_b64 s[6:7]
	s_add_u32 s6, s6, llvm.amdgcn.dynlds.offset.table@rel32@lo+4
	s_addc_u32 s7, s7, llvm.amdgcn.dynlds.offset.table@rel32@hi+12
	s_add_u32 s4, s4, s6
	s_addc_u32 s5, s5, s7
	s_load_dword s4, s[4:5], 0x0
	s_waitcnt lgkmcnt(0)
	v_lshl_add_u32 v7, v1, 2, s4
	ds_read_b32 v7, v7 offset:192
	s_waitcnt lgkmcnt(0)
	v_add_f32_e32 v5, v5, v7
	s_or_b64 exec, exec, s[2:3]
	s_and_saveexec_b64 s[2:3], vcc
	s_cbranch_execz .LBB263_967
.LBB263_978:
	s_ashr_i32 s19, s18, 31
	s_lshl_b64 s[4:5], s[18:19], 2
	s_getpc_b64 s[6:7]
	s_add_u32 s6, s6, llvm.amdgcn.dynlds.offset.table@rel32@lo+4
	s_addc_u32 s7, s7, llvm.amdgcn.dynlds.offset.table@rel32@hi+12
	s_add_u32 s4, s4, s6
	s_addc_u32 s5, s5, s7
	s_load_dword s4, s[4:5], 0x0
	s_waitcnt lgkmcnt(0)
	v_lshl_add_u32 v7, v1, 2, s4
	ds_read_b32 v7, v7 offset:256
	s_waitcnt lgkmcnt(0)
	v_add_f32_e32 v2, v2, v7
	s_or_b64 exec, exec, s[2:3]
	s_and_saveexec_b64 s[2:3], vcc
	s_cbranch_execz .LBB263_968
.LBB263_979:
	s_ashr_i32 s19, s18, 31
	s_lshl_b64 s[4:5], s[18:19], 2
	s_getpc_b64 s[6:7]
	s_add_u32 s6, s6, llvm.amdgcn.dynlds.offset.table@rel32@lo+4
	s_addc_u32 s7, s7, llvm.amdgcn.dynlds.offset.table@rel32@hi+12
	s_add_u32 s4, s4, s6
	s_addc_u32 s5, s5, s7
	s_load_dword s4, s[4:5], 0x0
	s_waitcnt lgkmcnt(0)
	v_lshl_add_u32 v7, v1, 2, s4
	ds_read_b32 v7, v7 offset:320
	s_waitcnt lgkmcnt(0)
	v_add_f32_e32 v3, v3, v7
	s_or_b64 exec, exec, s[2:3]
	s_and_saveexec_b64 s[2:3], vcc
	s_cbranch_execnz .LBB263_969
	s_branch .LBB263_970
.Lfunc_end263:
	.size	_ZN4vllm22paged_attention_kernelIthLi112ELi32ELi128ELNS_18Fp8KVCacheDataTypeE1ELb1ELi0EEEvPfS2_PT_PKS3_PKT0_S9_ifPKiSB_iPKfiiiSD_SD_iiiii, .Lfunc_end263-_ZN4vllm22paged_attention_kernelIthLi112ELi32ELi128ELNS_18Fp8KVCacheDataTypeE1ELb1ELi0EEEvPfS2_PT_PKS3_PKT0_S9_ifPKiSB_iPKfiiiSD_SD_iiiii
                                        ; -- End function
	.section	.AMDGPU.csdata,"",@progbits
; Function info:
; codeLenInByte = 41412
; NumSgprs: 39
; NumVgprs: 64
; NumAgprs: 54
; TotalNumVgprs: 118
; ScratchSize: 164
; MemoryBound: 0
	.section	.text._ZN4vllm25paged_attention_v1_kernelIthLi112ELi32ELi128ELNS_18Fp8KVCacheDataTypeE1ELb1EEEvPT_PKS2_PKT0_S8_ifPKiSA_iPKfiiiSC_SC_iiiii,"axG",@progbits,_ZN4vllm25paged_attention_v1_kernelIthLi112ELi32ELi128ELNS_18Fp8KVCacheDataTypeE1ELb1EEEvPT_PKS2_PKT0_S8_ifPKiSA_iPKfiiiSC_SC_iiiii,comdat
	.protected	_ZN4vllm25paged_attention_v1_kernelIthLi112ELi32ELi128ELNS_18Fp8KVCacheDataTypeE1ELb1EEEvPT_PKS2_PKT0_S8_ifPKiSA_iPKfiiiSC_SC_iiiii ; -- Begin function _ZN4vllm25paged_attention_v1_kernelIthLi112ELi32ELi128ELNS_18Fp8KVCacheDataTypeE1ELb1EEEvPT_PKS2_PKT0_S8_ifPKiSA_iPKfiiiSC_SC_iiiii
	.globl	_ZN4vllm25paged_attention_v1_kernelIthLi112ELi32ELi128ELNS_18Fp8KVCacheDataTypeE1ELb1EEEvPT_PKS2_PKT0_S8_ifPKiSA_iPKfiiiSC_SC_iiiii
	.p2align	8
	.type	_ZN4vllm25paged_attention_v1_kernelIthLi112ELi32ELi128ELNS_18Fp8KVCacheDataTypeE1ELb1EEEvPT_PKS2_PKT0_S8_ifPKiSA_iPKfiiiSC_SC_iiiii,@function
_ZN4vllm25paged_attention_v1_kernelIthLi112ELi32ELi128ELNS_18Fp8KVCacheDataTypeE1ELb1EEEvPT_PKS2_PKT0_S8_ifPKiSA_iPKfiiiSC_SC_iiiii: ; @_ZN4vllm25paged_attention_v1_kernelIthLi112ELi32ELi128ELNS_18Fp8KVCacheDataTypeE1ELb1EEEvPT_PKS2_PKT0_S8_ifPKiSA_iPKfiiiSC_SC_iiiii
; %bb.0:
	s_load_dwordx8 s[16:23], s[0:1], 0x0
	s_load_dwordx4 s[36:39], s[0:1], 0x20
	s_load_dwordx2 s[6:7], s[0:1], 0x30
	s_load_dword s5, s[0:1], 0x38
	s_load_dwordx2 s[10:11], s[0:1], 0x40
	s_load_dwordx8 s[24:31], s[0:1], 0x48
	s_waitcnt lgkmcnt(0)
	s_load_dword s27, s[0:1], 0x78
	s_load_dwordx4 s[40:43], s[0:1], 0x68
	s_add_u32 s8, s0, 0x80
	s_addc_u32 s9, s1, 0
	s_mov_b32 s12, s2
	s_mov_b32 s13, s3
	s_mov_b32 s14, s4
	s_mov_b32 s15, 15
	v_mov_b32_e32 v31, v0
	v_mov_b32_e32 v0, s16
	;; [unrolled: 1-line block ×25, first 2 shown]
	s_waitcnt lgkmcnt(0)
	v_mov_b32_e32 v24, s40
	v_mov_b32_e32 v25, s41
	;; [unrolled: 1-line block ×5, first 2 shown]
	s_mov_b32 s32, 0
	s_getpc_b64 s[0:1]
	s_add_u32 s0, s0, _ZN4vllm22paged_attention_kernelIthLi112ELi32ELi128ELNS_18Fp8KVCacheDataTypeE1ELb1ELi0EEEvPfS2_PT_PKS3_PKT0_S9_ifPKiSB_iPKfiiiSD_SD_iiiii@rel32@lo+4
	s_addc_u32 s1, s1, _ZN4vllm22paged_attention_kernelIthLi112ELi32ELi128ELNS_18Fp8KVCacheDataTypeE1ELb1ELi0EEEvPfS2_PT_PKS3_PKT0_S9_ifPKiSB_iPKfiiiSD_SD_iiiii@rel32@hi+12
	s_swappc_b64 s[30:31], s[0:1]
	s_endpgm
	.section	.rodata,"a",@progbits
	.p2align	6, 0x0
	.amdhsa_kernel _ZN4vllm25paged_attention_v1_kernelIthLi112ELi32ELi128ELNS_18Fp8KVCacheDataTypeE1ELb1EEEvPT_PKS2_PKT0_S8_ifPKiSA_iPKfiiiSC_SC_iiiii
		.amdhsa_group_segment_fixed_size 240
		.amdhsa_private_segment_fixed_size 164
		.amdhsa_kernarg_size 384
		.amdhsa_user_sgpr_count 2
		.amdhsa_user_sgpr_dispatch_ptr 0
		.amdhsa_user_sgpr_queue_ptr 0
		.amdhsa_user_sgpr_kernarg_segment_ptr 1
		.amdhsa_user_sgpr_dispatch_id 0
		.amdhsa_user_sgpr_kernarg_preload_length 0
		.amdhsa_user_sgpr_kernarg_preload_offset 0
		.amdhsa_user_sgpr_private_segment_size 0
		.amdhsa_uses_dynamic_stack 0
		.amdhsa_enable_private_segment 1
		.amdhsa_system_sgpr_workgroup_id_x 1
		.amdhsa_system_sgpr_workgroup_id_y 1
		.amdhsa_system_sgpr_workgroup_id_z 1
		.amdhsa_system_sgpr_workgroup_info 0
		.amdhsa_system_vgpr_workitem_id 0
		.amdhsa_next_free_vgpr 118
		.amdhsa_next_free_sgpr 44
		.amdhsa_accum_offset 64
		.amdhsa_reserve_vcc 1
		.amdhsa_float_round_mode_32 0
		.amdhsa_float_round_mode_16_64 0
		.amdhsa_float_denorm_mode_32 3
		.amdhsa_float_denorm_mode_16_64 3
		.amdhsa_dx10_clamp 1
		.amdhsa_ieee_mode 1
		.amdhsa_fp16_overflow 0
		.amdhsa_tg_split 0
		.amdhsa_exception_fp_ieee_invalid_op 0
		.amdhsa_exception_fp_denorm_src 0
		.amdhsa_exception_fp_ieee_div_zero 0
		.amdhsa_exception_fp_ieee_overflow 0
		.amdhsa_exception_fp_ieee_underflow 0
		.amdhsa_exception_fp_ieee_inexact 0
		.amdhsa_exception_int_div_zero 0
	.end_amdhsa_kernel
	.section	.text._ZN4vllm25paged_attention_v1_kernelIthLi112ELi32ELi128ELNS_18Fp8KVCacheDataTypeE1ELb1EEEvPT_PKS2_PKT0_S8_ifPKiSA_iPKfiiiSC_SC_iiiii,"axG",@progbits,_ZN4vllm25paged_attention_v1_kernelIthLi112ELi32ELi128ELNS_18Fp8KVCacheDataTypeE1ELb1EEEvPT_PKS2_PKT0_S8_ifPKiSA_iPKfiiiSC_SC_iiiii,comdat
.Lfunc_end264:
	.size	_ZN4vllm25paged_attention_v1_kernelIthLi112ELi32ELi128ELNS_18Fp8KVCacheDataTypeE1ELb1EEEvPT_PKS2_PKT0_S8_ifPKiSA_iPKfiiiSC_SC_iiiii, .Lfunc_end264-_ZN4vllm25paged_attention_v1_kernelIthLi112ELi32ELi128ELNS_18Fp8KVCacheDataTypeE1ELb1EEEvPT_PKS2_PKT0_S8_ifPKiSA_iPKfiiiSC_SC_iiiii
                                        ; -- End function
	.section	.AMDGPU.csdata,"",@progbits
; Kernel info:
; codeLenInByte = 252
; NumSgprs: 50
; NumVgprs: 64
; NumAgprs: 54
; TotalNumVgprs: 118
; ScratchSize: 164
; MemoryBound: 0
; FloatMode: 240
; IeeeMode: 1
; LDSByteSize: 240 bytes/workgroup (compile time only)
; SGPRBlocks: 6
; VGPRBlocks: 14
; NumSGPRsForWavesPerEU: 50
; NumVGPRsForWavesPerEU: 118
; AccumOffset: 64
; Occupancy: 4
; WaveLimiterHint : 1
; COMPUTE_PGM_RSRC2:SCRATCH_EN: 1
; COMPUTE_PGM_RSRC2:USER_SGPR: 2
; COMPUTE_PGM_RSRC2:TRAP_HANDLER: 0
; COMPUTE_PGM_RSRC2:TGID_X_EN: 1
; COMPUTE_PGM_RSRC2:TGID_Y_EN: 1
; COMPUTE_PGM_RSRC2:TGID_Z_EN: 1
; COMPUTE_PGM_RSRC2:TIDIG_COMP_CNT: 0
; COMPUTE_PGM_RSRC3_GFX90A:ACCUM_OFFSET: 15
; COMPUTE_PGM_RSRC3_GFX90A:TG_SPLIT: 0
	.text
	.p2align	2                               ; -- Begin function _ZN4vllm22paged_attention_kernelIthLi120ELi32ELi128ELNS_18Fp8KVCacheDataTypeE1ELb1ELi0EEEvPfS2_PT_PKS3_PKT0_S9_ifPKiSB_iPKfiiiSD_SD_iiiii
	.type	_ZN4vllm22paged_attention_kernelIthLi120ELi32ELi128ELNS_18Fp8KVCacheDataTypeE1ELb1ELi0EEEvPfS2_PT_PKS3_PKT0_S9_ifPKiSB_iPKfiiiSD_SD_iiiii,@function
_ZN4vllm22paged_attention_kernelIthLi120ELi32ELi128ELNS_18Fp8KVCacheDataTypeE1ELb1ELi0EEEvPfS2_PT_PKS3_PKT0_S9_ifPKiSB_iPKfiiiSD_SD_iiiii: ; @_ZN4vllm22paged_attention_kernelIthLi120ELi32ELi128ELNS_18Fp8KVCacheDataTypeE1ELb1ELi0EEEvPfS2_PT_PKS3_PKT0_S9_ifPKiSB_iPKfiiiSD_SD_iiiii
; %bb.0:
	s_waitcnt vmcnt(0) expcnt(0) lgkmcnt(0)
	s_or_saveexec_b64 s[0:1], -1
	scratch_store_dword off, v63, s32 offset:160 ; 4-byte Folded Spill
	s_mov_b64 exec, s[0:1]
	scratch_store_dword off, v40, s32 offset:136 ; 4-byte Folded Spill
	scratch_store_dword off, v41, s32 offset:132 ; 4-byte Folded Spill
	;; [unrolled: 1-line block ×34, first 2 shown]
	scratch_store_dword off, a51, s32       ; 4-byte Folded Spill
	v_writelane_b32 v63, s34, 0
	v_writelane_b32 v63, s35, 1
	;; [unrolled: 1-line block ×5, first 2 shown]
	s_nop 1
	v_writelane_b32 v63, s31, 5
	s_mov_b32 s16, s13
	v_accvgpr_write_b32 a0, v0
	s_ashr_i32 s17, s13, 31
	v_accvgpr_write_b32 a1, v1
	v_lshl_add_u64 v[0:1], s[16:17], 2, v[12:13]
	flat_load_dword a8, v[0:1]
	v_sub_u32_e32 v0, 0, v8
	v_max_i32_e32 v0, v8, v0
	v_cvt_f32_u32_e32 v1, v0
	s_load_dword s0, s[8:9], 0x10
	s_load_dword s2, s[8:9], 0x0
	v_accvgpr_write_b32 a19, v7
	v_accvgpr_write_b32 a18, v6
	v_rcp_iflag_f32_e32 v1, v1
	s_waitcnt lgkmcnt(0)
	s_lshr_b32 s0, s0, 16
	s_cmp_lg_u32 s0, 0
	s_cselect_b64 s[0:1], -1, 0
	v_mul_f32_e32 v1, 0x4f7ffffe, v1
	v_cvt_u32_f32_e32 v1, v1
	v_sub_u32_e32 v7, 0, v0
	s_cmp_lg_u64 s[0:1], 0
	s_mov_b32 s18, s15
	v_mul_lo_u32 v7, v7, v1
	s_addc_u32 s15, s2, 0
	v_mul_hi_u32 v7, v1, v7
	s_abs_i32 s0, s15
	v_add_u32_e32 v1, v1, v7
	v_mul_hi_u32 v1, s0, v1
	v_mul_lo_u32 v7, v1, v0
	v_sub_u32_e32 v7, s0, v7
	v_accvgpr_write_b32 a25, v9
	v_add_u32_e32 v9, 1, v1
	v_cmp_ge_u32_e32 vcc, v7, v0
	v_xor_b32_e32 v6, s15, v8
	v_ashrrev_i32_e32 v6, 31, v6
	v_cndmask_b32_e32 v1, v1, v9, vcc
	v_sub_u32_e32 v9, v7, v0
	v_cndmask_b32_e32 v7, v7, v9, vcc
	v_add_u32_e32 v9, 1, v1
	v_cmp_ge_u32_e32 vcc, v7, v0
	v_mov_b32_e32 v33, v16
	v_mov_b32_e32 v32, v15
	v_cndmask_b32_e32 v0, v1, v9, vcc
	v_xor_b32_e32 v0, v0, v6
	v_sub_u32_e32 v0, v0, v6
	v_sub_u32_e32 v1, 0, v0
	v_max_i32_e32 v1, v0, v1
	v_cvt_f32_u32_e32 v6, v1
	v_sub_u32_e32 v7, 0, v1
	v_accvgpr_write_b32 a4, v22
	v_accvgpr_write_b32 a29, v21
	v_rcp_iflag_f32_e32 v6, v6
	v_accvgpr_write_b32 a17, v11
	s_abs_i32 s2, s12
	v_accvgpr_write_b32 a15, v26
	v_mul_f32_e32 v6, 0x4f7ffffe, v6
	v_cvt_u32_f32_e32 v6, v6
	v_accvgpr_write_b32 a5, v23
	v_accvgpr_write_b32 a28, v20
	;; [unrolled: 1-line block ×3, first 2 shown]
	v_mul_lo_u32 v7, v7, v6
	v_mul_hi_u32 v7, v6, v7
	v_add_u32_e32 v6, v6, v7
	v_accvgpr_write_b32 a16, v10
	v_mad_u64_u32 v[34:35], s[0:1], s2, v6, 0
	v_cmp_ne_u64_e32 vcc, 0, v[32:33]
	v_mov_b32_e32 v6, 0
	scratch_store_dword off, v6, s32 offset:156 ; 4-byte Folded Spill
	s_and_saveexec_b64 s[0:1], vcc
	s_cbranch_execz .LBB265_2
; %bb.1:
	s_ashr_i32 s13, s12, 31
	v_lshl_add_u64 v[6:7], s[12:13], 2, v[32:33]
	flat_load_dword v6, v[6:7]
	s_waitcnt vmcnt(0) lgkmcnt(0)
	scratch_store_dword off, v6, s32 offset:156 ; 4-byte Folded Spill
.LBB265_2:
	s_or_b64 exec, exec, s[0:1]
	v_and_b32_e32 v7, 0x3ff, v31
	v_lshlrev_b32_e32 v10, 3, v7
	s_ashr_i32 s3, s12, 31
	v_ashrrev_i32_e32 v6, 31, v0
	v_and_b32_e32 v0, 1, v7
	s_movk_i32 s4, 0x78
	s_mul_i32 s20, s12, 0x78
	v_cmp_gt_u32_e32 vcc, 30, v7
	v_accvgpr_write_b32 a2, v7
	v_accvgpr_write_b32 a20, v10
	s_and_saveexec_b64 s[0:1], vcc
	s_cbranch_execz .LBB265_4
; %bb.3:
	v_mul_lo_u32 v10, s16, v17
	v_ashrrev_i32_e32 v11, 31, v10
	v_lshl_add_u64 v[2:3], v[10:11], 1, v[2:3]
	s_ashr_i32 s21, s20, 31
	v_lshl_add_u64 v[2:3], s[20:21], 1, v[2:3]
	v_accvgpr_read_b32 v10, a20
	v_mov_b32_e32 v11, 0
	v_lshl_add_u64 v[2:3], v[2:3], 0, v[10:11]
	flat_load_dwordx2 v[2:3], v[2:3]
	v_accvgpr_read_b32 v7, a2
	v_lshlrev_b32_e32 v7, 2, v7
	v_and_b32_e32 v7, 0xff8, v7
	v_mad_u32_u24 v7, v0, s4, v7
	s_waitcnt vmcnt(0) lgkmcnt(0)
	ds_write_b64 v7, v[2:3]
.LBB265_4:
	s_or_b64 exec, exec, s[0:1]
	v_mul_lo_u32 v3, v35, v1
	v_sub_u32_e32 v3, s2, v3
	v_xor_b32_e32 v2, s3, v6
	v_add_u32_e32 v6, 1, v35
	v_cmp_ge_u32_e32 vcc, v3, v1
	v_sub_u32_e32 v7, v3, v1
	s_waitcnt lgkmcnt(0)
	v_cndmask_b32_e32 v6, v35, v6, vcc
	v_cndmask_b32_e32 v3, v3, v7, vcc
	v_add_u32_e32 v7, 1, v6
	v_cmp_ge_u32_e32 vcc, v3, v1
	v_sub_u32_e32 v3, 0, v27
	s_barrier
	v_cndmask_b32_e32 v1, v6, v7, vcc
	v_max_i32_e32 v6, v27, v3
	v_cvt_f32_u32_e32 v3, v6
	v_xor_b32_e32 v1, v1, v2
	v_sub_u32_e32 v30, v1, v2
	s_waitcnt vmcnt(0)
	v_accvgpr_read_b32 v2, a8
	v_rcp_iflag_f32_e32 v1, v3
	v_accvgpr_write_b32 a3, v6
	v_sub_u32_e32 v6, 0, v6
	v_add_u32_e32 v2, -1, v2
	v_mul_f32_e32 v1, 0x4f7ffffe, v1
	v_cvt_u32_f32_e32 v3, v1
	v_sub_u32_e32 v1, 0, v2
	v_max_i32_e32 v1, v2, v1
	v_cmp_gt_i32_e32 vcc, 0, v28
	v_mul_lo_u32 v6, v6, v3
	v_mul_hi_u32 v6, v3, v6
	v_add_u32_e32 v3, v3, v6
	v_accvgpr_write_b32 a7, v3
	v_mad_u64_u32 v[32:33], s[0:1], v1, v3, 0
	s_waitcnt lgkmcnt(0)
                                        ; implicit-def: $agpr10
	s_and_saveexec_b64 s[0:1], vcc
	s_xor_b64 s[0:1], exec, s[0:1]
; %bb.5:
	v_mad_u64_u32 v[6:7], s[2:3], v24, v8, v[30:31]
	v_mul_lo_u32 v3, v6, v28
	v_sub_u32_e32 v6, 1, v3
	v_accvgpr_write_b32 a10, v6
                                        ; implicit-def: $vgpr24
                                        ; implicit-def: $vgpr28
; %bb.6:
	s_or_saveexec_b64 s[0:1], s[0:1]
	v_ashrrev_i32_e32 v3, 31, v27
	v_ashrrev_i32_e32 v2, 31, v2
	v_accvgpr_write_b32 a9, v3
	s_xor_b64 exec, exec, s[0:1]
; %bb.7:
	v_mul_lo_u32 v3, s15, v24
	v_add_u32_e32 v3, s12, v3
	v_mad_u64_u32 v[6:7], s[2:3], v3, v28, 1
	v_accvgpr_write_b32 a10, v6
; %bb.8:
	s_or_b64 exec, exec, s[0:1]
	v_mul_lo_u32 v6, s16, v14
	v_ashrrev_i32_e32 v7, 31, v6
	v_accvgpr_write_b32 a23, v7
	v_accvgpr_write_b32 a22, v6
	v_accvgpr_read_b32 v3, a9
	v_accvgpr_read_b32 v7, a3
	v_xor_b32_e32 v2, v2, v3
	v_mul_lo_u32 v3, v33, v7
	v_sub_u32_e32 v1, v1, v3
	v_add_u32_e32 v3, 1, v33
	v_cmp_ge_u32_e32 vcc, v1, v7
	v_sub_u32_e32 v6, v1, v7
	s_load_dword s21, s[8:9], 0x14
	s_load_dword s17, s[8:9], 0x8
	v_cndmask_b32_e32 v3, v33, v3, vcc
	v_cndmask_b32_e32 v1, v1, v6, vcc
	v_add_u32_e32 v6, 1, v3
	v_cmp_ge_u32_e32 vcc, v1, v7
	v_mul_lo_u32 v8, v30, v19
	v_ashrrev_i32_e32 v9, 31, v8
	v_cndmask_b32_e32 v1, v3, v6, vcc
	v_xor_b32_e32 v1, v1, v2
	v_sub_u32_e32 v1, v1, v2
	v_accvgpr_read_b32 v2, a8
	v_add_u32_e32 v2, 31, v2
	v_ashrrev_i32_e32 v3, 31, v2
	v_lshrrev_b32_e32 v3, 27, v3
	v_add_u32_e32 v2, v2, v3
	v_sub_u32_e32 v1, v1, v25
	v_ashrrev_i32_e32 v3, 5, v2
	v_accvgpr_read_b32 v2, a2
	v_accvgpr_write_b32 a13, v1
	v_accvgpr_read_b32 v1, a15
	v_lshrrev_b32_e32 v6, 6, v2
	v_sub_u32_e32 v1, 0, v1
	v_accvgpr_write_b32 a24, v1
	v_lshlrev_b32_e32 v1, 5, v6
	v_accvgpr_write_b32 a27, v9
	v_accvgpr_write_b32 a14, v1
	v_lshrrev_b32_e32 v1, 4, v2
	v_accvgpr_write_b32 a11, v3
	v_cmp_lt_i32_e64 s[0:1], v6, v3
	v_mov_b32_e32 v3, 0xff7fffff
	v_accvgpr_write_b32 a26, v8
	v_accvgpr_write_b32 a12, v6
	;; [unrolled: 1-line block ×3, first 2 shown]
	v_mbcnt_lo_u32_b32 v2, -1, 0
	scratch_store_dword off, v3, s32 offset:152 ; 4-byte Folded Spill
	s_and_saveexec_b64 s[8:9], s[0:1]
	s_cbranch_execz .LBB265_498
; %bb.9:
	v_accvgpr_read_b32 v1, a2
	v_bfe_u32 v6, v1, 1, 5
	v_accvgpr_read_b32 v1, a15
	v_mov_b32_e32 v8, v2
	v_accvgpr_read_b32 v2, a24
	v_max_i32_e32 v7, v1, v2
	v_cvt_f32_u32_e32 v1, v7
	v_accvgpr_read_b32 v2, a26
	v_accvgpr_read_b32 v3, a27
	v_lshl_add_u64 v[2:3], v[4:5], 0, v[2:3]
	v_lshlrev_b32_e32 v4, 4, v6
	v_mov_b32_e32 v5, 0
	v_rcp_iflag_f32_e32 v1, v1
	v_lshl_add_u64 v[2:3], v[2:3], 0, v[4:5]
	v_accvgpr_write_b32 a35, v3
	v_cmp_eq_u32_e32 vcc, 0, v0
	v_accvgpr_write_b32 a34, v2
	v_lshlrev_b32_e32 v2, 2, v0
	v_mul_u32_u24_e32 v0, 0x78, v0
	v_accvgpr_write_b32 a33, v0
	v_mul_f32_e32 v0, 0x4f7ffffe, v1
	scratch_load_dword v1, off, s32 offset:156 ; 4-byte Folded Reload
	v_cvt_u32_f32_e32 v0, v0
	v_mov_b32_e32 v3, v5
	v_accvgpr_write_b32 a37, v3
	v_accvgpr_write_b32 a36, v2
	v_accvgpr_read_b32 v2, a12
	v_accvgpr_write_b32 a32, v7
	v_accvgpr_write_b32 a31, v6
	s_ashr_i32 s19, s18, 31
	s_lshl_b64 s[4:5], s[18:19], 2
	s_getpc_b64 s[6:7]
	s_add_u32 s6, s6, llvm.amdgcn.dynlds.offset.table@rel32@lo+4
	s_addc_u32 s7, s7, llvm.amdgcn.dynlds.offset.table@rel32@hi+12
	s_add_u32 s10, s4, s6
	v_lshlrev_b32_e32 v3, 5, v2
	s_addc_u32 s11, s5, s7
	s_mov_b64 s[12:13], 0
	s_movk_i32 s19, 0x7f
	s_movk_i32 s28, 0x80
	s_mov_b32 s29, 0x8000
	v_accvgpr_write_b32 a30, v8
	s_waitcnt vmcnt(0)
	v_cmp_neq_f32_e64 s[2:3], 0, v1
	v_sub_u32_e32 v1, 0, v7
	v_mul_lo_u32 v1, v1, v0
	v_mul_hi_u32 v1, v0, v1
	v_add_u32_e32 v0, v0, v1
	v_accvgpr_write_b32 a38, v0
	v_accvgpr_read_b32 v0, a8
	v_sub_u32_e32 v0, v6, v0
	v_add_u32_e32 v0, 1, v0
	v_accvgpr_write_b32 a40, v0
	v_lshlrev_b32_e32 v0, 2, v6
	v_lshl_or_b32 v0, v2, 7, v0
	v_accvgpr_write_b32 a41, v0
	v_accvgpr_read_b32 v0, a21
	v_and_b32_e32 v4, 60, v0
	v_accvgpr_read_b32 v0, a22
	v_accvgpr_read_b32 v1, a23
	;; [unrolled: 1-line block ×3, first 2 shown]
	v_lshl_add_u64 v[0:1], v[0:1], 2, v[4:5]
	v_accvgpr_read_b32 v7, a17
	v_lshl_add_u64 v[0:1], v[6:7], 0, v[0:1]
	v_accvgpr_write_b32 a43, v1
	v_accvgpr_write_b32 a42, v0
	v_mbcnt_hi_u32_b32 v0, -1, v8
	v_mov_b32_e32 v1, v3
	v_accvgpr_write_b32 a44, v0
	v_mov_b32_e32 v0, 0xff7fffff
	v_accvgpr_read_b32 v4, a12
	scratch_store_dword off, v0, s32 offset:152 ; 4-byte Folded Spill
	s_branch .LBB265_12
.LBB265_10:                             ;   in Loop: Header=BB265_12 Depth=1
	s_or_b64 exec, exec, s[22:23]
.LBB265_11:                             ;   in Loop: Header=BB265_12 Depth=1
	s_or_b64 exec, exec, s[6:7]
	v_accvgpr_read_b32 v0, a41
	v_accvgpr_read_b32 v2, a42
	;; [unrolled: 1-line block ×3, first 2 shown]
	v_add_u32_e32 v0, 0x100, v0
	v_accvgpr_read_b32 v3, a43
	v_add_u32_e32 v4, 2, v4
	v_accvgpr_write_b32 a41, v0
	v_accvgpr_read_b32 v0, a11
	v_lshl_add_u64 v[2:3], v[2:3], 0, 8
	s_waitcnt lgkmcnt(0)
	v_accvgpr_read_b32 v1, a39
	v_cmp_ge_i32_e64 s[4:5], v4, v0
	v_accvgpr_write_b32 a43, v3
	v_add_u32_e32 v1, 64, v1
	s_or_b64 s[12:13], s[4:5], s[12:13]
	v_accvgpr_write_b32 a42, v2
	s_andn2_b64 exec, exec, s[12:13]
	s_cbranch_execz .LBB265_497
.LBB265_12:                             ; =>This Inner Loop Header: Depth=1
	v_accvgpr_read_b32 v0, a7
	v_mul_hi_u32 v0, v1, v0
	v_accvgpr_read_b32 v3, a3
	v_mov_b32_e32 v2, v1
	v_mul_lo_u32 v1, v0, v3
	v_sub_u32_e32 v1, v2, v1
	v_accvgpr_write_b32 a39, v2
	v_add_u32_e32 v2, 1, v0
	v_cmp_ge_u32_e64 s[4:5], v1, v3
	v_accvgpr_write_b32 a45, v4
	v_accvgpr_read_b32 v4, a38
	v_cndmask_b32_e64 v0, v0, v2, s[4:5]
	v_sub_u32_e32 v2, v1, v3
	v_cndmask_b32_e64 v1, v1, v2, s[4:5]
	v_add_u32_e32 v2, 1, v0
	v_cmp_ge_u32_e64 s[4:5], v1, v3
	v_accvgpr_read_b32 v1, a9
	s_nop 0
	v_cndmask_b32_e64 v0, v0, v2, s[4:5]
	v_xor_b32_e32 v0, v0, v1
	v_sub_u32_e32 v0, v0, v1
	v_accvgpr_read_b32 v2, a10
	v_add_u32_e32 v1, v0, v2
	v_sub_u32_e32 v3, 0, v1
	v_ashrrev_i32_e32 v2, 31, v1
	v_max_i32_e32 v1, v1, v3
	v_mul_hi_u32 v3, v1, v4
	v_accvgpr_read_b32 v4, a32
	v_mul_lo_u32 v3, v3, v4
	v_sub_u32_e32 v1, v1, v3
	v_sub_u32_e32 v3, v1, v4
	v_cmp_ge_u32_e64 s[4:5], v1, v4
	s_nop 1
	v_cndmask_b32_e64 v1, v1, v3, s[4:5]
	v_sub_u32_e32 v3, v1, v4
	v_cmp_ge_u32_e64 s[4:5], v1, v4
	s_nop 1
	v_cndmask_b32_e64 v1, v1, v3, s[4:5]
	v_xor_b32_e32 v1, v1, v2
	v_sub_u32_e32 v1, v1, v2
	v_cmp_ne_u32_e64 s[4:5], 0, v1
	v_accvgpr_read_b32 v1, a13
	v_cmp_le_i32_e64 s[6:7], v0, v1
	s_and_b64 s[4:5], s[4:5], s[6:7]
	s_and_b64 s[22:23], vcc, s[4:5]
	s_and_saveexec_b64 s[6:7], s[22:23]
	s_cbranch_execz .LBB265_14
; %bb.13:                               ;   in Loop: Header=BB265_12 Depth=1
	s_load_dword s22, s[10:11], 0x0
	v_accvgpr_read_b32 v0, a41
	v_mov_b32_e32 v1, 0xff7fffff
	s_waitcnt lgkmcnt(0)
	v_add_u32_e32 v0, s22, v0
	ds_write_b32 v0, v1
.LBB265_14:                             ;   in Loop: Header=BB265_12 Depth=1
	s_or_b64 exec, exec, s[6:7]
	s_xor_b64 s[4:5], s[4:5], -1
	s_and_saveexec_b64 s[6:7], s[4:5]
	s_cbranch_execz .LBB265_11
; %bb.15:                               ;   in Loop: Header=BB265_12 Depth=1
	v_accvgpr_read_b32 v0, a42
	v_accvgpr_read_b32 v1, a43
	flat_load_dword v0, v[0:1]
	v_accvgpr_read_b32 v6, a34
	v_accvgpr_read_b32 v2, a6
	;; [unrolled: 1-line block ×3, first 2 shown]
                                        ; implicit-def: $sgpr26
	s_waitcnt vmcnt(0) lgkmcnt(0)
	v_mad_i64_i32 v[0:1], s[4:5], v0, v2, v[6:7]
	v_accvgpr_read_b32 v2, a36
	v_accvgpr_read_b32 v3, a37
	v_lshl_add_u64 v[32:33], v[0:1], 0, v[2:3]
	v_accvgpr_read_b32 v0, a28
	flat_load_dword v34, v[32:33]
	v_accvgpr_read_b32 v1, a29
	flat_load_dword v47, v[0:1]
	s_mov_b64 s[4:5], 0
	s_waitcnt vmcnt(0) lgkmcnt(0)
	v_cmp_gt_i16_sdwa s[22:23], v34, s19 src0_sel:BYTE_0 src1_sel:DWORD
	s_and_saveexec_b64 s[24:25], s[22:23]
	s_xor_b64 s[22:23], exec, s[24:25]
	s_cbranch_execnz .LBB265_273
; %bb.16:                               ;   in Loop: Header=BB265_12 Depth=1
	s_or_saveexec_b64 s[22:23], s[22:23]
	v_mov_b32_e32 v37, s26
	s_xor_b64 exec, exec, s[22:23]
	s_cbranch_execnz .LBB265_276
.LBB265_17:                             ;   in Loop: Header=BB265_12 Depth=1
	s_or_b64 exec, exec, s[22:23]
	s_and_saveexec_b64 s[22:23], s[4:5]
	s_cbranch_execz .LBB265_19
.LBB265_18:                             ;   in Loop: Header=BB265_12 Depth=1
	v_and_b32_e32 v2, 7, v34
	v_ffbh_u32_e32 v0, v2
	v_min_u32_e32 v4, 32, v0
	v_subrev_u32_e32 v0, 28, v4
	v_bfe_u32 v3, v34, 3, 4
	v_lshlrev_b64 v[0:1], v0, v[34:35]
	v_sub_u32_e32 v1, 29, v4
	v_cmp_eq_u32_e64 s[4:5], 0, v3
	v_and_b32_e32 v0, 7, v0
	s_nop 0
	v_cndmask_b32_e64 v1, v3, v1, s[4:5]
	v_mov_b32_e32 v3, 0x1c00
	v_cndmask_b32_e64 v0, v2, v0, s[4:5]
	v_lshlrev_b32_e32 v2, 8, v34
	v_lshl_add_u32 v1, v1, 10, v3
	v_and_or_b32 v1, v2, s29, v1
	v_lshl_or_b32 v0, v0, 7, v1
	v_cvt_f32_f16_e32 v37, v0
.LBB265_19:                             ;   in Loop: Header=BB265_12 Depth=1
	s_or_b64 exec, exec, s[22:23]
	v_lshrrev_b16_e32 v4, 8, v34
	v_cmp_lt_i16_e64 s[4:5], s19, v4
	s_mov_b64 s[22:23], 0
                                        ; implicit-def: $sgpr30
	s_and_saveexec_b64 s[24:25], s[4:5]
	s_xor_b64 s[24:25], exec, s[24:25]
	s_cbranch_execnz .LBB265_277
; %bb.20:                               ;   in Loop: Header=BB265_12 Depth=1
	s_or_saveexec_b64 s[24:25], s[24:25]
	v_mov_b32_e32 v13, s30
	s_xor_b64 exec, exec, s[24:25]
	s_cbranch_execnz .LBB265_280
.LBB265_21:                             ;   in Loop: Header=BB265_12 Depth=1
	s_or_b64 exec, exec, s[24:25]
	s_and_saveexec_b64 s[24:25], s[22:23]
	s_cbranch_execz .LBB265_23
.LBB265_22:                             ;   in Loop: Header=BB265_12 Depth=1
	v_and_b32_e32 v2, 7, v4
	v_ffbh_u32_e32 v0, v2
	v_min_u32_e32 v6, 32, v0
	v_subrev_u32_e32 v0, 28, v6
	v_bfe_u32 v3, v4, 3, 4
	v_lshlrev_b64 v[0:1], v0, v[4:5]
	v_sub_u32_e32 v1, 29, v6
	v_cmp_eq_u32_e64 s[4:5], 0, v3
	v_and_b32_e32 v0, 7, v0
	s_nop 0
	v_cndmask_b32_e64 v1, v3, v1, s[4:5]
	v_mov_b32_e32 v3, 0x1c00
	v_cndmask_b32_e64 v0, v2, v0, s[4:5]
	v_lshlrev_b32_e32 v2, 8, v4
	v_lshl_add_u32 v1, v1, 10, v3
	v_and_or_b32 v1, v2, s29, v1
	v_lshl_or_b32 v0, v0, 7, v1
	v_cvt_f32_f16_e32 v13, v0
.LBB265_23:                             ;   in Loop: Header=BB265_12 Depth=1
	s_or_b64 exec, exec, s[24:25]
	v_lshrrev_b32_e32 v4, 16, v34
	v_cmp_gt_i16_sdwa s[22:23], v4, s19 src0_sel:BYTE_0 src1_sel:DWORD
	s_mov_b64 s[4:5], 0
                                        ; implicit-def: $sgpr26
	s_and_saveexec_b64 s[24:25], s[22:23]
	s_xor_b64 s[22:23], exec, s[24:25]
	s_cbranch_execnz .LBB265_281
; %bb.24:                               ;   in Loop: Header=BB265_12 Depth=1
	s_or_saveexec_b64 s[22:23], s[22:23]
	v_mov_b32_e32 v14, s26
	s_xor_b64 exec, exec, s[22:23]
	s_cbranch_execnz .LBB265_284
.LBB265_25:                             ;   in Loop: Header=BB265_12 Depth=1
	s_or_b64 exec, exec, s[22:23]
	s_and_saveexec_b64 s[22:23], s[4:5]
	s_cbranch_execz .LBB265_27
.LBB265_26:                             ;   in Loop: Header=BB265_12 Depth=1
	v_bfe_u32 v2, v34, 16, 3
	v_ffbh_u32_e32 v0, v2
	v_min_u32_e32 v6, 32, v0
	v_subrev_u32_e32 v0, 28, v6
	v_bfe_u32 v3, v34, 19, 4
	v_lshlrev_b64 v[0:1], v0, v[4:5]
	v_sub_u32_e32 v1, 29, v6
	v_cmp_eq_u32_e64 s[4:5], 0, v3
	v_and_b32_e32 v0, 7, v0
	s_nop 0
	v_cndmask_b32_e64 v1, v3, v1, s[4:5]
	v_mov_b32_e32 v3, 0x1c00
	v_cndmask_b32_e64 v0, v2, v0, s[4:5]
	v_lshlrev_b32_e32 v2, 8, v4
	v_lshl_add_u32 v1, v1, 10, v3
	v_and_or_b32 v1, v2, s29, v1
	v_lshl_or_b32 v0, v0, 7, v1
	v_cvt_f32_f16_e32 v14, v0
.LBB265_27:                             ;   in Loop: Header=BB265_12 Depth=1
	s_or_b64 exec, exec, s[22:23]
	v_lshrrev_b32_e32 v4, 24, v34
	v_cmp_lt_i16_e64 s[4:5], s19, v4
	s_mov_b64 s[22:23], 0
                                        ; implicit-def: $sgpr30
	s_and_saveexec_b64 s[24:25], s[4:5]
	s_xor_b64 s[24:25], exec, s[24:25]
	s_cbranch_execnz .LBB265_285
; %bb.28:                               ;   in Loop: Header=BB265_12 Depth=1
	s_or_saveexec_b64 s[24:25], s[24:25]
	v_mov_b32_e32 v15, s30
	s_xor_b64 exec, exec, s[24:25]
	s_cbranch_execnz .LBB265_288
.LBB265_29:                             ;   in Loop: Header=BB265_12 Depth=1
	s_or_b64 exec, exec, s[24:25]
	s_and_saveexec_b64 s[24:25], s[22:23]
	s_cbranch_execz .LBB265_31
.LBB265_30:                             ;   in Loop: Header=BB265_12 Depth=1
	v_bfe_u32 v2, v34, 24, 3
	v_ffbh_u32_e32 v0, v2
	v_min_u32_e32 v6, 32, v0
	v_subrev_u32_e32 v0, 28, v6
	v_bfe_u32 v3, v34, 27, 4
	v_lshlrev_b64 v[0:1], v0, v[4:5]
	v_sub_u32_e32 v1, 29, v6
	v_cmp_eq_u32_e64 s[4:5], 0, v3
	v_and_b32_e32 v0, 7, v0
	s_nop 0
	v_cndmask_b32_e64 v1, v3, v1, s[4:5]
	v_mov_b32_e32 v3, 0x1c00
	v_cndmask_b32_e64 v0, v2, v0, s[4:5]
	v_lshlrev_b32_e32 v2, 8, v4
	v_lshl_add_u32 v1, v1, 10, v3
	v_and_or_b32 v1, v2, s29, v1
	v_lshl_or_b32 v0, v0, 7, v1
	v_cvt_f32_f16_e32 v15, v0
.LBB265_31:                             ;   in Loop: Header=BB265_12 Depth=1
	s_or_b64 exec, exec, s[24:25]
	flat_load_dword v34, v[32:33] offset:8
	s_mov_b64 s[4:5], 0
                                        ; implicit-def: $sgpr26
	s_waitcnt vmcnt(0) lgkmcnt(0)
	v_cmp_gt_i16_sdwa s[22:23], v34, s19 src0_sel:BYTE_0 src1_sel:DWORD
	s_and_saveexec_b64 s[24:25], s[22:23]
	s_xor_b64 s[22:23], exec, s[24:25]
	s_cbranch_execnz .LBB265_289
; %bb.32:                               ;   in Loop: Header=BB265_12 Depth=1
	s_or_saveexec_b64 s[22:23], s[22:23]
	v_mov_b32_e32 v0, s26
	s_xor_b64 exec, exec, s[22:23]
	s_cbranch_execnz .LBB265_292
.LBB265_33:                             ;   in Loop: Header=BB265_12 Depth=1
	s_or_b64 exec, exec, s[22:23]
	s_and_saveexec_b64 s[22:23], s[4:5]
	s_cbranch_execz .LBB265_35
.LBB265_34:                             ;   in Loop: Header=BB265_12 Depth=1
	v_and_b32_e32 v2, 7, v34
	v_ffbh_u32_e32 v0, v2
	v_min_u32_e32 v4, 32, v0
	v_subrev_u32_e32 v0, 28, v4
	v_bfe_u32 v3, v34, 3, 4
	v_lshlrev_b64 v[0:1], v0, v[34:35]
	v_sub_u32_e32 v1, 29, v4
	v_cmp_eq_u32_e64 s[4:5], 0, v3
	v_and_b32_e32 v0, 7, v0
	s_nop 0
	v_cndmask_b32_e64 v1, v3, v1, s[4:5]
	v_mov_b32_e32 v3, 0x1c00
	v_cndmask_b32_e64 v0, v2, v0, s[4:5]
	v_lshlrev_b32_e32 v2, 8, v34
	v_lshl_add_u32 v1, v1, 10, v3
	v_and_or_b32 v1, v2, s29, v1
	v_lshl_or_b32 v0, v0, 7, v1
	v_cvt_f32_f16_e32 v0, v0
.LBB265_35:                             ;   in Loop: Header=BB265_12 Depth=1
	s_or_b64 exec, exec, s[22:23]
	v_lshrrev_b16_e32 v4, 8, v34
	v_accvgpr_write_b32 a50, v0
	v_cmp_lt_i16_e64 s[4:5], s19, v4
	s_mov_b64 s[22:23], 0
                                        ; implicit-def: $sgpr30
	s_and_saveexec_b64 s[24:25], s[4:5]
	s_xor_b64 s[24:25], exec, s[24:25]
	s_cbranch_execz .LBB265_39
; %bb.36:                               ;   in Loop: Header=BB265_12 Depth=1
	v_cmp_eq_u16_e64 s[4:5], s28, v4
	s_mov_b64 s[22:23], -1
                                        ; implicit-def: $sgpr30
	s_and_saveexec_b64 s[26:27], s[4:5]
; %bb.37:                               ;   in Loop: Header=BB265_12 Depth=1
	s_mov_b32 s30, 0x7fc02000
	s_xor_b64 s[22:23], exec, -1
; %bb.38:                               ;   in Loop: Header=BB265_12 Depth=1
	s_or_b64 exec, exec, s[26:27]
	s_and_b64 s[22:23], s[22:23], exec
.LBB265_39:                             ;   in Loop: Header=BB265_12 Depth=1
	s_or_saveexec_b64 s[24:25], s[24:25]
	v_mov_b32_e32 v0, s30
	scratch_store_dword off, v0, s32 offset:144 ; 4-byte Folded Spill
	s_xor_b64 exec, exec, s[24:25]
	s_cbranch_execz .LBB265_41
; %bb.40:                               ;   in Loop: Header=BB265_12 Depth=1
	v_cmp_ne_u16_e64 s[4:5], 0, v4
	s_andn2_b64 s[22:23], s[22:23], exec
	s_and_b64 s[4:5], s[4:5], exec
	v_mov_b32_e32 v0, 0
	s_or_b64 s[22:23], s[22:23], s[4:5]
	scratch_store_dword off, v0, s32 offset:144 ; 4-byte Folded Spill
.LBB265_41:                             ;   in Loop: Header=BB265_12 Depth=1
	s_or_b64 exec, exec, s[24:25]
	s_and_saveexec_b64 s[24:25], s[22:23]
	s_cbranch_execz .LBB265_43
; %bb.42:                               ;   in Loop: Header=BB265_12 Depth=1
	v_and_b32_e32 v2, 7, v4
	v_ffbh_u32_e32 v0, v2
	v_min_u32_e32 v6, 32, v0
	v_subrev_u32_e32 v0, 28, v6
	v_bfe_u32 v3, v4, 3, 4
	v_lshlrev_b64 v[0:1], v0, v[4:5]
	v_sub_u32_e32 v1, 29, v6
	v_cmp_eq_u32_e64 s[4:5], 0, v3
	v_and_b32_e32 v0, 7, v0
	s_nop 0
	v_cndmask_b32_e64 v1, v3, v1, s[4:5]
	v_mov_b32_e32 v3, 0x1c00
	v_cndmask_b32_e64 v0, v2, v0, s[4:5]
	v_lshlrev_b32_e32 v2, 8, v4
	v_lshl_add_u32 v1, v1, 10, v3
	v_and_or_b32 v1, v2, s29, v1
	v_lshl_or_b32 v0, v0, 7, v1
	v_cvt_f32_f16_e32 v0, v0
	scratch_store_dword off, v0, s32 offset:144 ; 4-byte Folded Spill
.LBB265_43:                             ;   in Loop: Header=BB265_12 Depth=1
	s_or_b64 exec, exec, s[24:25]
	v_lshrrev_b32_e32 v4, 16, v34
	v_cmp_gt_i16_sdwa s[22:23], v4, s19 src0_sel:BYTE_0 src1_sel:DWORD
	s_mov_b64 s[4:5], 0
                                        ; implicit-def: $sgpr26
	s_and_saveexec_b64 s[24:25], s[22:23]
	s_xor_b64 s[22:23], exec, s[24:25]
	s_cbranch_execz .LBB265_47
; %bb.44:                               ;   in Loop: Header=BB265_12 Depth=1
	v_cmp_eq_u16_sdwa s[30:31], v4, s28 src0_sel:BYTE_0 src1_sel:DWORD
	s_mov_b64 s[4:5], -1
                                        ; implicit-def: $sgpr26
	s_and_saveexec_b64 s[24:25], s[30:31]
; %bb.45:                               ;   in Loop: Header=BB265_12 Depth=1
	s_mov_b32 s26, 0x7fc02000
	s_xor_b64 s[4:5], exec, -1
; %bb.46:                               ;   in Loop: Header=BB265_12 Depth=1
	s_or_b64 exec, exec, s[24:25]
	s_and_b64 s[4:5], s[4:5], exec
.LBB265_47:                             ;   in Loop: Header=BB265_12 Depth=1
	s_or_saveexec_b64 s[22:23], s[22:23]
	v_mov_b32_e32 v0, s26
	scratch_store_dword off, v0, s32 offset:148 ; 4-byte Folded Spill
	s_xor_b64 exec, exec, s[22:23]
	s_cbranch_execz .LBB265_49
; %bb.48:                               ;   in Loop: Header=BB265_12 Depth=1
	v_cmp_ne_u16_sdwa s[24:25], v4, v5 src0_sel:BYTE_0 src1_sel:DWORD
	s_andn2_b64 s[4:5], s[4:5], exec
	s_and_b64 s[24:25], s[24:25], exec
	v_mov_b32_e32 v0, 0
	s_or_b64 s[4:5], s[4:5], s[24:25]
	scratch_store_dword off, v0, s32 offset:148 ; 4-byte Folded Spill
.LBB265_49:                             ;   in Loop: Header=BB265_12 Depth=1
	s_or_b64 exec, exec, s[22:23]
	s_and_saveexec_b64 s[22:23], s[4:5]
	s_cbranch_execz .LBB265_51
; %bb.50:                               ;   in Loop: Header=BB265_12 Depth=1
	v_bfe_u32 v2, v34, 16, 3
	v_ffbh_u32_e32 v0, v2
	v_min_u32_e32 v6, 32, v0
	v_subrev_u32_e32 v0, 28, v6
	v_bfe_u32 v3, v34, 19, 4
	v_lshlrev_b64 v[0:1], v0, v[4:5]
	v_sub_u32_e32 v1, 29, v6
	v_cmp_eq_u32_e64 s[4:5], 0, v3
	v_and_b32_e32 v0, 7, v0
	s_nop 0
	v_cndmask_b32_e64 v1, v3, v1, s[4:5]
	v_mov_b32_e32 v3, 0x1c00
	v_cndmask_b32_e64 v0, v2, v0, s[4:5]
	v_lshlrev_b32_e32 v2, 8, v4
	v_lshl_add_u32 v1, v1, 10, v3
	v_and_or_b32 v1, v2, s29, v1
	v_lshl_or_b32 v0, v0, 7, v1
	v_cvt_f32_f16_e32 v0, v0
	scratch_store_dword off, v0, s32 offset:148 ; 4-byte Folded Spill
.LBB265_51:                             ;   in Loop: Header=BB265_12 Depth=1
	s_or_b64 exec, exec, s[22:23]
	v_lshrrev_b32_e32 v4, 24, v34
	v_cmp_lt_i16_e64 s[4:5], s19, v4
	s_mov_b64 s[22:23], 0
                                        ; implicit-def: $sgpr30
	s_and_saveexec_b64 s[24:25], s[4:5]
	s_xor_b64 s[24:25], exec, s[24:25]
	s_cbranch_execnz .LBB265_293
; %bb.52:                               ;   in Loop: Header=BB265_12 Depth=1
	s_or_saveexec_b64 s[24:25], s[24:25]
	v_mov_b32_e32 v48, s30
	s_xor_b64 exec, exec, s[24:25]
	s_cbranch_execnz .LBB265_296
.LBB265_53:                             ;   in Loop: Header=BB265_12 Depth=1
	s_or_b64 exec, exec, s[24:25]
	s_and_saveexec_b64 s[24:25], s[22:23]
	s_cbranch_execz .LBB265_55
.LBB265_54:                             ;   in Loop: Header=BB265_12 Depth=1
	v_bfe_u32 v2, v34, 24, 3
	v_ffbh_u32_e32 v0, v2
	v_min_u32_e32 v6, 32, v0
	v_subrev_u32_e32 v0, 28, v6
	v_bfe_u32 v3, v34, 27, 4
	v_lshlrev_b64 v[0:1], v0, v[4:5]
	v_sub_u32_e32 v1, 29, v6
	v_cmp_eq_u32_e64 s[4:5], 0, v3
	v_and_b32_e32 v0, 7, v0
	s_nop 0
	v_cndmask_b32_e64 v1, v3, v1, s[4:5]
	v_mov_b32_e32 v3, 0x1c00
	v_cndmask_b32_e64 v0, v2, v0, s[4:5]
	v_lshlrev_b32_e32 v2, 8, v4
	v_lshl_add_u32 v1, v1, 10, v3
	v_and_or_b32 v1, v2, s29, v1
	v_lshl_or_b32 v0, v0, 7, v1
	v_cvt_f32_f16_e32 v48, v0
.LBB265_55:                             ;   in Loop: Header=BB265_12 Depth=1
	s_or_b64 exec, exec, s[24:25]
	flat_load_dword v34, v[32:33] offset:512
	s_mov_b64 s[4:5], 0
                                        ; implicit-def: $sgpr26
	s_waitcnt vmcnt(0) lgkmcnt(0)
	v_cmp_gt_i16_sdwa s[22:23], v34, s19 src0_sel:BYTE_0 src1_sel:DWORD
	s_and_saveexec_b64 s[24:25], s[22:23]
	s_xor_b64 s[22:23], exec, s[24:25]
	s_cbranch_execnz .LBB265_297
; %bb.56:                               ;   in Loop: Header=BB265_12 Depth=1
	s_or_saveexec_b64 s[22:23], s[22:23]
	v_mov_b32_e32 v49, s26
	s_xor_b64 exec, exec, s[22:23]
	s_cbranch_execnz .LBB265_300
.LBB265_57:                             ;   in Loop: Header=BB265_12 Depth=1
	s_or_b64 exec, exec, s[22:23]
	s_and_saveexec_b64 s[22:23], s[4:5]
	s_cbranch_execz .LBB265_59
.LBB265_58:                             ;   in Loop: Header=BB265_12 Depth=1
	v_and_b32_e32 v2, 7, v34
	v_ffbh_u32_e32 v0, v2
	v_min_u32_e32 v4, 32, v0
	v_subrev_u32_e32 v0, 28, v4
	v_bfe_u32 v3, v34, 3, 4
	v_lshlrev_b64 v[0:1], v0, v[34:35]
	v_sub_u32_e32 v1, 29, v4
	v_cmp_eq_u32_e64 s[4:5], 0, v3
	v_and_b32_e32 v0, 7, v0
	s_nop 0
	v_cndmask_b32_e64 v1, v3, v1, s[4:5]
	v_mov_b32_e32 v3, 0x1c00
	v_cndmask_b32_e64 v0, v2, v0, s[4:5]
	v_lshlrev_b32_e32 v2, 8, v34
	v_lshl_add_u32 v1, v1, 10, v3
	v_and_or_b32 v1, v2, s29, v1
	v_lshl_or_b32 v0, v0, 7, v1
	v_cvt_f32_f16_e32 v49, v0
.LBB265_59:                             ;   in Loop: Header=BB265_12 Depth=1
	s_or_b64 exec, exec, s[22:23]
	v_lshrrev_b16_e32 v4, 8, v34
	v_cmp_lt_i16_e64 s[4:5], s19, v4
	s_mov_b64 s[22:23], 0
                                        ; implicit-def: $sgpr30
	s_and_saveexec_b64 s[24:25], s[4:5]
	s_xor_b64 s[24:25], exec, s[24:25]
	s_cbranch_execz .LBB265_63
; %bb.60:                               ;   in Loop: Header=BB265_12 Depth=1
	v_cmp_eq_u16_e64 s[4:5], s28, v4
	s_mov_b64 s[22:23], -1
                                        ; implicit-def: $sgpr30
	s_and_saveexec_b64 s[26:27], s[4:5]
; %bb.61:                               ;   in Loop: Header=BB265_12 Depth=1
	s_mov_b32 s30, 0x7fc02000
	s_xor_b64 s[22:23], exec, -1
; %bb.62:                               ;   in Loop: Header=BB265_12 Depth=1
	s_or_b64 exec, exec, s[26:27]
	s_and_b64 s[22:23], s[22:23], exec
.LBB265_63:                             ;   in Loop: Header=BB265_12 Depth=1
	s_or_saveexec_b64 s[24:25], s[24:25]
	v_mov_b32_e32 v0, s30
	scratch_store_dword off, v0, s32 offset:140 ; 4-byte Folded Spill
	s_xor_b64 exec, exec, s[24:25]
	s_cbranch_execz .LBB265_65
; %bb.64:                               ;   in Loop: Header=BB265_12 Depth=1
	v_cmp_ne_u16_e64 s[4:5], 0, v4
	s_andn2_b64 s[22:23], s[22:23], exec
	s_and_b64 s[4:5], s[4:5], exec
	v_mov_b32_e32 v0, 0
	s_or_b64 s[22:23], s[22:23], s[4:5]
	scratch_store_dword off, v0, s32 offset:140 ; 4-byte Folded Spill
.LBB265_65:                             ;   in Loop: Header=BB265_12 Depth=1
	s_or_b64 exec, exec, s[24:25]
	s_and_saveexec_b64 s[24:25], s[22:23]
	s_cbranch_execz .LBB265_67
; %bb.66:                               ;   in Loop: Header=BB265_12 Depth=1
	v_and_b32_e32 v2, 7, v4
	v_ffbh_u32_e32 v0, v2
	v_min_u32_e32 v6, 32, v0
	v_subrev_u32_e32 v0, 28, v6
	v_bfe_u32 v3, v4, 3, 4
	v_lshlrev_b64 v[0:1], v0, v[4:5]
	v_sub_u32_e32 v1, 29, v6
	v_cmp_eq_u32_e64 s[4:5], 0, v3
	v_and_b32_e32 v0, 7, v0
	s_nop 0
	v_cndmask_b32_e64 v1, v3, v1, s[4:5]
	v_mov_b32_e32 v3, 0x1c00
	v_cndmask_b32_e64 v0, v2, v0, s[4:5]
	v_lshlrev_b32_e32 v2, 8, v4
	v_lshl_add_u32 v1, v1, 10, v3
	v_and_or_b32 v1, v2, s29, v1
	v_lshl_or_b32 v0, v0, 7, v1
	v_cvt_f32_f16_e32 v0, v0
	scratch_store_dword off, v0, s32 offset:140 ; 4-byte Folded Spill
.LBB265_67:                             ;   in Loop: Header=BB265_12 Depth=1
	s_or_b64 exec, exec, s[24:25]
	v_lshrrev_b32_e32 v4, 16, v34
	v_cmp_gt_i16_sdwa s[22:23], v4, s19 src0_sel:BYTE_0 src1_sel:DWORD
	s_mov_b64 s[4:5], 0
                                        ; implicit-def: $sgpr26
	s_and_saveexec_b64 s[24:25], s[22:23]
	s_xor_b64 s[22:23], exec, s[24:25]
	s_cbranch_execnz .LBB265_301
; %bb.68:                               ;   in Loop: Header=BB265_12 Depth=1
	s_or_saveexec_b64 s[22:23], s[22:23]
	v_mov_b32_e32 v46, s26
	s_xor_b64 exec, exec, s[22:23]
	s_cbranch_execnz .LBB265_304
.LBB265_69:                             ;   in Loop: Header=BB265_12 Depth=1
	s_or_b64 exec, exec, s[22:23]
	s_and_saveexec_b64 s[22:23], s[4:5]
	s_cbranch_execz .LBB265_71
.LBB265_70:                             ;   in Loop: Header=BB265_12 Depth=1
	v_bfe_u32 v2, v34, 16, 3
	v_ffbh_u32_e32 v0, v2
	v_min_u32_e32 v6, 32, v0
	v_subrev_u32_e32 v0, 28, v6
	v_bfe_u32 v3, v34, 19, 4
	v_lshlrev_b64 v[0:1], v0, v[4:5]
	v_sub_u32_e32 v1, 29, v6
	v_cmp_eq_u32_e64 s[4:5], 0, v3
	v_and_b32_e32 v0, 7, v0
	s_nop 0
	v_cndmask_b32_e64 v1, v3, v1, s[4:5]
	v_mov_b32_e32 v3, 0x1c00
	v_cndmask_b32_e64 v0, v2, v0, s[4:5]
	v_lshlrev_b32_e32 v2, 8, v4
	v_lshl_add_u32 v1, v1, 10, v3
	v_and_or_b32 v1, v2, s29, v1
	v_lshl_or_b32 v0, v0, 7, v1
	v_cvt_f32_f16_e32 v46, v0
.LBB265_71:                             ;   in Loop: Header=BB265_12 Depth=1
	s_or_b64 exec, exec, s[22:23]
	v_lshrrev_b32_e32 v4, 24, v34
	v_cmp_lt_i16_e64 s[4:5], s19, v4
	s_mov_b64 s[22:23], 0
                                        ; implicit-def: $sgpr30
	s_and_saveexec_b64 s[24:25], s[4:5]
	s_xor_b64 s[24:25], exec, s[24:25]
	s_cbranch_execnz .LBB265_305
; %bb.72:                               ;   in Loop: Header=BB265_12 Depth=1
	s_or_saveexec_b64 s[24:25], s[24:25]
	v_mov_b32_e32 v53, s30
	s_xor_b64 exec, exec, s[24:25]
	s_cbranch_execnz .LBB265_308
.LBB265_73:                             ;   in Loop: Header=BB265_12 Depth=1
	s_or_b64 exec, exec, s[24:25]
	s_and_saveexec_b64 s[24:25], s[22:23]
	s_cbranch_execz .LBB265_75
.LBB265_74:                             ;   in Loop: Header=BB265_12 Depth=1
	v_bfe_u32 v2, v34, 24, 3
	v_ffbh_u32_e32 v0, v2
	v_min_u32_e32 v6, 32, v0
	v_subrev_u32_e32 v0, 28, v6
	v_bfe_u32 v3, v34, 27, 4
	v_lshlrev_b64 v[0:1], v0, v[4:5]
	v_sub_u32_e32 v1, 29, v6
	v_cmp_eq_u32_e64 s[4:5], 0, v3
	v_and_b32_e32 v0, 7, v0
	s_nop 0
	v_cndmask_b32_e64 v1, v3, v1, s[4:5]
	v_mov_b32_e32 v3, 0x1c00
	v_cndmask_b32_e64 v0, v2, v0, s[4:5]
	v_lshlrev_b32_e32 v2, 8, v4
	v_lshl_add_u32 v1, v1, 10, v3
	v_and_or_b32 v1, v2, s29, v1
	v_lshl_or_b32 v0, v0, 7, v1
	v_cvt_f32_f16_e32 v53, v0
.LBB265_75:                             ;   in Loop: Header=BB265_12 Depth=1
	s_or_b64 exec, exec, s[24:25]
	flat_load_dword v34, v[32:33] offset:520
	s_mov_b64 s[4:5], 0
                                        ; implicit-def: $sgpr26
	s_waitcnt vmcnt(0) lgkmcnt(0)
	v_cmp_gt_i16_sdwa s[22:23], v34, s19 src0_sel:BYTE_0 src1_sel:DWORD
	s_and_saveexec_b64 s[24:25], s[22:23]
	s_xor_b64 s[22:23], exec, s[24:25]
	s_cbranch_execnz .LBB265_309
; %bb.76:                               ;   in Loop: Header=BB265_12 Depth=1
	s_or_saveexec_b64 s[22:23], s[22:23]
	v_mov_b32_e32 v42, s26
	s_xor_b64 exec, exec, s[22:23]
	s_cbranch_execnz .LBB265_312
.LBB265_77:                             ;   in Loop: Header=BB265_12 Depth=1
	s_or_b64 exec, exec, s[22:23]
	s_and_saveexec_b64 s[22:23], s[4:5]
	s_cbranch_execz .LBB265_79
.LBB265_78:                             ;   in Loop: Header=BB265_12 Depth=1
	v_and_b32_e32 v2, 7, v34
	v_ffbh_u32_e32 v0, v2
	v_min_u32_e32 v4, 32, v0
	v_subrev_u32_e32 v0, 28, v4
	v_bfe_u32 v3, v34, 3, 4
	v_lshlrev_b64 v[0:1], v0, v[34:35]
	v_sub_u32_e32 v1, 29, v4
	v_cmp_eq_u32_e64 s[4:5], 0, v3
	v_and_b32_e32 v0, 7, v0
	s_nop 0
	v_cndmask_b32_e64 v1, v3, v1, s[4:5]
	v_mov_b32_e32 v3, 0x1c00
	v_cndmask_b32_e64 v0, v2, v0, s[4:5]
	v_lshlrev_b32_e32 v2, 8, v34
	v_lshl_add_u32 v1, v1, 10, v3
	v_and_or_b32 v1, v2, s29, v1
	v_lshl_or_b32 v0, v0, 7, v1
	v_cvt_f32_f16_e32 v42, v0
.LBB265_79:                             ;   in Loop: Header=BB265_12 Depth=1
	s_or_b64 exec, exec, s[22:23]
	v_lshrrev_b16_e32 v4, 8, v34
	v_cmp_lt_i16_e64 s[4:5], s19, v4
	s_mov_b64 s[22:23], 0
                                        ; implicit-def: $sgpr30
	s_and_saveexec_b64 s[24:25], s[4:5]
	s_xor_b64 s[24:25], exec, s[24:25]
	s_cbranch_execnz .LBB265_313
; %bb.80:                               ;   in Loop: Header=BB265_12 Depth=1
	s_or_saveexec_b64 s[24:25], s[24:25]
	v_mov_b32_e32 v40, s30
	s_xor_b64 exec, exec, s[24:25]
	s_cbranch_execnz .LBB265_316
.LBB265_81:                             ;   in Loop: Header=BB265_12 Depth=1
	s_or_b64 exec, exec, s[24:25]
	s_and_saveexec_b64 s[24:25], s[22:23]
	s_cbranch_execz .LBB265_83
.LBB265_82:                             ;   in Loop: Header=BB265_12 Depth=1
	v_and_b32_e32 v2, 7, v4
	v_ffbh_u32_e32 v0, v2
	v_min_u32_e32 v6, 32, v0
	v_subrev_u32_e32 v0, 28, v6
	v_bfe_u32 v3, v4, 3, 4
	v_lshlrev_b64 v[0:1], v0, v[4:5]
	v_sub_u32_e32 v1, 29, v6
	v_cmp_eq_u32_e64 s[4:5], 0, v3
	v_and_b32_e32 v0, 7, v0
	s_nop 0
	v_cndmask_b32_e64 v1, v3, v1, s[4:5]
	v_mov_b32_e32 v3, 0x1c00
	v_cndmask_b32_e64 v0, v2, v0, s[4:5]
	v_lshlrev_b32_e32 v2, 8, v4
	v_lshl_add_u32 v1, v1, 10, v3
	v_and_or_b32 v1, v2, s29, v1
	v_lshl_or_b32 v0, v0, 7, v1
	v_cvt_f32_f16_e32 v40, v0
.LBB265_83:                             ;   in Loop: Header=BB265_12 Depth=1
	s_or_b64 exec, exec, s[24:25]
	v_lshrrev_b32_e32 v4, 16, v34
	v_cmp_gt_i16_sdwa s[22:23], v4, s19 src0_sel:BYTE_0 src1_sel:DWORD
	s_mov_b64 s[4:5], 0
                                        ; implicit-def: $sgpr26
	s_and_saveexec_b64 s[24:25], s[22:23]
	s_xor_b64 s[22:23], exec, s[24:25]
	s_cbranch_execnz .LBB265_317
; %bb.84:                               ;   in Loop: Header=BB265_12 Depth=1
	s_or_saveexec_b64 s[22:23], s[22:23]
	v_mov_b32_e32 v41, s26
	s_xor_b64 exec, exec, s[22:23]
	s_cbranch_execnz .LBB265_320
.LBB265_85:                             ;   in Loop: Header=BB265_12 Depth=1
	s_or_b64 exec, exec, s[22:23]
	s_and_saveexec_b64 s[22:23], s[4:5]
	s_cbranch_execz .LBB265_87
.LBB265_86:                             ;   in Loop: Header=BB265_12 Depth=1
	v_bfe_u32 v2, v34, 16, 3
	v_ffbh_u32_e32 v0, v2
	v_min_u32_e32 v6, 32, v0
	v_subrev_u32_e32 v0, 28, v6
	v_bfe_u32 v3, v34, 19, 4
	v_lshlrev_b64 v[0:1], v0, v[4:5]
	v_sub_u32_e32 v1, 29, v6
	v_cmp_eq_u32_e64 s[4:5], 0, v3
	v_and_b32_e32 v0, 7, v0
	s_nop 0
	v_cndmask_b32_e64 v1, v3, v1, s[4:5]
	v_mov_b32_e32 v3, 0x1c00
	v_cndmask_b32_e64 v0, v2, v0, s[4:5]
	v_lshlrev_b32_e32 v2, 8, v4
	v_lshl_add_u32 v1, v1, 10, v3
	v_and_or_b32 v1, v2, s29, v1
	v_lshl_or_b32 v0, v0, 7, v1
	v_cvt_f32_f16_e32 v41, v0
.LBB265_87:                             ;   in Loop: Header=BB265_12 Depth=1
	s_or_b64 exec, exec, s[22:23]
	v_lshrrev_b32_e32 v4, 24, v34
	v_cmp_lt_i16_e64 s[4:5], s19, v4
	s_mov_b64 s[22:23], 0
                                        ; implicit-def: $sgpr30
	s_and_saveexec_b64 s[24:25], s[4:5]
	s_xor_b64 s[24:25], exec, s[24:25]
	s_cbranch_execnz .LBB265_321
; %bb.88:                               ;   in Loop: Header=BB265_12 Depth=1
	s_or_saveexec_b64 s[24:25], s[24:25]
	v_mov_b32_e32 v44, s30
	s_xor_b64 exec, exec, s[24:25]
	s_cbranch_execnz .LBB265_324
.LBB265_89:                             ;   in Loop: Header=BB265_12 Depth=1
	s_or_b64 exec, exec, s[24:25]
	s_and_saveexec_b64 s[24:25], s[22:23]
	s_cbranch_execz .LBB265_91
.LBB265_90:                             ;   in Loop: Header=BB265_12 Depth=1
	v_bfe_u32 v2, v34, 24, 3
	v_ffbh_u32_e32 v0, v2
	v_min_u32_e32 v6, 32, v0
	v_subrev_u32_e32 v0, 28, v6
	v_bfe_u32 v3, v34, 27, 4
	v_lshlrev_b64 v[0:1], v0, v[4:5]
	v_sub_u32_e32 v1, 29, v6
	v_cmp_eq_u32_e64 s[4:5], 0, v3
	v_and_b32_e32 v0, 7, v0
	s_nop 0
	v_cndmask_b32_e64 v1, v3, v1, s[4:5]
	v_mov_b32_e32 v3, 0x1c00
	v_cndmask_b32_e64 v0, v2, v0, s[4:5]
	v_lshlrev_b32_e32 v2, 8, v4
	v_lshl_add_u32 v1, v1, 10, v3
	v_and_or_b32 v1, v2, s29, v1
	v_lshl_or_b32 v0, v0, 7, v1
	v_cvt_f32_f16_e32 v44, v0
.LBB265_91:                             ;   in Loop: Header=BB265_12 Depth=1
	s_or_b64 exec, exec, s[24:25]
	flat_load_dword v34, v[32:33] offset:1024
	s_mov_b64 s[4:5], 0
                                        ; implicit-def: $sgpr26
	s_waitcnt vmcnt(0) lgkmcnt(0)
	v_cmp_gt_i16_sdwa s[22:23], v34, s19 src0_sel:BYTE_0 src1_sel:DWORD
	s_and_saveexec_b64 s[24:25], s[22:23]
	s_xor_b64 s[22:23], exec, s[24:25]
	s_cbranch_execnz .LBB265_325
; %bb.92:                               ;   in Loop: Header=BB265_12 Depth=1
	s_or_saveexec_b64 s[22:23], s[22:23]
	v_mov_b32_e32 v0, s26
	s_xor_b64 exec, exec, s[22:23]
	s_cbranch_execnz .LBB265_328
.LBB265_93:                             ;   in Loop: Header=BB265_12 Depth=1
	s_or_b64 exec, exec, s[22:23]
	s_and_saveexec_b64 s[22:23], s[4:5]
	s_cbranch_execz .LBB265_95
.LBB265_94:                             ;   in Loop: Header=BB265_12 Depth=1
	v_and_b32_e32 v2, 7, v34
	v_ffbh_u32_e32 v0, v2
	v_min_u32_e32 v4, 32, v0
	v_subrev_u32_e32 v0, 28, v4
	v_bfe_u32 v3, v34, 3, 4
	v_lshlrev_b64 v[0:1], v0, v[34:35]
	v_sub_u32_e32 v1, 29, v4
	v_cmp_eq_u32_e64 s[4:5], 0, v3
	v_and_b32_e32 v0, 7, v0
	s_nop 0
	v_cndmask_b32_e64 v1, v3, v1, s[4:5]
	v_mov_b32_e32 v3, 0x1c00
	v_cndmask_b32_e64 v0, v2, v0, s[4:5]
	v_lshlrev_b32_e32 v2, 8, v34
	v_lshl_add_u32 v1, v1, 10, v3
	v_and_or_b32 v1, v2, s29, v1
	v_lshl_or_b32 v0, v0, 7, v1
	v_cvt_f32_f16_e32 v0, v0
.LBB265_95:                             ;   in Loop: Header=BB265_12 Depth=1
	s_or_b64 exec, exec, s[22:23]
	v_lshrrev_b16_e32 v4, 8, v34
	v_accvgpr_write_b32 a49, v0
	v_cmp_lt_i16_e64 s[4:5], s19, v4
	s_mov_b64 s[22:23], 0
                                        ; implicit-def: $sgpr30
	s_and_saveexec_b64 s[24:25], s[4:5]
	s_xor_b64 s[24:25], exec, s[24:25]
	s_cbranch_execnz .LBB265_329
; %bb.96:                               ;   in Loop: Header=BB265_12 Depth=1
	s_or_saveexec_b64 s[24:25], s[24:25]
	v_mov_b32_e32 v12, s30
	s_xor_b64 exec, exec, s[24:25]
	s_cbranch_execnz .LBB265_332
.LBB265_97:                             ;   in Loop: Header=BB265_12 Depth=1
	s_or_b64 exec, exec, s[24:25]
	s_and_saveexec_b64 s[24:25], s[22:23]
	s_cbranch_execz .LBB265_99
.LBB265_98:                             ;   in Loop: Header=BB265_12 Depth=1
	v_and_b32_e32 v2, 7, v4
	v_ffbh_u32_e32 v0, v2
	v_min_u32_e32 v6, 32, v0
	v_subrev_u32_e32 v0, 28, v6
	v_bfe_u32 v3, v4, 3, 4
	v_lshlrev_b64 v[0:1], v0, v[4:5]
	v_sub_u32_e32 v1, 29, v6
	v_cmp_eq_u32_e64 s[4:5], 0, v3
	v_and_b32_e32 v0, 7, v0
	s_nop 0
	v_cndmask_b32_e64 v1, v3, v1, s[4:5]
	v_mov_b32_e32 v3, 0x1c00
	v_cndmask_b32_e64 v0, v2, v0, s[4:5]
	v_lshlrev_b32_e32 v2, 8, v4
	v_lshl_add_u32 v1, v1, 10, v3
	v_and_or_b32 v1, v2, s29, v1
	v_lshl_or_b32 v0, v0, 7, v1
	v_cvt_f32_f16_e32 v12, v0
.LBB265_99:                             ;   in Loop: Header=BB265_12 Depth=1
	s_or_b64 exec, exec, s[24:25]
	v_lshrrev_b32_e32 v4, 16, v34
	v_cmp_gt_i16_sdwa s[22:23], v4, s19 src0_sel:BYTE_0 src1_sel:DWORD
	s_mov_b64 s[4:5], 0
                                        ; implicit-def: $sgpr26
	s_and_saveexec_b64 s[24:25], s[22:23]
	s_xor_b64 s[22:23], exec, s[24:25]
	s_cbranch_execnz .LBB265_333
; %bb.100:                              ;   in Loop: Header=BB265_12 Depth=1
	s_or_saveexec_b64 s[22:23], s[22:23]
	v_mov_b32_e32 v19, s26
	s_xor_b64 exec, exec, s[22:23]
	s_cbranch_execnz .LBB265_336
.LBB265_101:                            ;   in Loop: Header=BB265_12 Depth=1
	s_or_b64 exec, exec, s[22:23]
	s_and_saveexec_b64 s[22:23], s[4:5]
	s_cbranch_execz .LBB265_103
.LBB265_102:                            ;   in Loop: Header=BB265_12 Depth=1
	v_bfe_u32 v2, v34, 16, 3
	v_ffbh_u32_e32 v0, v2
	v_min_u32_e32 v6, 32, v0
	v_subrev_u32_e32 v0, 28, v6
	v_bfe_u32 v3, v34, 19, 4
	v_lshlrev_b64 v[0:1], v0, v[4:5]
	v_sub_u32_e32 v1, 29, v6
	v_cmp_eq_u32_e64 s[4:5], 0, v3
	v_and_b32_e32 v0, 7, v0
	s_nop 0
	v_cndmask_b32_e64 v1, v3, v1, s[4:5]
	v_mov_b32_e32 v3, 0x1c00
	v_cndmask_b32_e64 v0, v2, v0, s[4:5]
	v_lshlrev_b32_e32 v2, 8, v4
	v_lshl_add_u32 v1, v1, 10, v3
	v_and_or_b32 v1, v2, s29, v1
	v_lshl_or_b32 v0, v0, 7, v1
	v_cvt_f32_f16_e32 v19, v0
.LBB265_103:                            ;   in Loop: Header=BB265_12 Depth=1
	s_or_b64 exec, exec, s[22:23]
	v_lshrrev_b32_e32 v4, 24, v34
	v_cmp_lt_i16_e64 s[4:5], s19, v4
	s_mov_b64 s[22:23], 0
                                        ; implicit-def: $sgpr30
	s_and_saveexec_b64 s[24:25], s[4:5]
	s_xor_b64 s[24:25], exec, s[24:25]
	s_cbranch_execnz .LBB265_337
; %bb.104:                              ;   in Loop: Header=BB265_12 Depth=1
	s_or_saveexec_b64 s[24:25], s[24:25]
	v_mov_b32_e32 v30, s30
	s_xor_b64 exec, exec, s[24:25]
	s_cbranch_execnz .LBB265_340
.LBB265_105:                            ;   in Loop: Header=BB265_12 Depth=1
	s_or_b64 exec, exec, s[24:25]
	s_and_saveexec_b64 s[24:25], s[22:23]
	s_cbranch_execz .LBB265_107
.LBB265_106:                            ;   in Loop: Header=BB265_12 Depth=1
	v_bfe_u32 v2, v34, 24, 3
	v_ffbh_u32_e32 v0, v2
	v_min_u32_e32 v6, 32, v0
	v_subrev_u32_e32 v0, 28, v6
	v_bfe_u32 v3, v34, 27, 4
	v_lshlrev_b64 v[0:1], v0, v[4:5]
	v_sub_u32_e32 v1, 29, v6
	v_cmp_eq_u32_e64 s[4:5], 0, v3
	v_and_b32_e32 v0, 7, v0
	s_nop 0
	v_cndmask_b32_e64 v1, v3, v1, s[4:5]
	v_mov_b32_e32 v3, 0x1c00
	v_cndmask_b32_e64 v0, v2, v0, s[4:5]
	v_lshlrev_b32_e32 v2, 8, v4
	v_lshl_add_u32 v1, v1, 10, v3
	v_and_or_b32 v1, v2, s29, v1
	v_lshl_or_b32 v0, v0, 7, v1
	v_cvt_f32_f16_e32 v30, v0
.LBB265_107:                            ;   in Loop: Header=BB265_12 Depth=1
	s_or_b64 exec, exec, s[24:25]
	flat_load_dword v34, v[32:33] offset:1032
	s_mov_b64 s[4:5], 0
                                        ; implicit-def: $sgpr26
	s_waitcnt vmcnt(0) lgkmcnt(0)
	v_cmp_gt_i16_sdwa s[22:23], v34, s19 src0_sel:BYTE_0 src1_sel:DWORD
	s_and_saveexec_b64 s[24:25], s[22:23]
	s_xor_b64 s[22:23], exec, s[24:25]
	s_cbranch_execnz .LBB265_341
; %bb.108:                              ;   in Loop: Header=BB265_12 Depth=1
	s_or_saveexec_b64 s[22:23], s[22:23]
	v_mov_b32_e32 v0, s26
	s_xor_b64 exec, exec, s[22:23]
	s_cbranch_execnz .LBB265_344
.LBB265_109:                            ;   in Loop: Header=BB265_12 Depth=1
	s_or_b64 exec, exec, s[22:23]
	s_and_saveexec_b64 s[22:23], s[4:5]
	s_cbranch_execz .LBB265_111
.LBB265_110:                            ;   in Loop: Header=BB265_12 Depth=1
	v_and_b32_e32 v2, 7, v34
	v_ffbh_u32_e32 v0, v2
	v_min_u32_e32 v4, 32, v0
	v_subrev_u32_e32 v0, 28, v4
	v_bfe_u32 v3, v34, 3, 4
	v_lshlrev_b64 v[0:1], v0, v[34:35]
	v_sub_u32_e32 v1, 29, v4
	v_cmp_eq_u32_e64 s[4:5], 0, v3
	v_and_b32_e32 v0, 7, v0
	s_nop 0
	v_cndmask_b32_e64 v1, v3, v1, s[4:5]
	v_mov_b32_e32 v3, 0x1c00
	v_cndmask_b32_e64 v0, v2, v0, s[4:5]
	v_lshlrev_b32_e32 v2, 8, v34
	v_lshl_add_u32 v1, v1, 10, v3
	v_and_or_b32 v1, v2, s29, v1
	v_lshl_or_b32 v0, v0, 7, v1
	v_cvt_f32_f16_e32 v0, v0
.LBB265_111:                            ;   in Loop: Header=BB265_12 Depth=1
	s_or_b64 exec, exec, s[22:23]
	v_lshrrev_b16_e32 v4, 8, v34
	v_accvgpr_write_b32 a51, v0
	v_cmp_lt_i16_e64 s[4:5], s19, v4
	s_mov_b64 s[22:23], 0
                                        ; implicit-def: $sgpr30
	s_and_saveexec_b64 s[24:25], s[4:5]
	s_xor_b64 s[24:25], exec, s[24:25]
	s_cbranch_execnz .LBB265_345
; %bb.112:                              ;   in Loop: Header=BB265_12 Depth=1
	s_or_saveexec_b64 s[24:25], s[24:25]
	v_mov_b32_e32 v31, s30
	s_xor_b64 exec, exec, s[24:25]
	s_cbranch_execnz .LBB265_348
.LBB265_113:                            ;   in Loop: Header=BB265_12 Depth=1
	s_or_b64 exec, exec, s[24:25]
	s_and_saveexec_b64 s[24:25], s[22:23]
	s_cbranch_execz .LBB265_115
.LBB265_114:                            ;   in Loop: Header=BB265_12 Depth=1
	v_and_b32_e32 v2, 7, v4
	v_ffbh_u32_e32 v0, v2
	v_min_u32_e32 v6, 32, v0
	v_subrev_u32_e32 v0, 28, v6
	v_bfe_u32 v3, v4, 3, 4
	v_lshlrev_b64 v[0:1], v0, v[4:5]
	v_sub_u32_e32 v1, 29, v6
	v_cmp_eq_u32_e64 s[4:5], 0, v3
	v_and_b32_e32 v0, 7, v0
	s_nop 0
	v_cndmask_b32_e64 v1, v3, v1, s[4:5]
	v_mov_b32_e32 v3, 0x1c00
	v_cndmask_b32_e64 v0, v2, v0, s[4:5]
	v_lshlrev_b32_e32 v2, 8, v4
	v_lshl_add_u32 v1, v1, 10, v3
	v_and_or_b32 v1, v2, s29, v1
	v_lshl_or_b32 v0, v0, 7, v1
	v_cvt_f32_f16_e32 v31, v0
.LBB265_115:                            ;   in Loop: Header=BB265_12 Depth=1
	s_or_b64 exec, exec, s[24:25]
	v_lshrrev_b32_e32 v4, 16, v34
	v_cmp_gt_i16_sdwa s[22:23], v4, s19 src0_sel:BYTE_0 src1_sel:DWORD
	s_mov_b64 s[4:5], 0
                                        ; implicit-def: $sgpr26
	s_and_saveexec_b64 s[24:25], s[22:23]
	s_xor_b64 s[22:23], exec, s[24:25]
	s_cbranch_execnz .LBB265_349
; %bb.116:                              ;   in Loop: Header=BB265_12 Depth=1
	s_or_saveexec_b64 s[22:23], s[22:23]
	v_mov_b32_e32 v7, s26
	s_xor_b64 exec, exec, s[22:23]
	s_cbranch_execnz .LBB265_352
.LBB265_117:                            ;   in Loop: Header=BB265_12 Depth=1
	s_or_b64 exec, exec, s[22:23]
	s_and_saveexec_b64 s[22:23], s[4:5]
	s_cbranch_execz .LBB265_119
.LBB265_118:                            ;   in Loop: Header=BB265_12 Depth=1
	v_bfe_u32 v2, v34, 16, 3
	v_ffbh_u32_e32 v0, v2
	v_min_u32_e32 v7, 32, v0
	v_subrev_u32_e32 v0, 28, v7
	v_bfe_u32 v3, v34, 19, 4
	v_lshlrev_b64 v[0:1], v0, v[4:5]
	v_sub_u32_e32 v1, 29, v7
	v_cmp_eq_u32_e64 s[4:5], 0, v3
	v_and_b32_e32 v0, 7, v0
	s_nop 0
	v_cndmask_b32_e64 v1, v3, v1, s[4:5]
	v_mov_b32_e32 v3, 0x1c00
	v_cndmask_b32_e64 v0, v2, v0, s[4:5]
	v_lshlrev_b32_e32 v2, 8, v4
	v_lshl_add_u32 v1, v1, 10, v3
	v_and_or_b32 v1, v2, s29, v1
	v_lshl_or_b32 v0, v0, 7, v1
	v_cvt_f32_f16_e32 v7, v0
.LBB265_119:                            ;   in Loop: Header=BB265_12 Depth=1
	s_or_b64 exec, exec, s[22:23]
	v_lshrrev_b32_e32 v4, 24, v34
	v_cmp_lt_i16_e64 s[4:5], s19, v4
	s_mov_b64 s[22:23], 0
                                        ; implicit-def: $sgpr30
	s_and_saveexec_b64 s[24:25], s[4:5]
	s_xor_b64 s[24:25], exec, s[24:25]
	s_cbranch_execnz .LBB265_353
; %bb.120:                              ;   in Loop: Header=BB265_12 Depth=1
	s_or_saveexec_b64 s[24:25], s[24:25]
	v_mov_b32_e32 v10, s30
	s_xor_b64 exec, exec, s[24:25]
	s_cbranch_execnz .LBB265_356
.LBB265_121:                            ;   in Loop: Header=BB265_12 Depth=1
	s_or_b64 exec, exec, s[24:25]
	s_and_saveexec_b64 s[24:25], s[22:23]
	s_cbranch_execz .LBB265_123
.LBB265_122:                            ;   in Loop: Header=BB265_12 Depth=1
	v_bfe_u32 v2, v34, 24, 3
	v_ffbh_u32_e32 v0, v2
	v_min_u32_e32 v8, 32, v0
	v_subrev_u32_e32 v0, 28, v8
	v_bfe_u32 v3, v34, 27, 4
	v_lshlrev_b64 v[0:1], v0, v[4:5]
	v_sub_u32_e32 v1, 29, v8
	v_cmp_eq_u32_e64 s[4:5], 0, v3
	v_and_b32_e32 v0, 7, v0
	s_nop 0
	v_cndmask_b32_e64 v1, v3, v1, s[4:5]
	v_mov_b32_e32 v3, 0x1c00
	v_cndmask_b32_e64 v0, v2, v0, s[4:5]
	v_lshlrev_b32_e32 v2, 8, v4
	v_lshl_add_u32 v1, v1, 10, v3
	v_and_or_b32 v1, v2, s29, v1
	v_lshl_or_b32 v0, v0, 7, v1
	v_cvt_f32_f16_e32 v10, v0
.LBB265_123:                            ;   in Loop: Header=BB265_12 Depth=1
	s_or_b64 exec, exec, s[24:25]
	flat_load_dword v34, v[32:33] offset:1536
	s_mov_b64 s[4:5], 0
                                        ; implicit-def: $sgpr26
	s_waitcnt vmcnt(0) lgkmcnt(0)
	v_cmp_gt_i16_sdwa s[22:23], v34, s19 src0_sel:BYTE_0 src1_sel:DWORD
	s_and_saveexec_b64 s[24:25], s[22:23]
	s_xor_b64 s[22:23], exec, s[24:25]
	s_cbranch_execnz .LBB265_357
; %bb.124:                              ;   in Loop: Header=BB265_12 Depth=1
	s_or_saveexec_b64 s[22:23], s[22:23]
	v_mov_b32_e32 v11, s26
	s_xor_b64 exec, exec, s[22:23]
	s_cbranch_execnz .LBB265_360
.LBB265_125:                            ;   in Loop: Header=BB265_12 Depth=1
	s_or_b64 exec, exec, s[22:23]
	s_and_saveexec_b64 s[22:23], s[4:5]
	s_cbranch_execz .LBB265_127
.LBB265_126:                            ;   in Loop: Header=BB265_12 Depth=1
	v_and_b32_e32 v2, 7, v34
	v_ffbh_u32_e32 v0, v2
	v_min_u32_e32 v4, 32, v0
	v_subrev_u32_e32 v0, 28, v4
	v_bfe_u32 v3, v34, 3, 4
	v_lshlrev_b64 v[0:1], v0, v[34:35]
	v_sub_u32_e32 v1, 29, v4
	v_cmp_eq_u32_e64 s[4:5], 0, v3
	v_and_b32_e32 v0, 7, v0
	s_nop 0
	v_cndmask_b32_e64 v1, v3, v1, s[4:5]
	v_mov_b32_e32 v3, 0x1c00
	v_cndmask_b32_e64 v0, v2, v0, s[4:5]
	v_lshlrev_b32_e32 v2, 8, v34
	v_lshl_add_u32 v1, v1, 10, v3
	v_and_or_b32 v1, v2, s29, v1
	v_lshl_or_b32 v0, v0, 7, v1
	v_cvt_f32_f16_e32 v11, v0
.LBB265_127:                            ;   in Loop: Header=BB265_12 Depth=1
	s_or_b64 exec, exec, s[22:23]
	v_lshrrev_b16_e32 v4, 8, v34
	v_cmp_lt_i16_e64 s[4:5], s19, v4
	s_mov_b64 s[22:23], 0
                                        ; implicit-def: $sgpr30
	s_and_saveexec_b64 s[24:25], s[4:5]
	s_xor_b64 s[24:25], exec, s[24:25]
	s_cbranch_execnz .LBB265_361
; %bb.128:                              ;   in Loop: Header=BB265_12 Depth=1
	s_or_saveexec_b64 s[24:25], s[24:25]
	v_mov_b32_e32 v43, s30
	s_xor_b64 exec, exec, s[24:25]
	s_cbranch_execnz .LBB265_364
.LBB265_129:                            ;   in Loop: Header=BB265_12 Depth=1
	s_or_b64 exec, exec, s[24:25]
	s_and_saveexec_b64 s[24:25], s[22:23]
	s_cbranch_execz .LBB265_131
.LBB265_130:                            ;   in Loop: Header=BB265_12 Depth=1
	v_and_b32_e32 v2, 7, v4
	v_ffbh_u32_e32 v0, v2
	v_min_u32_e32 v8, 32, v0
	v_subrev_u32_e32 v0, 28, v8
	v_bfe_u32 v3, v4, 3, 4
	v_lshlrev_b64 v[0:1], v0, v[4:5]
	v_sub_u32_e32 v1, 29, v8
	v_cmp_eq_u32_e64 s[4:5], 0, v3
	v_and_b32_e32 v0, 7, v0
	s_nop 0
	v_cndmask_b32_e64 v1, v3, v1, s[4:5]
	v_mov_b32_e32 v3, 0x1c00
	v_cndmask_b32_e64 v0, v2, v0, s[4:5]
	v_lshlrev_b32_e32 v2, 8, v4
	v_lshl_add_u32 v1, v1, 10, v3
	v_and_or_b32 v1, v2, s29, v1
	v_lshl_or_b32 v0, v0, 7, v1
	v_cvt_f32_f16_e32 v43, v0
.LBB265_131:                            ;   in Loop: Header=BB265_12 Depth=1
	s_or_b64 exec, exec, s[24:25]
	v_lshrrev_b32_e32 v4, 16, v34
	v_cmp_gt_i16_sdwa s[22:23], v4, s19 src0_sel:BYTE_0 src1_sel:DWORD
	s_mov_b64 s[4:5], 0
                                        ; implicit-def: $sgpr26
	s_and_saveexec_b64 s[24:25], s[22:23]
	s_xor_b64 s[22:23], exec, s[24:25]
	s_cbranch_execnz .LBB265_365
; %bb.132:                              ;   in Loop: Header=BB265_12 Depth=1
	s_or_saveexec_b64 s[22:23], s[22:23]
	v_mov_b32_e32 v38, s26
	s_xor_b64 exec, exec, s[22:23]
	s_cbranch_execnz .LBB265_368
.LBB265_133:                            ;   in Loop: Header=BB265_12 Depth=1
	s_or_b64 exec, exec, s[22:23]
	s_and_saveexec_b64 s[22:23], s[4:5]
	s_cbranch_execz .LBB265_135
.LBB265_134:                            ;   in Loop: Header=BB265_12 Depth=1
	v_bfe_u32 v2, v34, 16, 3
	v_ffbh_u32_e32 v0, v2
	v_min_u32_e32 v8, 32, v0
	v_subrev_u32_e32 v0, 28, v8
	v_bfe_u32 v3, v34, 19, 4
	v_lshlrev_b64 v[0:1], v0, v[4:5]
	v_sub_u32_e32 v1, 29, v8
	v_cmp_eq_u32_e64 s[4:5], 0, v3
	v_and_b32_e32 v0, 7, v0
	s_nop 0
	v_cndmask_b32_e64 v1, v3, v1, s[4:5]
	v_mov_b32_e32 v3, 0x1c00
	v_cndmask_b32_e64 v0, v2, v0, s[4:5]
	v_lshlrev_b32_e32 v2, 8, v4
	v_lshl_add_u32 v1, v1, 10, v3
	v_and_or_b32 v1, v2, s29, v1
	v_lshl_or_b32 v0, v0, 7, v1
	v_cvt_f32_f16_e32 v38, v0
.LBB265_135:                            ;   in Loop: Header=BB265_12 Depth=1
	s_or_b64 exec, exec, s[22:23]
	v_lshrrev_b32_e32 v4, 24, v34
	v_cmp_lt_i16_e64 s[4:5], s19, v4
	s_mov_b64 s[22:23], 0
                                        ; implicit-def: $sgpr30
	s_and_saveexec_b64 s[24:25], s[4:5]
	s_xor_b64 s[24:25], exec, s[24:25]
	s_cbranch_execnz .LBB265_369
; %bb.136:                              ;   in Loop: Header=BB265_12 Depth=1
	s_or_saveexec_b64 s[24:25], s[24:25]
	v_mov_b32_e32 v9, s30
	s_xor_b64 exec, exec, s[24:25]
	s_cbranch_execnz .LBB265_372
.LBB265_137:                            ;   in Loop: Header=BB265_12 Depth=1
	s_or_b64 exec, exec, s[24:25]
	s_and_saveexec_b64 s[24:25], s[22:23]
	s_cbranch_execz .LBB265_139
.LBB265_138:                            ;   in Loop: Header=BB265_12 Depth=1
	v_bfe_u32 v2, v34, 24, 3
	v_ffbh_u32_e32 v0, v2
	v_min_u32_e32 v8, 32, v0
	v_subrev_u32_e32 v0, 28, v8
	v_bfe_u32 v3, v34, 27, 4
	v_lshlrev_b64 v[0:1], v0, v[4:5]
	v_sub_u32_e32 v1, 29, v8
	v_cmp_eq_u32_e64 s[4:5], 0, v3
	v_and_b32_e32 v0, 7, v0
	s_nop 0
	v_cndmask_b32_e64 v1, v3, v1, s[4:5]
	v_mov_b32_e32 v3, 0x1c00
	v_cndmask_b32_e64 v0, v2, v0, s[4:5]
	v_lshlrev_b32_e32 v2, 8, v4
	v_lshl_add_u32 v1, v1, 10, v3
	v_and_or_b32 v1, v2, s29, v1
	v_lshl_or_b32 v0, v0, 7, v1
	v_cvt_f32_f16_e32 v9, v0
.LBB265_139:                            ;   in Loop: Header=BB265_12 Depth=1
	s_or_b64 exec, exec, s[24:25]
	flat_load_dword v34, v[32:33] offset:1544
	s_mov_b64 s[4:5], 0
                                        ; implicit-def: $sgpr26
	s_waitcnt vmcnt(0) lgkmcnt(0)
	v_cmp_gt_i16_sdwa s[22:23], v34, s19 src0_sel:BYTE_0 src1_sel:DWORD
	s_and_saveexec_b64 s[24:25], s[22:23]
	s_xor_b64 s[22:23], exec, s[24:25]
	s_cbranch_execnz .LBB265_373
; %bb.140:                              ;   in Loop: Header=BB265_12 Depth=1
	s_or_saveexec_b64 s[22:23], s[22:23]
	v_mov_b32_e32 v54, s26
	s_xor_b64 exec, exec, s[22:23]
	s_cbranch_execnz .LBB265_376
.LBB265_141:                            ;   in Loop: Header=BB265_12 Depth=1
	s_or_b64 exec, exec, s[22:23]
	s_and_saveexec_b64 s[22:23], s[4:5]
	s_cbranch_execz .LBB265_143
.LBB265_142:                            ;   in Loop: Header=BB265_12 Depth=1
	v_and_b32_e32 v2, 7, v34
	v_ffbh_u32_e32 v0, v2
	v_min_u32_e32 v4, 32, v0
	v_subrev_u32_e32 v0, 28, v4
	v_bfe_u32 v3, v34, 3, 4
	v_lshlrev_b64 v[0:1], v0, v[34:35]
	v_sub_u32_e32 v1, 29, v4
	v_cmp_eq_u32_e64 s[4:5], 0, v3
	v_and_b32_e32 v0, 7, v0
	s_nop 0
	v_cndmask_b32_e64 v1, v3, v1, s[4:5]
	v_mov_b32_e32 v3, 0x1c00
	v_cndmask_b32_e64 v0, v2, v0, s[4:5]
	v_lshlrev_b32_e32 v2, 8, v34
	v_lshl_add_u32 v1, v1, 10, v3
	v_and_or_b32 v1, v2, s29, v1
	v_lshl_or_b32 v0, v0, 7, v1
	v_cvt_f32_f16_e32 v54, v0
.LBB265_143:                            ;   in Loop: Header=BB265_12 Depth=1
	s_or_b64 exec, exec, s[22:23]
	v_lshrrev_b16_e32 v4, 8, v34
	v_cmp_lt_i16_e64 s[4:5], s19, v4
	s_mov_b64 s[22:23], 0
                                        ; implicit-def: $sgpr30
	s_and_saveexec_b64 s[24:25], s[4:5]
	s_xor_b64 s[24:25], exec, s[24:25]
	s_cbranch_execnz .LBB265_377
; %bb.144:                              ;   in Loop: Header=BB265_12 Depth=1
	s_or_saveexec_b64 s[24:25], s[24:25]
	v_mov_b32_e32 v50, s30
	s_xor_b64 exec, exec, s[24:25]
	s_cbranch_execnz .LBB265_380
.LBB265_145:                            ;   in Loop: Header=BB265_12 Depth=1
	s_or_b64 exec, exec, s[24:25]
	s_and_saveexec_b64 s[24:25], s[22:23]
	s_cbranch_execz .LBB265_147
.LBB265_146:                            ;   in Loop: Header=BB265_12 Depth=1
	v_and_b32_e32 v2, 7, v4
	v_ffbh_u32_e32 v0, v2
	v_min_u32_e32 v8, 32, v0
	v_subrev_u32_e32 v0, 28, v8
	v_bfe_u32 v3, v4, 3, 4
	v_lshlrev_b64 v[0:1], v0, v[4:5]
	v_sub_u32_e32 v1, 29, v8
	v_cmp_eq_u32_e64 s[4:5], 0, v3
	v_and_b32_e32 v0, 7, v0
	s_nop 0
	v_cndmask_b32_e64 v1, v3, v1, s[4:5]
	v_mov_b32_e32 v3, 0x1c00
	v_cndmask_b32_e64 v0, v2, v0, s[4:5]
	v_lshlrev_b32_e32 v2, 8, v4
	v_lshl_add_u32 v1, v1, 10, v3
	v_and_or_b32 v1, v2, s29, v1
	v_lshl_or_b32 v0, v0, 7, v1
	v_cvt_f32_f16_e32 v50, v0
.LBB265_147:                            ;   in Loop: Header=BB265_12 Depth=1
	s_or_b64 exec, exec, s[24:25]
	v_lshrrev_b32_e32 v4, 16, v34
	v_cmp_gt_i16_sdwa s[22:23], v4, s19 src0_sel:BYTE_0 src1_sel:DWORD
	s_mov_b64 s[4:5], 0
                                        ; implicit-def: $sgpr26
	s_and_saveexec_b64 s[24:25], s[22:23]
	s_xor_b64 s[22:23], exec, s[24:25]
	s_cbranch_execnz .LBB265_381
; %bb.148:                              ;   in Loop: Header=BB265_12 Depth=1
	s_or_saveexec_b64 s[22:23], s[22:23]
	v_mov_b32_e32 v18, s26
	s_xor_b64 exec, exec, s[22:23]
	s_cbranch_execnz .LBB265_384
.LBB265_149:                            ;   in Loop: Header=BB265_12 Depth=1
	s_or_b64 exec, exec, s[22:23]
	s_and_saveexec_b64 s[22:23], s[4:5]
	s_cbranch_execz .LBB265_151
.LBB265_150:                            ;   in Loop: Header=BB265_12 Depth=1
	v_bfe_u32 v2, v34, 16, 3
	v_ffbh_u32_e32 v0, v2
	v_min_u32_e32 v8, 32, v0
	v_subrev_u32_e32 v0, 28, v8
	v_bfe_u32 v3, v34, 19, 4
	v_lshlrev_b64 v[0:1], v0, v[4:5]
	v_sub_u32_e32 v1, 29, v8
	v_cmp_eq_u32_e64 s[4:5], 0, v3
	v_and_b32_e32 v0, 7, v0
	s_nop 0
	v_cndmask_b32_e64 v1, v3, v1, s[4:5]
	v_mov_b32_e32 v3, 0x1c00
	v_cndmask_b32_e64 v0, v2, v0, s[4:5]
	v_lshlrev_b32_e32 v2, 8, v4
	v_lshl_add_u32 v1, v1, 10, v3
	v_and_or_b32 v1, v2, s29, v1
	v_lshl_or_b32 v0, v0, 7, v1
	v_cvt_f32_f16_e32 v18, v0
.LBB265_151:                            ;   in Loop: Header=BB265_12 Depth=1
	s_or_b64 exec, exec, s[22:23]
	v_lshrrev_b32_e32 v4, 24, v34
	v_cmp_lt_i16_e64 s[4:5], s19, v4
	s_mov_b64 s[22:23], 0
                                        ; implicit-def: $sgpr30
	s_and_saveexec_b64 s[24:25], s[4:5]
	s_xor_b64 s[24:25], exec, s[24:25]
	s_cbranch_execnz .LBB265_385
; %bb.152:                              ;   in Loop: Header=BB265_12 Depth=1
	s_or_saveexec_b64 s[24:25], s[24:25]
	v_mov_b32_e32 v52, s30
	s_xor_b64 exec, exec, s[24:25]
	s_cbranch_execnz .LBB265_388
.LBB265_153:                            ;   in Loop: Header=BB265_12 Depth=1
	s_or_b64 exec, exec, s[24:25]
	s_and_saveexec_b64 s[24:25], s[22:23]
	s_cbranch_execz .LBB265_155
.LBB265_154:                            ;   in Loop: Header=BB265_12 Depth=1
	v_bfe_u32 v2, v34, 24, 3
	v_ffbh_u32_e32 v0, v2
	v_min_u32_e32 v8, 32, v0
	v_subrev_u32_e32 v0, 28, v8
	v_bfe_u32 v3, v34, 27, 4
	v_lshlrev_b64 v[0:1], v0, v[4:5]
	v_sub_u32_e32 v1, 29, v8
	v_cmp_eq_u32_e64 s[4:5], 0, v3
	v_and_b32_e32 v0, 7, v0
	s_nop 0
	v_cndmask_b32_e64 v1, v3, v1, s[4:5]
	v_mov_b32_e32 v3, 0x1c00
	v_cndmask_b32_e64 v0, v2, v0, s[4:5]
	v_lshlrev_b32_e32 v2, 8, v4
	v_lshl_add_u32 v1, v1, 10, v3
	v_and_or_b32 v1, v2, s29, v1
	v_lshl_or_b32 v0, v0, 7, v1
	v_cvt_f32_f16_e32 v52, v0
.LBB265_155:                            ;   in Loop: Header=BB265_12 Depth=1
	s_or_b64 exec, exec, s[24:25]
	flat_load_dword v34, v[32:33] offset:2048
	s_mov_b64 s[4:5], 0
                                        ; implicit-def: $sgpr26
	s_waitcnt vmcnt(0) lgkmcnt(0)
	v_cmp_gt_i16_sdwa s[22:23], v34, s19 src0_sel:BYTE_0 src1_sel:DWORD
	s_and_saveexec_b64 s[24:25], s[22:23]
	s_xor_b64 s[22:23], exec, s[24:25]
	s_cbranch_execnz .LBB265_389
; %bb.156:                              ;   in Loop: Header=BB265_12 Depth=1
	s_or_saveexec_b64 s[22:23], s[22:23]
	v_mov_b32_e32 v8, s26
	s_xor_b64 exec, exec, s[22:23]
	s_cbranch_execnz .LBB265_392
.LBB265_157:                            ;   in Loop: Header=BB265_12 Depth=1
	s_or_b64 exec, exec, s[22:23]
	s_and_saveexec_b64 s[22:23], s[4:5]
	s_cbranch_execz .LBB265_159
.LBB265_158:                            ;   in Loop: Header=BB265_12 Depth=1
	v_and_b32_e32 v2, 7, v34
	v_ffbh_u32_e32 v0, v2
	v_min_u32_e32 v4, 32, v0
	v_subrev_u32_e32 v0, 28, v4
	v_bfe_u32 v3, v34, 3, 4
	v_lshlrev_b64 v[0:1], v0, v[34:35]
	v_sub_u32_e32 v1, 29, v4
	v_cmp_eq_u32_e64 s[4:5], 0, v3
	v_and_b32_e32 v0, 7, v0
	s_nop 0
	v_cndmask_b32_e64 v1, v3, v1, s[4:5]
	v_mov_b32_e32 v3, 0x1c00
	v_cndmask_b32_e64 v0, v2, v0, s[4:5]
	v_lshlrev_b32_e32 v2, 8, v34
	v_lshl_add_u32 v1, v1, 10, v3
	v_and_or_b32 v1, v2, s29, v1
	v_lshl_or_b32 v0, v0, 7, v1
	v_cvt_f32_f16_e32 v8, v0
.LBB265_159:                            ;   in Loop: Header=BB265_12 Depth=1
	s_or_b64 exec, exec, s[22:23]
	v_lshrrev_b16_e32 v4, 8, v34
	v_cmp_lt_i16_e64 s[4:5], s19, v4
	s_mov_b64 s[22:23], 0
                                        ; implicit-def: $sgpr30
	s_and_saveexec_b64 s[24:25], s[4:5]
	s_xor_b64 s[24:25], exec, s[24:25]
	s_cbranch_execnz .LBB265_393
; %bb.160:                              ;   in Loop: Header=BB265_12 Depth=1
	s_or_saveexec_b64 s[24:25], s[24:25]
	v_mov_b32_e32 v24, s30
	s_xor_b64 exec, exec, s[24:25]
	s_cbranch_execnz .LBB265_396
.LBB265_161:                            ;   in Loop: Header=BB265_12 Depth=1
	s_or_b64 exec, exec, s[24:25]
	s_and_saveexec_b64 s[24:25], s[22:23]
	s_cbranch_execz .LBB265_163
.LBB265_162:                            ;   in Loop: Header=BB265_12 Depth=1
	v_and_b32_e32 v2, 7, v4
	v_ffbh_u32_e32 v0, v2
	v_min_u32_e32 v16, 32, v0
	v_subrev_u32_e32 v0, 28, v16
	v_bfe_u32 v3, v4, 3, 4
	v_lshlrev_b64 v[0:1], v0, v[4:5]
	v_sub_u32_e32 v1, 29, v16
	v_cmp_eq_u32_e64 s[4:5], 0, v3
	v_and_b32_e32 v0, 7, v0
	s_nop 0
	v_cndmask_b32_e64 v1, v3, v1, s[4:5]
	v_mov_b32_e32 v3, 0x1c00
	v_cndmask_b32_e64 v0, v2, v0, s[4:5]
	v_lshlrev_b32_e32 v2, 8, v4
	v_lshl_add_u32 v1, v1, 10, v3
	v_and_or_b32 v1, v2, s29, v1
	v_lshl_or_b32 v0, v0, 7, v1
	v_cvt_f32_f16_e32 v24, v0
.LBB265_163:                            ;   in Loop: Header=BB265_12 Depth=1
	s_or_b64 exec, exec, s[24:25]
	v_lshrrev_b32_e32 v4, 16, v34
	v_cmp_gt_i16_sdwa s[22:23], v4, s19 src0_sel:BYTE_0 src1_sel:DWORD
	s_mov_b64 s[4:5], 0
                                        ; implicit-def: $sgpr26
	s_and_saveexec_b64 s[24:25], s[22:23]
	s_xor_b64 s[22:23], exec, s[24:25]
	s_cbranch_execnz .LBB265_397
; %bb.164:                              ;   in Loop: Header=BB265_12 Depth=1
	s_or_saveexec_b64 s[22:23], s[22:23]
	v_mov_b32_e32 v25, s26
	s_xor_b64 exec, exec, s[22:23]
	s_cbranch_execnz .LBB265_400
.LBB265_165:                            ;   in Loop: Header=BB265_12 Depth=1
	s_or_b64 exec, exec, s[22:23]
	s_and_saveexec_b64 s[22:23], s[4:5]
	s_cbranch_execz .LBB265_167
.LBB265_166:                            ;   in Loop: Header=BB265_12 Depth=1
	v_bfe_u32 v2, v34, 16, 3
	v_ffbh_u32_e32 v0, v2
	v_min_u32_e32 v16, 32, v0
	v_subrev_u32_e32 v0, 28, v16
	v_bfe_u32 v3, v34, 19, 4
	v_lshlrev_b64 v[0:1], v0, v[4:5]
	v_sub_u32_e32 v1, 29, v16
	v_cmp_eq_u32_e64 s[4:5], 0, v3
	v_and_b32_e32 v0, 7, v0
	s_nop 0
	v_cndmask_b32_e64 v1, v3, v1, s[4:5]
	v_mov_b32_e32 v3, 0x1c00
	v_cndmask_b32_e64 v0, v2, v0, s[4:5]
	v_lshlrev_b32_e32 v2, 8, v4
	v_lshl_add_u32 v1, v1, 10, v3
	v_and_or_b32 v1, v2, s29, v1
	v_lshl_or_b32 v0, v0, 7, v1
	v_cvt_f32_f16_e32 v25, v0
.LBB265_167:                            ;   in Loop: Header=BB265_12 Depth=1
	s_or_b64 exec, exec, s[22:23]
	v_lshrrev_b32_e32 v4, 24, v34
	v_cmp_lt_i16_e64 s[4:5], s19, v4
	s_mov_b64 s[22:23], 0
                                        ; implicit-def: $sgpr30
	s_and_saveexec_b64 s[24:25], s[4:5]
	s_xor_b64 s[24:25], exec, s[24:25]
	s_cbranch_execnz .LBB265_401
; %bb.168:                              ;   in Loop: Header=BB265_12 Depth=1
	s_or_saveexec_b64 s[24:25], s[24:25]
	v_mov_b32_e32 v28, s30
	s_xor_b64 exec, exec, s[24:25]
	s_cbranch_execnz .LBB265_404
.LBB265_169:                            ;   in Loop: Header=BB265_12 Depth=1
	s_or_b64 exec, exec, s[24:25]
	s_and_saveexec_b64 s[24:25], s[22:23]
	s_cbranch_execz .LBB265_171
.LBB265_170:                            ;   in Loop: Header=BB265_12 Depth=1
	v_bfe_u32 v2, v34, 24, 3
	v_ffbh_u32_e32 v0, v2
	v_min_u32_e32 v16, 32, v0
	v_subrev_u32_e32 v0, 28, v16
	v_bfe_u32 v3, v34, 27, 4
	v_lshlrev_b64 v[0:1], v0, v[4:5]
	v_sub_u32_e32 v1, 29, v16
	v_cmp_eq_u32_e64 s[4:5], 0, v3
	v_and_b32_e32 v0, 7, v0
	s_nop 0
	v_cndmask_b32_e64 v1, v3, v1, s[4:5]
	v_mov_b32_e32 v3, 0x1c00
	v_cndmask_b32_e64 v0, v2, v0, s[4:5]
	v_lshlrev_b32_e32 v2, 8, v4
	v_lshl_add_u32 v1, v1, 10, v3
	v_and_or_b32 v1, v2, s29, v1
	v_lshl_or_b32 v0, v0, 7, v1
	v_cvt_f32_f16_e32 v28, v0
.LBB265_171:                            ;   in Loop: Header=BB265_12 Depth=1
	s_or_b64 exec, exec, s[24:25]
	flat_load_dword v34, v[32:33] offset:2056
	s_mov_b64 s[4:5], 0
                                        ; implicit-def: $sgpr26
	s_waitcnt vmcnt(0) lgkmcnt(0)
	v_cmp_gt_i16_sdwa s[22:23], v34, s19 src0_sel:BYTE_0 src1_sel:DWORD
	s_and_saveexec_b64 s[24:25], s[22:23]
	s_xor_b64 s[22:23], exec, s[24:25]
	s_cbranch_execnz .LBB265_405
; %bb.172:                              ;   in Loop: Header=BB265_12 Depth=1
	s_or_saveexec_b64 s[22:23], s[22:23]
	v_mov_b32_e32 v29, s26
	s_xor_b64 exec, exec, s[22:23]
	s_cbranch_execnz .LBB265_408
.LBB265_173:                            ;   in Loop: Header=BB265_12 Depth=1
	s_or_b64 exec, exec, s[22:23]
	s_and_saveexec_b64 s[22:23], s[4:5]
	s_cbranch_execz .LBB265_175
.LBB265_174:                            ;   in Loop: Header=BB265_12 Depth=1
	v_and_b32_e32 v2, 7, v34
	v_ffbh_u32_e32 v0, v2
	v_min_u32_e32 v4, 32, v0
	v_subrev_u32_e32 v0, 28, v4
	v_bfe_u32 v3, v34, 3, 4
	v_lshlrev_b64 v[0:1], v0, v[34:35]
	v_sub_u32_e32 v1, 29, v4
	v_cmp_eq_u32_e64 s[4:5], 0, v3
	v_and_b32_e32 v0, 7, v0
	s_nop 0
	v_cndmask_b32_e64 v1, v3, v1, s[4:5]
	v_mov_b32_e32 v3, 0x1c00
	v_cndmask_b32_e64 v0, v2, v0, s[4:5]
	v_lshlrev_b32_e32 v2, 8, v34
	v_lshl_add_u32 v1, v1, 10, v3
	v_and_or_b32 v1, v2, s29, v1
	v_lshl_or_b32 v0, v0, 7, v1
	v_cvt_f32_f16_e32 v29, v0
.LBB265_175:                            ;   in Loop: Header=BB265_12 Depth=1
	s_or_b64 exec, exec, s[22:23]
	v_lshrrev_b16_e32 v4, 8, v34
	v_cmp_lt_i16_e64 s[4:5], s19, v4
	s_mov_b64 s[22:23], 0
                                        ; implicit-def: $sgpr30
	s_and_saveexec_b64 s[24:25], s[4:5]
	s_xor_b64 s[24:25], exec, s[24:25]
	s_cbranch_execnz .LBB265_409
; %bb.176:                              ;   in Loop: Header=BB265_12 Depth=1
	s_or_saveexec_b64 s[24:25], s[24:25]
	v_mov_b32_e32 v45, s30
	s_xor_b64 exec, exec, s[24:25]
	s_cbranch_execnz .LBB265_412
.LBB265_177:                            ;   in Loop: Header=BB265_12 Depth=1
	s_or_b64 exec, exec, s[24:25]
	s_and_saveexec_b64 s[24:25], s[22:23]
	s_cbranch_execz .LBB265_179
.LBB265_178:                            ;   in Loop: Header=BB265_12 Depth=1
	v_and_b32_e32 v2, 7, v4
	v_ffbh_u32_e32 v0, v2
	v_min_u32_e32 v16, 32, v0
	v_subrev_u32_e32 v0, 28, v16
	v_bfe_u32 v3, v4, 3, 4
	v_lshlrev_b64 v[0:1], v0, v[4:5]
	v_sub_u32_e32 v1, 29, v16
	v_cmp_eq_u32_e64 s[4:5], 0, v3
	v_and_b32_e32 v0, 7, v0
	s_nop 0
	v_cndmask_b32_e64 v1, v3, v1, s[4:5]
	v_mov_b32_e32 v3, 0x1c00
	v_cndmask_b32_e64 v0, v2, v0, s[4:5]
	v_lshlrev_b32_e32 v2, 8, v4
	v_lshl_add_u32 v1, v1, 10, v3
	v_and_or_b32 v1, v2, s29, v1
	v_lshl_or_b32 v0, v0, 7, v1
	v_cvt_f32_f16_e32 v45, v0
.LBB265_179:                            ;   in Loop: Header=BB265_12 Depth=1
	s_or_b64 exec, exec, s[24:25]
	v_lshrrev_b32_e32 v4, 16, v34
	v_cmp_gt_i16_sdwa s[22:23], v4, s19 src0_sel:BYTE_0 src1_sel:DWORD
	s_mov_b64 s[4:5], 0
                                        ; implicit-def: $sgpr26
	s_and_saveexec_b64 s[24:25], s[22:23]
	s_xor_b64 s[22:23], exec, s[24:25]
	s_cbranch_execnz .LBB265_413
; %bb.180:                              ;   in Loop: Header=BB265_12 Depth=1
	s_or_saveexec_b64 s[22:23], s[22:23]
	v_mov_b32_e32 v21, s26
	s_xor_b64 exec, exec, s[22:23]
	s_cbranch_execnz .LBB265_416
.LBB265_181:                            ;   in Loop: Header=BB265_12 Depth=1
	s_or_b64 exec, exec, s[22:23]
	s_and_saveexec_b64 s[22:23], s[4:5]
	s_cbranch_execz .LBB265_183
.LBB265_182:                            ;   in Loop: Header=BB265_12 Depth=1
	v_bfe_u32 v2, v34, 16, 3
	v_ffbh_u32_e32 v0, v2
	v_min_u32_e32 v16, 32, v0
	v_subrev_u32_e32 v0, 28, v16
	v_bfe_u32 v3, v34, 19, 4
	v_lshlrev_b64 v[0:1], v0, v[4:5]
	v_sub_u32_e32 v1, 29, v16
	v_cmp_eq_u32_e64 s[4:5], 0, v3
	v_and_b32_e32 v0, 7, v0
	s_nop 0
	v_cndmask_b32_e64 v1, v3, v1, s[4:5]
	v_mov_b32_e32 v3, 0x1c00
	v_cndmask_b32_e64 v0, v2, v0, s[4:5]
	v_lshlrev_b32_e32 v2, 8, v4
	v_lshl_add_u32 v1, v1, 10, v3
	v_and_or_b32 v1, v2, s29, v1
	v_lshl_or_b32 v0, v0, 7, v1
	v_cvt_f32_f16_e32 v21, v0
.LBB265_183:                            ;   in Loop: Header=BB265_12 Depth=1
	s_or_b64 exec, exec, s[22:23]
	v_lshrrev_b32_e32 v4, 24, v34
	v_cmp_lt_i16_e64 s[4:5], s19, v4
	s_mov_b64 s[22:23], 0
                                        ; implicit-def: $sgpr30
	s_and_saveexec_b64 s[24:25], s[4:5]
	s_xor_b64 s[24:25], exec, s[24:25]
	s_cbranch_execnz .LBB265_417
; %bb.184:                              ;   in Loop: Header=BB265_12 Depth=1
	s_or_saveexec_b64 s[24:25], s[24:25]
	v_mov_b32_e32 v20, s30
	s_xor_b64 exec, exec, s[24:25]
	s_cbranch_execnz .LBB265_420
.LBB265_185:                            ;   in Loop: Header=BB265_12 Depth=1
	s_or_b64 exec, exec, s[24:25]
	s_and_saveexec_b64 s[24:25], s[22:23]
	s_cbranch_execz .LBB265_187
.LBB265_186:                            ;   in Loop: Header=BB265_12 Depth=1
	v_bfe_u32 v2, v34, 24, 3
	v_ffbh_u32_e32 v0, v2
	v_min_u32_e32 v16, 32, v0
	v_subrev_u32_e32 v0, 28, v16
	v_bfe_u32 v3, v34, 27, 4
	v_lshlrev_b64 v[0:1], v0, v[4:5]
	v_sub_u32_e32 v1, 29, v16
	v_cmp_eq_u32_e64 s[4:5], 0, v3
	v_and_b32_e32 v0, 7, v0
	s_nop 0
	v_cndmask_b32_e64 v1, v3, v1, s[4:5]
	v_mov_b32_e32 v3, 0x1c00
	v_cndmask_b32_e64 v0, v2, v0, s[4:5]
	v_lshlrev_b32_e32 v2, 8, v4
	v_lshl_add_u32 v1, v1, 10, v3
	v_and_or_b32 v1, v2, s29, v1
	v_lshl_or_b32 v0, v0, 7, v1
	v_cvt_f32_f16_e32 v20, v0
.LBB265_187:                            ;   in Loop: Header=BB265_12 Depth=1
	s_or_b64 exec, exec, s[24:25]
	flat_load_dword v34, v[32:33] offset:2560
	s_mov_b64 s[4:5], 0
                                        ; implicit-def: $sgpr26
	s_waitcnt vmcnt(0) lgkmcnt(0)
	v_cmp_gt_i16_sdwa s[22:23], v34, s19 src0_sel:BYTE_0 src1_sel:DWORD
	s_and_saveexec_b64 s[24:25], s[22:23]
	s_xor_b64 s[22:23], exec, s[24:25]
	s_cbranch_execnz .LBB265_421
; %bb.188:                              ;   in Loop: Header=BB265_12 Depth=1
	s_or_saveexec_b64 s[22:23], s[22:23]
	v_mov_b32_e32 v2, s26
	s_xor_b64 exec, exec, s[22:23]
	s_cbranch_execnz .LBB265_424
.LBB265_189:                            ;   in Loop: Header=BB265_12 Depth=1
	s_or_b64 exec, exec, s[22:23]
	s_and_saveexec_b64 s[22:23], s[4:5]
	s_cbranch_execz .LBB265_191
.LBB265_190:                            ;   in Loop: Header=BB265_12 Depth=1
	v_and_b32_e32 v2, 7, v34
	v_ffbh_u32_e32 v0, v2
	v_min_u32_e32 v4, 32, v0
	v_subrev_u32_e32 v0, 28, v4
	v_bfe_u32 v3, v34, 3, 4
	v_lshlrev_b64 v[0:1], v0, v[34:35]
	v_sub_u32_e32 v1, 29, v4
	v_cmp_eq_u32_e64 s[4:5], 0, v3
	v_and_b32_e32 v0, 7, v0
	s_nop 0
	v_cndmask_b32_e64 v1, v3, v1, s[4:5]
	v_mov_b32_e32 v3, 0x1c00
	v_cndmask_b32_e64 v0, v2, v0, s[4:5]
	v_lshlrev_b32_e32 v2, 8, v34
	v_lshl_add_u32 v1, v1, 10, v3
	v_and_or_b32 v1, v2, s29, v1
	v_lshl_or_b32 v0, v0, 7, v1
	v_cvt_f32_f16_e32 v2, v0
.LBB265_191:                            ;   in Loop: Header=BB265_12 Depth=1
	s_or_b64 exec, exec, s[22:23]
	v_lshrrev_b16_e32 v4, 8, v34
	v_cmp_lt_i16_e64 s[4:5], s19, v4
	s_mov_b64 s[22:23], 0
                                        ; implicit-def: $sgpr30
	s_and_saveexec_b64 s[24:25], s[4:5]
	s_xor_b64 s[24:25], exec, s[24:25]
	s_cbranch_execnz .LBB265_425
; %bb.192:                              ;   in Loop: Header=BB265_12 Depth=1
	s_or_saveexec_b64 s[24:25], s[24:25]
	v_mov_b32_e32 v51, s30
	s_xor_b64 exec, exec, s[24:25]
	s_cbranch_execnz .LBB265_428
.LBB265_193:                            ;   in Loop: Header=BB265_12 Depth=1
	s_or_b64 exec, exec, s[24:25]
	s_and_saveexec_b64 s[24:25], s[22:23]
	s_cbranch_execz .LBB265_195
.LBB265_194:                            ;   in Loop: Header=BB265_12 Depth=1
	v_and_b32_e32 v3, 7, v4
	v_ffbh_u32_e32 v0, v3
	v_min_u32_e32 v17, 32, v0
	v_subrev_u32_e32 v0, 28, v17
	v_bfe_u32 v16, v4, 3, 4
	v_lshlrev_b64 v[0:1], v0, v[4:5]
	v_sub_u32_e32 v1, 29, v17
	v_and_b32_e32 v0, 7, v0
	v_cmp_eq_u32_e64 s[4:5], 0, v16
	s_nop 1
	v_cndmask_b32_e64 v1, v16, v1, s[4:5]
	v_cndmask_b32_e64 v0, v3, v0, s[4:5]
	v_lshlrev_b32_e32 v3, 8, v4
	v_mov_b32_e32 v4, 0x1c00
	v_lshl_add_u32 v1, v1, 10, v4
	v_and_or_b32 v1, v3, s29, v1
	v_lshl_or_b32 v0, v0, 7, v1
	v_cvt_f32_f16_e32 v51, v0
.LBB265_195:                            ;   in Loop: Header=BB265_12 Depth=1
	s_or_b64 exec, exec, s[24:25]
	v_lshrrev_b32_e32 v4, 16, v34
	v_cmp_gt_i16_sdwa s[22:23], v4, s19 src0_sel:BYTE_0 src1_sel:DWORD
	s_mov_b64 s[4:5], 0
                                        ; implicit-def: $sgpr26
	s_and_saveexec_b64 s[24:25], s[22:23]
	s_xor_b64 s[22:23], exec, s[24:25]
	s_cbranch_execnz .LBB265_429
; %bb.196:                              ;   in Loop: Header=BB265_12 Depth=1
	s_or_saveexec_b64 s[22:23], s[22:23]
	v_mov_b32_e32 v55, s26
	s_xor_b64 exec, exec, s[22:23]
	s_cbranch_execnz .LBB265_432
.LBB265_197:                            ;   in Loop: Header=BB265_12 Depth=1
	s_or_b64 exec, exec, s[22:23]
	s_and_saveexec_b64 s[22:23], s[4:5]
	s_cbranch_execz .LBB265_199
.LBB265_198:                            ;   in Loop: Header=BB265_12 Depth=1
	v_bfe_u32 v3, v34, 16, 3
	v_ffbh_u32_e32 v0, v3
	v_min_u32_e32 v17, 32, v0
	v_subrev_u32_e32 v0, 28, v17
	v_bfe_u32 v16, v34, 19, 4
	v_lshlrev_b64 v[0:1], v0, v[4:5]
	v_sub_u32_e32 v1, 29, v17
	v_and_b32_e32 v0, 7, v0
	v_cmp_eq_u32_e64 s[4:5], 0, v16
	s_nop 1
	v_cndmask_b32_e64 v1, v16, v1, s[4:5]
	v_cndmask_b32_e64 v0, v3, v0, s[4:5]
	v_lshlrev_b32_e32 v3, 8, v4
	v_mov_b32_e32 v4, 0x1c00
	v_lshl_add_u32 v1, v1, 10, v4
	v_and_or_b32 v1, v3, s29, v1
	v_lshl_or_b32 v0, v0, 7, v1
	v_cvt_f32_f16_e32 v55, v0
.LBB265_199:                            ;   in Loop: Header=BB265_12 Depth=1
	s_or_b64 exec, exec, s[22:23]
	v_lshrrev_b32_e32 v4, 24, v34
	v_cmp_lt_i16_e64 s[4:5], s19, v4
	s_mov_b64 s[22:23], 0
                                        ; implicit-def: $sgpr30
	s_and_saveexec_b64 s[24:25], s[4:5]
	s_xor_b64 s[24:25], exec, s[24:25]
	s_cbranch_execnz .LBB265_433
; %bb.200:                              ;   in Loop: Header=BB265_12 Depth=1
	s_or_saveexec_b64 s[24:25], s[24:25]
	v_mov_b32_e32 v56, s30
	s_xor_b64 exec, exec, s[24:25]
	s_cbranch_execnz .LBB265_436
.LBB265_201:                            ;   in Loop: Header=BB265_12 Depth=1
	s_or_b64 exec, exec, s[24:25]
	s_and_saveexec_b64 s[24:25], s[22:23]
	s_cbranch_execz .LBB265_203
.LBB265_202:                            ;   in Loop: Header=BB265_12 Depth=1
	v_bfe_u32 v3, v34, 24, 3
	v_ffbh_u32_e32 v0, v3
	v_min_u32_e32 v17, 32, v0
	v_subrev_u32_e32 v0, 28, v17
	v_bfe_u32 v16, v34, 27, 4
	v_lshlrev_b64 v[0:1], v0, v[4:5]
	v_sub_u32_e32 v1, 29, v17
	v_and_b32_e32 v0, 7, v0
	v_cmp_eq_u32_e64 s[4:5], 0, v16
	s_nop 1
	v_cndmask_b32_e64 v1, v16, v1, s[4:5]
	v_cndmask_b32_e64 v0, v3, v0, s[4:5]
	v_lshlrev_b32_e32 v3, 8, v4
	v_mov_b32_e32 v4, 0x1c00
	v_lshl_add_u32 v1, v1, 10, v4
	v_and_or_b32 v1, v3, s29, v1
	v_lshl_or_b32 v0, v0, 7, v1
	v_cvt_f32_f16_e32 v56, v0
.LBB265_203:                            ;   in Loop: Header=BB265_12 Depth=1
	s_or_b64 exec, exec, s[24:25]
	flat_load_dword v34, v[32:33] offset:2568
	s_mov_b64 s[4:5], 0
                                        ; implicit-def: $sgpr26
	s_waitcnt vmcnt(0) lgkmcnt(0)
	v_cmp_gt_i16_sdwa s[22:23], v34, s19 src0_sel:BYTE_0 src1_sel:DWORD
	s_and_saveexec_b64 s[24:25], s[22:23]
	s_xor_b64 s[22:23], exec, s[24:25]
	s_cbranch_execnz .LBB265_437
; %bb.204:                              ;   in Loop: Header=BB265_12 Depth=1
	s_or_saveexec_b64 s[22:23], s[22:23]
	v_mov_b32_e32 v57, s26
	s_xor_b64 exec, exec, s[22:23]
	s_cbranch_execnz .LBB265_440
.LBB265_205:                            ;   in Loop: Header=BB265_12 Depth=1
	s_or_b64 exec, exec, s[22:23]
	s_and_saveexec_b64 s[22:23], s[4:5]
	s_cbranch_execz .LBB265_207
.LBB265_206:                            ;   in Loop: Header=BB265_12 Depth=1
	v_and_b32_e32 v3, 7, v34
	v_ffbh_u32_e32 v0, v3
	v_min_u32_e32 v16, 32, v0
	v_subrev_u32_e32 v0, 28, v16
	v_bfe_u32 v4, v34, 3, 4
	v_lshlrev_b64 v[0:1], v0, v[34:35]
	v_sub_u32_e32 v1, 29, v16
	v_cmp_eq_u32_e64 s[4:5], 0, v4
	v_and_b32_e32 v0, 7, v0
	s_nop 0
	v_cndmask_b32_e64 v1, v4, v1, s[4:5]
	v_mov_b32_e32 v4, 0x1c00
	v_cndmask_b32_e64 v0, v3, v0, s[4:5]
	v_lshlrev_b32_e32 v3, 8, v34
	v_lshl_add_u32 v1, v1, 10, v4
	v_and_or_b32 v1, v3, s29, v1
	v_lshl_or_b32 v0, v0, 7, v1
	v_cvt_f32_f16_e32 v57, v0
.LBB265_207:                            ;   in Loop: Header=BB265_12 Depth=1
	s_or_b64 exec, exec, s[22:23]
	v_lshrrev_b16_e32 v4, 8, v34
	v_cmp_lt_i16_e64 s[4:5], s19, v4
	s_mov_b64 s[22:23], 0
                                        ; implicit-def: $sgpr30
	s_and_saveexec_b64 s[24:25], s[4:5]
	s_xor_b64 s[24:25], exec, s[24:25]
	s_cbranch_execnz .LBB265_441
; %bb.208:                              ;   in Loop: Header=BB265_12 Depth=1
	s_or_saveexec_b64 s[24:25], s[24:25]
	v_mov_b32_e32 v58, s30
	s_xor_b64 exec, exec, s[24:25]
	s_cbranch_execnz .LBB265_444
.LBB265_209:                            ;   in Loop: Header=BB265_12 Depth=1
	s_or_b64 exec, exec, s[24:25]
	s_and_saveexec_b64 s[24:25], s[22:23]
	s_cbranch_execz .LBB265_211
.LBB265_210:                            ;   in Loop: Header=BB265_12 Depth=1
	v_and_b32_e32 v3, 7, v4
	v_ffbh_u32_e32 v0, v3
	v_min_u32_e32 v17, 32, v0
	v_subrev_u32_e32 v0, 28, v17
	v_bfe_u32 v16, v4, 3, 4
	v_lshlrev_b64 v[0:1], v0, v[4:5]
	v_sub_u32_e32 v1, 29, v17
	v_and_b32_e32 v0, 7, v0
	v_cmp_eq_u32_e64 s[4:5], 0, v16
	s_nop 1
	v_cndmask_b32_e64 v1, v16, v1, s[4:5]
	v_cndmask_b32_e64 v0, v3, v0, s[4:5]
	v_lshlrev_b32_e32 v3, 8, v4
	v_mov_b32_e32 v4, 0x1c00
	v_lshl_add_u32 v1, v1, 10, v4
	v_and_or_b32 v1, v3, s29, v1
	v_lshl_or_b32 v0, v0, 7, v1
	v_cvt_f32_f16_e32 v58, v0
.LBB265_211:                            ;   in Loop: Header=BB265_12 Depth=1
	s_or_b64 exec, exec, s[24:25]
	v_lshrrev_b32_e32 v4, 16, v34
	v_cmp_gt_i16_sdwa s[22:23], v4, s19 src0_sel:BYTE_0 src1_sel:DWORD
	s_mov_b64 s[4:5], 0
                                        ; implicit-def: $sgpr26
	s_and_saveexec_b64 s[24:25], s[22:23]
	s_xor_b64 s[22:23], exec, s[24:25]
	s_cbranch_execnz .LBB265_445
; %bb.212:                              ;   in Loop: Header=BB265_12 Depth=1
	s_or_saveexec_b64 s[22:23], s[22:23]
	v_mov_b32_e32 v59, s26
	s_xor_b64 exec, exec, s[22:23]
	s_cbranch_execnz .LBB265_448
.LBB265_213:                            ;   in Loop: Header=BB265_12 Depth=1
	s_or_b64 exec, exec, s[22:23]
	s_and_saveexec_b64 s[22:23], s[4:5]
	s_cbranch_execz .LBB265_215
.LBB265_214:                            ;   in Loop: Header=BB265_12 Depth=1
	v_bfe_u32 v3, v34, 16, 3
	v_ffbh_u32_e32 v0, v3
	v_min_u32_e32 v17, 32, v0
	v_subrev_u32_e32 v0, 28, v17
	v_bfe_u32 v16, v34, 19, 4
	v_lshlrev_b64 v[0:1], v0, v[4:5]
	v_sub_u32_e32 v1, 29, v17
	v_and_b32_e32 v0, 7, v0
	v_cmp_eq_u32_e64 s[4:5], 0, v16
	s_nop 1
	v_cndmask_b32_e64 v1, v16, v1, s[4:5]
	v_cndmask_b32_e64 v0, v3, v0, s[4:5]
	v_lshlrev_b32_e32 v3, 8, v4
	v_mov_b32_e32 v4, 0x1c00
	v_lshl_add_u32 v1, v1, 10, v4
	v_and_or_b32 v1, v3, s29, v1
	v_lshl_or_b32 v0, v0, 7, v1
	v_cvt_f32_f16_e32 v59, v0
.LBB265_215:                            ;   in Loop: Header=BB265_12 Depth=1
	s_or_b64 exec, exec, s[22:23]
	v_lshrrev_b32_e32 v4, 24, v34
	v_cmp_lt_i16_e64 s[4:5], s19, v4
	s_mov_b64 s[22:23], 0
                                        ; implicit-def: $sgpr30
	s_and_saveexec_b64 s[24:25], s[4:5]
	s_xor_b64 s[24:25], exec, s[24:25]
	s_cbranch_execnz .LBB265_449
; %bb.216:                              ;   in Loop: Header=BB265_12 Depth=1
	s_or_saveexec_b64 s[24:25], s[24:25]
	v_mov_b32_e32 v23, s30
	s_xor_b64 exec, exec, s[24:25]
	s_cbranch_execnz .LBB265_452
.LBB265_217:                            ;   in Loop: Header=BB265_12 Depth=1
	s_or_b64 exec, exec, s[24:25]
	s_and_saveexec_b64 s[24:25], s[22:23]
	s_cbranch_execz .LBB265_219
.LBB265_218:                            ;   in Loop: Header=BB265_12 Depth=1
	v_bfe_u32 v3, v34, 24, 3
	v_ffbh_u32_e32 v0, v3
	v_min_u32_e32 v17, 32, v0
	v_subrev_u32_e32 v0, 28, v17
	v_bfe_u32 v16, v34, 27, 4
	v_lshlrev_b64 v[0:1], v0, v[4:5]
	v_sub_u32_e32 v1, 29, v17
	v_and_b32_e32 v0, 7, v0
	v_cmp_eq_u32_e64 s[4:5], 0, v16
	s_nop 1
	v_cndmask_b32_e64 v1, v16, v1, s[4:5]
	v_cndmask_b32_e64 v0, v3, v0, s[4:5]
	v_lshlrev_b32_e32 v3, 8, v4
	v_mov_b32_e32 v4, 0x1c00
	v_lshl_add_u32 v1, v1, 10, v4
	v_and_or_b32 v1, v3, s29, v1
	v_lshl_or_b32 v0, v0, 7, v1
	v_cvt_f32_f16_e32 v23, v0
.LBB265_219:                            ;   in Loop: Header=BB265_12 Depth=1
	s_or_b64 exec, exec, s[24:25]
	flat_load_dword v34, v[32:33] offset:3072
	s_mov_b64 s[4:5], 0
                                        ; implicit-def: $sgpr26
	s_waitcnt vmcnt(0) lgkmcnt(0)
	v_cmp_gt_i16_sdwa s[22:23], v34, s19 src0_sel:BYTE_0 src1_sel:DWORD
	s_and_saveexec_b64 s[24:25], s[22:23]
	s_xor_b64 s[22:23], exec, s[24:25]
	s_cbranch_execnz .LBB265_453
; %bb.220:                              ;   in Loop: Header=BB265_12 Depth=1
	s_or_saveexec_b64 s[22:23], s[22:23]
	v_mov_b32_e32 v22, s26
	s_xor_b64 exec, exec, s[22:23]
	s_cbranch_execnz .LBB265_456
.LBB265_221:                            ;   in Loop: Header=BB265_12 Depth=1
	s_or_b64 exec, exec, s[22:23]
	s_and_saveexec_b64 s[22:23], s[4:5]
	s_cbranch_execz .LBB265_223
.LBB265_222:                            ;   in Loop: Header=BB265_12 Depth=1
	v_and_b32_e32 v3, 7, v34
	v_ffbh_u32_e32 v0, v3
	v_min_u32_e32 v16, 32, v0
	v_subrev_u32_e32 v0, 28, v16
	v_bfe_u32 v4, v34, 3, 4
	v_lshlrev_b64 v[0:1], v0, v[34:35]
	v_sub_u32_e32 v1, 29, v16
	v_cmp_eq_u32_e64 s[4:5], 0, v4
	v_and_b32_e32 v0, 7, v0
	s_nop 0
	v_cndmask_b32_e64 v1, v4, v1, s[4:5]
	v_mov_b32_e32 v4, 0x1c00
	v_cndmask_b32_e64 v0, v3, v0, s[4:5]
	v_lshlrev_b32_e32 v3, 8, v34
	v_lshl_add_u32 v1, v1, 10, v4
	v_and_or_b32 v1, v3, s29, v1
	v_lshl_or_b32 v0, v0, 7, v1
	v_cvt_f32_f16_e32 v22, v0
.LBB265_223:                            ;   in Loop: Header=BB265_12 Depth=1
	s_or_b64 exec, exec, s[22:23]
	v_lshrrev_b16_e32 v4, 8, v34
	v_cmp_lt_i16_e64 s[4:5], s19, v4
	s_mov_b64 s[22:23], 0
                                        ; implicit-def: $sgpr30
	s_and_saveexec_b64 s[24:25], s[4:5]
	s_xor_b64 s[24:25], exec, s[24:25]
	s_cbranch_execnz .LBB265_457
; %bb.224:                              ;   in Loop: Header=BB265_12 Depth=1
	s_or_saveexec_b64 s[24:25], s[24:25]
	v_mov_b32_e32 v60, s30
	s_xor_b64 exec, exec, s[24:25]
	s_cbranch_execnz .LBB265_460
.LBB265_225:                            ;   in Loop: Header=BB265_12 Depth=1
	s_or_b64 exec, exec, s[24:25]
	s_and_saveexec_b64 s[24:25], s[22:23]
	s_cbranch_execz .LBB265_227
.LBB265_226:                            ;   in Loop: Header=BB265_12 Depth=1
	v_and_b32_e32 v3, 7, v4
	v_ffbh_u32_e32 v0, v3
	v_min_u32_e32 v17, 32, v0
	v_subrev_u32_e32 v0, 28, v17
	v_bfe_u32 v16, v4, 3, 4
	v_lshlrev_b64 v[0:1], v0, v[4:5]
	v_sub_u32_e32 v1, 29, v17
	v_and_b32_e32 v0, 7, v0
	v_cmp_eq_u32_e64 s[4:5], 0, v16
	s_nop 1
	v_cndmask_b32_e64 v1, v16, v1, s[4:5]
	v_cndmask_b32_e64 v0, v3, v0, s[4:5]
	v_lshlrev_b32_e32 v3, 8, v4
	v_mov_b32_e32 v4, 0x1c00
	v_lshl_add_u32 v1, v1, 10, v4
	v_and_or_b32 v1, v3, s29, v1
	v_lshl_or_b32 v0, v0, 7, v1
	v_cvt_f32_f16_e32 v60, v0
.LBB265_227:                            ;   in Loop: Header=BB265_12 Depth=1
	s_or_b64 exec, exec, s[24:25]
	v_lshrrev_b32_e32 v4, 16, v34
	v_cmp_gt_i16_sdwa s[22:23], v4, s19 src0_sel:BYTE_0 src1_sel:DWORD
	s_mov_b64 s[4:5], 0
                                        ; implicit-def: $sgpr26
	s_and_saveexec_b64 s[24:25], s[22:23]
	s_xor_b64 s[22:23], exec, s[24:25]
	s_cbranch_execnz .LBB265_461
; %bb.228:                              ;   in Loop: Header=BB265_12 Depth=1
	s_or_saveexec_b64 s[22:23], s[22:23]
	v_mov_b32_e32 v61, s26
	s_xor_b64 exec, exec, s[22:23]
	s_cbranch_execnz .LBB265_464
.LBB265_229:                            ;   in Loop: Header=BB265_12 Depth=1
	s_or_b64 exec, exec, s[22:23]
	s_and_saveexec_b64 s[22:23], s[4:5]
	s_cbranch_execz .LBB265_231
.LBB265_230:                            ;   in Loop: Header=BB265_12 Depth=1
	v_bfe_u32 v3, v34, 16, 3
	v_ffbh_u32_e32 v0, v3
	v_min_u32_e32 v17, 32, v0
	v_subrev_u32_e32 v0, 28, v17
	v_bfe_u32 v16, v34, 19, 4
	v_lshlrev_b64 v[0:1], v0, v[4:5]
	v_sub_u32_e32 v1, 29, v17
	v_and_b32_e32 v0, 7, v0
	v_cmp_eq_u32_e64 s[4:5], 0, v16
	s_nop 1
	v_cndmask_b32_e64 v1, v16, v1, s[4:5]
	v_cndmask_b32_e64 v0, v3, v0, s[4:5]
	v_lshlrev_b32_e32 v3, 8, v4
	v_mov_b32_e32 v4, 0x1c00
	v_lshl_add_u32 v1, v1, 10, v4
	v_and_or_b32 v1, v3, s29, v1
	v_lshl_or_b32 v0, v0, 7, v1
	v_cvt_f32_f16_e32 v61, v0
.LBB265_231:                            ;   in Loop: Header=BB265_12 Depth=1
	s_or_b64 exec, exec, s[22:23]
	v_lshrrev_b32_e32 v4, 24, v34
	v_cmp_lt_i16_e64 s[4:5], s19, v4
	s_mov_b64 s[22:23], 0
                                        ; implicit-def: $sgpr30
	s_and_saveexec_b64 s[24:25], s[4:5]
	s_xor_b64 s[24:25], exec, s[24:25]
	s_cbranch_execnz .LBB265_465
; %bb.232:                              ;   in Loop: Header=BB265_12 Depth=1
	s_or_saveexec_b64 s[24:25], s[24:25]
	v_mov_b32_e32 v62, s30
	s_xor_b64 exec, exec, s[24:25]
	s_cbranch_execnz .LBB265_468
.LBB265_233:                            ;   in Loop: Header=BB265_12 Depth=1
	s_or_b64 exec, exec, s[24:25]
	s_and_saveexec_b64 s[24:25], s[22:23]
	s_cbranch_execz .LBB265_235
.LBB265_234:                            ;   in Loop: Header=BB265_12 Depth=1
	v_bfe_u32 v3, v34, 24, 3
	v_ffbh_u32_e32 v0, v3
	v_min_u32_e32 v17, 32, v0
	v_subrev_u32_e32 v0, 28, v17
	v_bfe_u32 v16, v34, 27, 4
	v_lshlrev_b64 v[0:1], v0, v[4:5]
	v_sub_u32_e32 v1, 29, v17
	v_and_b32_e32 v0, 7, v0
	v_cmp_eq_u32_e64 s[4:5], 0, v16
	s_nop 1
	v_cndmask_b32_e64 v1, v16, v1, s[4:5]
	v_cndmask_b32_e64 v0, v3, v0, s[4:5]
	v_lshlrev_b32_e32 v3, 8, v4
	v_mov_b32_e32 v4, 0x1c00
	v_lshl_add_u32 v1, v1, 10, v4
	v_and_or_b32 v1, v3, s29, v1
	v_lshl_or_b32 v0, v0, 7, v1
	v_cvt_f32_f16_e32 v62, v0
.LBB265_235:                            ;   in Loop: Header=BB265_12 Depth=1
	s_or_b64 exec, exec, s[24:25]
	flat_load_dword v34, v[32:33] offset:3080
	s_mov_b64 s[4:5], 0
                                        ; implicit-def: $sgpr26
	s_waitcnt vmcnt(0) lgkmcnt(0)
	v_cmp_gt_i16_sdwa s[22:23], v34, s19 src0_sel:BYTE_0 src1_sel:DWORD
	s_and_saveexec_b64 s[24:25], s[22:23]
	s_xor_b64 s[22:23], exec, s[24:25]
	s_cbranch_execnz .LBB265_469
; %bb.236:                              ;   in Loop: Header=BB265_12 Depth=1
	s_or_saveexec_b64 s[22:23], s[22:23]
	v_mov_b32_e32 v27, s26
	s_xor_b64 exec, exec, s[22:23]
	s_cbranch_execnz .LBB265_472
.LBB265_237:                            ;   in Loop: Header=BB265_12 Depth=1
	s_or_b64 exec, exec, s[22:23]
	s_and_saveexec_b64 s[22:23], s[4:5]
	s_cbranch_execz .LBB265_239
.LBB265_238:                            ;   in Loop: Header=BB265_12 Depth=1
	v_and_b32_e32 v3, 7, v34
	v_ffbh_u32_e32 v0, v3
	v_min_u32_e32 v16, 32, v0
	v_subrev_u32_e32 v0, 28, v16
	v_bfe_u32 v4, v34, 3, 4
	v_lshlrev_b64 v[0:1], v0, v[34:35]
	v_sub_u32_e32 v1, 29, v16
	v_cmp_eq_u32_e64 s[4:5], 0, v4
	v_and_b32_e32 v0, 7, v0
	s_nop 0
	v_cndmask_b32_e64 v1, v4, v1, s[4:5]
	v_mov_b32_e32 v4, 0x1c00
	v_cndmask_b32_e64 v0, v3, v0, s[4:5]
	v_lshlrev_b32_e32 v3, 8, v34
	v_lshl_add_u32 v1, v1, 10, v4
	v_and_or_b32 v1, v3, s29, v1
	v_lshl_or_b32 v0, v0, 7, v1
	v_cvt_f32_f16_e32 v27, v0
.LBB265_239:                            ;   in Loop: Header=BB265_12 Depth=1
	s_or_b64 exec, exec, s[22:23]
	v_lshrrev_b16_e32 v4, 8, v34
	v_cmp_lt_i16_e64 s[4:5], s19, v4
	s_mov_b64 s[22:23], 0
                                        ; implicit-def: $sgpr30
	s_and_saveexec_b64 s[24:25], s[4:5]
	s_xor_b64 s[24:25], exec, s[24:25]
	s_cbranch_execnz .LBB265_473
; %bb.240:                              ;   in Loop: Header=BB265_12 Depth=1
	s_or_saveexec_b64 s[24:25], s[24:25]
	v_mov_b32_e32 v17, s30
	s_xor_b64 exec, exec, s[24:25]
	s_cbranch_execnz .LBB265_476
.LBB265_241:                            ;   in Loop: Header=BB265_12 Depth=1
	s_or_b64 exec, exec, s[24:25]
	s_and_saveexec_b64 s[24:25], s[22:23]
	s_cbranch_execz .LBB265_243
.LBB265_242:                            ;   in Loop: Header=BB265_12 Depth=1
	v_and_b32_e32 v3, 7, v4
	v_ffbh_u32_e32 v0, v3
	v_min_u32_e32 v17, 32, v0
	v_subrev_u32_e32 v0, 28, v17
	v_bfe_u32 v16, v4, 3, 4
	v_lshlrev_b64 v[0:1], v0, v[4:5]
	v_sub_u32_e32 v1, 29, v17
	v_and_b32_e32 v0, 7, v0
	v_cmp_eq_u32_e64 s[4:5], 0, v16
	s_nop 1
	v_cndmask_b32_e64 v1, v16, v1, s[4:5]
	v_cndmask_b32_e64 v0, v3, v0, s[4:5]
	v_lshlrev_b32_e32 v3, 8, v4
	v_mov_b32_e32 v4, 0x1c00
	v_lshl_add_u32 v1, v1, 10, v4
	v_and_or_b32 v1, v3, s29, v1
	v_lshl_or_b32 v0, v0, 7, v1
	v_cvt_f32_f16_e32 v17, v0
.LBB265_243:                            ;   in Loop: Header=BB265_12 Depth=1
	s_or_b64 exec, exec, s[24:25]
	v_lshrrev_b32_e32 v4, 16, v34
	v_cmp_gt_i16_sdwa s[22:23], v4, s19 src0_sel:BYTE_0 src1_sel:DWORD
	s_mov_b64 s[4:5], 0
                                        ; implicit-def: $sgpr26
	s_and_saveexec_b64 s[24:25], s[22:23]
	s_xor_b64 s[22:23], exec, s[24:25]
	s_cbranch_execnz .LBB265_477
; %bb.244:                              ;   in Loop: Header=BB265_12 Depth=1
	s_or_saveexec_b64 s[22:23], s[22:23]
	v_mov_b32_e32 v3, s26
	s_xor_b64 exec, exec, s[22:23]
	s_cbranch_execnz .LBB265_480
.LBB265_245:                            ;   in Loop: Header=BB265_12 Depth=1
	s_or_b64 exec, exec, s[22:23]
	s_and_saveexec_b64 s[22:23], s[4:5]
	s_cbranch_execz .LBB265_247
.LBB265_246:                            ;   in Loop: Header=BB265_12 Depth=1
	v_bfe_u32 v3, v34, 16, 3
	v_ffbh_u32_e32 v0, v3
	v_min_u32_e32 v26, 32, v0
	v_subrev_u32_e32 v0, 28, v26
	v_bfe_u32 v16, v34, 19, 4
	v_lshlrev_b64 v[0:1], v0, v[4:5]
	v_sub_u32_e32 v1, 29, v26
	v_and_b32_e32 v0, 7, v0
	v_cmp_eq_u32_e64 s[4:5], 0, v16
	s_nop 1
	v_cndmask_b32_e64 v1, v16, v1, s[4:5]
	v_cndmask_b32_e64 v0, v3, v0, s[4:5]
	v_lshlrev_b32_e32 v3, 8, v4
	v_mov_b32_e32 v4, 0x1c00
	v_lshl_add_u32 v1, v1, 10, v4
	v_and_or_b32 v1, v3, s29, v1
	v_lshl_or_b32 v0, v0, 7, v1
	v_cvt_f32_f16_e32 v3, v0
.LBB265_247:                            ;   in Loop: Header=BB265_12 Depth=1
	s_or_b64 exec, exec, s[22:23]
	v_lshrrev_b32_e32 v4, 24, v34
	v_cmp_lt_i16_e64 s[4:5], s19, v4
	s_mov_b64 s[22:23], 0
                                        ; implicit-def: $sgpr30
	s_and_saveexec_b64 s[24:25], s[4:5]
	s_xor_b64 s[24:25], exec, s[24:25]
	s_cbranch_execnz .LBB265_481
; %bb.248:                              ;   in Loop: Header=BB265_12 Depth=1
	s_or_saveexec_b64 s[24:25], s[24:25]
	v_mov_b32_e32 v35, s30
	s_xor_b64 exec, exec, s[24:25]
	s_cbranch_execnz .LBB265_484
.LBB265_249:                            ;   in Loop: Header=BB265_12 Depth=1
	s_or_b64 exec, exec, s[24:25]
	s_and_saveexec_b64 s[24:25], s[22:23]
	s_cbranch_execz .LBB265_251
.LBB265_250:                            ;   in Loop: Header=BB265_12 Depth=1
	v_bfe_u32 v16, v34, 24, 3
	v_ffbh_u32_e32 v0, v16
	v_bfe_u32 v26, v34, 27, 4
	v_min_u32_e32 v34, 32, v0
	v_subrev_u32_e32 v0, 28, v34
	v_lshlrev_b64 v[0:1], v0, v[4:5]
	v_sub_u32_e32 v1, 29, v34
	v_cmp_eq_u32_e64 s[4:5], 0, v26
	v_mov_b32_e32 v6, 0x1c00
	v_and_b32_e32 v0, 7, v0
	v_cndmask_b32_e64 v1, v26, v1, s[4:5]
	v_lshlrev_b32_e32 v4, 8, v4
	v_lshl_add_u32 v1, v1, 10, v6
	v_cndmask_b32_e64 v0, v16, v0, s[4:5]
	v_and_or_b32 v1, v4, s29, v1
	v_lshl_or_b32 v0, v0, 7, v1
	v_cvt_f32_f16_e32 v35, v0
.LBB265_251:                            ;   in Loop: Header=BB265_12 Depth=1
	s_or_b64 exec, exec, s[24:25]
	flat_load_dword v32, v[32:33] offset:3584
	s_mov_b64 s[4:5], 0
                                        ; implicit-def: $sgpr26
	s_waitcnt vmcnt(0) lgkmcnt(0)
	v_cmp_gt_i16_sdwa s[22:23], v32, s19 src0_sel:BYTE_0 src1_sel:DWORD
	s_and_saveexec_b64 s[24:25], s[22:23]
	s_xor_b64 s[22:23], exec, s[24:25]
	s_cbranch_execnz .LBB265_485
; %bb.252:                              ;   in Loop: Header=BB265_12 Depth=1
	s_or_saveexec_b64 s[22:23], s[22:23]
	v_mov_b32_e32 v34, s26
	s_xor_b64 exec, exec, s[22:23]
	s_cbranch_execnz .LBB265_488
.LBB265_253:                            ;   in Loop: Header=BB265_12 Depth=1
	s_or_b64 exec, exec, s[22:23]
	s_and_saveexec_b64 s[22:23], s[4:5]
	s_cbranch_execz .LBB265_255
.LBB265_254:                            ;   in Loop: Header=BB265_12 Depth=1
	v_and_b32_e32 v4, 7, v32
	v_ffbh_u32_e32 v0, v4
	v_min_u32_e32 v26, 32, v0
	v_subrev_u32_e32 v0, 28, v26
	v_bfe_u32 v16, v32, 3, 4
	v_lshlrev_b64 v[0:1], v0, v[32:33]
	v_sub_u32_e32 v1, 29, v26
	v_cmp_eq_u32_e64 s[4:5], 0, v16
	v_and_b32_e32 v0, 7, v0
	v_mov_b32_e32 v6, 0x1c00
	v_cndmask_b32_e64 v1, v16, v1, s[4:5]
	v_cndmask_b32_e64 v0, v4, v0, s[4:5]
	v_lshlrev_b32_e32 v4, 8, v32
	v_lshl_add_u32 v1, v1, 10, v6
	v_and_or_b32 v1, v4, s29, v1
	v_lshl_or_b32 v0, v0, 7, v1
	v_cvt_f32_f16_e32 v34, v0
.LBB265_255:                            ;   in Loop: Header=BB265_12 Depth=1
	s_or_b64 exec, exec, s[22:23]
	v_lshrrev_b16_e32 v4, 8, v32
	v_cmp_lt_i16_e64 s[4:5], s19, v4
	s_mov_b64 s[22:23], 0
                                        ; implicit-def: $sgpr30
	s_and_saveexec_b64 s[24:25], s[4:5]
	s_xor_b64 s[24:25], exec, s[24:25]
	s_cbranch_execnz .LBB265_489
; %bb.256:                              ;   in Loop: Header=BB265_12 Depth=1
	s_or_saveexec_b64 s[24:25], s[24:25]
	v_mov_b32_e32 v1, s30
	s_xor_b64 exec, exec, s[24:25]
	s_cbranch_execnz .LBB265_492
.LBB265_257:                            ;   in Loop: Header=BB265_12 Depth=1
	s_or_b64 exec, exec, s[24:25]
	s_and_saveexec_b64 s[24:25], s[22:23]
	s_cbranch_execz .LBB265_259
.LBB265_258:                            ;   in Loop: Header=BB265_12 Depth=1
	v_and_b32_e32 v16, 7, v4
	v_ffbh_u32_e32 v0, v16
	v_min_u32_e32 v33, 32, v0
	v_subrev_u32_e32 v0, 28, v33
	v_bfe_u32 v26, v4, 3, 4
	v_lshlrev_b64 v[0:1], v0, v[4:5]
	v_sub_u32_e32 v1, 29, v33
	v_cmp_eq_u32_e64 s[4:5], 0, v26
	v_mov_b32_e32 v6, 0x1c00
	v_and_b32_e32 v0, 7, v0
	v_cndmask_b32_e64 v1, v26, v1, s[4:5]
	v_lshlrev_b32_e32 v4, 8, v4
	v_lshl_add_u32 v1, v1, 10, v6
	v_cndmask_b32_e64 v0, v16, v0, s[4:5]
	v_and_or_b32 v1, v4, s29, v1
	v_lshl_or_b32 v0, v0, 7, v1
	v_cvt_f32_f16_e32 v1, v0
.LBB265_259:                            ;   in Loop: Header=BB265_12 Depth=1
	s_or_b64 exec, exec, s[24:25]
	v_lshrrev_b32_e32 v4, 16, v32
	v_cmp_gt_i16_sdwa s[22:23], v4, s19 src0_sel:BYTE_0 src1_sel:DWORD
	s_mov_b64 s[4:5], 0
                                        ; implicit-def: $sgpr26
	s_and_saveexec_b64 s[24:25], s[22:23]
	s_xor_b64 s[22:23], exec, s[24:25]
	s_cbranch_execnz .LBB265_493
; %bb.260:                              ;   in Loop: Header=BB265_12 Depth=1
	s_or_saveexec_b64 s[22:23], s[22:23]
	v_mov_b32_e32 v16, s26
	s_xor_b64 exec, exec, s[22:23]
	s_cbranch_execnz .LBB265_496
.LBB265_261:                            ;   in Loop: Header=BB265_12 Depth=1
	s_or_b64 exec, exec, s[22:23]
	s_and_saveexec_b64 s[22:23], s[4:5]
	s_cbranch_execz .LBB265_263
.LBB265_262:                            ;   in Loop: Header=BB265_12 Depth=1
	v_bfe_u32 v0, v32, 16, 3
	v_ffbh_u32_e32 v26, v0
	v_min_u32_e32 v26, 32, v26
	v_bfe_u32 v16, v32, 19, 4
	v_subrev_u32_e32 v33, 28, v26
	v_mov_b32_e32 v6, v37
	v_lshlrev_b64 v[36:37], v33, v[4:5]
	v_sub_u32_e32 v26, 29, v26
	v_cmp_eq_u32_e64 s[4:5], 0, v16
	v_mov_b32_e32 v37, v6
	v_mov_b32_e32 v6, 0x1c00
	v_cndmask_b32_e64 v16, v16, v26, s[4:5]
	v_and_b32_e32 v33, 7, v36
	v_lshlrev_b32_e32 v4, 8, v4
	v_lshl_add_u32 v16, v16, 10, v6
	v_cndmask_b32_e64 v0, v0, v33, s[4:5]
	v_and_or_b32 v4, v4, s29, v16
	v_lshl_or_b32 v0, v0, 7, v4
	v_cvt_f32_f16_e32 v16, v0
.LBB265_263:                            ;   in Loop: Header=BB265_12 Depth=1
	s_or_b64 exec, exec, s[22:23]
	v_lshrrev_b32_e32 v4, 24, v32
	v_cmp_lt_i16_e64 s[4:5], s19, v4
	s_mov_b64 s[22:23], 0
                                        ; implicit-def: $sgpr30
	s_and_saveexec_b64 s[24:25], s[4:5]
	s_xor_b64 s[24:25], exec, s[24:25]
	s_cbranch_execz .LBB265_267
; %bb.264:                              ;   in Loop: Header=BB265_12 Depth=1
	v_cmp_eq_u16_e64 s[4:5], s28, v4
	s_mov_b64 s[22:23], -1
                                        ; implicit-def: $sgpr30
	s_and_saveexec_b64 s[26:27], s[4:5]
; %bb.265:                              ;   in Loop: Header=BB265_12 Depth=1
	s_mov_b32 s30, 0x7fc02000
	s_xor_b64 s[22:23], exec, -1
; %bb.266:                              ;   in Loop: Header=BB265_12 Depth=1
	s_or_b64 exec, exec, s[26:27]
	s_and_b64 s[22:23], s[22:23], exec
.LBB265_267:                            ;   in Loop: Header=BB265_12 Depth=1
	s_or_saveexec_b64 s[24:25], s[24:25]
	v_mov_b32_e32 v39, s30
	s_xor_b64 exec, exec, s[24:25]
; %bb.268:                              ;   in Loop: Header=BB265_12 Depth=1
	v_cmp_ne_u16_e64 s[4:5], 0, v4
	s_andn2_b64 s[22:23], s[22:23], exec
	s_and_b64 s[4:5], s[4:5], exec
	v_mov_b32_e32 v39, 0
	s_or_b64 s[22:23], s[22:23], s[4:5]
; %bb.269:                              ;   in Loop: Header=BB265_12 Depth=1
	s_or_b64 exec, exec, s[24:25]
	v_accvgpr_write_b32 a48, v41
	v_accvgpr_write_b32 a47, v40
	;; [unrolled: 1-line block ×3, first 2 shown]
	s_and_saveexec_b64 s[24:25], s[22:23]
	s_cbranch_execz .LBB265_271
; %bb.270:                              ;   in Loop: Header=BB265_12 Depth=1
	v_bfe_u32 v0, v32, 24, 3
	v_bfe_u32 v26, v32, 27, 4
	v_ffbh_u32_e32 v32, v0
	v_min_u32_e32 v36, 32, v32
	v_subrev_u32_e32 v32, 28, v36
	v_lshlrev_b64 v[32:33], v32, v[4:5]
	v_sub_u32_e32 v33, 29, v36
	v_cmp_eq_u32_e64 s[4:5], 0, v26
	v_mov_b32_e32 v6, 0x1c00
	v_and_b32_e32 v32, 7, v32
	v_cndmask_b32_e64 v26, v26, v33, s[4:5]
	v_lshlrev_b32_e32 v4, 8, v4
	v_lshl_add_u32 v26, v26, 10, v6
	v_cndmask_b32_e64 v0, v0, v32, s[4:5]
	v_and_or_b32 v4, v4, s29, v26
	v_lshl_or_b32 v0, v0, 7, v4
	v_cvt_f32_f16_e32 v39, v0
.LBB265_271:                            ;   in Loop: Header=BB265_12 Depth=1
	s_or_b64 exec, exec, s[24:25]
	v_accvgpr_read_b32 v40, a33
	ds_read_b64 v[32:33], v40
	v_fma_mixlo_f16 v37, v47, v37, 0
	v_fma_mixlo_f16 v41, v47, v14, 0
	v_accvgpr_read_b32 v6, a50
	v_fma_mixlo_f16 v36, v47, v6, 0
	s_waitcnt lgkmcnt(0)
	v_and_b32_e32 v4, 0xffff, v32
	v_lshrrev_b32_e32 v0, 16, v32
	v_lshrrev_b32_e32 v26, 16, v33
	v_and_b32_e32 v32, 0xffff, v33
	v_fma_mixlo_f16 v33, v47, v13, 0
	;;#ASMSTART
	v_cvt_f32_f16 v14, v4;
	;;#ASMEND
	v_and_b32_e32 v4, 0xffff, v37
	;;#ASMSTART
	v_cvt_f32_f16 v0, v0;
	;;#ASMEND
	;;#ASMSTART
	v_cvt_f32_f16 v37, v4;
	;;#ASMEND
	v_and_b32_e32 v4, 0xffff, v33
	v_fma_mixlo_f16 v13, v47, v15, 0
	;;#ASMSTART
	v_cvt_f32_f16 v15, v4;
	;;#ASMEND
	v_and_b32_e32 v4, 0xffff, v41
	;;#ASMSTART
	v_cvt_f32_f16 v6, v32;
	;;#ASMEND
	;;#ASMSTART
	v_cvt_f32_f16 v26, v26;
	;;#ASMEND
	;;#ASMSTART
	v_cvt_f32_f16 v41, v4;
	;;#ASMEND
	v_and_b32_e32 v4, 0xffff, v13
	;;#ASMSTART
	v_cvt_f32_f16 v13, v4;
	;;#ASMEND
	ds_read_b64 v[32:33], v40 offset:8
	v_and_b32_e32 v36, 0xffff, v36
	v_fma_mixlo_f16 v53, v47, v19, 0
	v_fma_mixlo_f16 v46, v47, v46, 0
	;; [unrolled: 1-line block ×3, first 2 shown]
	s_waitcnt lgkmcnt(0)
	v_and_b32_e32 v4, 0xffff, v32
	;;#ASMSTART
	v_cvt_f32_f16 v4, v4;
	;;#ASMEND
	v_lshrrev_b32_e32 v32, 16, v32
	;;#ASMSTART
	v_cvt_f32_f16 v32, v32;
	;;#ASMEND
	;;#ASMSTART
	v_cvt_f32_f16 v36, v36;
	;;#ASMEND
	v_and_b32_e32 v10, 0xffff, v10
	v_mul_f32_e32 v4, v4, v36
	v_fmac_f32_e32 v4, v14, v37
	scratch_load_dword v14, off, s32 offset:144 ; 4-byte Folded Reload
	v_fma_mixlo_f16 v9, v47, v9, 0
	v_and_b32_e32 v9, 0xffff, v9
	v_fma_mixlo_f16 v29, v47, v29, 0
	v_fma_mixlo_f16 v45, v47, v45, 0
	v_fma_mixlo_f16 v21, v47, v21, 0
	v_fma_mixlo_f16 v20, v47, v20, 0
	v_fma_mixlo_f16 v55, v47, v55, 0
	v_fma_mixlo_f16 v58, v47, v58, 0
	v_fma_mixlo_f16 v23, v47, v23, 0
	v_fma_mixlo_f16 v60, v47, v60, 0
	v_fma_mixlo_f16 v27, v47, v27, 0
	s_waitcnt vmcnt(0)
	v_fma_mixlo_f16 v14, v47, v14, 0
	v_and_b32_e32 v14, 0xffff, v14
	;;#ASMSTART
	v_cvt_f32_f16 v14, v14;
	;;#ASMEND
	s_nop 0
	v_mul_f32_e32 v36, v32, v14
	v_fmac_f32_e32 v36, v0, v15
	scratch_load_dword v15, off, s32 offset:148 ; 4-byte Folded Reload
	v_lshrrev_b32_e32 v0, 16, v33
	v_and_b32_e32 v14, 0xffff, v33
	;;#ASMSTART
	v_cvt_f32_f16 v14, v14;
	;;#ASMEND
	;;#ASMSTART
	v_cvt_f32_f16 v0, v0;
	;;#ASMEND
	s_waitcnt vmcnt(0)
	v_fma_mixlo_f16 v15, v47, v15, 0
	v_and_b32_e32 v15, 0xffff, v15
	;;#ASMSTART
	v_cvt_f32_f16 v15, v15;
	;;#ASMEND
	s_nop 0
	v_mul_f32_e32 v37, v14, v15
	v_fmac_f32_e32 v37, v6, v41
	v_fma_mixlo_f16 v6, v47, v48, 0
	v_and_b32_e32 v6, 0xffff, v6
	;;#ASMSTART
	v_cvt_f32_f16 v6, v6;
	;;#ASMEND
	ds_read_b64 v[32:33], v40 offset:16
	v_mul_f32_e32 v0, v0, v6
	v_fma_mixlo_f16 v41, v47, v22, 0
	v_fma_mixlo_f16 v22, v47, v62, 0
	;; [unrolled: 1-line block ×3, first 2 shown]
	v_accvgpr_read_b32 v2, a51
	v_fmac_f32_e32 v0, v26, v13
	v_fma_mixlo_f16 v26, v47, v8, 0
	v_fma_mixlo_f16 v8, v47, v28, 0
	;; [unrolled: 1-line block ×7, first 2 shown]
	v_accvgpr_read_b32 v2, a49
	v_fma_mixlo_f16 v6, v47, v49, 0
	s_waitcnt lgkmcnt(0)
	v_and_b32_e32 v13, 0xffff, v32
	v_fma_mixlo_f16 v48, v47, v12, 0
	v_fma_mixlo_f16 v12, v47, v2, 0
	v_accvgpr_read_b32 v2, a47
	;;#ASMSTART
	v_cvt_f32_f16 v13, v13;
	;;#ASMEND
	v_lshrrev_b32_e32 v14, 16, v32
	v_and_b32_e32 v6, 0xffff, v6
	v_fma_mixlo_f16 v19, v47, v2, 0
	v_accvgpr_read_b32 v2, a48
	;;#ASMSTART
	v_cvt_f32_f16 v14, v14;
	;;#ASMEND
	;;#ASMSTART
	v_cvt_f32_f16 v6, v6;
	;;#ASMEND
	v_fma_mixlo_f16 v49, v47, v30, 0
	v_fmac_f32_e32 v4, v13, v6
	v_fma_mixlo_f16 v13, v47, v31, 0
	v_fma_mixlo_f16 v31, v47, v2, 0
	scratch_load_dword v2, off, s32 offset:140 ; 4-byte Folded Reload
	v_fma_mixlo_f16 v30, v47, v42, 0
	v_fma_mixlo_f16 v42, v47, v44, 0
	;; [unrolled: 1-line block ×19, first 2 shown]
	v_and_b32_e32 v12, 0xffff, v12
	v_and_b32_e32 v13, 0xffff, v13
	;; [unrolled: 1-line block ×7, first 2 shown]
	s_waitcnt vmcnt(0)
	v_fma_mixlo_f16 v15, v47, v2, 0
	v_and_b32_e32 v15, 0xffff, v15
	v_accvgpr_read_b32 v2, a46
	;;#ASMSTART
	v_cvt_f32_f16 v15, v15;
	;;#ASMEND
	v_fma_mixlo_f16 v44, v47, v2, 0
	v_fmac_f32_e32 v36, v14, v15
	v_lshrrev_b32_e32 v14, 16, v33
	v_fma_mixlo_f16 v2, v47, v16, 0
	v_and_b32_e32 v15, 0xffff, v33
	;;#ASMSTART
	v_cvt_f32_f16 v16, v15;
	;;#ASMEND
	;;#ASMSTART
	v_cvt_f32_f16 v33, v14;
	;;#ASMEND
	v_and_b32_e32 v14, 0xffff, v46
	;;#ASMSTART
	v_cvt_f32_f16 v34, v14;
	;;#ASMEND
	v_and_b32_e32 v14, 0xffff, v44
	;;#ASMSTART
	v_cvt_f32_f16 v39, v14;
	;;#ASMEND
	ds_read_b64 v[14:15], v40 offset:24
	v_fmac_f32_e32 v37, v16, v34
	v_fmac_f32_e32 v0, v33, v39
	v_and_b32_e32 v2, 0xffff, v2
	s_waitcnt lgkmcnt(0)
	v_lshrrev_b32_e32 v16, 16, v14
	v_and_b32_e32 v14, 0xffff, v14
	;;#ASMSTART
	v_cvt_f32_f16 v33, v14;
	;;#ASMEND
	v_and_b32_e32 v14, 0xffff, v30
	;;#ASMSTART
	v_cvt_f32_f16 v16, v16;
	;;#ASMEND
	;;#ASMSTART
	v_cvt_f32_f16 v30, v14;
	;;#ASMEND
	v_and_b32_e32 v14, 0xffff, v19
	;;#ASMSTART
	v_cvt_f32_f16 v19, v14;
	;;#ASMEND
	v_lshrrev_b32_e32 v14, 16, v15
	v_and_b32_e32 v15, 0xffff, v15
	;;#ASMSTART
	v_cvt_f32_f16 v34, v15;
	;;#ASMEND
	;;#ASMSTART
	v_cvt_f32_f16 v39, v14;
	;;#ASMEND
	v_and_b32_e32 v14, 0xffff, v31
	;;#ASMSTART
	v_cvt_f32_f16 v31, v14;
	;;#ASMEND
	v_and_b32_e32 v14, 0xffff, v42
	;;#ASMSTART
	v_cvt_f32_f16 v42, v14;
	;;#ASMEND
	ds_read_b64 v[14:15], v40 offset:32
	v_fmac_f32_e32 v36, v16, v19
	v_fmac_f32_e32 v4, v33, v30
	;; [unrolled: 1-line block ×4, first 2 shown]
	s_waitcnt lgkmcnt(0)
	v_lshrrev_b32_e32 v16, 16, v14
	v_and_b32_e32 v14, 0xffff, v14
	;;#ASMSTART
	v_cvt_f32_f16 v19, v14;
	;;#ASMEND
	v_and_b32_e32 v14, 0xffff, v48
	;;#ASMSTART
	v_cvt_f32_f16 v16, v16;
	;;#ASMEND
	;;#ASMSTART
	v_cvt_f32_f16 v12, v12;
	;;#ASMEND
	;; [unrolled: 3-line block ×3, first 2 shown]
	v_lshrrev_b32_e32 v14, 16, v15
	v_and_b32_e32 v15, 0xffff, v15
	;;#ASMSTART
	v_cvt_f32_f16 v31, v15;
	;;#ASMEND
	;;#ASMSTART
	v_cvt_f32_f16 v33, v14;
	;;#ASMEND
	v_and_b32_e32 v14, 0xffff, v53
	;;#ASMSTART
	v_cvt_f32_f16 v34, v14;
	;;#ASMEND
	v_and_b32_e32 v14, 0xffff, v49
	;;#ASMSTART
	v_cvt_f32_f16 v39, v14;
	;;#ASMEND
	ds_read_b64 v[14:15], v40 offset:40
	v_fmac_f32_e32 v4, v19, v12
	v_fmac_f32_e32 v36, v16, v30
	;; [unrolled: 1-line block ×4, first 2 shown]
	s_waitcnt lgkmcnt(0)
	v_lshrrev_b32_e32 v12, 16, v14
	v_and_b32_e32 v14, 0xffff, v14
	;;#ASMSTART
	v_cvt_f32_f16 v16, v14;
	;;#ASMEND
	v_and_b32_e32 v14, 0xffff, v38
	;;#ASMSTART
	v_cvt_f32_f16 v12, v12;
	;;#ASMEND
	;;#ASMSTART
	v_cvt_f32_f16 v19, v14;
	;;#ASMEND
	v_lshrrev_b32_e32 v14, 16, v15
	;;#ASMSTART
	v_cvt_f32_f16 v13, v13;
	;;#ASMEND
	v_and_b32_e32 v15, 0xffff, v15
	;;#ASMSTART
	v_cvt_f32_f16 v30, v15;
	;;#ASMEND
	;;#ASMSTART
	v_cvt_f32_f16 v31, v14;
	;;#ASMEND
	v_and_b32_e32 v14, 0xffff, v43
	;;#ASMSTART
	v_cvt_f32_f16 v33, v14;
	;;#ASMEND
	;;#ASMSTART
	v_cvt_f32_f16 v10, v10;
	;;#ASMEND
	ds_read_b64 v[14:15], v40 offset:48
	v_fmac_f32_e32 v36, v12, v13
	v_fmac_f32_e32 v0, v31, v10
	;; [unrolled: 1-line block ×4, first 2 shown]
	s_waitcnt lgkmcnt(0)
	v_lshrrev_b32_e32 v10, 16, v14
	v_and_b32_e32 v12, 0xffff, v14
	;;#ASMSTART
	v_cvt_f32_f16 v12, v12;
	;;#ASMEND
	;;#ASMSTART
	v_cvt_f32_f16 v13, v10;
	;;#ASMEND
	v_and_b32_e32 v10, 0xffff, v54
	;;#ASMSTART
	v_cvt_f32_f16 v14, v10;
	;;#ASMEND
	v_and_b32_e32 v10, 0xffff, v52
	;;#ASMSTART
	v_cvt_f32_f16 v16, v10;
	;;#ASMEND
	v_lshrrev_b32_e32 v10, 16, v15
	v_and_b32_e32 v15, 0xffff, v15
	;;#ASMSTART
	v_cvt_f32_f16 v15, v15;
	;;#ASMEND
	;;#ASMSTART
	v_cvt_f32_f16 v19, v10;
	;;#ASMEND
	v_and_b32_e32 v10, 0xffff, v11
	;;#ASMSTART
	v_cvt_f32_f16 v30, v10;
	;;#ASMEND
	;;#ASMSTART
	v_cvt_f32_f16 v9, v9;
	;;#ASMEND
	ds_read_b64 v[10:11], v40 offset:56
	v_fmac_f32_e32 v0, v19, v9
	v_fmac_f32_e32 v4, v12, v14
	v_fmac_f32_e32 v36, v13, v16
	v_fmac_f32_e32 v37, v15, v30
	s_waitcnt lgkmcnt(0)
	v_lshrrev_b32_e32 v9, 16, v10
	v_and_b32_e32 v10, 0xffff, v10
	;;#ASMSTART
	v_cvt_f32_f16 v12, v10;
	;;#ASMEND
	v_and_b32_e32 v10, 0xffff, v50
	;;#ASMSTART
	v_cvt_f32_f16 v9, v9;
	;;#ASMEND
	;;#ASMSTART
	v_cvt_f32_f16 v13, v10;
	;;#ASMEND
	v_and_b32_e32 v10, 0xffff, v28
	;;#ASMSTART
	v_cvt_f32_f16 v14, v10;
	;;#ASMEND
	v_lshrrev_b32_e32 v10, 16, v11
	v_and_b32_e32 v11, 0xffff, v11
	;;#ASMSTART
	v_cvt_f32_f16 v15, v11;
	;;#ASMEND
	;;#ASMSTART
	v_cvt_f32_f16 v16, v10;
	;;#ASMEND
	v_and_b32_e32 v10, 0xffff, v25
	;;#ASMSTART
	v_cvt_f32_f16 v19, v10;
	;;#ASMEND
	v_and_b32_e32 v10, 0xffff, v18
	;;#ASMSTART
	v_cvt_f32_f16 v18, v10;
	;;#ASMEND
	ds_read_b64 v[10:11], v40 offset:64
	v_fmac_f32_e32 v36, v9, v14
	v_fmac_f32_e32 v4, v12, v13
	;; [unrolled: 1-line block ×4, first 2 shown]
	s_waitcnt lgkmcnt(0)
	v_lshrrev_b32_e32 v9, 16, v10
	v_and_b32_e32 v10, 0xffff, v10
	;;#ASMSTART
	v_cvt_f32_f16 v10, v10;
	;;#ASMEND
	;;#ASMSTART
	v_cvt_f32_f16 v12, v9;
	;;#ASMEND
	v_and_b32_e32 v9, 0xffff, v26
	;;#ASMSTART
	v_cvt_f32_f16 v13, v9;
	;;#ASMEND
	v_and_b32_e32 v9, 0xffff, v56
	;;#ASMSTART
	v_cvt_f32_f16 v14, v9;
	;;#ASMEND
	v_lshrrev_b32_e32 v9, 16, v11
	v_and_b32_e32 v11, 0xffff, v11
	;;#ASMSTART
	v_cvt_f32_f16 v11, v11;
	;;#ASMEND
	;;#ASMSTART
	v_cvt_f32_f16 v15, v9;
	;;#ASMEND
	v_and_b32_e32 v9, 0xffff, v24
	;;#ASMSTART
	v_cvt_f32_f16 v16, v9;
	;;#ASMEND
	;;#ASMSTART
	v_cvt_f32_f16 v18, v8;
	;;#ASMEND
	ds_read_b64 v[8:9], v40 offset:72
	v_fmac_f32_e32 v4, v10, v13
	v_fmac_f32_e32 v37, v11, v16
	v_fmac_f32_e32 v36, v12, v14
	v_fmac_f32_e32 v0, v15, v18
	s_waitcnt lgkmcnt(0)
	v_lshrrev_b32_e32 v10, 16, v8
	v_and_b32_e32 v8, 0xffff, v8
	;;#ASMSTART
	v_cvt_f32_f16 v11, v8;
	;;#ASMEND
	v_and_b32_e32 v8, 0xffff, v29
	;;#ASMSTART
	v_cvt_f32_f16 v10, v10;
	;;#ASMEND
	;;#ASMSTART
	v_cvt_f32_f16 v12, v8;
	;;#ASMEND
	v_and_b32_e32 v8, 0xffff, v45
	;;#ASMSTART
	v_cvt_f32_f16 v13, v8;
	;;#ASMEND
	v_lshrrev_b32_e32 v8, 16, v9
	v_and_b32_e32 v9, 0xffff, v9
	;;#ASMSTART
	v_cvt_f32_f16 v14, v9;
	;;#ASMEND
	;;#ASMSTART
	v_cvt_f32_f16 v15, v8;
	;;#ASMEND
	v_and_b32_e32 v8, 0xffff, v21
	;;#ASMSTART
	v_cvt_f32_f16 v16, v8;
	;;#ASMEND
	v_and_b32_e32 v8, 0xffff, v20
	;;#ASMSTART
	v_cvt_f32_f16 v18, v8;
	;;#ASMEND
	ds_read_b64 v[8:9], v40 offset:80
	v_fmac_f32_e32 v36, v10, v13
	v_fmac_f32_e32 v4, v11, v12
	v_fmac_f32_e32 v37, v14, v16
	v_fmac_f32_e32 v0, v15, v18
	s_waitcnt lgkmcnt(0)
	v_lshrrev_b32_e32 v10, 16, v8
	v_and_b32_e32 v8, 0xffff, v8
	;;#ASMSTART
	v_cvt_f32_f16 v11, v8;
	;;#ASMEND
	v_and_b32_e32 v8, 0xffff, v62
	;;#ASMSTART
	v_cvt_f32_f16 v10, v10;
	;;#ASMEND
	;;#ASMSTART
	v_cvt_f32_f16 v12, v8;
	;;#ASMEND
	v_and_b32_e32 v8, 0xffff, v59
	;;#ASMSTART
	v_cvt_f32_f16 v13, v8;
	;;#ASMEND
	v_lshrrev_b32_e32 v8, 16, v9
	v_and_b32_e32 v9, 0xffff, v9
	;;#ASMSTART
	v_cvt_f32_f16 v14, v9;
	;;#ASMEND
	;;#ASMSTART
	v_cvt_f32_f16 v15, v8;
	;;#ASMEND
	v_and_b32_e32 v8, 0xffff, v55
	;;#ASMSTART
	v_cvt_f32_f16 v16, v8;
	;;#ASMEND
	v_and_b32_e32 v8, 0xffff, v51
	;; [unrolled: 38-line block ×4, first 2 shown]
	;;#ASMSTART
	v_cvt_f32_f16 v18, v8;
	;;#ASMEND
	ds_read_b64 v[8:9], v40 offset:104
	v_fmac_f32_e32 v36, v10, v13
	v_fmac_f32_e32 v4, v11, v12
	;; [unrolled: 1-line block ×4, first 2 shown]
	s_waitcnt lgkmcnt(0)
	v_lshrrev_b32_e32 v10, 16, v8
	v_and_b32_e32 v8, 0xffff, v8
	;;#ASMSTART
	v_cvt_f32_f16 v11, v8;
	;;#ASMEND
	v_and_b32_e32 v8, 0xffff, v27
	;;#ASMSTART
	v_cvt_f32_f16 v10, v10;
	;;#ASMEND
	;;#ASMSTART
	v_cvt_f32_f16 v12, v8;
	;;#ASMEND
	v_and_b32_e32 v8, 0xffff, v32
	;;#ASMSTART
	v_cvt_f32_f16 v13, v8;
	;;#ASMEND
	v_lshrrev_b32_e32 v8, 16, v9
	v_and_b32_e32 v9, 0xffff, v9
	;;#ASMSTART
	v_cvt_f32_f16 v14, v9;
	;;#ASMEND
	;;#ASMSTART
	v_cvt_f32_f16 v15, v8;
	;;#ASMEND
	v_and_b32_e32 v8, 0xffff, v17
	;;#ASMSTART
	v_cvt_f32_f16 v16, v8;
	;;#ASMEND
	;;#ASMSTART
	v_cvt_f32_f16 v3, v3;
	;;#ASMEND
	ds_read_b64 v[8:9], v40 offset:112
	v_fmac_f32_e32 v0, v15, v3
	v_fmac_f32_e32 v36, v10, v13
	;; [unrolled: 1-line block ×4, first 2 shown]
	s_waitcnt lgkmcnt(0)
	v_lshrrev_b32_e32 v3, 16, v8
	v_and_b32_e32 v8, 0xffff, v8
	;;#ASMSTART
	v_cvt_f32_f16 v8, v8;
	;;#ASMEND
	;;#ASMSTART
	v_cvt_f32_f16 v3, v3;
	;;#ASMEND
	;;#ASMSTART
	v_cvt_f32_f16 v7, v7;
	;;#ASMEND
	;;#ASMSTART
	v_cvt_f32_f16 v6, v6;
	;;#ASMEND
	s_nop 0
	v_fmac_f32_e32 v36, v3, v6
	v_lshrrev_b32_e32 v3, 16, v9
	v_and_b32_e32 v6, 0xffff, v9
	v_fmac_f32_e32 v4, v8, v7
	;;#ASMSTART
	v_cvt_f32_f16 v6, v6;
	;;#ASMEND
	;;#ASMSTART
	v_cvt_f32_f16 v3, v3;
	;;#ASMEND
	;; [unrolled: 3-line block ×4, first 2 shown]
	s_nop 0
	v_fmac_f32_e32 v37, v6, v2
	v_fmac_f32_e32 v0, v3, v1
	v_add_f32_e32 v1, v4, v36
	v_accvgpr_read_b32 v3, a44
	v_add_f32_e32 v1, v1, v37
	v_and_b32_e32 v2, 64, v3
	v_add_f32_e32 v0, v0, v1
	v_xor_b32_e32 v1, 1, v3
	v_add_u32_e32 v2, 64, v2
	v_cmp_lt_i32_e64 s[4:5], v1, v2
	s_nop 1
	v_cndmask_b32_e64 v1, v3, v1, s[4:5]
	v_lshlrev_b32_e32 v1, 2, v1
	ds_bpermute_b32 v1, v1, v0
	s_and_saveexec_b64 s[22:23], vcc
	s_cbranch_execz .LBB265_10
; %bb.272:                              ;   in Loop: Header=BB265_12 Depth=1
	v_accvgpr_read_b32 v4, a39
	v_accvgpr_read_b32 v2, a40
	;; [unrolled: 1-line block ×3, first 2 shown]
	v_add_u32_e32 v2, v2, v4
	v_add_u32_e32 v3, v3, v4
	scratch_load_dword v4, off, s32 offset:156 ; 4-byte Folded Reload
	v_cvt_f32_i32_e32 v2, v2
	s_waitcnt lgkmcnt(0)
	v_add_f32_e32 v0, v0, v1
	v_accvgpr_read_b32 v1, a25
	s_load_dword s4, s[10:11], 0x0
	s_waitcnt vmcnt(0)
	v_mul_f32_e32 v2, v4, v2
	v_cndmask_b32_e64 v2, 0, v2, s[2:3]
	v_fmac_f32_e32 v2, v0, v1
	scratch_load_dword v1, off, s32 offset:152 ; 4-byte Folded Reload
	v_accvgpr_read_b32 v4, a41
	v_accvgpr_read_b32 v0, a8
	s_waitcnt lgkmcnt(0)
	v_add_u32_e32 v4, s4, v4
	v_cmp_lt_i32_e64 s[4:5], v3, v0
	s_nop 1
	v_cndmask_b32_e64 v0, 0, v2, s[4:5]
	ds_write_b32 v4, v0
	s_waitcnt vmcnt(0)
	v_max_f32_e32 v0, v1, v1
	v_max_f32_e32 v0, v0, v2
	v_cndmask_b32_e64 v1, v1, v0, s[4:5]
	scratch_store_dword off, v1, s32 offset:152 ; 4-byte Folded Spill
	s_branch .LBB265_10
.LBB265_273:                            ;   in Loop: Header=BB265_12 Depth=1
	v_cmp_eq_u16_sdwa s[30:31], v34, s28 src0_sel:BYTE_0 src1_sel:DWORD
	s_mov_b64 s[4:5], -1
                                        ; implicit-def: $sgpr26
	s_and_saveexec_b64 s[24:25], s[30:31]
; %bb.274:                              ;   in Loop: Header=BB265_12 Depth=1
	s_mov_b32 s26, 0x7fc02000
	s_xor_b64 s[4:5], exec, -1
; %bb.275:                              ;   in Loop: Header=BB265_12 Depth=1
	s_or_b64 exec, exec, s[24:25]
	s_and_b64 s[4:5], s[4:5], exec
	s_or_saveexec_b64 s[22:23], s[22:23]
	v_mov_b32_e32 v37, s26
	s_xor_b64 exec, exec, s[22:23]
	s_cbranch_execz .LBB265_17
.LBB265_276:                            ;   in Loop: Header=BB265_12 Depth=1
	v_cmp_ne_u16_sdwa s[24:25], v34, v5 src0_sel:BYTE_0 src1_sel:DWORD
	s_andn2_b64 s[4:5], s[4:5], exec
	s_and_b64 s[24:25], s[24:25], exec
	v_mov_b32_e32 v37, 0
	s_or_b64 s[4:5], s[4:5], s[24:25]
	s_or_b64 exec, exec, s[22:23]
	s_and_saveexec_b64 s[22:23], s[4:5]
	s_cbranch_execnz .LBB265_18
	s_branch .LBB265_19
.LBB265_277:                            ;   in Loop: Header=BB265_12 Depth=1
	v_cmp_eq_u16_e64 s[4:5], s28, v4
	s_mov_b64 s[22:23], -1
                                        ; implicit-def: $sgpr30
	s_and_saveexec_b64 s[26:27], s[4:5]
; %bb.278:                              ;   in Loop: Header=BB265_12 Depth=1
	s_mov_b32 s30, 0x7fc02000
	s_xor_b64 s[22:23], exec, -1
; %bb.279:                              ;   in Loop: Header=BB265_12 Depth=1
	s_or_b64 exec, exec, s[26:27]
	s_and_b64 s[22:23], s[22:23], exec
	s_or_saveexec_b64 s[24:25], s[24:25]
	v_mov_b32_e32 v13, s30
	s_xor_b64 exec, exec, s[24:25]
	s_cbranch_execz .LBB265_21
.LBB265_280:                            ;   in Loop: Header=BB265_12 Depth=1
	v_cmp_ne_u16_e64 s[4:5], 0, v4
	s_andn2_b64 s[22:23], s[22:23], exec
	s_and_b64 s[4:5], s[4:5], exec
	v_mov_b32_e32 v13, 0
	s_or_b64 s[22:23], s[22:23], s[4:5]
	s_or_b64 exec, exec, s[24:25]
	s_and_saveexec_b64 s[24:25], s[22:23]
	s_cbranch_execnz .LBB265_22
	s_branch .LBB265_23
.LBB265_281:                            ;   in Loop: Header=BB265_12 Depth=1
	v_cmp_eq_u16_sdwa s[30:31], v4, s28 src0_sel:BYTE_0 src1_sel:DWORD
	s_mov_b64 s[4:5], -1
                                        ; implicit-def: $sgpr26
	s_and_saveexec_b64 s[24:25], s[30:31]
; %bb.282:                              ;   in Loop: Header=BB265_12 Depth=1
	s_mov_b32 s26, 0x7fc02000
	s_xor_b64 s[4:5], exec, -1
; %bb.283:                              ;   in Loop: Header=BB265_12 Depth=1
	s_or_b64 exec, exec, s[24:25]
	s_and_b64 s[4:5], s[4:5], exec
	s_or_saveexec_b64 s[22:23], s[22:23]
	v_mov_b32_e32 v14, s26
	s_xor_b64 exec, exec, s[22:23]
	s_cbranch_execz .LBB265_25
.LBB265_284:                            ;   in Loop: Header=BB265_12 Depth=1
	v_cmp_ne_u16_sdwa s[24:25], v4, v5 src0_sel:BYTE_0 src1_sel:DWORD
	s_andn2_b64 s[4:5], s[4:5], exec
	s_and_b64 s[24:25], s[24:25], exec
	v_mov_b32_e32 v14, 0
	s_or_b64 s[4:5], s[4:5], s[24:25]
	s_or_b64 exec, exec, s[22:23]
	s_and_saveexec_b64 s[22:23], s[4:5]
	s_cbranch_execnz .LBB265_26
	s_branch .LBB265_27
.LBB265_285:                            ;   in Loop: Header=BB265_12 Depth=1
	v_cmp_eq_u16_e64 s[4:5], s28, v4
	s_mov_b64 s[22:23], -1
                                        ; implicit-def: $sgpr30
	s_and_saveexec_b64 s[26:27], s[4:5]
; %bb.286:                              ;   in Loop: Header=BB265_12 Depth=1
	s_mov_b32 s30, 0x7fc02000
	s_xor_b64 s[22:23], exec, -1
; %bb.287:                              ;   in Loop: Header=BB265_12 Depth=1
	s_or_b64 exec, exec, s[26:27]
	s_and_b64 s[22:23], s[22:23], exec
	s_or_saveexec_b64 s[24:25], s[24:25]
	v_mov_b32_e32 v15, s30
	s_xor_b64 exec, exec, s[24:25]
	s_cbranch_execz .LBB265_29
.LBB265_288:                            ;   in Loop: Header=BB265_12 Depth=1
	v_cmp_ne_u16_e64 s[4:5], 0, v4
	s_andn2_b64 s[22:23], s[22:23], exec
	s_and_b64 s[4:5], s[4:5], exec
	v_mov_b32_e32 v15, 0
	s_or_b64 s[22:23], s[22:23], s[4:5]
	s_or_b64 exec, exec, s[24:25]
	s_and_saveexec_b64 s[24:25], s[22:23]
	s_cbranch_execnz .LBB265_30
	s_branch .LBB265_31
.LBB265_289:                            ;   in Loop: Header=BB265_12 Depth=1
	v_cmp_eq_u16_sdwa s[30:31], v34, s28 src0_sel:BYTE_0 src1_sel:DWORD
	s_mov_b64 s[4:5], -1
                                        ; implicit-def: $sgpr26
	s_and_saveexec_b64 s[24:25], s[30:31]
; %bb.290:                              ;   in Loop: Header=BB265_12 Depth=1
	s_mov_b32 s26, 0x7fc02000
	s_xor_b64 s[4:5], exec, -1
; %bb.291:                              ;   in Loop: Header=BB265_12 Depth=1
	s_or_b64 exec, exec, s[24:25]
	s_and_b64 s[4:5], s[4:5], exec
	s_or_saveexec_b64 s[22:23], s[22:23]
	v_mov_b32_e32 v0, s26
	s_xor_b64 exec, exec, s[22:23]
	s_cbranch_execz .LBB265_33
.LBB265_292:                            ;   in Loop: Header=BB265_12 Depth=1
	v_cmp_ne_u16_sdwa s[24:25], v34, v5 src0_sel:BYTE_0 src1_sel:DWORD
	s_andn2_b64 s[4:5], s[4:5], exec
	s_and_b64 s[24:25], s[24:25], exec
	v_mov_b32_e32 v0, 0
	s_or_b64 s[4:5], s[4:5], s[24:25]
	s_or_b64 exec, exec, s[22:23]
	s_and_saveexec_b64 s[22:23], s[4:5]
	s_cbranch_execnz .LBB265_34
	s_branch .LBB265_35
.LBB265_293:                            ;   in Loop: Header=BB265_12 Depth=1
	v_cmp_eq_u16_e64 s[4:5], s28, v4
	s_mov_b64 s[22:23], -1
                                        ; implicit-def: $sgpr30
	s_and_saveexec_b64 s[26:27], s[4:5]
; %bb.294:                              ;   in Loop: Header=BB265_12 Depth=1
	s_mov_b32 s30, 0x7fc02000
	s_xor_b64 s[22:23], exec, -1
; %bb.295:                              ;   in Loop: Header=BB265_12 Depth=1
	s_or_b64 exec, exec, s[26:27]
	s_and_b64 s[22:23], s[22:23], exec
	s_or_saveexec_b64 s[24:25], s[24:25]
	v_mov_b32_e32 v48, s30
	s_xor_b64 exec, exec, s[24:25]
	s_cbranch_execz .LBB265_53
.LBB265_296:                            ;   in Loop: Header=BB265_12 Depth=1
	v_cmp_ne_u16_e64 s[4:5], 0, v4
	s_andn2_b64 s[22:23], s[22:23], exec
	s_and_b64 s[4:5], s[4:5], exec
	v_mov_b32_e32 v48, 0
	s_or_b64 s[22:23], s[22:23], s[4:5]
	s_or_b64 exec, exec, s[24:25]
	s_and_saveexec_b64 s[24:25], s[22:23]
	s_cbranch_execnz .LBB265_54
	s_branch .LBB265_55
.LBB265_297:                            ;   in Loop: Header=BB265_12 Depth=1
	v_cmp_eq_u16_sdwa s[30:31], v34, s28 src0_sel:BYTE_0 src1_sel:DWORD
	s_mov_b64 s[4:5], -1
                                        ; implicit-def: $sgpr26
	s_and_saveexec_b64 s[24:25], s[30:31]
; %bb.298:                              ;   in Loop: Header=BB265_12 Depth=1
	s_mov_b32 s26, 0x7fc02000
	s_xor_b64 s[4:5], exec, -1
; %bb.299:                              ;   in Loop: Header=BB265_12 Depth=1
	s_or_b64 exec, exec, s[24:25]
	s_and_b64 s[4:5], s[4:5], exec
	s_or_saveexec_b64 s[22:23], s[22:23]
	v_mov_b32_e32 v49, s26
	s_xor_b64 exec, exec, s[22:23]
	s_cbranch_execz .LBB265_57
.LBB265_300:                            ;   in Loop: Header=BB265_12 Depth=1
	v_cmp_ne_u16_sdwa s[24:25], v34, v5 src0_sel:BYTE_0 src1_sel:DWORD
	s_andn2_b64 s[4:5], s[4:5], exec
	s_and_b64 s[24:25], s[24:25], exec
	v_mov_b32_e32 v49, 0
	s_or_b64 s[4:5], s[4:5], s[24:25]
	s_or_b64 exec, exec, s[22:23]
	s_and_saveexec_b64 s[22:23], s[4:5]
	s_cbranch_execnz .LBB265_58
	s_branch .LBB265_59
.LBB265_301:                            ;   in Loop: Header=BB265_12 Depth=1
	v_cmp_eq_u16_sdwa s[30:31], v4, s28 src0_sel:BYTE_0 src1_sel:DWORD
	s_mov_b64 s[4:5], -1
                                        ; implicit-def: $sgpr26
	s_and_saveexec_b64 s[24:25], s[30:31]
; %bb.302:                              ;   in Loop: Header=BB265_12 Depth=1
	s_mov_b32 s26, 0x7fc02000
	s_xor_b64 s[4:5], exec, -1
; %bb.303:                              ;   in Loop: Header=BB265_12 Depth=1
	s_or_b64 exec, exec, s[24:25]
	s_and_b64 s[4:5], s[4:5], exec
	s_or_saveexec_b64 s[22:23], s[22:23]
	v_mov_b32_e32 v46, s26
	s_xor_b64 exec, exec, s[22:23]
	s_cbranch_execz .LBB265_69
.LBB265_304:                            ;   in Loop: Header=BB265_12 Depth=1
	v_cmp_ne_u16_sdwa s[24:25], v4, v5 src0_sel:BYTE_0 src1_sel:DWORD
	s_andn2_b64 s[4:5], s[4:5], exec
	s_and_b64 s[24:25], s[24:25], exec
	v_mov_b32_e32 v46, 0
	s_or_b64 s[4:5], s[4:5], s[24:25]
	s_or_b64 exec, exec, s[22:23]
	s_and_saveexec_b64 s[22:23], s[4:5]
	s_cbranch_execnz .LBB265_70
	s_branch .LBB265_71
.LBB265_305:                            ;   in Loop: Header=BB265_12 Depth=1
	v_cmp_eq_u16_e64 s[4:5], s28, v4
	s_mov_b64 s[22:23], -1
                                        ; implicit-def: $sgpr30
	s_and_saveexec_b64 s[26:27], s[4:5]
; %bb.306:                              ;   in Loop: Header=BB265_12 Depth=1
	s_mov_b32 s30, 0x7fc02000
	s_xor_b64 s[22:23], exec, -1
; %bb.307:                              ;   in Loop: Header=BB265_12 Depth=1
	s_or_b64 exec, exec, s[26:27]
	s_and_b64 s[22:23], s[22:23], exec
	s_or_saveexec_b64 s[24:25], s[24:25]
	v_mov_b32_e32 v53, s30
	s_xor_b64 exec, exec, s[24:25]
	s_cbranch_execz .LBB265_73
.LBB265_308:                            ;   in Loop: Header=BB265_12 Depth=1
	v_cmp_ne_u16_e64 s[4:5], 0, v4
	s_andn2_b64 s[22:23], s[22:23], exec
	s_and_b64 s[4:5], s[4:5], exec
	v_mov_b32_e32 v53, 0
	s_or_b64 s[22:23], s[22:23], s[4:5]
	s_or_b64 exec, exec, s[24:25]
	s_and_saveexec_b64 s[24:25], s[22:23]
	s_cbranch_execnz .LBB265_74
	s_branch .LBB265_75
.LBB265_309:                            ;   in Loop: Header=BB265_12 Depth=1
	v_cmp_eq_u16_sdwa s[30:31], v34, s28 src0_sel:BYTE_0 src1_sel:DWORD
	s_mov_b64 s[4:5], -1
                                        ; implicit-def: $sgpr26
	s_and_saveexec_b64 s[24:25], s[30:31]
; %bb.310:                              ;   in Loop: Header=BB265_12 Depth=1
	s_mov_b32 s26, 0x7fc02000
	s_xor_b64 s[4:5], exec, -1
; %bb.311:                              ;   in Loop: Header=BB265_12 Depth=1
	s_or_b64 exec, exec, s[24:25]
	s_and_b64 s[4:5], s[4:5], exec
	s_or_saveexec_b64 s[22:23], s[22:23]
	v_mov_b32_e32 v42, s26
	s_xor_b64 exec, exec, s[22:23]
	s_cbranch_execz .LBB265_77
.LBB265_312:                            ;   in Loop: Header=BB265_12 Depth=1
	v_cmp_ne_u16_sdwa s[24:25], v34, v5 src0_sel:BYTE_0 src1_sel:DWORD
	s_andn2_b64 s[4:5], s[4:5], exec
	s_and_b64 s[24:25], s[24:25], exec
	v_mov_b32_e32 v42, 0
	s_or_b64 s[4:5], s[4:5], s[24:25]
	s_or_b64 exec, exec, s[22:23]
	s_and_saveexec_b64 s[22:23], s[4:5]
	s_cbranch_execnz .LBB265_78
	s_branch .LBB265_79
.LBB265_313:                            ;   in Loop: Header=BB265_12 Depth=1
	v_cmp_eq_u16_e64 s[4:5], s28, v4
	s_mov_b64 s[22:23], -1
                                        ; implicit-def: $sgpr30
	s_and_saveexec_b64 s[26:27], s[4:5]
; %bb.314:                              ;   in Loop: Header=BB265_12 Depth=1
	s_mov_b32 s30, 0x7fc02000
	s_xor_b64 s[22:23], exec, -1
; %bb.315:                              ;   in Loop: Header=BB265_12 Depth=1
	s_or_b64 exec, exec, s[26:27]
	s_and_b64 s[22:23], s[22:23], exec
	s_or_saveexec_b64 s[24:25], s[24:25]
	v_mov_b32_e32 v40, s30
	s_xor_b64 exec, exec, s[24:25]
	s_cbranch_execz .LBB265_81
.LBB265_316:                            ;   in Loop: Header=BB265_12 Depth=1
	v_cmp_ne_u16_e64 s[4:5], 0, v4
	s_andn2_b64 s[22:23], s[22:23], exec
	s_and_b64 s[4:5], s[4:5], exec
	v_mov_b32_e32 v40, 0
	s_or_b64 s[22:23], s[22:23], s[4:5]
	s_or_b64 exec, exec, s[24:25]
	s_and_saveexec_b64 s[24:25], s[22:23]
	s_cbranch_execnz .LBB265_82
	s_branch .LBB265_83
.LBB265_317:                            ;   in Loop: Header=BB265_12 Depth=1
	v_cmp_eq_u16_sdwa s[30:31], v4, s28 src0_sel:BYTE_0 src1_sel:DWORD
	s_mov_b64 s[4:5], -1
                                        ; implicit-def: $sgpr26
	s_and_saveexec_b64 s[24:25], s[30:31]
; %bb.318:                              ;   in Loop: Header=BB265_12 Depth=1
	s_mov_b32 s26, 0x7fc02000
	s_xor_b64 s[4:5], exec, -1
; %bb.319:                              ;   in Loop: Header=BB265_12 Depth=1
	s_or_b64 exec, exec, s[24:25]
	s_and_b64 s[4:5], s[4:5], exec
	s_or_saveexec_b64 s[22:23], s[22:23]
	v_mov_b32_e32 v41, s26
	s_xor_b64 exec, exec, s[22:23]
	s_cbranch_execz .LBB265_85
.LBB265_320:                            ;   in Loop: Header=BB265_12 Depth=1
	v_cmp_ne_u16_sdwa s[24:25], v4, v5 src0_sel:BYTE_0 src1_sel:DWORD
	s_andn2_b64 s[4:5], s[4:5], exec
	s_and_b64 s[24:25], s[24:25], exec
	v_mov_b32_e32 v41, 0
	s_or_b64 s[4:5], s[4:5], s[24:25]
	s_or_b64 exec, exec, s[22:23]
	s_and_saveexec_b64 s[22:23], s[4:5]
	s_cbranch_execnz .LBB265_86
	s_branch .LBB265_87
.LBB265_321:                            ;   in Loop: Header=BB265_12 Depth=1
	v_cmp_eq_u16_e64 s[4:5], s28, v4
	s_mov_b64 s[22:23], -1
                                        ; implicit-def: $sgpr30
	s_and_saveexec_b64 s[26:27], s[4:5]
; %bb.322:                              ;   in Loop: Header=BB265_12 Depth=1
	s_mov_b32 s30, 0x7fc02000
	s_xor_b64 s[22:23], exec, -1
; %bb.323:                              ;   in Loop: Header=BB265_12 Depth=1
	s_or_b64 exec, exec, s[26:27]
	s_and_b64 s[22:23], s[22:23], exec
	s_or_saveexec_b64 s[24:25], s[24:25]
	v_mov_b32_e32 v44, s30
	s_xor_b64 exec, exec, s[24:25]
	s_cbranch_execz .LBB265_89
.LBB265_324:                            ;   in Loop: Header=BB265_12 Depth=1
	v_cmp_ne_u16_e64 s[4:5], 0, v4
	s_andn2_b64 s[22:23], s[22:23], exec
	s_and_b64 s[4:5], s[4:5], exec
	v_mov_b32_e32 v44, 0
	s_or_b64 s[22:23], s[22:23], s[4:5]
	s_or_b64 exec, exec, s[24:25]
	s_and_saveexec_b64 s[24:25], s[22:23]
	s_cbranch_execnz .LBB265_90
	s_branch .LBB265_91
.LBB265_325:                            ;   in Loop: Header=BB265_12 Depth=1
	v_cmp_eq_u16_sdwa s[30:31], v34, s28 src0_sel:BYTE_0 src1_sel:DWORD
	s_mov_b64 s[4:5], -1
                                        ; implicit-def: $sgpr26
	s_and_saveexec_b64 s[24:25], s[30:31]
; %bb.326:                              ;   in Loop: Header=BB265_12 Depth=1
	s_mov_b32 s26, 0x7fc02000
	s_xor_b64 s[4:5], exec, -1
; %bb.327:                              ;   in Loop: Header=BB265_12 Depth=1
	s_or_b64 exec, exec, s[24:25]
	s_and_b64 s[4:5], s[4:5], exec
	s_or_saveexec_b64 s[22:23], s[22:23]
	v_mov_b32_e32 v0, s26
	s_xor_b64 exec, exec, s[22:23]
	s_cbranch_execz .LBB265_93
.LBB265_328:                            ;   in Loop: Header=BB265_12 Depth=1
	v_cmp_ne_u16_sdwa s[24:25], v34, v5 src0_sel:BYTE_0 src1_sel:DWORD
	s_andn2_b64 s[4:5], s[4:5], exec
	s_and_b64 s[24:25], s[24:25], exec
	v_mov_b32_e32 v0, 0
	s_or_b64 s[4:5], s[4:5], s[24:25]
	s_or_b64 exec, exec, s[22:23]
	s_and_saveexec_b64 s[22:23], s[4:5]
	s_cbranch_execnz .LBB265_94
	s_branch .LBB265_95
.LBB265_329:                            ;   in Loop: Header=BB265_12 Depth=1
	v_cmp_eq_u16_e64 s[4:5], s28, v4
	s_mov_b64 s[22:23], -1
                                        ; implicit-def: $sgpr30
	s_and_saveexec_b64 s[26:27], s[4:5]
; %bb.330:                              ;   in Loop: Header=BB265_12 Depth=1
	s_mov_b32 s30, 0x7fc02000
	s_xor_b64 s[22:23], exec, -1
; %bb.331:                              ;   in Loop: Header=BB265_12 Depth=1
	s_or_b64 exec, exec, s[26:27]
	s_and_b64 s[22:23], s[22:23], exec
	s_or_saveexec_b64 s[24:25], s[24:25]
	v_mov_b32_e32 v12, s30
	s_xor_b64 exec, exec, s[24:25]
	s_cbranch_execz .LBB265_97
.LBB265_332:                            ;   in Loop: Header=BB265_12 Depth=1
	v_cmp_ne_u16_e64 s[4:5], 0, v4
	s_andn2_b64 s[22:23], s[22:23], exec
	s_and_b64 s[4:5], s[4:5], exec
	v_mov_b32_e32 v12, 0
	s_or_b64 s[22:23], s[22:23], s[4:5]
	s_or_b64 exec, exec, s[24:25]
	s_and_saveexec_b64 s[24:25], s[22:23]
	s_cbranch_execnz .LBB265_98
	s_branch .LBB265_99
.LBB265_333:                            ;   in Loop: Header=BB265_12 Depth=1
	v_cmp_eq_u16_sdwa s[30:31], v4, s28 src0_sel:BYTE_0 src1_sel:DWORD
	s_mov_b64 s[4:5], -1
                                        ; implicit-def: $sgpr26
	s_and_saveexec_b64 s[24:25], s[30:31]
; %bb.334:                              ;   in Loop: Header=BB265_12 Depth=1
	s_mov_b32 s26, 0x7fc02000
	s_xor_b64 s[4:5], exec, -1
; %bb.335:                              ;   in Loop: Header=BB265_12 Depth=1
	s_or_b64 exec, exec, s[24:25]
	s_and_b64 s[4:5], s[4:5], exec
	s_or_saveexec_b64 s[22:23], s[22:23]
	v_mov_b32_e32 v19, s26
	s_xor_b64 exec, exec, s[22:23]
	s_cbranch_execz .LBB265_101
.LBB265_336:                            ;   in Loop: Header=BB265_12 Depth=1
	v_cmp_ne_u16_sdwa s[24:25], v4, v5 src0_sel:BYTE_0 src1_sel:DWORD
	s_andn2_b64 s[4:5], s[4:5], exec
	s_and_b64 s[24:25], s[24:25], exec
	v_mov_b32_e32 v19, 0
	s_or_b64 s[4:5], s[4:5], s[24:25]
	s_or_b64 exec, exec, s[22:23]
	s_and_saveexec_b64 s[22:23], s[4:5]
	s_cbranch_execnz .LBB265_102
	s_branch .LBB265_103
.LBB265_337:                            ;   in Loop: Header=BB265_12 Depth=1
	v_cmp_eq_u16_e64 s[4:5], s28, v4
	s_mov_b64 s[22:23], -1
                                        ; implicit-def: $sgpr30
	s_and_saveexec_b64 s[26:27], s[4:5]
; %bb.338:                              ;   in Loop: Header=BB265_12 Depth=1
	s_mov_b32 s30, 0x7fc02000
	s_xor_b64 s[22:23], exec, -1
; %bb.339:                              ;   in Loop: Header=BB265_12 Depth=1
	s_or_b64 exec, exec, s[26:27]
	s_and_b64 s[22:23], s[22:23], exec
	s_or_saveexec_b64 s[24:25], s[24:25]
	v_mov_b32_e32 v30, s30
	s_xor_b64 exec, exec, s[24:25]
	s_cbranch_execz .LBB265_105
.LBB265_340:                            ;   in Loop: Header=BB265_12 Depth=1
	v_cmp_ne_u16_e64 s[4:5], 0, v4
	s_andn2_b64 s[22:23], s[22:23], exec
	s_and_b64 s[4:5], s[4:5], exec
	v_mov_b32_e32 v30, 0
	s_or_b64 s[22:23], s[22:23], s[4:5]
	s_or_b64 exec, exec, s[24:25]
	s_and_saveexec_b64 s[24:25], s[22:23]
	s_cbranch_execnz .LBB265_106
	s_branch .LBB265_107
.LBB265_341:                            ;   in Loop: Header=BB265_12 Depth=1
	v_cmp_eq_u16_sdwa s[30:31], v34, s28 src0_sel:BYTE_0 src1_sel:DWORD
	s_mov_b64 s[4:5], -1
                                        ; implicit-def: $sgpr26
	s_and_saveexec_b64 s[24:25], s[30:31]
; %bb.342:                              ;   in Loop: Header=BB265_12 Depth=1
	s_mov_b32 s26, 0x7fc02000
	s_xor_b64 s[4:5], exec, -1
; %bb.343:                              ;   in Loop: Header=BB265_12 Depth=1
	s_or_b64 exec, exec, s[24:25]
	s_and_b64 s[4:5], s[4:5], exec
	s_or_saveexec_b64 s[22:23], s[22:23]
	v_mov_b32_e32 v0, s26
	s_xor_b64 exec, exec, s[22:23]
	s_cbranch_execz .LBB265_109
.LBB265_344:                            ;   in Loop: Header=BB265_12 Depth=1
	v_cmp_ne_u16_sdwa s[24:25], v34, v5 src0_sel:BYTE_0 src1_sel:DWORD
	s_andn2_b64 s[4:5], s[4:5], exec
	s_and_b64 s[24:25], s[24:25], exec
	v_mov_b32_e32 v0, 0
	s_or_b64 s[4:5], s[4:5], s[24:25]
	s_or_b64 exec, exec, s[22:23]
	s_and_saveexec_b64 s[22:23], s[4:5]
	s_cbranch_execnz .LBB265_110
	s_branch .LBB265_111
.LBB265_345:                            ;   in Loop: Header=BB265_12 Depth=1
	v_cmp_eq_u16_e64 s[4:5], s28, v4
	s_mov_b64 s[22:23], -1
                                        ; implicit-def: $sgpr30
	s_and_saveexec_b64 s[26:27], s[4:5]
; %bb.346:                              ;   in Loop: Header=BB265_12 Depth=1
	s_mov_b32 s30, 0x7fc02000
	s_xor_b64 s[22:23], exec, -1
; %bb.347:                              ;   in Loop: Header=BB265_12 Depth=1
	s_or_b64 exec, exec, s[26:27]
	s_and_b64 s[22:23], s[22:23], exec
	s_or_saveexec_b64 s[24:25], s[24:25]
	v_mov_b32_e32 v31, s30
	s_xor_b64 exec, exec, s[24:25]
	s_cbranch_execz .LBB265_113
.LBB265_348:                            ;   in Loop: Header=BB265_12 Depth=1
	v_cmp_ne_u16_e64 s[4:5], 0, v4
	s_andn2_b64 s[22:23], s[22:23], exec
	s_and_b64 s[4:5], s[4:5], exec
	v_mov_b32_e32 v31, 0
	s_or_b64 s[22:23], s[22:23], s[4:5]
	s_or_b64 exec, exec, s[24:25]
	s_and_saveexec_b64 s[24:25], s[22:23]
	s_cbranch_execnz .LBB265_114
	s_branch .LBB265_115
.LBB265_349:                            ;   in Loop: Header=BB265_12 Depth=1
	v_cmp_eq_u16_sdwa s[30:31], v4, s28 src0_sel:BYTE_0 src1_sel:DWORD
	s_mov_b64 s[4:5], -1
                                        ; implicit-def: $sgpr26
	s_and_saveexec_b64 s[24:25], s[30:31]
; %bb.350:                              ;   in Loop: Header=BB265_12 Depth=1
	s_mov_b32 s26, 0x7fc02000
	s_xor_b64 s[4:5], exec, -1
; %bb.351:                              ;   in Loop: Header=BB265_12 Depth=1
	s_or_b64 exec, exec, s[24:25]
	s_and_b64 s[4:5], s[4:5], exec
	s_or_saveexec_b64 s[22:23], s[22:23]
	v_mov_b32_e32 v7, s26
	s_xor_b64 exec, exec, s[22:23]
	s_cbranch_execz .LBB265_117
.LBB265_352:                            ;   in Loop: Header=BB265_12 Depth=1
	v_cmp_ne_u16_sdwa s[24:25], v4, v5 src0_sel:BYTE_0 src1_sel:DWORD
	s_andn2_b64 s[4:5], s[4:5], exec
	s_and_b64 s[24:25], s[24:25], exec
	v_mov_b32_e32 v7, 0
	s_or_b64 s[4:5], s[4:5], s[24:25]
	s_or_b64 exec, exec, s[22:23]
	s_and_saveexec_b64 s[22:23], s[4:5]
	s_cbranch_execnz .LBB265_118
	s_branch .LBB265_119
.LBB265_353:                            ;   in Loop: Header=BB265_12 Depth=1
	v_cmp_eq_u16_e64 s[4:5], s28, v4
	s_mov_b64 s[22:23], -1
                                        ; implicit-def: $sgpr30
	s_and_saveexec_b64 s[26:27], s[4:5]
; %bb.354:                              ;   in Loop: Header=BB265_12 Depth=1
	s_mov_b32 s30, 0x7fc02000
	s_xor_b64 s[22:23], exec, -1
; %bb.355:                              ;   in Loop: Header=BB265_12 Depth=1
	s_or_b64 exec, exec, s[26:27]
	s_and_b64 s[22:23], s[22:23], exec
	s_or_saveexec_b64 s[24:25], s[24:25]
	v_mov_b32_e32 v10, s30
	s_xor_b64 exec, exec, s[24:25]
	s_cbranch_execz .LBB265_121
.LBB265_356:                            ;   in Loop: Header=BB265_12 Depth=1
	v_cmp_ne_u16_e64 s[4:5], 0, v4
	s_andn2_b64 s[22:23], s[22:23], exec
	s_and_b64 s[4:5], s[4:5], exec
	v_mov_b32_e32 v10, 0
	s_or_b64 s[22:23], s[22:23], s[4:5]
	s_or_b64 exec, exec, s[24:25]
	s_and_saveexec_b64 s[24:25], s[22:23]
	s_cbranch_execnz .LBB265_122
	s_branch .LBB265_123
.LBB265_357:                            ;   in Loop: Header=BB265_12 Depth=1
	v_cmp_eq_u16_sdwa s[30:31], v34, s28 src0_sel:BYTE_0 src1_sel:DWORD
	s_mov_b64 s[4:5], -1
                                        ; implicit-def: $sgpr26
	s_and_saveexec_b64 s[24:25], s[30:31]
; %bb.358:                              ;   in Loop: Header=BB265_12 Depth=1
	s_mov_b32 s26, 0x7fc02000
	s_xor_b64 s[4:5], exec, -1
; %bb.359:                              ;   in Loop: Header=BB265_12 Depth=1
	s_or_b64 exec, exec, s[24:25]
	s_and_b64 s[4:5], s[4:5], exec
	s_or_saveexec_b64 s[22:23], s[22:23]
	v_mov_b32_e32 v11, s26
	s_xor_b64 exec, exec, s[22:23]
	s_cbranch_execz .LBB265_125
.LBB265_360:                            ;   in Loop: Header=BB265_12 Depth=1
	v_cmp_ne_u16_sdwa s[24:25], v34, v5 src0_sel:BYTE_0 src1_sel:DWORD
	s_andn2_b64 s[4:5], s[4:5], exec
	s_and_b64 s[24:25], s[24:25], exec
	v_mov_b32_e32 v11, 0
	s_or_b64 s[4:5], s[4:5], s[24:25]
	s_or_b64 exec, exec, s[22:23]
	s_and_saveexec_b64 s[22:23], s[4:5]
	s_cbranch_execnz .LBB265_126
	s_branch .LBB265_127
.LBB265_361:                            ;   in Loop: Header=BB265_12 Depth=1
	v_cmp_eq_u16_e64 s[4:5], s28, v4
	s_mov_b64 s[22:23], -1
                                        ; implicit-def: $sgpr30
	s_and_saveexec_b64 s[26:27], s[4:5]
; %bb.362:                              ;   in Loop: Header=BB265_12 Depth=1
	s_mov_b32 s30, 0x7fc02000
	s_xor_b64 s[22:23], exec, -1
; %bb.363:                              ;   in Loop: Header=BB265_12 Depth=1
	s_or_b64 exec, exec, s[26:27]
	s_and_b64 s[22:23], s[22:23], exec
	s_or_saveexec_b64 s[24:25], s[24:25]
	v_mov_b32_e32 v43, s30
	s_xor_b64 exec, exec, s[24:25]
	s_cbranch_execz .LBB265_129
.LBB265_364:                            ;   in Loop: Header=BB265_12 Depth=1
	v_cmp_ne_u16_e64 s[4:5], 0, v4
	s_andn2_b64 s[22:23], s[22:23], exec
	s_and_b64 s[4:5], s[4:5], exec
	v_mov_b32_e32 v43, 0
	s_or_b64 s[22:23], s[22:23], s[4:5]
	s_or_b64 exec, exec, s[24:25]
	s_and_saveexec_b64 s[24:25], s[22:23]
	s_cbranch_execnz .LBB265_130
	s_branch .LBB265_131
.LBB265_365:                            ;   in Loop: Header=BB265_12 Depth=1
	v_cmp_eq_u16_sdwa s[30:31], v4, s28 src0_sel:BYTE_0 src1_sel:DWORD
	s_mov_b64 s[4:5], -1
                                        ; implicit-def: $sgpr26
	s_and_saveexec_b64 s[24:25], s[30:31]
; %bb.366:                              ;   in Loop: Header=BB265_12 Depth=1
	s_mov_b32 s26, 0x7fc02000
	s_xor_b64 s[4:5], exec, -1
; %bb.367:                              ;   in Loop: Header=BB265_12 Depth=1
	s_or_b64 exec, exec, s[24:25]
	s_and_b64 s[4:5], s[4:5], exec
	s_or_saveexec_b64 s[22:23], s[22:23]
	v_mov_b32_e32 v38, s26
	s_xor_b64 exec, exec, s[22:23]
	s_cbranch_execz .LBB265_133
.LBB265_368:                            ;   in Loop: Header=BB265_12 Depth=1
	v_cmp_ne_u16_sdwa s[24:25], v4, v5 src0_sel:BYTE_0 src1_sel:DWORD
	s_andn2_b64 s[4:5], s[4:5], exec
	s_and_b64 s[24:25], s[24:25], exec
	v_mov_b32_e32 v38, 0
	s_or_b64 s[4:5], s[4:5], s[24:25]
	s_or_b64 exec, exec, s[22:23]
	s_and_saveexec_b64 s[22:23], s[4:5]
	s_cbranch_execnz .LBB265_134
	s_branch .LBB265_135
.LBB265_369:                            ;   in Loop: Header=BB265_12 Depth=1
	v_cmp_eq_u16_e64 s[4:5], s28, v4
	s_mov_b64 s[22:23], -1
                                        ; implicit-def: $sgpr30
	s_and_saveexec_b64 s[26:27], s[4:5]
; %bb.370:                              ;   in Loop: Header=BB265_12 Depth=1
	s_mov_b32 s30, 0x7fc02000
	s_xor_b64 s[22:23], exec, -1
; %bb.371:                              ;   in Loop: Header=BB265_12 Depth=1
	s_or_b64 exec, exec, s[26:27]
	s_and_b64 s[22:23], s[22:23], exec
	s_or_saveexec_b64 s[24:25], s[24:25]
	v_mov_b32_e32 v9, s30
	s_xor_b64 exec, exec, s[24:25]
	s_cbranch_execz .LBB265_137
.LBB265_372:                            ;   in Loop: Header=BB265_12 Depth=1
	v_cmp_ne_u16_e64 s[4:5], 0, v4
	s_andn2_b64 s[22:23], s[22:23], exec
	s_and_b64 s[4:5], s[4:5], exec
	v_mov_b32_e32 v9, 0
	s_or_b64 s[22:23], s[22:23], s[4:5]
	s_or_b64 exec, exec, s[24:25]
	s_and_saveexec_b64 s[24:25], s[22:23]
	s_cbranch_execnz .LBB265_138
	s_branch .LBB265_139
.LBB265_373:                            ;   in Loop: Header=BB265_12 Depth=1
	v_cmp_eq_u16_sdwa s[30:31], v34, s28 src0_sel:BYTE_0 src1_sel:DWORD
	s_mov_b64 s[4:5], -1
                                        ; implicit-def: $sgpr26
	s_and_saveexec_b64 s[24:25], s[30:31]
; %bb.374:                              ;   in Loop: Header=BB265_12 Depth=1
	s_mov_b32 s26, 0x7fc02000
	s_xor_b64 s[4:5], exec, -1
; %bb.375:                              ;   in Loop: Header=BB265_12 Depth=1
	s_or_b64 exec, exec, s[24:25]
	s_and_b64 s[4:5], s[4:5], exec
	s_or_saveexec_b64 s[22:23], s[22:23]
	v_mov_b32_e32 v54, s26
	s_xor_b64 exec, exec, s[22:23]
	s_cbranch_execz .LBB265_141
.LBB265_376:                            ;   in Loop: Header=BB265_12 Depth=1
	v_cmp_ne_u16_sdwa s[24:25], v34, v5 src0_sel:BYTE_0 src1_sel:DWORD
	s_andn2_b64 s[4:5], s[4:5], exec
	s_and_b64 s[24:25], s[24:25], exec
	v_mov_b32_e32 v54, 0
	s_or_b64 s[4:5], s[4:5], s[24:25]
	s_or_b64 exec, exec, s[22:23]
	s_and_saveexec_b64 s[22:23], s[4:5]
	s_cbranch_execnz .LBB265_142
	s_branch .LBB265_143
.LBB265_377:                            ;   in Loop: Header=BB265_12 Depth=1
	v_cmp_eq_u16_e64 s[4:5], s28, v4
	s_mov_b64 s[22:23], -1
                                        ; implicit-def: $sgpr30
	s_and_saveexec_b64 s[26:27], s[4:5]
; %bb.378:                              ;   in Loop: Header=BB265_12 Depth=1
	s_mov_b32 s30, 0x7fc02000
	s_xor_b64 s[22:23], exec, -1
; %bb.379:                              ;   in Loop: Header=BB265_12 Depth=1
	s_or_b64 exec, exec, s[26:27]
	s_and_b64 s[22:23], s[22:23], exec
	s_or_saveexec_b64 s[24:25], s[24:25]
	v_mov_b32_e32 v50, s30
	s_xor_b64 exec, exec, s[24:25]
	s_cbranch_execz .LBB265_145
.LBB265_380:                            ;   in Loop: Header=BB265_12 Depth=1
	v_cmp_ne_u16_e64 s[4:5], 0, v4
	s_andn2_b64 s[22:23], s[22:23], exec
	s_and_b64 s[4:5], s[4:5], exec
	v_mov_b32_e32 v50, 0
	s_or_b64 s[22:23], s[22:23], s[4:5]
	s_or_b64 exec, exec, s[24:25]
	s_and_saveexec_b64 s[24:25], s[22:23]
	s_cbranch_execnz .LBB265_146
	s_branch .LBB265_147
.LBB265_381:                            ;   in Loop: Header=BB265_12 Depth=1
	v_cmp_eq_u16_sdwa s[30:31], v4, s28 src0_sel:BYTE_0 src1_sel:DWORD
	s_mov_b64 s[4:5], -1
                                        ; implicit-def: $sgpr26
	s_and_saveexec_b64 s[24:25], s[30:31]
; %bb.382:                              ;   in Loop: Header=BB265_12 Depth=1
	s_mov_b32 s26, 0x7fc02000
	s_xor_b64 s[4:5], exec, -1
; %bb.383:                              ;   in Loop: Header=BB265_12 Depth=1
	s_or_b64 exec, exec, s[24:25]
	s_and_b64 s[4:5], s[4:5], exec
	s_or_saveexec_b64 s[22:23], s[22:23]
	v_mov_b32_e32 v18, s26
	s_xor_b64 exec, exec, s[22:23]
	s_cbranch_execz .LBB265_149
.LBB265_384:                            ;   in Loop: Header=BB265_12 Depth=1
	v_cmp_ne_u16_sdwa s[24:25], v4, v5 src0_sel:BYTE_0 src1_sel:DWORD
	s_andn2_b64 s[4:5], s[4:5], exec
	s_and_b64 s[24:25], s[24:25], exec
	v_mov_b32_e32 v18, 0
	s_or_b64 s[4:5], s[4:5], s[24:25]
	s_or_b64 exec, exec, s[22:23]
	s_and_saveexec_b64 s[22:23], s[4:5]
	s_cbranch_execnz .LBB265_150
	s_branch .LBB265_151
.LBB265_385:                            ;   in Loop: Header=BB265_12 Depth=1
	v_cmp_eq_u16_e64 s[4:5], s28, v4
	s_mov_b64 s[22:23], -1
                                        ; implicit-def: $sgpr30
	s_and_saveexec_b64 s[26:27], s[4:5]
; %bb.386:                              ;   in Loop: Header=BB265_12 Depth=1
	s_mov_b32 s30, 0x7fc02000
	s_xor_b64 s[22:23], exec, -1
; %bb.387:                              ;   in Loop: Header=BB265_12 Depth=1
	s_or_b64 exec, exec, s[26:27]
	s_and_b64 s[22:23], s[22:23], exec
	s_or_saveexec_b64 s[24:25], s[24:25]
	v_mov_b32_e32 v52, s30
	s_xor_b64 exec, exec, s[24:25]
	s_cbranch_execz .LBB265_153
.LBB265_388:                            ;   in Loop: Header=BB265_12 Depth=1
	v_cmp_ne_u16_e64 s[4:5], 0, v4
	s_andn2_b64 s[22:23], s[22:23], exec
	s_and_b64 s[4:5], s[4:5], exec
	v_mov_b32_e32 v52, 0
	s_or_b64 s[22:23], s[22:23], s[4:5]
	s_or_b64 exec, exec, s[24:25]
	s_and_saveexec_b64 s[24:25], s[22:23]
	s_cbranch_execnz .LBB265_154
	s_branch .LBB265_155
.LBB265_389:                            ;   in Loop: Header=BB265_12 Depth=1
	v_cmp_eq_u16_sdwa s[30:31], v34, s28 src0_sel:BYTE_0 src1_sel:DWORD
	s_mov_b64 s[4:5], -1
                                        ; implicit-def: $sgpr26
	s_and_saveexec_b64 s[24:25], s[30:31]
; %bb.390:                              ;   in Loop: Header=BB265_12 Depth=1
	s_mov_b32 s26, 0x7fc02000
	s_xor_b64 s[4:5], exec, -1
; %bb.391:                              ;   in Loop: Header=BB265_12 Depth=1
	s_or_b64 exec, exec, s[24:25]
	s_and_b64 s[4:5], s[4:5], exec
	s_or_saveexec_b64 s[22:23], s[22:23]
	v_mov_b32_e32 v8, s26
	s_xor_b64 exec, exec, s[22:23]
	s_cbranch_execz .LBB265_157
.LBB265_392:                            ;   in Loop: Header=BB265_12 Depth=1
	v_cmp_ne_u16_sdwa s[24:25], v34, v5 src0_sel:BYTE_0 src1_sel:DWORD
	s_andn2_b64 s[4:5], s[4:5], exec
	s_and_b64 s[24:25], s[24:25], exec
	v_mov_b32_e32 v8, 0
	s_or_b64 s[4:5], s[4:5], s[24:25]
	s_or_b64 exec, exec, s[22:23]
	s_and_saveexec_b64 s[22:23], s[4:5]
	s_cbranch_execnz .LBB265_158
	s_branch .LBB265_159
.LBB265_393:                            ;   in Loop: Header=BB265_12 Depth=1
	v_cmp_eq_u16_e64 s[4:5], s28, v4
	s_mov_b64 s[22:23], -1
                                        ; implicit-def: $sgpr30
	s_and_saveexec_b64 s[26:27], s[4:5]
; %bb.394:                              ;   in Loop: Header=BB265_12 Depth=1
	s_mov_b32 s30, 0x7fc02000
	s_xor_b64 s[22:23], exec, -1
; %bb.395:                              ;   in Loop: Header=BB265_12 Depth=1
	s_or_b64 exec, exec, s[26:27]
	s_and_b64 s[22:23], s[22:23], exec
	s_or_saveexec_b64 s[24:25], s[24:25]
	v_mov_b32_e32 v24, s30
	s_xor_b64 exec, exec, s[24:25]
	s_cbranch_execz .LBB265_161
.LBB265_396:                            ;   in Loop: Header=BB265_12 Depth=1
	v_cmp_ne_u16_e64 s[4:5], 0, v4
	s_andn2_b64 s[22:23], s[22:23], exec
	s_and_b64 s[4:5], s[4:5], exec
	v_mov_b32_e32 v24, 0
	s_or_b64 s[22:23], s[22:23], s[4:5]
	s_or_b64 exec, exec, s[24:25]
	s_and_saveexec_b64 s[24:25], s[22:23]
	s_cbranch_execnz .LBB265_162
	s_branch .LBB265_163
.LBB265_397:                            ;   in Loop: Header=BB265_12 Depth=1
	v_cmp_eq_u16_sdwa s[30:31], v4, s28 src0_sel:BYTE_0 src1_sel:DWORD
	s_mov_b64 s[4:5], -1
                                        ; implicit-def: $sgpr26
	s_and_saveexec_b64 s[24:25], s[30:31]
; %bb.398:                              ;   in Loop: Header=BB265_12 Depth=1
	s_mov_b32 s26, 0x7fc02000
	s_xor_b64 s[4:5], exec, -1
; %bb.399:                              ;   in Loop: Header=BB265_12 Depth=1
	s_or_b64 exec, exec, s[24:25]
	s_and_b64 s[4:5], s[4:5], exec
	s_or_saveexec_b64 s[22:23], s[22:23]
	v_mov_b32_e32 v25, s26
	s_xor_b64 exec, exec, s[22:23]
	s_cbranch_execz .LBB265_165
.LBB265_400:                            ;   in Loop: Header=BB265_12 Depth=1
	v_cmp_ne_u16_sdwa s[24:25], v4, v5 src0_sel:BYTE_0 src1_sel:DWORD
	s_andn2_b64 s[4:5], s[4:5], exec
	s_and_b64 s[24:25], s[24:25], exec
	v_mov_b32_e32 v25, 0
	s_or_b64 s[4:5], s[4:5], s[24:25]
	s_or_b64 exec, exec, s[22:23]
	s_and_saveexec_b64 s[22:23], s[4:5]
	s_cbranch_execnz .LBB265_166
	s_branch .LBB265_167
.LBB265_401:                            ;   in Loop: Header=BB265_12 Depth=1
	v_cmp_eq_u16_e64 s[4:5], s28, v4
	s_mov_b64 s[22:23], -1
                                        ; implicit-def: $sgpr30
	s_and_saveexec_b64 s[26:27], s[4:5]
; %bb.402:                              ;   in Loop: Header=BB265_12 Depth=1
	s_mov_b32 s30, 0x7fc02000
	s_xor_b64 s[22:23], exec, -1
; %bb.403:                              ;   in Loop: Header=BB265_12 Depth=1
	s_or_b64 exec, exec, s[26:27]
	s_and_b64 s[22:23], s[22:23], exec
	s_or_saveexec_b64 s[24:25], s[24:25]
	v_mov_b32_e32 v28, s30
	s_xor_b64 exec, exec, s[24:25]
	s_cbranch_execz .LBB265_169
.LBB265_404:                            ;   in Loop: Header=BB265_12 Depth=1
	v_cmp_ne_u16_e64 s[4:5], 0, v4
	s_andn2_b64 s[22:23], s[22:23], exec
	s_and_b64 s[4:5], s[4:5], exec
	v_mov_b32_e32 v28, 0
	s_or_b64 s[22:23], s[22:23], s[4:5]
	s_or_b64 exec, exec, s[24:25]
	s_and_saveexec_b64 s[24:25], s[22:23]
	s_cbranch_execnz .LBB265_170
	s_branch .LBB265_171
.LBB265_405:                            ;   in Loop: Header=BB265_12 Depth=1
	v_cmp_eq_u16_sdwa s[30:31], v34, s28 src0_sel:BYTE_0 src1_sel:DWORD
	s_mov_b64 s[4:5], -1
                                        ; implicit-def: $sgpr26
	s_and_saveexec_b64 s[24:25], s[30:31]
; %bb.406:                              ;   in Loop: Header=BB265_12 Depth=1
	s_mov_b32 s26, 0x7fc02000
	s_xor_b64 s[4:5], exec, -1
; %bb.407:                              ;   in Loop: Header=BB265_12 Depth=1
	s_or_b64 exec, exec, s[24:25]
	s_and_b64 s[4:5], s[4:5], exec
	s_or_saveexec_b64 s[22:23], s[22:23]
	v_mov_b32_e32 v29, s26
	s_xor_b64 exec, exec, s[22:23]
	s_cbranch_execz .LBB265_173
.LBB265_408:                            ;   in Loop: Header=BB265_12 Depth=1
	v_cmp_ne_u16_sdwa s[24:25], v34, v5 src0_sel:BYTE_0 src1_sel:DWORD
	s_andn2_b64 s[4:5], s[4:5], exec
	s_and_b64 s[24:25], s[24:25], exec
	v_mov_b32_e32 v29, 0
	s_or_b64 s[4:5], s[4:5], s[24:25]
	s_or_b64 exec, exec, s[22:23]
	s_and_saveexec_b64 s[22:23], s[4:5]
	s_cbranch_execnz .LBB265_174
	s_branch .LBB265_175
.LBB265_409:                            ;   in Loop: Header=BB265_12 Depth=1
	v_cmp_eq_u16_e64 s[4:5], s28, v4
	s_mov_b64 s[22:23], -1
                                        ; implicit-def: $sgpr30
	s_and_saveexec_b64 s[26:27], s[4:5]
; %bb.410:                              ;   in Loop: Header=BB265_12 Depth=1
	s_mov_b32 s30, 0x7fc02000
	s_xor_b64 s[22:23], exec, -1
; %bb.411:                              ;   in Loop: Header=BB265_12 Depth=1
	s_or_b64 exec, exec, s[26:27]
	s_and_b64 s[22:23], s[22:23], exec
	s_or_saveexec_b64 s[24:25], s[24:25]
	v_mov_b32_e32 v45, s30
	s_xor_b64 exec, exec, s[24:25]
	s_cbranch_execz .LBB265_177
.LBB265_412:                            ;   in Loop: Header=BB265_12 Depth=1
	v_cmp_ne_u16_e64 s[4:5], 0, v4
	s_andn2_b64 s[22:23], s[22:23], exec
	s_and_b64 s[4:5], s[4:5], exec
	v_mov_b32_e32 v45, 0
	s_or_b64 s[22:23], s[22:23], s[4:5]
	s_or_b64 exec, exec, s[24:25]
	s_and_saveexec_b64 s[24:25], s[22:23]
	s_cbranch_execnz .LBB265_178
	s_branch .LBB265_179
.LBB265_413:                            ;   in Loop: Header=BB265_12 Depth=1
	v_cmp_eq_u16_sdwa s[30:31], v4, s28 src0_sel:BYTE_0 src1_sel:DWORD
	s_mov_b64 s[4:5], -1
                                        ; implicit-def: $sgpr26
	s_and_saveexec_b64 s[24:25], s[30:31]
; %bb.414:                              ;   in Loop: Header=BB265_12 Depth=1
	s_mov_b32 s26, 0x7fc02000
	s_xor_b64 s[4:5], exec, -1
; %bb.415:                              ;   in Loop: Header=BB265_12 Depth=1
	s_or_b64 exec, exec, s[24:25]
	s_and_b64 s[4:5], s[4:5], exec
	s_or_saveexec_b64 s[22:23], s[22:23]
	v_mov_b32_e32 v21, s26
	s_xor_b64 exec, exec, s[22:23]
	s_cbranch_execz .LBB265_181
.LBB265_416:                            ;   in Loop: Header=BB265_12 Depth=1
	v_cmp_ne_u16_sdwa s[24:25], v4, v5 src0_sel:BYTE_0 src1_sel:DWORD
	s_andn2_b64 s[4:5], s[4:5], exec
	s_and_b64 s[24:25], s[24:25], exec
	v_mov_b32_e32 v21, 0
	s_or_b64 s[4:5], s[4:5], s[24:25]
	s_or_b64 exec, exec, s[22:23]
	s_and_saveexec_b64 s[22:23], s[4:5]
	s_cbranch_execnz .LBB265_182
	s_branch .LBB265_183
.LBB265_417:                            ;   in Loop: Header=BB265_12 Depth=1
	v_cmp_eq_u16_e64 s[4:5], s28, v4
	s_mov_b64 s[22:23], -1
                                        ; implicit-def: $sgpr30
	s_and_saveexec_b64 s[26:27], s[4:5]
; %bb.418:                              ;   in Loop: Header=BB265_12 Depth=1
	s_mov_b32 s30, 0x7fc02000
	s_xor_b64 s[22:23], exec, -1
; %bb.419:                              ;   in Loop: Header=BB265_12 Depth=1
	s_or_b64 exec, exec, s[26:27]
	s_and_b64 s[22:23], s[22:23], exec
	s_or_saveexec_b64 s[24:25], s[24:25]
	v_mov_b32_e32 v20, s30
	s_xor_b64 exec, exec, s[24:25]
	s_cbranch_execz .LBB265_185
.LBB265_420:                            ;   in Loop: Header=BB265_12 Depth=1
	v_cmp_ne_u16_e64 s[4:5], 0, v4
	s_andn2_b64 s[22:23], s[22:23], exec
	s_and_b64 s[4:5], s[4:5], exec
	v_mov_b32_e32 v20, 0
	s_or_b64 s[22:23], s[22:23], s[4:5]
	s_or_b64 exec, exec, s[24:25]
	s_and_saveexec_b64 s[24:25], s[22:23]
	s_cbranch_execnz .LBB265_186
	s_branch .LBB265_187
.LBB265_421:                            ;   in Loop: Header=BB265_12 Depth=1
	v_cmp_eq_u16_sdwa s[30:31], v34, s28 src0_sel:BYTE_0 src1_sel:DWORD
	s_mov_b64 s[4:5], -1
                                        ; implicit-def: $sgpr26
	s_and_saveexec_b64 s[24:25], s[30:31]
; %bb.422:                              ;   in Loop: Header=BB265_12 Depth=1
	s_mov_b32 s26, 0x7fc02000
	s_xor_b64 s[4:5], exec, -1
; %bb.423:                              ;   in Loop: Header=BB265_12 Depth=1
	s_or_b64 exec, exec, s[24:25]
	s_and_b64 s[4:5], s[4:5], exec
	s_or_saveexec_b64 s[22:23], s[22:23]
	v_mov_b32_e32 v2, s26
	s_xor_b64 exec, exec, s[22:23]
	s_cbranch_execz .LBB265_189
.LBB265_424:                            ;   in Loop: Header=BB265_12 Depth=1
	v_cmp_ne_u16_sdwa s[24:25], v34, v5 src0_sel:BYTE_0 src1_sel:DWORD
	s_andn2_b64 s[4:5], s[4:5], exec
	s_and_b64 s[24:25], s[24:25], exec
	v_mov_b32_e32 v2, 0
	s_or_b64 s[4:5], s[4:5], s[24:25]
	s_or_b64 exec, exec, s[22:23]
	s_and_saveexec_b64 s[22:23], s[4:5]
	s_cbranch_execnz .LBB265_190
	s_branch .LBB265_191
.LBB265_425:                            ;   in Loop: Header=BB265_12 Depth=1
	v_cmp_eq_u16_e64 s[4:5], s28, v4
	s_mov_b64 s[22:23], -1
                                        ; implicit-def: $sgpr30
	s_and_saveexec_b64 s[26:27], s[4:5]
; %bb.426:                              ;   in Loop: Header=BB265_12 Depth=1
	s_mov_b32 s30, 0x7fc02000
	s_xor_b64 s[22:23], exec, -1
; %bb.427:                              ;   in Loop: Header=BB265_12 Depth=1
	s_or_b64 exec, exec, s[26:27]
	s_and_b64 s[22:23], s[22:23], exec
	s_or_saveexec_b64 s[24:25], s[24:25]
	v_mov_b32_e32 v51, s30
	s_xor_b64 exec, exec, s[24:25]
	s_cbranch_execz .LBB265_193
.LBB265_428:                            ;   in Loop: Header=BB265_12 Depth=1
	v_cmp_ne_u16_e64 s[4:5], 0, v4
	s_andn2_b64 s[22:23], s[22:23], exec
	s_and_b64 s[4:5], s[4:5], exec
	v_mov_b32_e32 v51, 0
	s_or_b64 s[22:23], s[22:23], s[4:5]
	s_or_b64 exec, exec, s[24:25]
	s_and_saveexec_b64 s[24:25], s[22:23]
	s_cbranch_execnz .LBB265_194
	s_branch .LBB265_195
.LBB265_429:                            ;   in Loop: Header=BB265_12 Depth=1
	v_cmp_eq_u16_sdwa s[30:31], v4, s28 src0_sel:BYTE_0 src1_sel:DWORD
	s_mov_b64 s[4:5], -1
                                        ; implicit-def: $sgpr26
	s_and_saveexec_b64 s[24:25], s[30:31]
; %bb.430:                              ;   in Loop: Header=BB265_12 Depth=1
	s_mov_b32 s26, 0x7fc02000
	s_xor_b64 s[4:5], exec, -1
; %bb.431:                              ;   in Loop: Header=BB265_12 Depth=1
	s_or_b64 exec, exec, s[24:25]
	s_and_b64 s[4:5], s[4:5], exec
	s_or_saveexec_b64 s[22:23], s[22:23]
	v_mov_b32_e32 v55, s26
	s_xor_b64 exec, exec, s[22:23]
	s_cbranch_execz .LBB265_197
.LBB265_432:                            ;   in Loop: Header=BB265_12 Depth=1
	v_cmp_ne_u16_sdwa s[24:25], v4, v5 src0_sel:BYTE_0 src1_sel:DWORD
	s_andn2_b64 s[4:5], s[4:5], exec
	s_and_b64 s[24:25], s[24:25], exec
	v_mov_b32_e32 v55, 0
	s_or_b64 s[4:5], s[4:5], s[24:25]
	s_or_b64 exec, exec, s[22:23]
	s_and_saveexec_b64 s[22:23], s[4:5]
	s_cbranch_execnz .LBB265_198
	s_branch .LBB265_199
.LBB265_433:                            ;   in Loop: Header=BB265_12 Depth=1
	v_cmp_eq_u16_e64 s[4:5], s28, v4
	s_mov_b64 s[22:23], -1
                                        ; implicit-def: $sgpr30
	s_and_saveexec_b64 s[26:27], s[4:5]
; %bb.434:                              ;   in Loop: Header=BB265_12 Depth=1
	s_mov_b32 s30, 0x7fc02000
	s_xor_b64 s[22:23], exec, -1
; %bb.435:                              ;   in Loop: Header=BB265_12 Depth=1
	s_or_b64 exec, exec, s[26:27]
	s_and_b64 s[22:23], s[22:23], exec
	s_or_saveexec_b64 s[24:25], s[24:25]
	v_mov_b32_e32 v56, s30
	s_xor_b64 exec, exec, s[24:25]
	s_cbranch_execz .LBB265_201
.LBB265_436:                            ;   in Loop: Header=BB265_12 Depth=1
	v_cmp_ne_u16_e64 s[4:5], 0, v4
	s_andn2_b64 s[22:23], s[22:23], exec
	s_and_b64 s[4:5], s[4:5], exec
	v_mov_b32_e32 v56, 0
	s_or_b64 s[22:23], s[22:23], s[4:5]
	s_or_b64 exec, exec, s[24:25]
	s_and_saveexec_b64 s[24:25], s[22:23]
	s_cbranch_execnz .LBB265_202
	s_branch .LBB265_203
.LBB265_437:                            ;   in Loop: Header=BB265_12 Depth=1
	v_cmp_eq_u16_sdwa s[30:31], v34, s28 src0_sel:BYTE_0 src1_sel:DWORD
	s_mov_b64 s[4:5], -1
                                        ; implicit-def: $sgpr26
	s_and_saveexec_b64 s[24:25], s[30:31]
; %bb.438:                              ;   in Loop: Header=BB265_12 Depth=1
	s_mov_b32 s26, 0x7fc02000
	s_xor_b64 s[4:5], exec, -1
; %bb.439:                              ;   in Loop: Header=BB265_12 Depth=1
	s_or_b64 exec, exec, s[24:25]
	s_and_b64 s[4:5], s[4:5], exec
	s_or_saveexec_b64 s[22:23], s[22:23]
	v_mov_b32_e32 v57, s26
	s_xor_b64 exec, exec, s[22:23]
	s_cbranch_execz .LBB265_205
.LBB265_440:                            ;   in Loop: Header=BB265_12 Depth=1
	v_cmp_ne_u16_sdwa s[24:25], v34, v5 src0_sel:BYTE_0 src1_sel:DWORD
	s_andn2_b64 s[4:5], s[4:5], exec
	s_and_b64 s[24:25], s[24:25], exec
	v_mov_b32_e32 v57, 0
	s_or_b64 s[4:5], s[4:5], s[24:25]
	s_or_b64 exec, exec, s[22:23]
	s_and_saveexec_b64 s[22:23], s[4:5]
	s_cbranch_execnz .LBB265_206
	s_branch .LBB265_207
.LBB265_441:                            ;   in Loop: Header=BB265_12 Depth=1
	v_cmp_eq_u16_e64 s[4:5], s28, v4
	s_mov_b64 s[22:23], -1
                                        ; implicit-def: $sgpr30
	s_and_saveexec_b64 s[26:27], s[4:5]
; %bb.442:                              ;   in Loop: Header=BB265_12 Depth=1
	s_mov_b32 s30, 0x7fc02000
	s_xor_b64 s[22:23], exec, -1
; %bb.443:                              ;   in Loop: Header=BB265_12 Depth=1
	s_or_b64 exec, exec, s[26:27]
	s_and_b64 s[22:23], s[22:23], exec
	s_or_saveexec_b64 s[24:25], s[24:25]
	v_mov_b32_e32 v58, s30
	s_xor_b64 exec, exec, s[24:25]
	s_cbranch_execz .LBB265_209
.LBB265_444:                            ;   in Loop: Header=BB265_12 Depth=1
	v_cmp_ne_u16_e64 s[4:5], 0, v4
	s_andn2_b64 s[22:23], s[22:23], exec
	s_and_b64 s[4:5], s[4:5], exec
	v_mov_b32_e32 v58, 0
	s_or_b64 s[22:23], s[22:23], s[4:5]
	s_or_b64 exec, exec, s[24:25]
	s_and_saveexec_b64 s[24:25], s[22:23]
	s_cbranch_execnz .LBB265_210
	s_branch .LBB265_211
.LBB265_445:                            ;   in Loop: Header=BB265_12 Depth=1
	v_cmp_eq_u16_sdwa s[30:31], v4, s28 src0_sel:BYTE_0 src1_sel:DWORD
	s_mov_b64 s[4:5], -1
                                        ; implicit-def: $sgpr26
	s_and_saveexec_b64 s[24:25], s[30:31]
; %bb.446:                              ;   in Loop: Header=BB265_12 Depth=1
	s_mov_b32 s26, 0x7fc02000
	s_xor_b64 s[4:5], exec, -1
; %bb.447:                              ;   in Loop: Header=BB265_12 Depth=1
	s_or_b64 exec, exec, s[24:25]
	s_and_b64 s[4:5], s[4:5], exec
	s_or_saveexec_b64 s[22:23], s[22:23]
	v_mov_b32_e32 v59, s26
	s_xor_b64 exec, exec, s[22:23]
	s_cbranch_execz .LBB265_213
.LBB265_448:                            ;   in Loop: Header=BB265_12 Depth=1
	v_cmp_ne_u16_sdwa s[24:25], v4, v5 src0_sel:BYTE_0 src1_sel:DWORD
	s_andn2_b64 s[4:5], s[4:5], exec
	s_and_b64 s[24:25], s[24:25], exec
	v_mov_b32_e32 v59, 0
	s_or_b64 s[4:5], s[4:5], s[24:25]
	s_or_b64 exec, exec, s[22:23]
	s_and_saveexec_b64 s[22:23], s[4:5]
	s_cbranch_execnz .LBB265_214
	s_branch .LBB265_215
.LBB265_449:                            ;   in Loop: Header=BB265_12 Depth=1
	v_cmp_eq_u16_e64 s[4:5], s28, v4
	s_mov_b64 s[22:23], -1
                                        ; implicit-def: $sgpr30
	s_and_saveexec_b64 s[26:27], s[4:5]
; %bb.450:                              ;   in Loop: Header=BB265_12 Depth=1
	s_mov_b32 s30, 0x7fc02000
	s_xor_b64 s[22:23], exec, -1
; %bb.451:                              ;   in Loop: Header=BB265_12 Depth=1
	s_or_b64 exec, exec, s[26:27]
	s_and_b64 s[22:23], s[22:23], exec
	s_or_saveexec_b64 s[24:25], s[24:25]
	v_mov_b32_e32 v23, s30
	s_xor_b64 exec, exec, s[24:25]
	s_cbranch_execz .LBB265_217
.LBB265_452:                            ;   in Loop: Header=BB265_12 Depth=1
	v_cmp_ne_u16_e64 s[4:5], 0, v4
	s_andn2_b64 s[22:23], s[22:23], exec
	s_and_b64 s[4:5], s[4:5], exec
	v_mov_b32_e32 v23, 0
	s_or_b64 s[22:23], s[22:23], s[4:5]
	s_or_b64 exec, exec, s[24:25]
	s_and_saveexec_b64 s[24:25], s[22:23]
	s_cbranch_execnz .LBB265_218
	s_branch .LBB265_219
.LBB265_453:                            ;   in Loop: Header=BB265_12 Depth=1
	v_cmp_eq_u16_sdwa s[30:31], v34, s28 src0_sel:BYTE_0 src1_sel:DWORD
	s_mov_b64 s[4:5], -1
                                        ; implicit-def: $sgpr26
	s_and_saveexec_b64 s[24:25], s[30:31]
; %bb.454:                              ;   in Loop: Header=BB265_12 Depth=1
	s_mov_b32 s26, 0x7fc02000
	s_xor_b64 s[4:5], exec, -1
; %bb.455:                              ;   in Loop: Header=BB265_12 Depth=1
	s_or_b64 exec, exec, s[24:25]
	s_and_b64 s[4:5], s[4:5], exec
	s_or_saveexec_b64 s[22:23], s[22:23]
	v_mov_b32_e32 v22, s26
	s_xor_b64 exec, exec, s[22:23]
	s_cbranch_execz .LBB265_221
.LBB265_456:                            ;   in Loop: Header=BB265_12 Depth=1
	v_cmp_ne_u16_sdwa s[24:25], v34, v5 src0_sel:BYTE_0 src1_sel:DWORD
	s_andn2_b64 s[4:5], s[4:5], exec
	s_and_b64 s[24:25], s[24:25], exec
	v_mov_b32_e32 v22, 0
	s_or_b64 s[4:5], s[4:5], s[24:25]
	s_or_b64 exec, exec, s[22:23]
	s_and_saveexec_b64 s[22:23], s[4:5]
	s_cbranch_execnz .LBB265_222
	s_branch .LBB265_223
.LBB265_457:                            ;   in Loop: Header=BB265_12 Depth=1
	v_cmp_eq_u16_e64 s[4:5], s28, v4
	s_mov_b64 s[22:23], -1
                                        ; implicit-def: $sgpr30
	s_and_saveexec_b64 s[26:27], s[4:5]
; %bb.458:                              ;   in Loop: Header=BB265_12 Depth=1
	s_mov_b32 s30, 0x7fc02000
	s_xor_b64 s[22:23], exec, -1
; %bb.459:                              ;   in Loop: Header=BB265_12 Depth=1
	s_or_b64 exec, exec, s[26:27]
	s_and_b64 s[22:23], s[22:23], exec
	s_or_saveexec_b64 s[24:25], s[24:25]
	v_mov_b32_e32 v60, s30
	s_xor_b64 exec, exec, s[24:25]
	s_cbranch_execz .LBB265_225
.LBB265_460:                            ;   in Loop: Header=BB265_12 Depth=1
	v_cmp_ne_u16_e64 s[4:5], 0, v4
	s_andn2_b64 s[22:23], s[22:23], exec
	s_and_b64 s[4:5], s[4:5], exec
	v_mov_b32_e32 v60, 0
	s_or_b64 s[22:23], s[22:23], s[4:5]
	s_or_b64 exec, exec, s[24:25]
	s_and_saveexec_b64 s[24:25], s[22:23]
	s_cbranch_execnz .LBB265_226
	s_branch .LBB265_227
.LBB265_461:                            ;   in Loop: Header=BB265_12 Depth=1
	v_cmp_eq_u16_sdwa s[30:31], v4, s28 src0_sel:BYTE_0 src1_sel:DWORD
	s_mov_b64 s[4:5], -1
                                        ; implicit-def: $sgpr26
	s_and_saveexec_b64 s[24:25], s[30:31]
; %bb.462:                              ;   in Loop: Header=BB265_12 Depth=1
	s_mov_b32 s26, 0x7fc02000
	s_xor_b64 s[4:5], exec, -1
; %bb.463:                              ;   in Loop: Header=BB265_12 Depth=1
	s_or_b64 exec, exec, s[24:25]
	s_and_b64 s[4:5], s[4:5], exec
	s_or_saveexec_b64 s[22:23], s[22:23]
	v_mov_b32_e32 v61, s26
	s_xor_b64 exec, exec, s[22:23]
	s_cbranch_execz .LBB265_229
.LBB265_464:                            ;   in Loop: Header=BB265_12 Depth=1
	v_cmp_ne_u16_sdwa s[24:25], v4, v5 src0_sel:BYTE_0 src1_sel:DWORD
	s_andn2_b64 s[4:5], s[4:5], exec
	s_and_b64 s[24:25], s[24:25], exec
	v_mov_b32_e32 v61, 0
	s_or_b64 s[4:5], s[4:5], s[24:25]
	s_or_b64 exec, exec, s[22:23]
	s_and_saveexec_b64 s[22:23], s[4:5]
	s_cbranch_execnz .LBB265_230
	s_branch .LBB265_231
.LBB265_465:                            ;   in Loop: Header=BB265_12 Depth=1
	v_cmp_eq_u16_e64 s[4:5], s28, v4
	s_mov_b64 s[22:23], -1
                                        ; implicit-def: $sgpr30
	s_and_saveexec_b64 s[26:27], s[4:5]
; %bb.466:                              ;   in Loop: Header=BB265_12 Depth=1
	s_mov_b32 s30, 0x7fc02000
	s_xor_b64 s[22:23], exec, -1
; %bb.467:                              ;   in Loop: Header=BB265_12 Depth=1
	s_or_b64 exec, exec, s[26:27]
	s_and_b64 s[22:23], s[22:23], exec
	s_or_saveexec_b64 s[24:25], s[24:25]
	v_mov_b32_e32 v62, s30
	s_xor_b64 exec, exec, s[24:25]
	s_cbranch_execz .LBB265_233
.LBB265_468:                            ;   in Loop: Header=BB265_12 Depth=1
	v_cmp_ne_u16_e64 s[4:5], 0, v4
	s_andn2_b64 s[22:23], s[22:23], exec
	s_and_b64 s[4:5], s[4:5], exec
	v_mov_b32_e32 v62, 0
	s_or_b64 s[22:23], s[22:23], s[4:5]
	s_or_b64 exec, exec, s[24:25]
	s_and_saveexec_b64 s[24:25], s[22:23]
	s_cbranch_execnz .LBB265_234
	s_branch .LBB265_235
.LBB265_469:                            ;   in Loop: Header=BB265_12 Depth=1
	v_cmp_eq_u16_sdwa s[30:31], v34, s28 src0_sel:BYTE_0 src1_sel:DWORD
	s_mov_b64 s[4:5], -1
                                        ; implicit-def: $sgpr26
	s_and_saveexec_b64 s[24:25], s[30:31]
; %bb.470:                              ;   in Loop: Header=BB265_12 Depth=1
	s_mov_b32 s26, 0x7fc02000
	s_xor_b64 s[4:5], exec, -1
; %bb.471:                              ;   in Loop: Header=BB265_12 Depth=1
	s_or_b64 exec, exec, s[24:25]
	s_and_b64 s[4:5], s[4:5], exec
	s_or_saveexec_b64 s[22:23], s[22:23]
	v_mov_b32_e32 v27, s26
	s_xor_b64 exec, exec, s[22:23]
	s_cbranch_execz .LBB265_237
.LBB265_472:                            ;   in Loop: Header=BB265_12 Depth=1
	v_cmp_ne_u16_sdwa s[24:25], v34, v5 src0_sel:BYTE_0 src1_sel:DWORD
	s_andn2_b64 s[4:5], s[4:5], exec
	s_and_b64 s[24:25], s[24:25], exec
	v_mov_b32_e32 v27, 0
	s_or_b64 s[4:5], s[4:5], s[24:25]
	s_or_b64 exec, exec, s[22:23]
	s_and_saveexec_b64 s[22:23], s[4:5]
	s_cbranch_execnz .LBB265_238
	s_branch .LBB265_239
.LBB265_473:                            ;   in Loop: Header=BB265_12 Depth=1
	v_cmp_eq_u16_e64 s[4:5], s28, v4
	s_mov_b64 s[22:23], -1
                                        ; implicit-def: $sgpr30
	s_and_saveexec_b64 s[26:27], s[4:5]
; %bb.474:                              ;   in Loop: Header=BB265_12 Depth=1
	s_mov_b32 s30, 0x7fc02000
	s_xor_b64 s[22:23], exec, -1
; %bb.475:                              ;   in Loop: Header=BB265_12 Depth=1
	s_or_b64 exec, exec, s[26:27]
	s_and_b64 s[22:23], s[22:23], exec
	s_or_saveexec_b64 s[24:25], s[24:25]
	v_mov_b32_e32 v17, s30
	s_xor_b64 exec, exec, s[24:25]
	s_cbranch_execz .LBB265_241
.LBB265_476:                            ;   in Loop: Header=BB265_12 Depth=1
	v_cmp_ne_u16_e64 s[4:5], 0, v4
	s_andn2_b64 s[22:23], s[22:23], exec
	s_and_b64 s[4:5], s[4:5], exec
	v_mov_b32_e32 v17, 0
	s_or_b64 s[22:23], s[22:23], s[4:5]
	s_or_b64 exec, exec, s[24:25]
	s_and_saveexec_b64 s[24:25], s[22:23]
	s_cbranch_execnz .LBB265_242
	s_branch .LBB265_243
.LBB265_477:                            ;   in Loop: Header=BB265_12 Depth=1
	v_cmp_eq_u16_sdwa s[30:31], v4, s28 src0_sel:BYTE_0 src1_sel:DWORD
	s_mov_b64 s[4:5], -1
                                        ; implicit-def: $sgpr26
	s_and_saveexec_b64 s[24:25], s[30:31]
; %bb.478:                              ;   in Loop: Header=BB265_12 Depth=1
	s_mov_b32 s26, 0x7fc02000
	s_xor_b64 s[4:5], exec, -1
; %bb.479:                              ;   in Loop: Header=BB265_12 Depth=1
	s_or_b64 exec, exec, s[24:25]
	s_and_b64 s[4:5], s[4:5], exec
	s_or_saveexec_b64 s[22:23], s[22:23]
	v_mov_b32_e32 v3, s26
	s_xor_b64 exec, exec, s[22:23]
	s_cbranch_execz .LBB265_245
.LBB265_480:                            ;   in Loop: Header=BB265_12 Depth=1
	v_cmp_ne_u16_sdwa s[24:25], v4, v5 src0_sel:BYTE_0 src1_sel:DWORD
	s_andn2_b64 s[4:5], s[4:5], exec
	s_and_b64 s[24:25], s[24:25], exec
	v_mov_b32_e32 v3, 0
	s_or_b64 s[4:5], s[4:5], s[24:25]
	s_or_b64 exec, exec, s[22:23]
	s_and_saveexec_b64 s[22:23], s[4:5]
	s_cbranch_execnz .LBB265_246
	s_branch .LBB265_247
.LBB265_481:                            ;   in Loop: Header=BB265_12 Depth=1
	v_cmp_eq_u16_e64 s[4:5], s28, v4
	s_mov_b64 s[22:23], -1
                                        ; implicit-def: $sgpr30
	s_and_saveexec_b64 s[26:27], s[4:5]
; %bb.482:                              ;   in Loop: Header=BB265_12 Depth=1
	s_mov_b32 s30, 0x7fc02000
	s_xor_b64 s[22:23], exec, -1
; %bb.483:                              ;   in Loop: Header=BB265_12 Depth=1
	s_or_b64 exec, exec, s[26:27]
	s_and_b64 s[22:23], s[22:23], exec
	s_or_saveexec_b64 s[24:25], s[24:25]
	v_mov_b32_e32 v35, s30
	s_xor_b64 exec, exec, s[24:25]
	s_cbranch_execz .LBB265_249
.LBB265_484:                            ;   in Loop: Header=BB265_12 Depth=1
	v_cmp_ne_u16_e64 s[4:5], 0, v4
	s_andn2_b64 s[22:23], s[22:23], exec
	s_and_b64 s[4:5], s[4:5], exec
	v_mov_b32_e32 v35, 0
	s_or_b64 s[22:23], s[22:23], s[4:5]
	s_or_b64 exec, exec, s[24:25]
	s_and_saveexec_b64 s[24:25], s[22:23]
	s_cbranch_execnz .LBB265_250
	s_branch .LBB265_251
.LBB265_485:                            ;   in Loop: Header=BB265_12 Depth=1
	v_cmp_eq_u16_sdwa s[30:31], v32, s28 src0_sel:BYTE_0 src1_sel:DWORD
	s_mov_b64 s[4:5], -1
                                        ; implicit-def: $sgpr26
	s_and_saveexec_b64 s[24:25], s[30:31]
; %bb.486:                              ;   in Loop: Header=BB265_12 Depth=1
	s_mov_b32 s26, 0x7fc02000
	s_xor_b64 s[4:5], exec, -1
; %bb.487:                              ;   in Loop: Header=BB265_12 Depth=1
	s_or_b64 exec, exec, s[24:25]
	s_and_b64 s[4:5], s[4:5], exec
	s_or_saveexec_b64 s[22:23], s[22:23]
	v_mov_b32_e32 v34, s26
	s_xor_b64 exec, exec, s[22:23]
	s_cbranch_execz .LBB265_253
.LBB265_488:                            ;   in Loop: Header=BB265_12 Depth=1
	v_cmp_ne_u16_sdwa s[24:25], v32, v5 src0_sel:BYTE_0 src1_sel:DWORD
	s_andn2_b64 s[4:5], s[4:5], exec
	s_and_b64 s[24:25], s[24:25], exec
	v_mov_b32_e32 v34, 0
	s_or_b64 s[4:5], s[4:5], s[24:25]
	s_or_b64 exec, exec, s[22:23]
	s_and_saveexec_b64 s[22:23], s[4:5]
	s_cbranch_execnz .LBB265_254
	s_branch .LBB265_255
.LBB265_489:                            ;   in Loop: Header=BB265_12 Depth=1
	v_cmp_eq_u16_e64 s[4:5], s28, v4
	s_mov_b64 s[22:23], -1
                                        ; implicit-def: $sgpr30
	s_and_saveexec_b64 s[26:27], s[4:5]
; %bb.490:                              ;   in Loop: Header=BB265_12 Depth=1
	s_mov_b32 s30, 0x7fc02000
	s_xor_b64 s[22:23], exec, -1
; %bb.491:                              ;   in Loop: Header=BB265_12 Depth=1
	s_or_b64 exec, exec, s[26:27]
	s_and_b64 s[22:23], s[22:23], exec
	s_or_saveexec_b64 s[24:25], s[24:25]
	v_mov_b32_e32 v1, s30
	s_xor_b64 exec, exec, s[24:25]
	s_cbranch_execz .LBB265_257
.LBB265_492:                            ;   in Loop: Header=BB265_12 Depth=1
	v_cmp_ne_u16_e64 s[4:5], 0, v4
	s_andn2_b64 s[22:23], s[22:23], exec
	s_and_b64 s[4:5], s[4:5], exec
	v_mov_b32_e32 v1, 0
	s_or_b64 s[22:23], s[22:23], s[4:5]
	s_or_b64 exec, exec, s[24:25]
	s_and_saveexec_b64 s[24:25], s[22:23]
	s_cbranch_execnz .LBB265_258
	s_branch .LBB265_259
.LBB265_493:                            ;   in Loop: Header=BB265_12 Depth=1
	v_cmp_eq_u16_sdwa s[30:31], v4, s28 src0_sel:BYTE_0 src1_sel:DWORD
	s_mov_b64 s[4:5], -1
                                        ; implicit-def: $sgpr26
	s_and_saveexec_b64 s[24:25], s[30:31]
; %bb.494:                              ;   in Loop: Header=BB265_12 Depth=1
	s_mov_b32 s26, 0x7fc02000
	s_xor_b64 s[4:5], exec, -1
; %bb.495:                              ;   in Loop: Header=BB265_12 Depth=1
	s_or_b64 exec, exec, s[24:25]
	s_and_b64 s[4:5], s[4:5], exec
	s_or_saveexec_b64 s[22:23], s[22:23]
	v_mov_b32_e32 v16, s26
	s_xor_b64 exec, exec, s[22:23]
	s_cbranch_execz .LBB265_261
.LBB265_496:                            ;   in Loop: Header=BB265_12 Depth=1
	v_cmp_ne_u16_sdwa s[24:25], v4, v5 src0_sel:BYTE_0 src1_sel:DWORD
	s_andn2_b64 s[4:5], s[4:5], exec
	s_and_b64 s[24:25], s[24:25], exec
	v_mov_b32_e32 v16, 0
	s_or_b64 s[4:5], s[4:5], s[24:25]
	s_or_b64 exec, exec, s[22:23]
	s_and_saveexec_b64 s[22:23], s[4:5]
	s_cbranch_execnz .LBB265_262
	s_branch .LBB265_263
.LBB265_497:
	s_or_b64 exec, exec, s[12:13]
	v_accvgpr_read_b32 v2, a30
.LBB265_498:
	s_or_b64 exec, exec, s[8:9]
	scratch_load_dword v3, off, s32 offset:152 ; 4-byte Folded Reload
	v_mbcnt_hi_u32_b32 v1, -1, v2
	v_and_b32_e32 v0, 64, v1
	v_add_u32_e32 v8, 64, v0
	v_xor_b32_e32 v0, 32, v1
	v_cmp_lt_i32_e32 vcc, v0, v8
	v_xor_b32_e32 v4, 16, v1
	v_xor_b32_e32 v5, 8, v1
	v_cndmask_b32_e32 v0, v1, v0, vcc
	v_lshlrev_b32_e32 v2, 2, v0
	v_cmp_lt_i32_e32 vcc, v4, v8
	v_xor_b32_e32 v6, 4, v1
	v_xor_b32_e32 v9, 2, v1
	s_waitcnt lgkmcnt(0)
	s_lshr_b32 s21, s21, 16
	s_waitcnt vmcnt(0)
	ds_bpermute_b32 v0, v2, v3
	v_max_f32_e32 v3, v3, v3
	s_waitcnt lgkmcnt(0)
	v_max_f32_e32 v0, v0, v0
	v_max_f32_e32 v0, v3, v0
	v_cndmask_b32_e32 v3, v1, v4, vcc
	v_lshlrev_b32_e32 v3, 2, v3
	ds_bpermute_b32 v4, v3, v0
	v_cmp_lt_i32_e32 vcc, v5, v8
	s_waitcnt lgkmcnt(0)
	v_max_f32_e32 v4, v4, v4
	v_max_f32_e32 v0, v0, v4
	v_cndmask_b32_e32 v4, v1, v5, vcc
	v_lshlrev_b32_e32 v4, 2, v4
	ds_bpermute_b32 v5, v4, v0
	v_cmp_lt_i32_e32 vcc, v6, v8
	;; [unrolled: 7-line block ×3, first 2 shown]
	s_waitcnt lgkmcnt(0)
	v_max_f32_e32 v6, v6, v6
	v_max_f32_e32 v7, v0, v6
	v_cndmask_b32_e32 v0, v1, v9, vcc
	v_lshlrev_b32_e32 v55, 2, v0
	ds_bpermute_b32 v9, v55, v7
	v_accvgpr_read_b32 v0, a2
	v_and_b32_e32 v0, 63, v0
	v_accvgpr_read_b32 v6, a12
	v_cmp_eq_u32_e32 vcc, 0, v0
	v_lshlrev_b32_e32 v6, 2, v6
	s_and_saveexec_b64 s[2:3], vcc
	s_cbranch_execz .LBB265_500
; %bb.499:
	s_waitcnt lgkmcnt(0)
	v_max_f32_e32 v9, v9, v9
	v_max_f32_e32 v7, v7, v7
	;; [unrolled: 1-line block ×3, first 2 shown]
	ds_write_b32 v6, v7 offset:240
.LBB265_500:
	s_or_b64 exec, exec, s[2:3]
	v_cmp_gt_u32_e64 s[2:3], 2, v0
	s_waitcnt lgkmcnt(0)
	v_mov_b32_e32 v9, 0xff7fffff
	v_lshlrev_b32_e32 v7, 2, v0
	s_barrier
	s_and_saveexec_b64 s[4:5], s[2:3]
	s_cbranch_execz .LBB265_502
; %bb.501:
	ds_read_b32 v9, v7 offset:240
.LBB265_502:
	s_or_b64 exec, exec, s[4:5]
	v_xor_b32_e32 v10, 1, v1
	v_cmp_lt_i32_e64 s[4:5], v10, v8
	s_nop 1
	v_cndmask_b32_e64 v8, v1, v10, s[4:5]
	v_lshlrev_b32_e32 v40, 2, v8
	s_waitcnt lgkmcnt(0)
	ds_bpermute_b32 v8, v40, v9
	v_max_f32_e32 v9, v9, v9
	v_lshlrev_b32_e32 v1, 2, v1
	v_accvgpr_read_b32 v10, a8
	s_waitcnt lgkmcnt(0)
	v_max_f32_e32 v8, v8, v8
	v_max_f32_e32 v9, v9, v8
	v_and_b32_e32 v8, 0x100, v1
	ds_bpermute_b32 v9, v8, v9
	v_accvgpr_read_b32 v1, a11
	v_lshlrev_b32_e32 v1, 5, v1
	v_min_i32_e32 v1, v1, v10
	v_accvgpr_read_b32 v10, a2
	v_cmp_lt_i32_e64 s[4:5], v10, v1
	v_mov_b32_e32 v10, 0
	s_and_saveexec_b64 s[8:9], s[4:5]
	s_cbranch_execz .LBB265_506
; %bb.503:
	s_ashr_i32 s19, s18, 31
	s_lshl_b64 s[6:7], s[18:19], 2
	s_getpc_b64 s[10:11]
	s_add_u32 s10, s10, llvm.amdgcn.dynlds.offset.table@rel32@lo+4
	s_addc_u32 s11, s11, llvm.amdgcn.dynlds.offset.table@rel32@hi+12
	s_add_u32 s6, s6, s10
	s_addc_u32 s7, s7, s11
	s_load_dword s6, s[6:7], 0x0
	v_accvgpr_read_b32 v13, a2
	s_mov_b64 s[10:11], 0
	v_mov_b32_e32 v10, 0
	s_waitcnt lgkmcnt(0)
	v_lshl_add_u32 v11, v13, 2, s6
.LBB265_504:                            ; =>This Inner Loop Header: Depth=1
	ds_read_b32 v12, v11
	v_add_u32_e32 v13, 0x80, v13
	v_cmp_ge_i32_e64 s[6:7], v13, v1
	s_or_b64 s[10:11], s[6:7], s[10:11]
	s_waitcnt lgkmcnt(0)
	v_sub_f32_e32 v12, v12, v9
	v_mul_f32_e32 v12, 0x3fb8aa3b, v12
	v_exp_f32_e32 v12, v12
	ds_write_b32 v11, v12
	v_add_f32_e32 v10, v10, v12
	v_add_u32_e32 v11, 0x200, v11
	s_andn2_b64 exec, exec, s[10:11]
	s_cbranch_execnz .LBB265_504
; %bb.505:
	s_or_b64 exec, exec, s[10:11]
.LBB265_506:
	s_or_b64 exec, exec, s[8:9]
	ds_bpermute_b32 v2, v2, v10
	s_waitcnt lgkmcnt(0)
	v_add_f32_e32 v2, v10, v2
	ds_bpermute_b32 v3, v3, v2
	s_waitcnt lgkmcnt(0)
	v_add_f32_e32 v2, v2, v3
	;; [unrolled: 3-line block ×6, first 2 shown]
	s_and_saveexec_b64 s[6:7], vcc
	s_cbranch_execz .LBB265_508
; %bb.507:
	ds_write_b32 v6, v2 offset:248
.LBB265_508:
	s_or_b64 exec, exec, s[6:7]
	s_waitcnt lgkmcnt(0)
	s_barrier
	s_and_saveexec_b64 s[6:7], s[2:3]
	s_cbranch_execz .LBB265_510
; %bb.509:
	ds_read_b32 v2, v7 offset:248
.LBB265_510:
	s_or_b64 exec, exec, s[6:7]
	s_waitcnt lgkmcnt(0)
	ds_bpermute_b32 v3, v40, v2
	s_waitcnt lgkmcnt(0)
	v_add_f32_e32 v2, v2, v3
	ds_bpermute_b32 v2, v8, v2
	s_and_saveexec_b64 s[2:3], s[4:5]
	s_cbranch_execz .LBB265_523
; %bb.511:
	s_waitcnt lgkmcnt(0)
	v_add_f32_e32 v2, 0x358637bd, v2
	v_div_scale_f32 v3, s[4:5], v2, v2, 1.0
	v_rcp_f32_e32 v4, v3
	v_div_scale_f32 v5, vcc, 1.0, v2, 1.0
	s_movk_i32 s4, 0x7f
	v_fma_f32 v6, -v3, v4, 1.0
	v_fmac_f32_e32 v4, v6, v4
	v_mul_f32_e32 v6, v5, v4
	v_fma_f32 v7, -v3, v6, v5
	v_fmac_f32_e32 v6, v7, v4
	v_fma_f32 v3, -v3, v6, v5
	v_div_fmas_f32 v3, v3, v4, v6
	v_div_fixup_f32 v4, v3, v2, 1.0
	v_accvgpr_read_b32 v2, a2
	v_xad_u32 v3, v2, -1, v1
	v_cmp_lt_u32_e32 vcc, s4, v3
	s_mov_b64 s[6:7], -1
	s_and_saveexec_b64 s[4:5], vcc
	s_cbranch_execz .LBB265_520
; %bb.512:
	v_lshrrev_b32_e32 v2, 7, v3
	v_add_u32_e32 v6, -1, v2
	v_lshrrev_b32_e32 v3, 1, v6
	v_mov_b32_e32 v5, v4
	v_add_u32_e32 v3, 1, v3
	v_cmp_lt_u32_e32 vcc, 13, v6
	v_mov_b32_e32 v8, 0
	s_and_saveexec_b64 s[6:7], vcc
	s_cbranch_execz .LBB265_516
; %bb.513:
	s_ashr_i32 s19, s18, 31
	s_lshl_b64 s[8:9], s[18:19], 2
	s_getpc_b64 s[10:11]
	s_add_u32 s10, s10, llvm.amdgcn.dynlds.offset.table@rel32@lo+4
	s_addc_u32 s11, s11, llvm.amdgcn.dynlds.offset.table@rel32@hi+12
	s_add_u32 s8, s8, s10
	s_addc_u32 s9, s9, s11
	s_load_dword s8, s[8:9], 0x0
	v_accvgpr_read_b32 v7, a2
	v_and_b32_e32 v6, -8, v3
	s_mov_b32 s10, 0
	s_waitcnt lgkmcnt(0)
	v_lshl_add_u32 v7, v7, 2, s8
	s_mov_b64 s[8:9], 0
.LBB265_514:                            ; =>This Inner Loop Header: Depth=1
	ds_read2st64_b32 v[8:9], v7 offset1:2
	ds_read2st64_b32 v[10:11], v7 offset0:4 offset1:6
	ds_read2st64_b32 v[14:15], v7 offset0:8 offset1:10
	;; [unrolled: 1-line block ×3, first 2 shown]
	v_add_u32_e32 v6, -8, v6
	s_waitcnt lgkmcnt(3)
	v_pk_mul_f32 v[8:9], v[4:5], v[8:9]
	s_waitcnt lgkmcnt(2)
	v_pk_mul_f32 v[10:11], v[4:5], v[10:11]
	ds_write2st64_b32 v7, v8, v9 offset1:2
	ds_write2st64_b32 v7, v10, v11 offset0:4 offset1:6
	ds_read2st64_b32 v[10:11], v7 offset0:16 offset1:18
	s_waitcnt lgkmcnt(4)
	v_pk_mul_f32 v[8:9], v[4:5], v[14:15]
	ds_write2st64_b32 v7, v8, v9 offset0:8 offset1:10
	s_waitcnt lgkmcnt(4)
	v_pk_mul_f32 v[8:9], v[4:5], v[16:17]
	ds_write2st64_b32 v7, v8, v9 offset0:12 offset1:14
	ds_read2st64_b32 v[8:9], v7 offset0:20 offset1:22
	s_waitcnt lgkmcnt(3)
	v_pk_mul_f32 v[10:11], v[4:5], v[10:11]
	ds_read2st64_b32 v[14:15], v7 offset0:24 offset1:26
	ds_write2st64_b32 v7, v10, v11 offset0:16 offset1:18
	ds_read2st64_b32 v[10:11], v7 offset0:28 offset1:30
	s_waitcnt lgkmcnt(3)
	v_pk_mul_f32 v[8:9], v[4:5], v[8:9]
	ds_write2st64_b32 v7, v8, v9 offset0:20 offset1:22
	s_waitcnt lgkmcnt(3)
	v_pk_mul_f32 v[8:9], v[4:5], v[14:15]
	ds_write2st64_b32 v7, v8, v9 offset0:24 offset1:26
	s_waitcnt lgkmcnt(2)
	v_pk_mul_f32 v[8:9], v[4:5], v[10:11]
	s_add_i32 s10, s10, 16
	v_cmp_eq_u32_e32 vcc, 0, v6
	ds_write2st64_b32 v7, v8, v9 offset0:28 offset1:30
	v_add_u32_e32 v7, 0x2000, v7
	s_or_b64 s[8:9], vcc, s[8:9]
	v_mov_b32_e32 v8, s10
	s_andn2_b64 exec, exec, s[8:9]
	s_cbranch_execnz .LBB265_514
; %bb.515:
	s_or_b64 exec, exec, s[8:9]
.LBB265_516:
	s_or_b64 exec, exec, s[6:7]
	v_and_b32_e32 v3, 7, v3
	v_cmp_ne_u32_e32 vcc, 0, v3
	s_and_saveexec_b64 s[6:7], vcc
	s_cbranch_execz .LBB265_519
; %bb.517:
	s_ashr_i32 s19, s18, 31
	s_lshl_b64 s[8:9], s[18:19], 2
	s_getpc_b64 s[10:11]
	s_add_u32 s10, s10, llvm.amdgcn.dynlds.offset.table@rel32@lo+4
	s_addc_u32 s11, s11, llvm.amdgcn.dynlds.offset.table@rel32@hi+12
	s_add_u32 s8, s8, s10
	s_addc_u32 s9, s9, s11
	s_load_dword s8, s[8:9], 0x0
	v_accvgpr_read_b32 v7, a2
	v_lshlrev_b32_e32 v6, 9, v8
	v_lshlrev_b32_e32 v7, 2, v7
	s_waitcnt lgkmcnt(0)
	v_add3_u32 v6, v6, v7, s8
	s_mov_b64 s[8:9], 0
.LBB265_518:                            ; =>This Inner Loop Header: Depth=1
	ds_read2st64_b32 v[8:9], v6 offset1:2
	v_add_u32_e32 v3, -1, v3
	v_cmp_eq_u32_e32 vcc, 0, v3
	s_or_b64 s[8:9], vcc, s[8:9]
	s_waitcnt lgkmcnt(0)
	v_pk_mul_f32 v[8:9], v[4:5], v[8:9]
	ds_write2st64_b32 v6, v8, v9 offset1:2
	v_add_u32_e32 v6, 0x400, v6
	s_andn2_b64 exec, exec, s[8:9]
	s_cbranch_execnz .LBB265_518
.LBB265_519:
	s_or_b64 exec, exec, s[6:7]
	v_add_u32_e32 v3, 1, v2
	v_and_b32_e32 v5, 0x3fffffe, v3
	v_accvgpr_read_b32 v2, a2
	v_cmp_ne_u32_e32 vcc, v3, v5
	v_lshl_add_u32 v2, v5, 7, v2
	s_orn2_b64 s[6:7], vcc, exec
.LBB265_520:
	s_or_b64 exec, exec, s[4:5]
	s_and_b64 exec, exec, s[6:7]
	s_cbranch_execz .LBB265_523
; %bb.521:
	s_ashr_i32 s19, s18, 31
	s_lshl_b64 s[4:5], s[18:19], 2
	s_getpc_b64 s[6:7]
	s_add_u32 s6, s6, llvm.amdgcn.dynlds.offset.table@rel32@lo+4
	s_addc_u32 s7, s7, llvm.amdgcn.dynlds.offset.table@rel32@hi+12
	s_add_u32 s4, s4, s6
	s_addc_u32 s5, s5, s7
	s_load_dword s4, s[4:5], 0x0
	s_waitcnt lgkmcnt(0)
	v_lshl_add_u32 v3, v2, 2, s4
	s_mov_b64 s[4:5], 0
.LBB265_522:                            ; =>This Inner Loop Header: Depth=1
	ds_read_b32 v5, v3
	v_add_u32_e32 v2, 0x80, v2
	v_cmp_ge_i32_e32 vcc, v2, v1
	s_or_b64 s[4:5], vcc, s[4:5]
	s_waitcnt lgkmcnt(0)
	v_mul_f32_e32 v5, v4, v5
	ds_write_b32 v3, v5
	v_add_u32_e32 v3, 0x200, v3
	s_andn2_b64 exec, exec, s[4:5]
	s_cbranch_execnz .LBB265_522
.LBB265_523:
	s_or_b64 exec, exec, s[2:3]
	v_lshrrev_b32_e32 v52, 2, v0
	v_accvgpr_read_b32 v0, a2
	s_mov_b32 s4, 0
	v_mov_b32_e32 v35, 0
	v_and_b32_e32 v20, 3, v0
	v_mov_b32_e32 v34, 0
	v_mov_b32_e32 v33, 0
	;; [unrolled: 1-line block ×7, first 2 shown]
	s_waitcnt lgkmcnt(0)
	s_barrier
	s_and_saveexec_b64 s[12:13], s[0:1]
	s_cbranch_execz .LBB265_1059
; %bb.524:
	v_accvgpr_read_b32 v0, a20
	v_and_b32_e32 v54, 24, v0
	v_accvgpr_read_b32 v0, a18
	v_accvgpr_read_b32 v2, a26
	;; [unrolled: 1-line block ×4, first 2 shown]
	v_lshl_add_u64 v[4:5], v[0:1], 0, v[2:3]
	v_accvgpr_read_b32 v0, a11
	v_add_u32_e32 v44, -1, v0
	v_accvgpr_read_b32 v0, a15
	v_accvgpr_read_b32 v1, a24
	v_max_i32_e32 v45, v0, v1
	v_cvt_f32_u32_e32 v0, v45
	v_or_b32_e32 v1, 0x70, v52
	s_movk_i32 s0, 0x78
	v_cmp_gt_u32_e32 vcc, s0, v1
	v_rcp_iflag_f32_e32 v0, v0
	v_lshl_or_b32 v14, v1, 5, v54
	v_sub_u32_e32 v1, 0, v45
	s_ashr_i32 s19, s18, 31
	v_mul_f32_e32 v0, 0x4f7ffffe, v0
	v_cvt_u32_f32_e32 v0, v0
	s_lshl_b64 s[0:1], s[18:19], 2
	v_mov_b32_e32 v9, 0
	s_getpc_b64 s[2:3]
	s_add_u32 s2, s2, llvm.amdgcn.dynlds.offset.table@rel32@lo+4
	s_addc_u32 s3, s3, llvm.amdgcn.dynlds.offset.table@rel32@hi+12
	v_mul_lo_u32 v1, v1, v0
	v_mul_hi_u32 v1, v0, v1
	v_add_u32_e32 v16, v0, v1
	v_lshlrev_b32_e32 v0, 5, v20
	v_accvgpr_read_b32 v1, a12
	v_lshl_or_b32 v46, v1, 7, v0
	v_accvgpr_read_b32 v0, a21
	v_and_b32_e32 v8, 60, v0
	v_accvgpr_read_b32 v0, a22
	v_accvgpr_read_b32 v1, a23
	;; [unrolled: 1-line block ×3, first 2 shown]
	s_mov_b32 s10, s4
	s_mov_b32 s11, s4
	s_add_u32 s22, s0, s2
	v_lshl_add_u64 v[0:1], v[0:1], 2, v[8:9]
	v_accvgpr_read_b32 v11, a17
	s_mov_b32 s5, s4
	s_mov_b32 s6, s4
	;; [unrolled: 1-line block ×5, first 2 shown]
	v_mov_b64_e32 v[34:35], s[10:11]
	v_lshl_or_b32 v6, v52, 5, v54
	v_mov_b32_e32 v7, v9
	v_mov_b32_e32 v15, v9
	v_accvgpr_read_b32 v3, a8
	s_addc_u32 s23, s1, s3
	v_accvgpr_write_b32 a15, v20
	v_lshl_add_u64 v[10:11], v[10:11], 0, v[0:1]
	s_mov_b64 s[24:25], 0
	v_mov_b64_e32 v[32:33], s[8:9]
	v_mov_b64_e32 v[30:31], s[6:7]
	;; [unrolled: 1-line block ×3, first 2 shown]
	s_movk_i32 s19, 0x7f
	s_movk_i32 s28, 0x80
	s_mov_b32 s29, 0x8000
	s_movk_i32 s30, 0x380
	s_mov_b32 s31, 0x3020706
	s_mov_b32 s34, 0x1000504
	;; [unrolled: 1-line block ×3, first 2 shown]
	v_mov_b32_e32 v47, 0x1c00
	v_accvgpr_read_b32 v2, a14
	s_branch .LBB265_528
.LBB265_525:                            ;   in Loop: Header=BB265_528 Depth=1
	s_or_b64 exec, exec, s[2:3]
	;;#ASMSTART
	v_pk_mul_f16 v2, v60, v13;

	;;#ASMEND
	;;#ASMSTART
	v_pk_mul_f16 v8, v59, v8;

	;;#ASMEND
	;; [unrolled: 4-line block ×4, first 2 shown]
	s_nop 0
	;;#ASMSTART
	v_pk_add_f16 v2, v2, v8;

	;;#ASMEND
	s_nop 0
	;;#ASMSTART
	v_pk_add_f16 v0, v2, v0;

	;;#ASMEND
	s_nop 0
	;;#ASMSTART
	v_pk_add_f16 v0, v0, v1;

	;;#ASMEND
	s_nop 0
	v_lshrrev_b32_e32 v1, 16, v0
	v_and_b32_e32 v0, 0xffff, v0
	;;#ASMSTART
	v_cvt_f32_f16 v0, v0;
	;;#ASMEND
	;;#ASMSTART
	v_cvt_f32_f16 v1, v1;
	;;#ASMEND
	s_nop 0
	v_add_f32_e32 v0, v0, v1
	v_add_f32_e32 v35, v35, v0
.LBB265_526:                            ;   in Loop: Header=BB265_528 Depth=1
	s_or_b64 exec, exec, s[6:7]
.LBB265_527:                            ;   in Loop: Header=BB265_528 Depth=1
	s_or_b64 exec, exec, s[4:5]
	v_accvgpr_read_b32 v1, a12
	v_add_u32_e32 v1, 2, v1
	v_accvgpr_read_b32 v0, a11
	v_accvgpr_read_b32 v2, a14
	v_cmp_ge_i32_e64 s[0:1], v1, v0
	v_add_u32_e32 v2, 64, v2
	v_add_u32_e32 v46, 0x100, v46
	v_accvgpr_write_b32 a12, v1
	s_or_b64 s[24:25], s[0:1], s[24:25]
	v_lshl_add_u64 v[10:11], v[10:11], 0, 8
	s_andn2_b64 exec, exec, s[24:25]
	s_cbranch_execz .LBB265_1058
.LBB265_528:                            ; =>This Inner Loop Header: Depth=1
	v_accvgpr_read_b32 v0, a7
	v_mul_hi_u32 v0, v2, v0
	v_accvgpr_read_b32 v8, a3
	v_mul_lo_u32 v1, v0, v8
	v_sub_u32_e32 v1, v2, v1
	v_accvgpr_write_b32 a14, v2
	v_add_u32_e32 v2, 1, v0
	v_cmp_ge_u32_e64 s[0:1], v1, v8
	s_nop 1
	v_cndmask_b32_e64 v0, v0, v2, s[0:1]
	v_sub_u32_e32 v2, v1, v8
	v_cndmask_b32_e64 v1, v1, v2, s[0:1]
	v_add_u32_e32 v2, 1, v0
	v_cmp_ge_u32_e64 s[0:1], v1, v8
	v_accvgpr_read_b32 v1, a9
	s_nop 0
	v_cndmask_b32_e64 v0, v0, v2, s[0:1]
	v_xor_b32_e32 v0, v0, v1
	v_sub_u32_e32 v0, v0, v1
	v_accvgpr_read_b32 v2, a10
	v_add_u32_e32 v1, v0, v2
	v_sub_u32_e32 v8, 0, v1
	v_ashrrev_i32_e32 v2, 31, v1
	v_max_i32_e32 v1, v1, v8
	v_mul_hi_u32 v8, v1, v16
	v_mul_lo_u32 v8, v8, v45
	v_sub_u32_e32 v1, v1, v8
	v_sub_u32_e32 v8, v1, v45
	v_cmp_ge_u32_e64 s[0:1], v1, v45
	s_nop 1
	v_cndmask_b32_e64 v1, v1, v8, s[0:1]
	v_sub_u32_e32 v8, v1, v45
	v_cmp_ge_u32_e64 s[0:1], v1, v45
	s_nop 1
	v_cndmask_b32_e64 v1, v1, v8, s[0:1]
	v_xor_b32_e32 v1, v1, v2
	v_sub_u32_e32 v1, v1, v2
	v_cmp_eq_u32_e64 s[0:1], 0, v1
	v_accvgpr_read_b32 v1, a13
	v_cmp_gt_i32_e64 s[2:3], v0, v1
	s_or_b64 s[0:1], s[0:1], s[2:3]
	s_and_saveexec_b64 s[4:5], s[0:1]
	s_cbranch_execz .LBB265_527
; %bb.529:                              ;   in Loop: Header=BB265_528 Depth=1
	s_load_dword s0, s[22:23], 0x0
	v_accvgpr_read_b32 v12, a6
	v_accvgpr_read_b32 v39, a5
	;; [unrolled: 1-line block ×3, first 2 shown]
                                        ; implicit-def: $sgpr8
	s_waitcnt lgkmcnt(0)
	v_add_u32_e32 v0, s0, v46
	ds_read2_b64 v[20:23], v0 offset1:1
	ds_read2_b64 v[24:27], v0 offset0:2 offset1:3
	s_waitcnt lgkmcnt(1)
	;;#ASMSTART
	v_cvt_f16_f32 v0, v20;

	;;#ASMEND
	;;#ASMSTART
	v_cvt_f16_f32 v1, v21;

	;;#ASMEND
	;; [unrolled: 4-line block ×4, first 2 shown]
	s_waitcnt lgkmcnt(0)
	;;#ASMSTART
	v_cvt_f16_f32 v18, v24;

	;;#ASMEND
	;;#ASMSTART
	v_cvt_f16_f32 v22, v25;

	;;#ASMEND
	;; [unrolled: 4-line block ×4, first 2 shown]
	flat_load_dword v8, v[10:11]
	flat_load_dword v26, v[38:39]
	s_waitcnt vmcnt(0) lgkmcnt(0)
	v_mad_i64_i32 v[20:21], s[0:1], v8, v12, v[4:5]
	v_lshl_add_u64 v[24:25], v[20:21], 0, v[6:7]
	flat_load_dwordx2 v[36:37], v[24:25]
	s_mov_b64 s[0:1], 0
	s_waitcnt vmcnt(0) lgkmcnt(0)
	v_cmp_gt_i16_sdwa s[2:3], v36, s19 src0_sel:BYTE_0 src1_sel:DWORD
	s_and_saveexec_b64 s[6:7], s[2:3]
	s_xor_b64 s[2:3], exec, s[6:7]
	s_cbranch_execnz .LBB265_802
; %bb.530:                              ;   in Loop: Header=BB265_528 Depth=1
	s_or_saveexec_b64 s[2:3], s[2:3]
	v_mov_b32_e32 v38, s8
	s_xor_b64 exec, exec, s[2:3]
	s_cbranch_execnz .LBB265_805
.LBB265_531:                            ;   in Loop: Header=BB265_528 Depth=1
	s_or_b64 exec, exec, s[2:3]
	s_and_saveexec_b64 s[2:3], s[0:1]
	s_cbranch_execz .LBB265_533
.LBB265_532:                            ;   in Loop: Header=BB265_528 Depth=1
	v_and_b32_e32 v8, 7, v36
	v_ffbh_u32_e32 v8, v8
	v_bfe_u32 v12, v36, 3, 4
	v_min_u32_e32 v8, 32, v8
	v_subrev_u32_e32 v17, 28, v8
	v_sub_u32_e32 v8, 29, v8
	v_cmp_eq_u32_e64 s[0:1], 0, v12
	s_nop 1
	v_cndmask_b32_e64 v8, v12, v8, s[0:1]
	v_cndmask_b32_e64 v12, 0, v17, s[0:1]
	v_lshlrev_b64 v[38:39], v12, v[36:37]
	v_lshlrev_b32_e32 v17, 8, v36
	v_lshl_add_u32 v8, v8, 10, v47
	v_lshlrev_b32_e32 v12, 7, v38
	v_and_or_b32 v8, v17, s29, v8
	v_and_or_b32 v8, v12, s30, v8
	v_cvt_f32_f16_e32 v38, v8
.LBB265_533:                            ;   in Loop: Header=BB265_528 Depth=1
	s_or_b64 exec, exec, s[2:3]
	v_lshrrev_b16_e32 v8, 8, v36
	v_cmp_lt_i16_e64 s[0:1], s19, v8
	s_mov_b64 s[2:3], 0
                                        ; implicit-def: $sgpr10
	s_and_saveexec_b64 s[6:7], s[0:1]
	s_xor_b64 s[6:7], exec, s[6:7]
	s_cbranch_execnz .LBB265_806
; %bb.534:                              ;   in Loop: Header=BB265_528 Depth=1
	s_or_saveexec_b64 s[6:7], s[6:7]
	v_mov_b32_e32 v48, s10
	s_xor_b64 exec, exec, s[6:7]
	s_cbranch_execnz .LBB265_809
.LBB265_535:                            ;   in Loop: Header=BB265_528 Depth=1
	s_or_b64 exec, exec, s[6:7]
	s_and_saveexec_b64 s[6:7], s[2:3]
	s_cbranch_execz .LBB265_537
.LBB265_536:                            ;   in Loop: Header=BB265_528 Depth=1
	v_and_b32_e32 v12, 7, v8
	v_ffbh_u32_e32 v19, v12
	v_bfe_u32 v17, v8, 3, 4
	v_min_u32_e32 v19, 32, v19
	v_subrev_u32_e32 v39, 28, v19
	v_sub_u32_e32 v19, 29, v19
	v_cmp_eq_u32_e64 s[0:1], 0, v17
	v_lshlrev_b64 v[48:49], v39, v[8:9]
	v_and_b32_e32 v39, 7, v48
	v_cndmask_b32_e64 v17, v17, v19, s[0:1]
	v_lshlrev_b32_e32 v8, 8, v8
	v_lshl_add_u32 v17, v17, 10, v47
	v_cndmask_b32_e64 v12, v12, v39, s[0:1]
	v_and_or_b32 v8, v8, s29, v17
	v_lshl_or_b32 v8, v12, 7, v8
	v_cvt_f32_f16_e32 v48, v8
.LBB265_537:                            ;   in Loop: Header=BB265_528 Depth=1
	s_or_b64 exec, exec, s[6:7]
	v_lshrrev_b32_e32 v8, 16, v36
	v_cmp_gt_i16_sdwa s[2:3], v8, s19 src0_sel:BYTE_0 src1_sel:DWORD
	s_mov_b64 s[0:1], 0
                                        ; implicit-def: $sgpr8
	s_and_saveexec_b64 s[6:7], s[2:3]
	s_xor_b64 s[2:3], exec, s[6:7]
	s_cbranch_execnz .LBB265_810
; %bb.538:                              ;   in Loop: Header=BB265_528 Depth=1
	s_or_saveexec_b64 s[2:3], s[2:3]
	v_mov_b32_e32 v39, s8
	s_xor_b64 exec, exec, s[2:3]
	s_cbranch_execnz .LBB265_813
.LBB265_539:                            ;   in Loop: Header=BB265_528 Depth=1
	s_or_b64 exec, exec, s[2:3]
	s_and_saveexec_b64 s[2:3], s[0:1]
	s_cbranch_execz .LBB265_541
.LBB265_540:                            ;   in Loop: Header=BB265_528 Depth=1
	v_bfe_u32 v12, v36, 16, 3
	v_ffbh_u32_e32 v19, v12
	v_bfe_u32 v17, v36, 19, 4
	v_min_u32_e32 v19, 32, v19
	v_subrev_u32_e32 v39, 28, v19
	v_sub_u32_e32 v19, 29, v19
	v_cmp_eq_u32_e64 s[0:1], 0, v17
	v_lshlrev_b64 v[50:51], v39, v[8:9]
	v_and_b32_e32 v39, 7, v50
	v_cndmask_b32_e64 v17, v17, v19, s[0:1]
	v_lshlrev_b32_e32 v8, 8, v8
	v_lshl_add_u32 v17, v17, 10, v47
	v_cndmask_b32_e64 v12, v12, v39, s[0:1]
	v_and_or_b32 v8, v8, s29, v17
	v_lshl_or_b32 v8, v12, 7, v8
	v_cvt_f32_f16_e32 v39, v8
.LBB265_541:                            ;   in Loop: Header=BB265_528 Depth=1
	s_or_b64 exec, exec, s[2:3]
	v_lshrrev_b32_e32 v8, 24, v36
	v_cmp_lt_i16_e64 s[0:1], s19, v8
	s_mov_b64 s[2:3], 0
                                        ; implicit-def: $sgpr10
	s_and_saveexec_b64 s[6:7], s[0:1]
	s_xor_b64 s[6:7], exec, s[6:7]
	s_cbranch_execnz .LBB265_814
; %bb.542:                              ;   in Loop: Header=BB265_528 Depth=1
	s_or_saveexec_b64 s[6:7], s[6:7]
	v_mov_b32_e32 v49, s10
	s_xor_b64 exec, exec, s[6:7]
	s_cbranch_execnz .LBB265_817
.LBB265_543:                            ;   in Loop: Header=BB265_528 Depth=1
	s_or_b64 exec, exec, s[6:7]
	s_and_saveexec_b64 s[6:7], s[2:3]
	s_cbranch_execz .LBB265_545
.LBB265_544:                            ;   in Loop: Header=BB265_528 Depth=1
	v_bfe_u32 v12, v36, 24, 3
	v_ffbh_u32_e32 v19, v12
	v_bfe_u32 v17, v36, 27, 4
	v_min_u32_e32 v19, 32, v19
	v_subrev_u32_e32 v36, 28, v19
	v_sub_u32_e32 v19, 29, v19
	v_cmp_eq_u32_e64 s[0:1], 0, v17
	v_lshlrev_b64 v[50:51], v36, v[8:9]
	v_and_b32_e32 v36, 7, v50
	v_cndmask_b32_e64 v17, v17, v19, s[0:1]
	v_lshlrev_b32_e32 v8, 8, v8
	v_lshl_add_u32 v17, v17, 10, v47
	v_cndmask_b32_e64 v12, v12, v36, s[0:1]
	v_and_or_b32 v8, v8, s29, v17
	v_lshl_or_b32 v8, v12, 7, v8
	v_cvt_f32_f16_e32 v49, v8
.LBB265_545:                            ;   in Loop: Header=BB265_528 Depth=1
	s_or_b64 exec, exec, s[6:7]
	v_cmp_gt_i16_sdwa s[2:3], v37, s19 src0_sel:BYTE_0 src1_sel:DWORD
	s_mov_b64 s[0:1], 0
                                        ; implicit-def: $sgpr8
	s_and_saveexec_b64 s[6:7], s[2:3]
	s_xor_b64 s[2:3], exec, s[6:7]
	s_cbranch_execnz .LBB265_818
; %bb.546:                              ;   in Loop: Header=BB265_528 Depth=1
	s_or_saveexec_b64 s[2:3], s[2:3]
	v_mov_b32_e32 v17, s8
	s_xor_b64 exec, exec, s[2:3]
	s_cbranch_execnz .LBB265_821
.LBB265_547:                            ;   in Loop: Header=BB265_528 Depth=1
	s_or_b64 exec, exec, s[2:3]
	v_mov_b32_e32 v8, v37
	s_and_saveexec_b64 s[2:3], s[0:1]
	s_cbranch_execz .LBB265_549
.LBB265_548:                            ;   in Loop: Header=BB265_528 Depth=1
	v_and_b32_e32 v12, 7, v37
	v_ffbh_u32_e32 v12, v12
	v_bfe_u32 v17, v37, 3, 4
	v_min_u32_e32 v12, 32, v12
	v_subrev_u32_e32 v19, 28, v12
	v_sub_u32_e32 v12, 29, v12
	v_cmp_eq_u32_e64 s[0:1], 0, v17
	s_nop 1
	v_cndmask_b32_e64 v12, v17, v12, s[0:1]
	v_cndmask_b32_e64 v17, 0, v19, s[0:1]
	v_lshlrev_b64 v[50:51], v17, v[8:9]
	v_lshlrev_b32_e32 v19, 8, v37
	v_lshl_add_u32 v12, v12, 10, v47
	v_lshlrev_b32_e32 v17, 7, v50
	v_and_or_b32 v12, v19, s29, v12
	v_and_or_b32 v12, v17, s30, v12
	v_cvt_f32_f16_e32 v17, v12
.LBB265_549:                            ;   in Loop: Header=BB265_528 Depth=1
	s_or_b64 exec, exec, s[2:3]
	v_lshrrev_b16_e32 v8, 8, v8
	v_cmp_lt_i16_e64 s[0:1], s19, v8
	s_mov_b64 s[2:3], 0
                                        ; implicit-def: $sgpr10
	s_and_saveexec_b64 s[6:7], s[0:1]
	s_xor_b64 s[6:7], exec, s[6:7]
	s_cbranch_execnz .LBB265_822
; %bb.550:                              ;   in Loop: Header=BB265_528 Depth=1
	s_or_saveexec_b64 s[6:7], s[6:7]
	v_mov_b32_e32 v36, s10
	s_xor_b64 exec, exec, s[6:7]
	s_cbranch_execnz .LBB265_825
.LBB265_551:                            ;   in Loop: Header=BB265_528 Depth=1
	s_or_b64 exec, exec, s[6:7]
	s_and_saveexec_b64 s[6:7], s[2:3]
	s_cbranch_execz .LBB265_553
.LBB265_552:                            ;   in Loop: Header=BB265_528 Depth=1
	v_and_b32_e32 v12, 7, v8
	v_ffbh_u32_e32 v36, v12
	v_bfe_u32 v19, v8, 3, 4
	v_min_u32_e32 v36, 32, v36
	v_subrev_u32_e32 v50, 28, v36
	v_sub_u32_e32 v36, 29, v36
	v_cmp_eq_u32_e64 s[0:1], 0, v19
	v_lshlrev_b64 v[50:51], v50, v[8:9]
	v_and_b32_e32 v50, 7, v50
	v_cndmask_b32_e64 v19, v19, v36, s[0:1]
	v_lshlrev_b32_e32 v8, 8, v8
	v_lshl_add_u32 v19, v19, 10, v47
	v_cndmask_b32_e64 v12, v12, v50, s[0:1]
	v_and_or_b32 v8, v8, s29, v19
	v_lshl_or_b32 v8, v12, 7, v8
	v_cvt_f32_f16_e32 v36, v8
.LBB265_553:                            ;   in Loop: Header=BB265_528 Depth=1
	s_or_b64 exec, exec, s[6:7]
	v_lshrrev_b32_e32 v8, 16, v37
	v_cmp_gt_i16_sdwa s[2:3], v8, s19 src0_sel:BYTE_0 src1_sel:DWORD
	s_mov_b64 s[0:1], 0
                                        ; implicit-def: $sgpr8
	s_and_saveexec_b64 s[6:7], s[2:3]
	s_xor_b64 s[2:3], exec, s[6:7]
	s_cbranch_execnz .LBB265_826
; %bb.554:                              ;   in Loop: Header=BB265_528 Depth=1
	s_or_saveexec_b64 s[2:3], s[2:3]
	v_mov_b32_e32 v50, s8
	s_xor_b64 exec, exec, s[2:3]
	s_cbranch_execnz .LBB265_829
.LBB265_555:                            ;   in Loop: Header=BB265_528 Depth=1
	s_or_b64 exec, exec, s[2:3]
	s_and_saveexec_b64 s[2:3], s[0:1]
	s_cbranch_execz .LBB265_557
.LBB265_556:                            ;   in Loop: Header=BB265_528 Depth=1
	v_bfe_u32 v12, v37, 16, 3
	v_ffbh_u32_e32 v50, v12
	v_min_u32_e32 v53, 32, v50
	v_subrev_u32_e32 v50, 28, v53
	v_bfe_u32 v19, v37, 19, 4
	v_lshlrev_b64 v[50:51], v50, v[8:9]
	v_sub_u32_e32 v51, 29, v53
	v_cmp_eq_u32_e64 s[0:1], 0, v19
	v_and_b32_e32 v50, 7, v50
	v_lshlrev_b32_e32 v8, 8, v8
	v_cndmask_b32_e64 v19, v19, v51, s[0:1]
	v_lshl_add_u32 v19, v19, 10, v47
	v_cndmask_b32_e64 v12, v12, v50, s[0:1]
	v_and_or_b32 v8, v8, s29, v19
	v_lshl_or_b32 v8, v12, 7, v8
	v_cvt_f32_f16_e32 v50, v8
.LBB265_557:                            ;   in Loop: Header=BB265_528 Depth=1
	s_or_b64 exec, exec, s[2:3]
	v_lshrrev_b32_e32 v8, 24, v37
	v_cmp_lt_i16_e64 s[0:1], s19, v8
	s_mov_b64 s[2:3], 0
                                        ; implicit-def: $sgpr10
	s_and_saveexec_b64 s[6:7], s[0:1]
	s_xor_b64 s[6:7], exec, s[6:7]
	s_cbranch_execnz .LBB265_830
; %bb.558:                              ;   in Loop: Header=BB265_528 Depth=1
	s_or_saveexec_b64 s[6:7], s[6:7]
	v_mov_b32_e32 v51, s10
	s_xor_b64 exec, exec, s[6:7]
	s_cbranch_execnz .LBB265_833
.LBB265_559:                            ;   in Loop: Header=BB265_528 Depth=1
	s_or_b64 exec, exec, s[6:7]
	s_and_saveexec_b64 s[6:7], s[2:3]
	s_cbranch_execz .LBB265_561
.LBB265_560:                            ;   in Loop: Header=BB265_528 Depth=1
	v_bfe_u32 v12, v37, 24, 3
	v_bfe_u32 v19, v37, 27, 4
	v_ffbh_u32_e32 v37, v12
	v_min_u32_e32 v37, 32, v37
	v_subrev_u32_e32 v51, 28, v37
	v_sub_u32_e32 v37, 29, v37
	v_cmp_eq_u32_e64 s[0:1], 0, v19
	v_lshlrev_b64 v[56:57], v51, v[8:9]
	v_and_b32_e32 v51, 7, v56
	v_cndmask_b32_e64 v19, v19, v37, s[0:1]
	v_lshlrev_b32_e32 v8, 8, v8
	v_lshl_add_u32 v19, v19, 10, v47
	v_cndmask_b32_e64 v12, v12, v51, s[0:1]
	v_and_or_b32 v8, v8, s29, v19
	v_lshl_or_b32 v8, v12, 7, v8
	v_cvt_f32_f16_e32 v51, v8
.LBB265_561:                            ;   in Loop: Header=BB265_528 Depth=1
	s_or_b64 exec, exec, s[6:7]
	v_pk_mul_f32 v[48:49], v[26:27], v[48:49] op_sel_hi:[0,1]
	v_pk_mul_f32 v[38:39], v[26:27], v[38:39] op_sel_hi:[0,1]
	v_cvt_f16_f32_e32 v8, v49
	v_cvt_f16_f32_e32 v12, v48
	;; [unrolled: 1-line block ×4, first 2 shown]
	v_fma_mixlo_f16 v17, v26, v17, 0
	v_pack_b32_f16 v12, v12, v8
	v_accvgpr_read_b32 v38, a14
	v_pack_b32_f16 v19, v37, v19
	v_perm_b32 v8, v19, v12, s31
	v_perm_b32 v37, v19, v12, s34
	v_fma_mixlo_f16 v12, v26, v36, 0
	v_lshlrev_b32_e32 v12, 16, v12
	v_or_b32_sdwa v17, v12, v17 dst_sel:DWORD dst_unused:UNUSED_PAD src0_sel:DWORD src1_sel:WORD_0
	v_fma_mixlo_f16 v12, v26, v51, 0
	v_add_u32_e32 v56, v54, v38
	v_accvgpr_read_b32 v38, a12
	v_fma_mixlo_f16 v36, v26, v50, 0
	v_lshlrev_b32_e32 v12, 16, v12
	v_cmp_eq_u32_e64 s[0:1], v44, v38
	v_or_b32_sdwa v26, v12, v36 dst_sel:DWORD dst_unused:UNUSED_PAD src0_sel:DWORD src1_sel:WORD_0
	s_and_saveexec_b64 s[6:7], s[0:1]
	s_cbranch_execz .LBB265_563
; %bb.562:                              ;   in Loop: Header=BB265_528 Depth=1
	v_add_u32_e32 v12, 1, v56
	v_lshrrev_b32_e32 v19, 16, v37
	v_cmp_lt_i32_e64 s[2:3], v12, v3
	v_accvgpr_read_b32 v48, a8
	v_lshrrev_b32_e32 v38, 16, v8
	v_cndmask_b32_e64 v12, 0, v19, s[2:3]
	v_cmp_lt_i32_e64 s[2:3], v56, v48
	v_lshrrev_b32_e32 v26, 16, v26
	s_nop 0
	v_cndmask_b32_e64 v19, 0, v37, s[2:3]
	v_perm_b32 v37, v12, v19, s35
	v_or_b32_e32 v12, 3, v56
	v_or_b32_e32 v19, 2, v56
	v_cmp_lt_i32_e64 s[2:3], v12, v3
	s_nop 1
	v_cndmask_b32_e64 v12, 0, v38, s[2:3]
	v_cmp_lt_i32_e64 s[2:3], v19, v48
	v_or_b32_e32 v19, 4, v56
	v_lshrrev_b32_e32 v38, 16, v17
	v_cndmask_b32_e64 v8, 0, v8, s[2:3]
	v_perm_b32 v8, v12, v8, s35
	v_or_b32_e32 v12, 5, v56
	v_cmp_lt_i32_e64 s[2:3], v12, v3
	s_nop 1
	v_cndmask_b32_e64 v12, 0, v38, s[2:3]
	v_cmp_lt_i32_e64 s[2:3], v19, v48
	v_or_b32_e32 v19, 6, v56
	s_nop 0
	v_cndmask_b32_e64 v17, 0, v17, s[2:3]
	v_perm_b32 v17, v12, v17, s35
	v_or_b32_e32 v12, 7, v56
	v_cmp_lt_i32_e64 s[2:3], v12, v3
	s_nop 1
	v_cndmask_b32_e64 v12, 0, v26, s[2:3]
	v_cmp_lt_i32_e64 s[2:3], v19, v48
	s_nop 1
	v_cndmask_b32_e64 v19, 0, v36, s[2:3]
	v_perm_b32 v26, v12, v19, s35
.LBB265_563:                            ;   in Loop: Header=BB265_528 Depth=1
	s_or_b64 exec, exec, s[6:7]
	v_and_b32_e32 v0, 0xffff, v0
	v_lshl_or_b32 v60, v1, 16, v0
	v_and_b32_e32 v0, 0xffff, v2
	v_lshl_or_b32 v59, v13, 16, v0
	;; [unrolled: 2-line block ×4, first 2 shown]
	;;#ASMSTART
	v_pk_mul_f16 v0, v60, v37;

	;;#ASMEND
	;;#ASMSTART
	v_pk_mul_f16 v1, v59, v8;

	;;#ASMEND
	;; [unrolled: 4-line block ×4, first 2 shown]
	s_mov_b64 s[2:3], 0
	;;#ASMSTART
	v_pk_add_f16 v0, v0, v1;

	;;#ASMEND
                                        ; implicit-def: $sgpr10
	s_nop 0
	;;#ASMSTART
	v_pk_add_f16 v0, v0, v2;

	;;#ASMEND
	s_nop 0
	;;#ASMSTART
	v_pk_add_f16 v0, v0, v8;

	;;#ASMEND
	s_nop 0
	v_lshrrev_b32_e32 v1, 16, v0
	v_and_b32_e32 v0, 0xffff, v0
	;;#ASMSTART
	v_cvt_f32_f16 v61, v0;
	;;#ASMEND
	;;#ASMSTART
	v_cvt_f32_f16 v62, v1;
	;;#ASMEND
	v_accvgpr_read_b32 v0, a4
	flat_load_dwordx2 v[36:37], v[24:25] offset:512
	v_accvgpr_read_b32 v1, a5
	flat_load_dword v26, v[0:1]
	s_waitcnt vmcnt(0) lgkmcnt(0)
	v_cmp_gt_i16_sdwa s[6:7], v36, s19 src0_sel:BYTE_0 src1_sel:DWORD
	s_and_saveexec_b64 s[8:9], s[6:7]
	s_xor_b64 s[6:7], exec, s[8:9]
	s_cbranch_execnz .LBB265_834
; %bb.564:                              ;   in Loop: Header=BB265_528 Depth=1
	s_or_saveexec_b64 s[6:7], s[6:7]
	v_mov_b32_e32 v38, s10
	s_xor_b64 exec, exec, s[6:7]
	s_cbranch_execnz .LBB265_837
.LBB265_565:                            ;   in Loop: Header=BB265_528 Depth=1
	s_or_b64 exec, exec, s[6:7]
	s_and_saveexec_b64 s[6:7], s[2:3]
	s_cbranch_execz .LBB265_567
.LBB265_566:                            ;   in Loop: Header=BB265_528 Depth=1
	v_and_b32_e32 v0, 7, v36
	v_ffbh_u32_e32 v0, v0
	v_bfe_u32 v1, v36, 3, 4
	v_min_u32_e32 v0, 32, v0
	v_subrev_u32_e32 v2, 28, v0
	v_sub_u32_e32 v0, 29, v0
	v_cmp_eq_u32_e64 s[2:3], 0, v1
	s_nop 1
	v_cndmask_b32_e64 v8, v1, v0, s[2:3]
	v_cndmask_b32_e64 v0, 0, v2, s[2:3]
	v_lshlrev_b64 v[0:1], v0, v[36:37]
	v_lshlrev_b32_e32 v1, 8, v36
	v_lshl_add_u32 v2, v8, 10, v47
	v_lshlrev_b32_e32 v0, 7, v0
	v_and_or_b32 v1, v1, s29, v2
	v_and_or_b32 v0, v0, s30, v1
	v_cvt_f32_f16_e32 v38, v0
.LBB265_567:                            ;   in Loop: Header=BB265_528 Depth=1
	s_or_b64 exec, exec, s[6:7]
	v_lshrrev_b16_e32 v8, 8, v36
	v_cmp_lt_i16_e64 s[2:3], s19, v8
	s_mov_b64 s[6:7], 0
                                        ; implicit-def: $sgpr26
	s_and_saveexec_b64 s[8:9], s[2:3]
	s_xor_b64 s[8:9], exec, s[8:9]
	s_cbranch_execnz .LBB265_838
; %bb.568:                              ;   in Loop: Header=BB265_528 Depth=1
	s_or_saveexec_b64 s[8:9], s[8:9]
	v_mov_b32_e32 v48, s26
	s_xor_b64 exec, exec, s[8:9]
	s_cbranch_execnz .LBB265_841
.LBB265_569:                            ;   in Loop: Header=BB265_528 Depth=1
	s_or_b64 exec, exec, s[8:9]
	s_and_saveexec_b64 s[8:9], s[6:7]
	s_cbranch_execz .LBB265_571
.LBB265_570:                            ;   in Loop: Header=BB265_528 Depth=1
	v_and_b32_e32 v2, 7, v8
	v_ffbh_u32_e32 v0, v2
	v_min_u32_e32 v13, 32, v0
	v_subrev_u32_e32 v0, 28, v13
	v_bfe_u32 v12, v8, 3, 4
	v_lshlrev_b64 v[0:1], v0, v[8:9]
	v_sub_u32_e32 v1, 29, v13
	v_cmp_eq_u32_e64 s[2:3], 0, v12
	v_and_b32_e32 v0, 7, v0
	s_nop 0
	v_cndmask_b32_e64 v1, v12, v1, s[2:3]
	v_cndmask_b32_e64 v0, v2, v0, s[2:3]
	v_lshlrev_b32_e32 v2, 8, v8
	v_lshl_add_u32 v1, v1, 10, v47
	v_and_or_b32 v1, v2, s29, v1
	v_lshl_or_b32 v0, v0, 7, v1
	v_cvt_f32_f16_e32 v48, v0
.LBB265_571:                            ;   in Loop: Header=BB265_528 Depth=1
	s_or_b64 exec, exec, s[8:9]
	v_lshrrev_b32_e32 v8, 16, v36
	v_cmp_gt_i16_sdwa s[6:7], v8, s19 src0_sel:BYTE_0 src1_sel:DWORD
	s_mov_b64 s[2:3], 0
                                        ; implicit-def: $sgpr10
	s_and_saveexec_b64 s[8:9], s[6:7]
	s_xor_b64 s[6:7], exec, s[8:9]
	s_cbranch_execnz .LBB265_842
; %bb.572:                              ;   in Loop: Header=BB265_528 Depth=1
	s_or_saveexec_b64 s[6:7], s[6:7]
	v_mov_b32_e32 v39, s10
	s_xor_b64 exec, exec, s[6:7]
	s_cbranch_execnz .LBB265_845
.LBB265_573:                            ;   in Loop: Header=BB265_528 Depth=1
	s_or_b64 exec, exec, s[6:7]
	s_and_saveexec_b64 s[6:7], s[2:3]
	s_cbranch_execz .LBB265_575
.LBB265_574:                            ;   in Loop: Header=BB265_528 Depth=1
	v_bfe_u32 v2, v36, 16, 3
	v_ffbh_u32_e32 v0, v2
	v_min_u32_e32 v13, 32, v0
	v_subrev_u32_e32 v0, 28, v13
	v_bfe_u32 v12, v36, 19, 4
	v_lshlrev_b64 v[0:1], v0, v[8:9]
	v_sub_u32_e32 v1, 29, v13
	v_cmp_eq_u32_e64 s[2:3], 0, v12
	v_and_b32_e32 v0, 7, v0
	s_nop 0
	v_cndmask_b32_e64 v1, v12, v1, s[2:3]
	v_cndmask_b32_e64 v0, v2, v0, s[2:3]
	v_lshlrev_b32_e32 v2, 8, v8
	v_lshl_add_u32 v1, v1, 10, v47
	v_and_or_b32 v1, v2, s29, v1
	v_lshl_or_b32 v0, v0, 7, v1
	v_cvt_f32_f16_e32 v39, v0
.LBB265_575:                            ;   in Loop: Header=BB265_528 Depth=1
	s_or_b64 exec, exec, s[6:7]
	v_lshrrev_b32_e32 v8, 24, v36
	v_cmp_lt_i16_e64 s[2:3], s19, v8
	s_mov_b64 s[6:7], 0
                                        ; implicit-def: $sgpr26
	s_and_saveexec_b64 s[8:9], s[2:3]
	s_xor_b64 s[8:9], exec, s[8:9]
	s_cbranch_execnz .LBB265_846
; %bb.576:                              ;   in Loop: Header=BB265_528 Depth=1
	s_or_saveexec_b64 s[8:9], s[8:9]
	v_mov_b32_e32 v49, s26
	s_xor_b64 exec, exec, s[8:9]
	s_cbranch_execnz .LBB265_849
.LBB265_577:                            ;   in Loop: Header=BB265_528 Depth=1
	s_or_b64 exec, exec, s[8:9]
	s_and_saveexec_b64 s[8:9], s[6:7]
	s_cbranch_execz .LBB265_579
.LBB265_578:                            ;   in Loop: Header=BB265_528 Depth=1
	v_bfe_u32 v2, v36, 24, 3
	v_ffbh_u32_e32 v0, v2
	v_min_u32_e32 v13, 32, v0
	v_subrev_u32_e32 v0, 28, v13
	v_bfe_u32 v12, v36, 27, 4
	v_lshlrev_b64 v[0:1], v0, v[8:9]
	v_sub_u32_e32 v1, 29, v13
	v_cmp_eq_u32_e64 s[2:3], 0, v12
	v_and_b32_e32 v0, 7, v0
	s_nop 0
	v_cndmask_b32_e64 v1, v12, v1, s[2:3]
	v_cndmask_b32_e64 v0, v2, v0, s[2:3]
	v_lshlrev_b32_e32 v2, 8, v8
	v_lshl_add_u32 v1, v1, 10, v47
	v_and_or_b32 v1, v2, s29, v1
	v_lshl_or_b32 v0, v0, 7, v1
	v_cvt_f32_f16_e32 v49, v0
.LBB265_579:                            ;   in Loop: Header=BB265_528 Depth=1
	s_or_b64 exec, exec, s[8:9]
	v_cmp_gt_i16_sdwa s[6:7], v37, s19 src0_sel:BYTE_0 src1_sel:DWORD
	s_mov_b64 s[2:3], 0
                                        ; implicit-def: $sgpr10
	s_and_saveexec_b64 s[8:9], s[6:7]
	s_xor_b64 s[6:7], exec, s[8:9]
	s_cbranch_execnz .LBB265_850
; %bb.580:                              ;   in Loop: Header=BB265_528 Depth=1
	s_or_saveexec_b64 s[6:7], s[6:7]
	v_mov_b32_e32 v0, s10
	s_xor_b64 exec, exec, s[6:7]
	s_cbranch_execnz .LBB265_853
.LBB265_581:                            ;   in Loop: Header=BB265_528 Depth=1
	s_or_b64 exec, exec, s[6:7]
	v_mov_b32_e32 v8, v37
	s_and_saveexec_b64 s[6:7], s[2:3]
	s_cbranch_execz .LBB265_583
.LBB265_582:                            ;   in Loop: Header=BB265_528 Depth=1
	v_and_b32_e32 v0, 7, v37
	v_ffbh_u32_e32 v0, v0
	v_bfe_u32 v1, v37, 3, 4
	v_min_u32_e32 v0, 32, v0
	v_subrev_u32_e32 v2, 28, v0
	v_sub_u32_e32 v0, 29, v0
	v_cmp_eq_u32_e64 s[2:3], 0, v1
	s_nop 1
	v_cndmask_b32_e64 v12, v1, v0, s[2:3]
	v_cndmask_b32_e64 v0, 0, v2, s[2:3]
	v_lshlrev_b64 v[0:1], v0, v[8:9]
	v_lshlrev_b32_e32 v1, 8, v37
	v_lshl_add_u32 v2, v12, 10, v47
	v_lshlrev_b32_e32 v0, 7, v0
	v_and_or_b32 v1, v1, s29, v2
	v_and_or_b32 v0, v0, s30, v1
	v_cvt_f32_f16_e32 v0, v0
.LBB265_583:                            ;   in Loop: Header=BB265_528 Depth=1
	s_or_b64 exec, exec, s[6:7]
	v_lshrrev_b16_e32 v8, 8, v8
	v_cmp_lt_i16_e64 s[2:3], s19, v8
	s_mov_b64 s[6:7], 0
                                        ; implicit-def: $sgpr26
	s_and_saveexec_b64 s[8:9], s[2:3]
	s_xor_b64 s[8:9], exec, s[8:9]
	s_cbranch_execnz .LBB265_854
; %bb.584:                              ;   in Loop: Header=BB265_528 Depth=1
	s_or_saveexec_b64 s[8:9], s[8:9]
	v_mov_b32_e32 v1, s26
	s_xor_b64 exec, exec, s[8:9]
	s_cbranch_execnz .LBB265_857
.LBB265_585:                            ;   in Loop: Header=BB265_528 Depth=1
	s_or_b64 exec, exec, s[8:9]
	s_and_saveexec_b64 s[8:9], s[6:7]
	s_cbranch_execz .LBB265_587
.LBB265_586:                            ;   in Loop: Header=BB265_528 Depth=1
	v_and_b32_e32 v1, 7, v8
	v_ffbh_u32_e32 v12, v1
	v_bfe_u32 v2, v8, 3, 4
	v_min_u32_e32 v12, 32, v12
	v_subrev_u32_e32 v13, 28, v12
	v_sub_u32_e32 v12, 29, v12
	v_cmp_eq_u32_e64 s[2:3], 0, v2
	v_lshlrev_b64 v[22:23], v13, v[8:9]
	v_and_b32_e32 v13, 7, v22
	v_cndmask_b32_e64 v2, v2, v12, s[2:3]
	v_lshlrev_b32_e32 v8, 8, v8
	v_lshl_add_u32 v2, v2, 10, v47
	v_cndmask_b32_e64 v1, v1, v13, s[2:3]
	v_and_or_b32 v2, v8, s29, v2
	v_lshl_or_b32 v1, v1, 7, v2
	v_cvt_f32_f16_e32 v1, v1
.LBB265_587:                            ;   in Loop: Header=BB265_528 Depth=1
	s_or_b64 exec, exec, s[8:9]
	v_lshrrev_b32_e32 v8, 16, v37
	v_cmp_gt_i16_sdwa s[6:7], v8, s19 src0_sel:BYTE_0 src1_sel:DWORD
	s_mov_b64 s[2:3], 0
                                        ; implicit-def: $sgpr10
	s_and_saveexec_b64 s[8:9], s[6:7]
	s_xor_b64 s[6:7], exec, s[8:9]
	s_cbranch_execnz .LBB265_858
; %bb.588:                              ;   in Loop: Header=BB265_528 Depth=1
	s_or_saveexec_b64 s[6:7], s[6:7]
	v_mov_b32_e32 v2, s10
	s_xor_b64 exec, exec, s[6:7]
	s_cbranch_execnz .LBB265_861
.LBB265_589:                            ;   in Loop: Header=BB265_528 Depth=1
	s_or_b64 exec, exec, s[6:7]
	s_and_saveexec_b64 s[6:7], s[2:3]
	s_cbranch_execz .LBB265_591
.LBB265_590:                            ;   in Loop: Header=BB265_528 Depth=1
	v_bfe_u32 v2, v37, 16, 3
	v_ffbh_u32_e32 v13, v2
	v_bfe_u32 v12, v37, 19, 4
	v_min_u32_e32 v13, 32, v13
	v_subrev_u32_e32 v17, 28, v13
	v_sub_u32_e32 v13, 29, v13
	v_cmp_eq_u32_e64 s[2:3], 0, v12
	v_lshlrev_b64 v[22:23], v17, v[8:9]
	v_and_b32_e32 v17, 7, v22
	v_cndmask_b32_e64 v12, v12, v13, s[2:3]
	v_lshlrev_b32_e32 v8, 8, v8
	v_lshl_add_u32 v12, v12, 10, v47
	v_cndmask_b32_e64 v2, v2, v17, s[2:3]
	v_and_or_b32 v8, v8, s29, v12
	v_lshl_or_b32 v2, v2, 7, v8
	v_cvt_f32_f16_e32 v2, v2
.LBB265_591:                            ;   in Loop: Header=BB265_528 Depth=1
	s_or_b64 exec, exec, s[6:7]
	v_lshrrev_b32_e32 v8, 24, v37
	v_cmp_lt_i16_e64 s[2:3], s19, v8
	s_mov_b64 s[6:7], 0
                                        ; implicit-def: $sgpr26
	s_and_saveexec_b64 s[8:9], s[2:3]
	s_xor_b64 s[8:9], exec, s[8:9]
	s_cbranch_execnz .LBB265_862
; %bb.592:                              ;   in Loop: Header=BB265_528 Depth=1
	s_or_saveexec_b64 s[8:9], s[8:9]
	v_mov_b32_e32 v17, s26
	s_xor_b64 exec, exec, s[8:9]
	s_cbranch_execnz .LBB265_865
.LBB265_593:                            ;   in Loop: Header=BB265_528 Depth=1
	s_or_b64 exec, exec, s[8:9]
	s_and_saveexec_b64 s[8:9], s[6:7]
	s_cbranch_execz .LBB265_595
.LBB265_594:                            ;   in Loop: Header=BB265_528 Depth=1
	v_bfe_u32 v12, v37, 24, 3
	v_ffbh_u32_e32 v17, v12
	v_bfe_u32 v13, v37, 27, 4
	v_min_u32_e32 v17, 32, v17
	v_subrev_u32_e32 v18, 28, v17
	v_sub_u32_e32 v17, 29, v17
	v_cmp_eq_u32_e64 s[2:3], 0, v13
	v_lshlrev_b64 v[22:23], v18, v[8:9]
	v_and_b32_e32 v18, 7, v22
	v_cndmask_b32_e64 v13, v13, v17, s[2:3]
	v_lshlrev_b32_e32 v8, 8, v8
	v_lshl_add_u32 v13, v13, 10, v47
	v_cndmask_b32_e64 v12, v12, v18, s[2:3]
	v_and_or_b32 v8, v8, s29, v13
	v_lshl_or_b32 v8, v12, 7, v8
	v_cvt_f32_f16_e32 v17, v8
.LBB265_595:                            ;   in Loop: Header=BB265_528 Depth=1
	s_or_b64 exec, exec, s[8:9]
	v_pk_mul_f32 v[22:23], v[26:27], v[48:49] op_sel_hi:[0,1]
	v_pk_mul_f32 v[36:37], v[26:27], v[38:39] op_sel_hi:[0,1]
	v_cvt_f16_f32_e32 v8, v23
	v_cvt_f16_f32_e32 v12, v22
	;; [unrolled: 1-line block ×4, first 2 shown]
	v_fma_mixlo_f16 v1, v26, v1, 0
	v_lshlrev_b32_e32 v1, 16, v1
	v_fma_mixlo_f16 v0, v26, v0, 0
	v_or_b32_sdwa v0, v1, v0 dst_sel:DWORD dst_unused:UNUSED_PAD src0_sel:DWORD src1_sel:WORD_0
	v_fma_mixlo_f16 v1, v26, v17, 0
	v_pack_b32_f16 v12, v12, v8
	v_pack_b32_f16 v13, v18, v13
	v_fma_mixlo_f16 v2, v26, v2, 0
	v_lshlrev_b32_e32 v1, 16, v1
	v_perm_b32 v8, v13, v12, s31
	v_perm_b32 v13, v13, v12, s34
	v_or_b32_sdwa v1, v1, v2 dst_sel:DWORD dst_unused:UNUSED_PAD src0_sel:DWORD src1_sel:WORD_0
	s_and_saveexec_b64 s[6:7], s[0:1]
	s_cbranch_execz .LBB265_597
; %bb.596:                              ;   in Loop: Header=BB265_528 Depth=1
	v_add_u32_e32 v12, 1, v56
	v_lshrrev_b32_e32 v17, 16, v13
	v_cmp_lt_i32_e64 s[2:3], v12, v3
	v_accvgpr_read_b32 v22, a8
	v_lshrrev_b32_e32 v18, 16, v8
	v_cndmask_b32_e64 v12, 0, v17, s[2:3]
	v_cmp_lt_i32_e64 s[2:3], v56, v22
	v_or_b32_e32 v17, 2, v56
	v_lshrrev_b32_e32 v1, 16, v1
	v_cndmask_b32_e64 v13, 0, v13, s[2:3]
	v_perm_b32 v13, v12, v13, s35
	v_or_b32_e32 v12, 3, v56
	v_cmp_lt_i32_e64 s[2:3], v12, v3
	s_nop 1
	v_cndmask_b32_e64 v12, 0, v18, s[2:3]
	v_cmp_lt_i32_e64 s[2:3], v17, v22
	v_or_b32_e32 v17, 4, v56
	v_lshrrev_b32_e32 v18, 16, v0
	v_cndmask_b32_e64 v8, 0, v8, s[2:3]
	v_perm_b32 v8, v12, v8, s35
	v_or_b32_e32 v12, 5, v56
	v_cmp_lt_i32_e64 s[2:3], v12, v3
	s_nop 1
	v_cndmask_b32_e64 v12, 0, v18, s[2:3]
	v_cmp_lt_i32_e64 s[2:3], v17, v22
	v_or_b32_e32 v17, 6, v56
	s_nop 0
	v_cndmask_b32_e64 v0, 0, v0, s[2:3]
	v_perm_b32 v0, v12, v0, s35
	v_or_b32_e32 v12, 7, v56
	v_cmp_lt_i32_e64 s[2:3], v12, v3
	s_nop 1
	v_cndmask_b32_e64 v1, 0, v1, s[2:3]
	v_cmp_lt_i32_e64 s[2:3], v17, v22
	s_nop 1
	v_cndmask_b32_e64 v2, 0, v2, s[2:3]
	v_perm_b32 v1, v1, v2, s35
.LBB265_597:                            ;   in Loop: Header=BB265_528 Depth=1
	s_or_b64 exec, exec, s[6:7]
	;;#ASMSTART
	v_pk_mul_f16 v2, v60, v13;

	;;#ASMEND
	;;#ASMSTART
	v_pk_mul_f16 v8, v59, v8;

	;;#ASMEND
	;; [unrolled: 4-line block ×4, first 2 shown]
	v_accvgpr_read_b32 v13, a5
	;;#ASMSTART
	v_pk_add_f16 v2, v2, v8;

	;;#ASMEND
	v_accvgpr_read_b32 v12, a4
	;;#ASMSTART
	v_pk_add_f16 v0, v2, v0;

	;;#ASMEND
	s_mov_b64 s[2:3], 0
	;;#ASMSTART
	v_pk_add_f16 v0, v0, v1;

	;;#ASMEND
                                        ; implicit-def: $sgpr10
	s_nop 0
	v_lshrrev_b32_e32 v1, 16, v0
	v_and_b32_e32 v0, 0xffff, v0
	;;#ASMSTART
	v_cvt_f32_f16 v0, v0;
	;;#ASMEND
	;;#ASMSTART
	v_cvt_f32_f16 v1, v1;
	;;#ASMEND
	flat_load_dwordx2 v[36:37], v[24:25] offset:1024
	flat_load_dword v26, v[12:13]
	s_waitcnt vmcnt(0) lgkmcnt(0)
	v_cmp_gt_i16_sdwa s[6:7], v36, s19 src0_sel:BYTE_0 src1_sel:DWORD
	s_and_saveexec_b64 s[8:9], s[6:7]
	s_xor_b64 s[6:7], exec, s[8:9]
	s_cbranch_execnz .LBB265_866
; %bb.598:                              ;   in Loop: Header=BB265_528 Depth=1
	s_or_saveexec_b64 s[6:7], s[6:7]
	v_mov_b32_e32 v38, s10
	s_xor_b64 exec, exec, s[6:7]
	s_cbranch_execnz .LBB265_869
.LBB265_599:                            ;   in Loop: Header=BB265_528 Depth=1
	s_or_b64 exec, exec, s[6:7]
	s_and_saveexec_b64 s[6:7], s[2:3]
	s_cbranch_execz .LBB265_601
.LBB265_600:                            ;   in Loop: Header=BB265_528 Depth=1
	v_and_b32_e32 v2, 7, v36
	v_ffbh_u32_e32 v2, v2
	v_bfe_u32 v8, v36, 3, 4
	v_min_u32_e32 v2, 32, v2
	v_subrev_u32_e32 v12, 28, v2
	v_sub_u32_e32 v2, 29, v2
	v_cmp_eq_u32_e64 s[2:3], 0, v8
	s_nop 1
	v_cndmask_b32_e64 v2, v8, v2, s[2:3]
	v_cndmask_b32_e64 v8, 0, v12, s[2:3]
	v_lshlrev_b64 v[22:23], v8, v[36:37]
	v_lshlrev_b32_e32 v12, 8, v36
	v_lshl_add_u32 v2, v2, 10, v47
	v_lshlrev_b32_e32 v8, 7, v22
	v_and_or_b32 v2, v12, s29, v2
	v_and_or_b32 v2, v8, s30, v2
	v_cvt_f32_f16_e32 v38, v2
.LBB265_601:                            ;   in Loop: Header=BB265_528 Depth=1
	s_or_b64 exec, exec, s[6:7]
	v_lshrrev_b16_e32 v8, 8, v36
	v_cmp_lt_i16_e64 s[2:3], s19, v8
	s_mov_b64 s[6:7], 0
                                        ; implicit-def: $sgpr26
	s_and_saveexec_b64 s[8:9], s[2:3]
	s_xor_b64 s[8:9], exec, s[8:9]
	s_cbranch_execnz .LBB265_870
; %bb.602:                              ;   in Loop: Header=BB265_528 Depth=1
	s_or_saveexec_b64 s[8:9], s[8:9]
	v_mov_b32_e32 v48, s26
	s_xor_b64 exec, exec, s[8:9]
	s_cbranch_execnz .LBB265_873
.LBB265_603:                            ;   in Loop: Header=BB265_528 Depth=1
	s_or_b64 exec, exec, s[8:9]
	s_and_saveexec_b64 s[8:9], s[6:7]
	s_cbranch_execz .LBB265_605
.LBB265_604:                            ;   in Loop: Header=BB265_528 Depth=1
	v_and_b32_e32 v2, 7, v8
	v_ffbh_u32_e32 v13, v2
	v_bfe_u32 v12, v8, 3, 4
	v_min_u32_e32 v13, 32, v13
	v_subrev_u32_e32 v17, 28, v13
	v_sub_u32_e32 v13, 29, v13
	v_cmp_eq_u32_e64 s[2:3], 0, v12
	v_lshlrev_b64 v[22:23], v17, v[8:9]
	v_and_b32_e32 v17, 7, v22
	v_cndmask_b32_e64 v12, v12, v13, s[2:3]
	v_lshlrev_b32_e32 v8, 8, v8
	v_lshl_add_u32 v12, v12, 10, v47
	v_cndmask_b32_e64 v2, v2, v17, s[2:3]
	v_and_or_b32 v8, v8, s29, v12
	v_lshl_or_b32 v2, v2, 7, v8
	v_cvt_f32_f16_e32 v48, v2
.LBB265_605:                            ;   in Loop: Header=BB265_528 Depth=1
	s_or_b64 exec, exec, s[8:9]
	v_lshrrev_b32_e32 v8, 16, v36
	v_cmp_gt_i16_sdwa s[6:7], v8, s19 src0_sel:BYTE_0 src1_sel:DWORD
	s_mov_b64 s[2:3], 0
                                        ; implicit-def: $sgpr10
	s_and_saveexec_b64 s[8:9], s[6:7]
	s_xor_b64 s[6:7], exec, s[8:9]
	s_cbranch_execnz .LBB265_874
; %bb.606:                              ;   in Loop: Header=BB265_528 Depth=1
	s_or_saveexec_b64 s[6:7], s[6:7]
	v_mov_b32_e32 v39, s10
	s_xor_b64 exec, exec, s[6:7]
	s_cbranch_execnz .LBB265_877
.LBB265_607:                            ;   in Loop: Header=BB265_528 Depth=1
	s_or_b64 exec, exec, s[6:7]
	s_and_saveexec_b64 s[6:7], s[2:3]
	s_cbranch_execz .LBB265_609
.LBB265_608:                            ;   in Loop: Header=BB265_528 Depth=1
	v_bfe_u32 v2, v36, 16, 3
	v_ffbh_u32_e32 v13, v2
	v_bfe_u32 v12, v36, 19, 4
	v_min_u32_e32 v13, 32, v13
	v_subrev_u32_e32 v17, 28, v13
	v_sub_u32_e32 v13, 29, v13
	v_cmp_eq_u32_e64 s[2:3], 0, v12
	v_lshlrev_b64 v[22:23], v17, v[8:9]
	v_and_b32_e32 v17, 7, v22
	v_cndmask_b32_e64 v12, v12, v13, s[2:3]
	v_lshlrev_b32_e32 v8, 8, v8
	v_lshl_add_u32 v12, v12, 10, v47
	v_cndmask_b32_e64 v2, v2, v17, s[2:3]
	v_and_or_b32 v8, v8, s29, v12
	v_lshl_or_b32 v2, v2, 7, v8
	v_cvt_f32_f16_e32 v39, v2
.LBB265_609:                            ;   in Loop: Header=BB265_528 Depth=1
	s_or_b64 exec, exec, s[6:7]
	v_lshrrev_b32_e32 v8, 24, v36
	v_cmp_lt_i16_e64 s[2:3], s19, v8
	s_mov_b64 s[6:7], 0
                                        ; implicit-def: $sgpr26
	s_and_saveexec_b64 s[8:9], s[2:3]
	s_xor_b64 s[8:9], exec, s[8:9]
	s_cbranch_execnz .LBB265_878
; %bb.610:                              ;   in Loop: Header=BB265_528 Depth=1
	s_or_saveexec_b64 s[8:9], s[8:9]
	v_mov_b32_e32 v49, s26
	s_xor_b64 exec, exec, s[8:9]
	s_cbranch_execnz .LBB265_881
.LBB265_611:                            ;   in Loop: Header=BB265_528 Depth=1
	s_or_b64 exec, exec, s[8:9]
	s_and_saveexec_b64 s[8:9], s[6:7]
	s_cbranch_execz .LBB265_613
.LBB265_612:                            ;   in Loop: Header=BB265_528 Depth=1
	v_bfe_u32 v2, v36, 24, 3
	v_ffbh_u32_e32 v13, v2
	v_bfe_u32 v12, v36, 27, 4
	v_min_u32_e32 v13, 32, v13
	v_subrev_u32_e32 v17, 28, v13
	v_sub_u32_e32 v13, 29, v13
	v_cmp_eq_u32_e64 s[2:3], 0, v12
	v_lshlrev_b64 v[22:23], v17, v[8:9]
	v_and_b32_e32 v17, 7, v22
	v_cndmask_b32_e64 v12, v12, v13, s[2:3]
	v_lshlrev_b32_e32 v8, 8, v8
	v_lshl_add_u32 v12, v12, 10, v47
	v_cndmask_b32_e64 v2, v2, v17, s[2:3]
	v_and_or_b32 v8, v8, s29, v12
	v_lshl_or_b32 v2, v2, 7, v8
	v_cvt_f32_f16_e32 v49, v2
.LBB265_613:                            ;   in Loop: Header=BB265_528 Depth=1
	s_or_b64 exec, exec, s[8:9]
	v_cmp_gt_i16_sdwa s[6:7], v37, s19 src0_sel:BYTE_0 src1_sel:DWORD
	s_mov_b64 s[2:3], 0
                                        ; implicit-def: $sgpr10
	s_and_saveexec_b64 s[8:9], s[6:7]
	s_xor_b64 s[6:7], exec, s[8:9]
	s_cbranch_execnz .LBB265_882
; %bb.614:                              ;   in Loop: Header=BB265_528 Depth=1
	s_or_saveexec_b64 s[6:7], s[6:7]
	v_mov_b32_e32 v2, s10
	s_xor_b64 exec, exec, s[6:7]
	s_cbranch_execnz .LBB265_885
.LBB265_615:                            ;   in Loop: Header=BB265_528 Depth=1
	s_or_b64 exec, exec, s[6:7]
	v_mov_b32_e32 v8, v37
	s_and_saveexec_b64 s[6:7], s[2:3]
	s_cbranch_execz .LBB265_617
.LBB265_616:                            ;   in Loop: Header=BB265_528 Depth=1
	v_and_b32_e32 v2, 7, v37
	v_ffbh_u32_e32 v2, v2
	v_bfe_u32 v12, v37, 3, 4
	v_min_u32_e32 v2, 32, v2
	v_subrev_u32_e32 v13, 28, v2
	v_sub_u32_e32 v2, 29, v2
	v_cmp_eq_u32_e64 s[2:3], 0, v12
	s_nop 1
	v_cndmask_b32_e64 v2, v12, v2, s[2:3]
	v_cndmask_b32_e64 v12, 0, v13, s[2:3]
	v_lshlrev_b64 v[22:23], v12, v[8:9]
	v_lshlrev_b32_e32 v13, 8, v37
	v_lshl_add_u32 v2, v2, 10, v47
	v_lshlrev_b32_e32 v12, 7, v22
	v_and_or_b32 v2, v13, s29, v2
	v_and_or_b32 v2, v12, s30, v2
	v_cvt_f32_f16_e32 v2, v2
.LBB265_617:                            ;   in Loop: Header=BB265_528 Depth=1
	s_or_b64 exec, exec, s[6:7]
	v_lshrrev_b16_e32 v8, 8, v8
	v_cmp_lt_i16_e64 s[2:3], s19, v8
	s_mov_b64 s[6:7], 0
                                        ; implicit-def: $sgpr26
	s_and_saveexec_b64 s[8:9], s[2:3]
	s_xor_b64 s[8:9], exec, s[8:9]
	s_cbranch_execnz .LBB265_886
; %bb.618:                              ;   in Loop: Header=BB265_528 Depth=1
	s_or_saveexec_b64 s[8:9], s[8:9]
	v_mov_b32_e32 v13, s26
	s_xor_b64 exec, exec, s[8:9]
	s_cbranch_execnz .LBB265_889
.LBB265_619:                            ;   in Loop: Header=BB265_528 Depth=1
	s_or_b64 exec, exec, s[8:9]
	s_and_saveexec_b64 s[8:9], s[6:7]
	s_cbranch_execz .LBB265_621
.LBB265_620:                            ;   in Loop: Header=BB265_528 Depth=1
	v_and_b32_e32 v12, 7, v8
	v_ffbh_u32_e32 v17, v12
	v_bfe_u32 v13, v8, 3, 4
	v_min_u32_e32 v17, 32, v17
	v_subrev_u32_e32 v18, 28, v17
	v_sub_u32_e32 v17, 29, v17
	v_cmp_eq_u32_e64 s[2:3], 0, v13
	v_lshlrev_b64 v[22:23], v18, v[8:9]
	v_and_b32_e32 v18, 7, v22
	v_cndmask_b32_e64 v13, v13, v17, s[2:3]
	v_lshlrev_b32_e32 v8, 8, v8
	v_lshl_add_u32 v13, v13, 10, v47
	v_cndmask_b32_e64 v12, v12, v18, s[2:3]
	v_and_or_b32 v8, v8, s29, v13
	v_lshl_or_b32 v8, v12, 7, v8
	v_cvt_f32_f16_e32 v13, v8
.LBB265_621:                            ;   in Loop: Header=BB265_528 Depth=1
	s_or_b64 exec, exec, s[8:9]
	v_lshrrev_b32_e32 v8, 16, v37
	v_cmp_gt_i16_sdwa s[6:7], v8, s19 src0_sel:BYTE_0 src1_sel:DWORD
	s_mov_b64 s[2:3], 0
                                        ; implicit-def: $sgpr10
	s_and_saveexec_b64 s[8:9], s[6:7]
	s_xor_b64 s[6:7], exec, s[8:9]
	s_cbranch_execnz .LBB265_890
; %bb.622:                              ;   in Loop: Header=BB265_528 Depth=1
	s_or_saveexec_b64 s[6:7], s[6:7]
	v_mov_b32_e32 v17, s10
	s_xor_b64 exec, exec, s[6:7]
	s_cbranch_execnz .LBB265_893
.LBB265_623:                            ;   in Loop: Header=BB265_528 Depth=1
	s_or_b64 exec, exec, s[6:7]
	s_and_saveexec_b64 s[6:7], s[2:3]
	s_cbranch_execz .LBB265_625
.LBB265_624:                            ;   in Loop: Header=BB265_528 Depth=1
	v_bfe_u32 v12, v37, 16, 3
	v_ffbh_u32_e32 v18, v12
	v_bfe_u32 v17, v37, 19, 4
	v_min_u32_e32 v18, 32, v18
	v_subrev_u32_e32 v19, 28, v18
	v_sub_u32_e32 v18, 29, v18
	v_cmp_eq_u32_e64 s[2:3], 0, v17
	v_lshlrev_b64 v[22:23], v19, v[8:9]
	v_and_b32_e32 v19, 7, v22
	v_cndmask_b32_e64 v17, v17, v18, s[2:3]
	v_lshlrev_b32_e32 v8, 8, v8
	v_lshl_add_u32 v17, v17, 10, v47
	v_cndmask_b32_e64 v12, v12, v19, s[2:3]
	v_and_or_b32 v8, v8, s29, v17
	v_lshl_or_b32 v8, v12, 7, v8
	v_cvt_f32_f16_e32 v17, v8
.LBB265_625:                            ;   in Loop: Header=BB265_528 Depth=1
	s_or_b64 exec, exec, s[6:7]
	v_lshrrev_b32_e32 v8, 24, v37
	v_cmp_lt_i16_e64 s[2:3], s19, v8
	s_mov_b64 s[6:7], 0
                                        ; implicit-def: $sgpr26
	s_and_saveexec_b64 s[8:9], s[2:3]
	s_xor_b64 s[8:9], exec, s[8:9]
	s_cbranch_execnz .LBB265_894
; %bb.626:                              ;   in Loop: Header=BB265_528 Depth=1
	s_or_saveexec_b64 s[8:9], s[8:9]
	v_mov_b32_e32 v22, s26
	s_xor_b64 exec, exec, s[8:9]
	s_cbranch_execnz .LBB265_897
.LBB265_627:                            ;   in Loop: Header=BB265_528 Depth=1
	s_or_b64 exec, exec, s[8:9]
	s_and_saveexec_b64 s[8:9], s[6:7]
	s_cbranch_execz .LBB265_629
.LBB265_628:                            ;   in Loop: Header=BB265_528 Depth=1
	v_bfe_u32 v12, v37, 24, 3
	v_ffbh_u32_e32 v19, v12
	v_bfe_u32 v18, v37, 27, 4
	v_min_u32_e32 v19, 32, v19
	v_subrev_u32_e32 v22, 28, v19
	v_sub_u32_e32 v19, 29, v19
	v_cmp_eq_u32_e64 s[2:3], 0, v18
	v_lshlrev_b64 v[22:23], v22, v[8:9]
	v_and_b32_e32 v22, 7, v22
	v_cndmask_b32_e64 v18, v18, v19, s[2:3]
	v_lshlrev_b32_e32 v8, 8, v8
	v_lshl_add_u32 v18, v18, 10, v47
	v_cndmask_b32_e64 v12, v12, v22, s[2:3]
	v_and_or_b32 v8, v8, s29, v18
	v_lshl_or_b32 v8, v12, 7, v8
	v_cvt_f32_f16_e32 v22, v8
.LBB265_629:                            ;   in Loop: Header=BB265_528 Depth=1
	s_or_b64 exec, exec, s[8:9]
	v_pk_mul_f32 v[36:37], v[26:27], v[48:49] op_sel_hi:[0,1]
	v_pk_mul_f32 v[38:39], v[26:27], v[38:39] op_sel_hi:[0,1]
	v_cvt_f16_f32_e32 v8, v37
	v_cvt_f16_f32_e32 v12, v36
	;; [unrolled: 1-line block ×4, first 2 shown]
	v_fma_mixlo_f16 v2, v26, v2, 0
	v_pack_b32_f16 v12, v12, v8
	v_fma_mixlo_f16 v17, v26, v17, 0
	v_pack_b32_f16 v18, v19, v18
	v_perm_b32 v8, v18, v12, s31
	v_perm_b32 v18, v18, v12, s34
	v_fma_mixlo_f16 v12, v26, v13, 0
	v_lshlrev_b32_e32 v12, 16, v12
	v_or_b32_sdwa v2, v12, v2 dst_sel:DWORD dst_unused:UNUSED_PAD src0_sel:DWORD src1_sel:WORD_0
	v_fma_mixlo_f16 v12, v26, v22, 0
	v_lshlrev_b32_e32 v12, 16, v12
	v_or_b32_sdwa v13, v12, v17 dst_sel:DWORD dst_unused:UNUSED_PAD src0_sel:DWORD src1_sel:WORD_0
	s_and_saveexec_b64 s[6:7], s[0:1]
	s_cbranch_execz .LBB265_631
; %bb.630:                              ;   in Loop: Header=BB265_528 Depth=1
	v_add_u32_e32 v12, 1, v56
	v_lshrrev_b32_e32 v19, 16, v18
	v_cmp_lt_i32_e64 s[2:3], v12, v3
	v_accvgpr_read_b32 v26, a8
	v_lshrrev_b32_e32 v22, 16, v8
	v_cndmask_b32_e64 v12, 0, v19, s[2:3]
	v_cmp_lt_i32_e64 s[2:3], v56, v26
	v_or_b32_e32 v19, 2, v56
	v_lshrrev_b32_e32 v13, 16, v13
	v_cndmask_b32_e64 v18, 0, v18, s[2:3]
	v_perm_b32 v18, v12, v18, s35
	v_or_b32_e32 v12, 3, v56
	v_cmp_lt_i32_e64 s[2:3], v12, v3
	s_nop 1
	v_cndmask_b32_e64 v12, 0, v22, s[2:3]
	v_cmp_lt_i32_e64 s[2:3], v19, v26
	v_or_b32_e32 v19, 4, v56
	v_lshrrev_b32_e32 v22, 16, v2
	v_cndmask_b32_e64 v8, 0, v8, s[2:3]
	v_perm_b32 v8, v12, v8, s35
	v_or_b32_e32 v12, 5, v56
	v_cmp_lt_i32_e64 s[2:3], v12, v3
	s_nop 1
	v_cndmask_b32_e64 v12, 0, v22, s[2:3]
	v_cmp_lt_i32_e64 s[2:3], v19, v26
	v_or_b32_e32 v19, 6, v56
	s_nop 0
	v_cndmask_b32_e64 v2, 0, v2, s[2:3]
	v_perm_b32 v2, v12, v2, s35
	v_or_b32_e32 v12, 7, v56
	v_cmp_lt_i32_e64 s[2:3], v12, v3
	s_nop 1
	v_cndmask_b32_e64 v12, 0, v13, s[2:3]
	v_cmp_lt_i32_e64 s[2:3], v19, v26
	s_nop 1
	v_cndmask_b32_e64 v13, 0, v17, s[2:3]
	v_perm_b32 v13, v12, v13, s35
.LBB265_631:                            ;   in Loop: Header=BB265_528 Depth=1
	s_or_b64 exec, exec, s[6:7]
	;;#ASMSTART
	v_pk_mul_f16 v12, v60, v18;

	;;#ASMEND
	;;#ASMSTART
	v_pk_mul_f16 v8, v59, v8;

	;;#ASMEND
	;; [unrolled: 4-line block ×4, first 2 shown]
	v_accvgpr_read_b32 v19, a5
	;;#ASMSTART
	v_pk_add_f16 v8, v12, v8;

	;;#ASMEND
	v_accvgpr_read_b32 v18, a4
	;;#ASMSTART
	v_pk_add_f16 v2, v8, v2;

	;;#ASMEND
	s_mov_b64 s[2:3], 0
	;;#ASMSTART
	v_pk_add_f16 v2, v2, v13;

	;;#ASMEND
                                        ; implicit-def: $sgpr10
	s_nop 0
	v_lshrrev_b32_e32 v8, 16, v2
	v_and_b32_e32 v2, 0xffff, v2
	;;#ASMSTART
	v_cvt_f32_f16 v13, v2;
	;;#ASMEND
	;;#ASMSTART
	v_cvt_f32_f16 v41, v8;
	;;#ASMEND
	flat_load_dwordx2 v[36:37], v[24:25] offset:1536
	flat_load_dword v26, v[18:19]
	s_waitcnt vmcnt(0) lgkmcnt(0)
	v_cmp_gt_i16_sdwa s[6:7], v36, s19 src0_sel:BYTE_0 src1_sel:DWORD
	s_and_saveexec_b64 s[8:9], s[6:7]
	s_xor_b64 s[6:7], exec, s[8:9]
	s_cbranch_execnz .LBB265_898
; %bb.632:                              ;   in Loop: Header=BB265_528 Depth=1
	s_or_saveexec_b64 s[6:7], s[6:7]
	v_mov_b32_e32 v38, s10
	s_xor_b64 exec, exec, s[6:7]
	s_cbranch_execnz .LBB265_901
.LBB265_633:                            ;   in Loop: Header=BB265_528 Depth=1
	s_or_b64 exec, exec, s[6:7]
	s_and_saveexec_b64 s[6:7], s[2:3]
	s_cbranch_execz .LBB265_635
.LBB265_634:                            ;   in Loop: Header=BB265_528 Depth=1
	v_and_b32_e32 v2, 7, v36
	v_ffbh_u32_e32 v2, v2
	v_bfe_u32 v8, v36, 3, 4
	v_min_u32_e32 v2, 32, v2
	v_subrev_u32_e32 v12, 28, v2
	v_sub_u32_e32 v2, 29, v2
	v_cmp_eq_u32_e64 s[2:3], 0, v8
	s_nop 1
	v_cndmask_b32_e64 v2, v8, v2, s[2:3]
	v_cndmask_b32_e64 v8, 0, v12, s[2:3]
	v_lshlrev_b64 v[22:23], v8, v[36:37]
	v_lshlrev_b32_e32 v12, 8, v36
	v_lshl_add_u32 v2, v2, 10, v47
	v_lshlrev_b32_e32 v8, 7, v22
	v_and_or_b32 v2, v12, s29, v2
	v_and_or_b32 v2, v8, s30, v2
	v_cvt_f32_f16_e32 v38, v2
.LBB265_635:                            ;   in Loop: Header=BB265_528 Depth=1
	s_or_b64 exec, exec, s[6:7]
	v_lshrrev_b16_e32 v8, 8, v36
	v_cmp_lt_i16_e64 s[2:3], s19, v8
	s_mov_b64 s[6:7], 0
                                        ; implicit-def: $sgpr26
	s_and_saveexec_b64 s[8:9], s[2:3]
	s_xor_b64 s[8:9], exec, s[8:9]
	s_cbranch_execnz .LBB265_902
; %bb.636:                              ;   in Loop: Header=BB265_528 Depth=1
	s_or_saveexec_b64 s[8:9], s[8:9]
	v_mov_b32_e32 v48, s26
	s_xor_b64 exec, exec, s[8:9]
	s_cbranch_execnz .LBB265_905
.LBB265_637:                            ;   in Loop: Header=BB265_528 Depth=1
	s_or_b64 exec, exec, s[8:9]
	s_and_saveexec_b64 s[8:9], s[6:7]
	s_cbranch_execz .LBB265_639
.LBB265_638:                            ;   in Loop: Header=BB265_528 Depth=1
	v_and_b32_e32 v2, 7, v8
	v_ffbh_u32_e32 v17, v2
	v_bfe_u32 v12, v8, 3, 4
	v_min_u32_e32 v17, 32, v17
	v_subrev_u32_e32 v18, 28, v17
	v_sub_u32_e32 v17, 29, v17
	v_cmp_eq_u32_e64 s[2:3], 0, v12
	v_lshlrev_b64 v[22:23], v18, v[8:9]
	v_and_b32_e32 v18, 7, v22
	v_cndmask_b32_e64 v12, v12, v17, s[2:3]
	v_lshlrev_b32_e32 v8, 8, v8
	v_lshl_add_u32 v12, v12, 10, v47
	v_cndmask_b32_e64 v2, v2, v18, s[2:3]
	v_and_or_b32 v8, v8, s29, v12
	v_lshl_or_b32 v2, v2, 7, v8
	v_cvt_f32_f16_e32 v48, v2
.LBB265_639:                            ;   in Loop: Header=BB265_528 Depth=1
	s_or_b64 exec, exec, s[8:9]
	v_lshrrev_b32_e32 v8, 16, v36
	v_cmp_gt_i16_sdwa s[6:7], v8, s19 src0_sel:BYTE_0 src1_sel:DWORD
	s_mov_b64 s[2:3], 0
                                        ; implicit-def: $sgpr10
	s_and_saveexec_b64 s[8:9], s[6:7]
	s_xor_b64 s[6:7], exec, s[8:9]
	s_cbranch_execnz .LBB265_906
; %bb.640:                              ;   in Loop: Header=BB265_528 Depth=1
	s_or_saveexec_b64 s[6:7], s[6:7]
	v_mov_b32_e32 v39, s10
	s_xor_b64 exec, exec, s[6:7]
	s_cbranch_execnz .LBB265_909
.LBB265_641:                            ;   in Loop: Header=BB265_528 Depth=1
	s_or_b64 exec, exec, s[6:7]
	s_and_saveexec_b64 s[6:7], s[2:3]
	s_cbranch_execz .LBB265_643
.LBB265_642:                            ;   in Loop: Header=BB265_528 Depth=1
	v_bfe_u32 v2, v36, 16, 3
	v_ffbh_u32_e32 v17, v2
	v_bfe_u32 v12, v36, 19, 4
	v_min_u32_e32 v17, 32, v17
	v_subrev_u32_e32 v18, 28, v17
	v_sub_u32_e32 v17, 29, v17
	v_cmp_eq_u32_e64 s[2:3], 0, v12
	v_lshlrev_b64 v[22:23], v18, v[8:9]
	v_and_b32_e32 v18, 7, v22
	v_cndmask_b32_e64 v12, v12, v17, s[2:3]
	v_lshlrev_b32_e32 v8, 8, v8
	v_lshl_add_u32 v12, v12, 10, v47
	v_cndmask_b32_e64 v2, v2, v18, s[2:3]
	v_and_or_b32 v8, v8, s29, v12
	v_lshl_or_b32 v2, v2, 7, v8
	v_cvt_f32_f16_e32 v39, v2
.LBB265_643:                            ;   in Loop: Header=BB265_528 Depth=1
	s_or_b64 exec, exec, s[6:7]
	v_lshrrev_b32_e32 v8, 24, v36
	v_cmp_lt_i16_e64 s[2:3], s19, v8
	s_mov_b64 s[6:7], 0
                                        ; implicit-def: $sgpr26
	s_and_saveexec_b64 s[8:9], s[2:3]
	s_xor_b64 s[8:9], exec, s[8:9]
	s_cbranch_execnz .LBB265_910
; %bb.644:                              ;   in Loop: Header=BB265_528 Depth=1
	s_or_saveexec_b64 s[8:9], s[8:9]
	v_mov_b32_e32 v49, s26
	s_xor_b64 exec, exec, s[8:9]
	s_cbranch_execnz .LBB265_913
.LBB265_645:                            ;   in Loop: Header=BB265_528 Depth=1
	s_or_b64 exec, exec, s[8:9]
	s_and_saveexec_b64 s[8:9], s[6:7]
	s_cbranch_execz .LBB265_647
.LBB265_646:                            ;   in Loop: Header=BB265_528 Depth=1
	v_bfe_u32 v2, v36, 24, 3
	v_ffbh_u32_e32 v17, v2
	v_bfe_u32 v12, v36, 27, 4
	v_min_u32_e32 v17, 32, v17
	v_subrev_u32_e32 v18, 28, v17
	v_sub_u32_e32 v17, 29, v17
	v_cmp_eq_u32_e64 s[2:3], 0, v12
	v_lshlrev_b64 v[22:23], v18, v[8:9]
	v_and_b32_e32 v18, 7, v22
	v_cndmask_b32_e64 v12, v12, v17, s[2:3]
	v_lshlrev_b32_e32 v8, 8, v8
	v_lshl_add_u32 v12, v12, 10, v47
	v_cndmask_b32_e64 v2, v2, v18, s[2:3]
	v_and_or_b32 v8, v8, s29, v12
	v_lshl_or_b32 v2, v2, 7, v8
	v_cvt_f32_f16_e32 v49, v2
.LBB265_647:                            ;   in Loop: Header=BB265_528 Depth=1
	s_or_b64 exec, exec, s[8:9]
	v_cmp_gt_i16_sdwa s[6:7], v37, s19 src0_sel:BYTE_0 src1_sel:DWORD
	s_mov_b64 s[2:3], 0
                                        ; implicit-def: $sgpr10
	s_and_saveexec_b64 s[8:9], s[6:7]
	s_xor_b64 s[6:7], exec, s[8:9]
	s_cbranch_execnz .LBB265_914
; %bb.648:                              ;   in Loop: Header=BB265_528 Depth=1
	s_or_saveexec_b64 s[6:7], s[6:7]
	v_mov_b32_e32 v2, s10
	s_xor_b64 exec, exec, s[6:7]
	s_cbranch_execnz .LBB265_917
.LBB265_649:                            ;   in Loop: Header=BB265_528 Depth=1
	s_or_b64 exec, exec, s[6:7]
	v_mov_b32_e32 v8, v37
	s_and_saveexec_b64 s[6:7], s[2:3]
	s_cbranch_execz .LBB265_651
.LBB265_650:                            ;   in Loop: Header=BB265_528 Depth=1
	v_and_b32_e32 v2, 7, v37
	v_ffbh_u32_e32 v2, v2
	v_bfe_u32 v12, v37, 3, 4
	v_min_u32_e32 v2, 32, v2
	v_subrev_u32_e32 v17, 28, v2
	v_sub_u32_e32 v2, 29, v2
	v_cmp_eq_u32_e64 s[2:3], 0, v12
	s_nop 1
	v_cndmask_b32_e64 v2, v12, v2, s[2:3]
	v_cndmask_b32_e64 v12, 0, v17, s[2:3]
	v_lshlrev_b64 v[22:23], v12, v[8:9]
	v_lshlrev_b32_e32 v17, 8, v37
	v_lshl_add_u32 v2, v2, 10, v47
	v_lshlrev_b32_e32 v12, 7, v22
	v_and_or_b32 v2, v17, s29, v2
	v_and_or_b32 v2, v12, s30, v2
	v_cvt_f32_f16_e32 v2, v2
.LBB265_651:                            ;   in Loop: Header=BB265_528 Depth=1
	s_or_b64 exec, exec, s[6:7]
	v_lshrrev_b16_e32 v8, 8, v8
	v_cmp_lt_i16_e64 s[2:3], s19, v8
	s_mov_b64 s[6:7], 0
                                        ; implicit-def: $sgpr26
	s_and_saveexec_b64 s[8:9], s[2:3]
	s_xor_b64 s[8:9], exec, s[8:9]
	s_cbranch_execnz .LBB265_918
; %bb.652:                              ;   in Loop: Header=BB265_528 Depth=1
	s_or_saveexec_b64 s[8:9], s[8:9]
	v_mov_b32_e32 v17, s26
	s_xor_b64 exec, exec, s[8:9]
	s_cbranch_execnz .LBB265_921
.LBB265_653:                            ;   in Loop: Header=BB265_528 Depth=1
	s_or_b64 exec, exec, s[8:9]
	s_and_saveexec_b64 s[8:9], s[6:7]
	s_cbranch_execz .LBB265_655
.LBB265_654:                            ;   in Loop: Header=BB265_528 Depth=1
	v_and_b32_e32 v12, 7, v8
	v_ffbh_u32_e32 v18, v12
	v_bfe_u32 v17, v8, 3, 4
	v_min_u32_e32 v18, 32, v18
	v_subrev_u32_e32 v19, 28, v18
	v_sub_u32_e32 v18, 29, v18
	v_cmp_eq_u32_e64 s[2:3], 0, v17
	v_lshlrev_b64 v[22:23], v19, v[8:9]
	v_and_b32_e32 v19, 7, v22
	v_cndmask_b32_e64 v17, v17, v18, s[2:3]
	v_lshlrev_b32_e32 v8, 8, v8
	v_lshl_add_u32 v17, v17, 10, v47
	v_cndmask_b32_e64 v12, v12, v19, s[2:3]
	v_and_or_b32 v8, v8, s29, v17
	v_lshl_or_b32 v8, v12, 7, v8
	v_cvt_f32_f16_e32 v17, v8
.LBB265_655:                            ;   in Loop: Header=BB265_528 Depth=1
	s_or_b64 exec, exec, s[8:9]
	v_lshrrev_b32_e32 v8, 16, v37
	v_cmp_gt_i16_sdwa s[6:7], v8, s19 src0_sel:BYTE_0 src1_sel:DWORD
	s_mov_b64 s[2:3], 0
                                        ; implicit-def: $sgpr10
	s_and_saveexec_b64 s[8:9], s[6:7]
	s_xor_b64 s[6:7], exec, s[8:9]
	s_cbranch_execnz .LBB265_922
; %bb.656:                              ;   in Loop: Header=BB265_528 Depth=1
	s_or_saveexec_b64 s[6:7], s[6:7]
	v_mov_b32_e32 v18, s10
	s_xor_b64 exec, exec, s[6:7]
	s_cbranch_execnz .LBB265_925
.LBB265_657:                            ;   in Loop: Header=BB265_528 Depth=1
	s_or_b64 exec, exec, s[6:7]
	s_and_saveexec_b64 s[6:7], s[2:3]
	s_cbranch_execz .LBB265_659
.LBB265_658:                            ;   in Loop: Header=BB265_528 Depth=1
	v_bfe_u32 v12, v37, 16, 3
	v_ffbh_u32_e32 v19, v12
	v_bfe_u32 v18, v37, 19, 4
	v_min_u32_e32 v19, 32, v19
	v_subrev_u32_e32 v22, 28, v19
	v_sub_u32_e32 v19, 29, v19
	v_cmp_eq_u32_e64 s[2:3], 0, v18
	v_lshlrev_b64 v[22:23], v22, v[8:9]
	v_and_b32_e32 v22, 7, v22
	v_cndmask_b32_e64 v18, v18, v19, s[2:3]
	v_lshlrev_b32_e32 v8, 8, v8
	v_lshl_add_u32 v18, v18, 10, v47
	v_cndmask_b32_e64 v12, v12, v22, s[2:3]
	v_and_or_b32 v8, v8, s29, v18
	v_lshl_or_b32 v8, v12, 7, v8
	v_cvt_f32_f16_e32 v18, v8
.LBB265_659:                            ;   in Loop: Header=BB265_528 Depth=1
	s_or_b64 exec, exec, s[6:7]
	v_lshrrev_b32_e32 v8, 24, v37
	v_cmp_lt_i16_e64 s[2:3], s19, v8
	s_mov_b64 s[6:7], 0
                                        ; implicit-def: $sgpr26
	s_and_saveexec_b64 s[8:9], s[2:3]
	s_xor_b64 s[8:9], exec, s[8:9]
	s_cbranch_execnz .LBB265_926
; %bb.660:                              ;   in Loop: Header=BB265_528 Depth=1
	s_or_saveexec_b64 s[8:9], s[8:9]
	v_mov_b32_e32 v23, s26
	s_xor_b64 exec, exec, s[8:9]
	s_cbranch_execnz .LBB265_929
.LBB265_661:                            ;   in Loop: Header=BB265_528 Depth=1
	s_or_b64 exec, exec, s[8:9]
	s_and_saveexec_b64 s[8:9], s[6:7]
	s_cbranch_execz .LBB265_663
.LBB265_662:                            ;   in Loop: Header=BB265_528 Depth=1
	v_bfe_u32 v12, v37, 24, 3
	v_ffbh_u32_e32 v22, v12
	v_min_u32_e32 v27, 32, v22
	v_subrev_u32_e32 v22, 28, v27
	v_bfe_u32 v19, v37, 27, 4
	v_lshlrev_b64 v[22:23], v22, v[8:9]
	v_sub_u32_e32 v23, 29, v27
	v_cmp_eq_u32_e64 s[2:3], 0, v19
	v_and_b32_e32 v22, 7, v22
	v_lshlrev_b32_e32 v8, 8, v8
	v_cndmask_b32_e64 v19, v19, v23, s[2:3]
	v_lshl_add_u32 v19, v19, 10, v47
	v_cndmask_b32_e64 v12, v12, v22, s[2:3]
	v_and_or_b32 v8, v8, s29, v19
	v_lshl_or_b32 v8, v12, 7, v8
	v_cvt_f32_f16_e32 v23, v8
.LBB265_663:                            ;   in Loop: Header=BB265_528 Depth=1
	s_or_b64 exec, exec, s[8:9]
	v_pk_mul_f32 v[36:37], v[26:27], v[48:49] op_sel_hi:[0,1]
	v_pk_mul_f32 v[38:39], v[26:27], v[38:39] op_sel_hi:[0,1]
	v_cvt_f16_f32_e32 v8, v37
	v_cvt_f16_f32_e32 v12, v36
	;; [unrolled: 1-line block ×4, first 2 shown]
	v_fma_mixlo_f16 v2, v26, v2, 0
	v_pack_b32_f16 v12, v12, v8
	v_fma_mixlo_f16 v18, v26, v18, 0
	v_pack_b32_f16 v19, v22, v19
	v_perm_b32 v8, v19, v12, s31
	v_perm_b32 v22, v19, v12, s34
	v_fma_mixlo_f16 v12, v26, v17, 0
	v_lshlrev_b32_e32 v12, 16, v12
	v_or_b32_sdwa v2, v12, v2 dst_sel:DWORD dst_unused:UNUSED_PAD src0_sel:DWORD src1_sel:WORD_0
	v_fma_mixlo_f16 v12, v26, v23, 0
	v_lshlrev_b32_e32 v12, 16, v12
	v_or_b32_sdwa v17, v12, v18 dst_sel:DWORD dst_unused:UNUSED_PAD src0_sel:DWORD src1_sel:WORD_0
	s_and_saveexec_b64 s[6:7], s[0:1]
	s_cbranch_execz .LBB265_665
; %bb.664:                              ;   in Loop: Header=BB265_528 Depth=1
	v_add_u32_e32 v12, 1, v56
	v_lshrrev_b32_e32 v19, 16, v22
	v_cmp_lt_i32_e64 s[2:3], v12, v3
	v_accvgpr_read_b32 v26, a8
	v_lshrrev_b32_e32 v23, 16, v8
	v_cndmask_b32_e64 v12, 0, v19, s[2:3]
	v_cmp_lt_i32_e64 s[2:3], v56, v26
	v_lshrrev_b32_e32 v17, 16, v17
	s_nop 0
	v_cndmask_b32_e64 v19, 0, v22, s[2:3]
	v_perm_b32 v22, v12, v19, s35
	v_or_b32_e32 v12, 3, v56
	v_or_b32_e32 v19, 2, v56
	v_cmp_lt_i32_e64 s[2:3], v12, v3
	s_nop 1
	v_cndmask_b32_e64 v12, 0, v23, s[2:3]
	v_cmp_lt_i32_e64 s[2:3], v19, v26
	v_or_b32_e32 v19, 4, v56
	v_lshrrev_b32_e32 v23, 16, v2
	v_cndmask_b32_e64 v8, 0, v8, s[2:3]
	v_perm_b32 v8, v12, v8, s35
	v_or_b32_e32 v12, 5, v56
	v_cmp_lt_i32_e64 s[2:3], v12, v3
	s_nop 1
	v_cndmask_b32_e64 v12, 0, v23, s[2:3]
	v_cmp_lt_i32_e64 s[2:3], v19, v26
	v_or_b32_e32 v19, 6, v56
	s_nop 0
	v_cndmask_b32_e64 v2, 0, v2, s[2:3]
	v_perm_b32 v2, v12, v2, s35
	v_or_b32_e32 v12, 7, v56
	v_cmp_lt_i32_e64 s[2:3], v12, v3
	s_nop 1
	v_cndmask_b32_e64 v12, 0, v17, s[2:3]
	v_cmp_lt_i32_e64 s[2:3], v19, v26
	s_nop 1
	v_cndmask_b32_e64 v17, 0, v18, s[2:3]
	v_perm_b32 v17, v12, v17, s35
.LBB265_665:                            ;   in Loop: Header=BB265_528 Depth=1
	s_or_b64 exec, exec, s[6:7]
	;;#ASMSTART
	v_pk_mul_f16 v12, v60, v22;

	;;#ASMEND
	;;#ASMSTART
	v_pk_mul_f16 v8, v59, v8;

	;;#ASMEND
	;; [unrolled: 4-line block ×4, first 2 shown]
	v_accvgpr_read_b32 v23, a5
	;;#ASMSTART
	v_pk_add_f16 v8, v12, v8;

	;;#ASMEND
	v_accvgpr_read_b32 v22, a4
	;;#ASMSTART
	v_pk_add_f16 v2, v8, v2;

	;;#ASMEND
	s_mov_b64 s[2:3], 0
	;;#ASMSTART
	v_pk_add_f16 v2, v2, v17;

	;;#ASMEND
                                        ; implicit-def: $sgpr10
	s_nop 0
	v_lshrrev_b32_e32 v8, 16, v2
	v_and_b32_e32 v2, 0xffff, v2
	;;#ASMSTART
	v_cvt_f32_f16 v18, v2;
	;;#ASMEND
	;;#ASMSTART
	v_cvt_f32_f16 v50, v8;
	;;#ASMEND
	flat_load_dwordx2 v[36:37], v[24:25] offset:2048
	flat_load_dword v26, v[22:23]
	s_waitcnt vmcnt(0) lgkmcnt(0)
	v_cmp_gt_i16_sdwa s[6:7], v36, s19 src0_sel:BYTE_0 src1_sel:DWORD
	s_and_saveexec_b64 s[8:9], s[6:7]
	s_xor_b64 s[6:7], exec, s[8:9]
	s_cbranch_execnz .LBB265_930
; %bb.666:                              ;   in Loop: Header=BB265_528 Depth=1
	s_or_saveexec_b64 s[6:7], s[6:7]
	v_mov_b32_e32 v38, s10
	s_xor_b64 exec, exec, s[6:7]
	s_cbranch_execnz .LBB265_933
.LBB265_667:                            ;   in Loop: Header=BB265_528 Depth=1
	s_or_b64 exec, exec, s[6:7]
	s_and_saveexec_b64 s[6:7], s[2:3]
	s_cbranch_execz .LBB265_669
.LBB265_668:                            ;   in Loop: Header=BB265_528 Depth=1
	v_and_b32_e32 v2, 7, v36
	v_ffbh_u32_e32 v2, v2
	v_bfe_u32 v8, v36, 3, 4
	v_min_u32_e32 v2, 32, v2
	v_subrev_u32_e32 v12, 28, v2
	v_sub_u32_e32 v2, 29, v2
	v_cmp_eq_u32_e64 s[2:3], 0, v8
	s_nop 1
	v_cndmask_b32_e64 v2, v8, v2, s[2:3]
	v_cndmask_b32_e64 v8, 0, v12, s[2:3]
	v_lshlrev_b64 v[22:23], v8, v[36:37]
	v_lshlrev_b32_e32 v12, 8, v36
	v_lshl_add_u32 v2, v2, 10, v47
	v_lshlrev_b32_e32 v8, 7, v22
	v_and_or_b32 v2, v12, s29, v2
	v_and_or_b32 v2, v8, s30, v2
	v_cvt_f32_f16_e32 v38, v2
.LBB265_669:                            ;   in Loop: Header=BB265_528 Depth=1
	s_or_b64 exec, exec, s[6:7]
	v_lshrrev_b16_e32 v8, 8, v36
	v_cmp_lt_i16_e64 s[2:3], s19, v8
	s_mov_b64 s[6:7], 0
                                        ; implicit-def: $sgpr26
	s_and_saveexec_b64 s[8:9], s[2:3]
	s_xor_b64 s[8:9], exec, s[8:9]
	s_cbranch_execnz .LBB265_934
; %bb.670:                              ;   in Loop: Header=BB265_528 Depth=1
	s_or_saveexec_b64 s[8:9], s[8:9]
	v_mov_b32_e32 v48, s26
	s_xor_b64 exec, exec, s[8:9]
	s_cbranch_execnz .LBB265_937
.LBB265_671:                            ;   in Loop: Header=BB265_528 Depth=1
	s_or_b64 exec, exec, s[8:9]
	s_and_saveexec_b64 s[8:9], s[6:7]
	s_cbranch_execz .LBB265_673
.LBB265_672:                            ;   in Loop: Header=BB265_528 Depth=1
	v_and_b32_e32 v2, 7, v8
	v_ffbh_u32_e32 v17, v2
	v_bfe_u32 v12, v8, 3, 4
	v_min_u32_e32 v17, 32, v17
	v_subrev_u32_e32 v19, 28, v17
	v_sub_u32_e32 v17, 29, v17
	v_cmp_eq_u32_e64 s[2:3], 0, v12
	v_lshlrev_b64 v[22:23], v19, v[8:9]
	v_and_b32_e32 v19, 7, v22
	v_cndmask_b32_e64 v12, v12, v17, s[2:3]
	v_lshlrev_b32_e32 v8, 8, v8
	v_lshl_add_u32 v12, v12, 10, v47
	v_cndmask_b32_e64 v2, v2, v19, s[2:3]
	v_and_or_b32 v8, v8, s29, v12
	v_lshl_or_b32 v2, v2, 7, v8
	v_cvt_f32_f16_e32 v48, v2
.LBB265_673:                            ;   in Loop: Header=BB265_528 Depth=1
	s_or_b64 exec, exec, s[8:9]
	v_lshrrev_b32_e32 v8, 16, v36
	v_cmp_gt_i16_sdwa s[6:7], v8, s19 src0_sel:BYTE_0 src1_sel:DWORD
	s_mov_b64 s[2:3], 0
                                        ; implicit-def: $sgpr10
	s_and_saveexec_b64 s[8:9], s[6:7]
	s_xor_b64 s[6:7], exec, s[8:9]
	s_cbranch_execnz .LBB265_938
; %bb.674:                              ;   in Loop: Header=BB265_528 Depth=1
	s_or_saveexec_b64 s[6:7], s[6:7]
	v_mov_b32_e32 v39, s10
	s_xor_b64 exec, exec, s[6:7]
	s_cbranch_execnz .LBB265_941
.LBB265_675:                            ;   in Loop: Header=BB265_528 Depth=1
	s_or_b64 exec, exec, s[6:7]
	s_and_saveexec_b64 s[6:7], s[2:3]
	s_cbranch_execz .LBB265_677
.LBB265_676:                            ;   in Loop: Header=BB265_528 Depth=1
	v_bfe_u32 v2, v36, 16, 3
	v_ffbh_u32_e32 v17, v2
	v_bfe_u32 v12, v36, 19, 4
	v_min_u32_e32 v17, 32, v17
	v_subrev_u32_e32 v19, 28, v17
	v_sub_u32_e32 v17, 29, v17
	v_cmp_eq_u32_e64 s[2:3], 0, v12
	v_lshlrev_b64 v[22:23], v19, v[8:9]
	v_and_b32_e32 v19, 7, v22
	v_cndmask_b32_e64 v12, v12, v17, s[2:3]
	v_lshlrev_b32_e32 v8, 8, v8
	v_lshl_add_u32 v12, v12, 10, v47
	v_cndmask_b32_e64 v2, v2, v19, s[2:3]
	v_and_or_b32 v8, v8, s29, v12
	v_lshl_or_b32 v2, v2, 7, v8
	v_cvt_f32_f16_e32 v39, v2
.LBB265_677:                            ;   in Loop: Header=BB265_528 Depth=1
	s_or_b64 exec, exec, s[6:7]
	v_lshrrev_b32_e32 v8, 24, v36
	v_cmp_lt_i16_e64 s[2:3], s19, v8
	s_mov_b64 s[6:7], 0
                                        ; implicit-def: $sgpr26
	s_and_saveexec_b64 s[8:9], s[2:3]
	s_xor_b64 s[8:9], exec, s[8:9]
	s_cbranch_execnz .LBB265_942
; %bb.678:                              ;   in Loop: Header=BB265_528 Depth=1
	s_or_saveexec_b64 s[8:9], s[8:9]
	v_mov_b32_e32 v49, s26
	s_xor_b64 exec, exec, s[8:9]
	s_cbranch_execnz .LBB265_945
.LBB265_679:                            ;   in Loop: Header=BB265_528 Depth=1
	s_or_b64 exec, exec, s[8:9]
	s_and_saveexec_b64 s[8:9], s[6:7]
	s_cbranch_execz .LBB265_681
.LBB265_680:                            ;   in Loop: Header=BB265_528 Depth=1
	v_bfe_u32 v2, v36, 24, 3
	v_ffbh_u32_e32 v17, v2
	v_bfe_u32 v12, v36, 27, 4
	v_min_u32_e32 v17, 32, v17
	v_subrev_u32_e32 v19, 28, v17
	v_sub_u32_e32 v17, 29, v17
	v_cmp_eq_u32_e64 s[2:3], 0, v12
	v_lshlrev_b64 v[22:23], v19, v[8:9]
	v_and_b32_e32 v19, 7, v22
	v_cndmask_b32_e64 v12, v12, v17, s[2:3]
	v_lshlrev_b32_e32 v8, 8, v8
	v_lshl_add_u32 v12, v12, 10, v47
	v_cndmask_b32_e64 v2, v2, v19, s[2:3]
	v_and_or_b32 v8, v8, s29, v12
	v_lshl_or_b32 v2, v2, 7, v8
	v_cvt_f32_f16_e32 v49, v2
.LBB265_681:                            ;   in Loop: Header=BB265_528 Depth=1
	s_or_b64 exec, exec, s[8:9]
	v_cmp_gt_i16_sdwa s[6:7], v37, s19 src0_sel:BYTE_0 src1_sel:DWORD
	s_mov_b64 s[2:3], 0
                                        ; implicit-def: $sgpr10
	s_and_saveexec_b64 s[8:9], s[6:7]
	s_xor_b64 s[6:7], exec, s[8:9]
	s_cbranch_execnz .LBB265_946
; %bb.682:                              ;   in Loop: Header=BB265_528 Depth=1
	s_or_saveexec_b64 s[6:7], s[6:7]
	v_mov_b32_e32 v2, s10
	s_xor_b64 exec, exec, s[6:7]
	s_cbranch_execnz .LBB265_949
.LBB265_683:                            ;   in Loop: Header=BB265_528 Depth=1
	s_or_b64 exec, exec, s[6:7]
	v_mov_b32_e32 v8, v37
	s_and_saveexec_b64 s[6:7], s[2:3]
	s_cbranch_execz .LBB265_685
.LBB265_684:                            ;   in Loop: Header=BB265_528 Depth=1
	v_and_b32_e32 v2, 7, v37
	v_ffbh_u32_e32 v2, v2
	v_bfe_u32 v12, v37, 3, 4
	v_min_u32_e32 v2, 32, v2
	v_subrev_u32_e32 v17, 28, v2
	v_sub_u32_e32 v2, 29, v2
	v_cmp_eq_u32_e64 s[2:3], 0, v12
	s_nop 1
	v_cndmask_b32_e64 v2, v12, v2, s[2:3]
	v_cndmask_b32_e64 v12, 0, v17, s[2:3]
	v_lshlrev_b64 v[22:23], v12, v[8:9]
	v_lshlrev_b32_e32 v17, 8, v37
	v_lshl_add_u32 v2, v2, 10, v47
	v_lshlrev_b32_e32 v12, 7, v22
	v_and_or_b32 v2, v17, s29, v2
	v_and_or_b32 v2, v12, s30, v2
	v_cvt_f32_f16_e32 v2, v2
.LBB265_685:                            ;   in Loop: Header=BB265_528 Depth=1
	s_or_b64 exec, exec, s[6:7]
	v_lshrrev_b16_e32 v8, 8, v8
	v_cmp_lt_i16_e64 s[2:3], s19, v8
	s_mov_b64 s[6:7], 0
                                        ; implicit-def: $sgpr26
	s_and_saveexec_b64 s[8:9], s[2:3]
	s_xor_b64 s[8:9], exec, s[8:9]
	s_cbranch_execnz .LBB265_950
; %bb.686:                              ;   in Loop: Header=BB265_528 Depth=1
	s_or_saveexec_b64 s[8:9], s[8:9]
	v_mov_b32_e32 v17, s26
	s_xor_b64 exec, exec, s[8:9]
	s_cbranch_execnz .LBB265_953
.LBB265_687:                            ;   in Loop: Header=BB265_528 Depth=1
	s_or_b64 exec, exec, s[8:9]
	s_and_saveexec_b64 s[8:9], s[6:7]
	s_cbranch_execz .LBB265_689
.LBB265_688:                            ;   in Loop: Header=BB265_528 Depth=1
	v_and_b32_e32 v12, 7, v8
	v_ffbh_u32_e32 v19, v12
	v_bfe_u32 v17, v8, 3, 4
	v_min_u32_e32 v19, 32, v19
	v_subrev_u32_e32 v22, 28, v19
	v_sub_u32_e32 v19, 29, v19
	v_cmp_eq_u32_e64 s[2:3], 0, v17
	v_lshlrev_b64 v[22:23], v22, v[8:9]
	v_and_b32_e32 v22, 7, v22
	v_cndmask_b32_e64 v17, v17, v19, s[2:3]
	v_lshlrev_b32_e32 v8, 8, v8
	v_lshl_add_u32 v17, v17, 10, v47
	v_cndmask_b32_e64 v12, v12, v22, s[2:3]
	v_and_or_b32 v8, v8, s29, v17
	v_lshl_or_b32 v8, v12, 7, v8
	v_cvt_f32_f16_e32 v17, v8
.LBB265_689:                            ;   in Loop: Header=BB265_528 Depth=1
	s_or_b64 exec, exec, s[8:9]
	v_lshrrev_b32_e32 v8, 16, v37
	v_cmp_gt_i16_sdwa s[6:7], v8, s19 src0_sel:BYTE_0 src1_sel:DWORD
	s_mov_b64 s[2:3], 0
                                        ; implicit-def: $sgpr10
	s_and_saveexec_b64 s[8:9], s[6:7]
	s_xor_b64 s[6:7], exec, s[8:9]
	s_cbranch_execnz .LBB265_954
; %bb.690:                              ;   in Loop: Header=BB265_528 Depth=1
	s_or_saveexec_b64 s[6:7], s[6:7]
	v_mov_b32_e32 v22, s10
	s_xor_b64 exec, exec, s[6:7]
	s_cbranch_execnz .LBB265_957
.LBB265_691:                            ;   in Loop: Header=BB265_528 Depth=1
	s_or_b64 exec, exec, s[6:7]
	s_and_saveexec_b64 s[6:7], s[2:3]
	s_cbranch_execz .LBB265_693
.LBB265_692:                            ;   in Loop: Header=BB265_528 Depth=1
	v_bfe_u32 v12, v37, 16, 3
	v_ffbh_u32_e32 v22, v12
	v_min_u32_e32 v27, 32, v22
	v_subrev_u32_e32 v22, 28, v27
	v_bfe_u32 v19, v37, 19, 4
	v_lshlrev_b64 v[22:23], v22, v[8:9]
	v_sub_u32_e32 v23, 29, v27
	v_cmp_eq_u32_e64 s[2:3], 0, v19
	v_and_b32_e32 v22, 7, v22
	v_lshlrev_b32_e32 v8, 8, v8
	v_cndmask_b32_e64 v19, v19, v23, s[2:3]
	v_lshl_add_u32 v19, v19, 10, v47
	v_cndmask_b32_e64 v12, v12, v22, s[2:3]
	v_and_or_b32 v8, v8, s29, v19
	v_lshl_or_b32 v8, v12, 7, v8
	v_cvt_f32_f16_e32 v22, v8
.LBB265_693:                            ;   in Loop: Header=BB265_528 Depth=1
	s_or_b64 exec, exec, s[6:7]
	v_lshrrev_b32_e32 v8, 24, v37
	v_cmp_lt_i16_e64 s[2:3], s19, v8
	s_mov_b64 s[6:7], 0
                                        ; implicit-def: $sgpr26
	s_and_saveexec_b64 s[8:9], s[2:3]
	s_xor_b64 s[8:9], exec, s[8:9]
	s_cbranch_execnz .LBB265_958
; %bb.694:                              ;   in Loop: Header=BB265_528 Depth=1
	s_or_saveexec_b64 s[8:9], s[8:9]
	v_mov_b32_e32 v27, s26
	s_xor_b64 exec, exec, s[8:9]
	s_cbranch_execnz .LBB265_961
.LBB265_695:                            ;   in Loop: Header=BB265_528 Depth=1
	s_or_b64 exec, exec, s[8:9]
	s_and_saveexec_b64 s[8:9], s[6:7]
	s_cbranch_execz .LBB265_697
.LBB265_696:                            ;   in Loop: Header=BB265_528 Depth=1
	v_bfe_u32 v12, v37, 24, 3
	v_ffbh_u32_e32 v23, v12
	v_bfe_u32 v19, v37, 27, 4
	v_min_u32_e32 v23, 32, v23
	v_subrev_u32_e32 v27, 28, v23
	v_sub_u32_e32 v23, 29, v23
	v_cmp_eq_u32_e64 s[2:3], 0, v19
	v_lshlrev_b64 v[36:37], v27, v[8:9]
	v_and_b32_e32 v27, 7, v36
	v_cndmask_b32_e64 v19, v19, v23, s[2:3]
	v_lshlrev_b32_e32 v8, 8, v8
	v_lshl_add_u32 v19, v19, 10, v47
	v_cndmask_b32_e64 v12, v12, v27, s[2:3]
	v_and_or_b32 v8, v8, s29, v19
	v_lshl_or_b32 v8, v12, 7, v8
	v_cvt_f32_f16_e32 v27, v8
.LBB265_697:                            ;   in Loop: Header=BB265_528 Depth=1
	s_or_b64 exec, exec, s[8:9]
	v_pk_mul_f32 v[36:37], v[26:27], v[48:49] op_sel_hi:[0,1]
	v_pk_mul_f32 v[38:39], v[26:27], v[38:39] op_sel_hi:[0,1]
	v_cvt_f16_f32_e32 v8, v37
	v_cvt_f16_f32_e32 v12, v36
	v_cvt_f16_f32_e32 v19, v39
	v_cvt_f16_f32_e32 v23, v38
	v_fma_mixlo_f16 v2, v26, v2, 0
	v_pack_b32_f16 v12, v12, v8
	v_fma_mixlo_f16 v22, v26, v22, 0
	v_pack_b32_f16 v19, v23, v19
	v_perm_b32 v8, v19, v12, s31
	v_perm_b32 v23, v19, v12, s34
	v_fma_mixlo_f16 v12, v26, v17, 0
	v_lshlrev_b32_e32 v12, 16, v12
	v_or_b32_sdwa v2, v12, v2 dst_sel:DWORD dst_unused:UNUSED_PAD src0_sel:DWORD src1_sel:WORD_0
	v_fma_mixlo_f16 v12, v26, v27, 0
	v_lshlrev_b32_e32 v12, 16, v12
	v_or_b32_sdwa v17, v12, v22 dst_sel:DWORD dst_unused:UNUSED_PAD src0_sel:DWORD src1_sel:WORD_0
	s_and_saveexec_b64 s[6:7], s[0:1]
	s_cbranch_execz .LBB265_699
; %bb.698:                              ;   in Loop: Header=BB265_528 Depth=1
	v_add_u32_e32 v12, 1, v56
	v_lshrrev_b32_e32 v19, 16, v23
	v_cmp_lt_i32_e64 s[2:3], v12, v3
	v_accvgpr_read_b32 v36, a8
	v_lshrrev_b32_e32 v26, 16, v8
	v_cndmask_b32_e64 v12, 0, v19, s[2:3]
	v_cmp_lt_i32_e64 s[2:3], v56, v36
	v_lshrrev_b32_e32 v17, 16, v17
	s_nop 0
	v_cndmask_b32_e64 v19, 0, v23, s[2:3]
	v_perm_b32 v23, v12, v19, s35
	v_or_b32_e32 v12, 3, v56
	v_or_b32_e32 v19, 2, v56
	v_cmp_lt_i32_e64 s[2:3], v12, v3
	s_nop 1
	v_cndmask_b32_e64 v12, 0, v26, s[2:3]
	v_cmp_lt_i32_e64 s[2:3], v19, v36
	v_or_b32_e32 v19, 4, v56
	v_lshrrev_b32_e32 v26, 16, v2
	v_cndmask_b32_e64 v8, 0, v8, s[2:3]
	v_perm_b32 v8, v12, v8, s35
	v_or_b32_e32 v12, 5, v56
	v_cmp_lt_i32_e64 s[2:3], v12, v3
	s_nop 1
	v_cndmask_b32_e64 v12, 0, v26, s[2:3]
	v_cmp_lt_i32_e64 s[2:3], v19, v36
	v_or_b32_e32 v19, 6, v56
	s_nop 0
	v_cndmask_b32_e64 v2, 0, v2, s[2:3]
	v_perm_b32 v2, v12, v2, s35
	v_or_b32_e32 v12, 7, v56
	v_cmp_lt_i32_e64 s[2:3], v12, v3
	s_nop 1
	v_cndmask_b32_e64 v12, 0, v17, s[2:3]
	v_cmp_lt_i32_e64 s[2:3], v19, v36
	s_nop 1
	v_cndmask_b32_e64 v17, 0, v22, s[2:3]
	v_perm_b32 v17, v12, v17, s35
.LBB265_699:                            ;   in Loop: Header=BB265_528 Depth=1
	s_or_b64 exec, exec, s[6:7]
	;;#ASMSTART
	v_pk_mul_f16 v12, v60, v23;

	;;#ASMEND
	;;#ASMSTART
	v_pk_mul_f16 v8, v59, v8;

	;;#ASMEND
	;; [unrolled: 4-line block ×4, first 2 shown]
	v_accvgpr_read_b32 v23, a5
	;;#ASMSTART
	v_pk_add_f16 v8, v12, v8;

	;;#ASMEND
	v_accvgpr_read_b32 v22, a4
	;;#ASMSTART
	v_pk_add_f16 v2, v8, v2;

	;;#ASMEND
	s_mov_b64 s[2:3], 0
	;;#ASMSTART
	v_pk_add_f16 v2, v2, v17;

	;;#ASMEND
                                        ; implicit-def: $sgpr10
	s_nop 0
	v_lshrrev_b32_e32 v8, 16, v2
	v_and_b32_e32 v2, 0xffff, v2
	;;#ASMSTART
	v_cvt_f32_f16 v2, v2;
	;;#ASMEND
	;;#ASMSTART
	v_cvt_f32_f16 v51, v8;
	;;#ASMEND
	flat_load_dwordx2 v[36:37], v[24:25] offset:2560
	flat_load_dword v26, v[22:23]
	s_waitcnt vmcnt(0) lgkmcnt(0)
	v_cmp_gt_i16_sdwa s[6:7], v36, s19 src0_sel:BYTE_0 src1_sel:DWORD
	s_and_saveexec_b64 s[8:9], s[6:7]
	s_xor_b64 s[6:7], exec, s[8:9]
	s_cbranch_execnz .LBB265_962
; %bb.700:                              ;   in Loop: Header=BB265_528 Depth=1
	s_or_saveexec_b64 s[6:7], s[6:7]
	v_mov_b32_e32 v38, s10
	s_xor_b64 exec, exec, s[6:7]
	s_cbranch_execnz .LBB265_965
.LBB265_701:                            ;   in Loop: Header=BB265_528 Depth=1
	s_or_b64 exec, exec, s[6:7]
	s_and_saveexec_b64 s[6:7], s[2:3]
	s_cbranch_execz .LBB265_703
.LBB265_702:                            ;   in Loop: Header=BB265_528 Depth=1
	v_and_b32_e32 v8, 7, v36
	v_ffbh_u32_e32 v8, v8
	v_bfe_u32 v12, v36, 3, 4
	v_min_u32_e32 v8, 32, v8
	v_subrev_u32_e32 v17, 28, v8
	v_sub_u32_e32 v8, 29, v8
	v_cmp_eq_u32_e64 s[2:3], 0, v12
	s_nop 1
	v_cndmask_b32_e64 v8, v12, v8, s[2:3]
	v_cndmask_b32_e64 v12, 0, v17, s[2:3]
	v_lshlrev_b64 v[22:23], v12, v[36:37]
	v_lshlrev_b32_e32 v17, 8, v36
	v_lshl_add_u32 v8, v8, 10, v47
	v_lshlrev_b32_e32 v12, 7, v22
	v_and_or_b32 v8, v17, s29, v8
	v_and_or_b32 v8, v12, s30, v8
	v_cvt_f32_f16_e32 v38, v8
.LBB265_703:                            ;   in Loop: Header=BB265_528 Depth=1
	s_or_b64 exec, exec, s[6:7]
	v_lshrrev_b16_e32 v8, 8, v36
	v_cmp_lt_i16_e64 s[2:3], s19, v8
	s_mov_b64 s[6:7], 0
                                        ; implicit-def: $sgpr26
	s_and_saveexec_b64 s[8:9], s[2:3]
	s_xor_b64 s[8:9], exec, s[8:9]
	s_cbranch_execnz .LBB265_966
; %bb.704:                              ;   in Loop: Header=BB265_528 Depth=1
	s_or_saveexec_b64 s[8:9], s[8:9]
	v_mov_b32_e32 v48, s26
	s_xor_b64 exec, exec, s[8:9]
	s_cbranch_execnz .LBB265_969
.LBB265_705:                            ;   in Loop: Header=BB265_528 Depth=1
	s_or_b64 exec, exec, s[8:9]
	s_and_saveexec_b64 s[8:9], s[6:7]
	s_cbranch_execz .LBB265_707
.LBB265_706:                            ;   in Loop: Header=BB265_528 Depth=1
	v_and_b32_e32 v12, 7, v8
	v_ffbh_u32_e32 v19, v12
	v_bfe_u32 v17, v8, 3, 4
	v_min_u32_e32 v19, 32, v19
	v_subrev_u32_e32 v22, 28, v19
	v_sub_u32_e32 v19, 29, v19
	v_cmp_eq_u32_e64 s[2:3], 0, v17
	v_lshlrev_b64 v[22:23], v22, v[8:9]
	v_and_b32_e32 v22, 7, v22
	v_cndmask_b32_e64 v17, v17, v19, s[2:3]
	v_lshlrev_b32_e32 v8, 8, v8
	v_lshl_add_u32 v17, v17, 10, v47
	v_cndmask_b32_e64 v12, v12, v22, s[2:3]
	v_and_or_b32 v8, v8, s29, v17
	v_lshl_or_b32 v8, v12, 7, v8
	v_cvt_f32_f16_e32 v48, v8
.LBB265_707:                            ;   in Loop: Header=BB265_528 Depth=1
	s_or_b64 exec, exec, s[8:9]
	v_lshrrev_b32_e32 v8, 16, v36
	v_cmp_gt_i16_sdwa s[6:7], v8, s19 src0_sel:BYTE_0 src1_sel:DWORD
	s_mov_b64 s[2:3], 0
                                        ; implicit-def: $sgpr10
	s_and_saveexec_b64 s[8:9], s[6:7]
	s_xor_b64 s[6:7], exec, s[8:9]
	s_cbranch_execnz .LBB265_970
; %bb.708:                              ;   in Loop: Header=BB265_528 Depth=1
	s_or_saveexec_b64 s[6:7], s[6:7]
	v_mov_b32_e32 v39, s10
	s_xor_b64 exec, exec, s[6:7]
	s_cbranch_execnz .LBB265_973
.LBB265_709:                            ;   in Loop: Header=BB265_528 Depth=1
	s_or_b64 exec, exec, s[6:7]
	s_and_saveexec_b64 s[6:7], s[2:3]
	s_cbranch_execz .LBB265_711
.LBB265_710:                            ;   in Loop: Header=BB265_528 Depth=1
	v_bfe_u32 v12, v36, 16, 3
	v_ffbh_u32_e32 v19, v12
	v_bfe_u32 v17, v36, 19, 4
	v_min_u32_e32 v19, 32, v19
	v_subrev_u32_e32 v22, 28, v19
	v_sub_u32_e32 v19, 29, v19
	v_cmp_eq_u32_e64 s[2:3], 0, v17
	v_lshlrev_b64 v[22:23], v22, v[8:9]
	v_and_b32_e32 v22, 7, v22
	v_cndmask_b32_e64 v17, v17, v19, s[2:3]
	v_lshlrev_b32_e32 v8, 8, v8
	v_lshl_add_u32 v17, v17, 10, v47
	v_cndmask_b32_e64 v12, v12, v22, s[2:3]
	v_and_or_b32 v8, v8, s29, v17
	v_lshl_or_b32 v8, v12, 7, v8
	v_cvt_f32_f16_e32 v39, v8
.LBB265_711:                            ;   in Loop: Header=BB265_528 Depth=1
	s_or_b64 exec, exec, s[6:7]
	v_lshrrev_b32_e32 v8, 24, v36
	v_cmp_lt_i16_e64 s[2:3], s19, v8
	s_mov_b64 s[6:7], 0
                                        ; implicit-def: $sgpr26
	s_and_saveexec_b64 s[8:9], s[2:3]
	s_xor_b64 s[8:9], exec, s[8:9]
	s_cbranch_execnz .LBB265_974
; %bb.712:                              ;   in Loop: Header=BB265_528 Depth=1
	s_or_saveexec_b64 s[8:9], s[8:9]
	v_mov_b32_e32 v49, s26
	s_xor_b64 exec, exec, s[8:9]
	s_cbranch_execnz .LBB265_977
.LBB265_713:                            ;   in Loop: Header=BB265_528 Depth=1
	s_or_b64 exec, exec, s[8:9]
	s_and_saveexec_b64 s[8:9], s[6:7]
	s_cbranch_execz .LBB265_715
.LBB265_714:                            ;   in Loop: Header=BB265_528 Depth=1
	v_bfe_u32 v12, v36, 24, 3
	v_ffbh_u32_e32 v19, v12
	v_bfe_u32 v17, v36, 27, 4
	v_min_u32_e32 v19, 32, v19
	v_subrev_u32_e32 v22, 28, v19
	v_sub_u32_e32 v19, 29, v19
	v_cmp_eq_u32_e64 s[2:3], 0, v17
	v_lshlrev_b64 v[22:23], v22, v[8:9]
	v_and_b32_e32 v22, 7, v22
	v_cndmask_b32_e64 v17, v17, v19, s[2:3]
	v_lshlrev_b32_e32 v8, 8, v8
	v_lshl_add_u32 v17, v17, 10, v47
	v_cndmask_b32_e64 v12, v12, v22, s[2:3]
	v_and_or_b32 v8, v8, s29, v17
	v_lshl_or_b32 v8, v12, 7, v8
	v_cvt_f32_f16_e32 v49, v8
.LBB265_715:                            ;   in Loop: Header=BB265_528 Depth=1
	s_or_b64 exec, exec, s[8:9]
	v_cmp_gt_i16_sdwa s[6:7], v37, s19 src0_sel:BYTE_0 src1_sel:DWORD
	s_mov_b64 s[2:3], 0
                                        ; implicit-def: $sgpr10
	s_and_saveexec_b64 s[8:9], s[6:7]
	s_xor_b64 s[6:7], exec, s[8:9]
	s_cbranch_execnz .LBB265_978
; %bb.716:                              ;   in Loop: Header=BB265_528 Depth=1
	s_or_saveexec_b64 s[6:7], s[6:7]
	v_mov_b32_e32 v17, s10
	s_xor_b64 exec, exec, s[6:7]
	s_cbranch_execnz .LBB265_981
.LBB265_717:                            ;   in Loop: Header=BB265_528 Depth=1
	s_or_b64 exec, exec, s[6:7]
	v_mov_b32_e32 v8, v37
	s_and_saveexec_b64 s[6:7], s[2:3]
	s_cbranch_execz .LBB265_719
.LBB265_718:                            ;   in Loop: Header=BB265_528 Depth=1
	v_and_b32_e32 v12, 7, v37
	v_ffbh_u32_e32 v12, v12
	v_bfe_u32 v17, v37, 3, 4
	v_min_u32_e32 v12, 32, v12
	v_subrev_u32_e32 v19, 28, v12
	v_sub_u32_e32 v12, 29, v12
	v_cmp_eq_u32_e64 s[2:3], 0, v17
	s_nop 1
	v_cndmask_b32_e64 v12, v17, v12, s[2:3]
	v_cndmask_b32_e64 v17, 0, v19, s[2:3]
	v_lshlrev_b64 v[22:23], v17, v[8:9]
	v_lshlrev_b32_e32 v19, 8, v37
	v_lshl_add_u32 v12, v12, 10, v47
	v_lshlrev_b32_e32 v17, 7, v22
	v_and_or_b32 v12, v19, s29, v12
	v_and_or_b32 v12, v17, s30, v12
	v_cvt_f32_f16_e32 v17, v12
.LBB265_719:                            ;   in Loop: Header=BB265_528 Depth=1
	s_or_b64 exec, exec, s[6:7]
	v_lshrrev_b16_e32 v8, 8, v8
	v_cmp_lt_i16_e64 s[2:3], s19, v8
	s_mov_b64 s[6:7], 0
                                        ; implicit-def: $sgpr26
	s_and_saveexec_b64 s[8:9], s[2:3]
	s_xor_b64 s[8:9], exec, s[8:9]
	s_cbranch_execnz .LBB265_982
; %bb.720:                              ;   in Loop: Header=BB265_528 Depth=1
	s_or_saveexec_b64 s[8:9], s[8:9]
	v_mov_b32_e32 v22, s26
	s_xor_b64 exec, exec, s[8:9]
	s_cbranch_execnz .LBB265_985
.LBB265_721:                            ;   in Loop: Header=BB265_528 Depth=1
	s_or_b64 exec, exec, s[8:9]
	s_and_saveexec_b64 s[8:9], s[6:7]
	s_cbranch_execz .LBB265_723
.LBB265_722:                            ;   in Loop: Header=BB265_528 Depth=1
	v_and_b32_e32 v12, 7, v8
	v_ffbh_u32_e32 v22, v12
	v_min_u32_e32 v27, 32, v22
	v_subrev_u32_e32 v22, 28, v27
	v_bfe_u32 v19, v8, 3, 4
	v_lshlrev_b64 v[22:23], v22, v[8:9]
	v_sub_u32_e32 v23, 29, v27
	v_cmp_eq_u32_e64 s[2:3], 0, v19
	v_and_b32_e32 v22, 7, v22
	v_lshlrev_b32_e32 v8, 8, v8
	v_cndmask_b32_e64 v19, v19, v23, s[2:3]
	v_lshl_add_u32 v19, v19, 10, v47
	v_cndmask_b32_e64 v12, v12, v22, s[2:3]
	v_and_or_b32 v8, v8, s29, v19
	v_lshl_or_b32 v8, v12, 7, v8
	v_cvt_f32_f16_e32 v22, v8
.LBB265_723:                            ;   in Loop: Header=BB265_528 Depth=1
	s_or_b64 exec, exec, s[8:9]
	v_lshrrev_b32_e32 v8, 16, v37
	v_cmp_gt_i16_sdwa s[6:7], v8, s19 src0_sel:BYTE_0 src1_sel:DWORD
	s_mov_b64 s[2:3], 0
                                        ; implicit-def: $sgpr10
	s_and_saveexec_b64 s[8:9], s[6:7]
	s_xor_b64 s[6:7], exec, s[8:9]
	s_cbranch_execnz .LBB265_986
; %bb.724:                              ;   in Loop: Header=BB265_528 Depth=1
	s_or_saveexec_b64 s[6:7], s[6:7]
	v_mov_b32_e32 v23, s10
	s_xor_b64 exec, exec, s[6:7]
	s_cbranch_execnz .LBB265_989
.LBB265_725:                            ;   in Loop: Header=BB265_528 Depth=1
	s_or_b64 exec, exec, s[6:7]
	s_and_saveexec_b64 s[6:7], s[2:3]
	s_cbranch_execz .LBB265_727
.LBB265_726:                            ;   in Loop: Header=BB265_528 Depth=1
	v_bfe_u32 v12, v37, 16, 3
	v_ffbh_u32_e32 v23, v12
	v_bfe_u32 v19, v37, 19, 4
	v_min_u32_e32 v23, 32, v23
	v_subrev_u32_e32 v27, 28, v23
	v_sub_u32_e32 v23, 29, v23
	v_cmp_eq_u32_e64 s[2:3], 0, v19
	v_lshlrev_b64 v[42:43], v27, v[8:9]
	v_and_b32_e32 v27, 7, v42
	v_cndmask_b32_e64 v19, v19, v23, s[2:3]
	v_lshlrev_b32_e32 v8, 8, v8
	v_lshl_add_u32 v19, v19, 10, v47
	v_cndmask_b32_e64 v12, v12, v27, s[2:3]
	v_and_or_b32 v8, v8, s29, v19
	v_lshl_or_b32 v8, v12, 7, v8
	v_cvt_f32_f16_e32 v23, v8
.LBB265_727:                            ;   in Loop: Header=BB265_528 Depth=1
	s_or_b64 exec, exec, s[6:7]
	v_lshrrev_b32_e32 v8, 24, v37
	v_cmp_lt_i16_e64 s[2:3], s19, v8
	s_mov_b64 s[6:7], 0
                                        ; implicit-def: $sgpr26
	s_and_saveexec_b64 s[8:9], s[2:3]
	s_xor_b64 s[8:9], exec, s[8:9]
	s_cbranch_execnz .LBB265_990
; %bb.728:                              ;   in Loop: Header=BB265_528 Depth=1
	s_or_saveexec_b64 s[8:9], s[8:9]
	v_mov_b32_e32 v36, s26
	s_xor_b64 exec, exec, s[8:9]
	s_cbranch_execnz .LBB265_993
.LBB265_729:                            ;   in Loop: Header=BB265_528 Depth=1
	s_or_b64 exec, exec, s[8:9]
	s_and_saveexec_b64 s[8:9], s[6:7]
	s_cbranch_execz .LBB265_731
.LBB265_730:                            ;   in Loop: Header=BB265_528 Depth=1
	v_bfe_u32 v12, v37, 24, 3
	v_ffbh_u32_e32 v27, v12
	v_bfe_u32 v19, v37, 27, 4
	v_min_u32_e32 v27, 32, v27
	v_subrev_u32_e32 v36, 28, v27
	v_sub_u32_e32 v27, 29, v27
	v_cmp_eq_u32_e64 s[2:3], 0, v19
	v_lshlrev_b64 v[36:37], v36, v[8:9]
	v_and_b32_e32 v36, 7, v36
	v_cndmask_b32_e64 v19, v19, v27, s[2:3]
	v_lshlrev_b32_e32 v8, 8, v8
	v_lshl_add_u32 v19, v19, 10, v47
	v_cndmask_b32_e64 v12, v12, v36, s[2:3]
	v_and_or_b32 v8, v8, s29, v19
	v_lshl_or_b32 v8, v12, 7, v8
	v_cvt_f32_f16_e32 v36, v8
.LBB265_731:                            ;   in Loop: Header=BB265_528 Depth=1
	s_or_b64 exec, exec, s[8:9]
	v_pk_mul_f32 v[48:49], v[26:27], v[48:49] op_sel_hi:[0,1]
	v_pk_mul_f32 v[38:39], v[26:27], v[38:39] op_sel_hi:[0,1]
	v_cvt_f16_f32_e32 v8, v49
	v_cvt_f16_f32_e32 v12, v48
	;; [unrolled: 1-line block ×4, first 2 shown]
	v_fma_mixlo_f16 v17, v26, v17, 0
	v_pack_b32_f16 v12, v12, v8
	v_fma_mixlo_f16 v23, v26, v23, 0
	v_pack_b32_f16 v19, v27, v19
	v_perm_b32 v8, v19, v12, s31
	v_perm_b32 v27, v19, v12, s34
	v_fma_mixlo_f16 v12, v26, v22, 0
	v_lshlrev_b32_e32 v12, 16, v12
	v_or_b32_sdwa v17, v12, v17 dst_sel:DWORD dst_unused:UNUSED_PAD src0_sel:DWORD src1_sel:WORD_0
	v_fma_mixlo_f16 v12, v26, v36, 0
	v_lshlrev_b32_e32 v12, 16, v12
	v_or_b32_sdwa v22, v12, v23 dst_sel:DWORD dst_unused:UNUSED_PAD src0_sel:DWORD src1_sel:WORD_0
	s_and_saveexec_b64 s[6:7], s[0:1]
	s_cbranch_execz .LBB265_733
; %bb.732:                              ;   in Loop: Header=BB265_528 Depth=1
	v_add_u32_e32 v12, 1, v56
	v_lshrrev_b32_e32 v19, 16, v27
	v_cmp_lt_i32_e64 s[2:3], v12, v3
	v_accvgpr_read_b32 v36, a8
	v_lshrrev_b32_e32 v26, 16, v8
	v_cndmask_b32_e64 v12, 0, v19, s[2:3]
	v_cmp_lt_i32_e64 s[2:3], v56, v36
	v_lshrrev_b32_e32 v22, 16, v22
	s_nop 0
	v_cndmask_b32_e64 v19, 0, v27, s[2:3]
	v_perm_b32 v27, v12, v19, s35
	v_or_b32_e32 v12, 3, v56
	v_or_b32_e32 v19, 2, v56
	v_cmp_lt_i32_e64 s[2:3], v12, v3
	s_nop 1
	v_cndmask_b32_e64 v12, 0, v26, s[2:3]
	v_cmp_lt_i32_e64 s[2:3], v19, v36
	v_or_b32_e32 v19, 4, v56
	v_lshrrev_b32_e32 v26, 16, v17
	v_cndmask_b32_e64 v8, 0, v8, s[2:3]
	v_perm_b32 v8, v12, v8, s35
	v_or_b32_e32 v12, 5, v56
	v_cmp_lt_i32_e64 s[2:3], v12, v3
	s_nop 1
	v_cndmask_b32_e64 v12, 0, v26, s[2:3]
	v_cmp_lt_i32_e64 s[2:3], v19, v36
	v_or_b32_e32 v19, 6, v56
	s_nop 0
	v_cndmask_b32_e64 v17, 0, v17, s[2:3]
	v_perm_b32 v17, v12, v17, s35
	v_or_b32_e32 v12, 7, v56
	v_cmp_lt_i32_e64 s[2:3], v12, v3
	s_nop 1
	v_cndmask_b32_e64 v12, 0, v22, s[2:3]
	v_cmp_lt_i32_e64 s[2:3], v19, v36
	s_nop 1
	v_cndmask_b32_e64 v19, 0, v23, s[2:3]
	v_perm_b32 v22, v12, v19, s35
.LBB265_733:                            ;   in Loop: Header=BB265_528 Depth=1
	s_or_b64 exec, exec, s[6:7]
	;;#ASMSTART
	v_pk_mul_f16 v12, v60, v27;

	;;#ASMEND
	;;#ASMSTART
	v_pk_mul_f16 v8, v59, v8;

	;;#ASMEND
	;; [unrolled: 4-line block ×4, first 2 shown]
	s_mov_b64 s[2:3], 0
	;;#ASMSTART
	v_pk_add_f16 v8, v12, v8;

	;;#ASMEND
                                        ; implicit-def: $sgpr10
	s_nop 0
	;;#ASMSTART
	v_pk_add_f16 v8, v8, v17;

	;;#ASMEND
	s_nop 0
	;;#ASMSTART
	v_pk_add_f16 v8, v8, v19;

	;;#ASMEND
	s_nop 0
	v_lshrrev_b32_e32 v12, 16, v8
	v_and_b32_e32 v8, 0xffff, v8
	;;#ASMSTART
	v_cvt_f32_f16 v22, v8;
	;;#ASMEND
	;;#ASMSTART
	v_cvt_f32_f16 v23, v12;
	;;#ASMEND
	flat_load_dwordx2 v[26:27], v[24:25] offset:3072
	v_accvgpr_read_b32 v25, a5
	v_accvgpr_read_b32 v24, a4
	flat_load_dword v24, v[24:25]
	s_waitcnt vmcnt(0) lgkmcnt(0)
	v_cmp_gt_i16_sdwa s[6:7], v26, s19 src0_sel:BYTE_0 src1_sel:DWORD
	s_and_saveexec_b64 s[8:9], s[6:7]
	s_xor_b64 s[6:7], exec, s[8:9]
	s_cbranch_execnz .LBB265_994
; %bb.734:                              ;   in Loop: Header=BB265_528 Depth=1
	s_or_saveexec_b64 s[6:7], s[6:7]
	v_mov_b32_e32 v36, s10
	s_xor_b64 exec, exec, s[6:7]
	s_cbranch_execnz .LBB265_997
.LBB265_735:                            ;   in Loop: Header=BB265_528 Depth=1
	s_or_b64 exec, exec, s[6:7]
	s_and_saveexec_b64 s[6:7], s[2:3]
	s_cbranch_execz .LBB265_737
.LBB265_736:                            ;   in Loop: Header=BB265_528 Depth=1
	v_and_b32_e32 v8, 7, v26
	v_ffbh_u32_e32 v8, v8
	v_bfe_u32 v12, v26, 3, 4
	v_min_u32_e32 v8, 32, v8
	v_subrev_u32_e32 v17, 28, v8
	v_sub_u32_e32 v8, 29, v8
	v_cmp_eq_u32_e64 s[2:3], 0, v12
	s_nop 1
	v_cndmask_b32_e64 v8, v12, v8, s[2:3]
	v_cndmask_b32_e64 v12, 0, v17, s[2:3]
	v_lshlrev_b64 v[36:37], v12, v[26:27]
	v_lshlrev_b32_e32 v17, 8, v26
	v_lshl_add_u32 v8, v8, 10, v47
	v_lshlrev_b32_e32 v12, 7, v36
	v_and_or_b32 v8, v17, s29, v8
	v_and_or_b32 v8, v12, s30, v8
	v_cvt_f32_f16_e32 v36, v8
.LBB265_737:                            ;   in Loop: Header=BB265_528 Depth=1
	s_or_b64 exec, exec, s[6:7]
	v_lshrrev_b16_e32 v8, 8, v26
	v_cmp_lt_i16_e64 s[2:3], s19, v8
	s_mov_b64 s[6:7], 0
                                        ; implicit-def: $sgpr26
	s_and_saveexec_b64 s[8:9], s[2:3]
	s_xor_b64 s[8:9], exec, s[8:9]
	s_cbranch_execnz .LBB265_998
; %bb.738:                              ;   in Loop: Header=BB265_528 Depth=1
	s_or_saveexec_b64 s[8:9], s[8:9]
	v_mov_b32_e32 v38, s26
	s_xor_b64 exec, exec, s[8:9]
	s_cbranch_execnz .LBB265_1001
.LBB265_739:                            ;   in Loop: Header=BB265_528 Depth=1
	s_or_b64 exec, exec, s[8:9]
	s_and_saveexec_b64 s[8:9], s[6:7]
	s_cbranch_execz .LBB265_741
.LBB265_740:                            ;   in Loop: Header=BB265_528 Depth=1
	v_and_b32_e32 v12, 7, v8
	v_ffbh_u32_e32 v19, v12
	v_bfe_u32 v17, v8, 3, 4
	v_min_u32_e32 v19, 32, v19
	v_subrev_u32_e32 v25, 28, v19
	v_sub_u32_e32 v19, 29, v19
	v_cmp_eq_u32_e64 s[2:3], 0, v17
	v_lshlrev_b64 v[38:39], v25, v[8:9]
	v_and_b32_e32 v25, 7, v38
	v_cndmask_b32_e64 v17, v17, v19, s[2:3]
	v_lshlrev_b32_e32 v8, 8, v8
	v_lshl_add_u32 v17, v17, 10, v47
	v_cndmask_b32_e64 v12, v12, v25, s[2:3]
	v_and_or_b32 v8, v8, s29, v17
	v_lshl_or_b32 v8, v12, 7, v8
	v_cvt_f32_f16_e32 v38, v8
.LBB265_741:                            ;   in Loop: Header=BB265_528 Depth=1
	s_or_b64 exec, exec, s[8:9]
	v_lshrrev_b32_e32 v8, 16, v26
	v_cmp_gt_i16_sdwa s[6:7], v8, s19 src0_sel:BYTE_0 src1_sel:DWORD
	s_mov_b64 s[2:3], 0
                                        ; implicit-def: $sgpr10
	s_and_saveexec_b64 s[8:9], s[6:7]
	s_xor_b64 s[6:7], exec, s[8:9]
	s_cbranch_execnz .LBB265_1002
; %bb.742:                              ;   in Loop: Header=BB265_528 Depth=1
	s_or_saveexec_b64 s[6:7], s[6:7]
	v_mov_b32_e32 v37, s10
	s_xor_b64 exec, exec, s[6:7]
	s_cbranch_execnz .LBB265_1005
.LBB265_743:                            ;   in Loop: Header=BB265_528 Depth=1
	s_or_b64 exec, exec, s[6:7]
	s_and_saveexec_b64 s[6:7], s[2:3]
	s_cbranch_execz .LBB265_745
.LBB265_744:                            ;   in Loop: Header=BB265_528 Depth=1
	v_bfe_u32 v12, v26, 16, 3
	v_ffbh_u32_e32 v19, v12
	v_bfe_u32 v17, v26, 19, 4
	v_min_u32_e32 v19, 32, v19
	v_subrev_u32_e32 v25, 28, v19
	v_sub_u32_e32 v19, 29, v19
	v_cmp_eq_u32_e64 s[2:3], 0, v17
	v_lshlrev_b64 v[48:49], v25, v[8:9]
	v_and_b32_e32 v25, 7, v48
	v_cndmask_b32_e64 v17, v17, v19, s[2:3]
	v_lshlrev_b32_e32 v8, 8, v8
	v_lshl_add_u32 v17, v17, 10, v47
	v_cndmask_b32_e64 v12, v12, v25, s[2:3]
	v_and_or_b32 v8, v8, s29, v17
	v_lshl_or_b32 v8, v12, 7, v8
	v_cvt_f32_f16_e32 v37, v8
.LBB265_745:                            ;   in Loop: Header=BB265_528 Depth=1
	s_or_b64 exec, exec, s[6:7]
	v_lshrrev_b32_e32 v8, 24, v26
	v_cmp_lt_i16_e64 s[2:3], s19, v8
	s_mov_b64 s[6:7], 0
                                        ; implicit-def: $sgpr26
	s_and_saveexec_b64 s[8:9], s[2:3]
	s_xor_b64 s[8:9], exec, s[8:9]
	s_cbranch_execnz .LBB265_1006
; %bb.746:                              ;   in Loop: Header=BB265_528 Depth=1
	s_or_saveexec_b64 s[8:9], s[8:9]
	v_mov_b32_e32 v39, s26
	s_xor_b64 exec, exec, s[8:9]
	s_cbranch_execnz .LBB265_1009
.LBB265_747:                            ;   in Loop: Header=BB265_528 Depth=1
	s_or_b64 exec, exec, s[8:9]
	s_and_saveexec_b64 s[8:9], s[6:7]
	s_cbranch_execz .LBB265_749
.LBB265_748:                            ;   in Loop: Header=BB265_528 Depth=1
	v_bfe_u32 v12, v26, 24, 3
	v_ffbh_u32_e32 v19, v12
	v_bfe_u32 v17, v26, 27, 4
	v_min_u32_e32 v19, 32, v19
	v_subrev_u32_e32 v25, 28, v19
	v_sub_u32_e32 v19, 29, v19
	v_cmp_eq_u32_e64 s[2:3], 0, v17
	v_lshlrev_b64 v[48:49], v25, v[8:9]
	v_and_b32_e32 v25, 7, v48
	v_cndmask_b32_e64 v17, v17, v19, s[2:3]
	v_lshlrev_b32_e32 v8, 8, v8
	v_lshl_add_u32 v17, v17, 10, v47
	v_cndmask_b32_e64 v12, v12, v25, s[2:3]
	v_and_or_b32 v8, v8, s29, v17
	v_lshl_or_b32 v8, v12, 7, v8
	v_cvt_f32_f16_e32 v39, v8
.LBB265_749:                            ;   in Loop: Header=BB265_528 Depth=1
	s_or_b64 exec, exec, s[8:9]
	v_cmp_gt_i16_sdwa s[6:7], v27, s19 src0_sel:BYTE_0 src1_sel:DWORD
	s_mov_b64 s[2:3], 0
                                        ; implicit-def: $sgpr10
	s_and_saveexec_b64 s[8:9], s[6:7]
	s_xor_b64 s[6:7], exec, s[8:9]
	s_cbranch_execnz .LBB265_1010
; %bb.750:                              ;   in Loop: Header=BB265_528 Depth=1
	s_or_saveexec_b64 s[6:7], s[6:7]
	v_mov_b32_e32 v17, s10
	s_xor_b64 exec, exec, s[6:7]
	s_cbranch_execnz .LBB265_1013
.LBB265_751:                            ;   in Loop: Header=BB265_528 Depth=1
	s_or_b64 exec, exec, s[6:7]
	v_mov_b32_e32 v8, v27
	s_and_saveexec_b64 s[6:7], s[2:3]
	s_cbranch_execz .LBB265_753
.LBB265_752:                            ;   in Loop: Header=BB265_528 Depth=1
	v_and_b32_e32 v12, 7, v27
	v_ffbh_u32_e32 v12, v12
	v_bfe_u32 v17, v27, 3, 4
	v_min_u32_e32 v12, 32, v12
	v_subrev_u32_e32 v19, 28, v12
	v_sub_u32_e32 v12, 29, v12
	v_cmp_eq_u32_e64 s[2:3], 0, v17
	s_nop 1
	v_cndmask_b32_e64 v12, v17, v12, s[2:3]
	v_cndmask_b32_e64 v17, 0, v19, s[2:3]
	v_lshlrev_b64 v[48:49], v17, v[8:9]
	v_lshlrev_b32_e32 v19, 8, v27
	v_lshl_add_u32 v12, v12, 10, v47
	v_lshlrev_b32_e32 v17, 7, v48
	v_and_or_b32 v12, v19, s29, v12
	v_and_or_b32 v12, v17, s30, v12
	v_cvt_f32_f16_e32 v17, v12
.LBB265_753:                            ;   in Loop: Header=BB265_528 Depth=1
	s_or_b64 exec, exec, s[6:7]
	v_lshrrev_b16_e32 v8, 8, v8
	v_cmp_lt_i16_e64 s[2:3], s19, v8
	s_mov_b64 s[6:7], 0
                                        ; implicit-def: $sgpr26
	s_and_saveexec_b64 s[8:9], s[2:3]
	s_xor_b64 s[8:9], exec, s[8:9]
	s_cbranch_execnz .LBB265_1014
; %bb.754:                              ;   in Loop: Header=BB265_528 Depth=1
	s_or_saveexec_b64 s[8:9], s[8:9]
	v_mov_b32_e32 v25, s26
	s_xor_b64 exec, exec, s[8:9]
	s_cbranch_execnz .LBB265_1017
.LBB265_755:                            ;   in Loop: Header=BB265_528 Depth=1
	s_or_b64 exec, exec, s[8:9]
	s_and_saveexec_b64 s[8:9], s[6:7]
	s_cbranch_execz .LBB265_757
.LBB265_756:                            ;   in Loop: Header=BB265_528 Depth=1
	v_and_b32_e32 v12, 7, v8
	v_ffbh_u32_e32 v25, v12
	v_bfe_u32 v19, v8, 3, 4
	v_min_u32_e32 v25, 32, v25
	v_subrev_u32_e32 v26, 28, v25
	v_sub_u32_e32 v25, 29, v25
	v_cmp_eq_u32_e64 s[2:3], 0, v19
	v_lshlrev_b64 v[48:49], v26, v[8:9]
	v_and_b32_e32 v26, 7, v48
	v_cndmask_b32_e64 v19, v19, v25, s[2:3]
	v_lshlrev_b32_e32 v8, 8, v8
	v_lshl_add_u32 v19, v19, 10, v47
	v_cndmask_b32_e64 v12, v12, v26, s[2:3]
	v_and_or_b32 v8, v8, s29, v19
	v_lshl_or_b32 v8, v12, 7, v8
	v_cvt_f32_f16_e32 v25, v8
.LBB265_757:                            ;   in Loop: Header=BB265_528 Depth=1
	s_or_b64 exec, exec, s[8:9]
	v_lshrrev_b32_e32 v8, 16, v27
	v_cmp_gt_i16_sdwa s[6:7], v8, s19 src0_sel:BYTE_0 src1_sel:DWORD
	s_mov_b64 s[2:3], 0
                                        ; implicit-def: $sgpr10
	s_and_saveexec_b64 s[8:9], s[6:7]
	s_xor_b64 s[6:7], exec, s[8:9]
	s_cbranch_execnz .LBB265_1018
; %bb.758:                              ;   in Loop: Header=BB265_528 Depth=1
	s_or_saveexec_b64 s[6:7], s[6:7]
	v_mov_b32_e32 v26, s10
	s_xor_b64 exec, exec, s[6:7]
	s_cbranch_execnz .LBB265_1021
.LBB265_759:                            ;   in Loop: Header=BB265_528 Depth=1
	s_or_b64 exec, exec, s[6:7]
	s_and_saveexec_b64 s[6:7], s[2:3]
	s_cbranch_execz .LBB265_761
.LBB265_760:                            ;   in Loop: Header=BB265_528 Depth=1
	v_bfe_u32 v12, v27, 16, 3
	v_ffbh_u32_e32 v26, v12
	v_bfe_u32 v19, v27, 19, 4
	v_min_u32_e32 v26, 32, v26
	v_subrev_u32_e32 v48, 28, v26
	v_sub_u32_e32 v26, 29, v26
	v_cmp_eq_u32_e64 s[2:3], 0, v19
	v_lshlrev_b64 v[48:49], v48, v[8:9]
	v_and_b32_e32 v48, 7, v48
	v_cndmask_b32_e64 v19, v19, v26, s[2:3]
	v_lshlrev_b32_e32 v8, 8, v8
	v_lshl_add_u32 v19, v19, 10, v47
	v_cndmask_b32_e64 v12, v12, v48, s[2:3]
	v_and_or_b32 v8, v8, s29, v19
	v_lshl_or_b32 v8, v12, 7, v8
	v_cvt_f32_f16_e32 v26, v8
.LBB265_761:                            ;   in Loop: Header=BB265_528 Depth=1
	s_or_b64 exec, exec, s[6:7]
	v_lshrrev_b32_e32 v8, 24, v27
	v_cmp_lt_i16_e64 s[2:3], s19, v8
	s_mov_b64 s[6:7], 0
                                        ; implicit-def: $sgpr26
	s_and_saveexec_b64 s[8:9], s[2:3]
	s_xor_b64 s[8:9], exec, s[8:9]
	s_cbranch_execnz .LBB265_1022
; %bb.762:                              ;   in Loop: Header=BB265_528 Depth=1
	s_or_saveexec_b64 s[8:9], s[8:9]
	v_mov_b32_e32 v48, s26
	s_xor_b64 exec, exec, s[8:9]
	s_cbranch_execnz .LBB265_1025
.LBB265_763:                            ;   in Loop: Header=BB265_528 Depth=1
	s_or_b64 exec, exec, s[8:9]
	s_and_saveexec_b64 s[8:9], s[6:7]
	s_cbranch_execz .LBB265_765
.LBB265_764:                            ;   in Loop: Header=BB265_528 Depth=1
	v_bfe_u32 v12, v27, 24, 3
	v_bfe_u32 v19, v27, 27, 4
	v_ffbh_u32_e32 v27, v12
	v_min_u32_e32 v27, 32, v27
	v_subrev_u32_e32 v48, 28, v27
	v_sub_u32_e32 v27, 29, v27
	v_cmp_eq_u32_e64 s[2:3], 0, v19
	v_lshlrev_b64 v[48:49], v48, v[8:9]
	v_and_b32_e32 v48, 7, v48
	v_cndmask_b32_e64 v19, v19, v27, s[2:3]
	v_lshlrev_b32_e32 v8, 8, v8
	v_lshl_add_u32 v19, v19, 10, v47
	v_cndmask_b32_e64 v12, v12, v48, s[2:3]
	v_and_or_b32 v8, v8, s29, v19
	v_lshl_or_b32 v8, v12, 7, v8
	v_cvt_f32_f16_e32 v48, v8
.LBB265_765:                            ;   in Loop: Header=BB265_528 Depth=1
	s_or_b64 exec, exec, s[8:9]
	v_pk_mul_f32 v[38:39], v[24:25], v[38:39] op_sel_hi:[0,1]
	v_pk_mul_f32 v[36:37], v[24:25], v[36:37] op_sel_hi:[0,1]
	v_cvt_f16_f32_e32 v8, v39
	v_cvt_f16_f32_e32 v12, v38
	;; [unrolled: 1-line block ×4, first 2 shown]
	v_fma_mixlo_f16 v17, v24, v17, 0
	v_pack_b32_f16 v12, v12, v8
	v_pack_b32_f16 v19, v27, v19
	v_perm_b32 v8, v19, v12, s31
	v_perm_b32 v27, v19, v12, s34
	v_fma_mixlo_f16 v12, v24, v25, 0
	v_lshlrev_b32_e32 v12, 16, v12
	v_or_b32_sdwa v17, v12, v17 dst_sel:DWORD dst_unused:UNUSED_PAD src0_sel:DWORD src1_sel:WORD_0
	v_fma_mixlo_f16 v12, v24, v48, 0
	v_fma_mixlo_f16 v25, v24, v26, 0
	v_lshlrev_b32_e32 v12, 16, v12
	v_or_b32_sdwa v24, v12, v25 dst_sel:DWORD dst_unused:UNUSED_PAD src0_sel:DWORD src1_sel:WORD_0
	s_and_saveexec_b64 s[6:7], s[0:1]
	s_cbranch_execz .LBB265_767
; %bb.766:                              ;   in Loop: Header=BB265_528 Depth=1
	v_add_u32_e32 v12, 1, v56
	v_lshrrev_b32_e32 v19, 16, v27
	v_cmp_lt_i32_e64 s[2:3], v12, v3
	v_accvgpr_read_b32 v36, a8
	v_lshrrev_b32_e32 v26, 16, v8
	v_cndmask_b32_e64 v12, 0, v19, s[2:3]
	v_cmp_lt_i32_e64 s[2:3], v56, v36
	v_lshrrev_b32_e32 v24, 16, v24
	s_nop 0
	v_cndmask_b32_e64 v19, 0, v27, s[2:3]
	v_perm_b32 v27, v12, v19, s35
	v_or_b32_e32 v12, 3, v56
	v_or_b32_e32 v19, 2, v56
	v_cmp_lt_i32_e64 s[2:3], v12, v3
	s_nop 1
	v_cndmask_b32_e64 v12, 0, v26, s[2:3]
	v_cmp_lt_i32_e64 s[2:3], v19, v36
	v_or_b32_e32 v19, 4, v56
	v_lshrrev_b32_e32 v26, 16, v17
	v_cndmask_b32_e64 v8, 0, v8, s[2:3]
	v_perm_b32 v8, v12, v8, s35
	v_or_b32_e32 v12, 5, v56
	v_cmp_lt_i32_e64 s[2:3], v12, v3
	s_nop 1
	v_cndmask_b32_e64 v12, 0, v26, s[2:3]
	v_cmp_lt_i32_e64 s[2:3], v19, v36
	v_or_b32_e32 v19, 6, v56
	s_nop 0
	v_cndmask_b32_e64 v17, 0, v17, s[2:3]
	v_perm_b32 v17, v12, v17, s35
	v_or_b32_e32 v12, 7, v56
	v_cmp_lt_i32_e64 s[2:3], v12, v3
	s_nop 1
	v_cndmask_b32_e64 v12, 0, v24, s[2:3]
	v_cmp_lt_i32_e64 s[2:3], v19, v36
	s_nop 1
	v_cndmask_b32_e64 v19, 0, v25, s[2:3]
	v_perm_b32 v24, v12, v19, s35
.LBB265_767:                            ;   in Loop: Header=BB265_528 Depth=1
	s_or_b64 exec, exec, s[6:7]
	v_add_f32_e32 v0, v0, v1
	v_add_f32_e32 v29, v29, v0
	;; [unrolled: 1-line block ×10, first 2 shown]
	;;#ASMSTART
	v_pk_mul_f16 v0, v60, v27;

	;;#ASMEND
	;;#ASMSTART
	v_pk_mul_f16 v1, v59, v8;

	;;#ASMEND
	;;#ASMSTART
	v_pk_mul_f16 v2, v58, v17;

	;;#ASMEND
	;;#ASMSTART
	v_pk_mul_f16 v8, v57, v24;

	;;#ASMEND
	v_add_f32_e32 v12, v61, v62
	;;#ASMSTART
	v_pk_add_f16 v0, v0, v1;

	;;#ASMEND
	v_add_f32_e32 v28, v28, v12
	;;#ASMSTART
	v_pk_add_f16 v0, v0, v2;

	;;#ASMEND
	s_nop 0
	;;#ASMSTART
	v_pk_add_f16 v0, v0, v8;

	;;#ASMEND
	s_nop 0
	v_lshrrev_b32_e32 v1, 16, v0
	v_and_b32_e32 v0, 0xffff, v0
	;;#ASMSTART
	v_cvt_f32_f16 v0, v0;
	;;#ASMEND
	;;#ASMSTART
	v_cvt_f32_f16 v1, v1;
	;;#ASMEND
	s_nop 0
	v_add_f32_e32 v0, v0, v1
	v_add_f32_e32 v34, v34, v0
	s_and_saveexec_b64 s[6:7], vcc
	s_cbranch_execz .LBB265_526
; %bb.768:                              ;   in Loop: Header=BB265_528 Depth=1
	v_lshl_add_u64 v[0:1], v[20:21], 0, v[14:15]
	flat_load_dwordx2 v[24:25], v[0:1]
	v_accvgpr_read_b32 v0, a4
	v_accvgpr_read_b32 v1, a5
	flat_load_dword v20, v[0:1]
	s_mov_b64 s[2:3], 0
                                        ; implicit-def: $sgpr26
	s_waitcnt vmcnt(0) lgkmcnt(0)
	v_cmp_gt_i16_sdwa s[8:9], v24, s19 src0_sel:BYTE_0 src1_sel:DWORD
	s_and_saveexec_b64 s[10:11], s[8:9]
	s_xor_b64 s[8:9], exec, s[10:11]
	s_cbranch_execnz .LBB265_1026
; %bb.769:                              ;   in Loop: Header=BB265_528 Depth=1
	s_or_saveexec_b64 s[8:9], s[8:9]
	v_mov_b32_e32 v26, s26
	s_xor_b64 exec, exec, s[8:9]
	s_cbranch_execnz .LBB265_1029
.LBB265_770:                            ;   in Loop: Header=BB265_528 Depth=1
	s_or_b64 exec, exec, s[8:9]
	s_and_saveexec_b64 s[8:9], s[2:3]
	s_cbranch_execz .LBB265_772
.LBB265_771:                            ;   in Loop: Header=BB265_528 Depth=1
	v_and_b32_e32 v0, 7, v24
	v_ffbh_u32_e32 v0, v0
	v_bfe_u32 v1, v24, 3, 4
	v_min_u32_e32 v0, 32, v0
	v_subrev_u32_e32 v2, 28, v0
	v_sub_u32_e32 v0, 29, v0
	v_cmp_eq_u32_e64 s[2:3], 0, v1
	s_nop 1
	v_cndmask_b32_e64 v8, v1, v0, s[2:3]
	v_cndmask_b32_e64 v0, 0, v2, s[2:3]
	v_lshlrev_b64 v[0:1], v0, v[24:25]
	v_lshlrev_b32_e32 v1, 8, v24
	v_lshl_add_u32 v2, v8, 10, v47
	v_lshlrev_b32_e32 v0, 7, v0
	v_and_or_b32 v1, v1, s29, v2
	v_and_or_b32 v0, v0, s30, v1
	v_cvt_f32_f16_e32 v26, v0
.LBB265_772:                            ;   in Loop: Header=BB265_528 Depth=1
	s_or_b64 exec, exec, s[8:9]
	v_lshrrev_b16_e32 v8, 8, v24
	v_cmp_lt_i16_e64 s[2:3], s19, v8
	s_mov_b64 s[8:9], 0
                                        ; implicit-def: $sgpr36
	s_and_saveexec_b64 s[10:11], s[2:3]
	s_xor_b64 s[10:11], exec, s[10:11]
	s_cbranch_execnz .LBB265_1030
; %bb.773:                              ;   in Loop: Header=BB265_528 Depth=1
	s_or_saveexec_b64 s[10:11], s[10:11]
	v_mov_b32_e32 v36, s36
	s_xor_b64 exec, exec, s[10:11]
	s_cbranch_execnz .LBB265_1033
.LBB265_774:                            ;   in Loop: Header=BB265_528 Depth=1
	s_or_b64 exec, exec, s[10:11]
	s_and_saveexec_b64 s[10:11], s[8:9]
	s_cbranch_execz .LBB265_776
.LBB265_775:                            ;   in Loop: Header=BB265_528 Depth=1
	v_and_b32_e32 v2, 7, v8
	v_ffbh_u32_e32 v0, v2
	v_min_u32_e32 v13, 32, v0
	v_subrev_u32_e32 v0, 28, v13
	v_bfe_u32 v12, v8, 3, 4
	v_lshlrev_b64 v[0:1], v0, v[8:9]
	v_sub_u32_e32 v1, 29, v13
	v_cmp_eq_u32_e64 s[2:3], 0, v12
	v_and_b32_e32 v0, 7, v0
	s_nop 0
	v_cndmask_b32_e64 v1, v12, v1, s[2:3]
	v_cndmask_b32_e64 v0, v2, v0, s[2:3]
	v_lshlrev_b32_e32 v2, 8, v8
	v_lshl_add_u32 v1, v1, 10, v47
	v_and_or_b32 v1, v2, s29, v1
	v_lshl_or_b32 v0, v0, 7, v1
	v_cvt_f32_f16_e32 v36, v0
.LBB265_776:                            ;   in Loop: Header=BB265_528 Depth=1
	s_or_b64 exec, exec, s[10:11]
	v_lshrrev_b32_e32 v8, 16, v24
	v_cmp_gt_i16_sdwa s[8:9], v8, s19 src0_sel:BYTE_0 src1_sel:DWORD
	s_mov_b64 s[2:3], 0
                                        ; implicit-def: $sgpr26
	s_and_saveexec_b64 s[10:11], s[8:9]
	s_xor_b64 s[8:9], exec, s[10:11]
	s_cbranch_execnz .LBB265_1034
; %bb.777:                              ;   in Loop: Header=BB265_528 Depth=1
	s_or_saveexec_b64 s[8:9], s[8:9]
	v_mov_b32_e32 v27, s26
	s_xor_b64 exec, exec, s[8:9]
	s_cbranch_execnz .LBB265_1037
.LBB265_778:                            ;   in Loop: Header=BB265_528 Depth=1
	s_or_b64 exec, exec, s[8:9]
	s_and_saveexec_b64 s[8:9], s[2:3]
	s_cbranch_execz .LBB265_780
.LBB265_779:                            ;   in Loop: Header=BB265_528 Depth=1
	v_bfe_u32 v2, v24, 16, 3
	v_ffbh_u32_e32 v0, v2
	v_min_u32_e32 v13, 32, v0
	v_subrev_u32_e32 v0, 28, v13
	v_bfe_u32 v12, v24, 19, 4
	v_lshlrev_b64 v[0:1], v0, v[8:9]
	v_sub_u32_e32 v1, 29, v13
	v_cmp_eq_u32_e64 s[2:3], 0, v12
	v_and_b32_e32 v0, 7, v0
	s_nop 0
	v_cndmask_b32_e64 v1, v12, v1, s[2:3]
	v_cndmask_b32_e64 v0, v2, v0, s[2:3]
	v_lshlrev_b32_e32 v2, 8, v8
	v_lshl_add_u32 v1, v1, 10, v47
	v_and_or_b32 v1, v2, s29, v1
	v_lshl_or_b32 v0, v0, 7, v1
	v_cvt_f32_f16_e32 v27, v0
.LBB265_780:                            ;   in Loop: Header=BB265_528 Depth=1
	s_or_b64 exec, exec, s[8:9]
	v_lshrrev_b32_e32 v8, 24, v24
	v_cmp_lt_i16_e64 s[2:3], s19, v8
	s_mov_b64 s[8:9], 0
                                        ; implicit-def: $sgpr36
	s_and_saveexec_b64 s[10:11], s[2:3]
	s_xor_b64 s[10:11], exec, s[10:11]
	s_cbranch_execnz .LBB265_1038
; %bb.781:                              ;   in Loop: Header=BB265_528 Depth=1
	s_or_saveexec_b64 s[10:11], s[10:11]
	v_mov_b32_e32 v37, s36
	s_xor_b64 exec, exec, s[10:11]
	s_cbranch_execnz .LBB265_1041
.LBB265_782:                            ;   in Loop: Header=BB265_528 Depth=1
	s_or_b64 exec, exec, s[10:11]
	s_and_saveexec_b64 s[10:11], s[8:9]
	s_cbranch_execz .LBB265_784
.LBB265_783:                            ;   in Loop: Header=BB265_528 Depth=1
	v_bfe_u32 v2, v24, 24, 3
	v_ffbh_u32_e32 v0, v2
	v_min_u32_e32 v13, 32, v0
	v_subrev_u32_e32 v0, 28, v13
	v_bfe_u32 v12, v24, 27, 4
	v_lshlrev_b64 v[0:1], v0, v[8:9]
	v_sub_u32_e32 v1, 29, v13
	v_cmp_eq_u32_e64 s[2:3], 0, v12
	v_and_b32_e32 v0, 7, v0
	s_nop 0
	v_cndmask_b32_e64 v1, v12, v1, s[2:3]
	v_cndmask_b32_e64 v0, v2, v0, s[2:3]
	v_lshlrev_b32_e32 v2, 8, v8
	v_lshl_add_u32 v1, v1, 10, v47
	v_and_or_b32 v1, v2, s29, v1
	v_lshl_or_b32 v0, v0, 7, v1
	v_cvt_f32_f16_e32 v37, v0
.LBB265_784:                            ;   in Loop: Header=BB265_528 Depth=1
	s_or_b64 exec, exec, s[10:11]
	v_cmp_gt_i16_sdwa s[8:9], v25, s19 src0_sel:BYTE_0 src1_sel:DWORD
	s_mov_b64 s[2:3], 0
                                        ; implicit-def: $sgpr26
	s_and_saveexec_b64 s[10:11], s[8:9]
	s_xor_b64 s[8:9], exec, s[10:11]
	s_cbranch_execnz .LBB265_1042
; %bb.785:                              ;   in Loop: Header=BB265_528 Depth=1
	s_or_saveexec_b64 s[8:9], s[8:9]
	v_mov_b32_e32 v0, s26
	s_xor_b64 exec, exec, s[8:9]
	s_cbranch_execnz .LBB265_1045
.LBB265_786:                            ;   in Loop: Header=BB265_528 Depth=1
	s_or_b64 exec, exec, s[8:9]
	v_mov_b32_e32 v8, v25
	s_and_saveexec_b64 s[8:9], s[2:3]
	s_cbranch_execz .LBB265_788
.LBB265_787:                            ;   in Loop: Header=BB265_528 Depth=1
	v_and_b32_e32 v0, 7, v25
	v_ffbh_u32_e32 v0, v0
	v_bfe_u32 v1, v25, 3, 4
	v_min_u32_e32 v0, 32, v0
	v_subrev_u32_e32 v2, 28, v0
	v_sub_u32_e32 v0, 29, v0
	v_cmp_eq_u32_e64 s[2:3], 0, v1
	s_nop 1
	v_cndmask_b32_e64 v12, v1, v0, s[2:3]
	v_cndmask_b32_e64 v0, 0, v2, s[2:3]
	v_lshlrev_b64 v[0:1], v0, v[8:9]
	v_lshlrev_b32_e32 v1, 8, v25
	v_lshl_add_u32 v2, v12, 10, v47
	v_lshlrev_b32_e32 v0, 7, v0
	v_and_or_b32 v1, v1, s29, v2
	v_and_or_b32 v0, v0, s30, v1
	v_cvt_f32_f16_e32 v0, v0
.LBB265_788:                            ;   in Loop: Header=BB265_528 Depth=1
	s_or_b64 exec, exec, s[8:9]
	v_lshrrev_b16_e32 v8, 8, v8
	v_cmp_lt_i16_e64 s[2:3], s19, v8
	s_mov_b64 s[8:9], 0
                                        ; implicit-def: $sgpr36
	s_and_saveexec_b64 s[10:11], s[2:3]
	s_xor_b64 s[10:11], exec, s[10:11]
	s_cbranch_execnz .LBB265_1046
; %bb.789:                              ;   in Loop: Header=BB265_528 Depth=1
	s_or_saveexec_b64 s[10:11], s[10:11]
	v_mov_b32_e32 v1, s36
	s_xor_b64 exec, exec, s[10:11]
	s_cbranch_execnz .LBB265_1049
.LBB265_790:                            ;   in Loop: Header=BB265_528 Depth=1
	s_or_b64 exec, exec, s[10:11]
	s_and_saveexec_b64 s[10:11], s[8:9]
	s_cbranch_execz .LBB265_792
.LBB265_791:                            ;   in Loop: Header=BB265_528 Depth=1
	v_and_b32_e32 v1, 7, v8
	v_ffbh_u32_e32 v12, v1
	v_bfe_u32 v2, v8, 3, 4
	v_min_u32_e32 v12, 32, v12
	v_subrev_u32_e32 v13, 28, v12
	v_sub_u32_e32 v12, 29, v12
	v_cmp_eq_u32_e64 s[2:3], 0, v2
	v_lshlrev_b64 v[22:23], v13, v[8:9]
	v_and_b32_e32 v13, 7, v22
	v_cndmask_b32_e64 v2, v2, v12, s[2:3]
	v_lshlrev_b32_e32 v8, 8, v8
	v_lshl_add_u32 v2, v2, 10, v47
	v_cndmask_b32_e64 v1, v1, v13, s[2:3]
	v_and_or_b32 v2, v8, s29, v2
	v_lshl_or_b32 v1, v1, 7, v2
	v_cvt_f32_f16_e32 v1, v1
.LBB265_792:                            ;   in Loop: Header=BB265_528 Depth=1
	s_or_b64 exec, exec, s[10:11]
	v_lshrrev_b32_e32 v8, 16, v25
	v_cmp_gt_i16_sdwa s[8:9], v8, s19 src0_sel:BYTE_0 src1_sel:DWORD
	s_mov_b64 s[2:3], 0
                                        ; implicit-def: $sgpr26
	s_and_saveexec_b64 s[10:11], s[8:9]
	s_xor_b64 s[8:9], exec, s[10:11]
	s_cbranch_execnz .LBB265_1050
; %bb.793:                              ;   in Loop: Header=BB265_528 Depth=1
	s_or_saveexec_b64 s[8:9], s[8:9]
	v_mov_b32_e32 v2, s26
	s_xor_b64 exec, exec, s[8:9]
	s_cbranch_execnz .LBB265_1053
.LBB265_794:                            ;   in Loop: Header=BB265_528 Depth=1
	s_or_b64 exec, exec, s[8:9]
	s_and_saveexec_b64 s[8:9], s[2:3]
	s_cbranch_execz .LBB265_796
.LBB265_795:                            ;   in Loop: Header=BB265_528 Depth=1
	v_bfe_u32 v2, v25, 16, 3
	v_ffbh_u32_e32 v13, v2
	v_bfe_u32 v12, v25, 19, 4
	v_min_u32_e32 v13, 32, v13
	v_subrev_u32_e32 v17, 28, v13
	v_sub_u32_e32 v13, 29, v13
	v_cmp_eq_u32_e64 s[2:3], 0, v12
	v_lshlrev_b64 v[22:23], v17, v[8:9]
	v_and_b32_e32 v17, 7, v22
	v_cndmask_b32_e64 v12, v12, v13, s[2:3]
	v_lshlrev_b32_e32 v8, 8, v8
	v_lshl_add_u32 v12, v12, 10, v47
	v_cndmask_b32_e64 v2, v2, v17, s[2:3]
	v_and_or_b32 v8, v8, s29, v12
	v_lshl_or_b32 v2, v2, 7, v8
	v_cvt_f32_f16_e32 v2, v2
.LBB265_796:                            ;   in Loop: Header=BB265_528 Depth=1
	s_or_b64 exec, exec, s[8:9]
	v_lshrrev_b32_e32 v8, 24, v25
	v_cmp_lt_i16_e64 s[2:3], s19, v8
	s_mov_b64 s[8:9], 0
                                        ; implicit-def: $sgpr36
	s_and_saveexec_b64 s[10:11], s[2:3]
	s_xor_b64 s[10:11], exec, s[10:11]
	s_cbranch_execnz .LBB265_1054
; %bb.797:                              ;   in Loop: Header=BB265_528 Depth=1
	s_or_saveexec_b64 s[10:11], s[10:11]
	v_mov_b32_e32 v17, s36
	s_xor_b64 exec, exec, s[10:11]
	s_cbranch_execnz .LBB265_1057
.LBB265_798:                            ;   in Loop: Header=BB265_528 Depth=1
	s_or_b64 exec, exec, s[10:11]
	s_and_saveexec_b64 s[10:11], s[8:9]
	s_cbranch_execz .LBB265_800
.LBB265_799:                            ;   in Loop: Header=BB265_528 Depth=1
	v_bfe_u32 v12, v25, 24, 3
	v_ffbh_u32_e32 v17, v12
	v_bfe_u32 v13, v25, 27, 4
	v_min_u32_e32 v17, 32, v17
	v_subrev_u32_e32 v18, 28, v17
	v_sub_u32_e32 v17, 29, v17
	v_cmp_eq_u32_e64 s[2:3], 0, v13
	v_lshlrev_b64 v[22:23], v18, v[8:9]
	v_and_b32_e32 v18, 7, v22
	v_cndmask_b32_e64 v13, v13, v17, s[2:3]
	v_lshlrev_b32_e32 v8, 8, v8
	v_lshl_add_u32 v13, v13, 10, v47
	v_cndmask_b32_e64 v12, v12, v18, s[2:3]
	v_and_or_b32 v8, v8, s29, v13
	v_lshl_or_b32 v8, v12, 7, v8
	v_cvt_f32_f16_e32 v17, v8
.LBB265_800:                            ;   in Loop: Header=BB265_528 Depth=1
	s_or_b64 exec, exec, s[10:11]
	v_pk_mul_f32 v[22:23], v[20:21], v[36:37] op_sel_hi:[0,1]
	v_pk_mul_f32 v[24:25], v[20:21], v[26:27] op_sel_hi:[0,1]
	v_cvt_f16_f32_e32 v8, v23
	v_cvt_f16_f32_e32 v12, v22
	;; [unrolled: 1-line block ×4, first 2 shown]
	v_fma_mixlo_f16 v1, v20, v1, 0
	v_lshlrev_b32_e32 v1, 16, v1
	v_fma_mixlo_f16 v0, v20, v0, 0
	v_or_b32_sdwa v0, v1, v0 dst_sel:DWORD dst_unused:UNUSED_PAD src0_sel:DWORD src1_sel:WORD_0
	v_fma_mixlo_f16 v1, v20, v17, 0
	v_pack_b32_f16 v12, v12, v8
	v_pack_b32_f16 v13, v18, v13
	v_fma_mixlo_f16 v2, v20, v2, 0
	v_lshlrev_b32_e32 v1, 16, v1
	v_perm_b32 v8, v13, v12, s31
	v_perm_b32 v13, v13, v12, s34
	v_or_b32_sdwa v1, v1, v2 dst_sel:DWORD dst_unused:UNUSED_PAD src0_sel:DWORD src1_sel:WORD_0
	s_and_saveexec_b64 s[2:3], s[0:1]
	s_cbranch_execz .LBB265_525
; %bb.801:                              ;   in Loop: Header=BB265_528 Depth=1
	v_add_u32_e32 v12, 1, v56
	v_lshrrev_b32_e32 v17, 16, v13
	v_cmp_lt_i32_e64 s[0:1], v12, v3
	v_accvgpr_read_b32 v20, a8
	v_lshrrev_b32_e32 v18, 16, v8
	v_cndmask_b32_e64 v12, 0, v17, s[0:1]
	v_cmp_lt_i32_e64 s[0:1], v56, v20
	v_or_b32_e32 v17, 2, v56
	v_lshrrev_b32_e32 v1, 16, v1
	v_cndmask_b32_e64 v13, 0, v13, s[0:1]
	v_perm_b32 v13, v12, v13, s35
	v_or_b32_e32 v12, 3, v56
	v_cmp_lt_i32_e64 s[0:1], v12, v3
	s_nop 1
	v_cndmask_b32_e64 v12, 0, v18, s[0:1]
	v_cmp_lt_i32_e64 s[0:1], v17, v20
	v_or_b32_e32 v17, 4, v56
	v_lshrrev_b32_e32 v18, 16, v0
	v_cndmask_b32_e64 v8, 0, v8, s[0:1]
	v_perm_b32 v8, v12, v8, s35
	v_or_b32_e32 v12, 5, v56
	v_cmp_lt_i32_e64 s[0:1], v12, v3
	s_nop 1
	v_cndmask_b32_e64 v12, 0, v18, s[0:1]
	v_cmp_lt_i32_e64 s[0:1], v17, v20
	v_or_b32_e32 v17, 6, v56
	s_nop 0
	v_cndmask_b32_e64 v0, 0, v0, s[0:1]
	v_perm_b32 v0, v12, v0, s35
	v_or_b32_e32 v12, 7, v56
	v_cmp_lt_i32_e64 s[0:1], v12, v3
	s_nop 1
	v_cndmask_b32_e64 v1, 0, v1, s[0:1]
	v_cmp_lt_i32_e64 s[0:1], v17, v20
	s_nop 1
	v_cndmask_b32_e64 v2, 0, v2, s[0:1]
	v_perm_b32 v1, v1, v2, s35
	s_branch .LBB265_525
.LBB265_802:                            ;   in Loop: Header=BB265_528 Depth=1
	v_cmp_eq_u16_sdwa s[10:11], v36, s28 src0_sel:BYTE_0 src1_sel:DWORD
	s_mov_b64 s[0:1], -1
                                        ; implicit-def: $sgpr8
	s_and_saveexec_b64 s[6:7], s[10:11]
; %bb.803:                              ;   in Loop: Header=BB265_528 Depth=1
	s_mov_b32 s8, 0x7fc02000
	s_xor_b64 s[0:1], exec, -1
; %bb.804:                              ;   in Loop: Header=BB265_528 Depth=1
	s_or_b64 exec, exec, s[6:7]
	s_and_b64 s[0:1], s[0:1], exec
	s_or_saveexec_b64 s[2:3], s[2:3]
	v_mov_b32_e32 v38, s8
	s_xor_b64 exec, exec, s[2:3]
	s_cbranch_execz .LBB265_531
.LBB265_805:                            ;   in Loop: Header=BB265_528 Depth=1
	v_cmp_ne_u16_sdwa s[6:7], v36, v9 src0_sel:BYTE_0 src1_sel:DWORD
	s_andn2_b64 s[0:1], s[0:1], exec
	s_and_b64 s[6:7], s[6:7], exec
	v_mov_b32_e32 v38, 0
	s_or_b64 s[0:1], s[0:1], s[6:7]
	s_or_b64 exec, exec, s[2:3]
	s_and_saveexec_b64 s[2:3], s[0:1]
	s_cbranch_execnz .LBB265_532
	s_branch .LBB265_533
.LBB265_806:                            ;   in Loop: Header=BB265_528 Depth=1
	v_cmp_eq_u16_e64 s[0:1], s28, v8
	s_mov_b64 s[2:3], -1
                                        ; implicit-def: $sgpr10
	s_and_saveexec_b64 s[8:9], s[0:1]
; %bb.807:                              ;   in Loop: Header=BB265_528 Depth=1
	s_mov_b32 s10, 0x7fc02000
	s_xor_b64 s[2:3], exec, -1
; %bb.808:                              ;   in Loop: Header=BB265_528 Depth=1
	s_or_b64 exec, exec, s[8:9]
	s_and_b64 s[2:3], s[2:3], exec
	s_or_saveexec_b64 s[6:7], s[6:7]
	v_mov_b32_e32 v48, s10
	s_xor_b64 exec, exec, s[6:7]
	s_cbranch_execz .LBB265_535
.LBB265_809:                            ;   in Loop: Header=BB265_528 Depth=1
	v_cmp_ne_u16_e64 s[0:1], 0, v8
	s_andn2_b64 s[2:3], s[2:3], exec
	s_and_b64 s[0:1], s[0:1], exec
	v_mov_b32_e32 v48, 0
	s_or_b64 s[2:3], s[2:3], s[0:1]
	s_or_b64 exec, exec, s[6:7]
	s_and_saveexec_b64 s[6:7], s[2:3]
	s_cbranch_execnz .LBB265_536
	s_branch .LBB265_537
.LBB265_810:                            ;   in Loop: Header=BB265_528 Depth=1
	v_cmp_eq_u16_sdwa s[10:11], v8, s28 src0_sel:BYTE_0 src1_sel:DWORD
	s_mov_b64 s[0:1], -1
                                        ; implicit-def: $sgpr8
	s_and_saveexec_b64 s[6:7], s[10:11]
; %bb.811:                              ;   in Loop: Header=BB265_528 Depth=1
	s_mov_b32 s8, 0x7fc02000
	s_xor_b64 s[0:1], exec, -1
; %bb.812:                              ;   in Loop: Header=BB265_528 Depth=1
	s_or_b64 exec, exec, s[6:7]
	s_and_b64 s[0:1], s[0:1], exec
	s_or_saveexec_b64 s[2:3], s[2:3]
	v_mov_b32_e32 v39, s8
	s_xor_b64 exec, exec, s[2:3]
	s_cbranch_execz .LBB265_539
.LBB265_813:                            ;   in Loop: Header=BB265_528 Depth=1
	v_cmp_ne_u16_sdwa s[6:7], v8, v9 src0_sel:BYTE_0 src1_sel:DWORD
	s_andn2_b64 s[0:1], s[0:1], exec
	s_and_b64 s[6:7], s[6:7], exec
	v_mov_b32_e32 v39, 0
	s_or_b64 s[0:1], s[0:1], s[6:7]
	s_or_b64 exec, exec, s[2:3]
	s_and_saveexec_b64 s[2:3], s[0:1]
	s_cbranch_execnz .LBB265_540
	s_branch .LBB265_541
.LBB265_814:                            ;   in Loop: Header=BB265_528 Depth=1
	v_cmp_eq_u16_e64 s[0:1], s28, v8
	s_mov_b64 s[2:3], -1
                                        ; implicit-def: $sgpr10
	s_and_saveexec_b64 s[8:9], s[0:1]
; %bb.815:                              ;   in Loop: Header=BB265_528 Depth=1
	s_mov_b32 s10, 0x7fc02000
	s_xor_b64 s[2:3], exec, -1
; %bb.816:                              ;   in Loop: Header=BB265_528 Depth=1
	s_or_b64 exec, exec, s[8:9]
	s_and_b64 s[2:3], s[2:3], exec
	s_or_saveexec_b64 s[6:7], s[6:7]
	v_mov_b32_e32 v49, s10
	s_xor_b64 exec, exec, s[6:7]
	s_cbranch_execz .LBB265_543
.LBB265_817:                            ;   in Loop: Header=BB265_528 Depth=1
	v_cmp_ne_u16_e64 s[0:1], 0, v8
	s_andn2_b64 s[2:3], s[2:3], exec
	s_and_b64 s[0:1], s[0:1], exec
	v_mov_b32_e32 v49, 0
	s_or_b64 s[2:3], s[2:3], s[0:1]
	s_or_b64 exec, exec, s[6:7]
	s_and_saveexec_b64 s[6:7], s[2:3]
	s_cbranch_execnz .LBB265_544
	s_branch .LBB265_545
.LBB265_818:                            ;   in Loop: Header=BB265_528 Depth=1
	v_cmp_eq_u16_sdwa s[10:11], v37, s28 src0_sel:BYTE_0 src1_sel:DWORD
	s_mov_b64 s[0:1], -1
                                        ; implicit-def: $sgpr8
	s_and_saveexec_b64 s[6:7], s[10:11]
; %bb.819:                              ;   in Loop: Header=BB265_528 Depth=1
	s_mov_b32 s8, 0x7fc02000
	s_xor_b64 s[0:1], exec, -1
; %bb.820:                              ;   in Loop: Header=BB265_528 Depth=1
	s_or_b64 exec, exec, s[6:7]
	s_and_b64 s[0:1], s[0:1], exec
	s_or_saveexec_b64 s[2:3], s[2:3]
	v_mov_b32_e32 v17, s8
	s_xor_b64 exec, exec, s[2:3]
	s_cbranch_execz .LBB265_547
.LBB265_821:                            ;   in Loop: Header=BB265_528 Depth=1
	v_cmp_ne_u16_sdwa s[6:7], v37, v9 src0_sel:BYTE_0 src1_sel:DWORD
	s_andn2_b64 s[0:1], s[0:1], exec
	s_and_b64 s[6:7], s[6:7], exec
	v_mov_b32_e32 v17, 0
	s_or_b64 s[0:1], s[0:1], s[6:7]
	s_or_b64 exec, exec, s[2:3]
	v_mov_b32_e32 v8, v37
	s_and_saveexec_b64 s[2:3], s[0:1]
	s_cbranch_execnz .LBB265_548
	s_branch .LBB265_549
.LBB265_822:                            ;   in Loop: Header=BB265_528 Depth=1
	v_cmp_eq_u16_e64 s[0:1], s28, v8
	s_mov_b64 s[2:3], -1
                                        ; implicit-def: $sgpr10
	s_and_saveexec_b64 s[8:9], s[0:1]
; %bb.823:                              ;   in Loop: Header=BB265_528 Depth=1
	s_mov_b32 s10, 0x7fc02000
	s_xor_b64 s[2:3], exec, -1
; %bb.824:                              ;   in Loop: Header=BB265_528 Depth=1
	s_or_b64 exec, exec, s[8:9]
	s_and_b64 s[2:3], s[2:3], exec
	s_or_saveexec_b64 s[6:7], s[6:7]
	v_mov_b32_e32 v36, s10
	s_xor_b64 exec, exec, s[6:7]
	s_cbranch_execz .LBB265_551
.LBB265_825:                            ;   in Loop: Header=BB265_528 Depth=1
	v_cmp_ne_u16_e64 s[0:1], 0, v8
	s_andn2_b64 s[2:3], s[2:3], exec
	s_and_b64 s[0:1], s[0:1], exec
	v_mov_b32_e32 v36, 0
	s_or_b64 s[2:3], s[2:3], s[0:1]
	s_or_b64 exec, exec, s[6:7]
	s_and_saveexec_b64 s[6:7], s[2:3]
	s_cbranch_execnz .LBB265_552
	s_branch .LBB265_553
.LBB265_826:                            ;   in Loop: Header=BB265_528 Depth=1
	v_cmp_eq_u16_sdwa s[10:11], v8, s28 src0_sel:BYTE_0 src1_sel:DWORD
	s_mov_b64 s[0:1], -1
                                        ; implicit-def: $sgpr8
	s_and_saveexec_b64 s[6:7], s[10:11]
; %bb.827:                              ;   in Loop: Header=BB265_528 Depth=1
	s_mov_b32 s8, 0x7fc02000
	s_xor_b64 s[0:1], exec, -1
; %bb.828:                              ;   in Loop: Header=BB265_528 Depth=1
	s_or_b64 exec, exec, s[6:7]
	s_and_b64 s[0:1], s[0:1], exec
	s_or_saveexec_b64 s[2:3], s[2:3]
	v_mov_b32_e32 v50, s8
	s_xor_b64 exec, exec, s[2:3]
	s_cbranch_execz .LBB265_555
.LBB265_829:                            ;   in Loop: Header=BB265_528 Depth=1
	v_cmp_ne_u16_sdwa s[6:7], v8, v9 src0_sel:BYTE_0 src1_sel:DWORD
	s_andn2_b64 s[0:1], s[0:1], exec
	s_and_b64 s[6:7], s[6:7], exec
	v_mov_b32_e32 v50, 0
	s_or_b64 s[0:1], s[0:1], s[6:7]
	s_or_b64 exec, exec, s[2:3]
	s_and_saveexec_b64 s[2:3], s[0:1]
	s_cbranch_execnz .LBB265_556
	s_branch .LBB265_557
.LBB265_830:                            ;   in Loop: Header=BB265_528 Depth=1
	v_cmp_eq_u16_e64 s[0:1], s28, v8
	s_mov_b64 s[2:3], -1
                                        ; implicit-def: $sgpr10
	s_and_saveexec_b64 s[8:9], s[0:1]
; %bb.831:                              ;   in Loop: Header=BB265_528 Depth=1
	s_mov_b32 s10, 0x7fc02000
	s_xor_b64 s[2:3], exec, -1
; %bb.832:                              ;   in Loop: Header=BB265_528 Depth=1
	s_or_b64 exec, exec, s[8:9]
	s_and_b64 s[2:3], s[2:3], exec
	s_or_saveexec_b64 s[6:7], s[6:7]
	v_mov_b32_e32 v51, s10
	s_xor_b64 exec, exec, s[6:7]
	s_cbranch_execz .LBB265_559
.LBB265_833:                            ;   in Loop: Header=BB265_528 Depth=1
	v_cmp_ne_u16_e64 s[0:1], 0, v8
	s_andn2_b64 s[2:3], s[2:3], exec
	s_and_b64 s[0:1], s[0:1], exec
	v_mov_b32_e32 v51, 0
	s_or_b64 s[2:3], s[2:3], s[0:1]
	s_or_b64 exec, exec, s[6:7]
	s_and_saveexec_b64 s[6:7], s[2:3]
	s_cbranch_execnz .LBB265_560
	s_branch .LBB265_561
.LBB265_834:                            ;   in Loop: Header=BB265_528 Depth=1
	v_cmp_eq_u16_sdwa s[26:27], v36, s28 src0_sel:BYTE_0 src1_sel:DWORD
	s_mov_b64 s[2:3], -1
                                        ; implicit-def: $sgpr10
	s_and_saveexec_b64 s[8:9], s[26:27]
; %bb.835:                              ;   in Loop: Header=BB265_528 Depth=1
	s_mov_b32 s10, 0x7fc02000
	s_xor_b64 s[2:3], exec, -1
; %bb.836:                              ;   in Loop: Header=BB265_528 Depth=1
	s_or_b64 exec, exec, s[8:9]
	s_and_b64 s[2:3], s[2:3], exec
	s_or_saveexec_b64 s[6:7], s[6:7]
	v_mov_b32_e32 v38, s10
	s_xor_b64 exec, exec, s[6:7]
	s_cbranch_execz .LBB265_565
.LBB265_837:                            ;   in Loop: Header=BB265_528 Depth=1
	v_cmp_ne_u16_sdwa s[8:9], v36, v9 src0_sel:BYTE_0 src1_sel:DWORD
	s_andn2_b64 s[2:3], s[2:3], exec
	s_and_b64 s[8:9], s[8:9], exec
	v_mov_b32_e32 v38, 0
	s_or_b64 s[2:3], s[2:3], s[8:9]
	s_or_b64 exec, exec, s[6:7]
	s_and_saveexec_b64 s[6:7], s[2:3]
	s_cbranch_execnz .LBB265_566
	s_branch .LBB265_567
.LBB265_838:                            ;   in Loop: Header=BB265_528 Depth=1
	v_cmp_eq_u16_e64 s[2:3], s28, v8
	s_mov_b64 s[6:7], -1
                                        ; implicit-def: $sgpr26
	s_and_saveexec_b64 s[10:11], s[2:3]
; %bb.839:                              ;   in Loop: Header=BB265_528 Depth=1
	s_mov_b32 s26, 0x7fc02000
	s_xor_b64 s[6:7], exec, -1
; %bb.840:                              ;   in Loop: Header=BB265_528 Depth=1
	s_or_b64 exec, exec, s[10:11]
	s_and_b64 s[6:7], s[6:7], exec
	s_or_saveexec_b64 s[8:9], s[8:9]
	v_mov_b32_e32 v48, s26
	s_xor_b64 exec, exec, s[8:9]
	s_cbranch_execz .LBB265_569
.LBB265_841:                            ;   in Loop: Header=BB265_528 Depth=1
	v_cmp_ne_u16_e64 s[2:3], 0, v8
	s_andn2_b64 s[6:7], s[6:7], exec
	s_and_b64 s[2:3], s[2:3], exec
	v_mov_b32_e32 v48, 0
	s_or_b64 s[6:7], s[6:7], s[2:3]
	s_or_b64 exec, exec, s[8:9]
	s_and_saveexec_b64 s[8:9], s[6:7]
	s_cbranch_execnz .LBB265_570
	s_branch .LBB265_571
.LBB265_842:                            ;   in Loop: Header=BB265_528 Depth=1
	v_cmp_eq_u16_sdwa s[26:27], v8, s28 src0_sel:BYTE_0 src1_sel:DWORD
	s_mov_b64 s[2:3], -1
                                        ; implicit-def: $sgpr10
	s_and_saveexec_b64 s[8:9], s[26:27]
; %bb.843:                              ;   in Loop: Header=BB265_528 Depth=1
	s_mov_b32 s10, 0x7fc02000
	s_xor_b64 s[2:3], exec, -1
; %bb.844:                              ;   in Loop: Header=BB265_528 Depth=1
	s_or_b64 exec, exec, s[8:9]
	s_and_b64 s[2:3], s[2:3], exec
	s_or_saveexec_b64 s[6:7], s[6:7]
	v_mov_b32_e32 v39, s10
	s_xor_b64 exec, exec, s[6:7]
	s_cbranch_execz .LBB265_573
.LBB265_845:                            ;   in Loop: Header=BB265_528 Depth=1
	v_cmp_ne_u16_sdwa s[8:9], v8, v9 src0_sel:BYTE_0 src1_sel:DWORD
	s_andn2_b64 s[2:3], s[2:3], exec
	s_and_b64 s[8:9], s[8:9], exec
	v_mov_b32_e32 v39, 0
	s_or_b64 s[2:3], s[2:3], s[8:9]
	s_or_b64 exec, exec, s[6:7]
	s_and_saveexec_b64 s[6:7], s[2:3]
	s_cbranch_execnz .LBB265_574
	s_branch .LBB265_575
.LBB265_846:                            ;   in Loop: Header=BB265_528 Depth=1
	v_cmp_eq_u16_e64 s[2:3], s28, v8
	s_mov_b64 s[6:7], -1
                                        ; implicit-def: $sgpr26
	s_and_saveexec_b64 s[10:11], s[2:3]
; %bb.847:                              ;   in Loop: Header=BB265_528 Depth=1
	s_mov_b32 s26, 0x7fc02000
	s_xor_b64 s[6:7], exec, -1
; %bb.848:                              ;   in Loop: Header=BB265_528 Depth=1
	s_or_b64 exec, exec, s[10:11]
	s_and_b64 s[6:7], s[6:7], exec
	s_or_saveexec_b64 s[8:9], s[8:9]
	v_mov_b32_e32 v49, s26
	s_xor_b64 exec, exec, s[8:9]
	s_cbranch_execz .LBB265_577
.LBB265_849:                            ;   in Loop: Header=BB265_528 Depth=1
	v_cmp_ne_u16_e64 s[2:3], 0, v8
	s_andn2_b64 s[6:7], s[6:7], exec
	s_and_b64 s[2:3], s[2:3], exec
	v_mov_b32_e32 v49, 0
	s_or_b64 s[6:7], s[6:7], s[2:3]
	s_or_b64 exec, exec, s[8:9]
	s_and_saveexec_b64 s[8:9], s[6:7]
	s_cbranch_execnz .LBB265_578
	s_branch .LBB265_579
.LBB265_850:                            ;   in Loop: Header=BB265_528 Depth=1
	v_cmp_eq_u16_sdwa s[26:27], v37, s28 src0_sel:BYTE_0 src1_sel:DWORD
	s_mov_b64 s[2:3], -1
                                        ; implicit-def: $sgpr10
	s_and_saveexec_b64 s[8:9], s[26:27]
; %bb.851:                              ;   in Loop: Header=BB265_528 Depth=1
	s_mov_b32 s10, 0x7fc02000
	s_xor_b64 s[2:3], exec, -1
; %bb.852:                              ;   in Loop: Header=BB265_528 Depth=1
	s_or_b64 exec, exec, s[8:9]
	s_and_b64 s[2:3], s[2:3], exec
	s_or_saveexec_b64 s[6:7], s[6:7]
	v_mov_b32_e32 v0, s10
	s_xor_b64 exec, exec, s[6:7]
	s_cbranch_execz .LBB265_581
.LBB265_853:                            ;   in Loop: Header=BB265_528 Depth=1
	v_cmp_ne_u16_sdwa s[8:9], v37, v9 src0_sel:BYTE_0 src1_sel:DWORD
	s_andn2_b64 s[2:3], s[2:3], exec
	s_and_b64 s[8:9], s[8:9], exec
	v_mov_b32_e32 v0, 0
	s_or_b64 s[2:3], s[2:3], s[8:9]
	s_or_b64 exec, exec, s[6:7]
	v_mov_b32_e32 v8, v37
	s_and_saveexec_b64 s[6:7], s[2:3]
	s_cbranch_execnz .LBB265_582
	s_branch .LBB265_583
.LBB265_854:                            ;   in Loop: Header=BB265_528 Depth=1
	v_cmp_eq_u16_e64 s[2:3], s28, v8
	s_mov_b64 s[6:7], -1
                                        ; implicit-def: $sgpr26
	s_and_saveexec_b64 s[10:11], s[2:3]
; %bb.855:                              ;   in Loop: Header=BB265_528 Depth=1
	s_mov_b32 s26, 0x7fc02000
	s_xor_b64 s[6:7], exec, -1
; %bb.856:                              ;   in Loop: Header=BB265_528 Depth=1
	s_or_b64 exec, exec, s[10:11]
	s_and_b64 s[6:7], s[6:7], exec
	s_or_saveexec_b64 s[8:9], s[8:9]
	v_mov_b32_e32 v1, s26
	s_xor_b64 exec, exec, s[8:9]
	s_cbranch_execz .LBB265_585
.LBB265_857:                            ;   in Loop: Header=BB265_528 Depth=1
	v_cmp_ne_u16_e64 s[2:3], 0, v8
	s_andn2_b64 s[6:7], s[6:7], exec
	s_and_b64 s[2:3], s[2:3], exec
	v_mov_b32_e32 v1, 0
	s_or_b64 s[6:7], s[6:7], s[2:3]
	s_or_b64 exec, exec, s[8:9]
	s_and_saveexec_b64 s[8:9], s[6:7]
	s_cbranch_execnz .LBB265_586
	s_branch .LBB265_587
.LBB265_858:                            ;   in Loop: Header=BB265_528 Depth=1
	v_cmp_eq_u16_sdwa s[26:27], v8, s28 src0_sel:BYTE_0 src1_sel:DWORD
	s_mov_b64 s[2:3], -1
                                        ; implicit-def: $sgpr10
	s_and_saveexec_b64 s[8:9], s[26:27]
; %bb.859:                              ;   in Loop: Header=BB265_528 Depth=1
	s_mov_b32 s10, 0x7fc02000
	s_xor_b64 s[2:3], exec, -1
; %bb.860:                              ;   in Loop: Header=BB265_528 Depth=1
	s_or_b64 exec, exec, s[8:9]
	s_and_b64 s[2:3], s[2:3], exec
	s_or_saveexec_b64 s[6:7], s[6:7]
	v_mov_b32_e32 v2, s10
	s_xor_b64 exec, exec, s[6:7]
	s_cbranch_execz .LBB265_589
.LBB265_861:                            ;   in Loop: Header=BB265_528 Depth=1
	v_cmp_ne_u16_sdwa s[8:9], v8, v9 src0_sel:BYTE_0 src1_sel:DWORD
	s_andn2_b64 s[2:3], s[2:3], exec
	s_and_b64 s[8:9], s[8:9], exec
	v_mov_b32_e32 v2, 0
	s_or_b64 s[2:3], s[2:3], s[8:9]
	s_or_b64 exec, exec, s[6:7]
	s_and_saveexec_b64 s[6:7], s[2:3]
	s_cbranch_execnz .LBB265_590
	s_branch .LBB265_591
.LBB265_862:                            ;   in Loop: Header=BB265_528 Depth=1
	v_cmp_eq_u16_e64 s[2:3], s28, v8
	s_mov_b64 s[6:7], -1
                                        ; implicit-def: $sgpr26
	s_and_saveexec_b64 s[10:11], s[2:3]
; %bb.863:                              ;   in Loop: Header=BB265_528 Depth=1
	s_mov_b32 s26, 0x7fc02000
	s_xor_b64 s[6:7], exec, -1
; %bb.864:                              ;   in Loop: Header=BB265_528 Depth=1
	s_or_b64 exec, exec, s[10:11]
	s_and_b64 s[6:7], s[6:7], exec
	s_or_saveexec_b64 s[8:9], s[8:9]
	v_mov_b32_e32 v17, s26
	s_xor_b64 exec, exec, s[8:9]
	s_cbranch_execz .LBB265_593
.LBB265_865:                            ;   in Loop: Header=BB265_528 Depth=1
	v_cmp_ne_u16_e64 s[2:3], 0, v8
	s_andn2_b64 s[6:7], s[6:7], exec
	s_and_b64 s[2:3], s[2:3], exec
	v_mov_b32_e32 v17, 0
	s_or_b64 s[6:7], s[6:7], s[2:3]
	s_or_b64 exec, exec, s[8:9]
	s_and_saveexec_b64 s[8:9], s[6:7]
	s_cbranch_execnz .LBB265_594
	s_branch .LBB265_595
.LBB265_866:                            ;   in Loop: Header=BB265_528 Depth=1
	v_cmp_eq_u16_sdwa s[26:27], v36, s28 src0_sel:BYTE_0 src1_sel:DWORD
	s_mov_b64 s[2:3], -1
                                        ; implicit-def: $sgpr10
	s_and_saveexec_b64 s[8:9], s[26:27]
; %bb.867:                              ;   in Loop: Header=BB265_528 Depth=1
	s_mov_b32 s10, 0x7fc02000
	s_xor_b64 s[2:3], exec, -1
; %bb.868:                              ;   in Loop: Header=BB265_528 Depth=1
	s_or_b64 exec, exec, s[8:9]
	s_and_b64 s[2:3], s[2:3], exec
	s_or_saveexec_b64 s[6:7], s[6:7]
	v_mov_b32_e32 v38, s10
	s_xor_b64 exec, exec, s[6:7]
	s_cbranch_execz .LBB265_599
.LBB265_869:                            ;   in Loop: Header=BB265_528 Depth=1
	v_cmp_ne_u16_sdwa s[8:9], v36, v9 src0_sel:BYTE_0 src1_sel:DWORD
	s_andn2_b64 s[2:3], s[2:3], exec
	s_and_b64 s[8:9], s[8:9], exec
	v_mov_b32_e32 v38, 0
	s_or_b64 s[2:3], s[2:3], s[8:9]
	s_or_b64 exec, exec, s[6:7]
	s_and_saveexec_b64 s[6:7], s[2:3]
	s_cbranch_execnz .LBB265_600
	s_branch .LBB265_601
.LBB265_870:                            ;   in Loop: Header=BB265_528 Depth=1
	v_cmp_eq_u16_e64 s[2:3], s28, v8
	s_mov_b64 s[6:7], -1
                                        ; implicit-def: $sgpr26
	s_and_saveexec_b64 s[10:11], s[2:3]
; %bb.871:                              ;   in Loop: Header=BB265_528 Depth=1
	s_mov_b32 s26, 0x7fc02000
	s_xor_b64 s[6:7], exec, -1
; %bb.872:                              ;   in Loop: Header=BB265_528 Depth=1
	s_or_b64 exec, exec, s[10:11]
	s_and_b64 s[6:7], s[6:7], exec
	s_or_saveexec_b64 s[8:9], s[8:9]
	v_mov_b32_e32 v48, s26
	s_xor_b64 exec, exec, s[8:9]
	s_cbranch_execz .LBB265_603
.LBB265_873:                            ;   in Loop: Header=BB265_528 Depth=1
	v_cmp_ne_u16_e64 s[2:3], 0, v8
	s_andn2_b64 s[6:7], s[6:7], exec
	s_and_b64 s[2:3], s[2:3], exec
	v_mov_b32_e32 v48, 0
	s_or_b64 s[6:7], s[6:7], s[2:3]
	s_or_b64 exec, exec, s[8:9]
	s_and_saveexec_b64 s[8:9], s[6:7]
	s_cbranch_execnz .LBB265_604
	s_branch .LBB265_605
.LBB265_874:                            ;   in Loop: Header=BB265_528 Depth=1
	v_cmp_eq_u16_sdwa s[26:27], v8, s28 src0_sel:BYTE_0 src1_sel:DWORD
	s_mov_b64 s[2:3], -1
                                        ; implicit-def: $sgpr10
	s_and_saveexec_b64 s[8:9], s[26:27]
; %bb.875:                              ;   in Loop: Header=BB265_528 Depth=1
	s_mov_b32 s10, 0x7fc02000
	s_xor_b64 s[2:3], exec, -1
; %bb.876:                              ;   in Loop: Header=BB265_528 Depth=1
	s_or_b64 exec, exec, s[8:9]
	s_and_b64 s[2:3], s[2:3], exec
	s_or_saveexec_b64 s[6:7], s[6:7]
	v_mov_b32_e32 v39, s10
	s_xor_b64 exec, exec, s[6:7]
	s_cbranch_execz .LBB265_607
.LBB265_877:                            ;   in Loop: Header=BB265_528 Depth=1
	v_cmp_ne_u16_sdwa s[8:9], v8, v9 src0_sel:BYTE_0 src1_sel:DWORD
	s_andn2_b64 s[2:3], s[2:3], exec
	s_and_b64 s[8:9], s[8:9], exec
	v_mov_b32_e32 v39, 0
	s_or_b64 s[2:3], s[2:3], s[8:9]
	s_or_b64 exec, exec, s[6:7]
	s_and_saveexec_b64 s[6:7], s[2:3]
	s_cbranch_execnz .LBB265_608
	s_branch .LBB265_609
.LBB265_878:                            ;   in Loop: Header=BB265_528 Depth=1
	v_cmp_eq_u16_e64 s[2:3], s28, v8
	s_mov_b64 s[6:7], -1
                                        ; implicit-def: $sgpr26
	s_and_saveexec_b64 s[10:11], s[2:3]
; %bb.879:                              ;   in Loop: Header=BB265_528 Depth=1
	s_mov_b32 s26, 0x7fc02000
	s_xor_b64 s[6:7], exec, -1
; %bb.880:                              ;   in Loop: Header=BB265_528 Depth=1
	s_or_b64 exec, exec, s[10:11]
	s_and_b64 s[6:7], s[6:7], exec
	s_or_saveexec_b64 s[8:9], s[8:9]
	v_mov_b32_e32 v49, s26
	s_xor_b64 exec, exec, s[8:9]
	s_cbranch_execz .LBB265_611
.LBB265_881:                            ;   in Loop: Header=BB265_528 Depth=1
	v_cmp_ne_u16_e64 s[2:3], 0, v8
	s_andn2_b64 s[6:7], s[6:7], exec
	s_and_b64 s[2:3], s[2:3], exec
	v_mov_b32_e32 v49, 0
	s_or_b64 s[6:7], s[6:7], s[2:3]
	s_or_b64 exec, exec, s[8:9]
	s_and_saveexec_b64 s[8:9], s[6:7]
	s_cbranch_execnz .LBB265_612
	s_branch .LBB265_613
.LBB265_882:                            ;   in Loop: Header=BB265_528 Depth=1
	v_cmp_eq_u16_sdwa s[26:27], v37, s28 src0_sel:BYTE_0 src1_sel:DWORD
	s_mov_b64 s[2:3], -1
                                        ; implicit-def: $sgpr10
	s_and_saveexec_b64 s[8:9], s[26:27]
; %bb.883:                              ;   in Loop: Header=BB265_528 Depth=1
	s_mov_b32 s10, 0x7fc02000
	s_xor_b64 s[2:3], exec, -1
; %bb.884:                              ;   in Loop: Header=BB265_528 Depth=1
	s_or_b64 exec, exec, s[8:9]
	s_and_b64 s[2:3], s[2:3], exec
	s_or_saveexec_b64 s[6:7], s[6:7]
	v_mov_b32_e32 v2, s10
	s_xor_b64 exec, exec, s[6:7]
	s_cbranch_execz .LBB265_615
.LBB265_885:                            ;   in Loop: Header=BB265_528 Depth=1
	v_cmp_ne_u16_sdwa s[8:9], v37, v9 src0_sel:BYTE_0 src1_sel:DWORD
	s_andn2_b64 s[2:3], s[2:3], exec
	s_and_b64 s[8:9], s[8:9], exec
	v_mov_b32_e32 v2, 0
	s_or_b64 s[2:3], s[2:3], s[8:9]
	s_or_b64 exec, exec, s[6:7]
	v_mov_b32_e32 v8, v37
	s_and_saveexec_b64 s[6:7], s[2:3]
	s_cbranch_execnz .LBB265_616
	s_branch .LBB265_617
.LBB265_886:                            ;   in Loop: Header=BB265_528 Depth=1
	v_cmp_eq_u16_e64 s[2:3], s28, v8
	s_mov_b64 s[6:7], -1
                                        ; implicit-def: $sgpr26
	s_and_saveexec_b64 s[10:11], s[2:3]
; %bb.887:                              ;   in Loop: Header=BB265_528 Depth=1
	s_mov_b32 s26, 0x7fc02000
	s_xor_b64 s[6:7], exec, -1
; %bb.888:                              ;   in Loop: Header=BB265_528 Depth=1
	s_or_b64 exec, exec, s[10:11]
	s_and_b64 s[6:7], s[6:7], exec
	s_or_saveexec_b64 s[8:9], s[8:9]
	v_mov_b32_e32 v13, s26
	s_xor_b64 exec, exec, s[8:9]
	s_cbranch_execz .LBB265_619
.LBB265_889:                            ;   in Loop: Header=BB265_528 Depth=1
	v_cmp_ne_u16_e64 s[2:3], 0, v8
	s_andn2_b64 s[6:7], s[6:7], exec
	s_and_b64 s[2:3], s[2:3], exec
	v_mov_b32_e32 v13, 0
	s_or_b64 s[6:7], s[6:7], s[2:3]
	s_or_b64 exec, exec, s[8:9]
	s_and_saveexec_b64 s[8:9], s[6:7]
	s_cbranch_execnz .LBB265_620
	s_branch .LBB265_621
.LBB265_890:                            ;   in Loop: Header=BB265_528 Depth=1
	v_cmp_eq_u16_sdwa s[26:27], v8, s28 src0_sel:BYTE_0 src1_sel:DWORD
	s_mov_b64 s[2:3], -1
                                        ; implicit-def: $sgpr10
	s_and_saveexec_b64 s[8:9], s[26:27]
; %bb.891:                              ;   in Loop: Header=BB265_528 Depth=1
	s_mov_b32 s10, 0x7fc02000
	s_xor_b64 s[2:3], exec, -1
; %bb.892:                              ;   in Loop: Header=BB265_528 Depth=1
	s_or_b64 exec, exec, s[8:9]
	s_and_b64 s[2:3], s[2:3], exec
	s_or_saveexec_b64 s[6:7], s[6:7]
	v_mov_b32_e32 v17, s10
	s_xor_b64 exec, exec, s[6:7]
	s_cbranch_execz .LBB265_623
.LBB265_893:                            ;   in Loop: Header=BB265_528 Depth=1
	v_cmp_ne_u16_sdwa s[8:9], v8, v9 src0_sel:BYTE_0 src1_sel:DWORD
	s_andn2_b64 s[2:3], s[2:3], exec
	s_and_b64 s[8:9], s[8:9], exec
	v_mov_b32_e32 v17, 0
	s_or_b64 s[2:3], s[2:3], s[8:9]
	s_or_b64 exec, exec, s[6:7]
	s_and_saveexec_b64 s[6:7], s[2:3]
	s_cbranch_execnz .LBB265_624
	s_branch .LBB265_625
.LBB265_894:                            ;   in Loop: Header=BB265_528 Depth=1
	v_cmp_eq_u16_e64 s[2:3], s28, v8
	s_mov_b64 s[6:7], -1
                                        ; implicit-def: $sgpr26
	s_and_saveexec_b64 s[10:11], s[2:3]
; %bb.895:                              ;   in Loop: Header=BB265_528 Depth=1
	s_mov_b32 s26, 0x7fc02000
	s_xor_b64 s[6:7], exec, -1
; %bb.896:                              ;   in Loop: Header=BB265_528 Depth=1
	s_or_b64 exec, exec, s[10:11]
	s_and_b64 s[6:7], s[6:7], exec
	s_or_saveexec_b64 s[8:9], s[8:9]
	v_mov_b32_e32 v22, s26
	s_xor_b64 exec, exec, s[8:9]
	s_cbranch_execz .LBB265_627
.LBB265_897:                            ;   in Loop: Header=BB265_528 Depth=1
	v_cmp_ne_u16_e64 s[2:3], 0, v8
	s_andn2_b64 s[6:7], s[6:7], exec
	s_and_b64 s[2:3], s[2:3], exec
	v_mov_b32_e32 v22, 0
	s_or_b64 s[6:7], s[6:7], s[2:3]
	s_or_b64 exec, exec, s[8:9]
	s_and_saveexec_b64 s[8:9], s[6:7]
	s_cbranch_execnz .LBB265_628
	s_branch .LBB265_629
.LBB265_898:                            ;   in Loop: Header=BB265_528 Depth=1
	v_cmp_eq_u16_sdwa s[26:27], v36, s28 src0_sel:BYTE_0 src1_sel:DWORD
	s_mov_b64 s[2:3], -1
                                        ; implicit-def: $sgpr10
	s_and_saveexec_b64 s[8:9], s[26:27]
; %bb.899:                              ;   in Loop: Header=BB265_528 Depth=1
	s_mov_b32 s10, 0x7fc02000
	s_xor_b64 s[2:3], exec, -1
; %bb.900:                              ;   in Loop: Header=BB265_528 Depth=1
	s_or_b64 exec, exec, s[8:9]
	s_and_b64 s[2:3], s[2:3], exec
	s_or_saveexec_b64 s[6:7], s[6:7]
	v_mov_b32_e32 v38, s10
	s_xor_b64 exec, exec, s[6:7]
	s_cbranch_execz .LBB265_633
.LBB265_901:                            ;   in Loop: Header=BB265_528 Depth=1
	v_cmp_ne_u16_sdwa s[8:9], v36, v9 src0_sel:BYTE_0 src1_sel:DWORD
	s_andn2_b64 s[2:3], s[2:3], exec
	s_and_b64 s[8:9], s[8:9], exec
	v_mov_b32_e32 v38, 0
	s_or_b64 s[2:3], s[2:3], s[8:9]
	s_or_b64 exec, exec, s[6:7]
	s_and_saveexec_b64 s[6:7], s[2:3]
	s_cbranch_execnz .LBB265_634
	s_branch .LBB265_635
.LBB265_902:                            ;   in Loop: Header=BB265_528 Depth=1
	v_cmp_eq_u16_e64 s[2:3], s28, v8
	s_mov_b64 s[6:7], -1
                                        ; implicit-def: $sgpr26
	s_and_saveexec_b64 s[10:11], s[2:3]
; %bb.903:                              ;   in Loop: Header=BB265_528 Depth=1
	s_mov_b32 s26, 0x7fc02000
	s_xor_b64 s[6:7], exec, -1
; %bb.904:                              ;   in Loop: Header=BB265_528 Depth=1
	s_or_b64 exec, exec, s[10:11]
	s_and_b64 s[6:7], s[6:7], exec
	s_or_saveexec_b64 s[8:9], s[8:9]
	v_mov_b32_e32 v48, s26
	s_xor_b64 exec, exec, s[8:9]
	s_cbranch_execz .LBB265_637
.LBB265_905:                            ;   in Loop: Header=BB265_528 Depth=1
	v_cmp_ne_u16_e64 s[2:3], 0, v8
	s_andn2_b64 s[6:7], s[6:7], exec
	s_and_b64 s[2:3], s[2:3], exec
	v_mov_b32_e32 v48, 0
	s_or_b64 s[6:7], s[6:7], s[2:3]
	s_or_b64 exec, exec, s[8:9]
	s_and_saveexec_b64 s[8:9], s[6:7]
	s_cbranch_execnz .LBB265_638
	s_branch .LBB265_639
.LBB265_906:                            ;   in Loop: Header=BB265_528 Depth=1
	v_cmp_eq_u16_sdwa s[26:27], v8, s28 src0_sel:BYTE_0 src1_sel:DWORD
	s_mov_b64 s[2:3], -1
                                        ; implicit-def: $sgpr10
	s_and_saveexec_b64 s[8:9], s[26:27]
; %bb.907:                              ;   in Loop: Header=BB265_528 Depth=1
	s_mov_b32 s10, 0x7fc02000
	s_xor_b64 s[2:3], exec, -1
; %bb.908:                              ;   in Loop: Header=BB265_528 Depth=1
	s_or_b64 exec, exec, s[8:9]
	s_and_b64 s[2:3], s[2:3], exec
	s_or_saveexec_b64 s[6:7], s[6:7]
	v_mov_b32_e32 v39, s10
	s_xor_b64 exec, exec, s[6:7]
	s_cbranch_execz .LBB265_641
.LBB265_909:                            ;   in Loop: Header=BB265_528 Depth=1
	v_cmp_ne_u16_sdwa s[8:9], v8, v9 src0_sel:BYTE_0 src1_sel:DWORD
	s_andn2_b64 s[2:3], s[2:3], exec
	s_and_b64 s[8:9], s[8:9], exec
	v_mov_b32_e32 v39, 0
	s_or_b64 s[2:3], s[2:3], s[8:9]
	s_or_b64 exec, exec, s[6:7]
	s_and_saveexec_b64 s[6:7], s[2:3]
	s_cbranch_execnz .LBB265_642
	s_branch .LBB265_643
.LBB265_910:                            ;   in Loop: Header=BB265_528 Depth=1
	v_cmp_eq_u16_e64 s[2:3], s28, v8
	s_mov_b64 s[6:7], -1
                                        ; implicit-def: $sgpr26
	s_and_saveexec_b64 s[10:11], s[2:3]
; %bb.911:                              ;   in Loop: Header=BB265_528 Depth=1
	s_mov_b32 s26, 0x7fc02000
	s_xor_b64 s[6:7], exec, -1
; %bb.912:                              ;   in Loop: Header=BB265_528 Depth=1
	s_or_b64 exec, exec, s[10:11]
	s_and_b64 s[6:7], s[6:7], exec
	s_or_saveexec_b64 s[8:9], s[8:9]
	v_mov_b32_e32 v49, s26
	s_xor_b64 exec, exec, s[8:9]
	s_cbranch_execz .LBB265_645
.LBB265_913:                            ;   in Loop: Header=BB265_528 Depth=1
	v_cmp_ne_u16_e64 s[2:3], 0, v8
	s_andn2_b64 s[6:7], s[6:7], exec
	s_and_b64 s[2:3], s[2:3], exec
	v_mov_b32_e32 v49, 0
	s_or_b64 s[6:7], s[6:7], s[2:3]
	s_or_b64 exec, exec, s[8:9]
	s_and_saveexec_b64 s[8:9], s[6:7]
	s_cbranch_execnz .LBB265_646
	s_branch .LBB265_647
.LBB265_914:                            ;   in Loop: Header=BB265_528 Depth=1
	v_cmp_eq_u16_sdwa s[26:27], v37, s28 src0_sel:BYTE_0 src1_sel:DWORD
	s_mov_b64 s[2:3], -1
                                        ; implicit-def: $sgpr10
	s_and_saveexec_b64 s[8:9], s[26:27]
; %bb.915:                              ;   in Loop: Header=BB265_528 Depth=1
	s_mov_b32 s10, 0x7fc02000
	s_xor_b64 s[2:3], exec, -1
; %bb.916:                              ;   in Loop: Header=BB265_528 Depth=1
	s_or_b64 exec, exec, s[8:9]
	s_and_b64 s[2:3], s[2:3], exec
	s_or_saveexec_b64 s[6:7], s[6:7]
	v_mov_b32_e32 v2, s10
	s_xor_b64 exec, exec, s[6:7]
	s_cbranch_execz .LBB265_649
.LBB265_917:                            ;   in Loop: Header=BB265_528 Depth=1
	v_cmp_ne_u16_sdwa s[8:9], v37, v9 src0_sel:BYTE_0 src1_sel:DWORD
	s_andn2_b64 s[2:3], s[2:3], exec
	s_and_b64 s[8:9], s[8:9], exec
	v_mov_b32_e32 v2, 0
	s_or_b64 s[2:3], s[2:3], s[8:9]
	s_or_b64 exec, exec, s[6:7]
	v_mov_b32_e32 v8, v37
	s_and_saveexec_b64 s[6:7], s[2:3]
	s_cbranch_execnz .LBB265_650
	s_branch .LBB265_651
.LBB265_918:                            ;   in Loop: Header=BB265_528 Depth=1
	v_cmp_eq_u16_e64 s[2:3], s28, v8
	s_mov_b64 s[6:7], -1
                                        ; implicit-def: $sgpr26
	s_and_saveexec_b64 s[10:11], s[2:3]
; %bb.919:                              ;   in Loop: Header=BB265_528 Depth=1
	s_mov_b32 s26, 0x7fc02000
	s_xor_b64 s[6:7], exec, -1
; %bb.920:                              ;   in Loop: Header=BB265_528 Depth=1
	s_or_b64 exec, exec, s[10:11]
	s_and_b64 s[6:7], s[6:7], exec
	s_or_saveexec_b64 s[8:9], s[8:9]
	v_mov_b32_e32 v17, s26
	s_xor_b64 exec, exec, s[8:9]
	s_cbranch_execz .LBB265_653
.LBB265_921:                            ;   in Loop: Header=BB265_528 Depth=1
	v_cmp_ne_u16_e64 s[2:3], 0, v8
	s_andn2_b64 s[6:7], s[6:7], exec
	s_and_b64 s[2:3], s[2:3], exec
	v_mov_b32_e32 v17, 0
	s_or_b64 s[6:7], s[6:7], s[2:3]
	s_or_b64 exec, exec, s[8:9]
	s_and_saveexec_b64 s[8:9], s[6:7]
	s_cbranch_execnz .LBB265_654
	s_branch .LBB265_655
.LBB265_922:                            ;   in Loop: Header=BB265_528 Depth=1
	v_cmp_eq_u16_sdwa s[26:27], v8, s28 src0_sel:BYTE_0 src1_sel:DWORD
	s_mov_b64 s[2:3], -1
                                        ; implicit-def: $sgpr10
	s_and_saveexec_b64 s[8:9], s[26:27]
; %bb.923:                              ;   in Loop: Header=BB265_528 Depth=1
	s_mov_b32 s10, 0x7fc02000
	s_xor_b64 s[2:3], exec, -1
; %bb.924:                              ;   in Loop: Header=BB265_528 Depth=1
	s_or_b64 exec, exec, s[8:9]
	s_and_b64 s[2:3], s[2:3], exec
	s_or_saveexec_b64 s[6:7], s[6:7]
	v_mov_b32_e32 v18, s10
	s_xor_b64 exec, exec, s[6:7]
	s_cbranch_execz .LBB265_657
.LBB265_925:                            ;   in Loop: Header=BB265_528 Depth=1
	v_cmp_ne_u16_sdwa s[8:9], v8, v9 src0_sel:BYTE_0 src1_sel:DWORD
	s_andn2_b64 s[2:3], s[2:3], exec
	s_and_b64 s[8:9], s[8:9], exec
	v_mov_b32_e32 v18, 0
	s_or_b64 s[2:3], s[2:3], s[8:9]
	s_or_b64 exec, exec, s[6:7]
	s_and_saveexec_b64 s[6:7], s[2:3]
	s_cbranch_execnz .LBB265_658
	s_branch .LBB265_659
.LBB265_926:                            ;   in Loop: Header=BB265_528 Depth=1
	v_cmp_eq_u16_e64 s[2:3], s28, v8
	s_mov_b64 s[6:7], -1
                                        ; implicit-def: $sgpr26
	s_and_saveexec_b64 s[10:11], s[2:3]
; %bb.927:                              ;   in Loop: Header=BB265_528 Depth=1
	s_mov_b32 s26, 0x7fc02000
	s_xor_b64 s[6:7], exec, -1
; %bb.928:                              ;   in Loop: Header=BB265_528 Depth=1
	s_or_b64 exec, exec, s[10:11]
	s_and_b64 s[6:7], s[6:7], exec
	s_or_saveexec_b64 s[8:9], s[8:9]
	v_mov_b32_e32 v23, s26
	s_xor_b64 exec, exec, s[8:9]
	s_cbranch_execz .LBB265_661
.LBB265_929:                            ;   in Loop: Header=BB265_528 Depth=1
	v_cmp_ne_u16_e64 s[2:3], 0, v8
	s_andn2_b64 s[6:7], s[6:7], exec
	s_and_b64 s[2:3], s[2:3], exec
	v_mov_b32_e32 v23, 0
	s_or_b64 s[6:7], s[6:7], s[2:3]
	s_or_b64 exec, exec, s[8:9]
	s_and_saveexec_b64 s[8:9], s[6:7]
	s_cbranch_execnz .LBB265_662
	s_branch .LBB265_663
.LBB265_930:                            ;   in Loop: Header=BB265_528 Depth=1
	v_cmp_eq_u16_sdwa s[26:27], v36, s28 src0_sel:BYTE_0 src1_sel:DWORD
	s_mov_b64 s[2:3], -1
                                        ; implicit-def: $sgpr10
	s_and_saveexec_b64 s[8:9], s[26:27]
; %bb.931:                              ;   in Loop: Header=BB265_528 Depth=1
	s_mov_b32 s10, 0x7fc02000
	s_xor_b64 s[2:3], exec, -1
; %bb.932:                              ;   in Loop: Header=BB265_528 Depth=1
	s_or_b64 exec, exec, s[8:9]
	s_and_b64 s[2:3], s[2:3], exec
	s_or_saveexec_b64 s[6:7], s[6:7]
	v_mov_b32_e32 v38, s10
	s_xor_b64 exec, exec, s[6:7]
	s_cbranch_execz .LBB265_667
.LBB265_933:                            ;   in Loop: Header=BB265_528 Depth=1
	v_cmp_ne_u16_sdwa s[8:9], v36, v9 src0_sel:BYTE_0 src1_sel:DWORD
	s_andn2_b64 s[2:3], s[2:3], exec
	s_and_b64 s[8:9], s[8:9], exec
	v_mov_b32_e32 v38, 0
	s_or_b64 s[2:3], s[2:3], s[8:9]
	s_or_b64 exec, exec, s[6:7]
	s_and_saveexec_b64 s[6:7], s[2:3]
	s_cbranch_execnz .LBB265_668
	s_branch .LBB265_669
.LBB265_934:                            ;   in Loop: Header=BB265_528 Depth=1
	v_cmp_eq_u16_e64 s[2:3], s28, v8
	s_mov_b64 s[6:7], -1
                                        ; implicit-def: $sgpr26
	s_and_saveexec_b64 s[10:11], s[2:3]
; %bb.935:                              ;   in Loop: Header=BB265_528 Depth=1
	s_mov_b32 s26, 0x7fc02000
	s_xor_b64 s[6:7], exec, -1
; %bb.936:                              ;   in Loop: Header=BB265_528 Depth=1
	s_or_b64 exec, exec, s[10:11]
	s_and_b64 s[6:7], s[6:7], exec
	s_or_saveexec_b64 s[8:9], s[8:9]
	v_mov_b32_e32 v48, s26
	s_xor_b64 exec, exec, s[8:9]
	s_cbranch_execz .LBB265_671
.LBB265_937:                            ;   in Loop: Header=BB265_528 Depth=1
	v_cmp_ne_u16_e64 s[2:3], 0, v8
	s_andn2_b64 s[6:7], s[6:7], exec
	s_and_b64 s[2:3], s[2:3], exec
	v_mov_b32_e32 v48, 0
	s_or_b64 s[6:7], s[6:7], s[2:3]
	s_or_b64 exec, exec, s[8:9]
	s_and_saveexec_b64 s[8:9], s[6:7]
	s_cbranch_execnz .LBB265_672
	s_branch .LBB265_673
.LBB265_938:                            ;   in Loop: Header=BB265_528 Depth=1
	v_cmp_eq_u16_sdwa s[26:27], v8, s28 src0_sel:BYTE_0 src1_sel:DWORD
	s_mov_b64 s[2:3], -1
                                        ; implicit-def: $sgpr10
	s_and_saveexec_b64 s[8:9], s[26:27]
; %bb.939:                              ;   in Loop: Header=BB265_528 Depth=1
	s_mov_b32 s10, 0x7fc02000
	s_xor_b64 s[2:3], exec, -1
; %bb.940:                              ;   in Loop: Header=BB265_528 Depth=1
	s_or_b64 exec, exec, s[8:9]
	s_and_b64 s[2:3], s[2:3], exec
	s_or_saveexec_b64 s[6:7], s[6:7]
	v_mov_b32_e32 v39, s10
	s_xor_b64 exec, exec, s[6:7]
	s_cbranch_execz .LBB265_675
.LBB265_941:                            ;   in Loop: Header=BB265_528 Depth=1
	v_cmp_ne_u16_sdwa s[8:9], v8, v9 src0_sel:BYTE_0 src1_sel:DWORD
	s_andn2_b64 s[2:3], s[2:3], exec
	s_and_b64 s[8:9], s[8:9], exec
	v_mov_b32_e32 v39, 0
	s_or_b64 s[2:3], s[2:3], s[8:9]
	s_or_b64 exec, exec, s[6:7]
	s_and_saveexec_b64 s[6:7], s[2:3]
	s_cbranch_execnz .LBB265_676
	s_branch .LBB265_677
.LBB265_942:                            ;   in Loop: Header=BB265_528 Depth=1
	v_cmp_eq_u16_e64 s[2:3], s28, v8
	s_mov_b64 s[6:7], -1
                                        ; implicit-def: $sgpr26
	s_and_saveexec_b64 s[10:11], s[2:3]
; %bb.943:                              ;   in Loop: Header=BB265_528 Depth=1
	s_mov_b32 s26, 0x7fc02000
	s_xor_b64 s[6:7], exec, -1
; %bb.944:                              ;   in Loop: Header=BB265_528 Depth=1
	s_or_b64 exec, exec, s[10:11]
	s_and_b64 s[6:7], s[6:7], exec
	s_or_saveexec_b64 s[8:9], s[8:9]
	v_mov_b32_e32 v49, s26
	s_xor_b64 exec, exec, s[8:9]
	s_cbranch_execz .LBB265_679
.LBB265_945:                            ;   in Loop: Header=BB265_528 Depth=1
	v_cmp_ne_u16_e64 s[2:3], 0, v8
	s_andn2_b64 s[6:7], s[6:7], exec
	s_and_b64 s[2:3], s[2:3], exec
	v_mov_b32_e32 v49, 0
	s_or_b64 s[6:7], s[6:7], s[2:3]
	s_or_b64 exec, exec, s[8:9]
	s_and_saveexec_b64 s[8:9], s[6:7]
	s_cbranch_execnz .LBB265_680
	s_branch .LBB265_681
.LBB265_946:                            ;   in Loop: Header=BB265_528 Depth=1
	v_cmp_eq_u16_sdwa s[26:27], v37, s28 src0_sel:BYTE_0 src1_sel:DWORD
	s_mov_b64 s[2:3], -1
                                        ; implicit-def: $sgpr10
	s_and_saveexec_b64 s[8:9], s[26:27]
; %bb.947:                              ;   in Loop: Header=BB265_528 Depth=1
	s_mov_b32 s10, 0x7fc02000
	s_xor_b64 s[2:3], exec, -1
; %bb.948:                              ;   in Loop: Header=BB265_528 Depth=1
	s_or_b64 exec, exec, s[8:9]
	s_and_b64 s[2:3], s[2:3], exec
	s_or_saveexec_b64 s[6:7], s[6:7]
	v_mov_b32_e32 v2, s10
	s_xor_b64 exec, exec, s[6:7]
	s_cbranch_execz .LBB265_683
.LBB265_949:                            ;   in Loop: Header=BB265_528 Depth=1
	v_cmp_ne_u16_sdwa s[8:9], v37, v9 src0_sel:BYTE_0 src1_sel:DWORD
	s_andn2_b64 s[2:3], s[2:3], exec
	s_and_b64 s[8:9], s[8:9], exec
	v_mov_b32_e32 v2, 0
	s_or_b64 s[2:3], s[2:3], s[8:9]
	s_or_b64 exec, exec, s[6:7]
	v_mov_b32_e32 v8, v37
	s_and_saveexec_b64 s[6:7], s[2:3]
	s_cbranch_execnz .LBB265_684
	s_branch .LBB265_685
.LBB265_950:                            ;   in Loop: Header=BB265_528 Depth=1
	v_cmp_eq_u16_e64 s[2:3], s28, v8
	s_mov_b64 s[6:7], -1
                                        ; implicit-def: $sgpr26
	s_and_saveexec_b64 s[10:11], s[2:3]
; %bb.951:                              ;   in Loop: Header=BB265_528 Depth=1
	s_mov_b32 s26, 0x7fc02000
	s_xor_b64 s[6:7], exec, -1
; %bb.952:                              ;   in Loop: Header=BB265_528 Depth=1
	s_or_b64 exec, exec, s[10:11]
	s_and_b64 s[6:7], s[6:7], exec
	s_or_saveexec_b64 s[8:9], s[8:9]
	v_mov_b32_e32 v17, s26
	s_xor_b64 exec, exec, s[8:9]
	s_cbranch_execz .LBB265_687
.LBB265_953:                            ;   in Loop: Header=BB265_528 Depth=1
	v_cmp_ne_u16_e64 s[2:3], 0, v8
	s_andn2_b64 s[6:7], s[6:7], exec
	s_and_b64 s[2:3], s[2:3], exec
	v_mov_b32_e32 v17, 0
	s_or_b64 s[6:7], s[6:7], s[2:3]
	s_or_b64 exec, exec, s[8:9]
	s_and_saveexec_b64 s[8:9], s[6:7]
	s_cbranch_execnz .LBB265_688
	s_branch .LBB265_689
.LBB265_954:                            ;   in Loop: Header=BB265_528 Depth=1
	v_cmp_eq_u16_sdwa s[26:27], v8, s28 src0_sel:BYTE_0 src1_sel:DWORD
	s_mov_b64 s[2:3], -1
                                        ; implicit-def: $sgpr10
	s_and_saveexec_b64 s[8:9], s[26:27]
; %bb.955:                              ;   in Loop: Header=BB265_528 Depth=1
	s_mov_b32 s10, 0x7fc02000
	s_xor_b64 s[2:3], exec, -1
; %bb.956:                              ;   in Loop: Header=BB265_528 Depth=1
	s_or_b64 exec, exec, s[8:9]
	s_and_b64 s[2:3], s[2:3], exec
	s_or_saveexec_b64 s[6:7], s[6:7]
	v_mov_b32_e32 v22, s10
	s_xor_b64 exec, exec, s[6:7]
	s_cbranch_execz .LBB265_691
.LBB265_957:                            ;   in Loop: Header=BB265_528 Depth=1
	v_cmp_ne_u16_sdwa s[8:9], v8, v9 src0_sel:BYTE_0 src1_sel:DWORD
	s_andn2_b64 s[2:3], s[2:3], exec
	s_and_b64 s[8:9], s[8:9], exec
	v_mov_b32_e32 v22, 0
	s_or_b64 s[2:3], s[2:3], s[8:9]
	s_or_b64 exec, exec, s[6:7]
	s_and_saveexec_b64 s[6:7], s[2:3]
	s_cbranch_execnz .LBB265_692
	s_branch .LBB265_693
.LBB265_958:                            ;   in Loop: Header=BB265_528 Depth=1
	v_cmp_eq_u16_e64 s[2:3], s28, v8
	s_mov_b64 s[6:7], -1
                                        ; implicit-def: $sgpr26
	s_and_saveexec_b64 s[10:11], s[2:3]
; %bb.959:                              ;   in Loop: Header=BB265_528 Depth=1
	s_mov_b32 s26, 0x7fc02000
	s_xor_b64 s[6:7], exec, -1
; %bb.960:                              ;   in Loop: Header=BB265_528 Depth=1
	s_or_b64 exec, exec, s[10:11]
	s_and_b64 s[6:7], s[6:7], exec
	s_or_saveexec_b64 s[8:9], s[8:9]
	v_mov_b32_e32 v27, s26
	s_xor_b64 exec, exec, s[8:9]
	s_cbranch_execz .LBB265_695
.LBB265_961:                            ;   in Loop: Header=BB265_528 Depth=1
	v_cmp_ne_u16_e64 s[2:3], 0, v8
	s_andn2_b64 s[6:7], s[6:7], exec
	s_and_b64 s[2:3], s[2:3], exec
	v_mov_b32_e32 v27, 0
	s_or_b64 s[6:7], s[6:7], s[2:3]
	s_or_b64 exec, exec, s[8:9]
	s_and_saveexec_b64 s[8:9], s[6:7]
	s_cbranch_execnz .LBB265_696
	s_branch .LBB265_697
.LBB265_962:                            ;   in Loop: Header=BB265_528 Depth=1
	v_cmp_eq_u16_sdwa s[26:27], v36, s28 src0_sel:BYTE_0 src1_sel:DWORD
	s_mov_b64 s[2:3], -1
                                        ; implicit-def: $sgpr10
	s_and_saveexec_b64 s[8:9], s[26:27]
; %bb.963:                              ;   in Loop: Header=BB265_528 Depth=1
	s_mov_b32 s10, 0x7fc02000
	s_xor_b64 s[2:3], exec, -1
; %bb.964:                              ;   in Loop: Header=BB265_528 Depth=1
	s_or_b64 exec, exec, s[8:9]
	s_and_b64 s[2:3], s[2:3], exec
	s_or_saveexec_b64 s[6:7], s[6:7]
	v_mov_b32_e32 v38, s10
	s_xor_b64 exec, exec, s[6:7]
	s_cbranch_execz .LBB265_701
.LBB265_965:                            ;   in Loop: Header=BB265_528 Depth=1
	v_cmp_ne_u16_sdwa s[8:9], v36, v9 src0_sel:BYTE_0 src1_sel:DWORD
	s_andn2_b64 s[2:3], s[2:3], exec
	s_and_b64 s[8:9], s[8:9], exec
	v_mov_b32_e32 v38, 0
	s_or_b64 s[2:3], s[2:3], s[8:9]
	s_or_b64 exec, exec, s[6:7]
	s_and_saveexec_b64 s[6:7], s[2:3]
	s_cbranch_execnz .LBB265_702
	s_branch .LBB265_703
.LBB265_966:                            ;   in Loop: Header=BB265_528 Depth=1
	v_cmp_eq_u16_e64 s[2:3], s28, v8
	s_mov_b64 s[6:7], -1
                                        ; implicit-def: $sgpr26
	s_and_saveexec_b64 s[10:11], s[2:3]
; %bb.967:                              ;   in Loop: Header=BB265_528 Depth=1
	s_mov_b32 s26, 0x7fc02000
	s_xor_b64 s[6:7], exec, -1
; %bb.968:                              ;   in Loop: Header=BB265_528 Depth=1
	s_or_b64 exec, exec, s[10:11]
	s_and_b64 s[6:7], s[6:7], exec
	s_or_saveexec_b64 s[8:9], s[8:9]
	v_mov_b32_e32 v48, s26
	s_xor_b64 exec, exec, s[8:9]
	s_cbranch_execz .LBB265_705
.LBB265_969:                            ;   in Loop: Header=BB265_528 Depth=1
	v_cmp_ne_u16_e64 s[2:3], 0, v8
	s_andn2_b64 s[6:7], s[6:7], exec
	s_and_b64 s[2:3], s[2:3], exec
	v_mov_b32_e32 v48, 0
	s_or_b64 s[6:7], s[6:7], s[2:3]
	s_or_b64 exec, exec, s[8:9]
	s_and_saveexec_b64 s[8:9], s[6:7]
	s_cbranch_execnz .LBB265_706
	s_branch .LBB265_707
.LBB265_970:                            ;   in Loop: Header=BB265_528 Depth=1
	v_cmp_eq_u16_sdwa s[26:27], v8, s28 src0_sel:BYTE_0 src1_sel:DWORD
	s_mov_b64 s[2:3], -1
                                        ; implicit-def: $sgpr10
	s_and_saveexec_b64 s[8:9], s[26:27]
; %bb.971:                              ;   in Loop: Header=BB265_528 Depth=1
	s_mov_b32 s10, 0x7fc02000
	s_xor_b64 s[2:3], exec, -1
; %bb.972:                              ;   in Loop: Header=BB265_528 Depth=1
	s_or_b64 exec, exec, s[8:9]
	s_and_b64 s[2:3], s[2:3], exec
	s_or_saveexec_b64 s[6:7], s[6:7]
	v_mov_b32_e32 v39, s10
	s_xor_b64 exec, exec, s[6:7]
	s_cbranch_execz .LBB265_709
.LBB265_973:                            ;   in Loop: Header=BB265_528 Depth=1
	v_cmp_ne_u16_sdwa s[8:9], v8, v9 src0_sel:BYTE_0 src1_sel:DWORD
	s_andn2_b64 s[2:3], s[2:3], exec
	s_and_b64 s[8:9], s[8:9], exec
	v_mov_b32_e32 v39, 0
	s_or_b64 s[2:3], s[2:3], s[8:9]
	s_or_b64 exec, exec, s[6:7]
	s_and_saveexec_b64 s[6:7], s[2:3]
	s_cbranch_execnz .LBB265_710
	s_branch .LBB265_711
.LBB265_974:                            ;   in Loop: Header=BB265_528 Depth=1
	v_cmp_eq_u16_e64 s[2:3], s28, v8
	s_mov_b64 s[6:7], -1
                                        ; implicit-def: $sgpr26
	s_and_saveexec_b64 s[10:11], s[2:3]
; %bb.975:                              ;   in Loop: Header=BB265_528 Depth=1
	s_mov_b32 s26, 0x7fc02000
	s_xor_b64 s[6:7], exec, -1
; %bb.976:                              ;   in Loop: Header=BB265_528 Depth=1
	s_or_b64 exec, exec, s[10:11]
	s_and_b64 s[6:7], s[6:7], exec
	s_or_saveexec_b64 s[8:9], s[8:9]
	v_mov_b32_e32 v49, s26
	s_xor_b64 exec, exec, s[8:9]
	s_cbranch_execz .LBB265_713
.LBB265_977:                            ;   in Loop: Header=BB265_528 Depth=1
	v_cmp_ne_u16_e64 s[2:3], 0, v8
	s_andn2_b64 s[6:7], s[6:7], exec
	s_and_b64 s[2:3], s[2:3], exec
	v_mov_b32_e32 v49, 0
	s_or_b64 s[6:7], s[6:7], s[2:3]
	s_or_b64 exec, exec, s[8:9]
	s_and_saveexec_b64 s[8:9], s[6:7]
	s_cbranch_execnz .LBB265_714
	s_branch .LBB265_715
.LBB265_978:                            ;   in Loop: Header=BB265_528 Depth=1
	v_cmp_eq_u16_sdwa s[26:27], v37, s28 src0_sel:BYTE_0 src1_sel:DWORD
	s_mov_b64 s[2:3], -1
                                        ; implicit-def: $sgpr10
	s_and_saveexec_b64 s[8:9], s[26:27]
; %bb.979:                              ;   in Loop: Header=BB265_528 Depth=1
	s_mov_b32 s10, 0x7fc02000
	s_xor_b64 s[2:3], exec, -1
; %bb.980:                              ;   in Loop: Header=BB265_528 Depth=1
	s_or_b64 exec, exec, s[8:9]
	s_and_b64 s[2:3], s[2:3], exec
	s_or_saveexec_b64 s[6:7], s[6:7]
	v_mov_b32_e32 v17, s10
	s_xor_b64 exec, exec, s[6:7]
	s_cbranch_execz .LBB265_717
.LBB265_981:                            ;   in Loop: Header=BB265_528 Depth=1
	v_cmp_ne_u16_sdwa s[8:9], v37, v9 src0_sel:BYTE_0 src1_sel:DWORD
	s_andn2_b64 s[2:3], s[2:3], exec
	s_and_b64 s[8:9], s[8:9], exec
	v_mov_b32_e32 v17, 0
	s_or_b64 s[2:3], s[2:3], s[8:9]
	s_or_b64 exec, exec, s[6:7]
	v_mov_b32_e32 v8, v37
	s_and_saveexec_b64 s[6:7], s[2:3]
	s_cbranch_execnz .LBB265_718
	s_branch .LBB265_719
.LBB265_982:                            ;   in Loop: Header=BB265_528 Depth=1
	v_cmp_eq_u16_e64 s[2:3], s28, v8
	s_mov_b64 s[6:7], -1
                                        ; implicit-def: $sgpr26
	s_and_saveexec_b64 s[10:11], s[2:3]
; %bb.983:                              ;   in Loop: Header=BB265_528 Depth=1
	s_mov_b32 s26, 0x7fc02000
	s_xor_b64 s[6:7], exec, -1
; %bb.984:                              ;   in Loop: Header=BB265_528 Depth=1
	s_or_b64 exec, exec, s[10:11]
	s_and_b64 s[6:7], s[6:7], exec
	s_or_saveexec_b64 s[8:9], s[8:9]
	v_mov_b32_e32 v22, s26
	s_xor_b64 exec, exec, s[8:9]
	s_cbranch_execz .LBB265_721
.LBB265_985:                            ;   in Loop: Header=BB265_528 Depth=1
	v_cmp_ne_u16_e64 s[2:3], 0, v8
	s_andn2_b64 s[6:7], s[6:7], exec
	s_and_b64 s[2:3], s[2:3], exec
	v_mov_b32_e32 v22, 0
	s_or_b64 s[6:7], s[6:7], s[2:3]
	s_or_b64 exec, exec, s[8:9]
	s_and_saveexec_b64 s[8:9], s[6:7]
	s_cbranch_execnz .LBB265_722
	s_branch .LBB265_723
.LBB265_986:                            ;   in Loop: Header=BB265_528 Depth=1
	v_cmp_eq_u16_sdwa s[26:27], v8, s28 src0_sel:BYTE_0 src1_sel:DWORD
	s_mov_b64 s[2:3], -1
                                        ; implicit-def: $sgpr10
	s_and_saveexec_b64 s[8:9], s[26:27]
; %bb.987:                              ;   in Loop: Header=BB265_528 Depth=1
	s_mov_b32 s10, 0x7fc02000
	s_xor_b64 s[2:3], exec, -1
; %bb.988:                              ;   in Loop: Header=BB265_528 Depth=1
	s_or_b64 exec, exec, s[8:9]
	s_and_b64 s[2:3], s[2:3], exec
	s_or_saveexec_b64 s[6:7], s[6:7]
	v_mov_b32_e32 v23, s10
	s_xor_b64 exec, exec, s[6:7]
	s_cbranch_execz .LBB265_725
.LBB265_989:                            ;   in Loop: Header=BB265_528 Depth=1
	v_cmp_ne_u16_sdwa s[8:9], v8, v9 src0_sel:BYTE_0 src1_sel:DWORD
	s_andn2_b64 s[2:3], s[2:3], exec
	s_and_b64 s[8:9], s[8:9], exec
	v_mov_b32_e32 v23, 0
	s_or_b64 s[2:3], s[2:3], s[8:9]
	s_or_b64 exec, exec, s[6:7]
	s_and_saveexec_b64 s[6:7], s[2:3]
	s_cbranch_execnz .LBB265_726
	s_branch .LBB265_727
.LBB265_990:                            ;   in Loop: Header=BB265_528 Depth=1
	v_cmp_eq_u16_e64 s[2:3], s28, v8
	s_mov_b64 s[6:7], -1
                                        ; implicit-def: $sgpr26
	s_and_saveexec_b64 s[10:11], s[2:3]
; %bb.991:                              ;   in Loop: Header=BB265_528 Depth=1
	s_mov_b32 s26, 0x7fc02000
	s_xor_b64 s[6:7], exec, -1
; %bb.992:                              ;   in Loop: Header=BB265_528 Depth=1
	s_or_b64 exec, exec, s[10:11]
	s_and_b64 s[6:7], s[6:7], exec
	s_or_saveexec_b64 s[8:9], s[8:9]
	v_mov_b32_e32 v36, s26
	s_xor_b64 exec, exec, s[8:9]
	s_cbranch_execz .LBB265_729
.LBB265_993:                            ;   in Loop: Header=BB265_528 Depth=1
	v_cmp_ne_u16_e64 s[2:3], 0, v8
	s_andn2_b64 s[6:7], s[6:7], exec
	s_and_b64 s[2:3], s[2:3], exec
	v_mov_b32_e32 v36, 0
	s_or_b64 s[6:7], s[6:7], s[2:3]
	s_or_b64 exec, exec, s[8:9]
	s_and_saveexec_b64 s[8:9], s[6:7]
	s_cbranch_execnz .LBB265_730
	s_branch .LBB265_731
.LBB265_994:                            ;   in Loop: Header=BB265_528 Depth=1
	v_cmp_eq_u16_sdwa s[26:27], v26, s28 src0_sel:BYTE_0 src1_sel:DWORD
	s_mov_b64 s[2:3], -1
                                        ; implicit-def: $sgpr10
	s_and_saveexec_b64 s[8:9], s[26:27]
; %bb.995:                              ;   in Loop: Header=BB265_528 Depth=1
	s_mov_b32 s10, 0x7fc02000
	s_xor_b64 s[2:3], exec, -1
; %bb.996:                              ;   in Loop: Header=BB265_528 Depth=1
	s_or_b64 exec, exec, s[8:9]
	s_and_b64 s[2:3], s[2:3], exec
	s_or_saveexec_b64 s[6:7], s[6:7]
	v_mov_b32_e32 v36, s10
	s_xor_b64 exec, exec, s[6:7]
	s_cbranch_execz .LBB265_735
.LBB265_997:                            ;   in Loop: Header=BB265_528 Depth=1
	v_cmp_ne_u16_sdwa s[8:9], v26, v9 src0_sel:BYTE_0 src1_sel:DWORD
	s_andn2_b64 s[2:3], s[2:3], exec
	s_and_b64 s[8:9], s[8:9], exec
	v_mov_b32_e32 v36, 0
	s_or_b64 s[2:3], s[2:3], s[8:9]
	s_or_b64 exec, exec, s[6:7]
	s_and_saveexec_b64 s[6:7], s[2:3]
	s_cbranch_execnz .LBB265_736
	s_branch .LBB265_737
.LBB265_998:                            ;   in Loop: Header=BB265_528 Depth=1
	v_cmp_eq_u16_e64 s[2:3], s28, v8
	s_mov_b64 s[6:7], -1
                                        ; implicit-def: $sgpr26
	s_and_saveexec_b64 s[10:11], s[2:3]
; %bb.999:                              ;   in Loop: Header=BB265_528 Depth=1
	s_mov_b32 s26, 0x7fc02000
	s_xor_b64 s[6:7], exec, -1
; %bb.1000:                             ;   in Loop: Header=BB265_528 Depth=1
	s_or_b64 exec, exec, s[10:11]
	s_and_b64 s[6:7], s[6:7], exec
	s_or_saveexec_b64 s[8:9], s[8:9]
	v_mov_b32_e32 v38, s26
	s_xor_b64 exec, exec, s[8:9]
	s_cbranch_execz .LBB265_739
.LBB265_1001:                           ;   in Loop: Header=BB265_528 Depth=1
	v_cmp_ne_u16_e64 s[2:3], 0, v8
	s_andn2_b64 s[6:7], s[6:7], exec
	s_and_b64 s[2:3], s[2:3], exec
	v_mov_b32_e32 v38, 0
	s_or_b64 s[6:7], s[6:7], s[2:3]
	s_or_b64 exec, exec, s[8:9]
	s_and_saveexec_b64 s[8:9], s[6:7]
	s_cbranch_execnz .LBB265_740
	s_branch .LBB265_741
.LBB265_1002:                           ;   in Loop: Header=BB265_528 Depth=1
	v_cmp_eq_u16_sdwa s[26:27], v8, s28 src0_sel:BYTE_0 src1_sel:DWORD
	s_mov_b64 s[2:3], -1
                                        ; implicit-def: $sgpr10
	s_and_saveexec_b64 s[8:9], s[26:27]
; %bb.1003:                             ;   in Loop: Header=BB265_528 Depth=1
	s_mov_b32 s10, 0x7fc02000
	s_xor_b64 s[2:3], exec, -1
; %bb.1004:                             ;   in Loop: Header=BB265_528 Depth=1
	s_or_b64 exec, exec, s[8:9]
	s_and_b64 s[2:3], s[2:3], exec
	s_or_saveexec_b64 s[6:7], s[6:7]
	v_mov_b32_e32 v37, s10
	s_xor_b64 exec, exec, s[6:7]
	s_cbranch_execz .LBB265_743
.LBB265_1005:                           ;   in Loop: Header=BB265_528 Depth=1
	v_cmp_ne_u16_sdwa s[8:9], v8, v9 src0_sel:BYTE_0 src1_sel:DWORD
	s_andn2_b64 s[2:3], s[2:3], exec
	s_and_b64 s[8:9], s[8:9], exec
	v_mov_b32_e32 v37, 0
	s_or_b64 s[2:3], s[2:3], s[8:9]
	s_or_b64 exec, exec, s[6:7]
	s_and_saveexec_b64 s[6:7], s[2:3]
	s_cbranch_execnz .LBB265_744
	s_branch .LBB265_745
.LBB265_1006:                           ;   in Loop: Header=BB265_528 Depth=1
	v_cmp_eq_u16_e64 s[2:3], s28, v8
	s_mov_b64 s[6:7], -1
                                        ; implicit-def: $sgpr26
	s_and_saveexec_b64 s[10:11], s[2:3]
; %bb.1007:                             ;   in Loop: Header=BB265_528 Depth=1
	s_mov_b32 s26, 0x7fc02000
	s_xor_b64 s[6:7], exec, -1
; %bb.1008:                             ;   in Loop: Header=BB265_528 Depth=1
	s_or_b64 exec, exec, s[10:11]
	s_and_b64 s[6:7], s[6:7], exec
	s_or_saveexec_b64 s[8:9], s[8:9]
	v_mov_b32_e32 v39, s26
	s_xor_b64 exec, exec, s[8:9]
	s_cbranch_execz .LBB265_747
.LBB265_1009:                           ;   in Loop: Header=BB265_528 Depth=1
	v_cmp_ne_u16_e64 s[2:3], 0, v8
	s_andn2_b64 s[6:7], s[6:7], exec
	s_and_b64 s[2:3], s[2:3], exec
	v_mov_b32_e32 v39, 0
	s_or_b64 s[6:7], s[6:7], s[2:3]
	s_or_b64 exec, exec, s[8:9]
	s_and_saveexec_b64 s[8:9], s[6:7]
	s_cbranch_execnz .LBB265_748
	s_branch .LBB265_749
.LBB265_1010:                           ;   in Loop: Header=BB265_528 Depth=1
	v_cmp_eq_u16_sdwa s[26:27], v27, s28 src0_sel:BYTE_0 src1_sel:DWORD
	s_mov_b64 s[2:3], -1
                                        ; implicit-def: $sgpr10
	s_and_saveexec_b64 s[8:9], s[26:27]
; %bb.1011:                             ;   in Loop: Header=BB265_528 Depth=1
	s_mov_b32 s10, 0x7fc02000
	s_xor_b64 s[2:3], exec, -1
; %bb.1012:                             ;   in Loop: Header=BB265_528 Depth=1
	s_or_b64 exec, exec, s[8:9]
	s_and_b64 s[2:3], s[2:3], exec
	s_or_saveexec_b64 s[6:7], s[6:7]
	v_mov_b32_e32 v17, s10
	s_xor_b64 exec, exec, s[6:7]
	s_cbranch_execz .LBB265_751
.LBB265_1013:                           ;   in Loop: Header=BB265_528 Depth=1
	v_cmp_ne_u16_sdwa s[8:9], v27, v9 src0_sel:BYTE_0 src1_sel:DWORD
	s_andn2_b64 s[2:3], s[2:3], exec
	s_and_b64 s[8:9], s[8:9], exec
	v_mov_b32_e32 v17, 0
	s_or_b64 s[2:3], s[2:3], s[8:9]
	s_or_b64 exec, exec, s[6:7]
	v_mov_b32_e32 v8, v27
	s_and_saveexec_b64 s[6:7], s[2:3]
	s_cbranch_execnz .LBB265_752
	s_branch .LBB265_753
.LBB265_1014:                           ;   in Loop: Header=BB265_528 Depth=1
	v_cmp_eq_u16_e64 s[2:3], s28, v8
	s_mov_b64 s[6:7], -1
                                        ; implicit-def: $sgpr26
	s_and_saveexec_b64 s[10:11], s[2:3]
; %bb.1015:                             ;   in Loop: Header=BB265_528 Depth=1
	s_mov_b32 s26, 0x7fc02000
	s_xor_b64 s[6:7], exec, -1
; %bb.1016:                             ;   in Loop: Header=BB265_528 Depth=1
	s_or_b64 exec, exec, s[10:11]
	s_and_b64 s[6:7], s[6:7], exec
	s_or_saveexec_b64 s[8:9], s[8:9]
	v_mov_b32_e32 v25, s26
	s_xor_b64 exec, exec, s[8:9]
	s_cbranch_execz .LBB265_755
.LBB265_1017:                           ;   in Loop: Header=BB265_528 Depth=1
	v_cmp_ne_u16_e64 s[2:3], 0, v8
	s_andn2_b64 s[6:7], s[6:7], exec
	s_and_b64 s[2:3], s[2:3], exec
	v_mov_b32_e32 v25, 0
	s_or_b64 s[6:7], s[6:7], s[2:3]
	s_or_b64 exec, exec, s[8:9]
	s_and_saveexec_b64 s[8:9], s[6:7]
	s_cbranch_execnz .LBB265_756
	s_branch .LBB265_757
.LBB265_1018:                           ;   in Loop: Header=BB265_528 Depth=1
	v_cmp_eq_u16_sdwa s[26:27], v8, s28 src0_sel:BYTE_0 src1_sel:DWORD
	s_mov_b64 s[2:3], -1
                                        ; implicit-def: $sgpr10
	s_and_saveexec_b64 s[8:9], s[26:27]
; %bb.1019:                             ;   in Loop: Header=BB265_528 Depth=1
	s_mov_b32 s10, 0x7fc02000
	s_xor_b64 s[2:3], exec, -1
; %bb.1020:                             ;   in Loop: Header=BB265_528 Depth=1
	s_or_b64 exec, exec, s[8:9]
	s_and_b64 s[2:3], s[2:3], exec
	s_or_saveexec_b64 s[6:7], s[6:7]
	v_mov_b32_e32 v26, s10
	s_xor_b64 exec, exec, s[6:7]
	s_cbranch_execz .LBB265_759
.LBB265_1021:                           ;   in Loop: Header=BB265_528 Depth=1
	v_cmp_ne_u16_sdwa s[8:9], v8, v9 src0_sel:BYTE_0 src1_sel:DWORD
	s_andn2_b64 s[2:3], s[2:3], exec
	s_and_b64 s[8:9], s[8:9], exec
	v_mov_b32_e32 v26, 0
	s_or_b64 s[2:3], s[2:3], s[8:9]
	s_or_b64 exec, exec, s[6:7]
	s_and_saveexec_b64 s[6:7], s[2:3]
	s_cbranch_execnz .LBB265_760
	s_branch .LBB265_761
.LBB265_1022:                           ;   in Loop: Header=BB265_528 Depth=1
	v_cmp_eq_u16_e64 s[2:3], s28, v8
	s_mov_b64 s[6:7], -1
                                        ; implicit-def: $sgpr26
	s_and_saveexec_b64 s[10:11], s[2:3]
; %bb.1023:                             ;   in Loop: Header=BB265_528 Depth=1
	s_mov_b32 s26, 0x7fc02000
	s_xor_b64 s[6:7], exec, -1
; %bb.1024:                             ;   in Loop: Header=BB265_528 Depth=1
	s_or_b64 exec, exec, s[10:11]
	s_and_b64 s[6:7], s[6:7], exec
	s_or_saveexec_b64 s[8:9], s[8:9]
	v_mov_b32_e32 v48, s26
	s_xor_b64 exec, exec, s[8:9]
	s_cbranch_execz .LBB265_763
.LBB265_1025:                           ;   in Loop: Header=BB265_528 Depth=1
	v_cmp_ne_u16_e64 s[2:3], 0, v8
	s_andn2_b64 s[6:7], s[6:7], exec
	s_and_b64 s[2:3], s[2:3], exec
	v_mov_b32_e32 v48, 0
	s_or_b64 s[6:7], s[6:7], s[2:3]
	s_or_b64 exec, exec, s[8:9]
	s_and_saveexec_b64 s[8:9], s[6:7]
	s_cbranch_execnz .LBB265_764
	s_branch .LBB265_765
.LBB265_1026:                           ;   in Loop: Header=BB265_528 Depth=1
	v_cmp_eq_u16_sdwa s[36:37], v24, s28 src0_sel:BYTE_0 src1_sel:DWORD
	s_mov_b64 s[2:3], -1
                                        ; implicit-def: $sgpr26
	s_and_saveexec_b64 s[10:11], s[36:37]
; %bb.1027:                             ;   in Loop: Header=BB265_528 Depth=1
	s_mov_b32 s26, 0x7fc02000
	s_xor_b64 s[2:3], exec, -1
; %bb.1028:                             ;   in Loop: Header=BB265_528 Depth=1
	s_or_b64 exec, exec, s[10:11]
	s_and_b64 s[2:3], s[2:3], exec
	s_or_saveexec_b64 s[8:9], s[8:9]
	v_mov_b32_e32 v26, s26
	s_xor_b64 exec, exec, s[8:9]
	s_cbranch_execz .LBB265_770
.LBB265_1029:                           ;   in Loop: Header=BB265_528 Depth=1
	v_cmp_ne_u16_sdwa s[10:11], v24, v9 src0_sel:BYTE_0 src1_sel:DWORD
	s_andn2_b64 s[2:3], s[2:3], exec
	s_and_b64 s[10:11], s[10:11], exec
	v_mov_b32_e32 v26, 0
	s_or_b64 s[2:3], s[2:3], s[10:11]
	s_or_b64 exec, exec, s[8:9]
	s_and_saveexec_b64 s[8:9], s[2:3]
	s_cbranch_execnz .LBB265_771
	s_branch .LBB265_772
.LBB265_1030:                           ;   in Loop: Header=BB265_528 Depth=1
	v_cmp_eq_u16_e64 s[2:3], s28, v8
	s_mov_b64 s[8:9], -1
                                        ; implicit-def: $sgpr36
	s_and_saveexec_b64 s[26:27], s[2:3]
; %bb.1031:                             ;   in Loop: Header=BB265_528 Depth=1
	s_mov_b32 s36, 0x7fc02000
	s_xor_b64 s[8:9], exec, -1
; %bb.1032:                             ;   in Loop: Header=BB265_528 Depth=1
	s_or_b64 exec, exec, s[26:27]
	s_and_b64 s[8:9], s[8:9], exec
	s_or_saveexec_b64 s[10:11], s[10:11]
	v_mov_b32_e32 v36, s36
	s_xor_b64 exec, exec, s[10:11]
	s_cbranch_execz .LBB265_774
.LBB265_1033:                           ;   in Loop: Header=BB265_528 Depth=1
	v_cmp_ne_u16_e64 s[2:3], 0, v8
	s_andn2_b64 s[8:9], s[8:9], exec
	s_and_b64 s[2:3], s[2:3], exec
	v_mov_b32_e32 v36, 0
	s_or_b64 s[8:9], s[8:9], s[2:3]
	s_or_b64 exec, exec, s[10:11]
	s_and_saveexec_b64 s[10:11], s[8:9]
	s_cbranch_execnz .LBB265_775
	s_branch .LBB265_776
.LBB265_1034:                           ;   in Loop: Header=BB265_528 Depth=1
	v_cmp_eq_u16_sdwa s[36:37], v8, s28 src0_sel:BYTE_0 src1_sel:DWORD
	s_mov_b64 s[2:3], -1
                                        ; implicit-def: $sgpr26
	s_and_saveexec_b64 s[10:11], s[36:37]
; %bb.1035:                             ;   in Loop: Header=BB265_528 Depth=1
	s_mov_b32 s26, 0x7fc02000
	s_xor_b64 s[2:3], exec, -1
; %bb.1036:                             ;   in Loop: Header=BB265_528 Depth=1
	s_or_b64 exec, exec, s[10:11]
	s_and_b64 s[2:3], s[2:3], exec
	s_or_saveexec_b64 s[8:9], s[8:9]
	v_mov_b32_e32 v27, s26
	s_xor_b64 exec, exec, s[8:9]
	s_cbranch_execz .LBB265_778
.LBB265_1037:                           ;   in Loop: Header=BB265_528 Depth=1
	v_cmp_ne_u16_sdwa s[10:11], v8, v9 src0_sel:BYTE_0 src1_sel:DWORD
	s_andn2_b64 s[2:3], s[2:3], exec
	s_and_b64 s[10:11], s[10:11], exec
	v_mov_b32_e32 v27, 0
	s_or_b64 s[2:3], s[2:3], s[10:11]
	s_or_b64 exec, exec, s[8:9]
	s_and_saveexec_b64 s[8:9], s[2:3]
	s_cbranch_execnz .LBB265_779
	s_branch .LBB265_780
.LBB265_1038:                           ;   in Loop: Header=BB265_528 Depth=1
	v_cmp_eq_u16_e64 s[2:3], s28, v8
	s_mov_b64 s[8:9], -1
                                        ; implicit-def: $sgpr36
	s_and_saveexec_b64 s[26:27], s[2:3]
; %bb.1039:                             ;   in Loop: Header=BB265_528 Depth=1
	s_mov_b32 s36, 0x7fc02000
	s_xor_b64 s[8:9], exec, -1
; %bb.1040:                             ;   in Loop: Header=BB265_528 Depth=1
	s_or_b64 exec, exec, s[26:27]
	s_and_b64 s[8:9], s[8:9], exec
	s_or_saveexec_b64 s[10:11], s[10:11]
	v_mov_b32_e32 v37, s36
	s_xor_b64 exec, exec, s[10:11]
	s_cbranch_execz .LBB265_782
.LBB265_1041:                           ;   in Loop: Header=BB265_528 Depth=1
	v_cmp_ne_u16_e64 s[2:3], 0, v8
	s_andn2_b64 s[8:9], s[8:9], exec
	s_and_b64 s[2:3], s[2:3], exec
	v_mov_b32_e32 v37, 0
	s_or_b64 s[8:9], s[8:9], s[2:3]
	s_or_b64 exec, exec, s[10:11]
	s_and_saveexec_b64 s[10:11], s[8:9]
	s_cbranch_execnz .LBB265_783
	s_branch .LBB265_784
.LBB265_1042:                           ;   in Loop: Header=BB265_528 Depth=1
	v_cmp_eq_u16_sdwa s[36:37], v25, s28 src0_sel:BYTE_0 src1_sel:DWORD
	s_mov_b64 s[2:3], -1
                                        ; implicit-def: $sgpr26
	s_and_saveexec_b64 s[10:11], s[36:37]
; %bb.1043:                             ;   in Loop: Header=BB265_528 Depth=1
	s_mov_b32 s26, 0x7fc02000
	s_xor_b64 s[2:3], exec, -1
; %bb.1044:                             ;   in Loop: Header=BB265_528 Depth=1
	s_or_b64 exec, exec, s[10:11]
	s_and_b64 s[2:3], s[2:3], exec
	s_or_saveexec_b64 s[8:9], s[8:9]
	v_mov_b32_e32 v0, s26
	s_xor_b64 exec, exec, s[8:9]
	s_cbranch_execz .LBB265_786
.LBB265_1045:                           ;   in Loop: Header=BB265_528 Depth=1
	v_cmp_ne_u16_sdwa s[10:11], v25, v9 src0_sel:BYTE_0 src1_sel:DWORD
	s_andn2_b64 s[2:3], s[2:3], exec
	s_and_b64 s[10:11], s[10:11], exec
	v_mov_b32_e32 v0, 0
	s_or_b64 s[2:3], s[2:3], s[10:11]
	s_or_b64 exec, exec, s[8:9]
	v_mov_b32_e32 v8, v25
	s_and_saveexec_b64 s[8:9], s[2:3]
	s_cbranch_execnz .LBB265_787
	s_branch .LBB265_788
.LBB265_1046:                           ;   in Loop: Header=BB265_528 Depth=1
	v_cmp_eq_u16_e64 s[2:3], s28, v8
	s_mov_b64 s[8:9], -1
                                        ; implicit-def: $sgpr36
	s_and_saveexec_b64 s[26:27], s[2:3]
; %bb.1047:                             ;   in Loop: Header=BB265_528 Depth=1
	s_mov_b32 s36, 0x7fc02000
	s_xor_b64 s[8:9], exec, -1
; %bb.1048:                             ;   in Loop: Header=BB265_528 Depth=1
	s_or_b64 exec, exec, s[26:27]
	s_and_b64 s[8:9], s[8:9], exec
	s_or_saveexec_b64 s[10:11], s[10:11]
	v_mov_b32_e32 v1, s36
	s_xor_b64 exec, exec, s[10:11]
	s_cbranch_execz .LBB265_790
.LBB265_1049:                           ;   in Loop: Header=BB265_528 Depth=1
	v_cmp_ne_u16_e64 s[2:3], 0, v8
	s_andn2_b64 s[8:9], s[8:9], exec
	s_and_b64 s[2:3], s[2:3], exec
	v_mov_b32_e32 v1, 0
	s_or_b64 s[8:9], s[8:9], s[2:3]
	s_or_b64 exec, exec, s[10:11]
	s_and_saveexec_b64 s[10:11], s[8:9]
	s_cbranch_execnz .LBB265_791
	s_branch .LBB265_792
.LBB265_1050:                           ;   in Loop: Header=BB265_528 Depth=1
	v_cmp_eq_u16_sdwa s[36:37], v8, s28 src0_sel:BYTE_0 src1_sel:DWORD
	s_mov_b64 s[2:3], -1
                                        ; implicit-def: $sgpr26
	s_and_saveexec_b64 s[10:11], s[36:37]
; %bb.1051:                             ;   in Loop: Header=BB265_528 Depth=1
	s_mov_b32 s26, 0x7fc02000
	s_xor_b64 s[2:3], exec, -1
; %bb.1052:                             ;   in Loop: Header=BB265_528 Depth=1
	s_or_b64 exec, exec, s[10:11]
	s_and_b64 s[2:3], s[2:3], exec
	s_or_saveexec_b64 s[8:9], s[8:9]
	v_mov_b32_e32 v2, s26
	s_xor_b64 exec, exec, s[8:9]
	s_cbranch_execz .LBB265_794
.LBB265_1053:                           ;   in Loop: Header=BB265_528 Depth=1
	v_cmp_ne_u16_sdwa s[10:11], v8, v9 src0_sel:BYTE_0 src1_sel:DWORD
	s_andn2_b64 s[2:3], s[2:3], exec
	s_and_b64 s[10:11], s[10:11], exec
	v_mov_b32_e32 v2, 0
	s_or_b64 s[2:3], s[2:3], s[10:11]
	s_or_b64 exec, exec, s[8:9]
	s_and_saveexec_b64 s[8:9], s[2:3]
	s_cbranch_execnz .LBB265_795
	s_branch .LBB265_796
.LBB265_1054:                           ;   in Loop: Header=BB265_528 Depth=1
	v_cmp_eq_u16_e64 s[2:3], s28, v8
	s_mov_b64 s[8:9], -1
                                        ; implicit-def: $sgpr36
	s_and_saveexec_b64 s[26:27], s[2:3]
; %bb.1055:                             ;   in Loop: Header=BB265_528 Depth=1
	s_mov_b32 s36, 0x7fc02000
	s_xor_b64 s[8:9], exec, -1
; %bb.1056:                             ;   in Loop: Header=BB265_528 Depth=1
	s_or_b64 exec, exec, s[26:27]
	s_and_b64 s[8:9], s[8:9], exec
	s_or_saveexec_b64 s[10:11], s[10:11]
	v_mov_b32_e32 v17, s36
	s_xor_b64 exec, exec, s[10:11]
	s_cbranch_execz .LBB265_798
.LBB265_1057:                           ;   in Loop: Header=BB265_528 Depth=1
	v_cmp_ne_u16_e64 s[2:3], 0, v8
	s_andn2_b64 s[8:9], s[8:9], exec
	s_and_b64 s[2:3], s[2:3], exec
	v_mov_b32_e32 v17, 0
	s_or_b64 s[8:9], s[8:9], s[2:3]
	s_or_b64 exec, exec, s[10:11]
	s_and_saveexec_b64 s[10:11], s[8:9]
	s_cbranch_execnz .LBB265_799
	s_branch .LBB265_800
.LBB265_1058:
	s_or_b64 exec, exec, s[24:25]
	v_accvgpr_read_b32 v20, a15
.LBB265_1059:
	s_or_b64 exec, exec, s[12:13]
	ds_bpermute_b32 v0, v55, v28
	ds_bpermute_b32 v1, v55, v29
	;; [unrolled: 1-line block ×8, first 2 shown]
	s_waitcnt lgkmcnt(6)
	v_pk_add_f32 v[0:1], v[28:29], v[0:1]
	ds_bpermute_b32 v4, v40, v0
	ds_bpermute_b32 v5, v40, v1
	s_waitcnt lgkmcnt(6)
	v_pk_add_f32 v[2:3], v[30:31], v[2:3]
	s_waitcnt lgkmcnt(4)
	v_pk_add_f32 v[12:13], v[32:33], v[6:7]
	;; [unrolled: 2-line block ×3, first 2 shown]
	ds_bpermute_b32 v10, v40, v2
	ds_bpermute_b32 v11, v40, v3
	;; [unrolled: 1-line block ×6, first 2 shown]
	s_waitcnt lgkmcnt(6)
	v_pk_add_f32 v[8:9], v[0:1], v[4:5]
	v_accvgpr_read_b32 v0, a2
	v_and_b32_e32 v0, 0x3c0, v0
	s_waitcnt lgkmcnt(4)
	v_pk_add_f32 v[6:7], v[2:3], v[10:11]
	s_waitcnt lgkmcnt(2)
	v_pk_add_f32 v[4:5], v[12:13], v[14:15]
	;; [unrolled: 2-line block ×3, first 2 shown]
	v_cmp_eq_u32_e32 vcc, 64, v0
	s_barrier
	s_and_saveexec_b64 s[2:3], vcc
	s_cbranch_execz .LBB265_1064
; %bb.1060:
	v_cmp_eq_u32_e32 vcc, 0, v20
	s_and_saveexec_b64 s[0:1], vcc
	s_cbranch_execz .LBB265_1062
; %bb.1061:
	s_ashr_i32 s19, s18, 31
	s_lshl_b64 s[4:5], s[18:19], 2
	s_getpc_b64 s[6:7]
	s_add_u32 s6, s6, llvm.amdgcn.dynlds.offset.table@rel32@lo+4
	s_addc_u32 s7, s7, llvm.amdgcn.dynlds.offset.table@rel32@hi+12
	s_add_u32 s4, s4, s6
	s_addc_u32 s5, s5, s7
	s_load_dword s4, s[4:5], 0x0
	s_waitcnt lgkmcnt(0)
	v_lshl_add_u32 v0, v52, 2, s4
	ds_write2_b32 v0, v8, v9 offset1:16
	ds_write2_b32 v0, v6, v7 offset0:32 offset1:48
	ds_write2_b32 v0, v4, v5 offset0:64 offset1:80
	ds_write_b32 v0, v2 offset:384
.LBB265_1062:
	s_or_b64 exec, exec, s[0:1]
	v_or_b32_e32 v0, 0x70, v52
	s_movk_i32 s0, 0x78
	v_cmp_gt_u32_e64 s[0:1], s0, v0
	s_and_b64 s[0:1], vcc, s[0:1]
	s_and_b64 exec, exec, s[0:1]
	s_cbranch_execz .LBB265_1064
; %bb.1063:
	s_ashr_i32 s19, s18, 31
	s_lshl_b64 s[0:1], s[18:19], 2
	s_getpc_b64 s[4:5]
	s_add_u32 s4, s4, llvm.amdgcn.dynlds.offset.table@rel32@lo+4
	s_addc_u32 s5, s5, llvm.amdgcn.dynlds.offset.table@rel32@hi+12
	s_add_u32 s0, s0, s4
	s_addc_u32 s1, s1, s5
	s_load_dword s0, s[0:1], 0x0
	s_waitcnt lgkmcnt(0)
	v_lshl_add_u32 v0, v52, 2, s0
	ds_write_b32 v0, v3 offset:448
.LBB265_1064:
	s_or_b64 exec, exec, s[2:3]
	v_accvgpr_read_b32 v0, a2
	v_cmp_gt_u32_e32 vcc, 64, v0
	v_lshrrev_b32_e32 v12, 2, v0
	s_waitcnt lgkmcnt(0)
	s_barrier
	s_and_saveexec_b64 s[4:5], vcc
	s_cbranch_execz .LBB265_1076
; %bb.1065:
	v_cmp_eq_u32_e64 s[0:1], 0, v20
	s_and_saveexec_b64 s[2:3], s[0:1]
	s_cbranch_execnz .LBB265_1082
; %bb.1066:
	s_or_b64 exec, exec, s[2:3]
	s_and_saveexec_b64 s[2:3], s[0:1]
	s_cbranch_execnz .LBB265_1083
.LBB265_1067:
	s_or_b64 exec, exec, s[2:3]
	s_and_saveexec_b64 s[2:3], s[0:1]
	s_cbranch_execnz .LBB265_1084
.LBB265_1068:
	s_or_b64 exec, exec, s[2:3]
	s_and_saveexec_b64 s[2:3], s[0:1]
	s_cbranch_execnz .LBB265_1085
.LBB265_1069:
	s_or_b64 exec, exec, s[2:3]
	s_and_saveexec_b64 s[2:3], s[0:1]
	s_cbranch_execnz .LBB265_1086
.LBB265_1070:
	s_or_b64 exec, exec, s[2:3]
	s_and_saveexec_b64 s[2:3], s[0:1]
	s_cbranch_execnz .LBB265_1087
.LBB265_1071:
	s_or_b64 exec, exec, s[2:3]
	s_and_saveexec_b64 s[2:3], s[0:1]
	s_cbranch_execz .LBB265_1073
.LBB265_1072:
	s_ashr_i32 s19, s18, 31
	s_lshl_b64 s[6:7], s[18:19], 2
	s_getpc_b64 s[8:9]
	s_add_u32 s8, s8, llvm.amdgcn.dynlds.offset.table@rel32@lo+4
	s_addc_u32 s9, s9, llvm.amdgcn.dynlds.offset.table@rel32@hi+12
	s_add_u32 s6, s6, s8
	s_addc_u32 s7, s7, s9
	s_load_dword s6, s[6:7], 0x0
	s_waitcnt lgkmcnt(0)
	v_lshl_add_u32 v0, v12, 2, s6
	ds_read_b32 v0, v0 offset:384
	s_waitcnt lgkmcnt(0)
	v_add_f32_e32 v2, v2, v0
.LBB265_1073:
	s_or_b64 exec, exec, s[2:3]
	v_or_b32_e32 v0, 0x70, v12
	s_movk_i32 s2, 0x78
	v_cmp_gt_u32_e64 s[2:3], s2, v0
	s_and_b64 s[2:3], s[0:1], s[2:3]
	s_and_saveexec_b64 s[0:1], s[2:3]
	s_cbranch_execz .LBB265_1075
; %bb.1074:
	s_ashr_i32 s19, s18, 31
	s_lshl_b64 s[2:3], s[18:19], 2
	s_getpc_b64 s[6:7]
	s_add_u32 s6, s6, llvm.amdgcn.dynlds.offset.table@rel32@lo+4
	s_addc_u32 s7, s7, llvm.amdgcn.dynlds.offset.table@rel32@hi+12
	s_add_u32 s2, s2, s6
	s_addc_u32 s3, s3, s7
	s_load_dword s2, s[2:3], 0x0
	s_waitcnt lgkmcnt(0)
	v_lshl_add_u32 v0, v12, 2, s2
	ds_read_b32 v0, v0 offset:448
	s_waitcnt lgkmcnt(0)
	v_add_f32_e32 v3, v3, v0
.LBB265_1075:
	s_or_b64 exec, exec, s[0:1]
.LBB265_1076:
	s_or_b64 exec, exec, s[4:5]
	s_barrier
	s_and_saveexec_b64 s[2:3], vcc
	s_cbranch_execz .LBB265_1081
; %bb.1077:
	v_cmp_ne_u16_e64 s[0:1], s21, 0
	s_cmp_lg_u64 s[0:1], 0
	s_addc_u32 s5, s17, 0
	s_mul_i32 s0, s5, s16
	s_mul_i32 s0, s0, s15
	s_mulk_i32 s0, 0x78
	s_mul_i32 s6, s20, s5
	s_mul_i32 s8, s14, 0x78
	s_ashr_i32 s1, s0, 31
	s_ashr_i32 s7, s6, 31
	;; [unrolled: 1-line block ×3, first 2 shown]
	s_lshl_b64 s[0:1], s[0:1], 1
	s_lshl_b64 s[6:7], s[6:7], 1
	;; [unrolled: 1-line block ×3, first 2 shown]
	s_add_u32 s5, s8, s6
	s_addc_u32 s6, s9, s7
	s_add_u32 s0, s5, s0
	v_accvgpr_read_b32 v0, a0
	s_addc_u32 s1, s6, s1
	v_accvgpr_read_b32 v1, a1
	s_movk_i32 s4, 0x78
	v_lshl_add_u64 v[0:1], s[0:1], 0, v[0:1]
	v_cmp_eq_u32_e32 vcc, 0, v20
	v_lshlrev_b32_e32 v10, 1, v12
	s_and_saveexec_b64 s[0:1], vcc
	s_cbranch_execz .LBB265_1079
; %bb.1078:
	v_mov_b32_e32 v11, 0
	v_lshl_add_u64 v[14:15], v[0:1], 0, v[10:11]
	;;#ASMSTART
	v_cvt_f16_f32 v8, v8;

	;;#ASMEND
	flat_store_short v[14:15], v8
	;;#ASMSTART
	v_cvt_f16_f32 v8, v9;

	;;#ASMEND
	flat_store_short v[14:15], v8 offset:32
	;;#ASMSTART
	v_cvt_f16_f32 v6, v6;

	;;#ASMEND
	flat_store_short v[14:15], v6 offset:64
	;; [unrolled: 5-line block ×6, first 2 shown]
.LBB265_1079:
	s_or_b64 exec, exec, s[0:1]
	v_or_b32_e32 v2, 0x70, v12
	v_cmp_gt_u32_e64 s[0:1], s4, v2
	s_and_b64 s[0:1], vcc, s[0:1]
	s_and_b64 exec, exec, s[0:1]
	s_cbranch_execz .LBB265_1081
; %bb.1080:
	v_mov_b32_e32 v11, 0
	v_lshl_add_u64 v[0:1], v[0:1], 0, v[10:11]
	;;#ASMSTART
	v_cvt_f16_f32 v2, v3;

	;;#ASMEND
	flat_store_short v[0:1], v2 offset:224
.LBB265_1081:
	s_or_b64 exec, exec, s[2:3]
	scratch_load_dword a51, off, s32        ; 4-byte Folded Reload
	scratch_load_dword a50, off, s32 offset:4 ; 4-byte Folded Reload
	scratch_load_dword a49, off, s32 offset:8 ; 4-byte Folded Reload
	;; [unrolled: 1-line block ×34, first 2 shown]
	v_readlane_b32 s30, v63, 4
	v_readlane_b32 s31, v63, 5
	;; [unrolled: 1-line block ×6, first 2 shown]
	s_or_saveexec_b64 s[0:1], -1
	scratch_load_dword v63, off, s32 offset:160 ; 4-byte Folded Reload
	s_mov_b64 exec, s[0:1]
	s_waitcnt vmcnt(0) lgkmcnt(0)
	s_setpc_b64 s[30:31]
.LBB265_1082:
	s_ashr_i32 s19, s18, 31
	s_lshl_b64 s[6:7], s[18:19], 2
	s_getpc_b64 s[8:9]
	s_add_u32 s8, s8, llvm.amdgcn.dynlds.offset.table@rel32@lo+4
	s_addc_u32 s9, s9, llvm.amdgcn.dynlds.offset.table@rel32@hi+12
	s_add_u32 s6, s6, s8
	s_addc_u32 s7, s7, s9
	s_load_dword s6, s[6:7], 0x0
	s_waitcnt lgkmcnt(0)
	v_lshl_add_u32 v0, v12, 2, s6
	ds_read_b32 v0, v0
	s_waitcnt lgkmcnt(0)
	v_add_f32_e32 v8, v8, v0
	s_or_b64 exec, exec, s[2:3]
	s_and_saveexec_b64 s[2:3], s[0:1]
	s_cbranch_execz .LBB265_1067
.LBB265_1083:
	s_ashr_i32 s19, s18, 31
	s_lshl_b64 s[6:7], s[18:19], 2
	s_getpc_b64 s[8:9]
	s_add_u32 s8, s8, llvm.amdgcn.dynlds.offset.table@rel32@lo+4
	s_addc_u32 s9, s9, llvm.amdgcn.dynlds.offset.table@rel32@hi+12
	s_add_u32 s6, s6, s8
	s_addc_u32 s7, s7, s9
	s_load_dword s6, s[6:7], 0x0
	s_waitcnt lgkmcnt(0)
	v_lshl_add_u32 v0, v12, 2, s6
	ds_read_b32 v0, v0 offset:64
	s_waitcnt lgkmcnt(0)
	v_add_f32_e32 v9, v9, v0
	s_or_b64 exec, exec, s[2:3]
	s_and_saveexec_b64 s[2:3], s[0:1]
	s_cbranch_execz .LBB265_1068
.LBB265_1084:
	s_ashr_i32 s19, s18, 31
	s_lshl_b64 s[6:7], s[18:19], 2
	s_getpc_b64 s[8:9]
	s_add_u32 s8, s8, llvm.amdgcn.dynlds.offset.table@rel32@lo+4
	s_addc_u32 s9, s9, llvm.amdgcn.dynlds.offset.table@rel32@hi+12
	s_add_u32 s6, s6, s8
	s_addc_u32 s7, s7, s9
	s_load_dword s6, s[6:7], 0x0
	s_waitcnt lgkmcnt(0)
	v_lshl_add_u32 v0, v12, 2, s6
	ds_read_b32 v0, v0 offset:128
	s_waitcnt lgkmcnt(0)
	v_add_f32_e32 v6, v6, v0
	s_or_b64 exec, exec, s[2:3]
	s_and_saveexec_b64 s[2:3], s[0:1]
	s_cbranch_execz .LBB265_1069
.LBB265_1085:
	s_ashr_i32 s19, s18, 31
	s_lshl_b64 s[6:7], s[18:19], 2
	s_getpc_b64 s[8:9]
	s_add_u32 s8, s8, llvm.amdgcn.dynlds.offset.table@rel32@lo+4
	s_addc_u32 s9, s9, llvm.amdgcn.dynlds.offset.table@rel32@hi+12
	s_add_u32 s6, s6, s8
	s_addc_u32 s7, s7, s9
	s_load_dword s6, s[6:7], 0x0
	s_waitcnt lgkmcnt(0)
	v_lshl_add_u32 v0, v12, 2, s6
	ds_read_b32 v0, v0 offset:192
	s_waitcnt lgkmcnt(0)
	v_add_f32_e32 v7, v7, v0
	s_or_b64 exec, exec, s[2:3]
	s_and_saveexec_b64 s[2:3], s[0:1]
	s_cbranch_execz .LBB265_1070
.LBB265_1086:
	s_ashr_i32 s19, s18, 31
	s_lshl_b64 s[6:7], s[18:19], 2
	s_getpc_b64 s[8:9]
	s_add_u32 s8, s8, llvm.amdgcn.dynlds.offset.table@rel32@lo+4
	s_addc_u32 s9, s9, llvm.amdgcn.dynlds.offset.table@rel32@hi+12
	s_add_u32 s6, s6, s8
	s_addc_u32 s7, s7, s9
	s_load_dword s6, s[6:7], 0x0
	s_waitcnt lgkmcnt(0)
	v_lshl_add_u32 v0, v12, 2, s6
	ds_read_b32 v0, v0 offset:256
	s_waitcnt lgkmcnt(0)
	v_add_f32_e32 v4, v4, v0
	s_or_b64 exec, exec, s[2:3]
	s_and_saveexec_b64 s[2:3], s[0:1]
	s_cbranch_execz .LBB265_1071
.LBB265_1087:
	s_ashr_i32 s19, s18, 31
	s_lshl_b64 s[6:7], s[18:19], 2
	s_getpc_b64 s[8:9]
	s_add_u32 s8, s8, llvm.amdgcn.dynlds.offset.table@rel32@lo+4
	s_addc_u32 s9, s9, llvm.amdgcn.dynlds.offset.table@rel32@hi+12
	s_add_u32 s6, s6, s8
	s_addc_u32 s7, s7, s9
	s_load_dword s6, s[6:7], 0x0
	s_waitcnt lgkmcnt(0)
	v_lshl_add_u32 v0, v12, 2, s6
	ds_read_b32 v0, v0 offset:320
	s_waitcnt lgkmcnt(0)
	v_add_f32_e32 v5, v5, v0
	s_or_b64 exec, exec, s[2:3]
	s_and_saveexec_b64 s[2:3], s[0:1]
	s_cbranch_execnz .LBB265_1072
	s_branch .LBB265_1073
.Lfunc_end265:
	.size	_ZN4vllm22paged_attention_kernelIthLi120ELi32ELi128ELNS_18Fp8KVCacheDataTypeE1ELb1ELi0EEEvPfS2_PT_PKS3_PKT0_S9_ifPKiSB_iPKfiiiSD_SD_iiiii, .Lfunc_end265-_ZN4vllm22paged_attention_kernelIthLi120ELi32ELi128ELNS_18Fp8KVCacheDataTypeE1ELb1ELi0EEEvPfS2_PT_PKS3_PKT0_S9_ifPKiSB_iPKfiiiSD_SD_iiiii
                                        ; -- End function
	.section	.AMDGPU.csdata,"",@progbits
; Function info:
; codeLenInByte = 46212
; NumSgprs: 44
; NumVgprs: 64
; NumAgprs: 52
; TotalNumVgprs: 116
; ScratchSize: 168
; MemoryBound: 0
	.section	.text._ZN4vllm25paged_attention_v1_kernelIthLi120ELi32ELi128ELNS_18Fp8KVCacheDataTypeE1ELb1EEEvPT_PKS2_PKT0_S8_ifPKiSA_iPKfiiiSC_SC_iiiii,"axG",@progbits,_ZN4vllm25paged_attention_v1_kernelIthLi120ELi32ELi128ELNS_18Fp8KVCacheDataTypeE1ELb1EEEvPT_PKS2_PKT0_S8_ifPKiSA_iPKfiiiSC_SC_iiiii,comdat
	.protected	_ZN4vllm25paged_attention_v1_kernelIthLi120ELi32ELi128ELNS_18Fp8KVCacheDataTypeE1ELb1EEEvPT_PKS2_PKT0_S8_ifPKiSA_iPKfiiiSC_SC_iiiii ; -- Begin function _ZN4vllm25paged_attention_v1_kernelIthLi120ELi32ELi128ELNS_18Fp8KVCacheDataTypeE1ELb1EEEvPT_PKS2_PKT0_S8_ifPKiSA_iPKfiiiSC_SC_iiiii
	.globl	_ZN4vllm25paged_attention_v1_kernelIthLi120ELi32ELi128ELNS_18Fp8KVCacheDataTypeE1ELb1EEEvPT_PKS2_PKT0_S8_ifPKiSA_iPKfiiiSC_SC_iiiii
	.p2align	8
	.type	_ZN4vllm25paged_attention_v1_kernelIthLi120ELi32ELi128ELNS_18Fp8KVCacheDataTypeE1ELb1EEEvPT_PKS2_PKT0_S8_ifPKiSA_iPKfiiiSC_SC_iiiii,@function
_ZN4vllm25paged_attention_v1_kernelIthLi120ELi32ELi128ELNS_18Fp8KVCacheDataTypeE1ELb1EEEvPT_PKS2_PKT0_S8_ifPKiSA_iPKfiiiSC_SC_iiiii: ; @_ZN4vllm25paged_attention_v1_kernelIthLi120ELi32ELi128ELNS_18Fp8KVCacheDataTypeE1ELb1EEEvPT_PKS2_PKT0_S8_ifPKiSA_iPKfiiiSC_SC_iiiii
; %bb.0:
	s_load_dwordx8 s[16:23], s[0:1], 0x0
	s_load_dwordx4 s[36:39], s[0:1], 0x20
	s_load_dwordx2 s[6:7], s[0:1], 0x30
	s_load_dword s5, s[0:1], 0x38
	s_load_dwordx2 s[10:11], s[0:1], 0x40
	s_load_dwordx8 s[24:31], s[0:1], 0x48
	s_waitcnt lgkmcnt(0)
	s_load_dword s27, s[0:1], 0x78
	s_load_dwordx4 s[40:43], s[0:1], 0x68
	s_add_u32 s8, s0, 0x80
	s_addc_u32 s9, s1, 0
	s_mov_b32 s12, s2
	s_mov_b32 s13, s3
	;; [unrolled: 1-line block ×4, first 2 shown]
	v_mov_b32_e32 v31, v0
	v_mov_b32_e32 v0, s16
	;; [unrolled: 1-line block ×25, first 2 shown]
	s_waitcnt lgkmcnt(0)
	v_mov_b32_e32 v24, s40
	v_mov_b32_e32 v25, s41
	;; [unrolled: 1-line block ×5, first 2 shown]
	s_mov_b32 s32, 0
	s_getpc_b64 s[0:1]
	s_add_u32 s0, s0, _ZN4vllm22paged_attention_kernelIthLi120ELi32ELi128ELNS_18Fp8KVCacheDataTypeE1ELb1ELi0EEEvPfS2_PT_PKS3_PKT0_S9_ifPKiSB_iPKfiiiSD_SD_iiiii@rel32@lo+4
	s_addc_u32 s1, s1, _ZN4vllm22paged_attention_kernelIthLi120ELi32ELi128ELNS_18Fp8KVCacheDataTypeE1ELb1ELi0EEEvPfS2_PT_PKS3_PKT0_S9_ifPKiSB_iPKfiiiSD_SD_iiiii@rel32@hi+12
	s_swappc_b64 s[30:31], s[0:1]
	s_endpgm
	.section	.rodata,"a",@progbits
	.p2align	6, 0x0
	.amdhsa_kernel _ZN4vllm25paged_attention_v1_kernelIthLi120ELi32ELi128ELNS_18Fp8KVCacheDataTypeE1ELb1EEEvPT_PKS2_PKT0_S8_ifPKiSA_iPKfiiiSC_SC_iiiii
		.amdhsa_group_segment_fixed_size 256
		.amdhsa_private_segment_fixed_size 168
		.amdhsa_kernarg_size 384
		.amdhsa_user_sgpr_count 2
		.amdhsa_user_sgpr_dispatch_ptr 0
		.amdhsa_user_sgpr_queue_ptr 0
		.amdhsa_user_sgpr_kernarg_segment_ptr 1
		.amdhsa_user_sgpr_dispatch_id 0
		.amdhsa_user_sgpr_kernarg_preload_length 0
		.amdhsa_user_sgpr_kernarg_preload_offset 0
		.amdhsa_user_sgpr_private_segment_size 0
		.amdhsa_uses_dynamic_stack 0
		.amdhsa_enable_private_segment 1
		.amdhsa_system_sgpr_workgroup_id_x 1
		.amdhsa_system_sgpr_workgroup_id_y 1
		.amdhsa_system_sgpr_workgroup_id_z 1
		.amdhsa_system_sgpr_workgroup_info 0
		.amdhsa_system_vgpr_workitem_id 0
		.amdhsa_next_free_vgpr 116
		.amdhsa_next_free_sgpr 44
		.amdhsa_accum_offset 64
		.amdhsa_reserve_vcc 1
		.amdhsa_float_round_mode_32 0
		.amdhsa_float_round_mode_16_64 0
		.amdhsa_float_denorm_mode_32 3
		.amdhsa_float_denorm_mode_16_64 3
		.amdhsa_dx10_clamp 1
		.amdhsa_ieee_mode 1
		.amdhsa_fp16_overflow 0
		.amdhsa_tg_split 0
		.amdhsa_exception_fp_ieee_invalid_op 0
		.amdhsa_exception_fp_denorm_src 0
		.amdhsa_exception_fp_ieee_div_zero 0
		.amdhsa_exception_fp_ieee_overflow 0
		.amdhsa_exception_fp_ieee_underflow 0
		.amdhsa_exception_fp_ieee_inexact 0
		.amdhsa_exception_int_div_zero 0
	.end_amdhsa_kernel
	.section	.text._ZN4vllm25paged_attention_v1_kernelIthLi120ELi32ELi128ELNS_18Fp8KVCacheDataTypeE1ELb1EEEvPT_PKS2_PKT0_S8_ifPKiSA_iPKfiiiSC_SC_iiiii,"axG",@progbits,_ZN4vllm25paged_attention_v1_kernelIthLi120ELi32ELi128ELNS_18Fp8KVCacheDataTypeE1ELb1EEEvPT_PKS2_PKT0_S8_ifPKiSA_iPKfiiiSC_SC_iiiii,comdat
.Lfunc_end266:
	.size	_ZN4vllm25paged_attention_v1_kernelIthLi120ELi32ELi128ELNS_18Fp8KVCacheDataTypeE1ELb1EEEvPT_PKS2_PKT0_S8_ifPKiSA_iPKfiiiSC_SC_iiiii, .Lfunc_end266-_ZN4vllm25paged_attention_v1_kernelIthLi120ELi32ELi128ELNS_18Fp8KVCacheDataTypeE1ELb1EEEvPT_PKS2_PKT0_S8_ifPKiSA_iPKfiiiSC_SC_iiiii
                                        ; -- End function
	.section	.AMDGPU.csdata,"",@progbits
; Kernel info:
; codeLenInByte = 252
; NumSgprs: 50
; NumVgprs: 64
; NumAgprs: 52
; TotalNumVgprs: 116
; ScratchSize: 168
; MemoryBound: 0
; FloatMode: 240
; IeeeMode: 1
; LDSByteSize: 256 bytes/workgroup (compile time only)
; SGPRBlocks: 6
; VGPRBlocks: 14
; NumSGPRsForWavesPerEU: 50
; NumVGPRsForWavesPerEU: 116
; AccumOffset: 64
; Occupancy: 4
; WaveLimiterHint : 1
; COMPUTE_PGM_RSRC2:SCRATCH_EN: 1
; COMPUTE_PGM_RSRC2:USER_SGPR: 2
; COMPUTE_PGM_RSRC2:TRAP_HANDLER: 0
; COMPUTE_PGM_RSRC2:TGID_X_EN: 1
; COMPUTE_PGM_RSRC2:TGID_Y_EN: 1
; COMPUTE_PGM_RSRC2:TGID_Z_EN: 1
; COMPUTE_PGM_RSRC2:TIDIG_COMP_CNT: 0
; COMPUTE_PGM_RSRC3_GFX90A:ACCUM_OFFSET: 15
; COMPUTE_PGM_RSRC3_GFX90A:TG_SPLIT: 0
	.text
	.p2align	2                               ; -- Begin function _ZN4vllm22paged_attention_kernelIthLi128ELi32ELi128ELNS_18Fp8KVCacheDataTypeE1ELb1ELi0EEEvPfS2_PT_PKS3_PKT0_S9_ifPKiSB_iPKfiiiSD_SD_iiiii
	.type	_ZN4vllm22paged_attention_kernelIthLi128ELi32ELi128ELNS_18Fp8KVCacheDataTypeE1ELb1ELi0EEEvPfS2_PT_PKS3_PKT0_S9_ifPKiSB_iPKfiiiSD_SD_iiiii,@function
_ZN4vllm22paged_attention_kernelIthLi128ELi32ELi128ELNS_18Fp8KVCacheDataTypeE1ELb1ELi0EEEvPfS2_PT_PKS3_PKT0_S9_ifPKiSB_iPKfiiiSD_SD_iiiii: ; @_ZN4vllm22paged_attention_kernelIthLi128ELi32ELi128ELNS_18Fp8KVCacheDataTypeE1ELb1ELi0EEEvPfS2_PT_PKS3_PKT0_S9_ifPKiSB_iPKfiiiSD_SD_iiiii
; %bb.0:
	s_waitcnt vmcnt(0) expcnt(0) lgkmcnt(0)
	s_or_saveexec_b64 s[0:1], -1
	scratch_store_dword off, v63, s32 offset:192 ; 4-byte Folded Spill
	s_mov_b64 exec, s[0:1]
	scratch_store_dword off, v40, s32 offset:164 ; 4-byte Folded Spill
	scratch_store_dword off, v41, s32 offset:160 ; 4-byte Folded Spill
	;; [unrolled: 1-line block ×41, first 2 shown]
	scratch_store_dword off, a58, s32       ; 4-byte Folded Spill
	v_writelane_b32 v63, s30, 0
	s_nop 1
	v_writelane_b32 v63, s31, 1
	s_mov_b32 s16, s13
	v_accvgpr_write_b32 a0, v0
	s_ashr_i32 s17, s13, 31
	v_accvgpr_write_b32 a1, v1
	v_lshl_add_u64 v[0:1], s[16:17], 2, v[12:13]
	flat_load_dword a8, v[0:1]
	v_sub_u32_e32 v0, 0, v8
	v_max_i32_e32 v0, v8, v0
	v_cvt_f32_u32_e32 v1, v0
	s_load_dword s0, s[8:9], 0x10
	s_load_dword s2, s[8:9], 0x0
	v_accvgpr_write_b32 a19, v7
	v_accvgpr_write_b32 a18, v6
	v_rcp_iflag_f32_e32 v1, v1
	s_waitcnt lgkmcnt(0)
	s_lshr_b32 s0, s0, 16
	s_cmp_lg_u32 s0, 0
	s_cselect_b64 s[0:1], -1, 0
	v_mul_f32_e32 v1, 0x4f7ffffe, v1
	v_cvt_u32_f32_e32 v1, v1
	v_sub_u32_e32 v7, 0, v0
	s_cmp_lg_u64 s[0:1], 0
	s_mov_b32 s18, s15
	v_mul_lo_u32 v7, v7, v1
	s_addc_u32 s15, s2, 0
	v_mul_hi_u32 v7, v1, v7
	s_abs_i32 s0, s15
	v_add_u32_e32 v1, v1, v7
	v_mul_hi_u32 v1, s0, v1
	v_mul_lo_u32 v7, v1, v0
	v_sub_u32_e32 v7, s0, v7
	v_accvgpr_write_b32 a15, v9
	v_add_u32_e32 v9, 1, v1
	v_cmp_ge_u32_e32 vcc, v7, v0
	v_xor_b32_e32 v6, s15, v8
	v_ashrrev_i32_e32 v6, 31, v6
	v_cndmask_b32_e32 v1, v1, v9, vcc
	v_sub_u32_e32 v9, v7, v0
	v_cndmask_b32_e32 v7, v7, v9, vcc
	v_add_u32_e32 v9, 1, v1
	v_cmp_ge_u32_e32 vcc, v7, v0
	v_mov_b32_e32 v33, v16
	v_mov_b32_e32 v32, v15
	v_cndmask_b32_e32 v0, v1, v9, vcc
	v_xor_b32_e32 v0, v0, v6
	v_sub_u32_e32 v0, v0, v6
	v_sub_u32_e32 v1, 0, v0
	v_max_i32_e32 v1, v0, v1
	v_cvt_f32_u32_e32 v6, v1
	v_sub_u32_e32 v7, 0, v1
	v_accvgpr_write_b32 a4, v22
	v_accvgpr_write_b32 a29, v21
	v_rcp_iflag_f32_e32 v6, v6
	v_accvgpr_write_b32 a17, v11
	s_abs_i32 s2, s12
	v_accvgpr_write_b32 a27, v26
	v_mul_f32_e32 v6, 0x4f7ffffe, v6
	v_cvt_u32_f32_e32 v6, v6
	v_accvgpr_write_b32 a5, v23
	v_accvgpr_write_b32 a28, v20
	v_accvgpr_write_b32 a6, v18
	v_mul_lo_u32 v7, v7, v6
	v_mul_hi_u32 v7, v6, v7
	v_add_u32_e32 v6, v6, v7
	v_accvgpr_write_b32 a16, v10
	v_mad_u64_u32 v[34:35], s[0:1], s2, v6, 0
	v_cmp_ne_u64_e32 vcc, 0, v[32:33]
	v_mov_b32_e32 v6, 0
	scratch_store_dword off, v6, s32 offset:188 ; 4-byte Folded Spill
	s_and_saveexec_b64 s[0:1], vcc
	s_cbranch_execz .LBB267_2
; %bb.1:
	s_ashr_i32 s13, s12, 31
	v_lshl_add_u64 v[6:7], s[12:13], 2, v[32:33]
	flat_load_dword v6, v[6:7]
	s_waitcnt vmcnt(0) lgkmcnt(0)
	scratch_store_dword off, v6, s32 offset:188 ; 4-byte Folded Spill
.LBB267_2:
	s_or_b64 exec, exec, s[0:1]
	v_and_b32_e32 v7, 0x3ff, v31
	v_lshlrev_b32_e32 v10, 3, v7
	s_ashr_i32 s3, s12, 31
	v_ashrrev_i32_e32 v6, 31, v0
	v_and_b32_e32 v0, 1, v7
	s_lshl_b32 s20, s12, 7
	v_cmp_gt_u32_e32 vcc, 32, v7
	v_accvgpr_write_b32 a2, v7
	v_accvgpr_write_b32 a20, v10
	s_and_saveexec_b64 s[0:1], vcc
	s_cbranch_execz .LBB267_4
; %bb.3:
	v_mul_lo_u32 v10, s16, v17
	v_ashrrev_i32_e32 v11, 31, v10
	v_lshl_add_u64 v[2:3], v[10:11], 1, v[2:3]
	s_ashr_i32 s21, s20, 31
	v_lshl_add_u64 v[2:3], s[20:21], 1, v[2:3]
	v_accvgpr_read_b32 v10, a20
	v_mov_b32_e32 v11, 0
	v_lshl_add_u64 v[2:3], v[2:3], 0, v[10:11]
	flat_load_dwordx2 v[2:3], v[2:3]
	v_accvgpr_read_b32 v7, a2
	v_lshlrev_b32_e32 v7, 2, v7
	v_and_b32_e32 v7, 0xff8, v7
	v_lshl_add_u32 v7, v0, 7, v7
	s_waitcnt vmcnt(0) lgkmcnt(0)
	ds_write_b64 v7, v[2:3]
.LBB267_4:
	s_or_b64 exec, exec, s[0:1]
	v_mul_lo_u32 v3, v35, v1
	v_sub_u32_e32 v3, s2, v3
	v_xor_b32_e32 v2, s3, v6
	v_add_u32_e32 v6, 1, v35
	v_cmp_ge_u32_e32 vcc, v3, v1
	v_sub_u32_e32 v7, v3, v1
	s_waitcnt lgkmcnt(0)
	v_cndmask_b32_e32 v6, v35, v6, vcc
	v_cndmask_b32_e32 v3, v3, v7, vcc
	v_add_u32_e32 v7, 1, v6
	v_cmp_ge_u32_e32 vcc, v3, v1
	v_sub_u32_e32 v3, 0, v27
	s_barrier
	v_cndmask_b32_e32 v1, v6, v7, vcc
	v_max_i32_e32 v6, v27, v3
	v_cvt_f32_u32_e32 v3, v6
	v_xor_b32_e32 v1, v1, v2
	v_sub_u32_e32 v30, v1, v2
	s_waitcnt vmcnt(0)
	v_accvgpr_read_b32 v2, a8
	v_rcp_iflag_f32_e32 v1, v3
	v_accvgpr_write_b32 a3, v6
	v_sub_u32_e32 v6, 0, v6
	v_add_u32_e32 v2, -1, v2
	v_mul_f32_e32 v1, 0x4f7ffffe, v1
	v_cvt_u32_f32_e32 v3, v1
	v_sub_u32_e32 v1, 0, v2
	v_max_i32_e32 v1, v2, v1
	v_cmp_gt_i32_e32 vcc, 0, v28
	v_mul_lo_u32 v6, v6, v3
	v_mul_hi_u32 v6, v3, v6
	v_add_u32_e32 v3, v3, v6
	v_accvgpr_write_b32 a7, v3
	v_mad_u64_u32 v[32:33], s[0:1], v1, v3, 0
	s_waitcnt lgkmcnt(0)
                                        ; implicit-def: $agpr10
	s_and_saveexec_b64 s[0:1], vcc
	s_xor_b64 s[0:1], exec, s[0:1]
; %bb.5:
	v_mad_u64_u32 v[6:7], s[2:3], v24, v8, v[30:31]
	v_mul_lo_u32 v3, v6, v28
	v_sub_u32_e32 v6, 1, v3
	v_accvgpr_write_b32 a10, v6
                                        ; implicit-def: $vgpr24
                                        ; implicit-def: $vgpr28
; %bb.6:
	s_or_saveexec_b64 s[0:1], s[0:1]
	v_ashrrev_i32_e32 v3, 31, v27
	v_ashrrev_i32_e32 v2, 31, v2
	v_accvgpr_write_b32 a9, v3
	s_xor_b64 exec, exec, s[0:1]
; %bb.7:
	v_mul_lo_u32 v3, s15, v24
	v_add_u32_e32 v3, s12, v3
	v_mad_u64_u32 v[6:7], s[2:3], v3, v28, 1
	v_accvgpr_write_b32 a10, v6
; %bb.8:
	s_or_b64 exec, exec, s[0:1]
	v_mul_lo_u32 v6, s16, v14
	v_ashrrev_i32_e32 v7, 31, v6
	v_accvgpr_write_b32 a23, v7
	v_accvgpr_write_b32 a22, v6
	v_accvgpr_read_b32 v3, a9
	v_accvgpr_read_b32 v7, a3
	v_xor_b32_e32 v2, v2, v3
	v_mul_lo_u32 v3, v33, v7
	v_sub_u32_e32 v1, v1, v3
	v_add_u32_e32 v3, 1, v33
	v_cmp_ge_u32_e32 vcc, v1, v7
	v_sub_u32_e32 v6, v1, v7
	s_load_dword s21, s[8:9], 0x14
	s_load_dword s17, s[8:9], 0x8
	v_cndmask_b32_e32 v3, v33, v3, vcc
	v_cndmask_b32_e32 v1, v1, v6, vcc
	v_add_u32_e32 v6, 1, v3
	v_cmp_ge_u32_e32 vcc, v1, v7
	v_mul_lo_u32 v8, v30, v19
	v_ashrrev_i32_e32 v9, 31, v8
	v_cndmask_b32_e32 v1, v3, v6, vcc
	v_xor_b32_e32 v1, v1, v2
	v_sub_u32_e32 v1, v1, v2
	v_accvgpr_read_b32 v2, a8
	v_add_u32_e32 v2, 31, v2
	v_ashrrev_i32_e32 v3, 31, v2
	v_lshrrev_b32_e32 v3, 27, v3
	v_add_u32_e32 v2, v2, v3
	v_sub_u32_e32 v1, v1, v25
	v_ashrrev_i32_e32 v3, 5, v2
	v_accvgpr_read_b32 v2, a2
	v_accvgpr_write_b32 a13, v1
	v_accvgpr_read_b32 v1, a27
	v_lshrrev_b32_e32 v6, 6, v2
	v_sub_u32_e32 v1, 0, v1
	v_accvgpr_write_b32 a26, v1
	v_lshlrev_b32_e32 v1, 5, v6
	v_accvgpr_write_b32 a25, v9
	v_accvgpr_write_b32 a14, v1
	v_lshrrev_b32_e32 v1, 4, v2
	v_accvgpr_write_b32 a11, v3
	v_cmp_lt_i32_e64 s[0:1], v6, v3
	v_mov_b32_e32 v3, 0xff7fffff
	v_accvgpr_write_b32 a24, v8
	v_accvgpr_write_b32 a12, v6
	v_accvgpr_write_b32 a21, v1
	v_mbcnt_lo_u32_b32 v2, -1, 0
	scratch_store_dword off, v3, s32 offset:184 ; 4-byte Folded Spill
	s_and_saveexec_b64 s[8:9], s[0:1]
	s_cbranch_execz .LBB267_530
; %bb.9:
	v_accvgpr_read_b32 v1, a2
	v_bfe_u32 v6, v1, 1, 5
	v_accvgpr_read_b32 v1, a27
	v_mov_b32_e32 v8, v2
	v_accvgpr_read_b32 v2, a26
	v_max_i32_e32 v7, v1, v2
	v_cvt_f32_u32_e32 v1, v7
	v_accvgpr_read_b32 v2, a24
	v_accvgpr_read_b32 v3, a25
	v_lshl_add_u64 v[2:3], v[4:5], 0, v[2:3]
	v_lshlrev_b32_e32 v4, 4, v6
	v_mov_b32_e32 v5, 0
	v_rcp_iflag_f32_e32 v1, v1
	v_lshl_add_u64 v[2:3], v[2:3], 0, v[4:5]
	v_accvgpr_write_b32 a35, v3
	v_cmp_eq_u32_e32 vcc, 0, v0
	v_accvgpr_write_b32 a34, v2
	v_lshlrev_b32_e32 v2, 2, v0
	v_lshlrev_b32_e32 v0, 7, v0
	v_accvgpr_write_b32 a33, v0
	v_mul_f32_e32 v0, 0x4f7ffffe, v1
	scratch_load_dword v1, off, s32 offset:188 ; 4-byte Folded Reload
	v_cvt_u32_f32_e32 v0, v0
	v_mov_b32_e32 v3, v5
	v_accvgpr_write_b32 a37, v3
	v_accvgpr_write_b32 a36, v2
	v_accvgpr_read_b32 v2, a12
	v_accvgpr_write_b32 a32, v7
	v_accvgpr_write_b32 a31, v6
	s_ashr_i32 s19, s18, 31
	s_lshl_b64 s[4:5], s[18:19], 2
	s_getpc_b64 s[6:7]
	s_add_u32 s6, s6, llvm.amdgcn.dynlds.offset.table@rel32@lo+4
	s_addc_u32 s7, s7, llvm.amdgcn.dynlds.offset.table@rel32@hi+12
	s_add_u32 s10, s4, s6
	v_lshlrev_b32_e32 v3, 5, v2
	s_addc_u32 s11, s5, s7
	s_mov_b64 s[12:13], 0
	s_movk_i32 s19, 0x7f
	s_movk_i32 s28, 0x80
	s_mov_b32 s29, 0x8000
	v_accvgpr_write_b32 a30, v8
	s_waitcnt vmcnt(0)
	v_cmp_neq_f32_e64 s[2:3], 0, v1
	v_sub_u32_e32 v1, 0, v7
	v_mul_lo_u32 v1, v1, v0
	v_mul_hi_u32 v1, v0, v1
	v_add_u32_e32 v0, v0, v1
	v_accvgpr_write_b32 a38, v0
	v_accvgpr_read_b32 v0, a8
	v_sub_u32_e32 v0, v6, v0
	v_add_u32_e32 v0, 1, v0
	v_accvgpr_write_b32 a40, v0
	v_lshlrev_b32_e32 v0, 2, v6
	v_lshl_or_b32 v0, v2, 7, v0
	v_accvgpr_write_b32 a41, v0
	v_accvgpr_read_b32 v0, a21
	v_and_b32_e32 v4, 60, v0
	v_accvgpr_read_b32 v0, a22
	v_accvgpr_read_b32 v1, a23
	;; [unrolled: 1-line block ×3, first 2 shown]
	v_lshl_add_u64 v[0:1], v[0:1], 2, v[4:5]
	v_accvgpr_read_b32 v7, a17
	v_lshl_add_u64 v[0:1], v[6:7], 0, v[0:1]
	v_accvgpr_write_b32 a43, v1
	v_accvgpr_write_b32 a42, v0
	v_mbcnt_hi_u32_b32 v0, -1, v8
	v_mov_b32_e32 v1, v3
	v_accvgpr_write_b32 a44, v0
	v_mov_b32_e32 v0, 0xff7fffff
	v_accvgpr_read_b32 v4, a12
	scratch_store_dword off, v0, s32 offset:184 ; 4-byte Folded Spill
	s_branch .LBB267_12
.LBB267_10:                             ;   in Loop: Header=BB267_12 Depth=1
	s_or_b64 exec, exec, s[22:23]
.LBB267_11:                             ;   in Loop: Header=BB267_12 Depth=1
	s_or_b64 exec, exec, s[6:7]
	v_accvgpr_read_b32 v0, a41
	v_accvgpr_read_b32 v2, a42
	;; [unrolled: 1-line block ×3, first 2 shown]
	v_add_u32_e32 v0, 0x100, v0
	v_accvgpr_read_b32 v3, a43
	v_add_u32_e32 v4, 2, v4
	v_accvgpr_write_b32 a41, v0
	v_accvgpr_read_b32 v0, a11
	v_lshl_add_u64 v[2:3], v[2:3], 0, 8
	s_waitcnt lgkmcnt(0)
	v_accvgpr_read_b32 v1, a39
	v_cmp_ge_i32_e64 s[4:5], v4, v0
	v_accvgpr_write_b32 a43, v3
	v_add_u32_e32 v1, 64, v1
	s_or_b64 s[12:13], s[4:5], s[12:13]
	v_accvgpr_write_b32 a42, v2
	s_andn2_b64 exec, exec, s[12:13]
	s_cbranch_execz .LBB267_529
.LBB267_12:                             ; =>This Inner Loop Header: Depth=1
	v_accvgpr_read_b32 v0, a7
	v_mul_hi_u32 v0, v1, v0
	v_accvgpr_read_b32 v3, a3
	v_mov_b32_e32 v2, v1
	v_mul_lo_u32 v1, v0, v3
	v_sub_u32_e32 v1, v2, v1
	v_accvgpr_write_b32 a39, v2
	v_add_u32_e32 v2, 1, v0
	v_cmp_ge_u32_e64 s[4:5], v1, v3
	v_accvgpr_write_b32 a45, v4
	v_accvgpr_read_b32 v4, a38
	v_cndmask_b32_e64 v0, v0, v2, s[4:5]
	v_sub_u32_e32 v2, v1, v3
	v_cndmask_b32_e64 v1, v1, v2, s[4:5]
	v_add_u32_e32 v2, 1, v0
	v_cmp_ge_u32_e64 s[4:5], v1, v3
	v_accvgpr_read_b32 v1, a9
	s_nop 0
	v_cndmask_b32_e64 v0, v0, v2, s[4:5]
	v_xor_b32_e32 v0, v0, v1
	v_sub_u32_e32 v0, v0, v1
	v_accvgpr_read_b32 v2, a10
	v_add_u32_e32 v1, v0, v2
	v_sub_u32_e32 v3, 0, v1
	v_ashrrev_i32_e32 v2, 31, v1
	v_max_i32_e32 v1, v1, v3
	v_mul_hi_u32 v3, v1, v4
	v_accvgpr_read_b32 v4, a32
	v_mul_lo_u32 v3, v3, v4
	v_sub_u32_e32 v1, v1, v3
	v_sub_u32_e32 v3, v1, v4
	v_cmp_ge_u32_e64 s[4:5], v1, v4
	s_nop 1
	v_cndmask_b32_e64 v1, v1, v3, s[4:5]
	v_sub_u32_e32 v3, v1, v4
	v_cmp_ge_u32_e64 s[4:5], v1, v4
	s_nop 1
	v_cndmask_b32_e64 v1, v1, v3, s[4:5]
	v_xor_b32_e32 v1, v1, v2
	v_sub_u32_e32 v1, v1, v2
	v_cmp_ne_u32_e64 s[4:5], 0, v1
	v_accvgpr_read_b32 v1, a13
	v_cmp_le_i32_e64 s[6:7], v0, v1
	s_and_b64 s[4:5], s[4:5], s[6:7]
	s_and_b64 s[22:23], vcc, s[4:5]
	s_and_saveexec_b64 s[6:7], s[22:23]
	s_cbranch_execz .LBB267_14
; %bb.13:                               ;   in Loop: Header=BB267_12 Depth=1
	s_load_dword s22, s[10:11], 0x0
	v_accvgpr_read_b32 v0, a41
	v_mov_b32_e32 v1, 0xff7fffff
	s_waitcnt lgkmcnt(0)
	v_add_u32_e32 v0, s22, v0
	ds_write_b32 v0, v1
.LBB267_14:                             ;   in Loop: Header=BB267_12 Depth=1
	s_or_b64 exec, exec, s[6:7]
	s_xor_b64 s[4:5], s[4:5], -1
	s_and_saveexec_b64 s[6:7], s[4:5]
	s_cbranch_execz .LBB267_11
; %bb.15:                               ;   in Loop: Header=BB267_12 Depth=1
	v_accvgpr_read_b32 v0, a42
	v_accvgpr_read_b32 v1, a43
	flat_load_dword v0, v[0:1]
	v_accvgpr_read_b32 v6, a34
	v_accvgpr_read_b32 v2, a6
	;; [unrolled: 1-line block ×3, first 2 shown]
                                        ; implicit-def: $sgpr26
	s_waitcnt vmcnt(0) lgkmcnt(0)
	v_mad_i64_i32 v[0:1], s[4:5], v0, v2, v[6:7]
	v_accvgpr_read_b32 v2, a36
	v_accvgpr_read_b32 v3, a37
	v_lshl_add_u64 v[34:35], v[0:1], 0, v[2:3]
	v_accvgpr_read_b32 v0, a28
	flat_load_dword v36, v[34:35]
	v_accvgpr_read_b32 v1, a29
	flat_load_dword v15, v[0:1]
	s_mov_b64 s[4:5], 0
	s_waitcnt vmcnt(0) lgkmcnt(0)
	v_cmp_gt_i16_sdwa s[22:23], v36, s19 src0_sel:BYTE_0 src1_sel:DWORD
	s_and_saveexec_b64 s[24:25], s[22:23]
	s_xor_b64 s[22:23], exec, s[24:25]
	s_cbranch_execnz .LBB267_293
; %bb.16:                               ;   in Loop: Header=BB267_12 Depth=1
	s_or_saveexec_b64 s[22:23], s[22:23]
	v_mov_b32_e32 v0, s26
	s_xor_b64 exec, exec, s[22:23]
	s_cbranch_execnz .LBB267_296
.LBB267_17:                             ;   in Loop: Header=BB267_12 Depth=1
	s_or_b64 exec, exec, s[22:23]
	s_and_saveexec_b64 s[22:23], s[4:5]
	s_cbranch_execz .LBB267_19
.LBB267_18:                             ;   in Loop: Header=BB267_12 Depth=1
	v_and_b32_e32 v2, 7, v36
	v_ffbh_u32_e32 v0, v2
	v_min_u32_e32 v4, 32, v0
	v_subrev_u32_e32 v0, 28, v4
	v_bfe_u32 v3, v36, 3, 4
	v_lshlrev_b64 v[0:1], v0, v[36:37]
	v_sub_u32_e32 v1, 29, v4
	v_cmp_eq_u32_e64 s[4:5], 0, v3
	v_and_b32_e32 v0, 7, v0
	s_nop 0
	v_cndmask_b32_e64 v1, v3, v1, s[4:5]
	v_mov_b32_e32 v3, 0x1c00
	v_cndmask_b32_e64 v0, v2, v0, s[4:5]
	v_lshlrev_b32_e32 v2, 8, v36
	v_lshl_add_u32 v1, v1, 10, v3
	v_and_or_b32 v1, v2, s29, v1
	v_lshl_or_b32 v0, v0, 7, v1
	v_cvt_f32_f16_e32 v0, v0
.LBB267_19:                             ;   in Loop: Header=BB267_12 Depth=1
	s_or_b64 exec, exec, s[22:23]
	v_lshrrev_b16_e32 v4, 8, v36
	v_accvgpr_write_b32 a55, v0
	v_cmp_lt_i16_e64 s[4:5], s19, v4
	s_mov_b64 s[22:23], 0
                                        ; implicit-def: $sgpr30
	s_and_saveexec_b64 s[24:25], s[4:5]
	s_xor_b64 s[24:25], exec, s[24:25]
	s_cbranch_execnz .LBB267_297
; %bb.20:                               ;   in Loop: Header=BB267_12 Depth=1
	s_or_saveexec_b64 s[24:25], s[24:25]
	v_mov_b32_e32 v11, s30
	s_xor_b64 exec, exec, s[24:25]
	s_cbranch_execnz .LBB267_300
.LBB267_21:                             ;   in Loop: Header=BB267_12 Depth=1
	s_or_b64 exec, exec, s[24:25]
	s_and_saveexec_b64 s[24:25], s[22:23]
	s_cbranch_execz .LBB267_23
.LBB267_22:                             ;   in Loop: Header=BB267_12 Depth=1
	v_and_b32_e32 v2, 7, v4
	v_ffbh_u32_e32 v0, v2
	v_min_u32_e32 v6, 32, v0
	v_subrev_u32_e32 v0, 28, v6
	v_bfe_u32 v3, v4, 3, 4
	v_lshlrev_b64 v[0:1], v0, v[4:5]
	v_sub_u32_e32 v1, 29, v6
	v_cmp_eq_u32_e64 s[4:5], 0, v3
	v_and_b32_e32 v0, 7, v0
	s_nop 0
	v_cndmask_b32_e64 v1, v3, v1, s[4:5]
	v_mov_b32_e32 v3, 0x1c00
	v_cndmask_b32_e64 v0, v2, v0, s[4:5]
	v_lshlrev_b32_e32 v2, 8, v4
	v_lshl_add_u32 v1, v1, 10, v3
	v_and_or_b32 v1, v2, s29, v1
	v_lshl_or_b32 v0, v0, 7, v1
	v_cvt_f32_f16_e32 v11, v0
.LBB267_23:                             ;   in Loop: Header=BB267_12 Depth=1
	s_or_b64 exec, exec, s[24:25]
	v_lshrrev_b32_e32 v4, 16, v36
	v_cmp_gt_i16_sdwa s[22:23], v4, s19 src0_sel:BYTE_0 src1_sel:DWORD
	s_mov_b64 s[4:5], 0
                                        ; implicit-def: $sgpr26
	s_and_saveexec_b64 s[24:25], s[22:23]
	s_xor_b64 s[22:23], exec, s[24:25]
	s_cbranch_execz .LBB267_27
; %bb.24:                               ;   in Loop: Header=BB267_12 Depth=1
	v_cmp_eq_u16_sdwa s[30:31], v4, s28 src0_sel:BYTE_0 src1_sel:DWORD
	s_mov_b64 s[4:5], -1
                                        ; implicit-def: $sgpr26
	s_and_saveexec_b64 s[24:25], s[30:31]
; %bb.25:                               ;   in Loop: Header=BB267_12 Depth=1
	s_mov_b32 s26, 0x7fc02000
	s_xor_b64 s[4:5], exec, -1
; %bb.26:                               ;   in Loop: Header=BB267_12 Depth=1
	s_or_b64 exec, exec, s[24:25]
	s_and_b64 s[4:5], s[4:5], exec
.LBB267_27:                             ;   in Loop: Header=BB267_12 Depth=1
	s_or_saveexec_b64 s[22:23], s[22:23]
	v_mov_b32_e32 v0, s26
	scratch_store_dword off, v0, s32 offset:168 ; 4-byte Folded Spill
	s_xor_b64 exec, exec, s[22:23]
	s_cbranch_execz .LBB267_29
; %bb.28:                               ;   in Loop: Header=BB267_12 Depth=1
	v_cmp_ne_u16_sdwa s[24:25], v4, v5 src0_sel:BYTE_0 src1_sel:DWORD
	s_andn2_b64 s[4:5], s[4:5], exec
	s_and_b64 s[24:25], s[24:25], exec
	v_mov_b32_e32 v0, 0
	s_or_b64 s[4:5], s[4:5], s[24:25]
	scratch_store_dword off, v0, s32 offset:168 ; 4-byte Folded Spill
.LBB267_29:                             ;   in Loop: Header=BB267_12 Depth=1
	s_or_b64 exec, exec, s[22:23]
	s_and_saveexec_b64 s[22:23], s[4:5]
	s_cbranch_execz .LBB267_31
; %bb.30:                               ;   in Loop: Header=BB267_12 Depth=1
	v_bfe_u32 v2, v36, 16, 3
	v_ffbh_u32_e32 v0, v2
	v_min_u32_e32 v6, 32, v0
	v_subrev_u32_e32 v0, 28, v6
	v_bfe_u32 v3, v36, 19, 4
	v_lshlrev_b64 v[0:1], v0, v[4:5]
	v_sub_u32_e32 v1, 29, v6
	v_cmp_eq_u32_e64 s[4:5], 0, v3
	v_and_b32_e32 v0, 7, v0
	s_nop 0
	v_cndmask_b32_e64 v1, v3, v1, s[4:5]
	v_mov_b32_e32 v3, 0x1c00
	v_cndmask_b32_e64 v0, v2, v0, s[4:5]
	v_lshlrev_b32_e32 v2, 8, v4
	v_lshl_add_u32 v1, v1, 10, v3
	v_and_or_b32 v1, v2, s29, v1
	v_lshl_or_b32 v0, v0, 7, v1
	v_cvt_f32_f16_e32 v0, v0
	scratch_store_dword off, v0, s32 offset:168 ; 4-byte Folded Spill
.LBB267_31:                             ;   in Loop: Header=BB267_12 Depth=1
	s_or_b64 exec, exec, s[22:23]
	v_lshrrev_b32_e32 v4, 24, v36
	v_cmp_lt_i16_e64 s[4:5], s19, v4
	s_mov_b64 s[22:23], 0
                                        ; implicit-def: $sgpr30
	s_and_saveexec_b64 s[24:25], s[4:5]
	s_xor_b64 s[24:25], exec, s[24:25]
	s_cbranch_execz .LBB267_35
; %bb.32:                               ;   in Loop: Header=BB267_12 Depth=1
	v_cmp_eq_u16_e64 s[4:5], s28, v4
	s_mov_b64 s[22:23], -1
                                        ; implicit-def: $sgpr30
	s_and_saveexec_b64 s[26:27], s[4:5]
; %bb.33:                               ;   in Loop: Header=BB267_12 Depth=1
	s_mov_b32 s30, 0x7fc02000
	s_xor_b64 s[22:23], exec, -1
; %bb.34:                               ;   in Loop: Header=BB267_12 Depth=1
	s_or_b64 exec, exec, s[26:27]
	s_and_b64 s[22:23], s[22:23], exec
.LBB267_35:                             ;   in Loop: Header=BB267_12 Depth=1
	s_or_saveexec_b64 s[24:25], s[24:25]
	v_mov_b32_e32 v0, s30
	scratch_store_dword off, v0, s32 offset:172 ; 4-byte Folded Spill
	s_xor_b64 exec, exec, s[24:25]
	s_cbranch_execz .LBB267_37
; %bb.36:                               ;   in Loop: Header=BB267_12 Depth=1
	v_cmp_ne_u16_e64 s[4:5], 0, v4
	s_andn2_b64 s[22:23], s[22:23], exec
	s_and_b64 s[4:5], s[4:5], exec
	v_mov_b32_e32 v0, 0
	s_or_b64 s[22:23], s[22:23], s[4:5]
	scratch_store_dword off, v0, s32 offset:172 ; 4-byte Folded Spill
.LBB267_37:                             ;   in Loop: Header=BB267_12 Depth=1
	s_or_b64 exec, exec, s[24:25]
	s_and_saveexec_b64 s[24:25], s[22:23]
	s_cbranch_execz .LBB267_39
; %bb.38:                               ;   in Loop: Header=BB267_12 Depth=1
	v_bfe_u32 v2, v36, 24, 3
	v_ffbh_u32_e32 v0, v2
	v_min_u32_e32 v6, 32, v0
	v_subrev_u32_e32 v0, 28, v6
	v_bfe_u32 v3, v36, 27, 4
	v_lshlrev_b64 v[0:1], v0, v[4:5]
	v_sub_u32_e32 v1, 29, v6
	v_cmp_eq_u32_e64 s[4:5], 0, v3
	v_and_b32_e32 v0, 7, v0
	s_nop 0
	v_cndmask_b32_e64 v1, v3, v1, s[4:5]
	v_mov_b32_e32 v3, 0x1c00
	v_cndmask_b32_e64 v0, v2, v0, s[4:5]
	v_lshlrev_b32_e32 v2, 8, v4
	v_lshl_add_u32 v1, v1, 10, v3
	v_and_or_b32 v1, v2, s29, v1
	v_lshl_or_b32 v0, v0, 7, v1
	v_cvt_f32_f16_e32 v0, v0
	scratch_store_dword off, v0, s32 offset:172 ; 4-byte Folded Spill
.LBB267_39:                             ;   in Loop: Header=BB267_12 Depth=1
	s_or_b64 exec, exec, s[24:25]
	flat_load_dword v36, v[34:35] offset:8
	s_mov_b64 s[4:5], 0
                                        ; implicit-def: $sgpr26
	s_waitcnt vmcnt(0) lgkmcnt(0)
	v_cmp_gt_i16_sdwa s[22:23], v36, s19 src0_sel:BYTE_0 src1_sel:DWORD
	s_and_saveexec_b64 s[24:25], s[22:23]
	s_xor_b64 s[22:23], exec, s[24:25]
	s_cbranch_execnz .LBB267_301
; %bb.40:                               ;   in Loop: Header=BB267_12 Depth=1
	s_or_saveexec_b64 s[22:23], s[22:23]
	v_mov_b32_e32 v19, s26
	s_xor_b64 exec, exec, s[22:23]
	s_cbranch_execnz .LBB267_304
.LBB267_41:                             ;   in Loop: Header=BB267_12 Depth=1
	s_or_b64 exec, exec, s[22:23]
	s_and_saveexec_b64 s[22:23], s[4:5]
	s_cbranch_execz .LBB267_43
.LBB267_42:                             ;   in Loop: Header=BB267_12 Depth=1
	v_and_b32_e32 v2, 7, v36
	v_ffbh_u32_e32 v0, v2
	v_min_u32_e32 v4, 32, v0
	v_subrev_u32_e32 v0, 28, v4
	v_bfe_u32 v3, v36, 3, 4
	v_lshlrev_b64 v[0:1], v0, v[36:37]
	v_sub_u32_e32 v1, 29, v4
	v_cmp_eq_u32_e64 s[4:5], 0, v3
	v_and_b32_e32 v0, 7, v0
	s_nop 0
	v_cndmask_b32_e64 v1, v3, v1, s[4:5]
	v_mov_b32_e32 v3, 0x1c00
	v_cndmask_b32_e64 v0, v2, v0, s[4:5]
	v_lshlrev_b32_e32 v2, 8, v36
	v_lshl_add_u32 v1, v1, 10, v3
	v_and_or_b32 v1, v2, s29, v1
	v_lshl_or_b32 v0, v0, 7, v1
	v_cvt_f32_f16_e32 v19, v0
.LBB267_43:                             ;   in Loop: Header=BB267_12 Depth=1
	s_or_b64 exec, exec, s[22:23]
	v_lshrrev_b16_e32 v4, 8, v36
	v_cmp_lt_i16_e64 s[4:5], s19, v4
	s_mov_b64 s[22:23], 0
                                        ; implicit-def: $sgpr30
	s_and_saveexec_b64 s[24:25], s[4:5]
	s_xor_b64 s[24:25], exec, s[24:25]
	s_cbranch_execnz .LBB267_305
; %bb.44:                               ;   in Loop: Header=BB267_12 Depth=1
	s_or_saveexec_b64 s[24:25], s[24:25]
	v_mov_b32_e32 v49, s30
	s_xor_b64 exec, exec, s[24:25]
	s_cbranch_execnz .LBB267_308
.LBB267_45:                             ;   in Loop: Header=BB267_12 Depth=1
	s_or_b64 exec, exec, s[24:25]
	s_and_saveexec_b64 s[24:25], s[22:23]
	s_cbranch_execz .LBB267_47
.LBB267_46:                             ;   in Loop: Header=BB267_12 Depth=1
	v_and_b32_e32 v2, 7, v4
	v_ffbh_u32_e32 v0, v2
	v_min_u32_e32 v6, 32, v0
	v_subrev_u32_e32 v0, 28, v6
	v_bfe_u32 v3, v4, 3, 4
	v_lshlrev_b64 v[0:1], v0, v[4:5]
	v_sub_u32_e32 v1, 29, v6
	v_cmp_eq_u32_e64 s[4:5], 0, v3
	v_and_b32_e32 v0, 7, v0
	s_nop 0
	v_cndmask_b32_e64 v1, v3, v1, s[4:5]
	v_mov_b32_e32 v3, 0x1c00
	v_cndmask_b32_e64 v0, v2, v0, s[4:5]
	v_lshlrev_b32_e32 v2, 8, v4
	v_lshl_add_u32 v1, v1, 10, v3
	v_and_or_b32 v1, v2, s29, v1
	v_lshl_or_b32 v0, v0, 7, v1
	v_cvt_f32_f16_e32 v49, v0
.LBB267_47:                             ;   in Loop: Header=BB267_12 Depth=1
	s_or_b64 exec, exec, s[24:25]
	v_lshrrev_b32_e32 v4, 16, v36
	v_cmp_gt_i16_sdwa s[22:23], v4, s19 src0_sel:BYTE_0 src1_sel:DWORD
	s_mov_b64 s[4:5], 0
                                        ; implicit-def: $sgpr26
	s_and_saveexec_b64 s[24:25], s[22:23]
	s_xor_b64 s[22:23], exec, s[24:25]
	s_cbranch_execnz .LBB267_309
; %bb.48:                               ;   in Loop: Header=BB267_12 Depth=1
	s_or_saveexec_b64 s[22:23], s[22:23]
	v_mov_b32_e32 v32, s26
	s_xor_b64 exec, exec, s[22:23]
	s_cbranch_execnz .LBB267_312
.LBB267_49:                             ;   in Loop: Header=BB267_12 Depth=1
	s_or_b64 exec, exec, s[22:23]
	s_and_saveexec_b64 s[22:23], s[4:5]
	s_cbranch_execz .LBB267_51
.LBB267_50:                             ;   in Loop: Header=BB267_12 Depth=1
	v_bfe_u32 v2, v36, 16, 3
	v_ffbh_u32_e32 v0, v2
	v_min_u32_e32 v6, 32, v0
	v_subrev_u32_e32 v0, 28, v6
	v_bfe_u32 v3, v36, 19, 4
	v_lshlrev_b64 v[0:1], v0, v[4:5]
	v_sub_u32_e32 v1, 29, v6
	v_cmp_eq_u32_e64 s[4:5], 0, v3
	v_and_b32_e32 v0, 7, v0
	s_nop 0
	v_cndmask_b32_e64 v1, v3, v1, s[4:5]
	v_mov_b32_e32 v3, 0x1c00
	v_cndmask_b32_e64 v0, v2, v0, s[4:5]
	v_lshlrev_b32_e32 v2, 8, v4
	v_lshl_add_u32 v1, v1, 10, v3
	v_and_or_b32 v1, v2, s29, v1
	v_lshl_or_b32 v0, v0, 7, v1
	v_cvt_f32_f16_e32 v32, v0
.LBB267_51:                             ;   in Loop: Header=BB267_12 Depth=1
	s_or_b64 exec, exec, s[22:23]
	v_lshrrev_b32_e32 v4, 24, v36
	v_cmp_lt_i16_e64 s[4:5], s19, v4
	s_mov_b64 s[22:23], 0
                                        ; implicit-def: $sgpr30
	s_and_saveexec_b64 s[24:25], s[4:5]
	s_xor_b64 s[24:25], exec, s[24:25]
	s_cbranch_execz .LBB267_55
; %bb.52:                               ;   in Loop: Header=BB267_12 Depth=1
	v_cmp_eq_u16_e64 s[4:5], s28, v4
	s_mov_b64 s[22:23], -1
                                        ; implicit-def: $sgpr30
	s_and_saveexec_b64 s[26:27], s[4:5]
; %bb.53:                               ;   in Loop: Header=BB267_12 Depth=1
	s_mov_b32 s30, 0x7fc02000
	s_xor_b64 s[22:23], exec, -1
; %bb.54:                               ;   in Loop: Header=BB267_12 Depth=1
	s_or_b64 exec, exec, s[26:27]
	s_and_b64 s[22:23], s[22:23], exec
.LBB267_55:                             ;   in Loop: Header=BB267_12 Depth=1
	s_or_saveexec_b64 s[24:25], s[24:25]
	v_mov_b32_e32 v0, s30
	scratch_store_dword off, v0, s32 offset:176 ; 4-byte Folded Spill
	s_xor_b64 exec, exec, s[24:25]
	s_cbranch_execz .LBB267_57
; %bb.56:                               ;   in Loop: Header=BB267_12 Depth=1
	v_cmp_ne_u16_e64 s[4:5], 0, v4
	s_andn2_b64 s[22:23], s[22:23], exec
	s_and_b64 s[4:5], s[4:5], exec
	v_mov_b32_e32 v0, 0
	s_or_b64 s[22:23], s[22:23], s[4:5]
	scratch_store_dword off, v0, s32 offset:176 ; 4-byte Folded Spill
.LBB267_57:                             ;   in Loop: Header=BB267_12 Depth=1
	s_or_b64 exec, exec, s[24:25]
	s_and_saveexec_b64 s[24:25], s[22:23]
	s_cbranch_execz .LBB267_59
; %bb.58:                               ;   in Loop: Header=BB267_12 Depth=1
	v_bfe_u32 v2, v36, 24, 3
	v_ffbh_u32_e32 v0, v2
	v_min_u32_e32 v6, 32, v0
	v_subrev_u32_e32 v0, 28, v6
	v_bfe_u32 v3, v36, 27, 4
	v_lshlrev_b64 v[0:1], v0, v[4:5]
	v_sub_u32_e32 v1, 29, v6
	v_cmp_eq_u32_e64 s[4:5], 0, v3
	v_and_b32_e32 v0, 7, v0
	s_nop 0
	v_cndmask_b32_e64 v1, v3, v1, s[4:5]
	v_mov_b32_e32 v3, 0x1c00
	v_cndmask_b32_e64 v0, v2, v0, s[4:5]
	v_lshlrev_b32_e32 v2, 8, v4
	v_lshl_add_u32 v1, v1, 10, v3
	v_and_or_b32 v1, v2, s29, v1
	v_lshl_or_b32 v0, v0, 7, v1
	v_cvt_f32_f16_e32 v0, v0
	scratch_store_dword off, v0, s32 offset:176 ; 4-byte Folded Spill
.LBB267_59:                             ;   in Loop: Header=BB267_12 Depth=1
	s_or_b64 exec, exec, s[24:25]
	flat_load_dword v36, v[34:35] offset:512
	s_mov_b64 s[4:5], 0
                                        ; implicit-def: $sgpr26
	s_waitcnt vmcnt(0) lgkmcnt(0)
	v_cmp_gt_i16_sdwa s[22:23], v36, s19 src0_sel:BYTE_0 src1_sel:DWORD
	s_and_saveexec_b64 s[24:25], s[22:23]
	s_xor_b64 s[22:23], exec, s[24:25]
	s_cbranch_execnz .LBB267_313
; %bb.60:                               ;   in Loop: Header=BB267_12 Depth=1
	s_or_saveexec_b64 s[22:23], s[22:23]
	v_mov_b32_e32 v0, s26
	s_xor_b64 exec, exec, s[22:23]
	s_cbranch_execnz .LBB267_316
.LBB267_61:                             ;   in Loop: Header=BB267_12 Depth=1
	s_or_b64 exec, exec, s[22:23]
	s_and_saveexec_b64 s[22:23], s[4:5]
	s_cbranch_execz .LBB267_63
.LBB267_62:                             ;   in Loop: Header=BB267_12 Depth=1
	v_and_b32_e32 v2, 7, v36
	v_ffbh_u32_e32 v0, v2
	v_min_u32_e32 v4, 32, v0
	v_subrev_u32_e32 v0, 28, v4
	v_bfe_u32 v3, v36, 3, 4
	v_lshlrev_b64 v[0:1], v0, v[36:37]
	v_sub_u32_e32 v1, 29, v4
	v_cmp_eq_u32_e64 s[4:5], 0, v3
	v_and_b32_e32 v0, 7, v0
	s_nop 0
	v_cndmask_b32_e64 v1, v3, v1, s[4:5]
	v_mov_b32_e32 v3, 0x1c00
	v_cndmask_b32_e64 v0, v2, v0, s[4:5]
	v_lshlrev_b32_e32 v2, 8, v36
	v_lshl_add_u32 v1, v1, 10, v3
	v_and_or_b32 v1, v2, s29, v1
	v_lshl_or_b32 v0, v0, 7, v1
	v_cvt_f32_f16_e32 v0, v0
.LBB267_63:                             ;   in Loop: Header=BB267_12 Depth=1
	s_or_b64 exec, exec, s[22:23]
	v_lshrrev_b16_e32 v4, 8, v36
	v_accvgpr_write_b32 a58, v0
	v_cmp_lt_i16_e64 s[4:5], s19, v4
	s_mov_b64 s[22:23], 0
                                        ; implicit-def: $sgpr30
	s_and_saveexec_b64 s[24:25], s[4:5]
	s_xor_b64 s[24:25], exec, s[24:25]
	s_cbranch_execz .LBB267_67
; %bb.64:                               ;   in Loop: Header=BB267_12 Depth=1
	v_cmp_eq_u16_e64 s[4:5], s28, v4
	s_mov_b64 s[22:23], -1
                                        ; implicit-def: $sgpr30
	s_and_saveexec_b64 s[26:27], s[4:5]
; %bb.65:                               ;   in Loop: Header=BB267_12 Depth=1
	s_mov_b32 s30, 0x7fc02000
	s_xor_b64 s[22:23], exec, -1
; %bb.66:                               ;   in Loop: Header=BB267_12 Depth=1
	s_or_b64 exec, exec, s[26:27]
	s_and_b64 s[22:23], s[22:23], exec
.LBB267_67:                             ;   in Loop: Header=BB267_12 Depth=1
	s_or_saveexec_b64 s[24:25], s[24:25]
	v_mov_b32_e32 v0, s30
	scratch_store_dword off, v0, s32 offset:180 ; 4-byte Folded Spill
	s_xor_b64 exec, exec, s[24:25]
	s_cbranch_execz .LBB267_69
; %bb.68:                               ;   in Loop: Header=BB267_12 Depth=1
	v_cmp_ne_u16_e64 s[4:5], 0, v4
	s_andn2_b64 s[22:23], s[22:23], exec
	s_and_b64 s[4:5], s[4:5], exec
	v_mov_b32_e32 v0, 0
	s_or_b64 s[22:23], s[22:23], s[4:5]
	scratch_store_dword off, v0, s32 offset:180 ; 4-byte Folded Spill
.LBB267_69:                             ;   in Loop: Header=BB267_12 Depth=1
	s_or_b64 exec, exec, s[24:25]
	s_and_saveexec_b64 s[24:25], s[22:23]
	s_cbranch_execz .LBB267_71
; %bb.70:                               ;   in Loop: Header=BB267_12 Depth=1
	v_and_b32_e32 v2, 7, v4
	v_ffbh_u32_e32 v0, v2
	v_min_u32_e32 v6, 32, v0
	v_subrev_u32_e32 v0, 28, v6
	v_bfe_u32 v3, v4, 3, 4
	v_lshlrev_b64 v[0:1], v0, v[4:5]
	v_sub_u32_e32 v1, 29, v6
	v_cmp_eq_u32_e64 s[4:5], 0, v3
	v_and_b32_e32 v0, 7, v0
	s_nop 0
	v_cndmask_b32_e64 v1, v3, v1, s[4:5]
	v_mov_b32_e32 v3, 0x1c00
	v_cndmask_b32_e64 v0, v2, v0, s[4:5]
	v_lshlrev_b32_e32 v2, 8, v4
	v_lshl_add_u32 v1, v1, 10, v3
	v_and_or_b32 v1, v2, s29, v1
	v_lshl_or_b32 v0, v0, 7, v1
	v_cvt_f32_f16_e32 v0, v0
	scratch_store_dword off, v0, s32 offset:180 ; 4-byte Folded Spill
.LBB267_71:                             ;   in Loop: Header=BB267_12 Depth=1
	s_or_b64 exec, exec, s[24:25]
	v_lshrrev_b32_e32 v4, 16, v36
	v_cmp_gt_i16_sdwa s[22:23], v4, s19 src0_sel:BYTE_0 src1_sel:DWORD
	s_mov_b64 s[4:5], 0
                                        ; implicit-def: $sgpr26
	s_and_saveexec_b64 s[24:25], s[22:23]
	s_xor_b64 s[22:23], exec, s[24:25]
	s_cbranch_execnz .LBB267_317
; %bb.72:                               ;   in Loop: Header=BB267_12 Depth=1
	s_or_saveexec_b64 s[22:23], s[22:23]
	v_mov_b32_e32 v26, s26
	s_xor_b64 exec, exec, s[22:23]
	s_cbranch_execnz .LBB267_320
.LBB267_73:                             ;   in Loop: Header=BB267_12 Depth=1
	s_or_b64 exec, exec, s[22:23]
	s_and_saveexec_b64 s[22:23], s[4:5]
	s_cbranch_execz .LBB267_75
.LBB267_74:                             ;   in Loop: Header=BB267_12 Depth=1
	v_bfe_u32 v2, v36, 16, 3
	v_ffbh_u32_e32 v0, v2
	v_min_u32_e32 v6, 32, v0
	v_subrev_u32_e32 v0, 28, v6
	v_bfe_u32 v3, v36, 19, 4
	v_lshlrev_b64 v[0:1], v0, v[4:5]
	v_sub_u32_e32 v1, 29, v6
	v_cmp_eq_u32_e64 s[4:5], 0, v3
	v_and_b32_e32 v0, 7, v0
	s_nop 0
	v_cndmask_b32_e64 v1, v3, v1, s[4:5]
	v_mov_b32_e32 v3, 0x1c00
	v_cndmask_b32_e64 v0, v2, v0, s[4:5]
	v_lshlrev_b32_e32 v2, 8, v4
	v_lshl_add_u32 v1, v1, 10, v3
	v_and_or_b32 v1, v2, s29, v1
	v_lshl_or_b32 v0, v0, 7, v1
	v_cvt_f32_f16_e32 v26, v0
.LBB267_75:                             ;   in Loop: Header=BB267_12 Depth=1
	s_or_b64 exec, exec, s[22:23]
	v_lshrrev_b32_e32 v4, 24, v36
	v_cmp_lt_i16_e64 s[4:5], s19, v4
	s_mov_b64 s[22:23], 0
                                        ; implicit-def: $sgpr30
	s_and_saveexec_b64 s[24:25], s[4:5]
	s_xor_b64 s[24:25], exec, s[24:25]
	s_cbranch_execnz .LBB267_321
; %bb.76:                               ;   in Loop: Header=BB267_12 Depth=1
	s_or_saveexec_b64 s[24:25], s[24:25]
	v_mov_b32_e32 v51, s30
	s_xor_b64 exec, exec, s[24:25]
	s_cbranch_execnz .LBB267_324
.LBB267_77:                             ;   in Loop: Header=BB267_12 Depth=1
	s_or_b64 exec, exec, s[24:25]
	s_and_saveexec_b64 s[24:25], s[22:23]
	s_cbranch_execz .LBB267_79
.LBB267_78:                             ;   in Loop: Header=BB267_12 Depth=1
	v_bfe_u32 v2, v36, 24, 3
	v_ffbh_u32_e32 v0, v2
	v_min_u32_e32 v6, 32, v0
	v_subrev_u32_e32 v0, 28, v6
	v_bfe_u32 v3, v36, 27, 4
	v_lshlrev_b64 v[0:1], v0, v[4:5]
	v_sub_u32_e32 v1, 29, v6
	v_cmp_eq_u32_e64 s[4:5], 0, v3
	v_and_b32_e32 v0, 7, v0
	s_nop 0
	v_cndmask_b32_e64 v1, v3, v1, s[4:5]
	v_mov_b32_e32 v3, 0x1c00
	v_cndmask_b32_e64 v0, v2, v0, s[4:5]
	v_lshlrev_b32_e32 v2, 8, v4
	v_lshl_add_u32 v1, v1, 10, v3
	v_and_or_b32 v1, v2, s29, v1
	v_lshl_or_b32 v0, v0, 7, v1
	v_cvt_f32_f16_e32 v51, v0
.LBB267_79:                             ;   in Loop: Header=BB267_12 Depth=1
	s_or_b64 exec, exec, s[24:25]
	flat_load_dword v36, v[34:35] offset:520
	s_mov_b64 s[4:5], 0
                                        ; implicit-def: $sgpr26
	s_waitcnt vmcnt(0) lgkmcnt(0)
	v_cmp_gt_i16_sdwa s[22:23], v36, s19 src0_sel:BYTE_0 src1_sel:DWORD
	s_and_saveexec_b64 s[24:25], s[22:23]
	s_xor_b64 s[22:23], exec, s[24:25]
	s_cbranch_execnz .LBB267_325
; %bb.80:                               ;   in Loop: Header=BB267_12 Depth=1
	s_or_saveexec_b64 s[22:23], s[22:23]
	v_mov_b32_e32 v0, s26
	s_xor_b64 exec, exec, s[22:23]
	s_cbranch_execnz .LBB267_328
.LBB267_81:                             ;   in Loop: Header=BB267_12 Depth=1
	s_or_b64 exec, exec, s[22:23]
	s_and_saveexec_b64 s[22:23], s[4:5]
	s_cbranch_execz .LBB267_83
.LBB267_82:                             ;   in Loop: Header=BB267_12 Depth=1
	v_and_b32_e32 v2, 7, v36
	v_ffbh_u32_e32 v0, v2
	v_min_u32_e32 v4, 32, v0
	v_subrev_u32_e32 v0, 28, v4
	v_bfe_u32 v3, v36, 3, 4
	v_lshlrev_b64 v[0:1], v0, v[36:37]
	v_sub_u32_e32 v1, 29, v4
	v_cmp_eq_u32_e64 s[4:5], 0, v3
	v_and_b32_e32 v0, 7, v0
	s_nop 0
	v_cndmask_b32_e64 v1, v3, v1, s[4:5]
	v_mov_b32_e32 v3, 0x1c00
	v_cndmask_b32_e64 v0, v2, v0, s[4:5]
	v_lshlrev_b32_e32 v2, 8, v36
	v_lshl_add_u32 v1, v1, 10, v3
	v_and_or_b32 v1, v2, s29, v1
	v_lshl_or_b32 v0, v0, 7, v1
	v_cvt_f32_f16_e32 v0, v0
.LBB267_83:                             ;   in Loop: Header=BB267_12 Depth=1
	s_or_b64 exec, exec, s[22:23]
	v_lshrrev_b16_e32 v4, 8, v36
	v_accvgpr_write_b32 a48, v0
	v_cmp_lt_i16_e64 s[4:5], s19, v4
	s_mov_b64 s[22:23], 0
                                        ; implicit-def: $sgpr30
	s_and_saveexec_b64 s[24:25], s[4:5]
	s_xor_b64 s[24:25], exec, s[24:25]
	s_cbranch_execnz .LBB267_329
; %bb.84:                               ;   in Loop: Header=BB267_12 Depth=1
	s_or_saveexec_b64 s[24:25], s[24:25]
	v_mov_b32_e32 v52, s30
	s_xor_b64 exec, exec, s[24:25]
	s_cbranch_execnz .LBB267_332
.LBB267_85:                             ;   in Loop: Header=BB267_12 Depth=1
	s_or_b64 exec, exec, s[24:25]
	s_and_saveexec_b64 s[24:25], s[22:23]
	s_cbranch_execz .LBB267_87
.LBB267_86:                             ;   in Loop: Header=BB267_12 Depth=1
	v_and_b32_e32 v2, 7, v4
	v_ffbh_u32_e32 v0, v2
	v_min_u32_e32 v6, 32, v0
	v_subrev_u32_e32 v0, 28, v6
	v_bfe_u32 v3, v4, 3, 4
	v_lshlrev_b64 v[0:1], v0, v[4:5]
	v_sub_u32_e32 v1, 29, v6
	v_cmp_eq_u32_e64 s[4:5], 0, v3
	v_and_b32_e32 v0, 7, v0
	s_nop 0
	v_cndmask_b32_e64 v1, v3, v1, s[4:5]
	v_mov_b32_e32 v3, 0x1c00
	v_cndmask_b32_e64 v0, v2, v0, s[4:5]
	v_lshlrev_b32_e32 v2, 8, v4
	v_lshl_add_u32 v1, v1, 10, v3
	v_and_or_b32 v1, v2, s29, v1
	v_lshl_or_b32 v0, v0, 7, v1
	v_cvt_f32_f16_e32 v52, v0
.LBB267_87:                             ;   in Loop: Header=BB267_12 Depth=1
	s_or_b64 exec, exec, s[24:25]
	v_lshrrev_b32_e32 v4, 16, v36
	v_cmp_gt_i16_sdwa s[22:23], v4, s19 src0_sel:BYTE_0 src1_sel:DWORD
	s_mov_b64 s[4:5], 0
                                        ; implicit-def: $sgpr26
	s_and_saveexec_b64 s[24:25], s[22:23]
	s_xor_b64 s[22:23], exec, s[24:25]
	s_cbranch_execnz .LBB267_333
; %bb.88:                               ;   in Loop: Header=BB267_12 Depth=1
	s_or_saveexec_b64 s[22:23], s[22:23]
	v_mov_b32_e32 v53, s26
	s_xor_b64 exec, exec, s[22:23]
	s_cbranch_execnz .LBB267_336
.LBB267_89:                             ;   in Loop: Header=BB267_12 Depth=1
	s_or_b64 exec, exec, s[22:23]
	s_and_saveexec_b64 s[22:23], s[4:5]
	s_cbranch_execz .LBB267_91
.LBB267_90:                             ;   in Loop: Header=BB267_12 Depth=1
	v_bfe_u32 v2, v36, 16, 3
	v_ffbh_u32_e32 v0, v2
	v_min_u32_e32 v6, 32, v0
	v_subrev_u32_e32 v0, 28, v6
	v_bfe_u32 v3, v36, 19, 4
	v_lshlrev_b64 v[0:1], v0, v[4:5]
	v_sub_u32_e32 v1, 29, v6
	v_cmp_eq_u32_e64 s[4:5], 0, v3
	v_and_b32_e32 v0, 7, v0
	s_nop 0
	v_cndmask_b32_e64 v1, v3, v1, s[4:5]
	v_mov_b32_e32 v3, 0x1c00
	v_cndmask_b32_e64 v0, v2, v0, s[4:5]
	v_lshlrev_b32_e32 v2, 8, v4
	v_lshl_add_u32 v1, v1, 10, v3
	v_and_or_b32 v1, v2, s29, v1
	v_lshl_or_b32 v0, v0, 7, v1
	v_cvt_f32_f16_e32 v53, v0
.LBB267_91:                             ;   in Loop: Header=BB267_12 Depth=1
	s_or_b64 exec, exec, s[22:23]
	v_lshrrev_b32_e32 v4, 24, v36
	v_cmp_lt_i16_e64 s[4:5], s19, v4
	s_mov_b64 s[22:23], 0
                                        ; implicit-def: $sgpr30
	s_and_saveexec_b64 s[24:25], s[4:5]
	s_xor_b64 s[24:25], exec, s[24:25]
	s_cbranch_execnz .LBB267_337
; %bb.92:                               ;   in Loop: Header=BB267_12 Depth=1
	s_or_saveexec_b64 s[24:25], s[24:25]
	v_mov_b32_e32 v41, s30
	s_xor_b64 exec, exec, s[24:25]
	s_cbranch_execnz .LBB267_340
.LBB267_93:                             ;   in Loop: Header=BB267_12 Depth=1
	s_or_b64 exec, exec, s[24:25]
	s_and_saveexec_b64 s[24:25], s[22:23]
	s_cbranch_execz .LBB267_95
.LBB267_94:                             ;   in Loop: Header=BB267_12 Depth=1
	v_bfe_u32 v2, v36, 24, 3
	v_ffbh_u32_e32 v0, v2
	v_min_u32_e32 v6, 32, v0
	v_subrev_u32_e32 v0, 28, v6
	v_bfe_u32 v3, v36, 27, 4
	v_lshlrev_b64 v[0:1], v0, v[4:5]
	v_sub_u32_e32 v1, 29, v6
	v_cmp_eq_u32_e64 s[4:5], 0, v3
	v_and_b32_e32 v0, 7, v0
	s_nop 0
	v_cndmask_b32_e64 v1, v3, v1, s[4:5]
	v_mov_b32_e32 v3, 0x1c00
	v_cndmask_b32_e64 v0, v2, v0, s[4:5]
	v_lshlrev_b32_e32 v2, 8, v4
	v_lshl_add_u32 v1, v1, 10, v3
	v_and_or_b32 v1, v2, s29, v1
	v_lshl_or_b32 v0, v0, 7, v1
	v_cvt_f32_f16_e32 v41, v0
.LBB267_95:                             ;   in Loop: Header=BB267_12 Depth=1
	s_or_b64 exec, exec, s[24:25]
	flat_load_dword v36, v[34:35] offset:1024
	s_mov_b64 s[4:5], 0
                                        ; implicit-def: $sgpr26
	s_waitcnt vmcnt(0) lgkmcnt(0)
	v_cmp_gt_i16_sdwa s[22:23], v36, s19 src0_sel:BYTE_0 src1_sel:DWORD
	s_and_saveexec_b64 s[24:25], s[22:23]
	s_xor_b64 s[22:23], exec, s[24:25]
	s_cbranch_execnz .LBB267_341
; %bb.96:                               ;   in Loop: Header=BB267_12 Depth=1
	s_or_saveexec_b64 s[22:23], s[22:23]
	v_mov_b32_e32 v0, s26
	s_xor_b64 exec, exec, s[22:23]
	s_cbranch_execnz .LBB267_344
.LBB267_97:                             ;   in Loop: Header=BB267_12 Depth=1
	s_or_b64 exec, exec, s[22:23]
	s_and_saveexec_b64 s[22:23], s[4:5]
	s_cbranch_execz .LBB267_99
.LBB267_98:                             ;   in Loop: Header=BB267_12 Depth=1
	v_and_b32_e32 v2, 7, v36
	v_ffbh_u32_e32 v0, v2
	v_min_u32_e32 v4, 32, v0
	v_subrev_u32_e32 v0, 28, v4
	v_bfe_u32 v3, v36, 3, 4
	v_lshlrev_b64 v[0:1], v0, v[36:37]
	v_sub_u32_e32 v1, 29, v4
	v_cmp_eq_u32_e64 s[4:5], 0, v3
	v_and_b32_e32 v0, 7, v0
	s_nop 0
	v_cndmask_b32_e64 v1, v3, v1, s[4:5]
	v_mov_b32_e32 v3, 0x1c00
	v_cndmask_b32_e64 v0, v2, v0, s[4:5]
	v_lshlrev_b32_e32 v2, 8, v36
	v_lshl_add_u32 v1, v1, 10, v3
	v_and_or_b32 v1, v2, s29, v1
	v_lshl_or_b32 v0, v0, 7, v1
	v_cvt_f32_f16_e32 v0, v0
.LBB267_99:                             ;   in Loop: Header=BB267_12 Depth=1
	s_or_b64 exec, exec, s[22:23]
	v_lshrrev_b16_e32 v4, 8, v36
	v_accvgpr_write_b32 a52, v0
	v_cmp_lt_i16_e64 s[4:5], s19, v4
	s_mov_b64 s[22:23], 0
                                        ; implicit-def: $sgpr30
	s_and_saveexec_b64 s[24:25], s[4:5]
	s_xor_b64 s[24:25], exec, s[24:25]
	s_cbranch_execnz .LBB267_345
; %bb.100:                              ;   in Loop: Header=BB267_12 Depth=1
	s_or_saveexec_b64 s[24:25], s[24:25]
	v_mov_b32_e32 v43, s30
	s_xor_b64 exec, exec, s[24:25]
	s_cbranch_execnz .LBB267_348
.LBB267_101:                            ;   in Loop: Header=BB267_12 Depth=1
	s_or_b64 exec, exec, s[24:25]
	s_and_saveexec_b64 s[24:25], s[22:23]
	s_cbranch_execz .LBB267_103
.LBB267_102:                            ;   in Loop: Header=BB267_12 Depth=1
	v_and_b32_e32 v2, 7, v4
	v_ffbh_u32_e32 v0, v2
	v_min_u32_e32 v6, 32, v0
	v_subrev_u32_e32 v0, 28, v6
	v_bfe_u32 v3, v4, 3, 4
	v_lshlrev_b64 v[0:1], v0, v[4:5]
	v_sub_u32_e32 v1, 29, v6
	v_cmp_eq_u32_e64 s[4:5], 0, v3
	v_and_b32_e32 v0, 7, v0
	s_nop 0
	v_cndmask_b32_e64 v1, v3, v1, s[4:5]
	v_mov_b32_e32 v3, 0x1c00
	v_cndmask_b32_e64 v0, v2, v0, s[4:5]
	v_lshlrev_b32_e32 v2, 8, v4
	v_lshl_add_u32 v1, v1, 10, v3
	v_and_or_b32 v1, v2, s29, v1
	v_lshl_or_b32 v0, v0, 7, v1
	v_cvt_f32_f16_e32 v43, v0
.LBB267_103:                            ;   in Loop: Header=BB267_12 Depth=1
	s_or_b64 exec, exec, s[24:25]
	v_lshrrev_b32_e32 v4, 16, v36
	v_cmp_gt_i16_sdwa s[22:23], v4, s19 src0_sel:BYTE_0 src1_sel:DWORD
	s_mov_b64 s[4:5], 0
                                        ; implicit-def: $sgpr26
	s_and_saveexec_b64 s[24:25], s[22:23]
	s_xor_b64 s[22:23], exec, s[24:25]
	s_cbranch_execnz .LBB267_349
; %bb.104:                              ;   in Loop: Header=BB267_12 Depth=1
	s_or_saveexec_b64 s[22:23], s[22:23]
	v_mov_b32_e32 v47, s26
	s_xor_b64 exec, exec, s[22:23]
	s_cbranch_execnz .LBB267_352
.LBB267_105:                            ;   in Loop: Header=BB267_12 Depth=1
	s_or_b64 exec, exec, s[22:23]
	s_and_saveexec_b64 s[22:23], s[4:5]
	s_cbranch_execz .LBB267_107
.LBB267_106:                            ;   in Loop: Header=BB267_12 Depth=1
	v_bfe_u32 v2, v36, 16, 3
	v_ffbh_u32_e32 v0, v2
	v_min_u32_e32 v6, 32, v0
	v_subrev_u32_e32 v0, 28, v6
	v_bfe_u32 v3, v36, 19, 4
	v_lshlrev_b64 v[0:1], v0, v[4:5]
	v_sub_u32_e32 v1, 29, v6
	v_cmp_eq_u32_e64 s[4:5], 0, v3
	v_and_b32_e32 v0, 7, v0
	s_nop 0
	v_cndmask_b32_e64 v1, v3, v1, s[4:5]
	v_mov_b32_e32 v3, 0x1c00
	v_cndmask_b32_e64 v0, v2, v0, s[4:5]
	v_lshlrev_b32_e32 v2, 8, v4
	v_lshl_add_u32 v1, v1, 10, v3
	v_and_or_b32 v1, v2, s29, v1
	v_lshl_or_b32 v0, v0, 7, v1
	v_cvt_f32_f16_e32 v47, v0
.LBB267_107:                            ;   in Loop: Header=BB267_12 Depth=1
	s_or_b64 exec, exec, s[22:23]
	v_lshrrev_b32_e32 v4, 24, v36
	v_cmp_lt_i16_e64 s[4:5], s19, v4
	s_mov_b64 s[22:23], 0
                                        ; implicit-def: $sgpr30
	s_and_saveexec_b64 s[24:25], s[4:5]
	s_xor_b64 s[24:25], exec, s[24:25]
	s_cbranch_execnz .LBB267_353
; %bb.108:                              ;   in Loop: Header=BB267_12 Depth=1
	s_or_saveexec_b64 s[24:25], s[24:25]
	v_mov_b32_e32 v40, s30
	s_xor_b64 exec, exec, s[24:25]
	s_cbranch_execnz .LBB267_356
.LBB267_109:                            ;   in Loop: Header=BB267_12 Depth=1
	s_or_b64 exec, exec, s[24:25]
	s_and_saveexec_b64 s[24:25], s[22:23]
	s_cbranch_execz .LBB267_111
.LBB267_110:                            ;   in Loop: Header=BB267_12 Depth=1
	v_bfe_u32 v2, v36, 24, 3
	v_ffbh_u32_e32 v0, v2
	v_min_u32_e32 v6, 32, v0
	v_subrev_u32_e32 v0, 28, v6
	v_bfe_u32 v3, v36, 27, 4
	v_lshlrev_b64 v[0:1], v0, v[4:5]
	v_sub_u32_e32 v1, 29, v6
	v_cmp_eq_u32_e64 s[4:5], 0, v3
	v_and_b32_e32 v0, 7, v0
	s_nop 0
	v_cndmask_b32_e64 v1, v3, v1, s[4:5]
	v_mov_b32_e32 v3, 0x1c00
	v_cndmask_b32_e64 v0, v2, v0, s[4:5]
	v_lshlrev_b32_e32 v2, 8, v4
	v_lshl_add_u32 v1, v1, 10, v3
	v_and_or_b32 v1, v2, s29, v1
	v_lshl_or_b32 v0, v0, 7, v1
	v_cvt_f32_f16_e32 v40, v0
.LBB267_111:                            ;   in Loop: Header=BB267_12 Depth=1
	s_or_b64 exec, exec, s[24:25]
	flat_load_dword v36, v[34:35] offset:1032
	s_mov_b64 s[4:5], 0
                                        ; implicit-def: $sgpr26
	s_waitcnt vmcnt(0) lgkmcnt(0)
	v_cmp_gt_i16_sdwa s[22:23], v36, s19 src0_sel:BYTE_0 src1_sel:DWORD
	s_and_saveexec_b64 s[24:25], s[22:23]
	s_xor_b64 s[22:23], exec, s[24:25]
	s_cbranch_execnz .LBB267_357
; %bb.112:                              ;   in Loop: Header=BB267_12 Depth=1
	s_or_saveexec_b64 s[22:23], s[22:23]
	v_mov_b32_e32 v0, s26
	s_xor_b64 exec, exec, s[22:23]
	s_cbranch_execnz .LBB267_360
.LBB267_113:                            ;   in Loop: Header=BB267_12 Depth=1
	s_or_b64 exec, exec, s[22:23]
	s_and_saveexec_b64 s[22:23], s[4:5]
	s_cbranch_execz .LBB267_115
.LBB267_114:                            ;   in Loop: Header=BB267_12 Depth=1
	v_and_b32_e32 v2, 7, v36
	v_ffbh_u32_e32 v0, v2
	v_min_u32_e32 v4, 32, v0
	v_subrev_u32_e32 v0, 28, v4
	v_bfe_u32 v3, v36, 3, 4
	v_lshlrev_b64 v[0:1], v0, v[36:37]
	v_sub_u32_e32 v1, 29, v4
	v_cmp_eq_u32_e64 s[4:5], 0, v3
	v_and_b32_e32 v0, 7, v0
	s_nop 0
	v_cndmask_b32_e64 v1, v3, v1, s[4:5]
	v_mov_b32_e32 v3, 0x1c00
	v_cndmask_b32_e64 v0, v2, v0, s[4:5]
	v_lshlrev_b32_e32 v2, 8, v36
	v_lshl_add_u32 v1, v1, 10, v3
	v_and_or_b32 v1, v2, s29, v1
	v_lshl_or_b32 v0, v0, 7, v1
	v_cvt_f32_f16_e32 v0, v0
.LBB267_115:                            ;   in Loop: Header=BB267_12 Depth=1
	s_or_b64 exec, exec, s[22:23]
	v_lshrrev_b16_e32 v4, 8, v36
	v_accvgpr_write_b32 a56, v0
	v_cmp_lt_i16_e64 s[4:5], s19, v4
	s_mov_b64 s[22:23], 0
                                        ; implicit-def: $sgpr30
	s_and_saveexec_b64 s[24:25], s[4:5]
	s_xor_b64 s[24:25], exec, s[24:25]
	s_cbranch_execnz .LBB267_361
; %bb.116:                              ;   in Loop: Header=BB267_12 Depth=1
	s_or_saveexec_b64 s[24:25], s[24:25]
	v_mov_b32_e32 v33, s30
	s_xor_b64 exec, exec, s[24:25]
	s_cbranch_execnz .LBB267_364
.LBB267_117:                            ;   in Loop: Header=BB267_12 Depth=1
	s_or_b64 exec, exec, s[24:25]
	s_and_saveexec_b64 s[24:25], s[22:23]
	s_cbranch_execz .LBB267_119
.LBB267_118:                            ;   in Loop: Header=BB267_12 Depth=1
	v_and_b32_e32 v2, 7, v4
	v_ffbh_u32_e32 v0, v2
	v_min_u32_e32 v6, 32, v0
	v_subrev_u32_e32 v0, 28, v6
	v_bfe_u32 v3, v4, 3, 4
	v_lshlrev_b64 v[0:1], v0, v[4:5]
	v_sub_u32_e32 v1, 29, v6
	v_cmp_eq_u32_e64 s[4:5], 0, v3
	v_and_b32_e32 v0, 7, v0
	s_nop 0
	v_cndmask_b32_e64 v1, v3, v1, s[4:5]
	v_mov_b32_e32 v3, 0x1c00
	v_cndmask_b32_e64 v0, v2, v0, s[4:5]
	v_lshlrev_b32_e32 v2, 8, v4
	v_lshl_add_u32 v1, v1, 10, v3
	v_and_or_b32 v1, v2, s29, v1
	v_lshl_or_b32 v0, v0, 7, v1
	v_cvt_f32_f16_e32 v33, v0
.LBB267_119:                            ;   in Loop: Header=BB267_12 Depth=1
	s_or_b64 exec, exec, s[24:25]
	v_lshrrev_b32_e32 v4, 16, v36
	v_cmp_gt_i16_sdwa s[22:23], v4, s19 src0_sel:BYTE_0 src1_sel:DWORD
	s_mov_b64 s[4:5], 0
                                        ; implicit-def: $sgpr26
	s_and_saveexec_b64 s[24:25], s[22:23]
	s_xor_b64 s[22:23], exec, s[24:25]
	s_cbranch_execnz .LBB267_365
; %bb.120:                              ;   in Loop: Header=BB267_12 Depth=1
	s_or_saveexec_b64 s[22:23], s[22:23]
	v_mov_b32_e32 v54, s26
	s_xor_b64 exec, exec, s[22:23]
	s_cbranch_execnz .LBB267_368
.LBB267_121:                            ;   in Loop: Header=BB267_12 Depth=1
	s_or_b64 exec, exec, s[22:23]
	s_and_saveexec_b64 s[22:23], s[4:5]
	s_cbranch_execz .LBB267_123
.LBB267_122:                            ;   in Loop: Header=BB267_12 Depth=1
	v_bfe_u32 v2, v36, 16, 3
	v_ffbh_u32_e32 v0, v2
	v_min_u32_e32 v6, 32, v0
	v_subrev_u32_e32 v0, 28, v6
	v_bfe_u32 v3, v36, 19, 4
	v_lshlrev_b64 v[0:1], v0, v[4:5]
	v_sub_u32_e32 v1, 29, v6
	v_cmp_eq_u32_e64 s[4:5], 0, v3
	v_and_b32_e32 v0, 7, v0
	s_nop 0
	v_cndmask_b32_e64 v1, v3, v1, s[4:5]
	v_mov_b32_e32 v3, 0x1c00
	v_cndmask_b32_e64 v0, v2, v0, s[4:5]
	v_lshlrev_b32_e32 v2, 8, v4
	v_lshl_add_u32 v1, v1, 10, v3
	v_and_or_b32 v1, v2, s29, v1
	v_lshl_or_b32 v0, v0, 7, v1
	v_cvt_f32_f16_e32 v54, v0
.LBB267_123:                            ;   in Loop: Header=BB267_12 Depth=1
	s_or_b64 exec, exec, s[22:23]
	v_lshrrev_b32_e32 v4, 24, v36
	v_cmp_lt_i16_e64 s[4:5], s19, v4
	s_mov_b64 s[22:23], 0
                                        ; implicit-def: $sgpr30
	s_and_saveexec_b64 s[24:25], s[4:5]
	s_xor_b64 s[24:25], exec, s[24:25]
	s_cbranch_execnz .LBB267_369
; %bb.124:                              ;   in Loop: Header=BB267_12 Depth=1
	s_or_saveexec_b64 s[24:25], s[24:25]
	v_mov_b32_e32 v42, s30
	s_xor_b64 exec, exec, s[24:25]
	s_cbranch_execnz .LBB267_372
.LBB267_125:                            ;   in Loop: Header=BB267_12 Depth=1
	s_or_b64 exec, exec, s[24:25]
	s_and_saveexec_b64 s[24:25], s[22:23]
	s_cbranch_execz .LBB267_127
.LBB267_126:                            ;   in Loop: Header=BB267_12 Depth=1
	v_bfe_u32 v2, v36, 24, 3
	v_ffbh_u32_e32 v0, v2
	v_min_u32_e32 v6, 32, v0
	v_subrev_u32_e32 v0, 28, v6
	v_bfe_u32 v3, v36, 27, 4
	v_lshlrev_b64 v[0:1], v0, v[4:5]
	v_sub_u32_e32 v1, 29, v6
	v_cmp_eq_u32_e64 s[4:5], 0, v3
	v_and_b32_e32 v0, 7, v0
	s_nop 0
	v_cndmask_b32_e64 v1, v3, v1, s[4:5]
	v_mov_b32_e32 v3, 0x1c00
	v_cndmask_b32_e64 v0, v2, v0, s[4:5]
	v_lshlrev_b32_e32 v2, 8, v4
	v_lshl_add_u32 v1, v1, 10, v3
	v_and_or_b32 v1, v2, s29, v1
	v_lshl_or_b32 v0, v0, 7, v1
	v_cvt_f32_f16_e32 v42, v0
.LBB267_127:                            ;   in Loop: Header=BB267_12 Depth=1
	s_or_b64 exec, exec, s[24:25]
	flat_load_dword v36, v[34:35] offset:1536
	s_mov_b64 s[4:5], 0
                                        ; implicit-def: $sgpr26
	s_waitcnt vmcnt(0) lgkmcnt(0)
	v_cmp_gt_i16_sdwa s[22:23], v36, s19 src0_sel:BYTE_0 src1_sel:DWORD
	s_and_saveexec_b64 s[24:25], s[22:23]
	s_xor_b64 s[22:23], exec, s[24:25]
	s_cbranch_execnz .LBB267_373
; %bb.128:                              ;   in Loop: Header=BB267_12 Depth=1
	s_or_saveexec_b64 s[22:23], s[22:23]
	v_mov_b32_e32 v0, s26
	s_xor_b64 exec, exec, s[22:23]
	s_cbranch_execnz .LBB267_376
.LBB267_129:                            ;   in Loop: Header=BB267_12 Depth=1
	s_or_b64 exec, exec, s[22:23]
	s_and_saveexec_b64 s[22:23], s[4:5]
	s_cbranch_execz .LBB267_131
.LBB267_130:                            ;   in Loop: Header=BB267_12 Depth=1
	v_and_b32_e32 v2, 7, v36
	v_ffbh_u32_e32 v0, v2
	v_min_u32_e32 v4, 32, v0
	v_subrev_u32_e32 v0, 28, v4
	v_bfe_u32 v3, v36, 3, 4
	v_lshlrev_b64 v[0:1], v0, v[36:37]
	v_sub_u32_e32 v1, 29, v4
	v_cmp_eq_u32_e64 s[4:5], 0, v3
	v_and_b32_e32 v0, 7, v0
	s_nop 0
	v_cndmask_b32_e64 v1, v3, v1, s[4:5]
	v_mov_b32_e32 v3, 0x1c00
	v_cndmask_b32_e64 v0, v2, v0, s[4:5]
	v_lshlrev_b32_e32 v2, 8, v36
	v_lshl_add_u32 v1, v1, 10, v3
	v_and_or_b32 v1, v2, s29, v1
	v_lshl_or_b32 v0, v0, 7, v1
	v_cvt_f32_f16_e32 v0, v0
.LBB267_131:                            ;   in Loop: Header=BB267_12 Depth=1
	s_or_b64 exec, exec, s[22:23]
	v_lshrrev_b16_e32 v4, 8, v36
	v_accvgpr_write_b32 a57, v0
	v_cmp_lt_i16_e64 s[4:5], s19, v4
	s_mov_b64 s[22:23], 0
                                        ; implicit-def: $sgpr30
	s_and_saveexec_b64 s[24:25], s[4:5]
	s_xor_b64 s[24:25], exec, s[24:25]
	s_cbranch_execnz .LBB267_377
; %bb.132:                              ;   in Loop: Header=BB267_12 Depth=1
	s_or_saveexec_b64 s[24:25], s[24:25]
	v_mov_b32_e32 v44, s30
	s_xor_b64 exec, exec, s[24:25]
	s_cbranch_execnz .LBB267_380
.LBB267_133:                            ;   in Loop: Header=BB267_12 Depth=1
	s_or_b64 exec, exec, s[24:25]
	s_and_saveexec_b64 s[24:25], s[22:23]
	s_cbranch_execz .LBB267_135
.LBB267_134:                            ;   in Loop: Header=BB267_12 Depth=1
	v_and_b32_e32 v2, 7, v4
	v_ffbh_u32_e32 v0, v2
	v_min_u32_e32 v7, 32, v0
	v_subrev_u32_e32 v0, 28, v7
	v_bfe_u32 v3, v4, 3, 4
	v_lshlrev_b64 v[0:1], v0, v[4:5]
	v_sub_u32_e32 v1, 29, v7
	v_cmp_eq_u32_e64 s[4:5], 0, v3
	v_and_b32_e32 v0, 7, v0
	s_nop 0
	v_cndmask_b32_e64 v1, v3, v1, s[4:5]
	v_mov_b32_e32 v3, 0x1c00
	v_cndmask_b32_e64 v0, v2, v0, s[4:5]
	v_lshlrev_b32_e32 v2, 8, v4
	v_lshl_add_u32 v1, v1, 10, v3
	v_and_or_b32 v1, v2, s29, v1
	v_lshl_or_b32 v0, v0, 7, v1
	v_cvt_f32_f16_e32 v44, v0
.LBB267_135:                            ;   in Loop: Header=BB267_12 Depth=1
	s_or_b64 exec, exec, s[24:25]
	v_lshrrev_b32_e32 v4, 16, v36
	v_cmp_gt_i16_sdwa s[22:23], v4, s19 src0_sel:BYTE_0 src1_sel:DWORD
	s_mov_b64 s[4:5], 0
                                        ; implicit-def: $sgpr26
	s_and_saveexec_b64 s[24:25], s[22:23]
	s_xor_b64 s[22:23], exec, s[24:25]
	s_cbranch_execnz .LBB267_381
; %bb.136:                              ;   in Loop: Header=BB267_12 Depth=1
	s_or_saveexec_b64 s[22:23], s[22:23]
	v_mov_b32_e32 v46, s26
	s_xor_b64 exec, exec, s[22:23]
	s_cbranch_execnz .LBB267_384
.LBB267_137:                            ;   in Loop: Header=BB267_12 Depth=1
	s_or_b64 exec, exec, s[22:23]
	s_and_saveexec_b64 s[22:23], s[4:5]
	s_cbranch_execz .LBB267_139
.LBB267_138:                            ;   in Loop: Header=BB267_12 Depth=1
	v_bfe_u32 v2, v36, 16, 3
	v_ffbh_u32_e32 v0, v2
	v_min_u32_e32 v7, 32, v0
	v_subrev_u32_e32 v0, 28, v7
	v_bfe_u32 v3, v36, 19, 4
	v_lshlrev_b64 v[0:1], v0, v[4:5]
	v_sub_u32_e32 v1, 29, v7
	v_cmp_eq_u32_e64 s[4:5], 0, v3
	v_and_b32_e32 v0, 7, v0
	s_nop 0
	v_cndmask_b32_e64 v1, v3, v1, s[4:5]
	v_mov_b32_e32 v3, 0x1c00
	v_cndmask_b32_e64 v0, v2, v0, s[4:5]
	v_lshlrev_b32_e32 v2, 8, v4
	v_lshl_add_u32 v1, v1, 10, v3
	v_and_or_b32 v1, v2, s29, v1
	v_lshl_or_b32 v0, v0, 7, v1
	v_cvt_f32_f16_e32 v46, v0
.LBB267_139:                            ;   in Loop: Header=BB267_12 Depth=1
	s_or_b64 exec, exec, s[22:23]
	v_lshrrev_b32_e32 v4, 24, v36
	v_cmp_lt_i16_e64 s[4:5], s19, v4
	s_mov_b64 s[22:23], 0
                                        ; implicit-def: $sgpr30
	s_and_saveexec_b64 s[24:25], s[4:5]
	s_xor_b64 s[24:25], exec, s[24:25]
	s_cbranch_execnz .LBB267_385
; %bb.140:                              ;   in Loop: Header=BB267_12 Depth=1
	s_or_saveexec_b64 s[24:25], s[24:25]
	v_mov_b32_e32 v9, s30
	s_xor_b64 exec, exec, s[24:25]
	s_cbranch_execnz .LBB267_388
.LBB267_141:                            ;   in Loop: Header=BB267_12 Depth=1
	s_or_b64 exec, exec, s[24:25]
	s_and_saveexec_b64 s[24:25], s[22:23]
	s_cbranch_execz .LBB267_143
.LBB267_142:                            ;   in Loop: Header=BB267_12 Depth=1
	v_bfe_u32 v2, v36, 24, 3
	v_ffbh_u32_e32 v0, v2
	v_min_u32_e32 v7, 32, v0
	v_subrev_u32_e32 v0, 28, v7
	v_bfe_u32 v3, v36, 27, 4
	v_lshlrev_b64 v[0:1], v0, v[4:5]
	v_sub_u32_e32 v1, 29, v7
	v_cmp_eq_u32_e64 s[4:5], 0, v3
	v_and_b32_e32 v0, 7, v0
	s_nop 0
	v_cndmask_b32_e64 v1, v3, v1, s[4:5]
	v_mov_b32_e32 v3, 0x1c00
	v_cndmask_b32_e64 v0, v2, v0, s[4:5]
	v_lshlrev_b32_e32 v2, 8, v4
	v_lshl_add_u32 v1, v1, 10, v3
	v_and_or_b32 v1, v2, s29, v1
	v_lshl_or_b32 v0, v0, 7, v1
	v_cvt_f32_f16_e32 v9, v0
.LBB267_143:                            ;   in Loop: Header=BB267_12 Depth=1
	s_or_b64 exec, exec, s[24:25]
	flat_load_dword v36, v[34:35] offset:1544
	s_mov_b64 s[4:5], 0
                                        ; implicit-def: $sgpr26
	s_waitcnt vmcnt(0) lgkmcnt(0)
	v_cmp_gt_i16_sdwa s[22:23], v36, s19 src0_sel:BYTE_0 src1_sel:DWORD
	s_and_saveexec_b64 s[24:25], s[22:23]
	s_xor_b64 s[22:23], exec, s[24:25]
	s_cbranch_execnz .LBB267_389
; %bb.144:                              ;   in Loop: Header=BB267_12 Depth=1
	s_or_saveexec_b64 s[22:23], s[22:23]
	v_mov_b32_e32 v50, s26
	s_xor_b64 exec, exec, s[22:23]
	s_cbranch_execnz .LBB267_392
.LBB267_145:                            ;   in Loop: Header=BB267_12 Depth=1
	s_or_b64 exec, exec, s[22:23]
	s_and_saveexec_b64 s[22:23], s[4:5]
	s_cbranch_execz .LBB267_147
.LBB267_146:                            ;   in Loop: Header=BB267_12 Depth=1
	v_and_b32_e32 v2, 7, v36
	v_ffbh_u32_e32 v0, v2
	v_min_u32_e32 v4, 32, v0
	v_subrev_u32_e32 v0, 28, v4
	v_bfe_u32 v3, v36, 3, 4
	v_lshlrev_b64 v[0:1], v0, v[36:37]
	v_sub_u32_e32 v1, 29, v4
	v_cmp_eq_u32_e64 s[4:5], 0, v3
	v_and_b32_e32 v0, 7, v0
	s_nop 0
	v_cndmask_b32_e64 v1, v3, v1, s[4:5]
	v_mov_b32_e32 v3, 0x1c00
	v_cndmask_b32_e64 v0, v2, v0, s[4:5]
	v_lshlrev_b32_e32 v2, 8, v36
	v_lshl_add_u32 v1, v1, 10, v3
	v_and_or_b32 v1, v2, s29, v1
	v_lshl_or_b32 v0, v0, 7, v1
	v_cvt_f32_f16_e32 v50, v0
.LBB267_147:                            ;   in Loop: Header=BB267_12 Depth=1
	s_or_b64 exec, exec, s[22:23]
	v_lshrrev_b16_e32 v4, 8, v36
	v_cmp_lt_i16_e64 s[4:5], s19, v4
	s_mov_b64 s[22:23], 0
                                        ; implicit-def: $sgpr30
	s_and_saveexec_b64 s[24:25], s[4:5]
	s_xor_b64 s[24:25], exec, s[24:25]
	s_cbranch_execnz .LBB267_393
; %bb.148:                              ;   in Loop: Header=BB267_12 Depth=1
	s_or_saveexec_b64 s[24:25], s[24:25]
	v_mov_b32_e32 v38, s30
	s_xor_b64 exec, exec, s[24:25]
	s_cbranch_execnz .LBB267_396
.LBB267_149:                            ;   in Loop: Header=BB267_12 Depth=1
	s_or_b64 exec, exec, s[24:25]
	s_and_saveexec_b64 s[24:25], s[22:23]
	s_cbranch_execz .LBB267_151
.LBB267_150:                            ;   in Loop: Header=BB267_12 Depth=1
	v_and_b32_e32 v2, 7, v4
	v_ffbh_u32_e32 v0, v2
	v_min_u32_e32 v7, 32, v0
	v_subrev_u32_e32 v0, 28, v7
	v_bfe_u32 v3, v4, 3, 4
	v_lshlrev_b64 v[0:1], v0, v[4:5]
	v_sub_u32_e32 v1, 29, v7
	v_cmp_eq_u32_e64 s[4:5], 0, v3
	v_and_b32_e32 v0, 7, v0
	s_nop 0
	v_cndmask_b32_e64 v1, v3, v1, s[4:5]
	v_mov_b32_e32 v3, 0x1c00
	v_cndmask_b32_e64 v0, v2, v0, s[4:5]
	v_lshlrev_b32_e32 v2, 8, v4
	v_lshl_add_u32 v1, v1, 10, v3
	v_and_or_b32 v1, v2, s29, v1
	v_lshl_or_b32 v0, v0, 7, v1
	v_cvt_f32_f16_e32 v38, v0
.LBB267_151:                            ;   in Loop: Header=BB267_12 Depth=1
	s_or_b64 exec, exec, s[24:25]
	v_lshrrev_b32_e32 v4, 16, v36
	v_cmp_gt_i16_sdwa s[22:23], v4, s19 src0_sel:BYTE_0 src1_sel:DWORD
	s_mov_b64 s[4:5], 0
                                        ; implicit-def: $sgpr26
	s_and_saveexec_b64 s[24:25], s[22:23]
	s_xor_b64 s[22:23], exec, s[24:25]
	s_cbranch_execnz .LBB267_397
; %bb.152:                              ;   in Loop: Header=BB267_12 Depth=1
	s_or_saveexec_b64 s[22:23], s[22:23]
	v_mov_b32_e32 v18, s26
	s_xor_b64 exec, exec, s[22:23]
	s_cbranch_execnz .LBB267_400
.LBB267_153:                            ;   in Loop: Header=BB267_12 Depth=1
	s_or_b64 exec, exec, s[22:23]
	s_and_saveexec_b64 s[22:23], s[4:5]
	s_cbranch_execz .LBB267_155
.LBB267_154:                            ;   in Loop: Header=BB267_12 Depth=1
	v_bfe_u32 v2, v36, 16, 3
	v_ffbh_u32_e32 v0, v2
	v_min_u32_e32 v7, 32, v0
	v_subrev_u32_e32 v0, 28, v7
	v_bfe_u32 v3, v36, 19, 4
	v_lshlrev_b64 v[0:1], v0, v[4:5]
	v_sub_u32_e32 v1, 29, v7
	v_cmp_eq_u32_e64 s[4:5], 0, v3
	v_and_b32_e32 v0, 7, v0
	s_nop 0
	v_cndmask_b32_e64 v1, v3, v1, s[4:5]
	v_mov_b32_e32 v3, 0x1c00
	v_cndmask_b32_e64 v0, v2, v0, s[4:5]
	v_lshlrev_b32_e32 v2, 8, v4
	v_lshl_add_u32 v1, v1, 10, v3
	v_and_or_b32 v1, v2, s29, v1
	v_lshl_or_b32 v0, v0, 7, v1
	v_cvt_f32_f16_e32 v18, v0
.LBB267_155:                            ;   in Loop: Header=BB267_12 Depth=1
	s_or_b64 exec, exec, s[22:23]
	v_lshrrev_b32_e32 v4, 24, v36
	v_cmp_lt_i16_e64 s[4:5], s19, v4
	s_mov_b64 s[22:23], 0
                                        ; implicit-def: $sgpr30
	s_and_saveexec_b64 s[24:25], s[4:5]
	s_xor_b64 s[24:25], exec, s[24:25]
	s_cbranch_execnz .LBB267_401
; %bb.156:                              ;   in Loop: Header=BB267_12 Depth=1
	s_or_saveexec_b64 s[24:25], s[24:25]
	v_mov_b32_e32 v8, s30
	s_xor_b64 exec, exec, s[24:25]
	s_cbranch_execnz .LBB267_404
.LBB267_157:                            ;   in Loop: Header=BB267_12 Depth=1
	s_or_b64 exec, exec, s[24:25]
	s_and_saveexec_b64 s[24:25], s[22:23]
	s_cbranch_execz .LBB267_159
.LBB267_158:                            ;   in Loop: Header=BB267_12 Depth=1
	v_bfe_u32 v2, v36, 24, 3
	v_ffbh_u32_e32 v0, v2
	v_min_u32_e32 v7, 32, v0
	v_subrev_u32_e32 v0, 28, v7
	v_bfe_u32 v3, v36, 27, 4
	v_lshlrev_b64 v[0:1], v0, v[4:5]
	v_sub_u32_e32 v1, 29, v7
	v_cmp_eq_u32_e64 s[4:5], 0, v3
	v_and_b32_e32 v0, 7, v0
	s_nop 0
	v_cndmask_b32_e64 v1, v3, v1, s[4:5]
	v_mov_b32_e32 v3, 0x1c00
	v_cndmask_b32_e64 v0, v2, v0, s[4:5]
	v_lshlrev_b32_e32 v2, 8, v4
	v_lshl_add_u32 v1, v1, 10, v3
	v_and_or_b32 v1, v2, s29, v1
	v_lshl_or_b32 v0, v0, 7, v1
	v_cvt_f32_f16_e32 v8, v0
.LBB267_159:                            ;   in Loop: Header=BB267_12 Depth=1
	s_or_b64 exec, exec, s[24:25]
	flat_load_dword v36, v[34:35] offset:2048
	s_mov_b64 s[4:5], 0
                                        ; implicit-def: $sgpr26
	s_waitcnt vmcnt(0) lgkmcnt(0)
	v_cmp_gt_i16_sdwa s[22:23], v36, s19 src0_sel:BYTE_0 src1_sel:DWORD
	s_and_saveexec_b64 s[24:25], s[22:23]
	s_xor_b64 s[22:23], exec, s[24:25]
	s_cbranch_execnz .LBB267_405
; %bb.160:                              ;   in Loop: Header=BB267_12 Depth=1
	s_or_saveexec_b64 s[22:23], s[22:23]
	v_mov_b32_e32 v48, s26
	s_xor_b64 exec, exec, s[22:23]
	s_cbranch_execnz .LBB267_408
.LBB267_161:                            ;   in Loop: Header=BB267_12 Depth=1
	s_or_b64 exec, exec, s[22:23]
	s_and_saveexec_b64 s[22:23], s[4:5]
	s_cbranch_execz .LBB267_163
.LBB267_162:                            ;   in Loop: Header=BB267_12 Depth=1
	v_and_b32_e32 v2, 7, v36
	v_ffbh_u32_e32 v0, v2
	v_min_u32_e32 v4, 32, v0
	v_subrev_u32_e32 v0, 28, v4
	v_bfe_u32 v3, v36, 3, 4
	v_lshlrev_b64 v[0:1], v0, v[36:37]
	v_sub_u32_e32 v1, 29, v4
	v_cmp_eq_u32_e64 s[4:5], 0, v3
	v_and_b32_e32 v0, 7, v0
	s_nop 0
	v_cndmask_b32_e64 v1, v3, v1, s[4:5]
	v_mov_b32_e32 v3, 0x1c00
	v_cndmask_b32_e64 v0, v2, v0, s[4:5]
	v_lshlrev_b32_e32 v2, 8, v36
	v_lshl_add_u32 v1, v1, 10, v3
	v_and_or_b32 v1, v2, s29, v1
	v_lshl_or_b32 v0, v0, 7, v1
	v_cvt_f32_f16_e32 v48, v0
.LBB267_163:                            ;   in Loop: Header=BB267_12 Depth=1
	s_or_b64 exec, exec, s[22:23]
	v_lshrrev_b16_e32 v4, 8, v36
	v_cmp_lt_i16_e64 s[4:5], s19, v4
	s_mov_b64 s[22:23], 0
                                        ; implicit-def: $sgpr30
	s_and_saveexec_b64 s[24:25], s[4:5]
	s_xor_b64 s[24:25], exec, s[24:25]
	s_cbranch_execnz .LBB267_409
; %bb.164:                              ;   in Loop: Header=BB267_12 Depth=1
	s_or_saveexec_b64 s[24:25], s[24:25]
	v_mov_b32_e32 v28, s30
	s_xor_b64 exec, exec, s[24:25]
	s_cbranch_execnz .LBB267_412
.LBB267_165:                            ;   in Loop: Header=BB267_12 Depth=1
	s_or_b64 exec, exec, s[24:25]
	s_and_saveexec_b64 s[24:25], s[22:23]
	s_cbranch_execz .LBB267_167
.LBB267_166:                            ;   in Loop: Header=BB267_12 Depth=1
	v_and_b32_e32 v2, 7, v4
	v_ffbh_u32_e32 v0, v2
	v_min_u32_e32 v7, 32, v0
	v_subrev_u32_e32 v0, 28, v7
	v_bfe_u32 v3, v4, 3, 4
	v_lshlrev_b64 v[0:1], v0, v[4:5]
	v_sub_u32_e32 v1, 29, v7
	v_cmp_eq_u32_e64 s[4:5], 0, v3
	v_and_b32_e32 v0, 7, v0
	s_nop 0
	v_cndmask_b32_e64 v1, v3, v1, s[4:5]
	v_mov_b32_e32 v3, 0x1c00
	v_cndmask_b32_e64 v0, v2, v0, s[4:5]
	v_lshlrev_b32_e32 v2, 8, v4
	v_lshl_add_u32 v1, v1, 10, v3
	v_and_or_b32 v1, v2, s29, v1
	v_lshl_or_b32 v0, v0, 7, v1
	v_cvt_f32_f16_e32 v28, v0
.LBB267_167:                            ;   in Loop: Header=BB267_12 Depth=1
	s_or_b64 exec, exec, s[24:25]
	v_lshrrev_b32_e32 v4, 16, v36
	v_cmp_gt_i16_sdwa s[22:23], v4, s19 src0_sel:BYTE_0 src1_sel:DWORD
	s_mov_b64 s[4:5], 0
                                        ; implicit-def: $sgpr26
	s_and_saveexec_b64 s[24:25], s[22:23]
	s_xor_b64 s[22:23], exec, s[24:25]
	s_cbranch_execnz .LBB267_413
; %bb.168:                              ;   in Loop: Header=BB267_12 Depth=1
	s_or_saveexec_b64 s[22:23], s[22:23]
	v_mov_b32_e32 v29, s26
	s_xor_b64 exec, exec, s[22:23]
	s_cbranch_execnz .LBB267_416
.LBB267_169:                            ;   in Loop: Header=BB267_12 Depth=1
	s_or_b64 exec, exec, s[22:23]
	s_and_saveexec_b64 s[22:23], s[4:5]
	s_cbranch_execz .LBB267_171
.LBB267_170:                            ;   in Loop: Header=BB267_12 Depth=1
	v_bfe_u32 v2, v36, 16, 3
	v_ffbh_u32_e32 v0, v2
	v_min_u32_e32 v7, 32, v0
	v_subrev_u32_e32 v0, 28, v7
	v_bfe_u32 v3, v36, 19, 4
	v_lshlrev_b64 v[0:1], v0, v[4:5]
	v_sub_u32_e32 v1, 29, v7
	v_cmp_eq_u32_e64 s[4:5], 0, v3
	v_and_b32_e32 v0, 7, v0
	s_nop 0
	v_cndmask_b32_e64 v1, v3, v1, s[4:5]
	v_mov_b32_e32 v3, 0x1c00
	v_cndmask_b32_e64 v0, v2, v0, s[4:5]
	v_lshlrev_b32_e32 v2, 8, v4
	v_lshl_add_u32 v1, v1, 10, v3
	v_and_or_b32 v1, v2, s29, v1
	v_lshl_or_b32 v0, v0, 7, v1
	v_cvt_f32_f16_e32 v29, v0
.LBB267_171:                            ;   in Loop: Header=BB267_12 Depth=1
	s_or_b64 exec, exec, s[22:23]
	v_lshrrev_b32_e32 v4, 24, v36
	v_cmp_lt_i16_e64 s[4:5], s19, v4
	s_mov_b64 s[22:23], 0
                                        ; implicit-def: $sgpr30
	s_and_saveexec_b64 s[24:25], s[4:5]
	s_xor_b64 s[24:25], exec, s[24:25]
	s_cbranch_execnz .LBB267_417
; %bb.172:                              ;   in Loop: Header=BB267_12 Depth=1
	s_or_saveexec_b64 s[24:25], s[24:25]
	v_mov_b32_e32 v30, s30
	s_xor_b64 exec, exec, s[24:25]
	s_cbranch_execnz .LBB267_420
.LBB267_173:                            ;   in Loop: Header=BB267_12 Depth=1
	s_or_b64 exec, exec, s[24:25]
	s_and_saveexec_b64 s[24:25], s[22:23]
	s_cbranch_execz .LBB267_175
.LBB267_174:                            ;   in Loop: Header=BB267_12 Depth=1
	v_bfe_u32 v2, v36, 24, 3
	v_ffbh_u32_e32 v0, v2
	v_min_u32_e32 v7, 32, v0
	v_subrev_u32_e32 v0, 28, v7
	v_bfe_u32 v3, v36, 27, 4
	v_lshlrev_b64 v[0:1], v0, v[4:5]
	v_sub_u32_e32 v1, 29, v7
	v_cmp_eq_u32_e64 s[4:5], 0, v3
	v_and_b32_e32 v0, 7, v0
	s_nop 0
	v_cndmask_b32_e64 v1, v3, v1, s[4:5]
	v_mov_b32_e32 v3, 0x1c00
	v_cndmask_b32_e64 v0, v2, v0, s[4:5]
	v_lshlrev_b32_e32 v2, 8, v4
	v_lshl_add_u32 v1, v1, 10, v3
	v_and_or_b32 v1, v2, s29, v1
	v_lshl_or_b32 v0, v0, 7, v1
	v_cvt_f32_f16_e32 v30, v0
.LBB267_175:                            ;   in Loop: Header=BB267_12 Depth=1
	s_or_b64 exec, exec, s[24:25]
	flat_load_dword v36, v[34:35] offset:2056
	s_mov_b64 s[4:5], 0
                                        ; implicit-def: $sgpr26
	s_waitcnt vmcnt(0) lgkmcnt(0)
	v_cmp_gt_i16_sdwa s[22:23], v36, s19 src0_sel:BYTE_0 src1_sel:DWORD
	s_and_saveexec_b64 s[24:25], s[22:23]
	s_xor_b64 s[22:23], exec, s[24:25]
	s_cbranch_execnz .LBB267_421
; %bb.176:                              ;   in Loop: Header=BB267_12 Depth=1
	s_or_saveexec_b64 s[22:23], s[22:23]
	v_mov_b32_e32 v31, s26
	s_xor_b64 exec, exec, s[22:23]
	s_cbranch_execnz .LBB267_424
.LBB267_177:                            ;   in Loop: Header=BB267_12 Depth=1
	s_or_b64 exec, exec, s[22:23]
	s_and_saveexec_b64 s[22:23], s[4:5]
	s_cbranch_execz .LBB267_179
.LBB267_178:                            ;   in Loop: Header=BB267_12 Depth=1
	v_and_b32_e32 v2, 7, v36
	v_ffbh_u32_e32 v0, v2
	v_min_u32_e32 v4, 32, v0
	v_subrev_u32_e32 v0, 28, v4
	v_bfe_u32 v3, v36, 3, 4
	v_lshlrev_b64 v[0:1], v0, v[36:37]
	v_sub_u32_e32 v1, 29, v4
	v_cmp_eq_u32_e64 s[4:5], 0, v3
	v_and_b32_e32 v0, 7, v0
	s_nop 0
	v_cndmask_b32_e64 v1, v3, v1, s[4:5]
	v_mov_b32_e32 v3, 0x1c00
	v_cndmask_b32_e64 v0, v2, v0, s[4:5]
	v_lshlrev_b32_e32 v2, 8, v36
	v_lshl_add_u32 v1, v1, 10, v3
	v_and_or_b32 v1, v2, s29, v1
	v_lshl_or_b32 v0, v0, 7, v1
	v_cvt_f32_f16_e32 v31, v0
.LBB267_179:                            ;   in Loop: Header=BB267_12 Depth=1
	s_or_b64 exec, exec, s[22:23]
	v_lshrrev_b16_e32 v4, 8, v36
	v_cmp_lt_i16_e64 s[4:5], s19, v4
	s_mov_b64 s[22:23], 0
                                        ; implicit-def: $sgpr30
	s_and_saveexec_b64 s[24:25], s[4:5]
	s_xor_b64 s[24:25], exec, s[24:25]
	s_cbranch_execnz .LBB267_425
; %bb.180:                              ;   in Loop: Header=BB267_12 Depth=1
	s_or_saveexec_b64 s[24:25], s[24:25]
	v_mov_b32_e32 v45, s30
	s_xor_b64 exec, exec, s[24:25]
	s_cbranch_execnz .LBB267_428
.LBB267_181:                            ;   in Loop: Header=BB267_12 Depth=1
	s_or_b64 exec, exec, s[24:25]
	s_and_saveexec_b64 s[24:25], s[22:23]
	s_cbranch_execz .LBB267_183
.LBB267_182:                            ;   in Loop: Header=BB267_12 Depth=1
	v_and_b32_e32 v2, 7, v4
	v_ffbh_u32_e32 v0, v2
	v_min_u32_e32 v7, 32, v0
	v_subrev_u32_e32 v0, 28, v7
	v_bfe_u32 v3, v4, 3, 4
	v_lshlrev_b64 v[0:1], v0, v[4:5]
	v_sub_u32_e32 v1, 29, v7
	v_cmp_eq_u32_e64 s[4:5], 0, v3
	v_and_b32_e32 v0, 7, v0
	s_nop 0
	v_cndmask_b32_e64 v1, v3, v1, s[4:5]
	v_mov_b32_e32 v3, 0x1c00
	v_cndmask_b32_e64 v0, v2, v0, s[4:5]
	v_lshlrev_b32_e32 v2, 8, v4
	v_lshl_add_u32 v1, v1, 10, v3
	v_and_or_b32 v1, v2, s29, v1
	v_lshl_or_b32 v0, v0, 7, v1
	v_cvt_f32_f16_e32 v45, v0
.LBB267_183:                            ;   in Loop: Header=BB267_12 Depth=1
	s_or_b64 exec, exec, s[24:25]
	v_lshrrev_b32_e32 v4, 16, v36
	v_cmp_gt_i16_sdwa s[22:23], v4, s19 src0_sel:BYTE_0 src1_sel:DWORD
	s_mov_b64 s[4:5], 0
                                        ; implicit-def: $sgpr26
	s_and_saveexec_b64 s[24:25], s[22:23]
	s_xor_b64 s[22:23], exec, s[24:25]
	s_cbranch_execnz .LBB267_429
; %bb.184:                              ;   in Loop: Header=BB267_12 Depth=1
	s_or_saveexec_b64 s[22:23], s[22:23]
	v_mov_b32_e32 v21, s26
	s_xor_b64 exec, exec, s[22:23]
	s_cbranch_execnz .LBB267_432
.LBB267_185:                            ;   in Loop: Header=BB267_12 Depth=1
	s_or_b64 exec, exec, s[22:23]
	s_and_saveexec_b64 s[22:23], s[4:5]
	s_cbranch_execz .LBB267_187
.LBB267_186:                            ;   in Loop: Header=BB267_12 Depth=1
	v_bfe_u32 v2, v36, 16, 3
	v_ffbh_u32_e32 v0, v2
	v_min_u32_e32 v7, 32, v0
	v_subrev_u32_e32 v0, 28, v7
	v_bfe_u32 v3, v36, 19, 4
	v_lshlrev_b64 v[0:1], v0, v[4:5]
	v_sub_u32_e32 v1, 29, v7
	v_cmp_eq_u32_e64 s[4:5], 0, v3
	v_and_b32_e32 v0, 7, v0
	s_nop 0
	v_cndmask_b32_e64 v1, v3, v1, s[4:5]
	v_mov_b32_e32 v3, 0x1c00
	v_cndmask_b32_e64 v0, v2, v0, s[4:5]
	v_lshlrev_b32_e32 v2, 8, v4
	v_lshl_add_u32 v1, v1, 10, v3
	v_and_or_b32 v1, v2, s29, v1
	v_lshl_or_b32 v0, v0, 7, v1
	v_cvt_f32_f16_e32 v21, v0
.LBB267_187:                            ;   in Loop: Header=BB267_12 Depth=1
	s_or_b64 exec, exec, s[22:23]
	v_lshrrev_b32_e32 v4, 24, v36
	v_cmp_lt_i16_e64 s[4:5], s19, v4
	s_mov_b64 s[22:23], 0
                                        ; implicit-def: $sgpr30
	s_and_saveexec_b64 s[24:25], s[4:5]
	s_xor_b64 s[24:25], exec, s[24:25]
	s_cbranch_execnz .LBB267_433
; %bb.188:                              ;   in Loop: Header=BB267_12 Depth=1
	s_or_saveexec_b64 s[24:25], s[24:25]
	v_mov_b32_e32 v20, s30
	s_xor_b64 exec, exec, s[24:25]
	s_cbranch_execnz .LBB267_436
.LBB267_189:                            ;   in Loop: Header=BB267_12 Depth=1
	s_or_b64 exec, exec, s[24:25]
	s_and_saveexec_b64 s[24:25], s[22:23]
	s_cbranch_execz .LBB267_191
.LBB267_190:                            ;   in Loop: Header=BB267_12 Depth=1
	v_bfe_u32 v2, v36, 24, 3
	v_ffbh_u32_e32 v0, v2
	v_min_u32_e32 v7, 32, v0
	v_subrev_u32_e32 v0, 28, v7
	v_bfe_u32 v3, v36, 27, 4
	v_lshlrev_b64 v[0:1], v0, v[4:5]
	v_sub_u32_e32 v1, 29, v7
	v_cmp_eq_u32_e64 s[4:5], 0, v3
	v_and_b32_e32 v0, 7, v0
	s_nop 0
	v_cndmask_b32_e64 v1, v3, v1, s[4:5]
	v_mov_b32_e32 v3, 0x1c00
	v_cndmask_b32_e64 v0, v2, v0, s[4:5]
	v_lshlrev_b32_e32 v2, 8, v4
	v_lshl_add_u32 v1, v1, 10, v3
	v_and_or_b32 v1, v2, s29, v1
	v_lshl_or_b32 v0, v0, 7, v1
	v_cvt_f32_f16_e32 v20, v0
.LBB267_191:                            ;   in Loop: Header=BB267_12 Depth=1
	s_or_b64 exec, exec, s[24:25]
	flat_load_dword v36, v[34:35] offset:2560
	s_mov_b64 s[4:5], 0
                                        ; implicit-def: $sgpr26
	s_waitcnt vmcnt(0) lgkmcnt(0)
	v_cmp_gt_i16_sdwa s[22:23], v36, s19 src0_sel:BYTE_0 src1_sel:DWORD
	s_and_saveexec_b64 s[24:25], s[22:23]
	s_xor_b64 s[22:23], exec, s[24:25]
	s_cbranch_execnz .LBB267_437
; %bb.192:                              ;   in Loop: Header=BB267_12 Depth=1
	s_or_saveexec_b64 s[22:23], s[22:23]
	v_mov_b32_e32 v55, s26
	s_xor_b64 exec, exec, s[22:23]
	s_cbranch_execnz .LBB267_440
.LBB267_193:                            ;   in Loop: Header=BB267_12 Depth=1
	s_or_b64 exec, exec, s[22:23]
	s_and_saveexec_b64 s[22:23], s[4:5]
	s_cbranch_execz .LBB267_195
.LBB267_194:                            ;   in Loop: Header=BB267_12 Depth=1
	v_and_b32_e32 v2, 7, v36
	v_ffbh_u32_e32 v0, v2
	v_min_u32_e32 v4, 32, v0
	v_subrev_u32_e32 v0, 28, v4
	v_bfe_u32 v3, v36, 3, 4
	v_lshlrev_b64 v[0:1], v0, v[36:37]
	v_sub_u32_e32 v1, 29, v4
	v_cmp_eq_u32_e64 s[4:5], 0, v3
	v_and_b32_e32 v0, 7, v0
	s_nop 0
	v_cndmask_b32_e64 v1, v3, v1, s[4:5]
	v_mov_b32_e32 v3, 0x1c00
	v_cndmask_b32_e64 v0, v2, v0, s[4:5]
	v_lshlrev_b32_e32 v2, 8, v36
	v_lshl_add_u32 v1, v1, 10, v3
	v_and_or_b32 v1, v2, s29, v1
	v_lshl_or_b32 v0, v0, 7, v1
	v_cvt_f32_f16_e32 v55, v0
.LBB267_195:                            ;   in Loop: Header=BB267_12 Depth=1
	s_or_b64 exec, exec, s[22:23]
	v_lshrrev_b16_e32 v4, 8, v36
	v_cmp_lt_i16_e64 s[4:5], s19, v4
	s_mov_b64 s[22:23], 0
                                        ; implicit-def: $sgpr30
	s_and_saveexec_b64 s[24:25], s[4:5]
	s_xor_b64 s[24:25], exec, s[24:25]
	s_cbranch_execnz .LBB267_441
; %bb.196:                              ;   in Loop: Header=BB267_12 Depth=1
	s_or_saveexec_b64 s[24:25], s[24:25]
	v_mov_b32_e32 v2, s30
	s_xor_b64 exec, exec, s[24:25]
	s_cbranch_execnz .LBB267_444
.LBB267_197:                            ;   in Loop: Header=BB267_12 Depth=1
	s_or_b64 exec, exec, s[24:25]
	s_and_saveexec_b64 s[24:25], s[22:23]
	s_cbranch_execz .LBB267_199
.LBB267_198:                            ;   in Loop: Header=BB267_12 Depth=1
	v_and_b32_e32 v2, 7, v4
	v_ffbh_u32_e32 v0, v2
	v_min_u32_e32 v7, 32, v0
	v_subrev_u32_e32 v0, 28, v7
	v_bfe_u32 v3, v4, 3, 4
	v_lshlrev_b64 v[0:1], v0, v[4:5]
	v_sub_u32_e32 v1, 29, v7
	v_cmp_eq_u32_e64 s[4:5], 0, v3
	v_and_b32_e32 v0, 7, v0
	s_nop 0
	v_cndmask_b32_e64 v1, v3, v1, s[4:5]
	v_mov_b32_e32 v3, 0x1c00
	v_cndmask_b32_e64 v0, v2, v0, s[4:5]
	v_lshlrev_b32_e32 v2, 8, v4
	v_lshl_add_u32 v1, v1, 10, v3
	v_and_or_b32 v1, v2, s29, v1
	v_lshl_or_b32 v0, v0, 7, v1
	v_cvt_f32_f16_e32 v2, v0
.LBB267_199:                            ;   in Loop: Header=BB267_12 Depth=1
	s_or_b64 exec, exec, s[24:25]
	v_lshrrev_b32_e32 v4, 16, v36
	v_cmp_gt_i16_sdwa s[22:23], v4, s19 src0_sel:BYTE_0 src1_sel:DWORD
	s_mov_b64 s[4:5], 0
                                        ; implicit-def: $sgpr26
	s_and_saveexec_b64 s[24:25], s[22:23]
	s_xor_b64 s[22:23], exec, s[24:25]
	s_cbranch_execnz .LBB267_445
; %bb.200:                              ;   in Loop: Header=BB267_12 Depth=1
	s_or_saveexec_b64 s[22:23], s[22:23]
	v_mov_b32_e32 v39, s26
	s_xor_b64 exec, exec, s[22:23]
	s_cbranch_execnz .LBB267_448
.LBB267_201:                            ;   in Loop: Header=BB267_12 Depth=1
	s_or_b64 exec, exec, s[22:23]
	s_and_saveexec_b64 s[22:23], s[4:5]
	s_cbranch_execz .LBB267_203
.LBB267_202:                            ;   in Loop: Header=BB267_12 Depth=1
	v_bfe_u32 v3, v36, 16, 3
	v_ffbh_u32_e32 v0, v3
	v_min_u32_e32 v10, 32, v0
	v_subrev_u32_e32 v0, 28, v10
	v_bfe_u32 v7, v36, 19, 4
	v_lshlrev_b64 v[0:1], v0, v[4:5]
	v_sub_u32_e32 v1, 29, v10
	v_and_b32_e32 v0, 7, v0
	v_cmp_eq_u32_e64 s[4:5], 0, v7
	s_nop 1
	v_cndmask_b32_e64 v1, v7, v1, s[4:5]
	v_cndmask_b32_e64 v0, v3, v0, s[4:5]
	v_lshlrev_b32_e32 v3, 8, v4
	v_mov_b32_e32 v4, 0x1c00
	v_lshl_add_u32 v1, v1, 10, v4
	v_and_or_b32 v1, v3, s29, v1
	v_lshl_or_b32 v0, v0, 7, v1
	v_cvt_f32_f16_e32 v39, v0
.LBB267_203:                            ;   in Loop: Header=BB267_12 Depth=1
	s_or_b64 exec, exec, s[22:23]
	v_lshrrev_b32_e32 v4, 24, v36
	v_cmp_lt_i16_e64 s[4:5], s19, v4
	s_mov_b64 s[22:23], 0
                                        ; implicit-def: $sgpr30
	s_and_saveexec_b64 s[24:25], s[4:5]
	s_xor_b64 s[24:25], exec, s[24:25]
	s_cbranch_execnz .LBB267_449
; %bb.204:                              ;   in Loop: Header=BB267_12 Depth=1
	s_or_saveexec_b64 s[24:25], s[24:25]
	v_mov_b32_e32 v56, s30
	s_xor_b64 exec, exec, s[24:25]
	s_cbranch_execnz .LBB267_452
.LBB267_205:                            ;   in Loop: Header=BB267_12 Depth=1
	s_or_b64 exec, exec, s[24:25]
	s_and_saveexec_b64 s[24:25], s[22:23]
	s_cbranch_execz .LBB267_207
.LBB267_206:                            ;   in Loop: Header=BB267_12 Depth=1
	v_bfe_u32 v3, v36, 24, 3
	v_ffbh_u32_e32 v0, v3
	v_min_u32_e32 v10, 32, v0
	v_subrev_u32_e32 v0, 28, v10
	v_bfe_u32 v7, v36, 27, 4
	v_lshlrev_b64 v[0:1], v0, v[4:5]
	v_sub_u32_e32 v1, 29, v10
	v_and_b32_e32 v0, 7, v0
	v_cmp_eq_u32_e64 s[4:5], 0, v7
	s_nop 1
	v_cndmask_b32_e64 v1, v7, v1, s[4:5]
	v_cndmask_b32_e64 v0, v3, v0, s[4:5]
	v_lshlrev_b32_e32 v3, 8, v4
	v_mov_b32_e32 v4, 0x1c00
	v_lshl_add_u32 v1, v1, 10, v4
	v_and_or_b32 v1, v3, s29, v1
	v_lshl_or_b32 v0, v0, 7, v1
	v_cvt_f32_f16_e32 v56, v0
.LBB267_207:                            ;   in Loop: Header=BB267_12 Depth=1
	s_or_b64 exec, exec, s[24:25]
	flat_load_dword v36, v[34:35] offset:2568
	s_mov_b64 s[4:5], 0
                                        ; implicit-def: $sgpr26
	s_waitcnt vmcnt(0) lgkmcnt(0)
	v_cmp_gt_i16_sdwa s[22:23], v36, s19 src0_sel:BYTE_0 src1_sel:DWORD
	s_and_saveexec_b64 s[24:25], s[22:23]
	s_xor_b64 s[22:23], exec, s[24:25]
	s_cbranch_execnz .LBB267_453
; %bb.208:                              ;   in Loop: Header=BB267_12 Depth=1
	s_or_saveexec_b64 s[22:23], s[22:23]
	v_mov_b32_e32 v57, s26
	s_xor_b64 exec, exec, s[22:23]
	s_cbranch_execnz .LBB267_456
.LBB267_209:                            ;   in Loop: Header=BB267_12 Depth=1
	s_or_b64 exec, exec, s[22:23]
	s_and_saveexec_b64 s[22:23], s[4:5]
	s_cbranch_execz .LBB267_211
.LBB267_210:                            ;   in Loop: Header=BB267_12 Depth=1
	v_and_b32_e32 v3, 7, v36
	v_ffbh_u32_e32 v0, v3
	v_min_u32_e32 v7, 32, v0
	v_subrev_u32_e32 v0, 28, v7
	v_bfe_u32 v4, v36, 3, 4
	v_lshlrev_b64 v[0:1], v0, v[36:37]
	v_sub_u32_e32 v1, 29, v7
	v_cmp_eq_u32_e64 s[4:5], 0, v4
	v_and_b32_e32 v0, 7, v0
	s_nop 0
	v_cndmask_b32_e64 v1, v4, v1, s[4:5]
	v_mov_b32_e32 v4, 0x1c00
	v_cndmask_b32_e64 v0, v3, v0, s[4:5]
	v_lshlrev_b32_e32 v3, 8, v36
	v_lshl_add_u32 v1, v1, 10, v4
	v_and_or_b32 v1, v3, s29, v1
	v_lshl_or_b32 v0, v0, 7, v1
	v_cvt_f32_f16_e32 v57, v0
.LBB267_211:                            ;   in Loop: Header=BB267_12 Depth=1
	s_or_b64 exec, exec, s[22:23]
	v_lshrrev_b16_e32 v4, 8, v36
	v_cmp_lt_i16_e64 s[4:5], s19, v4
	s_mov_b64 s[22:23], 0
                                        ; implicit-def: $sgpr30
	s_and_saveexec_b64 s[24:25], s[4:5]
	s_xor_b64 s[24:25], exec, s[24:25]
	s_cbranch_execnz .LBB267_457
; %bb.212:                              ;   in Loop: Header=BB267_12 Depth=1
	s_or_saveexec_b64 s[24:25], s[24:25]
	v_mov_b32_e32 v58, s30
	s_xor_b64 exec, exec, s[24:25]
	s_cbranch_execnz .LBB267_460
.LBB267_213:                            ;   in Loop: Header=BB267_12 Depth=1
	s_or_b64 exec, exec, s[24:25]
	s_and_saveexec_b64 s[24:25], s[22:23]
	s_cbranch_execz .LBB267_215
.LBB267_214:                            ;   in Loop: Header=BB267_12 Depth=1
	v_and_b32_e32 v3, 7, v4
	v_ffbh_u32_e32 v0, v3
	v_min_u32_e32 v10, 32, v0
	v_subrev_u32_e32 v0, 28, v10
	v_bfe_u32 v7, v4, 3, 4
	v_lshlrev_b64 v[0:1], v0, v[4:5]
	v_sub_u32_e32 v1, 29, v10
	v_and_b32_e32 v0, 7, v0
	v_cmp_eq_u32_e64 s[4:5], 0, v7
	s_nop 1
	v_cndmask_b32_e64 v1, v7, v1, s[4:5]
	v_cndmask_b32_e64 v0, v3, v0, s[4:5]
	v_lshlrev_b32_e32 v3, 8, v4
	v_mov_b32_e32 v4, 0x1c00
	v_lshl_add_u32 v1, v1, 10, v4
	v_and_or_b32 v1, v3, s29, v1
	v_lshl_or_b32 v0, v0, 7, v1
	v_cvt_f32_f16_e32 v58, v0
.LBB267_215:                            ;   in Loop: Header=BB267_12 Depth=1
	s_or_b64 exec, exec, s[24:25]
	v_lshrrev_b32_e32 v4, 16, v36
	v_cmp_gt_i16_sdwa s[22:23], v4, s19 src0_sel:BYTE_0 src1_sel:DWORD
	s_mov_b64 s[4:5], 0
                                        ; implicit-def: $sgpr26
	s_and_saveexec_b64 s[24:25], s[22:23]
	s_xor_b64 s[22:23], exec, s[24:25]
	s_cbranch_execnz .LBB267_461
; %bb.216:                              ;   in Loop: Header=BB267_12 Depth=1
	s_or_saveexec_b64 s[22:23], s[22:23]
	v_mov_b32_e32 v59, s26
	s_xor_b64 exec, exec, s[22:23]
	s_cbranch_execnz .LBB267_464
.LBB267_217:                            ;   in Loop: Header=BB267_12 Depth=1
	s_or_b64 exec, exec, s[22:23]
	s_and_saveexec_b64 s[22:23], s[4:5]
	s_cbranch_execz .LBB267_219
.LBB267_218:                            ;   in Loop: Header=BB267_12 Depth=1
	v_bfe_u32 v3, v36, 16, 3
	v_ffbh_u32_e32 v0, v3
	v_min_u32_e32 v10, 32, v0
	v_subrev_u32_e32 v0, 28, v10
	v_bfe_u32 v7, v36, 19, 4
	v_lshlrev_b64 v[0:1], v0, v[4:5]
	v_sub_u32_e32 v1, 29, v10
	v_and_b32_e32 v0, 7, v0
	v_cmp_eq_u32_e64 s[4:5], 0, v7
	s_nop 1
	v_cndmask_b32_e64 v1, v7, v1, s[4:5]
	v_cndmask_b32_e64 v0, v3, v0, s[4:5]
	v_lshlrev_b32_e32 v3, 8, v4
	v_mov_b32_e32 v4, 0x1c00
	v_lshl_add_u32 v1, v1, 10, v4
	v_and_or_b32 v1, v3, s29, v1
	v_lshl_or_b32 v0, v0, 7, v1
	v_cvt_f32_f16_e32 v59, v0
.LBB267_219:                            ;   in Loop: Header=BB267_12 Depth=1
	s_or_b64 exec, exec, s[22:23]
	v_lshrrev_b32_e32 v4, 24, v36
	v_cmp_lt_i16_e64 s[4:5], s19, v4
	s_mov_b64 s[22:23], 0
                                        ; implicit-def: $sgpr30
	s_and_saveexec_b64 s[24:25], s[4:5]
	s_xor_b64 s[24:25], exec, s[24:25]
	s_cbranch_execnz .LBB267_465
; %bb.220:                              ;   in Loop: Header=BB267_12 Depth=1
	s_or_saveexec_b64 s[24:25], s[24:25]
	v_mov_b32_e32 v60, s30
	s_xor_b64 exec, exec, s[24:25]
	s_cbranch_execnz .LBB267_468
.LBB267_221:                            ;   in Loop: Header=BB267_12 Depth=1
	s_or_b64 exec, exec, s[24:25]
	s_and_saveexec_b64 s[24:25], s[22:23]
	s_cbranch_execz .LBB267_223
.LBB267_222:                            ;   in Loop: Header=BB267_12 Depth=1
	v_bfe_u32 v3, v36, 24, 3
	v_ffbh_u32_e32 v0, v3
	v_min_u32_e32 v10, 32, v0
	v_subrev_u32_e32 v0, 28, v10
	v_bfe_u32 v7, v36, 27, 4
	v_lshlrev_b64 v[0:1], v0, v[4:5]
	v_sub_u32_e32 v1, 29, v10
	v_and_b32_e32 v0, 7, v0
	v_cmp_eq_u32_e64 s[4:5], 0, v7
	s_nop 1
	v_cndmask_b32_e64 v1, v7, v1, s[4:5]
	v_cndmask_b32_e64 v0, v3, v0, s[4:5]
	v_lshlrev_b32_e32 v3, 8, v4
	v_mov_b32_e32 v4, 0x1c00
	v_lshl_add_u32 v1, v1, 10, v4
	v_and_or_b32 v1, v3, s29, v1
	v_lshl_or_b32 v0, v0, 7, v1
	v_cvt_f32_f16_e32 v60, v0
.LBB267_223:                            ;   in Loop: Header=BB267_12 Depth=1
	s_or_b64 exec, exec, s[24:25]
	flat_load_dword v36, v[34:35] offset:3072
	s_mov_b64 s[4:5], 0
                                        ; implicit-def: $sgpr26
	s_waitcnt vmcnt(0) lgkmcnt(0)
	v_cmp_gt_i16_sdwa s[22:23], v36, s19 src0_sel:BYTE_0 src1_sel:DWORD
	s_and_saveexec_b64 s[24:25], s[22:23]
	s_xor_b64 s[22:23], exec, s[24:25]
	s_cbranch_execnz .LBB267_469
; %bb.224:                              ;   in Loop: Header=BB267_12 Depth=1
	s_or_saveexec_b64 s[22:23], s[22:23]
	v_mov_b32_e32 v61, s26
	s_xor_b64 exec, exec, s[22:23]
	s_cbranch_execnz .LBB267_472
.LBB267_225:                            ;   in Loop: Header=BB267_12 Depth=1
	s_or_b64 exec, exec, s[22:23]
	s_and_saveexec_b64 s[22:23], s[4:5]
	s_cbranch_execz .LBB267_227
.LBB267_226:                            ;   in Loop: Header=BB267_12 Depth=1
	v_and_b32_e32 v3, 7, v36
	v_ffbh_u32_e32 v0, v3
	v_min_u32_e32 v7, 32, v0
	v_subrev_u32_e32 v0, 28, v7
	v_bfe_u32 v4, v36, 3, 4
	v_lshlrev_b64 v[0:1], v0, v[36:37]
	v_sub_u32_e32 v1, 29, v7
	v_cmp_eq_u32_e64 s[4:5], 0, v4
	v_and_b32_e32 v0, 7, v0
	s_nop 0
	v_cndmask_b32_e64 v1, v4, v1, s[4:5]
	v_mov_b32_e32 v4, 0x1c00
	v_cndmask_b32_e64 v0, v3, v0, s[4:5]
	v_lshlrev_b32_e32 v3, 8, v36
	v_lshl_add_u32 v1, v1, 10, v4
	v_and_or_b32 v1, v3, s29, v1
	v_lshl_or_b32 v0, v0, 7, v1
	v_cvt_f32_f16_e32 v61, v0
.LBB267_227:                            ;   in Loop: Header=BB267_12 Depth=1
	s_or_b64 exec, exec, s[22:23]
	v_lshrrev_b16_e32 v4, 8, v36
	v_cmp_lt_i16_e64 s[4:5], s19, v4
	s_mov_b64 s[22:23], 0
                                        ; implicit-def: $sgpr30
	s_and_saveexec_b64 s[24:25], s[4:5]
	s_xor_b64 s[24:25], exec, s[24:25]
	s_cbranch_execnz .LBB267_473
; %bb.228:                              ;   in Loop: Header=BB267_12 Depth=1
	s_or_saveexec_b64 s[24:25], s[24:25]
	v_mov_b32_e32 v62, s30
	s_xor_b64 exec, exec, s[24:25]
	s_cbranch_execnz .LBB267_476
.LBB267_229:                            ;   in Loop: Header=BB267_12 Depth=1
	s_or_b64 exec, exec, s[24:25]
	s_and_saveexec_b64 s[24:25], s[22:23]
	s_cbranch_execz .LBB267_231
.LBB267_230:                            ;   in Loop: Header=BB267_12 Depth=1
	v_and_b32_e32 v3, 7, v4
	v_ffbh_u32_e32 v0, v3
	v_min_u32_e32 v10, 32, v0
	v_subrev_u32_e32 v0, 28, v10
	v_bfe_u32 v7, v4, 3, 4
	v_lshlrev_b64 v[0:1], v0, v[4:5]
	v_sub_u32_e32 v1, 29, v10
	v_and_b32_e32 v0, 7, v0
	v_cmp_eq_u32_e64 s[4:5], 0, v7
	s_nop 1
	v_cndmask_b32_e64 v1, v7, v1, s[4:5]
	v_cndmask_b32_e64 v0, v3, v0, s[4:5]
	v_lshlrev_b32_e32 v3, 8, v4
	v_mov_b32_e32 v4, 0x1c00
	v_lshl_add_u32 v1, v1, 10, v4
	v_and_or_b32 v1, v3, s29, v1
	v_lshl_or_b32 v0, v0, 7, v1
	v_cvt_f32_f16_e32 v62, v0
.LBB267_231:                            ;   in Loop: Header=BB267_12 Depth=1
	s_or_b64 exec, exec, s[24:25]
	v_lshrrev_b32_e32 v4, 16, v36
	v_cmp_gt_i16_sdwa s[22:23], v4, s19 src0_sel:BYTE_0 src1_sel:DWORD
	s_mov_b64 s[4:5], 0
                                        ; implicit-def: $sgpr26
	s_and_saveexec_b64 s[24:25], s[22:23]
	s_xor_b64 s[22:23], exec, s[24:25]
	s_cbranch_execnz .LBB267_477
; %bb.232:                              ;   in Loop: Header=BB267_12 Depth=1
	s_or_saveexec_b64 s[22:23], s[22:23]
	v_mov_b32_e32 v17, s26
	s_xor_b64 exec, exec, s[22:23]
	s_cbranch_execnz .LBB267_480
.LBB267_233:                            ;   in Loop: Header=BB267_12 Depth=1
	s_or_b64 exec, exec, s[22:23]
	s_and_saveexec_b64 s[22:23], s[4:5]
	s_cbranch_execz .LBB267_235
.LBB267_234:                            ;   in Loop: Header=BB267_12 Depth=1
	v_bfe_u32 v3, v36, 16, 3
	v_ffbh_u32_e32 v0, v3
	v_min_u32_e32 v10, 32, v0
	v_subrev_u32_e32 v0, 28, v10
	v_bfe_u32 v7, v36, 19, 4
	v_lshlrev_b64 v[0:1], v0, v[4:5]
	v_sub_u32_e32 v1, 29, v10
	v_and_b32_e32 v0, 7, v0
	v_cmp_eq_u32_e64 s[4:5], 0, v7
	s_nop 1
	v_cndmask_b32_e64 v1, v7, v1, s[4:5]
	v_cndmask_b32_e64 v0, v3, v0, s[4:5]
	v_lshlrev_b32_e32 v3, 8, v4
	v_mov_b32_e32 v4, 0x1c00
	v_lshl_add_u32 v1, v1, 10, v4
	v_and_or_b32 v1, v3, s29, v1
	v_lshl_or_b32 v0, v0, 7, v1
	v_cvt_f32_f16_e32 v17, v0
.LBB267_235:                            ;   in Loop: Header=BB267_12 Depth=1
	s_or_b64 exec, exec, s[22:23]
	v_lshrrev_b32_e32 v4, 24, v36
	v_cmp_lt_i16_e64 s[4:5], s19, v4
	s_mov_b64 s[22:23], 0
                                        ; implicit-def: $sgpr30
	s_and_saveexec_b64 s[24:25], s[4:5]
	s_xor_b64 s[24:25], exec, s[24:25]
	s_cbranch_execnz .LBB267_481
; %bb.236:                              ;   in Loop: Header=BB267_12 Depth=1
	s_or_saveexec_b64 s[24:25], s[24:25]
	v_mov_b32_e32 v3, s30
	s_xor_b64 exec, exec, s[24:25]
	s_cbranch_execnz .LBB267_484
.LBB267_237:                            ;   in Loop: Header=BB267_12 Depth=1
	s_or_b64 exec, exec, s[24:25]
	s_and_saveexec_b64 s[24:25], s[22:23]
	s_cbranch_execz .LBB267_239
.LBB267_238:                            ;   in Loop: Header=BB267_12 Depth=1
	v_bfe_u32 v3, v36, 24, 3
	v_ffbh_u32_e32 v0, v3
	v_min_u32_e32 v10, 32, v0
	v_subrev_u32_e32 v0, 28, v10
	v_bfe_u32 v7, v36, 27, 4
	v_lshlrev_b64 v[0:1], v0, v[4:5]
	v_sub_u32_e32 v1, 29, v10
	v_and_b32_e32 v0, 7, v0
	v_cmp_eq_u32_e64 s[4:5], 0, v7
	s_nop 1
	v_cndmask_b32_e64 v1, v7, v1, s[4:5]
	v_cndmask_b32_e64 v0, v3, v0, s[4:5]
	v_lshlrev_b32_e32 v3, 8, v4
	v_mov_b32_e32 v4, 0x1c00
	v_lshl_add_u32 v1, v1, 10, v4
	v_and_or_b32 v1, v3, s29, v1
	v_lshl_or_b32 v0, v0, 7, v1
	v_cvt_f32_f16_e32 v3, v0
.LBB267_239:                            ;   in Loop: Header=BB267_12 Depth=1
	s_or_b64 exec, exec, s[24:25]
	flat_load_dword v36, v[34:35] offset:3080
	s_mov_b64 s[4:5], 0
                                        ; implicit-def: $sgpr26
	s_waitcnt vmcnt(0) lgkmcnt(0)
	v_cmp_gt_i16_sdwa s[22:23], v36, s19 src0_sel:BYTE_0 src1_sel:DWORD
	s_and_saveexec_b64 s[24:25], s[22:23]
	s_xor_b64 s[22:23], exec, s[24:25]
	s_cbranch_execnz .LBB267_485
; %bb.240:                              ;   in Loop: Header=BB267_12 Depth=1
	s_or_saveexec_b64 s[22:23], s[22:23]
	v_mov_b32_e32 v27, s26
	s_xor_b64 exec, exec, s[22:23]
	s_cbranch_execnz .LBB267_488
.LBB267_241:                            ;   in Loop: Header=BB267_12 Depth=1
	s_or_b64 exec, exec, s[22:23]
	s_and_saveexec_b64 s[22:23], s[4:5]
	s_cbranch_execz .LBB267_243
.LBB267_242:                            ;   in Loop: Header=BB267_12 Depth=1
	v_and_b32_e32 v4, 7, v36
	v_ffbh_u32_e32 v0, v4
	v_min_u32_e32 v10, 32, v0
	v_subrev_u32_e32 v0, 28, v10
	v_bfe_u32 v7, v36, 3, 4
	v_lshlrev_b64 v[0:1], v0, v[36:37]
	v_sub_u32_e32 v1, 29, v10
	v_cmp_eq_u32_e64 s[4:5], 0, v7
	v_and_b32_e32 v0, 7, v0
	v_mov_b32_e32 v6, 0x1c00
	v_cndmask_b32_e64 v1, v7, v1, s[4:5]
	v_cndmask_b32_e64 v0, v4, v0, s[4:5]
	v_lshlrev_b32_e32 v4, 8, v36
	v_lshl_add_u32 v1, v1, 10, v6
	v_and_or_b32 v1, v4, s29, v1
	v_lshl_or_b32 v0, v0, 7, v1
	v_cvt_f32_f16_e32 v27, v0
.LBB267_243:                            ;   in Loop: Header=BB267_12 Depth=1
	s_or_b64 exec, exec, s[22:23]
	v_lshrrev_b16_e32 v4, 8, v36
	v_cmp_lt_i16_e64 s[4:5], s19, v4
	s_mov_b64 s[22:23], 0
                                        ; implicit-def: $sgpr30
	s_and_saveexec_b64 s[24:25], s[4:5]
	s_xor_b64 s[24:25], exec, s[24:25]
	s_cbranch_execnz .LBB267_489
; %bb.244:                              ;   in Loop: Header=BB267_12 Depth=1
	s_or_saveexec_b64 s[24:25], s[24:25]
	v_mov_b32_e32 v14, s30
	s_xor_b64 exec, exec, s[24:25]
	s_cbranch_execnz .LBB267_492
.LBB267_245:                            ;   in Loop: Header=BB267_12 Depth=1
	s_or_b64 exec, exec, s[24:25]
	s_and_saveexec_b64 s[24:25], s[22:23]
	s_cbranch_execz .LBB267_247
.LBB267_246:                            ;   in Loop: Header=BB267_12 Depth=1
	v_and_b32_e32 v7, 7, v4
	v_ffbh_u32_e32 v0, v7
	v_min_u32_e32 v13, 32, v0
	v_subrev_u32_e32 v0, 28, v13
	v_bfe_u32 v10, v4, 3, 4
	v_lshlrev_b64 v[0:1], v0, v[4:5]
	v_sub_u32_e32 v1, 29, v13
	v_cmp_eq_u32_e64 s[4:5], 0, v10
	v_mov_b32_e32 v6, 0x1c00
	v_and_b32_e32 v0, 7, v0
	v_cndmask_b32_e64 v1, v10, v1, s[4:5]
	v_lshlrev_b32_e32 v4, 8, v4
	v_lshl_add_u32 v1, v1, 10, v6
	v_cndmask_b32_e64 v0, v7, v0, s[4:5]
	v_and_or_b32 v1, v4, s29, v1
	v_lshl_or_b32 v0, v0, 7, v1
	v_cvt_f32_f16_e32 v14, v0
.LBB267_247:                            ;   in Loop: Header=BB267_12 Depth=1
	s_or_b64 exec, exec, s[24:25]
	v_lshrrev_b32_e32 v4, 16, v36
	v_cmp_gt_i16_sdwa s[22:23], v4, s19 src0_sel:BYTE_0 src1_sel:DWORD
	s_mov_b64 s[4:5], 0
                                        ; implicit-def: $sgpr26
	s_and_saveexec_b64 s[24:25], s[22:23]
	s_xor_b64 s[22:23], exec, s[24:25]
	s_cbranch_execnz .LBB267_493
; %bb.248:                              ;   in Loop: Header=BB267_12 Depth=1
	s_or_saveexec_b64 s[22:23], s[22:23]
	v_mov_b32_e32 v23, s26
	s_xor_b64 exec, exec, s[22:23]
	s_cbranch_execnz .LBB267_496
.LBB267_249:                            ;   in Loop: Header=BB267_12 Depth=1
	s_or_b64 exec, exec, s[22:23]
	s_and_saveexec_b64 s[22:23], s[4:5]
	s_cbranch_execz .LBB267_251
.LBB267_250:                            ;   in Loop: Header=BB267_12 Depth=1
	v_bfe_u32 v7, v36, 16, 3
	v_ffbh_u32_e32 v0, v7
	v_min_u32_e32 v13, 32, v0
	v_subrev_u32_e32 v0, 28, v13
	v_bfe_u32 v10, v36, 19, 4
	v_lshlrev_b64 v[0:1], v0, v[4:5]
	v_sub_u32_e32 v1, 29, v13
	v_cmp_eq_u32_e64 s[4:5], 0, v10
	v_mov_b32_e32 v6, 0x1c00
	v_and_b32_e32 v0, 7, v0
	v_cndmask_b32_e64 v1, v10, v1, s[4:5]
	v_lshlrev_b32_e32 v4, 8, v4
	v_lshl_add_u32 v1, v1, 10, v6
	v_cndmask_b32_e64 v0, v7, v0, s[4:5]
	v_and_or_b32 v1, v4, s29, v1
	v_lshl_or_b32 v0, v0, 7, v1
	v_cvt_f32_f16_e32 v23, v0
.LBB267_251:                            ;   in Loop: Header=BB267_12 Depth=1
	s_or_b64 exec, exec, s[22:23]
	v_lshrrev_b32_e32 v4, 24, v36
	v_cmp_lt_i16_e64 s[4:5], s19, v4
	s_mov_b64 s[22:23], 0
                                        ; implicit-def: $sgpr30
	s_and_saveexec_b64 s[24:25], s[4:5]
	s_xor_b64 s[24:25], exec, s[24:25]
	s_cbranch_execnz .LBB267_497
; %bb.252:                              ;   in Loop: Header=BB267_12 Depth=1
	s_or_saveexec_b64 s[24:25], s[24:25]
	v_mov_b32_e32 v22, s30
	s_xor_b64 exec, exec, s[24:25]
	s_cbranch_execnz .LBB267_500
.LBB267_253:                            ;   in Loop: Header=BB267_12 Depth=1
	s_or_b64 exec, exec, s[24:25]
	s_and_saveexec_b64 s[24:25], s[22:23]
	s_cbranch_execz .LBB267_255
.LBB267_254:                            ;   in Loop: Header=BB267_12 Depth=1
	v_bfe_u32 v7, v36, 24, 3
	v_ffbh_u32_e32 v0, v7
	v_min_u32_e32 v13, 32, v0
	v_subrev_u32_e32 v0, 28, v13
	v_bfe_u32 v10, v36, 27, 4
	v_lshlrev_b64 v[0:1], v0, v[4:5]
	v_sub_u32_e32 v1, 29, v13
	v_cmp_eq_u32_e64 s[4:5], 0, v10
	v_mov_b32_e32 v6, 0x1c00
	v_and_b32_e32 v0, 7, v0
	v_cndmask_b32_e64 v1, v10, v1, s[4:5]
	v_lshlrev_b32_e32 v4, 8, v4
	v_lshl_add_u32 v1, v1, 10, v6
	v_cndmask_b32_e64 v0, v7, v0, s[4:5]
	v_and_or_b32 v1, v4, s29, v1
	v_lshl_or_b32 v0, v0, 7, v1
	v_cvt_f32_f16_e32 v22, v0
.LBB267_255:                            ;   in Loop: Header=BB267_12 Depth=1
	s_or_b64 exec, exec, s[24:25]
	flat_load_dword v36, v[34:35] offset:3584
	s_mov_b64 s[4:5], 0
                                        ; implicit-def: $sgpr26
	s_waitcnt vmcnt(0) lgkmcnt(0)
	v_cmp_gt_i16_sdwa s[22:23], v36, s19 src0_sel:BYTE_0 src1_sel:DWORD
	s_and_saveexec_b64 s[24:25], s[22:23]
	s_xor_b64 s[22:23], exec, s[24:25]
	s_cbranch_execnz .LBB267_501
; %bb.256:                              ;   in Loop: Header=BB267_12 Depth=1
	s_or_saveexec_b64 s[22:23], s[22:23]
	v_mov_b32_e32 v37, s26
	s_xor_b64 exec, exec, s[22:23]
	s_cbranch_execnz .LBB267_504
.LBB267_257:                            ;   in Loop: Header=BB267_12 Depth=1
	s_or_b64 exec, exec, s[22:23]
	s_and_saveexec_b64 s[22:23], s[4:5]
	s_cbranch_execz .LBB267_259
.LBB267_258:                            ;   in Loop: Header=BB267_12 Depth=1
	v_and_b32_e32 v4, 7, v36
	v_ffbh_u32_e32 v0, v4
	v_min_u32_e32 v10, 32, v0
	v_subrev_u32_e32 v0, 28, v10
	v_bfe_u32 v7, v36, 3, 4
	v_lshlrev_b64 v[0:1], v0, v[36:37]
	v_sub_u32_e32 v1, 29, v10
	v_cmp_eq_u32_e64 s[4:5], 0, v7
	v_and_b32_e32 v0, 7, v0
	v_mov_b32_e32 v6, 0x1c00
	v_cndmask_b32_e64 v1, v7, v1, s[4:5]
	v_cndmask_b32_e64 v0, v4, v0, s[4:5]
	v_lshlrev_b32_e32 v4, 8, v36
	v_lshl_add_u32 v1, v1, 10, v6
	v_and_or_b32 v1, v4, s29, v1
	v_lshl_or_b32 v0, v0, 7, v1
	v_cvt_f32_f16_e32 v37, v0
.LBB267_259:                            ;   in Loop: Header=BB267_12 Depth=1
	s_or_b64 exec, exec, s[22:23]
	v_lshrrev_b16_e32 v4, 8, v36
	v_cmp_lt_i16_e64 s[4:5], s19, v4
	s_mov_b64 s[22:23], 0
                                        ; implicit-def: $sgpr30
	s_and_saveexec_b64 s[24:25], s[4:5]
	s_xor_b64 s[24:25], exec, s[24:25]
	s_cbranch_execnz .LBB267_505
; %bb.260:                              ;   in Loop: Header=BB267_12 Depth=1
	s_or_saveexec_b64 s[24:25], s[24:25]
	v_mov_b32_e32 v12, s30
	s_xor_b64 exec, exec, s[24:25]
	s_cbranch_execnz .LBB267_508
.LBB267_261:                            ;   in Loop: Header=BB267_12 Depth=1
	s_or_b64 exec, exec, s[24:25]
	s_and_saveexec_b64 s[24:25], s[22:23]
	s_cbranch_execz .LBB267_263
.LBB267_262:                            ;   in Loop: Header=BB267_12 Depth=1
	v_and_b32_e32 v7, 7, v4
	v_ffbh_u32_e32 v0, v7
	v_min_u32_e32 v13, 32, v0
	v_subrev_u32_e32 v0, 28, v13
	v_bfe_u32 v10, v4, 3, 4
	v_lshlrev_b64 v[0:1], v0, v[4:5]
	v_sub_u32_e32 v1, 29, v13
	v_cmp_eq_u32_e64 s[4:5], 0, v10
	v_mov_b32_e32 v6, 0x1c00
	v_and_b32_e32 v0, 7, v0
	v_cndmask_b32_e64 v1, v10, v1, s[4:5]
	v_lshlrev_b32_e32 v4, 8, v4
	v_lshl_add_u32 v1, v1, 10, v6
	v_cndmask_b32_e64 v0, v7, v0, s[4:5]
	v_and_or_b32 v1, v4, s29, v1
	v_lshl_or_b32 v0, v0, 7, v1
	v_cvt_f32_f16_e32 v12, v0
.LBB267_263:                            ;   in Loop: Header=BB267_12 Depth=1
	s_or_b64 exec, exec, s[24:25]
	v_lshrrev_b32_e32 v4, 16, v36
	v_cmp_gt_i16_sdwa s[22:23], v4, s19 src0_sel:BYTE_0 src1_sel:DWORD
	s_mov_b64 s[4:5], 0
                                        ; implicit-def: $sgpr26
	s_and_saveexec_b64 s[24:25], s[22:23]
	s_xor_b64 s[22:23], exec, s[24:25]
	s_cbranch_execnz .LBB267_509
; %bb.264:                              ;   in Loop: Header=BB267_12 Depth=1
	s_or_saveexec_b64 s[22:23], s[22:23]
	v_mov_b32_e32 v0, s26
	s_xor_b64 exec, exec, s[22:23]
	s_cbranch_execnz .LBB267_512
.LBB267_265:                            ;   in Loop: Header=BB267_12 Depth=1
	s_or_b64 exec, exec, s[22:23]
	s_and_saveexec_b64 s[22:23], s[4:5]
	s_cbranch_execz .LBB267_267
.LBB267_266:                            ;   in Loop: Header=BB267_12 Depth=1
	v_bfe_u32 v7, v36, 16, 3
	v_ffbh_u32_e32 v0, v7
	v_min_u32_e32 v13, 32, v0
	v_subrev_u32_e32 v0, 28, v13
	v_bfe_u32 v10, v36, 19, 4
	v_lshlrev_b64 v[0:1], v0, v[4:5]
	v_sub_u32_e32 v1, 29, v13
	v_cmp_eq_u32_e64 s[4:5], 0, v10
	v_mov_b32_e32 v6, 0x1c00
	v_and_b32_e32 v0, 7, v0
	v_cndmask_b32_e64 v1, v10, v1, s[4:5]
	v_lshlrev_b32_e32 v4, 8, v4
	v_lshl_add_u32 v1, v1, 10, v6
	v_cndmask_b32_e64 v0, v7, v0, s[4:5]
	v_and_or_b32 v1, v4, s29, v1
	v_lshl_or_b32 v0, v0, 7, v1
	v_cvt_f32_f16_e32 v0, v0
.LBB267_267:                            ;   in Loop: Header=BB267_12 Depth=1
	s_or_b64 exec, exec, s[22:23]
	v_lshrrev_b32_e32 v4, 24, v36
	v_cmp_lt_i16_e64 s[4:5], s19, v4
	s_mov_b64 s[22:23], 0
                                        ; implicit-def: $sgpr30
	s_and_saveexec_b64 s[24:25], s[4:5]
	s_xor_b64 s[24:25], exec, s[24:25]
	s_cbranch_execnz .LBB267_513
; %bb.268:                              ;   in Loop: Header=BB267_12 Depth=1
	s_or_saveexec_b64 s[24:25], s[24:25]
	v_mov_b32_e32 v1, s30
	s_xor_b64 exec, exec, s[24:25]
	s_cbranch_execnz .LBB267_516
.LBB267_269:                            ;   in Loop: Header=BB267_12 Depth=1
	s_or_b64 exec, exec, s[24:25]
	s_and_saveexec_b64 s[24:25], s[22:23]
	s_cbranch_execz .LBB267_271
.LBB267_270:                            ;   in Loop: Header=BB267_12 Depth=1
	v_bfe_u32 v1, v36, 24, 3
	v_ffbh_u32_e32 v10, v1
	v_bfe_u32 v7, v36, 27, 4
	v_min_u32_e32 v10, 32, v10
	v_subrev_u32_e32 v13, 28, v10
	v_sub_u32_e32 v10, 29, v10
	v_cmp_eq_u32_e64 s[4:5], 0, v7
	v_lshlrev_b64 v[24:25], v13, v[4:5]
	v_mov_b32_e32 v6, 0x1c00
	v_cndmask_b32_e64 v7, v7, v10, s[4:5]
	v_and_b32_e32 v13, 7, v24
	v_lshlrev_b32_e32 v4, 8, v4
	v_lshl_add_u32 v7, v7, 10, v6
	v_cndmask_b32_e64 v1, v1, v13, s[4:5]
	v_and_or_b32 v4, v4, s29, v7
	v_lshl_or_b32 v1, v1, 7, v4
	v_cvt_f32_f16_e32 v1, v1
.LBB267_271:                            ;   in Loop: Header=BB267_12 Depth=1
	s_or_b64 exec, exec, s[24:25]
	flat_load_dword v34, v[34:35] offset:3592
	s_mov_b64 s[4:5], 0
                                        ; implicit-def: $sgpr26
	s_waitcnt vmcnt(0) lgkmcnt(0)
	v_cmp_gt_i16_sdwa s[22:23], v34, s19 src0_sel:BYTE_0 src1_sel:DWORD
	s_and_saveexec_b64 s[24:25], s[22:23]
	s_xor_b64 s[22:23], exec, s[24:25]
	s_cbranch_execnz .LBB267_517
; %bb.272:                              ;   in Loop: Header=BB267_12 Depth=1
	s_or_saveexec_b64 s[22:23], s[22:23]
	v_mov_b32_e32 v36, s26
	s_xor_b64 exec, exec, s[22:23]
	s_cbranch_execnz .LBB267_520
.LBB267_273:                            ;   in Loop: Header=BB267_12 Depth=1
	s_or_b64 exec, exec, s[22:23]
	s_and_saveexec_b64 s[22:23], s[4:5]
	s_cbranch_execz .LBB267_275
.LBB267_274:                            ;   in Loop: Header=BB267_12 Depth=1
	v_and_b32_e32 v4, 7, v34
	v_ffbh_u32_e32 v10, v4
	v_bfe_u32 v7, v34, 3, 4
	v_min_u32_e32 v10, 32, v10
	v_subrev_u32_e32 v13, 28, v10
	v_sub_u32_e32 v10, 29, v10
	v_cmp_eq_u32_e64 s[4:5], 0, v7
	v_lshlrev_b64 v[24:25], v13, v[34:35]
	v_mov_b32_e32 v6, 0x1c00
	v_cndmask_b32_e64 v7, v7, v10, s[4:5]
	v_and_b32_e32 v13, 7, v24
	v_lshlrev_b32_e32 v10, 8, v34
	v_lshl_add_u32 v7, v7, 10, v6
	v_cndmask_b32_e64 v4, v4, v13, s[4:5]
	v_and_or_b32 v7, v10, s29, v7
	v_lshl_or_b32 v4, v4, 7, v7
	v_cvt_f32_f16_e32 v36, v4
.LBB267_275:                            ;   in Loop: Header=BB267_12 Depth=1
	s_or_b64 exec, exec, s[22:23]
	v_lshrrev_b16_e32 v4, 8, v34
	v_cmp_lt_i16_e64 s[4:5], s19, v4
	s_mov_b64 s[22:23], 0
                                        ; implicit-def: $sgpr30
	s_and_saveexec_b64 s[24:25], s[4:5]
	s_xor_b64 s[24:25], exec, s[24:25]
	s_cbranch_execnz .LBB267_521
; %bb.276:                              ;   in Loop: Header=BB267_12 Depth=1
	s_or_saveexec_b64 s[24:25], s[24:25]
	v_mov_b32_e32 v16, s30
	s_xor_b64 exec, exec, s[24:25]
	s_cbranch_execnz .LBB267_524
.LBB267_277:                            ;   in Loop: Header=BB267_12 Depth=1
	s_or_b64 exec, exec, s[24:25]
	s_and_saveexec_b64 s[24:25], s[22:23]
	s_cbranch_execz .LBB267_279
.LBB267_278:                            ;   in Loop: Header=BB267_12 Depth=1
	v_and_b32_e32 v7, 7, v4
	v_ffbh_u32_e32 v13, v7
	v_bfe_u32 v10, v4, 3, 4
	v_min_u32_e32 v13, 32, v13
	v_subrev_u32_e32 v16, 28, v13
	v_sub_u32_e32 v13, 29, v13
	v_cmp_eq_u32_e64 s[4:5], 0, v10
	v_lshlrev_b64 v[24:25], v16, v[4:5]
	v_mov_b32_e32 v6, 0x1c00
	v_cndmask_b32_e64 v10, v10, v13, s[4:5]
	v_and_b32_e32 v16, 7, v24
	v_lshlrev_b32_e32 v4, 8, v4
	v_lshl_add_u32 v10, v10, 10, v6
	v_cndmask_b32_e64 v7, v7, v16, s[4:5]
	v_and_or_b32 v4, v4, s29, v10
	v_lshl_or_b32 v4, v7, 7, v4
	v_cvt_f32_f16_e32 v16, v4
.LBB267_279:                            ;   in Loop: Header=BB267_12 Depth=1
	s_or_b64 exec, exec, s[24:25]
	v_lshrrev_b32_e32 v4, 16, v34
	v_cmp_gt_i16_sdwa s[22:23], v4, s19 src0_sel:BYTE_0 src1_sel:DWORD
	s_mov_b64 s[4:5], 0
                                        ; implicit-def: $sgpr26
	s_and_saveexec_b64 s[24:25], s[22:23]
	s_xor_b64 s[22:23], exec, s[24:25]
	s_cbranch_execnz .LBB267_525
; %bb.280:                              ;   in Loop: Header=BB267_12 Depth=1
	s_or_saveexec_b64 s[22:23], s[22:23]
	v_mov_b32_e32 v13, s26
	s_xor_b64 exec, exec, s[22:23]
	s_cbranch_execnz .LBB267_528
.LBB267_281:                            ;   in Loop: Header=BB267_12 Depth=1
	s_or_b64 exec, exec, s[22:23]
	s_and_saveexec_b64 s[22:23], s[4:5]
	s_cbranch_execz .LBB267_283
.LBB267_282:                            ;   in Loop: Header=BB267_12 Depth=1
	v_bfe_u32 v7, v34, 16, 3
	v_ffbh_u32_e32 v13, v7
	v_bfe_u32 v10, v34, 19, 4
	v_min_u32_e32 v13, 32, v13
	v_subrev_u32_e32 v24, 28, v13
	v_sub_u32_e32 v13, 29, v13
	v_cmp_eq_u32_e64 s[4:5], 0, v10
	v_lshlrev_b64 v[24:25], v24, v[4:5]
	v_mov_b32_e32 v6, 0x1c00
	v_cndmask_b32_e64 v10, v10, v13, s[4:5]
	v_and_b32_e32 v24, 7, v24
	v_lshlrev_b32_e32 v4, 8, v4
	v_lshl_add_u32 v10, v10, 10, v6
	v_cndmask_b32_e64 v7, v7, v24, s[4:5]
	v_and_or_b32 v4, v4, s29, v10
	v_lshl_or_b32 v4, v7, 7, v4
	v_cvt_f32_f16_e32 v13, v4
.LBB267_283:                            ;   in Loop: Header=BB267_12 Depth=1
	s_or_b64 exec, exec, s[22:23]
	v_lshrrev_b32_e32 v4, 24, v34
	v_cmp_lt_i16_e64 s[4:5], s19, v4
	s_mov_b64 s[22:23], 0
                                        ; implicit-def: $sgpr30
	s_and_saveexec_b64 s[24:25], s[4:5]
	s_xor_b64 s[24:25], exec, s[24:25]
	s_cbranch_execz .LBB267_287
; %bb.284:                              ;   in Loop: Header=BB267_12 Depth=1
	v_cmp_eq_u16_e64 s[4:5], s28, v4
	s_mov_b64 s[22:23], -1
                                        ; implicit-def: $sgpr30
	s_and_saveexec_b64 s[26:27], s[4:5]
; %bb.285:                              ;   in Loop: Header=BB267_12 Depth=1
	s_mov_b32 s30, 0x7fc02000
	s_xor_b64 s[22:23], exec, -1
; %bb.286:                              ;   in Loop: Header=BB267_12 Depth=1
	s_or_b64 exec, exec, s[26:27]
	s_and_b64 s[22:23], s[22:23], exec
.LBB267_287:                            ;   in Loop: Header=BB267_12 Depth=1
	s_or_saveexec_b64 s[24:25], s[24:25]
	v_mov_b32_e32 v10, s30
	s_xor_b64 exec, exec, s[24:25]
; %bb.288:                              ;   in Loop: Header=BB267_12 Depth=1
	v_cmp_ne_u16_e64 s[4:5], 0, v4
	s_andn2_b64 s[22:23], s[22:23], exec
	s_and_b64 s[4:5], s[4:5], exec
	v_mov_b32_e32 v10, 0
	s_or_b64 s[22:23], s[22:23], s[4:5]
; %bb.289:                              ;   in Loop: Header=BB267_12 Depth=1
	s_or_b64 exec, exec, s[24:25]
	v_accvgpr_write_b32 a54, v47
	v_accvgpr_write_b32 a53, v43
	;; [unrolled: 1-line block ×7, first 2 shown]
	s_and_saveexec_b64 s[24:25], s[22:23]
	s_cbranch_execz .LBB267_291
; %bb.290:                              ;   in Loop: Header=BB267_12 Depth=1
	v_bfe_u32 v7, v34, 24, 3
	v_ffbh_u32_e32 v24, v7
	v_min_u32_e32 v6, 32, v24
	v_subrev_u32_e32 v24, 28, v6
	v_bfe_u32 v10, v34, 27, 4
	v_lshlrev_b64 v[24:25], v24, v[4:5]
	v_sub_u32_e32 v25, 29, v6
	v_cmp_eq_u32_e64 s[4:5], 0, v10
	v_mov_b32_e32 v6, 0x1c00
	v_and_b32_e32 v24, 7, v24
	v_cndmask_b32_e64 v10, v10, v25, s[4:5]
	v_lshlrev_b32_e32 v4, 8, v4
	v_lshl_add_u32 v10, v10, 10, v6
	v_cndmask_b32_e64 v7, v7, v24, s[4:5]
	v_and_or_b32 v4, v4, s29, v10
	v_lshl_or_b32 v4, v7, 7, v4
	v_cvt_f32_f16_e32 v10, v4
.LBB267_291:                            ;   in Loop: Header=BB267_12 Depth=1
	s_or_b64 exec, exec, s[24:25]
	v_accvgpr_read_b32 v6, a55
	v_fma_mixlo_f16 v35, v15, v6, 0
	scratch_load_dword v6, off, s32 offset:168 ; 4-byte Folded Reload
	v_accvgpr_read_b32 v26, a33
	ds_read_b64 v[24:25], v26
	v_fma_mixlo_f16 v34, v15, v11, 0
	v_fma_mixlo_f16 v19, v15, v19, 0
	v_and_b32_e32 v19, 0xffff, v19
	v_fma_mixlo_f16 v1, v15, v1, 0
	s_waitcnt lgkmcnt(0)
	v_lshrrev_b32_e32 v4, 16, v24
	v_and_b32_e32 v7, 0xffff, v24
	v_lshrrev_b32_e32 v24, 16, v25
	v_and_b32_e32 v25, 0xffff, v25
	v_fma_mixlo_f16 v9, v15, v9, 0
	v_and_b32_e32 v9, 0xffff, v9
	v_fma_mixlo_f16 v18, v15, v18, 0
	v_fma_mixlo_f16 v8, v15, v8, 0
	v_and_b32_e32 v8, 0xffff, v8
	v_fma_mixlo_f16 v48, v15, v48, 0
	v_fma_mixlo_f16 v29, v15, v29, 0
	;; [unrolled: 1-line block ×12, first 2 shown]
	s_waitcnt vmcnt(0)
	v_fma_mixlo_f16 v52, v15, v6, 0
	scratch_load_dword v6, off, s32 offset:172 ; 4-byte Folded Reload
	;;#ASMSTART
	v_cvt_f32_f16 v7, v7;
	;;#ASMEND
	s_waitcnt vmcnt(0)
	v_fma_mixlo_f16 v41, v15, v6, 0
	;;#ASMSTART
	v_cvt_f32_f16 v6, v4;
	;;#ASMEND
	v_and_b32_e32 v4, 0xffff, v35
	;;#ASMSTART
	v_cvt_f32_f16 v35, v4;
	;;#ASMEND
	v_and_b32_e32 v4, 0xffff, v34
	;; [unrolled: 4-line block ×3, first 2 shown]
	;;#ASMSTART
	v_cvt_f32_f16 v53, v25;
	;;#ASMEND
	;;#ASMSTART
	v_cvt_f32_f16 v11, v24;
	;;#ASMEND
	;; [unrolled: 3-line block ×3, first 2 shown]
	v_and_b32_e32 v4, 0xffff, v41
	;;#ASMSTART
	v_cvt_f32_f16 v51, v4;
	;;#ASMEND
	ds_read_b64 v[24:25], v26 offset:8
	s_waitcnt lgkmcnt(0)
	v_and_b32_e32 v4, 0xffff, v24
	;;#ASMSTART
	v_cvt_f32_f16 v4, v4;
	;;#ASMEND
	v_lshrrev_b32_e32 v24, 16, v24
	;;#ASMSTART
	v_cvt_f32_f16 v24, v24;
	;;#ASMEND
	;;#ASMSTART
	v_cvt_f32_f16 v19, v19;
	;;#ASMEND
	s_nop 0
	v_mul_f32_e32 v4, v4, v19
	v_fmac_f32_e32 v4, v7, v35
	v_fma_mixlo_f16 v7, v15, v49, 0
	v_and_b32_e32 v7, 0xffff, v7
	;;#ASMSTART
	v_cvt_f32_f16 v7, v7;
	;;#ASMEND
	s_nop 0
	v_mul_f32_e32 v41, v24, v7
	v_and_b32_e32 v7, 0xffff, v25
	v_fma_mixlo_f16 v24, v15, v32, 0
	v_fmac_f32_e32 v41, v6, v34
	v_lshrrev_b32_e32 v6, 16, v25
	;;#ASMSTART
	v_cvt_f32_f16 v7, v7;
	;;#ASMEND
	v_and_b32_e32 v24, 0xffff, v24
	;;#ASMSTART
	v_cvt_f32_f16 v6, v6;
	;;#ASMEND
	;;#ASMSTART
	v_cvt_f32_f16 v24, v24;
	;;#ASMEND
	s_nop 0
	v_mul_f32_e32 v52, v7, v24
	scratch_load_dword v7, off, s32 offset:176 ; 4-byte Folded Reload
	v_fmac_f32_e32 v52, v53, v43
	v_fma_mixlo_f16 v43, v15, v33, 0
	v_fma_mixlo_f16 v53, v15, v46, 0
	s_waitcnt vmcnt(0)
	v_fma_mixlo_f16 v7, v15, v7, 0
	v_and_b32_e32 v7, 0xffff, v7
	;;#ASMSTART
	v_cvt_f32_f16 v7, v7;
	;;#ASMEND
	ds_read_b64 v[24:25], v26 offset:16
	v_mul_f32_e32 v47, v6, v7
	v_accvgpr_read_b32 v6, a58
	v_fma_mixlo_f16 v6, v15, v6, 0
	v_fmac_f32_e32 v47, v11, v51
	s_waitcnt lgkmcnt(0)
	v_and_b32_e32 v7, 0xffff, v24
	v_lshrrev_b32_e32 v11, 16, v24
	v_and_b32_e32 v6, 0xffff, v6
	;;#ASMSTART
	v_cvt_f32_f16 v7, v7;
	;;#ASMEND
	;;#ASMSTART
	v_cvt_f32_f16 v11, v11;
	;;#ASMEND
	;; [unrolled: 3-line block ×3, first 2 shown]
	v_fma_mixlo_f16 v24, v15, v14, 0
	v_fmac_f32_e32 v4, v7, v6
	scratch_load_dword v6, off, s32 offset:180 ; 4-byte Folded Reload
	v_and_b32_e32 v7, 0xffff, v25
	v_fma_mixlo_f16 v14, v15, v22, 0
	v_fma_mixlo_f16 v22, v15, v17, 0
	;; [unrolled: 1-line block ×4, first 2 shown]
	v_and_b32_e32 v3, 0xffff, v3
	s_waitcnt vmcnt(0)
	v_fma_mixlo_f16 v6, v15, v6, 0
	v_and_b32_e32 v6, 0xffff, v6
	;;#ASMSTART
	v_cvt_f32_f16 v6, v6;
	;;#ASMEND
	;;#ASMSTART
	v_cvt_f32_f16 v7, v7;
	;;#ASMEND
	s_nop 0
	v_fmac_f32_e32 v41, v11, v6
	v_accvgpr_read_b32 v11, a46
	v_fma_mixlo_f16 v11, v15, v11, 0
	v_lshrrev_b32_e32 v6, 16, v25
	v_and_b32_e32 v11, 0xffff, v11
	;;#ASMSTART
	v_cvt_f32_f16 v6, v6;
	;;#ASMEND
	;;#ASMSTART
	v_cvt_f32_f16 v11, v11;
	;;#ASMEND
	v_accvgpr_write_b32 a46, v1
	v_fmac_f32_e32 v52, v7, v11
	v_accvgpr_read_b32 v7, a47
	v_fma_mixlo_f16 v7, v15, v7, 0
	v_and_b32_e32 v7, 0xffff, v7
	;;#ASMSTART
	v_cvt_f32_f16 v7, v7;
	;;#ASMEND
	ds_read_b64 v[34:35], v26 offset:24
	v_accvgpr_read_b32 v1, a57
	v_fma_mixlo_f16 v51, v15, v1, 0
	v_accvgpr_read_b32 v1, a56
	v_fma_mixlo_f16 v49, v15, v1, 0
	;; [unrolled: 2-line block ×3, first 2 shown]
	v_accvgpr_read_b32 v1, a52
	v_fmac_f32_e32 v47, v6, v7
	v_accvgpr_read_b32 v6, a48
	v_fma_mixlo_f16 v32, v15, v1, 0
	v_accvgpr_read_b32 v1, a54
	v_fma_mixlo_f16 v6, v15, v6, 0
	s_waitcnt lgkmcnt(0)
	v_and_b32_e32 v7, 0xffff, v34
	v_fma_mixlo_f16 v33, v15, v1, 0
	v_accvgpr_read_b32 v1, a49
	;;#ASMSTART
	v_cvt_f32_f16 v7, v7;
	;;#ASMEND
	v_lshrrev_b32_e32 v11, 16, v34
	v_and_b32_e32 v6, 0xffff, v6
	v_fma_mixlo_f16 v46, v15, v1, 0
	v_accvgpr_read_b32 v1, a50
	;;#ASMSTART
	v_cvt_f32_f16 v11, v11;
	;;#ASMEND
	;;#ASMSTART
	v_cvt_f32_f16 v6, v6;
	;;#ASMEND
	v_fma_mixlo_f16 v34, v15, v12, 0
	v_fmac_f32_e32 v4, v7, v6
	v_fma_mixlo_f16 v7, v15, v57, 0
	v_fma_mixlo_f16 v57, v15, v60, 0
	;; [unrolled: 1-line block ×11, first 2 shown]
	v_accvgpr_read_b32 v1, a51
	v_fma_mixlo_f16 v12, v15, v54, 0
	v_fma_mixlo_f16 v54, v15, v42, 0
	;; [unrolled: 1-line block ×5, first 2 shown]
	v_and_b32_e32 v10, 0xffff, v46
	;;#ASMSTART
	v_cvt_f32_f16 v10, v10;
	;;#ASMEND
	v_fma_mixlo_f16 v25, v15, v58, 0
	v_fmac_f32_e32 v41, v11, v10
	v_lshrrev_b32_e32 v10, 16, v35
	v_fma_mixlo_f16 v58, v15, v59, 0
	v_fma_mixlo_f16 v59, v15, v2, 0
	;; [unrolled: 1-line block ×3, first 2 shown]
	v_and_b32_e32 v11, 0xffff, v35
	;;#ASMSTART
	v_cvt_f32_f16 v13, v11;
	;;#ASMEND
	;;#ASMSTART
	v_cvt_f32_f16 v16, v10;
	;;#ASMEND
	v_and_b32_e32 v10, 0xffff, v44
	;;#ASMSTART
	v_cvt_f32_f16 v35, v10;
	;;#ASMEND
	v_and_b32_e32 v10, 0xffff, v40
	v_fma_mixlo_f16 v6, v15, v36, 0
	;;#ASMSTART
	v_cvt_f32_f16 v36, v10;
	;;#ASMEND
	ds_read_b64 v[10:11], v26 offset:32
	v_fmac_f32_e32 v52, v13, v35
	v_fmac_f32_e32 v47, v16, v36
	v_and_b32_e32 v7, 0xffff, v7
	v_and_b32_e32 v6, 0xffff, v6
	s_waitcnt lgkmcnt(0)
	v_lshrrev_b32_e32 v13, 16, v10
	v_and_b32_e32 v10, 0xffff, v10
	;;#ASMSTART
	v_cvt_f32_f16 v16, v10;
	;;#ASMEND
	v_and_b32_e32 v10, 0xffff, v32
	;;#ASMSTART
	v_cvt_f32_f16 v13, v13;
	;;#ASMEND
	;;#ASMSTART
	v_cvt_f32_f16 v32, v10;
	;;#ASMEND
	v_and_b32_e32 v10, 0xffff, v19
	;;#ASMSTART
	v_cvt_f32_f16 v19, v10;
	;;#ASMEND
	v_lshrrev_b32_e32 v10, 16, v11
	v_and_b32_e32 v11, 0xffff, v11
	;;#ASMSTART
	v_cvt_f32_f16 v35, v11;
	;;#ASMEND
	;;#ASMSTART
	v_cvt_f32_f16 v36, v10;
	;;#ASMEND
	v_and_b32_e32 v10, 0xffff, v33
	;;#ASMSTART
	v_cvt_f32_f16 v33, v10;
	;;#ASMEND
	v_and_b32_e32 v10, 0xffff, v42
	;;#ASMSTART
	v_cvt_f32_f16 v40, v10;
	;;#ASMEND
	ds_read_b64 v[10:11], v26 offset:40
	v_fmac_f32_e32 v41, v13, v19
	v_fmac_f32_e32 v4, v16, v32
	;; [unrolled: 1-line block ×4, first 2 shown]
	s_waitcnt lgkmcnt(0)
	v_lshrrev_b32_e32 v13, 16, v10
	v_and_b32_e32 v10, 0xffff, v10
	;;#ASMSTART
	v_cvt_f32_f16 v16, v10;
	;;#ASMEND
	v_and_b32_e32 v10, 0xffff, v49
	;;#ASMSTART
	v_cvt_f32_f16 v13, v13;
	;;#ASMEND
	;;#ASMSTART
	v_cvt_f32_f16 v19, v10;
	;;#ASMEND
	v_and_b32_e32 v10, 0xffff, v43
	;;#ASMSTART
	v_cvt_f32_f16 v32, v10;
	;;#ASMEND
	v_lshrrev_b32_e32 v10, 16, v11
	v_and_b32_e32 v11, 0xffff, v11
	;;#ASMSTART
	v_cvt_f32_f16 v33, v11;
	;;#ASMEND
	;;#ASMSTART
	v_cvt_f32_f16 v35, v10;
	;;#ASMEND
	v_and_b32_e32 v10, 0xffff, v12
	;;#ASMSTART
	v_cvt_f32_f16 v12, v10;
	;;#ASMEND
	v_and_b32_e32 v10, 0xffff, v54
	;;#ASMSTART
	v_cvt_f32_f16 v36, v10;
	;;#ASMEND
	ds_read_b64 v[10:11], v26 offset:48
	v_fmac_f32_e32 v52, v33, v12
	v_fmac_f32_e32 v41, v13, v32
	;; [unrolled: 1-line block ×4, first 2 shown]
	s_waitcnt lgkmcnt(0)
	v_lshrrev_b32_e32 v12, 16, v10
	v_and_b32_e32 v10, 0xffff, v10
	;;#ASMSTART
	v_cvt_f32_f16 v13, v10;
	;;#ASMEND
	v_and_b32_e32 v10, 0xffff, v51
	;;#ASMSTART
	v_cvt_f32_f16 v12, v12;
	;;#ASMEND
	;;#ASMSTART
	v_cvt_f32_f16 v16, v10;
	;;#ASMEND
	v_and_b32_e32 v10, 0xffff, v50
	;;#ASMSTART
	v_cvt_f32_f16 v19, v10;
	;;#ASMEND
	v_lshrrev_b32_e32 v10, 16, v11
	v_and_b32_e32 v11, 0xffff, v11
	;;#ASMSTART
	v_cvt_f32_f16 v32, v11;
	;;#ASMEND
	;;#ASMSTART
	v_cvt_f32_f16 v33, v10;
	;;#ASMEND
	v_and_b32_e32 v10, 0xffff, v53
	;;#ASMSTART
	v_cvt_f32_f16 v35, v10;
	;;#ASMEND
	;;#ASMSTART
	v_cvt_f32_f16 v9, v9;
	;;#ASMEND
	ds_read_b64 v[10:11], v26 offset:56
	v_fmac_f32_e32 v47, v33, v9
	v_fmac_f32_e32 v41, v12, v19
	;; [unrolled: 1-line block ×4, first 2 shown]
	s_waitcnt lgkmcnt(0)
	v_lshrrev_b32_e32 v9, 16, v10
	v_and_b32_e32 v10, 0xffff, v10
	;;#ASMSTART
	v_cvt_f32_f16 v10, v10;
	;;#ASMEND
	;;#ASMSTART
	v_cvt_f32_f16 v12, v9;
	;;#ASMEND
	v_and_b32_e32 v9, 0xffff, v38
	;;#ASMSTART
	v_cvt_f32_f16 v13, v9;
	;;#ASMEND
	v_and_b32_e32 v9, 0xffff, v30
	;;#ASMSTART
	v_cvt_f32_f16 v16, v9;
	;;#ASMEND
	v_lshrrev_b32_e32 v9, 16, v11
	v_and_b32_e32 v11, 0xffff, v11
	;;#ASMSTART
	v_cvt_f32_f16 v11, v11;
	;;#ASMEND
	;;#ASMSTART
	v_cvt_f32_f16 v19, v9;
	;;#ASMEND
	v_and_b32_e32 v9, 0xffff, v18
	;;#ASMSTART
	v_cvt_f32_f16 v18, v9;
	;;#ASMEND
	;;#ASMSTART
	v_cvt_f32_f16 v30, v8;
	;;#ASMEND
	ds_read_b64 v[8:9], v26 offset:64
	v_fmac_f32_e32 v4, v10, v13
	v_fmac_f32_e32 v52, v11, v18
	v_fmac_f32_e32 v41, v12, v16
	v_fmac_f32_e32 v47, v19, v30
	s_waitcnt lgkmcnt(0)
	v_lshrrev_b32_e32 v10, 16, v8
	v_and_b32_e32 v8, 0xffff, v8
	;;#ASMSTART
	v_cvt_f32_f16 v11, v8;
	;;#ASMEND
	v_and_b32_e32 v8, 0xffff, v48
	;;#ASMSTART
	v_cvt_f32_f16 v10, v10;
	;;#ASMEND
	;;#ASMSTART
	v_cvt_f32_f16 v12, v8;
	;;#ASMEND
	v_and_b32_e32 v8, 0xffff, v56
	;;#ASMSTART
	v_cvt_f32_f16 v13, v8;
	;;#ASMEND
	v_lshrrev_b32_e32 v8, 16, v9
	v_and_b32_e32 v9, 0xffff, v9
	;;#ASMSTART
	v_cvt_f32_f16 v16, v9;
	;;#ASMEND
	;;#ASMSTART
	v_cvt_f32_f16 v18, v8;
	;;#ASMEND
	v_and_b32_e32 v8, 0xffff, v29
	;;#ASMSTART
	v_cvt_f32_f16 v19, v8;
	;;#ASMEND
	v_and_b32_e32 v8, 0xffff, v28
	;;#ASMSTART
	v_cvt_f32_f16 v28, v8;
	;;#ASMEND
	ds_read_b64 v[8:9], v26 offset:72
	v_fmac_f32_e32 v41, v10, v13
	v_fmac_f32_e32 v4, v11, v12
	v_fmac_f32_e32 v52, v16, v19
	v_fmac_f32_e32 v47, v18, v28
	s_waitcnt lgkmcnt(0)
	v_lshrrev_b32_e32 v10, 16, v8
	v_and_b32_e32 v8, 0xffff, v8
	;;#ASMSTART
	v_cvt_f32_f16 v11, v8;
	;;#ASMEND
	v_and_b32_e32 v8, 0xffff, v31
	;;#ASMSTART
	v_cvt_f32_f16 v10, v10;
	;;#ASMEND
	;;#ASMSTART
	v_cvt_f32_f16 v12, v8;
	;;#ASMEND
	v_and_b32_e32 v8, 0xffff, v45
	;;#ASMSTART
	v_cvt_f32_f16 v13, v8;
	;;#ASMEND
	v_lshrrev_b32_e32 v8, 16, v9
	v_and_b32_e32 v9, 0xffff, v9
	;;#ASMSTART
	v_cvt_f32_f16 v16, v9;
	;;#ASMEND
	;;#ASMSTART
	v_cvt_f32_f16 v18, v8;
	;;#ASMEND
	v_and_b32_e32 v8, 0xffff, v21
	;;#ASMSTART
	v_cvt_f32_f16 v19, v8;
	;;#ASMEND
	v_and_b32_e32 v8, 0xffff, v20
	;; [unrolled: 38-line block ×3, first 2 shown]
	;;#ASMSTART
	v_cvt_f32_f16 v20, v8;
	;;#ASMEND
	ds_read_b64 v[8:9], v26 offset:88
	v_fmac_f32_e32 v41, v10, v13
	v_fmac_f32_e32 v4, v11, v12
	;; [unrolled: 1-line block ×4, first 2 shown]
	s_waitcnt lgkmcnt(0)
	v_lshrrev_b32_e32 v10, 16, v8
	v_and_b32_e32 v8, 0xffff, v8
	;;#ASMSTART
	v_cvt_f32_f16 v11, v8;
	;;#ASMEND
	v_and_b32_e32 v8, 0xffff, v25
	;;#ASMSTART
	v_cvt_f32_f16 v10, v10;
	;;#ASMEND
	;;#ASMSTART
	v_cvt_f32_f16 v7, v7;
	;;#ASMEND
	;; [unrolled: 3-line block ×3, first 2 shown]
	v_lshrrev_b32_e32 v8, 16, v9
	v_and_b32_e32 v9, 0xffff, v9
	;;#ASMSTART
	v_cvt_f32_f16 v13, v9;
	;;#ASMEND
	;;#ASMSTART
	v_cvt_f32_f16 v16, v8;
	;;#ASMEND
	v_and_b32_e32 v8, 0xffff, v58
	;;#ASMSTART
	v_cvt_f32_f16 v18, v8;
	;;#ASMEND
	v_and_b32_e32 v8, 0xffff, v57
	;;#ASMSTART
	v_cvt_f32_f16 v19, v8;
	;;#ASMEND
	ds_read_b64 v[8:9], v26 offset:96
	v_fmac_f32_e32 v4, v11, v7
	v_fmac_f32_e32 v41, v10, v12
	v_fmac_f32_e32 v52, v13, v18
	v_fmac_f32_e32 v47, v16, v19
	s_waitcnt lgkmcnt(0)
	v_lshrrev_b32_e32 v7, 16, v8
	v_and_b32_e32 v8, 0xffff, v8
	;;#ASMSTART
	v_cvt_f32_f16 v10, v8;
	;;#ASMEND
	v_and_b32_e32 v8, 0xffff, v61
	;;#ASMSTART
	v_cvt_f32_f16 v7, v7;
	;;#ASMEND
	;;#ASMSTART
	v_cvt_f32_f16 v11, v8;
	;;#ASMEND
	v_and_b32_e32 v8, 0xffff, v62
	;;#ASMSTART
	v_cvt_f32_f16 v12, v8;
	;;#ASMEND
	v_lshrrev_b32_e32 v8, 16, v9
	v_and_b32_e32 v9, 0xffff, v9
	;;#ASMSTART
	v_cvt_f32_f16 v13, v9;
	;;#ASMEND
	;;#ASMSTART
	v_cvt_f32_f16 v16, v8;
	;;#ASMEND
	v_and_b32_e32 v8, 0xffff, v22
	;;#ASMSTART
	v_cvt_f32_f16 v18, v8;
	;;#ASMEND
	v_and_b32_e32 v8, 0xffff, v17
	;;#ASMSTART
	v_cvt_f32_f16 v17, v8;
	;;#ASMEND
	ds_read_b64 v[8:9], v26 offset:104
	v_fmac_f32_e32 v41, v7, v12
	v_fmac_f32_e32 v4, v10, v11
	v_fmac_f32_e32 v52, v13, v18
	v_fmac_f32_e32 v47, v16, v17
	s_waitcnt lgkmcnt(0)
	v_lshrrev_b32_e32 v7, 16, v8
	v_and_b32_e32 v8, 0xffff, v8
	;;#ASMSTART
	v_cvt_f32_f16 v10, v8;
	;;#ASMEND
	v_and_b32_e32 v8, 0xffff, v27
	;;#ASMSTART
	v_cvt_f32_f16 v7, v7;
	;;#ASMEND
	;;#ASMSTART
	v_cvt_f32_f16 v11, v8;
	;;#ASMEND
	v_and_b32_e32 v8, 0xffff, v24
	;;#ASMSTART
	v_cvt_f32_f16 v12, v8;
	;;#ASMEND
	;; [unrolled: 38-line block ×3, first 2 shown]
	v_lshrrev_b32_e32 v8, 16, v9
	v_and_b32_e32 v9, 0xffff, v9
	;;#ASMSTART
	v_cvt_f32_f16 v13, v9;
	;;#ASMEND
	;;#ASMSTART
	v_cvt_f32_f16 v14, v8;
	;;#ASMEND
	v_and_b32_e32 v8, 0xffff, v0
	v_accvgpr_read_b32 v0, a46
	v_and_b32_e32 v0, 0xffff, v0
	;;#ASMSTART
	v_cvt_f32_f16 v15, v8;
	;;#ASMEND
	;;#ASMSTART
	v_cvt_f32_f16 v0, v0;
	;;#ASMEND
	ds_read_b64 v[8:9], v26 offset:120
	v_fmac_f32_e32 v41, v7, v12
	v_fmac_f32_e32 v47, v14, v0
	;; [unrolled: 1-line block ×3, first 2 shown]
	v_and_b32_e32 v2, 0xffff, v2
	s_waitcnt lgkmcnt(0)
	v_lshrrev_b32_e32 v0, 16, v8
	v_and_b32_e32 v7, 0xffff, v8
	;;#ASMSTART
	v_cvt_f32_f16 v7, v7;
	;;#ASMEND
	;;#ASMSTART
	v_cvt_f32_f16 v0, v0;
	;;#ASMEND
	;; [unrolled: 3-line block ×4, first 2 shown]
	v_and_b32_e32 v1, 0xffff, v1
	v_fmac_f32_e32 v41, v0, v3
	v_and_b32_e32 v3, 0xffff, v9
	v_lshrrev_b32_e32 v0, 16, v9
	;;#ASMSTART
	v_cvt_f32_f16 v3, v3;
	;;#ASMEND
	;;#ASMSTART
	v_cvt_f32_f16 v0, v0;
	;;#ASMEND
	;; [unrolled: 3-line block ×3, first 2 shown]
	v_fmac_f32_e32 v4, v10, v11
	v_fmac_f32_e32 v52, v3, v2
	v_accvgpr_read_b32 v3, a44
	;;#ASMSTART
	v_cvt_f32_f16 v1, v1;
	;;#ASMEND
	v_and_b32_e32 v2, 64, v3
	v_fmac_f32_e32 v4, v7, v6
	v_fmac_f32_e32 v47, v0, v1
	v_xor_b32_e32 v1, 1, v3
	v_add_u32_e32 v2, 64, v2
	v_add_f32_e32 v0, v4, v41
	v_cmp_lt_i32_e64 s[4:5], v1, v2
	v_add_f32_e32 v0, v0, v52
	v_add_f32_e32 v0, v47, v0
	v_cndmask_b32_e64 v1, v3, v1, s[4:5]
	v_lshlrev_b32_e32 v1, 2, v1
	ds_bpermute_b32 v1, v1, v0
	s_and_saveexec_b64 s[22:23], vcc
	s_cbranch_execz .LBB267_10
; %bb.292:                              ;   in Loop: Header=BB267_12 Depth=1
	v_accvgpr_read_b32 v4, a39
	v_accvgpr_read_b32 v2, a40
	;; [unrolled: 1-line block ×3, first 2 shown]
	v_add_u32_e32 v2, v2, v4
	v_add_u32_e32 v3, v3, v4
	scratch_load_dword v4, off, s32 offset:188 ; 4-byte Folded Reload
	v_cvt_f32_i32_e32 v2, v2
	s_waitcnt lgkmcnt(0)
	v_add_f32_e32 v0, v0, v1
	v_accvgpr_read_b32 v1, a15
	s_load_dword s4, s[10:11], 0x0
	s_waitcnt vmcnt(0)
	v_mul_f32_e32 v2, v4, v2
	v_cndmask_b32_e64 v2, 0, v2, s[2:3]
	v_fmac_f32_e32 v2, v0, v1
	scratch_load_dword v1, off, s32 offset:184 ; 4-byte Folded Reload
	v_accvgpr_read_b32 v4, a41
	v_accvgpr_read_b32 v0, a8
	s_waitcnt lgkmcnt(0)
	v_add_u32_e32 v4, s4, v4
	v_cmp_lt_i32_e64 s[4:5], v3, v0
	s_nop 1
	v_cndmask_b32_e64 v0, 0, v2, s[4:5]
	ds_write_b32 v4, v0
	s_waitcnt vmcnt(0)
	v_max_f32_e32 v0, v1, v1
	v_max_f32_e32 v0, v0, v2
	v_cndmask_b32_e64 v1, v1, v0, s[4:5]
	scratch_store_dword off, v1, s32 offset:184 ; 4-byte Folded Spill
	s_branch .LBB267_10
.LBB267_293:                            ;   in Loop: Header=BB267_12 Depth=1
	v_cmp_eq_u16_sdwa s[30:31], v36, s28 src0_sel:BYTE_0 src1_sel:DWORD
	s_mov_b64 s[4:5], -1
                                        ; implicit-def: $sgpr26
	s_and_saveexec_b64 s[24:25], s[30:31]
; %bb.294:                              ;   in Loop: Header=BB267_12 Depth=1
	s_mov_b32 s26, 0x7fc02000
	s_xor_b64 s[4:5], exec, -1
; %bb.295:                              ;   in Loop: Header=BB267_12 Depth=1
	s_or_b64 exec, exec, s[24:25]
	s_and_b64 s[4:5], s[4:5], exec
	s_or_saveexec_b64 s[22:23], s[22:23]
	v_mov_b32_e32 v0, s26
	s_xor_b64 exec, exec, s[22:23]
	s_cbranch_execz .LBB267_17
.LBB267_296:                            ;   in Loop: Header=BB267_12 Depth=1
	v_cmp_ne_u16_sdwa s[24:25], v36, v5 src0_sel:BYTE_0 src1_sel:DWORD
	s_andn2_b64 s[4:5], s[4:5], exec
	s_and_b64 s[24:25], s[24:25], exec
	v_mov_b32_e32 v0, 0
	s_or_b64 s[4:5], s[4:5], s[24:25]
	s_or_b64 exec, exec, s[22:23]
	s_and_saveexec_b64 s[22:23], s[4:5]
	s_cbranch_execnz .LBB267_18
	s_branch .LBB267_19
.LBB267_297:                            ;   in Loop: Header=BB267_12 Depth=1
	v_cmp_eq_u16_e64 s[4:5], s28, v4
	s_mov_b64 s[22:23], -1
                                        ; implicit-def: $sgpr30
	s_and_saveexec_b64 s[26:27], s[4:5]
; %bb.298:                              ;   in Loop: Header=BB267_12 Depth=1
	s_mov_b32 s30, 0x7fc02000
	s_xor_b64 s[22:23], exec, -1
; %bb.299:                              ;   in Loop: Header=BB267_12 Depth=1
	s_or_b64 exec, exec, s[26:27]
	s_and_b64 s[22:23], s[22:23], exec
	s_or_saveexec_b64 s[24:25], s[24:25]
	v_mov_b32_e32 v11, s30
	s_xor_b64 exec, exec, s[24:25]
	s_cbranch_execz .LBB267_21
.LBB267_300:                            ;   in Loop: Header=BB267_12 Depth=1
	v_cmp_ne_u16_e64 s[4:5], 0, v4
	s_andn2_b64 s[22:23], s[22:23], exec
	s_and_b64 s[4:5], s[4:5], exec
	v_mov_b32_e32 v11, 0
	s_or_b64 s[22:23], s[22:23], s[4:5]
	s_or_b64 exec, exec, s[24:25]
	s_and_saveexec_b64 s[24:25], s[22:23]
	s_cbranch_execnz .LBB267_22
	s_branch .LBB267_23
.LBB267_301:                            ;   in Loop: Header=BB267_12 Depth=1
	v_cmp_eq_u16_sdwa s[30:31], v36, s28 src0_sel:BYTE_0 src1_sel:DWORD
	s_mov_b64 s[4:5], -1
                                        ; implicit-def: $sgpr26
	s_and_saveexec_b64 s[24:25], s[30:31]
; %bb.302:                              ;   in Loop: Header=BB267_12 Depth=1
	s_mov_b32 s26, 0x7fc02000
	s_xor_b64 s[4:5], exec, -1
; %bb.303:                              ;   in Loop: Header=BB267_12 Depth=1
	s_or_b64 exec, exec, s[24:25]
	s_and_b64 s[4:5], s[4:5], exec
	s_or_saveexec_b64 s[22:23], s[22:23]
	v_mov_b32_e32 v19, s26
	s_xor_b64 exec, exec, s[22:23]
	s_cbranch_execz .LBB267_41
.LBB267_304:                            ;   in Loop: Header=BB267_12 Depth=1
	v_cmp_ne_u16_sdwa s[24:25], v36, v5 src0_sel:BYTE_0 src1_sel:DWORD
	s_andn2_b64 s[4:5], s[4:5], exec
	s_and_b64 s[24:25], s[24:25], exec
	v_mov_b32_e32 v19, 0
	s_or_b64 s[4:5], s[4:5], s[24:25]
	s_or_b64 exec, exec, s[22:23]
	s_and_saveexec_b64 s[22:23], s[4:5]
	s_cbranch_execnz .LBB267_42
	s_branch .LBB267_43
.LBB267_305:                            ;   in Loop: Header=BB267_12 Depth=1
	v_cmp_eq_u16_e64 s[4:5], s28, v4
	s_mov_b64 s[22:23], -1
                                        ; implicit-def: $sgpr30
	s_and_saveexec_b64 s[26:27], s[4:5]
; %bb.306:                              ;   in Loop: Header=BB267_12 Depth=1
	s_mov_b32 s30, 0x7fc02000
	s_xor_b64 s[22:23], exec, -1
; %bb.307:                              ;   in Loop: Header=BB267_12 Depth=1
	s_or_b64 exec, exec, s[26:27]
	s_and_b64 s[22:23], s[22:23], exec
	s_or_saveexec_b64 s[24:25], s[24:25]
	v_mov_b32_e32 v49, s30
	s_xor_b64 exec, exec, s[24:25]
	s_cbranch_execz .LBB267_45
.LBB267_308:                            ;   in Loop: Header=BB267_12 Depth=1
	v_cmp_ne_u16_e64 s[4:5], 0, v4
	s_andn2_b64 s[22:23], s[22:23], exec
	s_and_b64 s[4:5], s[4:5], exec
	v_mov_b32_e32 v49, 0
	s_or_b64 s[22:23], s[22:23], s[4:5]
	s_or_b64 exec, exec, s[24:25]
	s_and_saveexec_b64 s[24:25], s[22:23]
	s_cbranch_execnz .LBB267_46
	s_branch .LBB267_47
.LBB267_309:                            ;   in Loop: Header=BB267_12 Depth=1
	v_cmp_eq_u16_sdwa s[30:31], v4, s28 src0_sel:BYTE_0 src1_sel:DWORD
	s_mov_b64 s[4:5], -1
                                        ; implicit-def: $sgpr26
	s_and_saveexec_b64 s[24:25], s[30:31]
; %bb.310:                              ;   in Loop: Header=BB267_12 Depth=1
	s_mov_b32 s26, 0x7fc02000
	s_xor_b64 s[4:5], exec, -1
; %bb.311:                              ;   in Loop: Header=BB267_12 Depth=1
	s_or_b64 exec, exec, s[24:25]
	s_and_b64 s[4:5], s[4:5], exec
	s_or_saveexec_b64 s[22:23], s[22:23]
	v_mov_b32_e32 v32, s26
	s_xor_b64 exec, exec, s[22:23]
	s_cbranch_execz .LBB267_49
.LBB267_312:                            ;   in Loop: Header=BB267_12 Depth=1
	v_cmp_ne_u16_sdwa s[24:25], v4, v5 src0_sel:BYTE_0 src1_sel:DWORD
	s_andn2_b64 s[4:5], s[4:5], exec
	s_and_b64 s[24:25], s[24:25], exec
	v_mov_b32_e32 v32, 0
	s_or_b64 s[4:5], s[4:5], s[24:25]
	s_or_b64 exec, exec, s[22:23]
	s_and_saveexec_b64 s[22:23], s[4:5]
	s_cbranch_execnz .LBB267_50
	s_branch .LBB267_51
.LBB267_313:                            ;   in Loop: Header=BB267_12 Depth=1
	v_cmp_eq_u16_sdwa s[30:31], v36, s28 src0_sel:BYTE_0 src1_sel:DWORD
	s_mov_b64 s[4:5], -1
                                        ; implicit-def: $sgpr26
	s_and_saveexec_b64 s[24:25], s[30:31]
; %bb.314:                              ;   in Loop: Header=BB267_12 Depth=1
	s_mov_b32 s26, 0x7fc02000
	s_xor_b64 s[4:5], exec, -1
; %bb.315:                              ;   in Loop: Header=BB267_12 Depth=1
	s_or_b64 exec, exec, s[24:25]
	s_and_b64 s[4:5], s[4:5], exec
	s_or_saveexec_b64 s[22:23], s[22:23]
	v_mov_b32_e32 v0, s26
	s_xor_b64 exec, exec, s[22:23]
	s_cbranch_execz .LBB267_61
.LBB267_316:                            ;   in Loop: Header=BB267_12 Depth=1
	v_cmp_ne_u16_sdwa s[24:25], v36, v5 src0_sel:BYTE_0 src1_sel:DWORD
	s_andn2_b64 s[4:5], s[4:5], exec
	s_and_b64 s[24:25], s[24:25], exec
	v_mov_b32_e32 v0, 0
	s_or_b64 s[4:5], s[4:5], s[24:25]
	s_or_b64 exec, exec, s[22:23]
	s_and_saveexec_b64 s[22:23], s[4:5]
	s_cbranch_execnz .LBB267_62
	s_branch .LBB267_63
.LBB267_317:                            ;   in Loop: Header=BB267_12 Depth=1
	v_cmp_eq_u16_sdwa s[30:31], v4, s28 src0_sel:BYTE_0 src1_sel:DWORD
	s_mov_b64 s[4:5], -1
                                        ; implicit-def: $sgpr26
	s_and_saveexec_b64 s[24:25], s[30:31]
; %bb.318:                              ;   in Loop: Header=BB267_12 Depth=1
	s_mov_b32 s26, 0x7fc02000
	s_xor_b64 s[4:5], exec, -1
; %bb.319:                              ;   in Loop: Header=BB267_12 Depth=1
	s_or_b64 exec, exec, s[24:25]
	s_and_b64 s[4:5], s[4:5], exec
	s_or_saveexec_b64 s[22:23], s[22:23]
	v_mov_b32_e32 v26, s26
	s_xor_b64 exec, exec, s[22:23]
	s_cbranch_execz .LBB267_73
.LBB267_320:                            ;   in Loop: Header=BB267_12 Depth=1
	v_cmp_ne_u16_sdwa s[24:25], v4, v5 src0_sel:BYTE_0 src1_sel:DWORD
	s_andn2_b64 s[4:5], s[4:5], exec
	s_and_b64 s[24:25], s[24:25], exec
	v_mov_b32_e32 v26, 0
	s_or_b64 s[4:5], s[4:5], s[24:25]
	s_or_b64 exec, exec, s[22:23]
	s_and_saveexec_b64 s[22:23], s[4:5]
	s_cbranch_execnz .LBB267_74
	s_branch .LBB267_75
.LBB267_321:                            ;   in Loop: Header=BB267_12 Depth=1
	v_cmp_eq_u16_e64 s[4:5], s28, v4
	s_mov_b64 s[22:23], -1
                                        ; implicit-def: $sgpr30
	s_and_saveexec_b64 s[26:27], s[4:5]
; %bb.322:                              ;   in Loop: Header=BB267_12 Depth=1
	s_mov_b32 s30, 0x7fc02000
	s_xor_b64 s[22:23], exec, -1
; %bb.323:                              ;   in Loop: Header=BB267_12 Depth=1
	s_or_b64 exec, exec, s[26:27]
	s_and_b64 s[22:23], s[22:23], exec
	s_or_saveexec_b64 s[24:25], s[24:25]
	v_mov_b32_e32 v51, s30
	s_xor_b64 exec, exec, s[24:25]
	s_cbranch_execz .LBB267_77
.LBB267_324:                            ;   in Loop: Header=BB267_12 Depth=1
	v_cmp_ne_u16_e64 s[4:5], 0, v4
	s_andn2_b64 s[22:23], s[22:23], exec
	s_and_b64 s[4:5], s[4:5], exec
	v_mov_b32_e32 v51, 0
	s_or_b64 s[22:23], s[22:23], s[4:5]
	s_or_b64 exec, exec, s[24:25]
	s_and_saveexec_b64 s[24:25], s[22:23]
	s_cbranch_execnz .LBB267_78
	s_branch .LBB267_79
.LBB267_325:                            ;   in Loop: Header=BB267_12 Depth=1
	v_cmp_eq_u16_sdwa s[30:31], v36, s28 src0_sel:BYTE_0 src1_sel:DWORD
	s_mov_b64 s[4:5], -1
                                        ; implicit-def: $sgpr26
	s_and_saveexec_b64 s[24:25], s[30:31]
; %bb.326:                              ;   in Loop: Header=BB267_12 Depth=1
	s_mov_b32 s26, 0x7fc02000
	s_xor_b64 s[4:5], exec, -1
; %bb.327:                              ;   in Loop: Header=BB267_12 Depth=1
	s_or_b64 exec, exec, s[24:25]
	s_and_b64 s[4:5], s[4:5], exec
	s_or_saveexec_b64 s[22:23], s[22:23]
	v_mov_b32_e32 v0, s26
	s_xor_b64 exec, exec, s[22:23]
	s_cbranch_execz .LBB267_81
.LBB267_328:                            ;   in Loop: Header=BB267_12 Depth=1
	v_cmp_ne_u16_sdwa s[24:25], v36, v5 src0_sel:BYTE_0 src1_sel:DWORD
	s_andn2_b64 s[4:5], s[4:5], exec
	s_and_b64 s[24:25], s[24:25], exec
	v_mov_b32_e32 v0, 0
	s_or_b64 s[4:5], s[4:5], s[24:25]
	s_or_b64 exec, exec, s[22:23]
	s_and_saveexec_b64 s[22:23], s[4:5]
	s_cbranch_execnz .LBB267_82
	s_branch .LBB267_83
.LBB267_329:                            ;   in Loop: Header=BB267_12 Depth=1
	v_cmp_eq_u16_e64 s[4:5], s28, v4
	s_mov_b64 s[22:23], -1
                                        ; implicit-def: $sgpr30
	s_and_saveexec_b64 s[26:27], s[4:5]
; %bb.330:                              ;   in Loop: Header=BB267_12 Depth=1
	s_mov_b32 s30, 0x7fc02000
	s_xor_b64 s[22:23], exec, -1
; %bb.331:                              ;   in Loop: Header=BB267_12 Depth=1
	s_or_b64 exec, exec, s[26:27]
	s_and_b64 s[22:23], s[22:23], exec
	s_or_saveexec_b64 s[24:25], s[24:25]
	v_mov_b32_e32 v52, s30
	s_xor_b64 exec, exec, s[24:25]
	s_cbranch_execz .LBB267_85
.LBB267_332:                            ;   in Loop: Header=BB267_12 Depth=1
	v_cmp_ne_u16_e64 s[4:5], 0, v4
	s_andn2_b64 s[22:23], s[22:23], exec
	s_and_b64 s[4:5], s[4:5], exec
	v_mov_b32_e32 v52, 0
	s_or_b64 s[22:23], s[22:23], s[4:5]
	s_or_b64 exec, exec, s[24:25]
	s_and_saveexec_b64 s[24:25], s[22:23]
	s_cbranch_execnz .LBB267_86
	s_branch .LBB267_87
.LBB267_333:                            ;   in Loop: Header=BB267_12 Depth=1
	v_cmp_eq_u16_sdwa s[30:31], v4, s28 src0_sel:BYTE_0 src1_sel:DWORD
	s_mov_b64 s[4:5], -1
                                        ; implicit-def: $sgpr26
	s_and_saveexec_b64 s[24:25], s[30:31]
; %bb.334:                              ;   in Loop: Header=BB267_12 Depth=1
	s_mov_b32 s26, 0x7fc02000
	s_xor_b64 s[4:5], exec, -1
; %bb.335:                              ;   in Loop: Header=BB267_12 Depth=1
	s_or_b64 exec, exec, s[24:25]
	s_and_b64 s[4:5], s[4:5], exec
	s_or_saveexec_b64 s[22:23], s[22:23]
	v_mov_b32_e32 v53, s26
	s_xor_b64 exec, exec, s[22:23]
	s_cbranch_execz .LBB267_89
.LBB267_336:                            ;   in Loop: Header=BB267_12 Depth=1
	v_cmp_ne_u16_sdwa s[24:25], v4, v5 src0_sel:BYTE_0 src1_sel:DWORD
	s_andn2_b64 s[4:5], s[4:5], exec
	s_and_b64 s[24:25], s[24:25], exec
	v_mov_b32_e32 v53, 0
	s_or_b64 s[4:5], s[4:5], s[24:25]
	s_or_b64 exec, exec, s[22:23]
	s_and_saveexec_b64 s[22:23], s[4:5]
	s_cbranch_execnz .LBB267_90
	s_branch .LBB267_91
.LBB267_337:                            ;   in Loop: Header=BB267_12 Depth=1
	v_cmp_eq_u16_e64 s[4:5], s28, v4
	s_mov_b64 s[22:23], -1
                                        ; implicit-def: $sgpr30
	s_and_saveexec_b64 s[26:27], s[4:5]
; %bb.338:                              ;   in Loop: Header=BB267_12 Depth=1
	s_mov_b32 s30, 0x7fc02000
	s_xor_b64 s[22:23], exec, -1
; %bb.339:                              ;   in Loop: Header=BB267_12 Depth=1
	s_or_b64 exec, exec, s[26:27]
	s_and_b64 s[22:23], s[22:23], exec
	s_or_saveexec_b64 s[24:25], s[24:25]
	v_mov_b32_e32 v41, s30
	s_xor_b64 exec, exec, s[24:25]
	s_cbranch_execz .LBB267_93
.LBB267_340:                            ;   in Loop: Header=BB267_12 Depth=1
	v_cmp_ne_u16_e64 s[4:5], 0, v4
	s_andn2_b64 s[22:23], s[22:23], exec
	s_and_b64 s[4:5], s[4:5], exec
	v_mov_b32_e32 v41, 0
	s_or_b64 s[22:23], s[22:23], s[4:5]
	s_or_b64 exec, exec, s[24:25]
	s_and_saveexec_b64 s[24:25], s[22:23]
	s_cbranch_execnz .LBB267_94
	s_branch .LBB267_95
.LBB267_341:                            ;   in Loop: Header=BB267_12 Depth=1
	v_cmp_eq_u16_sdwa s[30:31], v36, s28 src0_sel:BYTE_0 src1_sel:DWORD
	s_mov_b64 s[4:5], -1
                                        ; implicit-def: $sgpr26
	s_and_saveexec_b64 s[24:25], s[30:31]
; %bb.342:                              ;   in Loop: Header=BB267_12 Depth=1
	s_mov_b32 s26, 0x7fc02000
	s_xor_b64 s[4:5], exec, -1
; %bb.343:                              ;   in Loop: Header=BB267_12 Depth=1
	s_or_b64 exec, exec, s[24:25]
	s_and_b64 s[4:5], s[4:5], exec
	s_or_saveexec_b64 s[22:23], s[22:23]
	v_mov_b32_e32 v0, s26
	s_xor_b64 exec, exec, s[22:23]
	s_cbranch_execz .LBB267_97
.LBB267_344:                            ;   in Loop: Header=BB267_12 Depth=1
	v_cmp_ne_u16_sdwa s[24:25], v36, v5 src0_sel:BYTE_0 src1_sel:DWORD
	s_andn2_b64 s[4:5], s[4:5], exec
	s_and_b64 s[24:25], s[24:25], exec
	v_mov_b32_e32 v0, 0
	s_or_b64 s[4:5], s[4:5], s[24:25]
	s_or_b64 exec, exec, s[22:23]
	s_and_saveexec_b64 s[22:23], s[4:5]
	s_cbranch_execnz .LBB267_98
	s_branch .LBB267_99
.LBB267_345:                            ;   in Loop: Header=BB267_12 Depth=1
	v_cmp_eq_u16_e64 s[4:5], s28, v4
	s_mov_b64 s[22:23], -1
                                        ; implicit-def: $sgpr30
	s_and_saveexec_b64 s[26:27], s[4:5]
; %bb.346:                              ;   in Loop: Header=BB267_12 Depth=1
	s_mov_b32 s30, 0x7fc02000
	s_xor_b64 s[22:23], exec, -1
; %bb.347:                              ;   in Loop: Header=BB267_12 Depth=1
	s_or_b64 exec, exec, s[26:27]
	s_and_b64 s[22:23], s[22:23], exec
	s_or_saveexec_b64 s[24:25], s[24:25]
	v_mov_b32_e32 v43, s30
	s_xor_b64 exec, exec, s[24:25]
	s_cbranch_execz .LBB267_101
.LBB267_348:                            ;   in Loop: Header=BB267_12 Depth=1
	v_cmp_ne_u16_e64 s[4:5], 0, v4
	s_andn2_b64 s[22:23], s[22:23], exec
	s_and_b64 s[4:5], s[4:5], exec
	v_mov_b32_e32 v43, 0
	s_or_b64 s[22:23], s[22:23], s[4:5]
	s_or_b64 exec, exec, s[24:25]
	s_and_saveexec_b64 s[24:25], s[22:23]
	s_cbranch_execnz .LBB267_102
	s_branch .LBB267_103
.LBB267_349:                            ;   in Loop: Header=BB267_12 Depth=1
	v_cmp_eq_u16_sdwa s[30:31], v4, s28 src0_sel:BYTE_0 src1_sel:DWORD
	s_mov_b64 s[4:5], -1
                                        ; implicit-def: $sgpr26
	s_and_saveexec_b64 s[24:25], s[30:31]
; %bb.350:                              ;   in Loop: Header=BB267_12 Depth=1
	s_mov_b32 s26, 0x7fc02000
	s_xor_b64 s[4:5], exec, -1
; %bb.351:                              ;   in Loop: Header=BB267_12 Depth=1
	s_or_b64 exec, exec, s[24:25]
	s_and_b64 s[4:5], s[4:5], exec
	s_or_saveexec_b64 s[22:23], s[22:23]
	v_mov_b32_e32 v47, s26
	s_xor_b64 exec, exec, s[22:23]
	s_cbranch_execz .LBB267_105
.LBB267_352:                            ;   in Loop: Header=BB267_12 Depth=1
	v_cmp_ne_u16_sdwa s[24:25], v4, v5 src0_sel:BYTE_0 src1_sel:DWORD
	s_andn2_b64 s[4:5], s[4:5], exec
	s_and_b64 s[24:25], s[24:25], exec
	v_mov_b32_e32 v47, 0
	s_or_b64 s[4:5], s[4:5], s[24:25]
	s_or_b64 exec, exec, s[22:23]
	s_and_saveexec_b64 s[22:23], s[4:5]
	s_cbranch_execnz .LBB267_106
	s_branch .LBB267_107
.LBB267_353:                            ;   in Loop: Header=BB267_12 Depth=1
	v_cmp_eq_u16_e64 s[4:5], s28, v4
	s_mov_b64 s[22:23], -1
                                        ; implicit-def: $sgpr30
	s_and_saveexec_b64 s[26:27], s[4:5]
; %bb.354:                              ;   in Loop: Header=BB267_12 Depth=1
	s_mov_b32 s30, 0x7fc02000
	s_xor_b64 s[22:23], exec, -1
; %bb.355:                              ;   in Loop: Header=BB267_12 Depth=1
	s_or_b64 exec, exec, s[26:27]
	s_and_b64 s[22:23], s[22:23], exec
	s_or_saveexec_b64 s[24:25], s[24:25]
	v_mov_b32_e32 v40, s30
	s_xor_b64 exec, exec, s[24:25]
	s_cbranch_execz .LBB267_109
.LBB267_356:                            ;   in Loop: Header=BB267_12 Depth=1
	v_cmp_ne_u16_e64 s[4:5], 0, v4
	s_andn2_b64 s[22:23], s[22:23], exec
	s_and_b64 s[4:5], s[4:5], exec
	v_mov_b32_e32 v40, 0
	s_or_b64 s[22:23], s[22:23], s[4:5]
	s_or_b64 exec, exec, s[24:25]
	s_and_saveexec_b64 s[24:25], s[22:23]
	s_cbranch_execnz .LBB267_110
	s_branch .LBB267_111
.LBB267_357:                            ;   in Loop: Header=BB267_12 Depth=1
	v_cmp_eq_u16_sdwa s[30:31], v36, s28 src0_sel:BYTE_0 src1_sel:DWORD
	s_mov_b64 s[4:5], -1
                                        ; implicit-def: $sgpr26
	s_and_saveexec_b64 s[24:25], s[30:31]
; %bb.358:                              ;   in Loop: Header=BB267_12 Depth=1
	s_mov_b32 s26, 0x7fc02000
	s_xor_b64 s[4:5], exec, -1
; %bb.359:                              ;   in Loop: Header=BB267_12 Depth=1
	s_or_b64 exec, exec, s[24:25]
	s_and_b64 s[4:5], s[4:5], exec
	s_or_saveexec_b64 s[22:23], s[22:23]
	v_mov_b32_e32 v0, s26
	s_xor_b64 exec, exec, s[22:23]
	s_cbranch_execz .LBB267_113
.LBB267_360:                            ;   in Loop: Header=BB267_12 Depth=1
	v_cmp_ne_u16_sdwa s[24:25], v36, v5 src0_sel:BYTE_0 src1_sel:DWORD
	s_andn2_b64 s[4:5], s[4:5], exec
	s_and_b64 s[24:25], s[24:25], exec
	v_mov_b32_e32 v0, 0
	s_or_b64 s[4:5], s[4:5], s[24:25]
	s_or_b64 exec, exec, s[22:23]
	s_and_saveexec_b64 s[22:23], s[4:5]
	s_cbranch_execnz .LBB267_114
	s_branch .LBB267_115
.LBB267_361:                            ;   in Loop: Header=BB267_12 Depth=1
	v_cmp_eq_u16_e64 s[4:5], s28, v4
	s_mov_b64 s[22:23], -1
                                        ; implicit-def: $sgpr30
	s_and_saveexec_b64 s[26:27], s[4:5]
; %bb.362:                              ;   in Loop: Header=BB267_12 Depth=1
	s_mov_b32 s30, 0x7fc02000
	s_xor_b64 s[22:23], exec, -1
; %bb.363:                              ;   in Loop: Header=BB267_12 Depth=1
	s_or_b64 exec, exec, s[26:27]
	s_and_b64 s[22:23], s[22:23], exec
	s_or_saveexec_b64 s[24:25], s[24:25]
	v_mov_b32_e32 v33, s30
	s_xor_b64 exec, exec, s[24:25]
	s_cbranch_execz .LBB267_117
.LBB267_364:                            ;   in Loop: Header=BB267_12 Depth=1
	v_cmp_ne_u16_e64 s[4:5], 0, v4
	s_andn2_b64 s[22:23], s[22:23], exec
	s_and_b64 s[4:5], s[4:5], exec
	v_mov_b32_e32 v33, 0
	s_or_b64 s[22:23], s[22:23], s[4:5]
	s_or_b64 exec, exec, s[24:25]
	s_and_saveexec_b64 s[24:25], s[22:23]
	s_cbranch_execnz .LBB267_118
	s_branch .LBB267_119
.LBB267_365:                            ;   in Loop: Header=BB267_12 Depth=1
	v_cmp_eq_u16_sdwa s[30:31], v4, s28 src0_sel:BYTE_0 src1_sel:DWORD
	s_mov_b64 s[4:5], -1
                                        ; implicit-def: $sgpr26
	s_and_saveexec_b64 s[24:25], s[30:31]
; %bb.366:                              ;   in Loop: Header=BB267_12 Depth=1
	s_mov_b32 s26, 0x7fc02000
	s_xor_b64 s[4:5], exec, -1
; %bb.367:                              ;   in Loop: Header=BB267_12 Depth=1
	s_or_b64 exec, exec, s[24:25]
	s_and_b64 s[4:5], s[4:5], exec
	s_or_saveexec_b64 s[22:23], s[22:23]
	v_mov_b32_e32 v54, s26
	s_xor_b64 exec, exec, s[22:23]
	s_cbranch_execz .LBB267_121
.LBB267_368:                            ;   in Loop: Header=BB267_12 Depth=1
	v_cmp_ne_u16_sdwa s[24:25], v4, v5 src0_sel:BYTE_0 src1_sel:DWORD
	s_andn2_b64 s[4:5], s[4:5], exec
	s_and_b64 s[24:25], s[24:25], exec
	v_mov_b32_e32 v54, 0
	s_or_b64 s[4:5], s[4:5], s[24:25]
	s_or_b64 exec, exec, s[22:23]
	s_and_saveexec_b64 s[22:23], s[4:5]
	s_cbranch_execnz .LBB267_122
	s_branch .LBB267_123
.LBB267_369:                            ;   in Loop: Header=BB267_12 Depth=1
	v_cmp_eq_u16_e64 s[4:5], s28, v4
	s_mov_b64 s[22:23], -1
                                        ; implicit-def: $sgpr30
	s_and_saveexec_b64 s[26:27], s[4:5]
; %bb.370:                              ;   in Loop: Header=BB267_12 Depth=1
	s_mov_b32 s30, 0x7fc02000
	s_xor_b64 s[22:23], exec, -1
; %bb.371:                              ;   in Loop: Header=BB267_12 Depth=1
	s_or_b64 exec, exec, s[26:27]
	s_and_b64 s[22:23], s[22:23], exec
	s_or_saveexec_b64 s[24:25], s[24:25]
	v_mov_b32_e32 v42, s30
	s_xor_b64 exec, exec, s[24:25]
	s_cbranch_execz .LBB267_125
.LBB267_372:                            ;   in Loop: Header=BB267_12 Depth=1
	v_cmp_ne_u16_e64 s[4:5], 0, v4
	s_andn2_b64 s[22:23], s[22:23], exec
	s_and_b64 s[4:5], s[4:5], exec
	v_mov_b32_e32 v42, 0
	s_or_b64 s[22:23], s[22:23], s[4:5]
	s_or_b64 exec, exec, s[24:25]
	s_and_saveexec_b64 s[24:25], s[22:23]
	s_cbranch_execnz .LBB267_126
	s_branch .LBB267_127
.LBB267_373:                            ;   in Loop: Header=BB267_12 Depth=1
	v_cmp_eq_u16_sdwa s[30:31], v36, s28 src0_sel:BYTE_0 src1_sel:DWORD
	s_mov_b64 s[4:5], -1
                                        ; implicit-def: $sgpr26
	s_and_saveexec_b64 s[24:25], s[30:31]
; %bb.374:                              ;   in Loop: Header=BB267_12 Depth=1
	s_mov_b32 s26, 0x7fc02000
	s_xor_b64 s[4:5], exec, -1
; %bb.375:                              ;   in Loop: Header=BB267_12 Depth=1
	s_or_b64 exec, exec, s[24:25]
	s_and_b64 s[4:5], s[4:5], exec
	s_or_saveexec_b64 s[22:23], s[22:23]
	v_mov_b32_e32 v0, s26
	s_xor_b64 exec, exec, s[22:23]
	s_cbranch_execz .LBB267_129
.LBB267_376:                            ;   in Loop: Header=BB267_12 Depth=1
	v_cmp_ne_u16_sdwa s[24:25], v36, v5 src0_sel:BYTE_0 src1_sel:DWORD
	s_andn2_b64 s[4:5], s[4:5], exec
	s_and_b64 s[24:25], s[24:25], exec
	v_mov_b32_e32 v0, 0
	s_or_b64 s[4:5], s[4:5], s[24:25]
	s_or_b64 exec, exec, s[22:23]
	s_and_saveexec_b64 s[22:23], s[4:5]
	s_cbranch_execnz .LBB267_130
	s_branch .LBB267_131
.LBB267_377:                            ;   in Loop: Header=BB267_12 Depth=1
	v_cmp_eq_u16_e64 s[4:5], s28, v4
	s_mov_b64 s[22:23], -1
                                        ; implicit-def: $sgpr30
	s_and_saveexec_b64 s[26:27], s[4:5]
; %bb.378:                              ;   in Loop: Header=BB267_12 Depth=1
	s_mov_b32 s30, 0x7fc02000
	s_xor_b64 s[22:23], exec, -1
; %bb.379:                              ;   in Loop: Header=BB267_12 Depth=1
	s_or_b64 exec, exec, s[26:27]
	s_and_b64 s[22:23], s[22:23], exec
	s_or_saveexec_b64 s[24:25], s[24:25]
	v_mov_b32_e32 v44, s30
	s_xor_b64 exec, exec, s[24:25]
	s_cbranch_execz .LBB267_133
.LBB267_380:                            ;   in Loop: Header=BB267_12 Depth=1
	v_cmp_ne_u16_e64 s[4:5], 0, v4
	s_andn2_b64 s[22:23], s[22:23], exec
	s_and_b64 s[4:5], s[4:5], exec
	v_mov_b32_e32 v44, 0
	s_or_b64 s[22:23], s[22:23], s[4:5]
	s_or_b64 exec, exec, s[24:25]
	s_and_saveexec_b64 s[24:25], s[22:23]
	s_cbranch_execnz .LBB267_134
	s_branch .LBB267_135
.LBB267_381:                            ;   in Loop: Header=BB267_12 Depth=1
	v_cmp_eq_u16_sdwa s[30:31], v4, s28 src0_sel:BYTE_0 src1_sel:DWORD
	s_mov_b64 s[4:5], -1
                                        ; implicit-def: $sgpr26
	s_and_saveexec_b64 s[24:25], s[30:31]
; %bb.382:                              ;   in Loop: Header=BB267_12 Depth=1
	s_mov_b32 s26, 0x7fc02000
	s_xor_b64 s[4:5], exec, -1
; %bb.383:                              ;   in Loop: Header=BB267_12 Depth=1
	s_or_b64 exec, exec, s[24:25]
	s_and_b64 s[4:5], s[4:5], exec
	s_or_saveexec_b64 s[22:23], s[22:23]
	v_mov_b32_e32 v46, s26
	s_xor_b64 exec, exec, s[22:23]
	s_cbranch_execz .LBB267_137
.LBB267_384:                            ;   in Loop: Header=BB267_12 Depth=1
	v_cmp_ne_u16_sdwa s[24:25], v4, v5 src0_sel:BYTE_0 src1_sel:DWORD
	s_andn2_b64 s[4:5], s[4:5], exec
	s_and_b64 s[24:25], s[24:25], exec
	v_mov_b32_e32 v46, 0
	s_or_b64 s[4:5], s[4:5], s[24:25]
	s_or_b64 exec, exec, s[22:23]
	s_and_saveexec_b64 s[22:23], s[4:5]
	s_cbranch_execnz .LBB267_138
	s_branch .LBB267_139
.LBB267_385:                            ;   in Loop: Header=BB267_12 Depth=1
	v_cmp_eq_u16_e64 s[4:5], s28, v4
	s_mov_b64 s[22:23], -1
                                        ; implicit-def: $sgpr30
	s_and_saveexec_b64 s[26:27], s[4:5]
; %bb.386:                              ;   in Loop: Header=BB267_12 Depth=1
	s_mov_b32 s30, 0x7fc02000
	s_xor_b64 s[22:23], exec, -1
; %bb.387:                              ;   in Loop: Header=BB267_12 Depth=1
	s_or_b64 exec, exec, s[26:27]
	s_and_b64 s[22:23], s[22:23], exec
	s_or_saveexec_b64 s[24:25], s[24:25]
	v_mov_b32_e32 v9, s30
	s_xor_b64 exec, exec, s[24:25]
	s_cbranch_execz .LBB267_141
.LBB267_388:                            ;   in Loop: Header=BB267_12 Depth=1
	v_cmp_ne_u16_e64 s[4:5], 0, v4
	s_andn2_b64 s[22:23], s[22:23], exec
	s_and_b64 s[4:5], s[4:5], exec
	v_mov_b32_e32 v9, 0
	s_or_b64 s[22:23], s[22:23], s[4:5]
	s_or_b64 exec, exec, s[24:25]
	s_and_saveexec_b64 s[24:25], s[22:23]
	s_cbranch_execnz .LBB267_142
	s_branch .LBB267_143
.LBB267_389:                            ;   in Loop: Header=BB267_12 Depth=1
	v_cmp_eq_u16_sdwa s[30:31], v36, s28 src0_sel:BYTE_0 src1_sel:DWORD
	s_mov_b64 s[4:5], -1
                                        ; implicit-def: $sgpr26
	s_and_saveexec_b64 s[24:25], s[30:31]
; %bb.390:                              ;   in Loop: Header=BB267_12 Depth=1
	s_mov_b32 s26, 0x7fc02000
	s_xor_b64 s[4:5], exec, -1
; %bb.391:                              ;   in Loop: Header=BB267_12 Depth=1
	s_or_b64 exec, exec, s[24:25]
	s_and_b64 s[4:5], s[4:5], exec
	s_or_saveexec_b64 s[22:23], s[22:23]
	v_mov_b32_e32 v50, s26
	s_xor_b64 exec, exec, s[22:23]
	s_cbranch_execz .LBB267_145
.LBB267_392:                            ;   in Loop: Header=BB267_12 Depth=1
	v_cmp_ne_u16_sdwa s[24:25], v36, v5 src0_sel:BYTE_0 src1_sel:DWORD
	s_andn2_b64 s[4:5], s[4:5], exec
	s_and_b64 s[24:25], s[24:25], exec
	v_mov_b32_e32 v50, 0
	s_or_b64 s[4:5], s[4:5], s[24:25]
	s_or_b64 exec, exec, s[22:23]
	s_and_saveexec_b64 s[22:23], s[4:5]
	s_cbranch_execnz .LBB267_146
	s_branch .LBB267_147
.LBB267_393:                            ;   in Loop: Header=BB267_12 Depth=1
	v_cmp_eq_u16_e64 s[4:5], s28, v4
	s_mov_b64 s[22:23], -1
                                        ; implicit-def: $sgpr30
	s_and_saveexec_b64 s[26:27], s[4:5]
; %bb.394:                              ;   in Loop: Header=BB267_12 Depth=1
	s_mov_b32 s30, 0x7fc02000
	s_xor_b64 s[22:23], exec, -1
; %bb.395:                              ;   in Loop: Header=BB267_12 Depth=1
	s_or_b64 exec, exec, s[26:27]
	s_and_b64 s[22:23], s[22:23], exec
	s_or_saveexec_b64 s[24:25], s[24:25]
	v_mov_b32_e32 v38, s30
	s_xor_b64 exec, exec, s[24:25]
	s_cbranch_execz .LBB267_149
.LBB267_396:                            ;   in Loop: Header=BB267_12 Depth=1
	v_cmp_ne_u16_e64 s[4:5], 0, v4
	s_andn2_b64 s[22:23], s[22:23], exec
	s_and_b64 s[4:5], s[4:5], exec
	v_mov_b32_e32 v38, 0
	s_or_b64 s[22:23], s[22:23], s[4:5]
	s_or_b64 exec, exec, s[24:25]
	s_and_saveexec_b64 s[24:25], s[22:23]
	s_cbranch_execnz .LBB267_150
	s_branch .LBB267_151
.LBB267_397:                            ;   in Loop: Header=BB267_12 Depth=1
	v_cmp_eq_u16_sdwa s[30:31], v4, s28 src0_sel:BYTE_0 src1_sel:DWORD
	s_mov_b64 s[4:5], -1
                                        ; implicit-def: $sgpr26
	s_and_saveexec_b64 s[24:25], s[30:31]
; %bb.398:                              ;   in Loop: Header=BB267_12 Depth=1
	s_mov_b32 s26, 0x7fc02000
	s_xor_b64 s[4:5], exec, -1
; %bb.399:                              ;   in Loop: Header=BB267_12 Depth=1
	s_or_b64 exec, exec, s[24:25]
	s_and_b64 s[4:5], s[4:5], exec
	s_or_saveexec_b64 s[22:23], s[22:23]
	v_mov_b32_e32 v18, s26
	s_xor_b64 exec, exec, s[22:23]
	s_cbranch_execz .LBB267_153
.LBB267_400:                            ;   in Loop: Header=BB267_12 Depth=1
	v_cmp_ne_u16_sdwa s[24:25], v4, v5 src0_sel:BYTE_0 src1_sel:DWORD
	s_andn2_b64 s[4:5], s[4:5], exec
	s_and_b64 s[24:25], s[24:25], exec
	v_mov_b32_e32 v18, 0
	s_or_b64 s[4:5], s[4:5], s[24:25]
	s_or_b64 exec, exec, s[22:23]
	s_and_saveexec_b64 s[22:23], s[4:5]
	s_cbranch_execnz .LBB267_154
	s_branch .LBB267_155
.LBB267_401:                            ;   in Loop: Header=BB267_12 Depth=1
	v_cmp_eq_u16_e64 s[4:5], s28, v4
	s_mov_b64 s[22:23], -1
                                        ; implicit-def: $sgpr30
	s_and_saveexec_b64 s[26:27], s[4:5]
; %bb.402:                              ;   in Loop: Header=BB267_12 Depth=1
	s_mov_b32 s30, 0x7fc02000
	s_xor_b64 s[22:23], exec, -1
; %bb.403:                              ;   in Loop: Header=BB267_12 Depth=1
	s_or_b64 exec, exec, s[26:27]
	s_and_b64 s[22:23], s[22:23], exec
	s_or_saveexec_b64 s[24:25], s[24:25]
	v_mov_b32_e32 v8, s30
	s_xor_b64 exec, exec, s[24:25]
	s_cbranch_execz .LBB267_157
.LBB267_404:                            ;   in Loop: Header=BB267_12 Depth=1
	v_cmp_ne_u16_e64 s[4:5], 0, v4
	s_andn2_b64 s[22:23], s[22:23], exec
	s_and_b64 s[4:5], s[4:5], exec
	v_mov_b32_e32 v8, 0
	s_or_b64 s[22:23], s[22:23], s[4:5]
	s_or_b64 exec, exec, s[24:25]
	s_and_saveexec_b64 s[24:25], s[22:23]
	s_cbranch_execnz .LBB267_158
	s_branch .LBB267_159
.LBB267_405:                            ;   in Loop: Header=BB267_12 Depth=1
	v_cmp_eq_u16_sdwa s[30:31], v36, s28 src0_sel:BYTE_0 src1_sel:DWORD
	s_mov_b64 s[4:5], -1
                                        ; implicit-def: $sgpr26
	s_and_saveexec_b64 s[24:25], s[30:31]
; %bb.406:                              ;   in Loop: Header=BB267_12 Depth=1
	s_mov_b32 s26, 0x7fc02000
	s_xor_b64 s[4:5], exec, -1
; %bb.407:                              ;   in Loop: Header=BB267_12 Depth=1
	s_or_b64 exec, exec, s[24:25]
	s_and_b64 s[4:5], s[4:5], exec
	s_or_saveexec_b64 s[22:23], s[22:23]
	v_mov_b32_e32 v48, s26
	s_xor_b64 exec, exec, s[22:23]
	s_cbranch_execz .LBB267_161
.LBB267_408:                            ;   in Loop: Header=BB267_12 Depth=1
	v_cmp_ne_u16_sdwa s[24:25], v36, v5 src0_sel:BYTE_0 src1_sel:DWORD
	s_andn2_b64 s[4:5], s[4:5], exec
	s_and_b64 s[24:25], s[24:25], exec
	v_mov_b32_e32 v48, 0
	s_or_b64 s[4:5], s[4:5], s[24:25]
	s_or_b64 exec, exec, s[22:23]
	s_and_saveexec_b64 s[22:23], s[4:5]
	s_cbranch_execnz .LBB267_162
	s_branch .LBB267_163
.LBB267_409:                            ;   in Loop: Header=BB267_12 Depth=1
	v_cmp_eq_u16_e64 s[4:5], s28, v4
	s_mov_b64 s[22:23], -1
                                        ; implicit-def: $sgpr30
	s_and_saveexec_b64 s[26:27], s[4:5]
; %bb.410:                              ;   in Loop: Header=BB267_12 Depth=1
	s_mov_b32 s30, 0x7fc02000
	s_xor_b64 s[22:23], exec, -1
; %bb.411:                              ;   in Loop: Header=BB267_12 Depth=1
	s_or_b64 exec, exec, s[26:27]
	s_and_b64 s[22:23], s[22:23], exec
	s_or_saveexec_b64 s[24:25], s[24:25]
	v_mov_b32_e32 v28, s30
	s_xor_b64 exec, exec, s[24:25]
	s_cbranch_execz .LBB267_165
.LBB267_412:                            ;   in Loop: Header=BB267_12 Depth=1
	v_cmp_ne_u16_e64 s[4:5], 0, v4
	s_andn2_b64 s[22:23], s[22:23], exec
	s_and_b64 s[4:5], s[4:5], exec
	v_mov_b32_e32 v28, 0
	s_or_b64 s[22:23], s[22:23], s[4:5]
	s_or_b64 exec, exec, s[24:25]
	s_and_saveexec_b64 s[24:25], s[22:23]
	s_cbranch_execnz .LBB267_166
	s_branch .LBB267_167
.LBB267_413:                            ;   in Loop: Header=BB267_12 Depth=1
	v_cmp_eq_u16_sdwa s[30:31], v4, s28 src0_sel:BYTE_0 src1_sel:DWORD
	s_mov_b64 s[4:5], -1
                                        ; implicit-def: $sgpr26
	s_and_saveexec_b64 s[24:25], s[30:31]
; %bb.414:                              ;   in Loop: Header=BB267_12 Depth=1
	s_mov_b32 s26, 0x7fc02000
	s_xor_b64 s[4:5], exec, -1
; %bb.415:                              ;   in Loop: Header=BB267_12 Depth=1
	s_or_b64 exec, exec, s[24:25]
	s_and_b64 s[4:5], s[4:5], exec
	s_or_saveexec_b64 s[22:23], s[22:23]
	v_mov_b32_e32 v29, s26
	s_xor_b64 exec, exec, s[22:23]
	s_cbranch_execz .LBB267_169
.LBB267_416:                            ;   in Loop: Header=BB267_12 Depth=1
	v_cmp_ne_u16_sdwa s[24:25], v4, v5 src0_sel:BYTE_0 src1_sel:DWORD
	s_andn2_b64 s[4:5], s[4:5], exec
	s_and_b64 s[24:25], s[24:25], exec
	v_mov_b32_e32 v29, 0
	s_or_b64 s[4:5], s[4:5], s[24:25]
	s_or_b64 exec, exec, s[22:23]
	s_and_saveexec_b64 s[22:23], s[4:5]
	s_cbranch_execnz .LBB267_170
	s_branch .LBB267_171
.LBB267_417:                            ;   in Loop: Header=BB267_12 Depth=1
	v_cmp_eq_u16_e64 s[4:5], s28, v4
	s_mov_b64 s[22:23], -1
                                        ; implicit-def: $sgpr30
	s_and_saveexec_b64 s[26:27], s[4:5]
; %bb.418:                              ;   in Loop: Header=BB267_12 Depth=1
	s_mov_b32 s30, 0x7fc02000
	s_xor_b64 s[22:23], exec, -1
; %bb.419:                              ;   in Loop: Header=BB267_12 Depth=1
	s_or_b64 exec, exec, s[26:27]
	s_and_b64 s[22:23], s[22:23], exec
	s_or_saveexec_b64 s[24:25], s[24:25]
	v_mov_b32_e32 v30, s30
	s_xor_b64 exec, exec, s[24:25]
	s_cbranch_execz .LBB267_173
.LBB267_420:                            ;   in Loop: Header=BB267_12 Depth=1
	v_cmp_ne_u16_e64 s[4:5], 0, v4
	s_andn2_b64 s[22:23], s[22:23], exec
	s_and_b64 s[4:5], s[4:5], exec
	v_mov_b32_e32 v30, 0
	s_or_b64 s[22:23], s[22:23], s[4:5]
	s_or_b64 exec, exec, s[24:25]
	s_and_saveexec_b64 s[24:25], s[22:23]
	s_cbranch_execnz .LBB267_174
	s_branch .LBB267_175
.LBB267_421:                            ;   in Loop: Header=BB267_12 Depth=1
	v_cmp_eq_u16_sdwa s[30:31], v36, s28 src0_sel:BYTE_0 src1_sel:DWORD
	s_mov_b64 s[4:5], -1
                                        ; implicit-def: $sgpr26
	s_and_saveexec_b64 s[24:25], s[30:31]
; %bb.422:                              ;   in Loop: Header=BB267_12 Depth=1
	s_mov_b32 s26, 0x7fc02000
	s_xor_b64 s[4:5], exec, -1
; %bb.423:                              ;   in Loop: Header=BB267_12 Depth=1
	s_or_b64 exec, exec, s[24:25]
	s_and_b64 s[4:5], s[4:5], exec
	s_or_saveexec_b64 s[22:23], s[22:23]
	v_mov_b32_e32 v31, s26
	s_xor_b64 exec, exec, s[22:23]
	s_cbranch_execz .LBB267_177
.LBB267_424:                            ;   in Loop: Header=BB267_12 Depth=1
	v_cmp_ne_u16_sdwa s[24:25], v36, v5 src0_sel:BYTE_0 src1_sel:DWORD
	s_andn2_b64 s[4:5], s[4:5], exec
	s_and_b64 s[24:25], s[24:25], exec
	v_mov_b32_e32 v31, 0
	s_or_b64 s[4:5], s[4:5], s[24:25]
	s_or_b64 exec, exec, s[22:23]
	s_and_saveexec_b64 s[22:23], s[4:5]
	s_cbranch_execnz .LBB267_178
	s_branch .LBB267_179
.LBB267_425:                            ;   in Loop: Header=BB267_12 Depth=1
	v_cmp_eq_u16_e64 s[4:5], s28, v4
	s_mov_b64 s[22:23], -1
                                        ; implicit-def: $sgpr30
	s_and_saveexec_b64 s[26:27], s[4:5]
; %bb.426:                              ;   in Loop: Header=BB267_12 Depth=1
	s_mov_b32 s30, 0x7fc02000
	s_xor_b64 s[22:23], exec, -1
; %bb.427:                              ;   in Loop: Header=BB267_12 Depth=1
	s_or_b64 exec, exec, s[26:27]
	s_and_b64 s[22:23], s[22:23], exec
	s_or_saveexec_b64 s[24:25], s[24:25]
	v_mov_b32_e32 v45, s30
	s_xor_b64 exec, exec, s[24:25]
	s_cbranch_execz .LBB267_181
.LBB267_428:                            ;   in Loop: Header=BB267_12 Depth=1
	v_cmp_ne_u16_e64 s[4:5], 0, v4
	s_andn2_b64 s[22:23], s[22:23], exec
	s_and_b64 s[4:5], s[4:5], exec
	v_mov_b32_e32 v45, 0
	s_or_b64 s[22:23], s[22:23], s[4:5]
	s_or_b64 exec, exec, s[24:25]
	s_and_saveexec_b64 s[24:25], s[22:23]
	s_cbranch_execnz .LBB267_182
	s_branch .LBB267_183
.LBB267_429:                            ;   in Loop: Header=BB267_12 Depth=1
	v_cmp_eq_u16_sdwa s[30:31], v4, s28 src0_sel:BYTE_0 src1_sel:DWORD
	s_mov_b64 s[4:5], -1
                                        ; implicit-def: $sgpr26
	s_and_saveexec_b64 s[24:25], s[30:31]
; %bb.430:                              ;   in Loop: Header=BB267_12 Depth=1
	s_mov_b32 s26, 0x7fc02000
	s_xor_b64 s[4:5], exec, -1
; %bb.431:                              ;   in Loop: Header=BB267_12 Depth=1
	s_or_b64 exec, exec, s[24:25]
	s_and_b64 s[4:5], s[4:5], exec
	s_or_saveexec_b64 s[22:23], s[22:23]
	v_mov_b32_e32 v21, s26
	s_xor_b64 exec, exec, s[22:23]
	s_cbranch_execz .LBB267_185
.LBB267_432:                            ;   in Loop: Header=BB267_12 Depth=1
	v_cmp_ne_u16_sdwa s[24:25], v4, v5 src0_sel:BYTE_0 src1_sel:DWORD
	s_andn2_b64 s[4:5], s[4:5], exec
	s_and_b64 s[24:25], s[24:25], exec
	v_mov_b32_e32 v21, 0
	s_or_b64 s[4:5], s[4:5], s[24:25]
	s_or_b64 exec, exec, s[22:23]
	s_and_saveexec_b64 s[22:23], s[4:5]
	s_cbranch_execnz .LBB267_186
	s_branch .LBB267_187
.LBB267_433:                            ;   in Loop: Header=BB267_12 Depth=1
	v_cmp_eq_u16_e64 s[4:5], s28, v4
	s_mov_b64 s[22:23], -1
                                        ; implicit-def: $sgpr30
	s_and_saveexec_b64 s[26:27], s[4:5]
; %bb.434:                              ;   in Loop: Header=BB267_12 Depth=1
	s_mov_b32 s30, 0x7fc02000
	s_xor_b64 s[22:23], exec, -1
; %bb.435:                              ;   in Loop: Header=BB267_12 Depth=1
	s_or_b64 exec, exec, s[26:27]
	s_and_b64 s[22:23], s[22:23], exec
	s_or_saveexec_b64 s[24:25], s[24:25]
	v_mov_b32_e32 v20, s30
	s_xor_b64 exec, exec, s[24:25]
	s_cbranch_execz .LBB267_189
.LBB267_436:                            ;   in Loop: Header=BB267_12 Depth=1
	v_cmp_ne_u16_e64 s[4:5], 0, v4
	s_andn2_b64 s[22:23], s[22:23], exec
	s_and_b64 s[4:5], s[4:5], exec
	v_mov_b32_e32 v20, 0
	s_or_b64 s[22:23], s[22:23], s[4:5]
	s_or_b64 exec, exec, s[24:25]
	s_and_saveexec_b64 s[24:25], s[22:23]
	s_cbranch_execnz .LBB267_190
	s_branch .LBB267_191
.LBB267_437:                            ;   in Loop: Header=BB267_12 Depth=1
	v_cmp_eq_u16_sdwa s[30:31], v36, s28 src0_sel:BYTE_0 src1_sel:DWORD
	s_mov_b64 s[4:5], -1
                                        ; implicit-def: $sgpr26
	s_and_saveexec_b64 s[24:25], s[30:31]
; %bb.438:                              ;   in Loop: Header=BB267_12 Depth=1
	s_mov_b32 s26, 0x7fc02000
	s_xor_b64 s[4:5], exec, -1
; %bb.439:                              ;   in Loop: Header=BB267_12 Depth=1
	s_or_b64 exec, exec, s[24:25]
	s_and_b64 s[4:5], s[4:5], exec
	s_or_saveexec_b64 s[22:23], s[22:23]
	v_mov_b32_e32 v55, s26
	s_xor_b64 exec, exec, s[22:23]
	s_cbranch_execz .LBB267_193
.LBB267_440:                            ;   in Loop: Header=BB267_12 Depth=1
	v_cmp_ne_u16_sdwa s[24:25], v36, v5 src0_sel:BYTE_0 src1_sel:DWORD
	s_andn2_b64 s[4:5], s[4:5], exec
	s_and_b64 s[24:25], s[24:25], exec
	v_mov_b32_e32 v55, 0
	s_or_b64 s[4:5], s[4:5], s[24:25]
	s_or_b64 exec, exec, s[22:23]
	s_and_saveexec_b64 s[22:23], s[4:5]
	s_cbranch_execnz .LBB267_194
	s_branch .LBB267_195
.LBB267_441:                            ;   in Loop: Header=BB267_12 Depth=1
	v_cmp_eq_u16_e64 s[4:5], s28, v4
	s_mov_b64 s[22:23], -1
                                        ; implicit-def: $sgpr30
	s_and_saveexec_b64 s[26:27], s[4:5]
; %bb.442:                              ;   in Loop: Header=BB267_12 Depth=1
	s_mov_b32 s30, 0x7fc02000
	s_xor_b64 s[22:23], exec, -1
; %bb.443:                              ;   in Loop: Header=BB267_12 Depth=1
	s_or_b64 exec, exec, s[26:27]
	s_and_b64 s[22:23], s[22:23], exec
	s_or_saveexec_b64 s[24:25], s[24:25]
	v_mov_b32_e32 v2, s30
	s_xor_b64 exec, exec, s[24:25]
	s_cbranch_execz .LBB267_197
.LBB267_444:                            ;   in Loop: Header=BB267_12 Depth=1
	v_cmp_ne_u16_e64 s[4:5], 0, v4
	s_andn2_b64 s[22:23], s[22:23], exec
	s_and_b64 s[4:5], s[4:5], exec
	v_mov_b32_e32 v2, 0
	s_or_b64 s[22:23], s[22:23], s[4:5]
	s_or_b64 exec, exec, s[24:25]
	s_and_saveexec_b64 s[24:25], s[22:23]
	s_cbranch_execnz .LBB267_198
	s_branch .LBB267_199
.LBB267_445:                            ;   in Loop: Header=BB267_12 Depth=1
	v_cmp_eq_u16_sdwa s[30:31], v4, s28 src0_sel:BYTE_0 src1_sel:DWORD
	s_mov_b64 s[4:5], -1
                                        ; implicit-def: $sgpr26
	s_and_saveexec_b64 s[24:25], s[30:31]
; %bb.446:                              ;   in Loop: Header=BB267_12 Depth=1
	s_mov_b32 s26, 0x7fc02000
	s_xor_b64 s[4:5], exec, -1
; %bb.447:                              ;   in Loop: Header=BB267_12 Depth=1
	s_or_b64 exec, exec, s[24:25]
	s_and_b64 s[4:5], s[4:5], exec
	s_or_saveexec_b64 s[22:23], s[22:23]
	v_mov_b32_e32 v39, s26
	s_xor_b64 exec, exec, s[22:23]
	s_cbranch_execz .LBB267_201
.LBB267_448:                            ;   in Loop: Header=BB267_12 Depth=1
	v_cmp_ne_u16_sdwa s[24:25], v4, v5 src0_sel:BYTE_0 src1_sel:DWORD
	s_andn2_b64 s[4:5], s[4:5], exec
	s_and_b64 s[24:25], s[24:25], exec
	v_mov_b32_e32 v39, 0
	s_or_b64 s[4:5], s[4:5], s[24:25]
	s_or_b64 exec, exec, s[22:23]
	s_and_saveexec_b64 s[22:23], s[4:5]
	s_cbranch_execnz .LBB267_202
	s_branch .LBB267_203
.LBB267_449:                            ;   in Loop: Header=BB267_12 Depth=1
	v_cmp_eq_u16_e64 s[4:5], s28, v4
	s_mov_b64 s[22:23], -1
                                        ; implicit-def: $sgpr30
	s_and_saveexec_b64 s[26:27], s[4:5]
; %bb.450:                              ;   in Loop: Header=BB267_12 Depth=1
	s_mov_b32 s30, 0x7fc02000
	s_xor_b64 s[22:23], exec, -1
; %bb.451:                              ;   in Loop: Header=BB267_12 Depth=1
	s_or_b64 exec, exec, s[26:27]
	s_and_b64 s[22:23], s[22:23], exec
	s_or_saveexec_b64 s[24:25], s[24:25]
	v_mov_b32_e32 v56, s30
	s_xor_b64 exec, exec, s[24:25]
	s_cbranch_execz .LBB267_205
.LBB267_452:                            ;   in Loop: Header=BB267_12 Depth=1
	v_cmp_ne_u16_e64 s[4:5], 0, v4
	s_andn2_b64 s[22:23], s[22:23], exec
	s_and_b64 s[4:5], s[4:5], exec
	v_mov_b32_e32 v56, 0
	s_or_b64 s[22:23], s[22:23], s[4:5]
	s_or_b64 exec, exec, s[24:25]
	s_and_saveexec_b64 s[24:25], s[22:23]
	s_cbranch_execnz .LBB267_206
	s_branch .LBB267_207
.LBB267_453:                            ;   in Loop: Header=BB267_12 Depth=1
	v_cmp_eq_u16_sdwa s[30:31], v36, s28 src0_sel:BYTE_0 src1_sel:DWORD
	s_mov_b64 s[4:5], -1
                                        ; implicit-def: $sgpr26
	s_and_saveexec_b64 s[24:25], s[30:31]
; %bb.454:                              ;   in Loop: Header=BB267_12 Depth=1
	s_mov_b32 s26, 0x7fc02000
	s_xor_b64 s[4:5], exec, -1
; %bb.455:                              ;   in Loop: Header=BB267_12 Depth=1
	s_or_b64 exec, exec, s[24:25]
	s_and_b64 s[4:5], s[4:5], exec
	s_or_saveexec_b64 s[22:23], s[22:23]
	v_mov_b32_e32 v57, s26
	s_xor_b64 exec, exec, s[22:23]
	s_cbranch_execz .LBB267_209
.LBB267_456:                            ;   in Loop: Header=BB267_12 Depth=1
	v_cmp_ne_u16_sdwa s[24:25], v36, v5 src0_sel:BYTE_0 src1_sel:DWORD
	s_andn2_b64 s[4:5], s[4:5], exec
	s_and_b64 s[24:25], s[24:25], exec
	v_mov_b32_e32 v57, 0
	s_or_b64 s[4:5], s[4:5], s[24:25]
	s_or_b64 exec, exec, s[22:23]
	s_and_saveexec_b64 s[22:23], s[4:5]
	s_cbranch_execnz .LBB267_210
	s_branch .LBB267_211
.LBB267_457:                            ;   in Loop: Header=BB267_12 Depth=1
	v_cmp_eq_u16_e64 s[4:5], s28, v4
	s_mov_b64 s[22:23], -1
                                        ; implicit-def: $sgpr30
	s_and_saveexec_b64 s[26:27], s[4:5]
; %bb.458:                              ;   in Loop: Header=BB267_12 Depth=1
	s_mov_b32 s30, 0x7fc02000
	s_xor_b64 s[22:23], exec, -1
; %bb.459:                              ;   in Loop: Header=BB267_12 Depth=1
	s_or_b64 exec, exec, s[26:27]
	s_and_b64 s[22:23], s[22:23], exec
	s_or_saveexec_b64 s[24:25], s[24:25]
	v_mov_b32_e32 v58, s30
	s_xor_b64 exec, exec, s[24:25]
	s_cbranch_execz .LBB267_213
.LBB267_460:                            ;   in Loop: Header=BB267_12 Depth=1
	v_cmp_ne_u16_e64 s[4:5], 0, v4
	s_andn2_b64 s[22:23], s[22:23], exec
	s_and_b64 s[4:5], s[4:5], exec
	v_mov_b32_e32 v58, 0
	s_or_b64 s[22:23], s[22:23], s[4:5]
	s_or_b64 exec, exec, s[24:25]
	s_and_saveexec_b64 s[24:25], s[22:23]
	s_cbranch_execnz .LBB267_214
	s_branch .LBB267_215
.LBB267_461:                            ;   in Loop: Header=BB267_12 Depth=1
	v_cmp_eq_u16_sdwa s[30:31], v4, s28 src0_sel:BYTE_0 src1_sel:DWORD
	s_mov_b64 s[4:5], -1
                                        ; implicit-def: $sgpr26
	s_and_saveexec_b64 s[24:25], s[30:31]
; %bb.462:                              ;   in Loop: Header=BB267_12 Depth=1
	s_mov_b32 s26, 0x7fc02000
	s_xor_b64 s[4:5], exec, -1
; %bb.463:                              ;   in Loop: Header=BB267_12 Depth=1
	s_or_b64 exec, exec, s[24:25]
	s_and_b64 s[4:5], s[4:5], exec
	s_or_saveexec_b64 s[22:23], s[22:23]
	v_mov_b32_e32 v59, s26
	s_xor_b64 exec, exec, s[22:23]
	s_cbranch_execz .LBB267_217
.LBB267_464:                            ;   in Loop: Header=BB267_12 Depth=1
	v_cmp_ne_u16_sdwa s[24:25], v4, v5 src0_sel:BYTE_0 src1_sel:DWORD
	s_andn2_b64 s[4:5], s[4:5], exec
	s_and_b64 s[24:25], s[24:25], exec
	v_mov_b32_e32 v59, 0
	s_or_b64 s[4:5], s[4:5], s[24:25]
	s_or_b64 exec, exec, s[22:23]
	s_and_saveexec_b64 s[22:23], s[4:5]
	s_cbranch_execnz .LBB267_218
	s_branch .LBB267_219
.LBB267_465:                            ;   in Loop: Header=BB267_12 Depth=1
	v_cmp_eq_u16_e64 s[4:5], s28, v4
	s_mov_b64 s[22:23], -1
                                        ; implicit-def: $sgpr30
	s_and_saveexec_b64 s[26:27], s[4:5]
; %bb.466:                              ;   in Loop: Header=BB267_12 Depth=1
	s_mov_b32 s30, 0x7fc02000
	s_xor_b64 s[22:23], exec, -1
; %bb.467:                              ;   in Loop: Header=BB267_12 Depth=1
	s_or_b64 exec, exec, s[26:27]
	s_and_b64 s[22:23], s[22:23], exec
	s_or_saveexec_b64 s[24:25], s[24:25]
	v_mov_b32_e32 v60, s30
	s_xor_b64 exec, exec, s[24:25]
	s_cbranch_execz .LBB267_221
.LBB267_468:                            ;   in Loop: Header=BB267_12 Depth=1
	v_cmp_ne_u16_e64 s[4:5], 0, v4
	s_andn2_b64 s[22:23], s[22:23], exec
	s_and_b64 s[4:5], s[4:5], exec
	v_mov_b32_e32 v60, 0
	s_or_b64 s[22:23], s[22:23], s[4:5]
	s_or_b64 exec, exec, s[24:25]
	s_and_saveexec_b64 s[24:25], s[22:23]
	s_cbranch_execnz .LBB267_222
	s_branch .LBB267_223
.LBB267_469:                            ;   in Loop: Header=BB267_12 Depth=1
	v_cmp_eq_u16_sdwa s[30:31], v36, s28 src0_sel:BYTE_0 src1_sel:DWORD
	s_mov_b64 s[4:5], -1
                                        ; implicit-def: $sgpr26
	s_and_saveexec_b64 s[24:25], s[30:31]
; %bb.470:                              ;   in Loop: Header=BB267_12 Depth=1
	s_mov_b32 s26, 0x7fc02000
	s_xor_b64 s[4:5], exec, -1
; %bb.471:                              ;   in Loop: Header=BB267_12 Depth=1
	s_or_b64 exec, exec, s[24:25]
	s_and_b64 s[4:5], s[4:5], exec
	s_or_saveexec_b64 s[22:23], s[22:23]
	v_mov_b32_e32 v61, s26
	s_xor_b64 exec, exec, s[22:23]
	s_cbranch_execz .LBB267_225
.LBB267_472:                            ;   in Loop: Header=BB267_12 Depth=1
	v_cmp_ne_u16_sdwa s[24:25], v36, v5 src0_sel:BYTE_0 src1_sel:DWORD
	s_andn2_b64 s[4:5], s[4:5], exec
	s_and_b64 s[24:25], s[24:25], exec
	v_mov_b32_e32 v61, 0
	s_or_b64 s[4:5], s[4:5], s[24:25]
	s_or_b64 exec, exec, s[22:23]
	s_and_saveexec_b64 s[22:23], s[4:5]
	s_cbranch_execnz .LBB267_226
	s_branch .LBB267_227
.LBB267_473:                            ;   in Loop: Header=BB267_12 Depth=1
	v_cmp_eq_u16_e64 s[4:5], s28, v4
	s_mov_b64 s[22:23], -1
                                        ; implicit-def: $sgpr30
	s_and_saveexec_b64 s[26:27], s[4:5]
; %bb.474:                              ;   in Loop: Header=BB267_12 Depth=1
	s_mov_b32 s30, 0x7fc02000
	s_xor_b64 s[22:23], exec, -1
; %bb.475:                              ;   in Loop: Header=BB267_12 Depth=1
	s_or_b64 exec, exec, s[26:27]
	s_and_b64 s[22:23], s[22:23], exec
	s_or_saveexec_b64 s[24:25], s[24:25]
	v_mov_b32_e32 v62, s30
	s_xor_b64 exec, exec, s[24:25]
	s_cbranch_execz .LBB267_229
.LBB267_476:                            ;   in Loop: Header=BB267_12 Depth=1
	v_cmp_ne_u16_e64 s[4:5], 0, v4
	s_andn2_b64 s[22:23], s[22:23], exec
	s_and_b64 s[4:5], s[4:5], exec
	v_mov_b32_e32 v62, 0
	s_or_b64 s[22:23], s[22:23], s[4:5]
	s_or_b64 exec, exec, s[24:25]
	s_and_saveexec_b64 s[24:25], s[22:23]
	s_cbranch_execnz .LBB267_230
	s_branch .LBB267_231
.LBB267_477:                            ;   in Loop: Header=BB267_12 Depth=1
	v_cmp_eq_u16_sdwa s[30:31], v4, s28 src0_sel:BYTE_0 src1_sel:DWORD
	s_mov_b64 s[4:5], -1
                                        ; implicit-def: $sgpr26
	s_and_saveexec_b64 s[24:25], s[30:31]
; %bb.478:                              ;   in Loop: Header=BB267_12 Depth=1
	s_mov_b32 s26, 0x7fc02000
	s_xor_b64 s[4:5], exec, -1
; %bb.479:                              ;   in Loop: Header=BB267_12 Depth=1
	s_or_b64 exec, exec, s[24:25]
	s_and_b64 s[4:5], s[4:5], exec
	s_or_saveexec_b64 s[22:23], s[22:23]
	v_mov_b32_e32 v17, s26
	s_xor_b64 exec, exec, s[22:23]
	s_cbranch_execz .LBB267_233
.LBB267_480:                            ;   in Loop: Header=BB267_12 Depth=1
	v_cmp_ne_u16_sdwa s[24:25], v4, v5 src0_sel:BYTE_0 src1_sel:DWORD
	s_andn2_b64 s[4:5], s[4:5], exec
	s_and_b64 s[24:25], s[24:25], exec
	v_mov_b32_e32 v17, 0
	s_or_b64 s[4:5], s[4:5], s[24:25]
	s_or_b64 exec, exec, s[22:23]
	s_and_saveexec_b64 s[22:23], s[4:5]
	s_cbranch_execnz .LBB267_234
	s_branch .LBB267_235
.LBB267_481:                            ;   in Loop: Header=BB267_12 Depth=1
	v_cmp_eq_u16_e64 s[4:5], s28, v4
	s_mov_b64 s[22:23], -1
                                        ; implicit-def: $sgpr30
	s_and_saveexec_b64 s[26:27], s[4:5]
; %bb.482:                              ;   in Loop: Header=BB267_12 Depth=1
	s_mov_b32 s30, 0x7fc02000
	s_xor_b64 s[22:23], exec, -1
; %bb.483:                              ;   in Loop: Header=BB267_12 Depth=1
	s_or_b64 exec, exec, s[26:27]
	s_and_b64 s[22:23], s[22:23], exec
	s_or_saveexec_b64 s[24:25], s[24:25]
	v_mov_b32_e32 v3, s30
	s_xor_b64 exec, exec, s[24:25]
	s_cbranch_execz .LBB267_237
.LBB267_484:                            ;   in Loop: Header=BB267_12 Depth=1
	v_cmp_ne_u16_e64 s[4:5], 0, v4
	s_andn2_b64 s[22:23], s[22:23], exec
	s_and_b64 s[4:5], s[4:5], exec
	v_mov_b32_e32 v3, 0
	s_or_b64 s[22:23], s[22:23], s[4:5]
	s_or_b64 exec, exec, s[24:25]
	s_and_saveexec_b64 s[24:25], s[22:23]
	s_cbranch_execnz .LBB267_238
	s_branch .LBB267_239
.LBB267_485:                            ;   in Loop: Header=BB267_12 Depth=1
	v_cmp_eq_u16_sdwa s[30:31], v36, s28 src0_sel:BYTE_0 src1_sel:DWORD
	s_mov_b64 s[4:5], -1
                                        ; implicit-def: $sgpr26
	s_and_saveexec_b64 s[24:25], s[30:31]
; %bb.486:                              ;   in Loop: Header=BB267_12 Depth=1
	s_mov_b32 s26, 0x7fc02000
	s_xor_b64 s[4:5], exec, -1
; %bb.487:                              ;   in Loop: Header=BB267_12 Depth=1
	s_or_b64 exec, exec, s[24:25]
	s_and_b64 s[4:5], s[4:5], exec
	s_or_saveexec_b64 s[22:23], s[22:23]
	v_mov_b32_e32 v27, s26
	s_xor_b64 exec, exec, s[22:23]
	s_cbranch_execz .LBB267_241
.LBB267_488:                            ;   in Loop: Header=BB267_12 Depth=1
	v_cmp_ne_u16_sdwa s[24:25], v36, v5 src0_sel:BYTE_0 src1_sel:DWORD
	s_andn2_b64 s[4:5], s[4:5], exec
	s_and_b64 s[24:25], s[24:25], exec
	v_mov_b32_e32 v27, 0
	s_or_b64 s[4:5], s[4:5], s[24:25]
	s_or_b64 exec, exec, s[22:23]
	s_and_saveexec_b64 s[22:23], s[4:5]
	s_cbranch_execnz .LBB267_242
	s_branch .LBB267_243
.LBB267_489:                            ;   in Loop: Header=BB267_12 Depth=1
	v_cmp_eq_u16_e64 s[4:5], s28, v4
	s_mov_b64 s[22:23], -1
                                        ; implicit-def: $sgpr30
	s_and_saveexec_b64 s[26:27], s[4:5]
; %bb.490:                              ;   in Loop: Header=BB267_12 Depth=1
	s_mov_b32 s30, 0x7fc02000
	s_xor_b64 s[22:23], exec, -1
; %bb.491:                              ;   in Loop: Header=BB267_12 Depth=1
	s_or_b64 exec, exec, s[26:27]
	s_and_b64 s[22:23], s[22:23], exec
	s_or_saveexec_b64 s[24:25], s[24:25]
	v_mov_b32_e32 v14, s30
	s_xor_b64 exec, exec, s[24:25]
	s_cbranch_execz .LBB267_245
.LBB267_492:                            ;   in Loop: Header=BB267_12 Depth=1
	v_cmp_ne_u16_e64 s[4:5], 0, v4
	s_andn2_b64 s[22:23], s[22:23], exec
	s_and_b64 s[4:5], s[4:5], exec
	v_mov_b32_e32 v14, 0
	s_or_b64 s[22:23], s[22:23], s[4:5]
	s_or_b64 exec, exec, s[24:25]
	s_and_saveexec_b64 s[24:25], s[22:23]
	s_cbranch_execnz .LBB267_246
	s_branch .LBB267_247
.LBB267_493:                            ;   in Loop: Header=BB267_12 Depth=1
	v_cmp_eq_u16_sdwa s[30:31], v4, s28 src0_sel:BYTE_0 src1_sel:DWORD
	s_mov_b64 s[4:5], -1
                                        ; implicit-def: $sgpr26
	s_and_saveexec_b64 s[24:25], s[30:31]
; %bb.494:                              ;   in Loop: Header=BB267_12 Depth=1
	s_mov_b32 s26, 0x7fc02000
	s_xor_b64 s[4:5], exec, -1
; %bb.495:                              ;   in Loop: Header=BB267_12 Depth=1
	s_or_b64 exec, exec, s[24:25]
	s_and_b64 s[4:5], s[4:5], exec
	s_or_saveexec_b64 s[22:23], s[22:23]
	v_mov_b32_e32 v23, s26
	s_xor_b64 exec, exec, s[22:23]
	s_cbranch_execz .LBB267_249
.LBB267_496:                            ;   in Loop: Header=BB267_12 Depth=1
	v_cmp_ne_u16_sdwa s[24:25], v4, v5 src0_sel:BYTE_0 src1_sel:DWORD
	s_andn2_b64 s[4:5], s[4:5], exec
	s_and_b64 s[24:25], s[24:25], exec
	v_mov_b32_e32 v23, 0
	s_or_b64 s[4:5], s[4:5], s[24:25]
	s_or_b64 exec, exec, s[22:23]
	s_and_saveexec_b64 s[22:23], s[4:5]
	s_cbranch_execnz .LBB267_250
	s_branch .LBB267_251
.LBB267_497:                            ;   in Loop: Header=BB267_12 Depth=1
	v_cmp_eq_u16_e64 s[4:5], s28, v4
	s_mov_b64 s[22:23], -1
                                        ; implicit-def: $sgpr30
	s_and_saveexec_b64 s[26:27], s[4:5]
; %bb.498:                              ;   in Loop: Header=BB267_12 Depth=1
	s_mov_b32 s30, 0x7fc02000
	s_xor_b64 s[22:23], exec, -1
; %bb.499:                              ;   in Loop: Header=BB267_12 Depth=1
	s_or_b64 exec, exec, s[26:27]
	s_and_b64 s[22:23], s[22:23], exec
	s_or_saveexec_b64 s[24:25], s[24:25]
	v_mov_b32_e32 v22, s30
	s_xor_b64 exec, exec, s[24:25]
	s_cbranch_execz .LBB267_253
.LBB267_500:                            ;   in Loop: Header=BB267_12 Depth=1
	v_cmp_ne_u16_e64 s[4:5], 0, v4
	s_andn2_b64 s[22:23], s[22:23], exec
	s_and_b64 s[4:5], s[4:5], exec
	v_mov_b32_e32 v22, 0
	s_or_b64 s[22:23], s[22:23], s[4:5]
	s_or_b64 exec, exec, s[24:25]
	s_and_saveexec_b64 s[24:25], s[22:23]
	s_cbranch_execnz .LBB267_254
	s_branch .LBB267_255
.LBB267_501:                            ;   in Loop: Header=BB267_12 Depth=1
	v_cmp_eq_u16_sdwa s[30:31], v36, s28 src0_sel:BYTE_0 src1_sel:DWORD
	s_mov_b64 s[4:5], -1
                                        ; implicit-def: $sgpr26
	s_and_saveexec_b64 s[24:25], s[30:31]
; %bb.502:                              ;   in Loop: Header=BB267_12 Depth=1
	s_mov_b32 s26, 0x7fc02000
	s_xor_b64 s[4:5], exec, -1
; %bb.503:                              ;   in Loop: Header=BB267_12 Depth=1
	s_or_b64 exec, exec, s[24:25]
	s_and_b64 s[4:5], s[4:5], exec
	s_or_saveexec_b64 s[22:23], s[22:23]
	v_mov_b32_e32 v37, s26
	s_xor_b64 exec, exec, s[22:23]
	s_cbranch_execz .LBB267_257
.LBB267_504:                            ;   in Loop: Header=BB267_12 Depth=1
	v_cmp_ne_u16_sdwa s[24:25], v36, v5 src0_sel:BYTE_0 src1_sel:DWORD
	s_andn2_b64 s[4:5], s[4:5], exec
	s_and_b64 s[24:25], s[24:25], exec
	v_mov_b32_e32 v37, 0
	s_or_b64 s[4:5], s[4:5], s[24:25]
	s_or_b64 exec, exec, s[22:23]
	s_and_saveexec_b64 s[22:23], s[4:5]
	s_cbranch_execnz .LBB267_258
	s_branch .LBB267_259
.LBB267_505:                            ;   in Loop: Header=BB267_12 Depth=1
	v_cmp_eq_u16_e64 s[4:5], s28, v4
	s_mov_b64 s[22:23], -1
                                        ; implicit-def: $sgpr30
	s_and_saveexec_b64 s[26:27], s[4:5]
; %bb.506:                              ;   in Loop: Header=BB267_12 Depth=1
	s_mov_b32 s30, 0x7fc02000
	s_xor_b64 s[22:23], exec, -1
; %bb.507:                              ;   in Loop: Header=BB267_12 Depth=1
	s_or_b64 exec, exec, s[26:27]
	s_and_b64 s[22:23], s[22:23], exec
	s_or_saveexec_b64 s[24:25], s[24:25]
	v_mov_b32_e32 v12, s30
	s_xor_b64 exec, exec, s[24:25]
	s_cbranch_execz .LBB267_261
.LBB267_508:                            ;   in Loop: Header=BB267_12 Depth=1
	v_cmp_ne_u16_e64 s[4:5], 0, v4
	s_andn2_b64 s[22:23], s[22:23], exec
	s_and_b64 s[4:5], s[4:5], exec
	v_mov_b32_e32 v12, 0
	s_or_b64 s[22:23], s[22:23], s[4:5]
	s_or_b64 exec, exec, s[24:25]
	s_and_saveexec_b64 s[24:25], s[22:23]
	s_cbranch_execnz .LBB267_262
	s_branch .LBB267_263
.LBB267_509:                            ;   in Loop: Header=BB267_12 Depth=1
	v_cmp_eq_u16_sdwa s[30:31], v4, s28 src0_sel:BYTE_0 src1_sel:DWORD
	s_mov_b64 s[4:5], -1
                                        ; implicit-def: $sgpr26
	s_and_saveexec_b64 s[24:25], s[30:31]
; %bb.510:                              ;   in Loop: Header=BB267_12 Depth=1
	s_mov_b32 s26, 0x7fc02000
	s_xor_b64 s[4:5], exec, -1
; %bb.511:                              ;   in Loop: Header=BB267_12 Depth=1
	s_or_b64 exec, exec, s[24:25]
	s_and_b64 s[4:5], s[4:5], exec
	s_or_saveexec_b64 s[22:23], s[22:23]
	v_mov_b32_e32 v0, s26
	s_xor_b64 exec, exec, s[22:23]
	s_cbranch_execz .LBB267_265
.LBB267_512:                            ;   in Loop: Header=BB267_12 Depth=1
	v_cmp_ne_u16_sdwa s[24:25], v4, v5 src0_sel:BYTE_0 src1_sel:DWORD
	s_andn2_b64 s[4:5], s[4:5], exec
	s_and_b64 s[24:25], s[24:25], exec
	v_mov_b32_e32 v0, 0
	s_or_b64 s[4:5], s[4:5], s[24:25]
	s_or_b64 exec, exec, s[22:23]
	s_and_saveexec_b64 s[22:23], s[4:5]
	s_cbranch_execnz .LBB267_266
	s_branch .LBB267_267
.LBB267_513:                            ;   in Loop: Header=BB267_12 Depth=1
	v_cmp_eq_u16_e64 s[4:5], s28, v4
	s_mov_b64 s[22:23], -1
                                        ; implicit-def: $sgpr30
	s_and_saveexec_b64 s[26:27], s[4:5]
; %bb.514:                              ;   in Loop: Header=BB267_12 Depth=1
	s_mov_b32 s30, 0x7fc02000
	s_xor_b64 s[22:23], exec, -1
; %bb.515:                              ;   in Loop: Header=BB267_12 Depth=1
	s_or_b64 exec, exec, s[26:27]
	s_and_b64 s[22:23], s[22:23], exec
	s_or_saveexec_b64 s[24:25], s[24:25]
	v_mov_b32_e32 v1, s30
	s_xor_b64 exec, exec, s[24:25]
	s_cbranch_execz .LBB267_269
.LBB267_516:                            ;   in Loop: Header=BB267_12 Depth=1
	v_cmp_ne_u16_e64 s[4:5], 0, v4
	s_andn2_b64 s[22:23], s[22:23], exec
	s_and_b64 s[4:5], s[4:5], exec
	v_mov_b32_e32 v1, 0
	s_or_b64 s[22:23], s[22:23], s[4:5]
	s_or_b64 exec, exec, s[24:25]
	s_and_saveexec_b64 s[24:25], s[22:23]
	s_cbranch_execnz .LBB267_270
	s_branch .LBB267_271
.LBB267_517:                            ;   in Loop: Header=BB267_12 Depth=1
	v_cmp_eq_u16_sdwa s[30:31], v34, s28 src0_sel:BYTE_0 src1_sel:DWORD
	s_mov_b64 s[4:5], -1
                                        ; implicit-def: $sgpr26
	s_and_saveexec_b64 s[24:25], s[30:31]
; %bb.518:                              ;   in Loop: Header=BB267_12 Depth=1
	s_mov_b32 s26, 0x7fc02000
	s_xor_b64 s[4:5], exec, -1
; %bb.519:                              ;   in Loop: Header=BB267_12 Depth=1
	s_or_b64 exec, exec, s[24:25]
	s_and_b64 s[4:5], s[4:5], exec
	s_or_saveexec_b64 s[22:23], s[22:23]
	v_mov_b32_e32 v36, s26
	s_xor_b64 exec, exec, s[22:23]
	s_cbranch_execz .LBB267_273
.LBB267_520:                            ;   in Loop: Header=BB267_12 Depth=1
	v_cmp_ne_u16_sdwa s[24:25], v34, v5 src0_sel:BYTE_0 src1_sel:DWORD
	s_andn2_b64 s[4:5], s[4:5], exec
	s_and_b64 s[24:25], s[24:25], exec
	v_mov_b32_e32 v36, 0
	s_or_b64 s[4:5], s[4:5], s[24:25]
	s_or_b64 exec, exec, s[22:23]
	s_and_saveexec_b64 s[22:23], s[4:5]
	s_cbranch_execnz .LBB267_274
	s_branch .LBB267_275
.LBB267_521:                            ;   in Loop: Header=BB267_12 Depth=1
	v_cmp_eq_u16_e64 s[4:5], s28, v4
	s_mov_b64 s[22:23], -1
                                        ; implicit-def: $sgpr30
	s_and_saveexec_b64 s[26:27], s[4:5]
; %bb.522:                              ;   in Loop: Header=BB267_12 Depth=1
	s_mov_b32 s30, 0x7fc02000
	s_xor_b64 s[22:23], exec, -1
; %bb.523:                              ;   in Loop: Header=BB267_12 Depth=1
	s_or_b64 exec, exec, s[26:27]
	s_and_b64 s[22:23], s[22:23], exec
	s_or_saveexec_b64 s[24:25], s[24:25]
	v_mov_b32_e32 v16, s30
	s_xor_b64 exec, exec, s[24:25]
	s_cbranch_execz .LBB267_277
.LBB267_524:                            ;   in Loop: Header=BB267_12 Depth=1
	v_cmp_ne_u16_e64 s[4:5], 0, v4
	s_andn2_b64 s[22:23], s[22:23], exec
	s_and_b64 s[4:5], s[4:5], exec
	v_mov_b32_e32 v16, 0
	s_or_b64 s[22:23], s[22:23], s[4:5]
	s_or_b64 exec, exec, s[24:25]
	s_and_saveexec_b64 s[24:25], s[22:23]
	s_cbranch_execnz .LBB267_278
	s_branch .LBB267_279
.LBB267_525:                            ;   in Loop: Header=BB267_12 Depth=1
	v_cmp_eq_u16_sdwa s[30:31], v4, s28 src0_sel:BYTE_0 src1_sel:DWORD
	s_mov_b64 s[4:5], -1
                                        ; implicit-def: $sgpr26
	s_and_saveexec_b64 s[24:25], s[30:31]
; %bb.526:                              ;   in Loop: Header=BB267_12 Depth=1
	s_mov_b32 s26, 0x7fc02000
	s_xor_b64 s[4:5], exec, -1
; %bb.527:                              ;   in Loop: Header=BB267_12 Depth=1
	s_or_b64 exec, exec, s[24:25]
	s_and_b64 s[4:5], s[4:5], exec
	s_or_saveexec_b64 s[22:23], s[22:23]
	v_mov_b32_e32 v13, s26
	s_xor_b64 exec, exec, s[22:23]
	s_cbranch_execz .LBB267_281
.LBB267_528:                            ;   in Loop: Header=BB267_12 Depth=1
	v_cmp_ne_u16_sdwa s[24:25], v4, v5 src0_sel:BYTE_0 src1_sel:DWORD
	s_andn2_b64 s[4:5], s[4:5], exec
	s_and_b64 s[24:25], s[24:25], exec
	v_mov_b32_e32 v13, 0
	s_or_b64 s[4:5], s[4:5], s[24:25]
	s_or_b64 exec, exec, s[22:23]
	s_and_saveexec_b64 s[22:23], s[4:5]
	s_cbranch_execnz .LBB267_282
	s_branch .LBB267_283
.LBB267_529:
	s_or_b64 exec, exec, s[12:13]
	v_accvgpr_read_b32 v2, a30
.LBB267_530:
	s_or_b64 exec, exec, s[8:9]
	scratch_load_dword v3, off, s32 offset:184 ; 4-byte Folded Reload
	v_mbcnt_hi_u32_b32 v0, -1, v2
	v_and_b32_e32 v1, 64, v0
	v_add_u32_e32 v7, 64, v1
	v_xor_b32_e32 v1, 32, v0
	v_cmp_lt_i32_e32 vcc, v1, v7
	v_xor_b32_e32 v4, 16, v0
	v_xor_b32_e32 v5, 8, v0
	v_cndmask_b32_e32 v1, v0, v1, vcc
	v_lshlrev_b32_e32 v1, 2, v1
	v_cmp_lt_i32_e32 vcc, v4, v7
	v_xor_b32_e32 v6, 4, v0
	v_xor_b32_e32 v8, 2, v0
	s_waitcnt lgkmcnt(0)
	s_lshr_b32 s21, s21, 16
	s_waitcnt vmcnt(0)
	ds_bpermute_b32 v2, v1, v3
	v_max_f32_e32 v3, v3, v3
	s_waitcnt lgkmcnt(0)
	v_max_f32_e32 v2, v2, v2
	v_max_f32_e32 v3, v3, v2
	v_cndmask_b32_e32 v2, v0, v4, vcc
	v_lshlrev_b32_e32 v2, 2, v2
	ds_bpermute_b32 v4, v2, v3
	v_cmp_lt_i32_e32 vcc, v5, v7
	s_waitcnt lgkmcnt(0)
	v_max_f32_e32 v4, v4, v4
	v_max_f32_e32 v4, v3, v4
	v_cndmask_b32_e32 v3, v0, v5, vcc
	v_lshlrev_b32_e32 v3, 2, v3
	ds_bpermute_b32 v5, v3, v4
	v_cmp_lt_i32_e32 vcc, v6, v7
	;; [unrolled: 7-line block ×3, first 2 shown]
	s_waitcnt lgkmcnt(0)
	v_max_f32_e32 v6, v6, v6
	v_max_f32_e32 v6, v5, v6
	v_cndmask_b32_e32 v5, v0, v8, vcc
	v_lshlrev_b32_e32 v51, 2, v5
	ds_bpermute_b32 v8, v51, v6
	v_accvgpr_read_b32 v5, a2
	v_and_b32_e32 v20, 63, v5
	v_accvgpr_read_b32 v5, a12
	v_cmp_eq_u32_e32 vcc, 0, v20
	v_lshlrev_b32_e32 v5, 2, v5
	s_and_saveexec_b64 s[2:3], vcc
	s_cbranch_execz .LBB267_532
; %bb.531:
	s_waitcnt lgkmcnt(0)
	v_max_f32_e32 v8, v8, v8
	v_max_f32_e32 v6, v6, v6
	;; [unrolled: 1-line block ×3, first 2 shown]
	ds_write_b32 v5, v6 offset:256
.LBB267_532:
	s_or_b64 exec, exec, s[2:3]
	v_cmp_gt_u32_e64 s[2:3], 2, v20
	s_waitcnt lgkmcnt(0)
	v_mov_b32_e32 v8, 0xff7fffff
	v_lshlrev_b32_e32 v6, 2, v20
	s_barrier
	s_and_saveexec_b64 s[4:5], s[2:3]
	s_cbranch_execz .LBB267_534
; %bb.533:
	ds_read_b32 v8, v6 offset:256
.LBB267_534:
	s_or_b64 exec, exec, s[4:5]
	v_xor_b32_e32 v9, 1, v0
	v_cmp_lt_i32_e64 s[4:5], v9, v7
	v_accvgpr_read_b32 v10, a8
	s_nop 0
	v_cndmask_b32_e64 v7, v0, v9, s[4:5]
	v_lshlrev_b32_e32 v52, 2, v7
	s_waitcnt lgkmcnt(0)
	ds_bpermute_b32 v7, v52, v8
	v_max_f32_e32 v8, v8, v8
	v_lshlrev_b32_e32 v0, 2, v0
	v_accvgpr_read_b32 v9, a2
	s_waitcnt lgkmcnt(0)
	v_max_f32_e32 v7, v7, v7
	v_max_f32_e32 v8, v8, v7
	v_and_b32_e32 v7, 0x100, v0
	ds_bpermute_b32 v8, v7, v8
	v_accvgpr_read_b32 v0, a11
	v_lshlrev_b32_e32 v0, 5, v0
	v_min_i32_e32 v0, v0, v10
	v_cmp_lt_i32_e64 s[4:5], v9, v0
	v_mov_b32_e32 v9, 0
	s_and_saveexec_b64 s[8:9], s[4:5]
	s_cbranch_execz .LBB267_538
; %bb.535:
	s_ashr_i32 s19, s18, 31
	s_lshl_b64 s[6:7], s[18:19], 2
	s_getpc_b64 s[10:11]
	s_add_u32 s10, s10, llvm.amdgcn.dynlds.offset.table@rel32@lo+4
	s_addc_u32 s11, s11, llvm.amdgcn.dynlds.offset.table@rel32@hi+12
	s_add_u32 s6, s6, s10
	s_addc_u32 s7, s7, s11
	s_load_dword s6, s[6:7], 0x0
	v_accvgpr_read_b32 v11, a2
	s_mov_b64 s[10:11], 0
	v_mov_b32_e32 v9, 0
	s_waitcnt lgkmcnt(0)
	v_lshl_add_u32 v10, v11, 2, s6
.LBB267_536:                            ; =>This Inner Loop Header: Depth=1
	ds_read_b32 v12, v10
	v_add_u32_e32 v11, 0x80, v11
	v_cmp_ge_i32_e64 s[6:7], v11, v0
	s_or_b64 s[10:11], s[6:7], s[10:11]
	s_waitcnt lgkmcnt(0)
	v_sub_f32_e32 v12, v12, v8
	v_mul_f32_e32 v12, 0x3fb8aa3b, v12
	v_exp_f32_e32 v12, v12
	ds_write_b32 v10, v12
	v_add_f32_e32 v9, v9, v12
	v_add_u32_e32 v10, 0x200, v10
	s_andn2_b64 exec, exec, s[10:11]
	s_cbranch_execnz .LBB267_536
; %bb.537:
	s_or_b64 exec, exec, s[10:11]
.LBB267_538:
	s_or_b64 exec, exec, s[8:9]
	ds_bpermute_b32 v1, v1, v9
	s_waitcnt lgkmcnt(0)
	v_add_f32_e32 v1, v9, v1
	ds_bpermute_b32 v2, v2, v1
	s_waitcnt lgkmcnt(0)
	v_add_f32_e32 v1, v1, v2
	;; [unrolled: 3-line block ×6, first 2 shown]
	s_and_saveexec_b64 s[6:7], vcc
	s_cbranch_execz .LBB267_540
; %bb.539:
	ds_write_b32 v5, v1 offset:264
.LBB267_540:
	s_or_b64 exec, exec, s[6:7]
	s_waitcnt lgkmcnt(0)
	s_barrier
	s_and_saveexec_b64 s[6:7], s[2:3]
	s_cbranch_execz .LBB267_542
; %bb.541:
	ds_read_b32 v1, v6 offset:264
.LBB267_542:
	s_or_b64 exec, exec, s[6:7]
	s_waitcnt lgkmcnt(0)
	ds_bpermute_b32 v2, v52, v1
	s_waitcnt lgkmcnt(0)
	v_add_f32_e32 v1, v1, v2
	ds_bpermute_b32 v1, v7, v1
	s_and_saveexec_b64 s[2:3], s[4:5]
	s_cbranch_execz .LBB267_555
; %bb.543:
	s_waitcnt lgkmcnt(0)
	v_add_f32_e32 v1, 0x358637bd, v1
	v_div_scale_f32 v2, s[4:5], v1, v1, 1.0
	v_rcp_f32_e32 v3, v2
	v_div_scale_f32 v4, vcc, 1.0, v1, 1.0
	s_movk_i32 s4, 0x7f
	v_fma_f32 v5, -v2, v3, 1.0
	v_fmac_f32_e32 v3, v5, v3
	v_mul_f32_e32 v5, v4, v3
	v_fma_f32 v6, -v2, v5, v4
	v_fmac_f32_e32 v5, v6, v3
	v_fma_f32 v2, -v2, v5, v4
	v_div_fmas_f32 v2, v2, v3, v5
	v_div_fixup_f32 v4, v2, v1, 1.0
	v_accvgpr_read_b32 v1, a2
	v_xad_u32 v2, v1, -1, v0
	v_cmp_lt_u32_e32 vcc, s4, v2
	s_mov_b64 s[6:7], -1
	s_and_saveexec_b64 s[4:5], vcc
	s_cbranch_execz .LBB267_552
; %bb.544:
	v_lshrrev_b32_e32 v1, 7, v2
	v_add_u32_e32 v3, -1, v1
	v_lshrrev_b32_e32 v2, 1, v3
	v_mov_b32_e32 v5, v4
	v_add_u32_e32 v2, 1, v2
	v_cmp_lt_u32_e32 vcc, 13, v3
	v_mov_b32_e32 v7, 0
	s_and_saveexec_b64 s[6:7], vcc
	s_cbranch_execz .LBB267_548
; %bb.545:
	s_ashr_i32 s19, s18, 31
	s_lshl_b64 s[8:9], s[18:19], 2
	s_getpc_b64 s[10:11]
	s_add_u32 s10, s10, llvm.amdgcn.dynlds.offset.table@rel32@lo+4
	s_addc_u32 s11, s11, llvm.amdgcn.dynlds.offset.table@rel32@hi+12
	s_add_u32 s8, s8, s10
	s_addc_u32 s9, s9, s11
	s_load_dword s8, s[8:9], 0x0
	v_accvgpr_read_b32 v6, a2
	v_and_b32_e32 v3, -8, v2
	s_mov_b32 s10, 0
	s_waitcnt lgkmcnt(0)
	v_lshl_add_u32 v6, v6, 2, s8
	s_mov_b64 s[8:9], 0
.LBB267_546:                            ; =>This Inner Loop Header: Depth=1
	ds_read2st64_b32 v[8:9], v6 offset1:2
	ds_read2st64_b32 v[10:11], v6 offset0:4 offset1:6
	ds_read2st64_b32 v[14:15], v6 offset0:8 offset1:10
	ds_read2st64_b32 v[16:17], v6 offset0:12 offset1:14
	v_add_u32_e32 v3, -8, v3
	s_waitcnt lgkmcnt(3)
	v_pk_mul_f32 v[8:9], v[4:5], v[8:9]
	s_waitcnt lgkmcnt(2)
	v_pk_mul_f32 v[10:11], v[4:5], v[10:11]
	ds_write2st64_b32 v6, v8, v9 offset1:2
	ds_write2st64_b32 v6, v10, v11 offset0:4 offset1:6
	ds_read2st64_b32 v[10:11], v6 offset0:16 offset1:18
	s_waitcnt lgkmcnt(4)
	v_pk_mul_f32 v[8:9], v[4:5], v[14:15]
	ds_write2st64_b32 v6, v8, v9 offset0:8 offset1:10
	s_waitcnt lgkmcnt(4)
	v_pk_mul_f32 v[8:9], v[4:5], v[16:17]
	ds_write2st64_b32 v6, v8, v9 offset0:12 offset1:14
	ds_read2st64_b32 v[8:9], v6 offset0:20 offset1:22
	s_waitcnt lgkmcnt(3)
	v_pk_mul_f32 v[10:11], v[4:5], v[10:11]
	ds_read2st64_b32 v[14:15], v6 offset0:24 offset1:26
	ds_write2st64_b32 v6, v10, v11 offset0:16 offset1:18
	ds_read2st64_b32 v[10:11], v6 offset0:28 offset1:30
	s_waitcnt lgkmcnt(3)
	v_pk_mul_f32 v[8:9], v[4:5], v[8:9]
	ds_write2st64_b32 v6, v8, v9 offset0:20 offset1:22
	s_waitcnt lgkmcnt(3)
	v_pk_mul_f32 v[8:9], v[4:5], v[14:15]
	ds_write2st64_b32 v6, v8, v9 offset0:24 offset1:26
	s_waitcnt lgkmcnt(2)
	v_pk_mul_f32 v[8:9], v[4:5], v[10:11]
	s_add_i32 s10, s10, 16
	v_cmp_eq_u32_e32 vcc, 0, v3
	ds_write2st64_b32 v6, v8, v9 offset0:28 offset1:30
	v_add_u32_e32 v6, 0x2000, v6
	s_or_b64 s[8:9], vcc, s[8:9]
	v_mov_b32_e32 v7, s10
	s_andn2_b64 exec, exec, s[8:9]
	s_cbranch_execnz .LBB267_546
; %bb.547:
	s_or_b64 exec, exec, s[8:9]
.LBB267_548:
	s_or_b64 exec, exec, s[6:7]
	v_and_b32_e32 v2, 7, v2
	v_cmp_ne_u32_e32 vcc, 0, v2
	s_and_saveexec_b64 s[6:7], vcc
	s_cbranch_execz .LBB267_551
; %bb.549:
	s_ashr_i32 s19, s18, 31
	s_lshl_b64 s[8:9], s[18:19], 2
	s_getpc_b64 s[10:11]
	s_add_u32 s10, s10, llvm.amdgcn.dynlds.offset.table@rel32@lo+4
	s_addc_u32 s11, s11, llvm.amdgcn.dynlds.offset.table@rel32@hi+12
	s_add_u32 s8, s8, s10
	s_addc_u32 s9, s9, s11
	s_load_dword s8, s[8:9], 0x0
	v_accvgpr_read_b32 v6, a2
	v_lshlrev_b32_e32 v3, 9, v7
	v_lshlrev_b32_e32 v6, 2, v6
	s_waitcnt lgkmcnt(0)
	v_add3_u32 v3, v3, v6, s8
	s_mov_b64 s[8:9], 0
.LBB267_550:                            ; =>This Inner Loop Header: Depth=1
	ds_read2st64_b32 v[6:7], v3 offset1:2
	v_add_u32_e32 v2, -1, v2
	v_cmp_eq_u32_e32 vcc, 0, v2
	s_or_b64 s[8:9], vcc, s[8:9]
	s_waitcnt lgkmcnt(0)
	v_pk_mul_f32 v[6:7], v[4:5], v[6:7]
	ds_write2st64_b32 v3, v6, v7 offset1:2
	v_add_u32_e32 v3, 0x400, v3
	s_andn2_b64 exec, exec, s[8:9]
	s_cbranch_execnz .LBB267_550
.LBB267_551:
	s_or_b64 exec, exec, s[6:7]
	v_add_u32_e32 v2, 1, v1
	v_and_b32_e32 v3, 0x3fffffe, v2
	v_accvgpr_read_b32 v1, a2
	v_cmp_ne_u32_e32 vcc, v2, v3
	v_lshl_add_u32 v1, v3, 7, v1
	s_orn2_b64 s[6:7], vcc, exec
.LBB267_552:
	s_or_b64 exec, exec, s[4:5]
	s_and_b64 exec, exec, s[6:7]
	s_cbranch_execz .LBB267_555
; %bb.553:
	s_ashr_i32 s19, s18, 31
	s_lshl_b64 s[4:5], s[18:19], 2
	s_getpc_b64 s[6:7]
	s_add_u32 s6, s6, llvm.amdgcn.dynlds.offset.table@rel32@lo+4
	s_addc_u32 s7, s7, llvm.amdgcn.dynlds.offset.table@rel32@hi+12
	s_add_u32 s4, s4, s6
	s_addc_u32 s5, s5, s7
	s_load_dword s4, s[4:5], 0x0
	s_waitcnt lgkmcnt(0)
	v_lshl_add_u32 v2, v1, 2, s4
	s_mov_b64 s[4:5], 0
.LBB267_554:                            ; =>This Inner Loop Header: Depth=1
	ds_read_b32 v3, v2
	v_add_u32_e32 v1, 0x80, v1
	v_cmp_ge_i32_e32 vcc, v1, v0
	s_or_b64 s[4:5], vcc, s[4:5]
	s_waitcnt lgkmcnt(0)
	v_mul_f32_e32 v3, v4, v3
	ds_write_b32 v2, v3
	v_add_u32_e32 v2, 0x200, v2
	s_andn2_b64 exec, exec, s[4:5]
	s_cbranch_execnz .LBB267_554
.LBB267_555:
	s_or_b64 exec, exec, s[2:3]
	v_accvgpr_read_b32 v0, a2
	s_mov_b32 s4, 0
	v_mov_b32_e32 v35, 0
	v_and_b32_e32 v21, 3, v0
	v_mov_b32_e32 v34, 0
	v_mov_b32_e32 v33, 0
	;; [unrolled: 1-line block ×7, first 2 shown]
	s_waitcnt lgkmcnt(0)
	s_barrier
	s_and_saveexec_b64 s[2:3], s[0:1]
	s_cbranch_execz .LBB267_1089
; %bb.556:
	v_accvgpr_read_b32 v26, a27
	v_accvgpr_read_b32 v0, a26
	v_max_i32_e32 v54, v26, v0
	v_cvt_f32_u32_e32 v2, v54
	v_accvgpr_read_b32 v4, a20
	v_and_b32_e32 v0, 24, v4
	v_accvgpr_write_b32 a20, v0
	v_rcp_iflag_f32_e32 v2, v2
	v_accvgpr_read_b32 v0, a18
	v_accvgpr_read_b32 v6, a24
	;; [unrolled: 1-line block ×3, first 2 shown]
	v_mul_f32_e32 v2, 0x4f7ffffe, v2
	v_cvt_u32_f32_e32 v2, v2
	v_accvgpr_read_b32 v7, a25
	v_lshl_add_u64 v[0:1], v[0:1], 0, v[6:7]
	v_and_b32_e32 v4, 0x1f8, v4
	v_mov_b32_e32 v5, 0
	s_ashr_i32 s19, s18, 31
	v_sub_u32_e32 v6, 0, v54
	v_lshl_add_u64 v[8:9], v[0:1], 0, v[4:5]
	v_lshlrev_b32_e32 v0, 5, v21
	v_accvgpr_read_b32 v1, a12
	s_lshl_b64 s[0:1], s[18:19], 2
	v_mul_lo_u32 v6, v6, v2
	v_lshl_or_b32 v40, v1, 7, v0
	v_accvgpr_read_b32 v0, a21
	v_mul_hi_u32 v6, v2, v6
	s_getpc_b64 s[6:7]
	s_add_u32 s6, s6, llvm.amdgcn.dynlds.offset.table@rel32@lo+4
	s_addc_u32 s7, s7, llvm.amdgcn.dynlds.offset.table@rel32@hi+12
	v_and_b32_e32 v4, 60, v0
	v_accvgpr_read_b32 v0, a22
	v_add_u32_e32 v2, v2, v6
	s_add_u32 s12, s0, s6
	v_accvgpr_read_b32 v1, a23
	v_accvgpr_read_b32 v6, a16
	s_mov_b32 s10, s4
	s_mov_b32 s11, s4
	v_accvgpr_read_b32 v3, a11
	s_addc_u32 s13, s1, s7
	v_lshl_add_u64 v[0:1], v[0:1], 2, v[4:5]
	v_accvgpr_read_b32 v7, a17
	s_mov_b32 s5, s4
	s_mov_b32 s6, s4
	;; [unrolled: 1-line block ×5, first 2 shown]
	v_mov_b64_e32 v[34:35], s[10:11]
	v_accvgpr_write_b32 a15, v20
	v_add_u32_e32 v55, -1, v3
	v_accvgpr_read_b32 v3, a8
	v_accvgpr_write_b32 a24, v2
	v_accvgpr_write_b32 a18, v21
	v_lshl_add_u64 v[10:11], v[6:7], 0, v[0:1]
	s_mov_b64 s[22:23], 0
	v_mov_b64_e32 v[32:33], s[8:9]
	v_mov_b64_e32 v[30:31], s[6:7]
	;; [unrolled: 1-line block ×3, first 2 shown]
	s_movk_i32 s19, 0x7f
	s_movk_i32 s24, 0x80
	s_mov_b32 s25, 0x8000
	s_movk_i32 s26, 0x380
	s_mov_b32 s27, 0x3020706
	s_mov_b32 s28, 0x1000504
	;; [unrolled: 1-line block ×3, first 2 shown]
	v_mov_b32_e32 v41, 0x1c00
	v_accvgpr_read_b32 v2, a14
	s_branch .LBB267_559
.LBB267_557:                            ;   in Loop: Header=BB267_559 Depth=1
	s_or_b64 exec, exec, s[0:1]
	v_add_f32_e32 v0, v0, v1
	v_add_f32_e32 v29, v29, v0
	;; [unrolled: 1-line block ×12, first 2 shown]
	;;#ASMSTART
	v_pk_mul_f16 v0, v61, v17;

	;;#ASMEND
	;;#ASMSTART
	v_pk_mul_f16 v1, v60, v4;

	;;#ASMEND
	;; [unrolled: 4-line block ×4, first 2 shown]
	v_add_f32_e32 v6, v62, v53
	;;#ASMSTART
	v_pk_add_f16 v0, v0, v1;

	;;#ASMEND
	v_add_f32_e32 v28, v28, v6
	;;#ASMSTART
	v_pk_add_f16 v0, v0, v2;

	;;#ASMEND
	s_nop 0
	;;#ASMSTART
	v_pk_add_f16 v0, v0, v4;

	;;#ASMEND
	s_nop 0
	v_lshrrev_b32_e32 v1, 16, v0
	v_and_b32_e32 v0, 0xffff, v0
	;;#ASMSTART
	v_cvt_f32_f16 v0, v0;
	;;#ASMEND
	;;#ASMSTART
	v_cvt_f32_f16 v1, v1;
	;;#ASMEND
	s_nop 0
	v_add_f32_e32 v0, v0, v1
	v_add_f32_e32 v35, v35, v0
.LBB267_558:                            ;   in Loop: Header=BB267_559 Depth=1
	s_or_b64 exec, exec, s[4:5]
	v_accvgpr_read_b32 v1, a12
	v_add_u32_e32 v1, 2, v1
	v_accvgpr_read_b32 v0, a11
	v_mov_b32_e32 v2, v49
	v_cmp_ge_i32_e32 vcc, v1, v0
	v_add_u32_e32 v2, 64, v2
	v_add_u32_e32 v40, 0x100, v40
	v_accvgpr_write_b32 a12, v1
	s_or_b64 s[22:23], vcc, s[22:23]
	v_lshl_add_u64 v[10:11], v[10:11], 0, 8
	s_andn2_b64 exec, exec, s[22:23]
	s_cbranch_execz .LBB267_1088
.LBB267_559:                            ; =>This Inner Loop Header: Depth=1
	v_accvgpr_read_b32 v0, a7
	v_mul_hi_u32 v0, v2, v0
	v_accvgpr_read_b32 v4, a3
	v_mul_lo_u32 v1, v0, v4
	v_sub_u32_e32 v1, v2, v1
	v_mov_b32_e32 v49, v2
	v_add_u32_e32 v2, 1, v0
	v_cmp_ge_u32_e32 vcc, v1, v4
	s_nop 1
	v_cndmask_b32_e32 v0, v0, v2, vcc
	v_sub_u32_e32 v2, v1, v4
	v_cndmask_b32_e32 v1, v1, v2, vcc
	v_add_u32_e32 v2, 1, v0
	v_cmp_ge_u32_e32 vcc, v1, v4
	v_accvgpr_read_b32 v1, a9
	s_nop 0
	v_cndmask_b32_e32 v0, v0, v2, vcc
	v_xor_b32_e32 v0, v0, v1
	v_sub_u32_e32 v0, v0, v1
	v_accvgpr_read_b32 v2, a10
	v_add_u32_e32 v1, v0, v2
	v_sub_u32_e32 v4, 0, v1
	v_ashrrev_i32_e32 v2, 31, v1
	v_max_i32_e32 v1, v1, v4
	v_accvgpr_read_b32 v4, a24
	v_mul_hi_u32 v4, v1, v4
	v_mul_lo_u32 v4, v4, v54
	v_sub_u32_e32 v1, v1, v4
	v_sub_u32_e32 v4, v1, v54
	v_cmp_ge_u32_e32 vcc, v1, v54
	s_nop 1
	v_cndmask_b32_e32 v1, v1, v4, vcc
	v_sub_u32_e32 v4, v1, v54
	v_cmp_ge_u32_e32 vcc, v1, v54
	s_nop 1
	v_cndmask_b32_e32 v1, v1, v4, vcc
	v_xor_b32_e32 v1, v1, v2
	v_sub_u32_e32 v1, v1, v2
	v_cmp_eq_u32_e32 vcc, 0, v1
	v_accvgpr_read_b32 v1, a13
	v_cmp_gt_i32_e64 s[0:1], v0, v1
	s_or_b64 s[0:1], vcc, s[0:1]
	s_and_saveexec_b64 s[4:5], s[0:1]
	s_cbranch_execz .LBB267_558
; %bb.560:                              ;   in Loop: Header=BB267_559 Depth=1
	s_load_dword s0, s[12:13], 0x0
	v_accvgpr_read_b32 v6, a6
                                        ; implicit-def: $sgpr10
	s_waitcnt lgkmcnt(0)
	v_add_u32_e32 v0, s0, v40
	ds_read2_b64 v[14:17], v0 offset1:1
	ds_read2_b64 v[20:23], v0 offset0:2 offset1:3
	s_waitcnt lgkmcnt(1)
	;;#ASMSTART
	v_cvt_f16_f32 v0, v14;

	;;#ASMEND
	;;#ASMSTART
	v_cvt_f16_f32 v1, v15;

	;;#ASMEND
	;; [unrolled: 4-line block ×4, first 2 shown]
	s_waitcnt lgkmcnt(0)
	;;#ASMSTART
	v_cvt_f16_f32 v17, v20;

	;;#ASMEND
	;;#ASMSTART
	v_cvt_f16_f32 v18, v21;

	;;#ASMEND
	;; [unrolled: 4-line block ×4, first 2 shown]
	flat_load_dword v4, v[10:11]
	s_waitcnt vmcnt(0) lgkmcnt(0)
	v_mad_i64_i32 v[14:15], s[0:1], v4, v6, v[8:9]
	v_accvgpr_read_b32 v7, a5
	flat_load_dwordx2 v[20:21], v[14:15]
	v_accvgpr_read_b32 v6, a4
	flat_load_dword v16, v[6:7]
	s_mov_b64 s[0:1], 0
	s_waitcnt vmcnt(0) lgkmcnt(0)
	v_cmp_gt_i16_sdwa s[6:7], v20, s19 src0_sel:BYTE_0 src1_sel:DWORD
	s_and_saveexec_b64 s[8:9], s[6:7]
	s_xor_b64 s[6:7], exec, s[8:9]
	s_cbranch_execnz .LBB267_832
; %bb.561:                              ;   in Loop: Header=BB267_559 Depth=1
	s_or_saveexec_b64 s[6:7], s[6:7]
	v_mov_b32_e32 v24, s10
	s_xor_b64 exec, exec, s[6:7]
	s_cbranch_execnz .LBB267_835
.LBB267_562:                            ;   in Loop: Header=BB267_559 Depth=1
	s_or_b64 exec, exec, s[6:7]
	s_and_saveexec_b64 s[6:7], s[0:1]
	s_cbranch_execz .LBB267_564
.LBB267_563:                            ;   in Loop: Header=BB267_559 Depth=1
	v_and_b32_e32 v4, 7, v20
	v_ffbh_u32_e32 v4, v4
	v_bfe_u32 v6, v20, 3, 4
	v_min_u32_e32 v4, 32, v4
	v_subrev_u32_e32 v7, 28, v4
	v_sub_u32_e32 v4, 29, v4
	v_cmp_eq_u32_e32 vcc, 0, v6
	s_nop 1
	v_cndmask_b32_e32 v4, v6, v4, vcc
	v_cndmask_b32_e32 v6, 0, v7, vcc
	v_lshlrev_b64 v[24:25], v6, v[20:21]
	v_lshlrev_b32_e32 v7, 8, v20
	v_lshl_add_u32 v4, v4, 10, v41
	v_lshlrev_b32_e32 v6, 7, v24
	v_and_or_b32 v4, v7, s25, v4
	v_and_or_b32 v4, v6, s26, v4
	v_cvt_f32_f16_e32 v24, v4
.LBB267_564:                            ;   in Loop: Header=BB267_559 Depth=1
	s_or_b64 exec, exec, s[6:7]
	v_lshrrev_b16_e32 v4, 8, v20
	v_cmp_lt_i16_e32 vcc, s19, v4
	s_mov_b64 s[0:1], 0
                                        ; implicit-def: $sgpr10
	s_and_saveexec_b64 s[6:7], vcc
	s_xor_b64 s[6:7], exec, s[6:7]
	s_cbranch_execnz .LBB267_836
; %bb.565:                              ;   in Loop: Header=BB267_559 Depth=1
	s_or_saveexec_b64 s[6:7], s[6:7]
	v_mov_b32_e32 v26, s10
	s_xor_b64 exec, exec, s[6:7]
	s_cbranch_execnz .LBB267_839
.LBB267_566:                            ;   in Loop: Header=BB267_559 Depth=1
	s_or_b64 exec, exec, s[6:7]
	s_and_saveexec_b64 s[6:7], s[0:1]
	s_cbranch_execz .LBB267_568
.LBB267_567:                            ;   in Loop: Header=BB267_559 Depth=1
	v_and_b32_e32 v6, 7, v4
	v_ffbh_u32_e32 v12, v6
	v_bfe_u32 v7, v4, 3, 4
	v_min_u32_e32 v12, 32, v12
	v_subrev_u32_e32 v19, 28, v12
	v_sub_u32_e32 v12, 29, v12
	v_cmp_eq_u32_e32 vcc, 0, v7
	v_lshlrev_b64 v[26:27], v19, v[4:5]
	v_and_b32_e32 v19, 7, v26
	v_cndmask_b32_e32 v7, v7, v12, vcc
	v_lshlrev_b32_e32 v4, 8, v4
	v_lshl_add_u32 v7, v7, 10, v41
	v_cndmask_b32_e32 v6, v6, v19, vcc
	v_and_or_b32 v4, v4, s25, v7
	v_lshl_or_b32 v4, v6, 7, v4
	v_cvt_f32_f16_e32 v26, v4
.LBB267_568:                            ;   in Loop: Header=BB267_559 Depth=1
	s_or_b64 exec, exec, s[6:7]
	v_lshrrev_b32_e32 v4, 16, v20
	v_cmp_gt_i16_sdwa s[6:7], v4, s19 src0_sel:BYTE_0 src1_sel:DWORD
	s_mov_b64 s[0:1], 0
                                        ; implicit-def: $sgpr10
	s_and_saveexec_b64 s[8:9], s[6:7]
	s_xor_b64 s[6:7], exec, s[8:9]
	s_cbranch_execnz .LBB267_840
; %bb.569:                              ;   in Loop: Header=BB267_559 Depth=1
	s_or_saveexec_b64 s[6:7], s[6:7]
	v_mov_b32_e32 v25, s10
	s_xor_b64 exec, exec, s[6:7]
	s_cbranch_execnz .LBB267_843
.LBB267_570:                            ;   in Loop: Header=BB267_559 Depth=1
	s_or_b64 exec, exec, s[6:7]
	s_and_saveexec_b64 s[6:7], s[0:1]
	s_cbranch_execz .LBB267_572
.LBB267_571:                            ;   in Loop: Header=BB267_559 Depth=1
	v_bfe_u32 v6, v20, 16, 3
	v_ffbh_u32_e32 v12, v6
	v_bfe_u32 v7, v20, 19, 4
	v_min_u32_e32 v12, 32, v12
	v_subrev_u32_e32 v19, 28, v12
	v_sub_u32_e32 v12, 29, v12
	v_cmp_eq_u32_e32 vcc, 0, v7
	v_lshlrev_b64 v[36:37], v19, v[4:5]
	v_and_b32_e32 v19, 7, v36
	v_cndmask_b32_e32 v7, v7, v12, vcc
	v_lshlrev_b32_e32 v4, 8, v4
	v_lshl_add_u32 v7, v7, 10, v41
	v_cndmask_b32_e32 v6, v6, v19, vcc
	v_and_or_b32 v4, v4, s25, v7
	v_lshl_or_b32 v4, v6, 7, v4
	v_cvt_f32_f16_e32 v25, v4
.LBB267_572:                            ;   in Loop: Header=BB267_559 Depth=1
	s_or_b64 exec, exec, s[6:7]
	v_lshrrev_b32_e32 v4, 24, v20
	v_cmp_lt_i16_e32 vcc, s19, v4
	s_mov_b64 s[0:1], 0
                                        ; implicit-def: $sgpr10
	s_and_saveexec_b64 s[6:7], vcc
	s_xor_b64 s[6:7], exec, s[6:7]
	s_cbranch_execnz .LBB267_844
; %bb.573:                              ;   in Loop: Header=BB267_559 Depth=1
	s_or_saveexec_b64 s[6:7], s[6:7]
	v_mov_b32_e32 v27, s10
	s_xor_b64 exec, exec, s[6:7]
	s_cbranch_execnz .LBB267_847
.LBB267_574:                            ;   in Loop: Header=BB267_559 Depth=1
	s_or_b64 exec, exec, s[6:7]
	s_and_saveexec_b64 s[6:7], s[0:1]
	s_cbranch_execz .LBB267_576
.LBB267_575:                            ;   in Loop: Header=BB267_559 Depth=1
	v_bfe_u32 v6, v20, 24, 3
	v_ffbh_u32_e32 v12, v6
	v_bfe_u32 v7, v20, 27, 4
	v_min_u32_e32 v12, 32, v12
	v_subrev_u32_e32 v19, 28, v12
	v_sub_u32_e32 v12, 29, v12
	v_cmp_eq_u32_e32 vcc, 0, v7
	v_lshlrev_b64 v[36:37], v19, v[4:5]
	v_and_b32_e32 v19, 7, v36
	v_cndmask_b32_e32 v7, v7, v12, vcc
	v_lshlrev_b32_e32 v4, 8, v4
	v_lshl_add_u32 v7, v7, 10, v41
	v_cndmask_b32_e32 v6, v6, v19, vcc
	v_and_or_b32 v4, v4, s25, v7
	v_lshl_or_b32 v4, v6, 7, v4
	v_cvt_f32_f16_e32 v27, v4
.LBB267_576:                            ;   in Loop: Header=BB267_559 Depth=1
	s_or_b64 exec, exec, s[6:7]
	v_cmp_gt_i16_sdwa s[6:7], v21, s19 src0_sel:BYTE_0 src1_sel:DWORD
	s_mov_b64 s[0:1], 0
                                        ; implicit-def: $sgpr10
	s_and_saveexec_b64 s[8:9], s[6:7]
	s_xor_b64 s[6:7], exec, s[8:9]
	s_cbranch_execnz .LBB267_848
; %bb.577:                              ;   in Loop: Header=BB267_559 Depth=1
	s_or_saveexec_b64 s[6:7], s[6:7]
	v_mov_b32_e32 v20, s10
	s_xor_b64 exec, exec, s[6:7]
	s_cbranch_execnz .LBB267_851
.LBB267_578:                            ;   in Loop: Header=BB267_559 Depth=1
	s_or_b64 exec, exec, s[6:7]
	v_mov_b32_e32 v4, v21
	s_and_saveexec_b64 s[6:7], s[0:1]
	s_cbranch_execz .LBB267_580
.LBB267_579:                            ;   in Loop: Header=BB267_559 Depth=1
	v_and_b32_e32 v6, 7, v21
	v_ffbh_u32_e32 v6, v6
	v_bfe_u32 v7, v21, 3, 4
	v_min_u32_e32 v6, 32, v6
	v_subrev_u32_e32 v12, 28, v6
	v_sub_u32_e32 v6, 29, v6
	v_cmp_eq_u32_e32 vcc, 0, v7
	s_nop 1
	v_cndmask_b32_e32 v6, v7, v6, vcc
	v_cndmask_b32_e32 v7, 0, v12, vcc
	v_lshlrev_b64 v[36:37], v7, v[4:5]
	v_lshlrev_b32_e32 v12, 8, v21
	v_lshl_add_u32 v6, v6, 10, v41
	v_lshlrev_b32_e32 v7, 7, v36
	v_and_or_b32 v6, v12, s25, v6
	v_and_or_b32 v6, v7, s26, v6
	v_cvt_f32_f16_e32 v20, v6
.LBB267_580:                            ;   in Loop: Header=BB267_559 Depth=1
	s_or_b64 exec, exec, s[6:7]
	v_lshrrev_b16_e32 v4, 8, v4
	v_cmp_lt_i16_e32 vcc, s19, v4
	s_mov_b64 s[0:1], 0
                                        ; implicit-def: $sgpr10
	s_and_saveexec_b64 s[6:7], vcc
	s_xor_b64 s[6:7], exec, s[6:7]
	s_cbranch_execnz .LBB267_852
; %bb.581:                              ;   in Loop: Header=BB267_559 Depth=1
	s_or_saveexec_b64 s[6:7], s[6:7]
	v_mov_b32_e32 v36, s10
	s_xor_b64 exec, exec, s[6:7]
	s_cbranch_execnz .LBB267_855
.LBB267_582:                            ;   in Loop: Header=BB267_559 Depth=1
	s_or_b64 exec, exec, s[6:7]
	s_and_saveexec_b64 s[6:7], s[0:1]
	s_cbranch_execz .LBB267_584
.LBB267_583:                            ;   in Loop: Header=BB267_559 Depth=1
	v_and_b32_e32 v6, 7, v4
	v_ffbh_u32_e32 v12, v6
	v_bfe_u32 v7, v4, 3, 4
	v_min_u32_e32 v12, 32, v12
	v_subrev_u32_e32 v19, 28, v12
	v_sub_u32_e32 v12, 29, v12
	v_cmp_eq_u32_e32 vcc, 0, v7
	v_lshlrev_b64 v[36:37], v19, v[4:5]
	v_and_b32_e32 v19, 7, v36
	v_cndmask_b32_e32 v7, v7, v12, vcc
	v_lshlrev_b32_e32 v4, 8, v4
	v_lshl_add_u32 v7, v7, 10, v41
	v_cndmask_b32_e32 v6, v6, v19, vcc
	v_and_or_b32 v4, v4, s25, v7
	v_lshl_or_b32 v4, v6, 7, v4
	v_cvt_f32_f16_e32 v36, v4
.LBB267_584:                            ;   in Loop: Header=BB267_559 Depth=1
	s_or_b64 exec, exec, s[6:7]
	v_lshrrev_b32_e32 v4, 16, v21
	v_cmp_gt_i16_sdwa s[6:7], v4, s19 src0_sel:BYTE_0 src1_sel:DWORD
	s_mov_b64 s[0:1], 0
                                        ; implicit-def: $sgpr10
	s_and_saveexec_b64 s[8:9], s[6:7]
	s_xor_b64 s[6:7], exec, s[8:9]
	s_cbranch_execnz .LBB267_856
; %bb.585:                              ;   in Loop: Header=BB267_559 Depth=1
	s_or_saveexec_b64 s[6:7], s[6:7]
	v_mov_b32_e32 v37, s10
	s_xor_b64 exec, exec, s[6:7]
	s_cbranch_execnz .LBB267_859
.LBB267_586:                            ;   in Loop: Header=BB267_559 Depth=1
	s_or_b64 exec, exec, s[6:7]
	s_and_saveexec_b64 s[6:7], s[0:1]
	s_cbranch_execz .LBB267_588
.LBB267_587:                            ;   in Loop: Header=BB267_559 Depth=1
	v_bfe_u32 v6, v21, 16, 3
	v_ffbh_u32_e32 v12, v6
	v_bfe_u32 v7, v21, 19, 4
	v_min_u32_e32 v12, 32, v12
	v_subrev_u32_e32 v19, 28, v12
	v_sub_u32_e32 v12, 29, v12
	v_cmp_eq_u32_e32 vcc, 0, v7
	v_lshlrev_b64 v[38:39], v19, v[4:5]
	v_and_b32_e32 v19, 7, v38
	v_cndmask_b32_e32 v7, v7, v12, vcc
	v_lshlrev_b32_e32 v4, 8, v4
	v_lshl_add_u32 v7, v7, 10, v41
	v_cndmask_b32_e32 v6, v6, v19, vcc
	v_and_or_b32 v4, v4, s25, v7
	v_lshl_or_b32 v4, v6, 7, v4
	v_cvt_f32_f16_e32 v37, v4
.LBB267_588:                            ;   in Loop: Header=BB267_559 Depth=1
	s_or_b64 exec, exec, s[6:7]
	v_lshrrev_b32_e32 v4, 24, v21
	v_cmp_lt_i16_e32 vcc, s19, v4
	s_mov_b64 s[0:1], 0
                                        ; implicit-def: $sgpr10
	s_and_saveexec_b64 s[6:7], vcc
	s_xor_b64 s[6:7], exec, s[6:7]
	s_cbranch_execnz .LBB267_860
; %bb.589:                              ;   in Loop: Header=BB267_559 Depth=1
	s_or_saveexec_b64 s[6:7], s[6:7]
	v_mov_b32_e32 v38, s10
	s_xor_b64 exec, exec, s[6:7]
	s_cbranch_execnz .LBB267_863
.LBB267_590:                            ;   in Loop: Header=BB267_559 Depth=1
	s_or_b64 exec, exec, s[6:7]
	s_and_saveexec_b64 s[6:7], s[0:1]
	s_cbranch_execz .LBB267_592
.LBB267_591:                            ;   in Loop: Header=BB267_559 Depth=1
	v_bfe_u32 v6, v21, 24, 3
	v_ffbh_u32_e32 v12, v6
	v_bfe_u32 v7, v21, 27, 4
	v_min_u32_e32 v12, 32, v12
	v_subrev_u32_e32 v19, 28, v12
	v_sub_u32_e32 v12, 29, v12
	v_cmp_eq_u32_e32 vcc, 0, v7
	v_lshlrev_b64 v[38:39], v19, v[4:5]
	v_and_b32_e32 v19, 7, v38
	v_cndmask_b32_e32 v7, v7, v12, vcc
	v_lshlrev_b32_e32 v4, 8, v4
	v_lshl_add_u32 v7, v7, 10, v41
	v_cndmask_b32_e32 v6, v6, v19, vcc
	v_and_or_b32 v4, v4, s25, v7
	v_lshl_or_b32 v4, v6, 7, v4
	v_cvt_f32_f16_e32 v38, v4
.LBB267_592:                            ;   in Loop: Header=BB267_559 Depth=1
	s_or_b64 exec, exec, s[6:7]
	v_pk_mul_f32 v[26:27], v[16:17], v[26:27] op_sel_hi:[0,1]
	v_pk_mul_f32 v[24:25], v[16:17], v[24:25] op_sel_hi:[0,1]
	v_cvt_f16_f32_e32 v4, v27
	v_cvt_f16_f32_e32 v6, v26
	;; [unrolled: 1-line block ×4, first 2 shown]
	v_mov_b32_e32 v19, v49
	v_accvgpr_read_b32 v21, a20
	v_pack_b32_f16 v6, v6, v4
	v_pack_b32_f16 v7, v12, v7
	v_add_u32_e32 v44, v21, v19
	v_perm_b32 v4, v7, v6, s27
	v_perm_b32 v21, v7, v6, s28
	v_fma_mixlo_f16 v6, v16, v36, 0
	v_lshlrev_b32_e32 v6, 16, v6
	v_fma_mixlo_f16 v7, v16, v20, 0
	v_or_b32_sdwa v20, v6, v7 dst_sel:DWORD dst_unused:UNUSED_PAD src0_sel:DWORD src1_sel:WORD_0
	v_fma_mixlo_f16 v6, v16, v38, 0
	v_accvgpr_read_b32 v19, a12
	v_fma_mixlo_f16 v24, v16, v37, 0
	v_lshlrev_b32_e32 v6, 16, v6
	v_cmp_eq_u32_e32 vcc, v55, v19
	v_or_b32_sdwa v16, v6, v24 dst_sel:DWORD dst_unused:UNUSED_PAD src0_sel:DWORD src1_sel:WORD_0
	v_add_u32_e32 v57, 1, v44
	v_or_b32_e32 v56, 3, v44
	v_or_b32_e32 v47, 2, v44
	v_or_b32_e32 v46, 5, v44
	v_or_b32_e32 v45, 4, v44
	v_or_b32_e32 v43, 7, v44
	v_or_b32_e32 v42, 6, v44
	s_and_saveexec_b64 s[6:7], vcc
	s_cbranch_execz .LBB267_594
; %bb.593:                              ;   in Loop: Header=BB267_559 Depth=1
	v_lshrrev_b32_e32 v6, 16, v21
	v_cmp_lt_i32_e64 s[0:1], v57, v3
	v_accvgpr_read_b32 v12, a8
	s_nop 0
	v_cndmask_b32_e64 v6, 0, v6, s[0:1]
	v_cmp_lt_i32_e64 s[0:1], v44, v12
	s_nop 1
	v_cndmask_b32_e64 v7, 0, v21, s[0:1]
	v_perm_b32 v21, v6, v7, s29
	v_lshrrev_b32_e32 v6, 16, v4
	v_cmp_lt_i32_e64 s[0:1], v56, v3
	s_nop 1
	v_cndmask_b32_e64 v6, 0, v6, s[0:1]
	v_cmp_lt_i32_e64 s[0:1], v47, v12
	s_nop 1
	v_cndmask_b32_e64 v4, 0, v4, s[0:1]
	v_perm_b32 v4, v6, v4, s29
	v_lshrrev_b32_e32 v6, 16, v20
	v_cmp_lt_i32_e64 s[0:1], v46, v3
	;; [unrolled: 8-line block ×3, first 2 shown]
	s_nop 1
	v_cndmask_b32_e64 v6, 0, v6, s[0:1]
	v_cmp_lt_i32_e64 s[0:1], v42, v12
	s_nop 1
	v_cndmask_b32_e64 v7, 0, v24, s[0:1]
	v_perm_b32 v16, v6, v7, s29
.LBB267_594:                            ;   in Loop: Header=BB267_559 Depth=1
	s_or_b64 exec, exec, s[6:7]
	v_and_b32_e32 v0, 0xffff, v0
	v_lshl_or_b32 v61, v1, 16, v0
	v_and_b32_e32 v0, 0xffff, v2
	v_lshl_or_b32 v60, v13, 16, v0
	;; [unrolled: 2-line block ×4, first 2 shown]
	;;#ASMSTART
	v_pk_mul_f16 v0, v61, v21;

	;;#ASMEND
	;;#ASMSTART
	v_pk_mul_f16 v1, v60, v4;

	;;#ASMEND
	;; [unrolled: 4-line block ×4, first 2 shown]
	s_mov_b64 s[0:1], 0
	;;#ASMSTART
	v_pk_add_f16 v0, v0, v1;

	;;#ASMEND
                                        ; implicit-def: $sgpr10
	s_nop 0
	;;#ASMSTART
	v_pk_add_f16 v0, v0, v2;

	;;#ASMEND
	s_nop 0
	;;#ASMSTART
	v_pk_add_f16 v0, v0, v4;

	;;#ASMEND
	s_nop 0
	v_lshrrev_b32_e32 v1, 16, v0
	v_and_b32_e32 v0, 0xffff, v0
	;;#ASMSTART
	v_cvt_f32_f16 v62, v0;
	;;#ASMEND
	;;#ASMSTART
	v_cvt_f32_f16 v53, v1;
	;;#ASMEND
	v_accvgpr_read_b32 v0, a4
	flat_load_dwordx2 v[20:21], v[14:15] offset:512
	v_accvgpr_read_b32 v1, a5
	flat_load_dword v16, v[0:1]
	s_waitcnt vmcnt(0) lgkmcnt(0)
	v_cmp_gt_i16_sdwa s[6:7], v20, s19 src0_sel:BYTE_0 src1_sel:DWORD
	s_and_saveexec_b64 s[8:9], s[6:7]
	s_xor_b64 s[6:7], exec, s[8:9]
	s_cbranch_execnz .LBB267_864
; %bb.595:                              ;   in Loop: Header=BB267_559 Depth=1
	s_or_saveexec_b64 s[6:7], s[6:7]
	v_mov_b32_e32 v24, s10
	s_xor_b64 exec, exec, s[6:7]
	s_cbranch_execnz .LBB267_867
.LBB267_596:                            ;   in Loop: Header=BB267_559 Depth=1
	s_or_b64 exec, exec, s[6:7]
	s_and_saveexec_b64 s[6:7], s[0:1]
	s_cbranch_execz .LBB267_598
.LBB267_597:                            ;   in Loop: Header=BB267_559 Depth=1
	v_and_b32_e32 v0, 7, v20
	v_ffbh_u32_e32 v0, v0
	v_bfe_u32 v1, v20, 3, 4
	v_min_u32_e32 v0, 32, v0
	v_subrev_u32_e32 v2, 28, v0
	v_sub_u32_e32 v0, 29, v0
	v_cmp_eq_u32_e64 s[0:1], 0, v1
	s_nop 1
	v_cndmask_b32_e64 v4, v1, v0, s[0:1]
	v_cndmask_b32_e64 v0, 0, v2, s[0:1]
	v_lshlrev_b64 v[0:1], v0, v[20:21]
	v_lshlrev_b32_e32 v1, 8, v20
	v_lshl_add_u32 v2, v4, 10, v41
	v_lshlrev_b32_e32 v0, 7, v0
	v_and_or_b32 v1, v1, s25, v2
	v_and_or_b32 v0, v0, s26, v1
	v_cvt_f32_f16_e32 v24, v0
.LBB267_598:                            ;   in Loop: Header=BB267_559 Depth=1
	s_or_b64 exec, exec, s[6:7]
	v_lshrrev_b16_e32 v4, 8, v20
	v_cmp_lt_i16_e64 s[0:1], s19, v4
	s_mov_b64 s[6:7], 0
                                        ; implicit-def: $sgpr30
	s_and_saveexec_b64 s[8:9], s[0:1]
	s_xor_b64 s[8:9], exec, s[8:9]
	s_cbranch_execnz .LBB267_868
; %bb.599:                              ;   in Loop: Header=BB267_559 Depth=1
	s_or_saveexec_b64 s[8:9], s[8:9]
	v_mov_b32_e32 v26, s30
	s_xor_b64 exec, exec, s[8:9]
	s_cbranch_execnz .LBB267_871
.LBB267_600:                            ;   in Loop: Header=BB267_559 Depth=1
	s_or_b64 exec, exec, s[8:9]
	s_and_saveexec_b64 s[8:9], s[6:7]
	s_cbranch_execz .LBB267_602
.LBB267_601:                            ;   in Loop: Header=BB267_559 Depth=1
	v_and_b32_e32 v2, 7, v4
	v_ffbh_u32_e32 v0, v2
	v_min_u32_e32 v7, 32, v0
	v_subrev_u32_e32 v0, 28, v7
	v_bfe_u32 v6, v4, 3, 4
	v_lshlrev_b64 v[0:1], v0, v[4:5]
	v_sub_u32_e32 v1, 29, v7
	v_cmp_eq_u32_e64 s[0:1], 0, v6
	v_and_b32_e32 v0, 7, v0
	s_nop 0
	v_cndmask_b32_e64 v1, v6, v1, s[0:1]
	v_cndmask_b32_e64 v0, v2, v0, s[0:1]
	v_lshlrev_b32_e32 v2, 8, v4
	v_lshl_add_u32 v1, v1, 10, v41
	v_and_or_b32 v1, v2, s25, v1
	v_lshl_or_b32 v0, v0, 7, v1
	v_cvt_f32_f16_e32 v26, v0
.LBB267_602:                            ;   in Loop: Header=BB267_559 Depth=1
	s_or_b64 exec, exec, s[8:9]
	v_lshrrev_b32_e32 v4, 16, v20
	v_cmp_gt_i16_sdwa s[6:7], v4, s19 src0_sel:BYTE_0 src1_sel:DWORD
	s_mov_b64 s[0:1], 0
                                        ; implicit-def: $sgpr10
	s_and_saveexec_b64 s[8:9], s[6:7]
	s_xor_b64 s[6:7], exec, s[8:9]
	s_cbranch_execnz .LBB267_872
; %bb.603:                              ;   in Loop: Header=BB267_559 Depth=1
	s_or_saveexec_b64 s[6:7], s[6:7]
	v_mov_b32_e32 v25, s10
	s_xor_b64 exec, exec, s[6:7]
	s_cbranch_execnz .LBB267_875
.LBB267_604:                            ;   in Loop: Header=BB267_559 Depth=1
	s_or_b64 exec, exec, s[6:7]
	s_and_saveexec_b64 s[6:7], s[0:1]
	s_cbranch_execz .LBB267_606
.LBB267_605:                            ;   in Loop: Header=BB267_559 Depth=1
	v_bfe_u32 v2, v20, 16, 3
	v_ffbh_u32_e32 v0, v2
	v_min_u32_e32 v7, 32, v0
	v_subrev_u32_e32 v0, 28, v7
	v_bfe_u32 v6, v20, 19, 4
	v_lshlrev_b64 v[0:1], v0, v[4:5]
	v_sub_u32_e32 v1, 29, v7
	v_cmp_eq_u32_e64 s[0:1], 0, v6
	v_and_b32_e32 v0, 7, v0
	s_nop 0
	v_cndmask_b32_e64 v1, v6, v1, s[0:1]
	v_cndmask_b32_e64 v0, v2, v0, s[0:1]
	v_lshlrev_b32_e32 v2, 8, v4
	v_lshl_add_u32 v1, v1, 10, v41
	v_and_or_b32 v1, v2, s25, v1
	v_lshl_or_b32 v0, v0, 7, v1
	v_cvt_f32_f16_e32 v25, v0
.LBB267_606:                            ;   in Loop: Header=BB267_559 Depth=1
	s_or_b64 exec, exec, s[6:7]
	v_lshrrev_b32_e32 v4, 24, v20
	v_cmp_lt_i16_e64 s[0:1], s19, v4
	s_mov_b64 s[6:7], 0
                                        ; implicit-def: $sgpr30
	s_and_saveexec_b64 s[8:9], s[0:1]
	s_xor_b64 s[8:9], exec, s[8:9]
	s_cbranch_execnz .LBB267_876
; %bb.607:                              ;   in Loop: Header=BB267_559 Depth=1
	s_or_saveexec_b64 s[8:9], s[8:9]
	v_mov_b32_e32 v27, s30
	s_xor_b64 exec, exec, s[8:9]
	s_cbranch_execnz .LBB267_879
.LBB267_608:                            ;   in Loop: Header=BB267_559 Depth=1
	s_or_b64 exec, exec, s[8:9]
	s_and_saveexec_b64 s[8:9], s[6:7]
	s_cbranch_execz .LBB267_610
.LBB267_609:                            ;   in Loop: Header=BB267_559 Depth=1
	v_bfe_u32 v2, v20, 24, 3
	v_ffbh_u32_e32 v0, v2
	v_min_u32_e32 v7, 32, v0
	v_subrev_u32_e32 v0, 28, v7
	v_bfe_u32 v6, v20, 27, 4
	v_lshlrev_b64 v[0:1], v0, v[4:5]
	v_sub_u32_e32 v1, 29, v7
	v_cmp_eq_u32_e64 s[0:1], 0, v6
	v_and_b32_e32 v0, 7, v0
	s_nop 0
	v_cndmask_b32_e64 v1, v6, v1, s[0:1]
	v_cndmask_b32_e64 v0, v2, v0, s[0:1]
	v_lshlrev_b32_e32 v2, 8, v4
	v_lshl_add_u32 v1, v1, 10, v41
	v_and_or_b32 v1, v2, s25, v1
	v_lshl_or_b32 v0, v0, 7, v1
	v_cvt_f32_f16_e32 v27, v0
.LBB267_610:                            ;   in Loop: Header=BB267_559 Depth=1
	s_or_b64 exec, exec, s[8:9]
	v_cmp_gt_i16_sdwa s[6:7], v21, s19 src0_sel:BYTE_0 src1_sel:DWORD
	s_mov_b64 s[0:1], 0
                                        ; implicit-def: $sgpr10
	s_and_saveexec_b64 s[8:9], s[6:7]
	s_xor_b64 s[6:7], exec, s[8:9]
	s_cbranch_execnz .LBB267_880
; %bb.611:                              ;   in Loop: Header=BB267_559 Depth=1
	s_or_saveexec_b64 s[6:7], s[6:7]
	v_mov_b32_e32 v0, s10
	s_xor_b64 exec, exec, s[6:7]
	s_cbranch_execnz .LBB267_883
.LBB267_612:                            ;   in Loop: Header=BB267_559 Depth=1
	s_or_b64 exec, exec, s[6:7]
	v_mov_b32_e32 v4, v21
	s_and_saveexec_b64 s[6:7], s[0:1]
	s_cbranch_execz .LBB267_614
.LBB267_613:                            ;   in Loop: Header=BB267_559 Depth=1
	v_and_b32_e32 v0, 7, v21
	v_ffbh_u32_e32 v0, v0
	v_bfe_u32 v1, v21, 3, 4
	v_min_u32_e32 v0, 32, v0
	v_subrev_u32_e32 v2, 28, v0
	v_sub_u32_e32 v0, 29, v0
	v_cmp_eq_u32_e64 s[0:1], 0, v1
	s_nop 1
	v_cndmask_b32_e64 v6, v1, v0, s[0:1]
	v_cndmask_b32_e64 v0, 0, v2, s[0:1]
	v_lshlrev_b64 v[0:1], v0, v[4:5]
	v_lshlrev_b32_e32 v1, 8, v21
	v_lshl_add_u32 v2, v6, 10, v41
	v_lshlrev_b32_e32 v0, 7, v0
	v_and_or_b32 v1, v1, s25, v2
	v_and_or_b32 v0, v0, s26, v1
	v_cvt_f32_f16_e32 v0, v0
.LBB267_614:                            ;   in Loop: Header=BB267_559 Depth=1
	s_or_b64 exec, exec, s[6:7]
	v_lshrrev_b16_e32 v4, 8, v4
	v_cmp_lt_i16_e64 s[0:1], s19, v4
	s_mov_b64 s[6:7], 0
                                        ; implicit-def: $sgpr30
	s_and_saveexec_b64 s[8:9], s[0:1]
	s_xor_b64 s[8:9], exec, s[8:9]
	s_cbranch_execnz .LBB267_884
; %bb.615:                              ;   in Loop: Header=BB267_559 Depth=1
	s_or_saveexec_b64 s[8:9], s[8:9]
	v_mov_b32_e32 v1, s30
	s_xor_b64 exec, exec, s[8:9]
	s_cbranch_execnz .LBB267_887
.LBB267_616:                            ;   in Loop: Header=BB267_559 Depth=1
	s_or_b64 exec, exec, s[8:9]
	s_and_saveexec_b64 s[8:9], s[6:7]
	s_cbranch_execz .LBB267_618
.LBB267_617:                            ;   in Loop: Header=BB267_559 Depth=1
	v_and_b32_e32 v1, 7, v4
	v_ffbh_u32_e32 v6, v1
	v_bfe_u32 v2, v4, 3, 4
	v_min_u32_e32 v6, 32, v6
	v_subrev_u32_e32 v7, 28, v6
	v_sub_u32_e32 v6, 29, v6
	v_cmp_eq_u32_e64 s[0:1], 0, v2
	v_lshlrev_b64 v[22:23], v7, v[4:5]
	v_and_b32_e32 v7, 7, v22
	v_cndmask_b32_e64 v2, v2, v6, s[0:1]
	v_lshlrev_b32_e32 v4, 8, v4
	v_lshl_add_u32 v2, v2, 10, v41
	v_cndmask_b32_e64 v1, v1, v7, s[0:1]
	v_and_or_b32 v2, v4, s25, v2
	v_lshl_or_b32 v1, v1, 7, v2
	v_cvt_f32_f16_e32 v1, v1
.LBB267_618:                            ;   in Loop: Header=BB267_559 Depth=1
	s_or_b64 exec, exec, s[8:9]
	v_lshrrev_b32_e32 v4, 16, v21
	v_cmp_gt_i16_sdwa s[6:7], v4, s19 src0_sel:BYTE_0 src1_sel:DWORD
	s_mov_b64 s[0:1], 0
                                        ; implicit-def: $sgpr10
	s_and_saveexec_b64 s[8:9], s[6:7]
	s_xor_b64 s[6:7], exec, s[8:9]
	s_cbranch_execnz .LBB267_888
; %bb.619:                              ;   in Loop: Header=BB267_559 Depth=1
	s_or_saveexec_b64 s[6:7], s[6:7]
	v_mov_b32_e32 v2, s10
	s_xor_b64 exec, exec, s[6:7]
	s_cbranch_execnz .LBB267_891
.LBB267_620:                            ;   in Loop: Header=BB267_559 Depth=1
	s_or_b64 exec, exec, s[6:7]
	s_and_saveexec_b64 s[6:7], s[0:1]
	s_cbranch_execz .LBB267_622
.LBB267_621:                            ;   in Loop: Header=BB267_559 Depth=1
	v_bfe_u32 v2, v21, 16, 3
	v_ffbh_u32_e32 v7, v2
	v_bfe_u32 v6, v21, 19, 4
	v_min_u32_e32 v7, 32, v7
	v_subrev_u32_e32 v12, 28, v7
	v_sub_u32_e32 v7, 29, v7
	v_cmp_eq_u32_e64 s[0:1], 0, v6
	v_lshlrev_b64 v[22:23], v12, v[4:5]
	v_and_b32_e32 v12, 7, v22
	v_cndmask_b32_e64 v6, v6, v7, s[0:1]
	v_lshlrev_b32_e32 v4, 8, v4
	v_lshl_add_u32 v6, v6, 10, v41
	v_cndmask_b32_e64 v2, v2, v12, s[0:1]
	v_and_or_b32 v4, v4, s25, v6
	v_lshl_or_b32 v2, v2, 7, v4
	v_cvt_f32_f16_e32 v2, v2
.LBB267_622:                            ;   in Loop: Header=BB267_559 Depth=1
	s_or_b64 exec, exec, s[6:7]
	v_lshrrev_b32_e32 v4, 24, v21
	v_cmp_lt_i16_e64 s[0:1], s19, v4
	s_mov_b64 s[6:7], 0
                                        ; implicit-def: $sgpr30
	s_and_saveexec_b64 s[8:9], s[0:1]
	s_xor_b64 s[8:9], exec, s[8:9]
	s_cbranch_execnz .LBB267_892
; %bb.623:                              ;   in Loop: Header=BB267_559 Depth=1
	s_or_saveexec_b64 s[8:9], s[8:9]
	v_mov_b32_e32 v17, s30
	s_xor_b64 exec, exec, s[8:9]
	s_cbranch_execnz .LBB267_895
.LBB267_624:                            ;   in Loop: Header=BB267_559 Depth=1
	s_or_b64 exec, exec, s[8:9]
	s_and_saveexec_b64 s[8:9], s[6:7]
	s_cbranch_execz .LBB267_626
.LBB267_625:                            ;   in Loop: Header=BB267_559 Depth=1
	v_bfe_u32 v6, v21, 24, 3
	v_ffbh_u32_e32 v12, v6
	v_bfe_u32 v7, v21, 27, 4
	v_min_u32_e32 v12, 32, v12
	v_subrev_u32_e32 v13, 28, v12
	v_sub_u32_e32 v12, 29, v12
	v_cmp_eq_u32_e64 s[0:1], 0, v7
	v_lshlrev_b64 v[20:21], v13, v[4:5]
	v_and_b32_e32 v13, 7, v20
	v_cndmask_b32_e64 v7, v7, v12, s[0:1]
	v_lshlrev_b32_e32 v4, 8, v4
	v_lshl_add_u32 v7, v7, 10, v41
	v_cndmask_b32_e64 v6, v6, v13, s[0:1]
	v_and_or_b32 v4, v4, s25, v7
	v_lshl_or_b32 v4, v6, 7, v4
	v_cvt_f32_f16_e32 v17, v4
.LBB267_626:                            ;   in Loop: Header=BB267_559 Depth=1
	s_or_b64 exec, exec, s[8:9]
	v_pk_mul_f32 v[20:21], v[16:17], v[26:27] op_sel_hi:[0,1]
	v_pk_mul_f32 v[22:23], v[16:17], v[24:25] op_sel_hi:[0,1]
	v_cvt_f16_f32_e32 v4, v21
	v_cvt_f16_f32_e32 v6, v20
	;; [unrolled: 1-line block ×4, first 2 shown]
	v_fma_mixlo_f16 v1, v16, v1, 0
	v_lshlrev_b32_e32 v1, 16, v1
	v_fma_mixlo_f16 v0, v16, v0, 0
	v_or_b32_sdwa v0, v1, v0 dst_sel:DWORD dst_unused:UNUSED_PAD src0_sel:DWORD src1_sel:WORD_0
	v_fma_mixlo_f16 v1, v16, v17, 0
	v_pack_b32_f16 v6, v6, v4
	v_pack_b32_f16 v7, v12, v7
	v_fma_mixlo_f16 v2, v16, v2, 0
	v_lshlrev_b32_e32 v1, 16, v1
	v_perm_b32 v4, v7, v6, s27
	v_perm_b32 v13, v7, v6, s28
	v_or_b32_sdwa v1, v1, v2 dst_sel:DWORD dst_unused:UNUSED_PAD src0_sel:DWORD src1_sel:WORD_0
	s_and_saveexec_b64 s[6:7], vcc
	s_cbranch_execz .LBB267_628
; %bb.627:                              ;   in Loop: Header=BB267_559 Depth=1
	v_lshrrev_b32_e32 v6, 16, v13
	v_cmp_lt_i32_e64 s[0:1], v57, v3
	v_accvgpr_read_b32 v12, a8
	v_lshrrev_b32_e32 v1, 16, v1
	v_cndmask_b32_e64 v6, 0, v6, s[0:1]
	v_cmp_lt_i32_e64 s[0:1], v44, v12
	s_nop 1
	v_cndmask_b32_e64 v7, 0, v13, s[0:1]
	v_perm_b32 v13, v6, v7, s29
	v_lshrrev_b32_e32 v6, 16, v4
	v_cmp_lt_i32_e64 s[0:1], v56, v3
	s_nop 1
	v_cndmask_b32_e64 v6, 0, v6, s[0:1]
	v_cmp_lt_i32_e64 s[0:1], v47, v12
	s_nop 1
	v_cndmask_b32_e64 v4, 0, v4, s[0:1]
	v_perm_b32 v4, v6, v4, s29
	v_lshrrev_b32_e32 v6, 16, v0
	v_cmp_lt_i32_e64 s[0:1], v46, v3
	s_nop 1
	v_cndmask_b32_e64 v6, 0, v6, s[0:1]
	v_cmp_lt_i32_e64 s[0:1], v45, v12
	s_nop 1
	v_cndmask_b32_e64 v0, 0, v0, s[0:1]
	v_cmp_lt_i32_e64 s[0:1], v43, v3
	v_perm_b32 v0, v6, v0, s29
	s_nop 0
	v_cndmask_b32_e64 v1, 0, v1, s[0:1]
	v_cmp_lt_i32_e64 s[0:1], v42, v12
	s_nop 1
	v_cndmask_b32_e64 v2, 0, v2, s[0:1]
	v_perm_b32 v1, v1, v2, s29
.LBB267_628:                            ;   in Loop: Header=BB267_559 Depth=1
	s_or_b64 exec, exec, s[6:7]
	;;#ASMSTART
	v_pk_mul_f16 v2, v61, v13;

	;;#ASMEND
	;;#ASMSTART
	v_pk_mul_f16 v4, v60, v4;

	;;#ASMEND
	;; [unrolled: 4-line block ×4, first 2 shown]
	v_accvgpr_read_b32 v7, a5
	;;#ASMSTART
	v_pk_add_f16 v2, v2, v4;

	;;#ASMEND
	v_accvgpr_read_b32 v6, a4
	;;#ASMSTART
	v_pk_add_f16 v0, v2, v0;

	;;#ASMEND
	s_mov_b64 s[0:1], 0
	;;#ASMSTART
	v_pk_add_f16 v0, v0, v1;

	;;#ASMEND
                                        ; implicit-def: $sgpr10
	s_nop 0
	v_lshrrev_b32_e32 v1, 16, v0
	v_and_b32_e32 v0, 0xffff, v0
	;;#ASMSTART
	v_cvt_f32_f16 v0, v0;
	;;#ASMEND
	;;#ASMSTART
	v_cvt_f32_f16 v1, v1;
	;;#ASMEND
	flat_load_dwordx2 v[20:21], v[14:15] offset:1024
	flat_load_dword v16, v[6:7]
	s_waitcnt vmcnt(0) lgkmcnt(0)
	v_cmp_gt_i16_sdwa s[6:7], v20, s19 src0_sel:BYTE_0 src1_sel:DWORD
	s_and_saveexec_b64 s[8:9], s[6:7]
	s_xor_b64 s[6:7], exec, s[8:9]
	s_cbranch_execnz .LBB267_896
; %bb.629:                              ;   in Loop: Header=BB267_559 Depth=1
	s_or_saveexec_b64 s[6:7], s[6:7]
	v_mov_b32_e32 v24, s10
	s_xor_b64 exec, exec, s[6:7]
	s_cbranch_execnz .LBB267_899
.LBB267_630:                            ;   in Loop: Header=BB267_559 Depth=1
	s_or_b64 exec, exec, s[6:7]
	s_and_saveexec_b64 s[6:7], s[0:1]
	s_cbranch_execz .LBB267_632
.LBB267_631:                            ;   in Loop: Header=BB267_559 Depth=1
	v_and_b32_e32 v2, 7, v20
	v_ffbh_u32_e32 v2, v2
	v_bfe_u32 v4, v20, 3, 4
	v_min_u32_e32 v2, 32, v2
	v_subrev_u32_e32 v6, 28, v2
	v_sub_u32_e32 v2, 29, v2
	v_cmp_eq_u32_e64 s[0:1], 0, v4
	s_nop 1
	v_cndmask_b32_e64 v2, v4, v2, s[0:1]
	v_cndmask_b32_e64 v4, 0, v6, s[0:1]
	v_lshlrev_b64 v[22:23], v4, v[20:21]
	v_lshlrev_b32_e32 v6, 8, v20
	v_lshl_add_u32 v2, v2, 10, v41
	v_lshlrev_b32_e32 v4, 7, v22
	v_and_or_b32 v2, v6, s25, v2
	v_and_or_b32 v2, v4, s26, v2
	v_cvt_f32_f16_e32 v24, v2
.LBB267_632:                            ;   in Loop: Header=BB267_559 Depth=1
	s_or_b64 exec, exec, s[6:7]
	v_lshrrev_b16_e32 v4, 8, v20
	v_cmp_lt_i16_e64 s[0:1], s19, v4
	s_mov_b64 s[6:7], 0
                                        ; implicit-def: $sgpr30
	s_and_saveexec_b64 s[8:9], s[0:1]
	s_xor_b64 s[8:9], exec, s[8:9]
	s_cbranch_execnz .LBB267_900
; %bb.633:                              ;   in Loop: Header=BB267_559 Depth=1
	s_or_saveexec_b64 s[8:9], s[8:9]
	v_mov_b32_e32 v26, s30
	s_xor_b64 exec, exec, s[8:9]
	s_cbranch_execnz .LBB267_903
.LBB267_634:                            ;   in Loop: Header=BB267_559 Depth=1
	s_or_b64 exec, exec, s[8:9]
	s_and_saveexec_b64 s[8:9], s[6:7]
	s_cbranch_execz .LBB267_636
.LBB267_635:                            ;   in Loop: Header=BB267_559 Depth=1
	v_and_b32_e32 v2, 7, v4
	v_ffbh_u32_e32 v7, v2
	v_bfe_u32 v6, v4, 3, 4
	v_min_u32_e32 v7, 32, v7
	v_subrev_u32_e32 v12, 28, v7
	v_sub_u32_e32 v7, 29, v7
	v_cmp_eq_u32_e64 s[0:1], 0, v6
	v_lshlrev_b64 v[22:23], v12, v[4:5]
	v_and_b32_e32 v12, 7, v22
	v_cndmask_b32_e64 v6, v6, v7, s[0:1]
	v_lshlrev_b32_e32 v4, 8, v4
	v_lshl_add_u32 v6, v6, 10, v41
	v_cndmask_b32_e64 v2, v2, v12, s[0:1]
	v_and_or_b32 v4, v4, s25, v6
	v_lshl_or_b32 v2, v2, 7, v4
	v_cvt_f32_f16_e32 v26, v2
.LBB267_636:                            ;   in Loop: Header=BB267_559 Depth=1
	s_or_b64 exec, exec, s[8:9]
	v_lshrrev_b32_e32 v4, 16, v20
	v_cmp_gt_i16_sdwa s[6:7], v4, s19 src0_sel:BYTE_0 src1_sel:DWORD
	s_mov_b64 s[0:1], 0
                                        ; implicit-def: $sgpr10
	s_and_saveexec_b64 s[8:9], s[6:7]
	s_xor_b64 s[6:7], exec, s[8:9]
	s_cbranch_execnz .LBB267_904
; %bb.637:                              ;   in Loop: Header=BB267_559 Depth=1
	s_or_saveexec_b64 s[6:7], s[6:7]
	v_mov_b32_e32 v25, s10
	s_xor_b64 exec, exec, s[6:7]
	s_cbranch_execnz .LBB267_907
.LBB267_638:                            ;   in Loop: Header=BB267_559 Depth=1
	s_or_b64 exec, exec, s[6:7]
	s_and_saveexec_b64 s[6:7], s[0:1]
	s_cbranch_execz .LBB267_640
.LBB267_639:                            ;   in Loop: Header=BB267_559 Depth=1
	v_bfe_u32 v2, v20, 16, 3
	v_ffbh_u32_e32 v7, v2
	v_bfe_u32 v6, v20, 19, 4
	v_min_u32_e32 v7, 32, v7
	v_subrev_u32_e32 v12, 28, v7
	v_sub_u32_e32 v7, 29, v7
	v_cmp_eq_u32_e64 s[0:1], 0, v6
	v_lshlrev_b64 v[22:23], v12, v[4:5]
	v_and_b32_e32 v12, 7, v22
	v_cndmask_b32_e64 v6, v6, v7, s[0:1]
	v_lshlrev_b32_e32 v4, 8, v4
	v_lshl_add_u32 v6, v6, 10, v41
	v_cndmask_b32_e64 v2, v2, v12, s[0:1]
	v_and_or_b32 v4, v4, s25, v6
	v_lshl_or_b32 v2, v2, 7, v4
	v_cvt_f32_f16_e32 v25, v2
.LBB267_640:                            ;   in Loop: Header=BB267_559 Depth=1
	s_or_b64 exec, exec, s[6:7]
	v_lshrrev_b32_e32 v4, 24, v20
	v_cmp_lt_i16_e64 s[0:1], s19, v4
	s_mov_b64 s[6:7], 0
                                        ; implicit-def: $sgpr30
	s_and_saveexec_b64 s[8:9], s[0:1]
	s_xor_b64 s[8:9], exec, s[8:9]
	s_cbranch_execnz .LBB267_908
; %bb.641:                              ;   in Loop: Header=BB267_559 Depth=1
	s_or_saveexec_b64 s[8:9], s[8:9]
	v_mov_b32_e32 v27, s30
	s_xor_b64 exec, exec, s[8:9]
	s_cbranch_execnz .LBB267_911
.LBB267_642:                            ;   in Loop: Header=BB267_559 Depth=1
	s_or_b64 exec, exec, s[8:9]
	s_and_saveexec_b64 s[8:9], s[6:7]
	s_cbranch_execz .LBB267_644
.LBB267_643:                            ;   in Loop: Header=BB267_559 Depth=1
	v_bfe_u32 v2, v20, 24, 3
	v_ffbh_u32_e32 v7, v2
	v_bfe_u32 v6, v20, 27, 4
	v_min_u32_e32 v7, 32, v7
	v_subrev_u32_e32 v12, 28, v7
	v_sub_u32_e32 v7, 29, v7
	v_cmp_eq_u32_e64 s[0:1], 0, v6
	v_lshlrev_b64 v[22:23], v12, v[4:5]
	v_and_b32_e32 v12, 7, v22
	v_cndmask_b32_e64 v6, v6, v7, s[0:1]
	v_lshlrev_b32_e32 v4, 8, v4
	v_lshl_add_u32 v6, v6, 10, v41
	v_cndmask_b32_e64 v2, v2, v12, s[0:1]
	v_and_or_b32 v4, v4, s25, v6
	v_lshl_or_b32 v2, v2, 7, v4
	v_cvt_f32_f16_e32 v27, v2
.LBB267_644:                            ;   in Loop: Header=BB267_559 Depth=1
	s_or_b64 exec, exec, s[8:9]
	v_cmp_gt_i16_sdwa s[6:7], v21, s19 src0_sel:BYTE_0 src1_sel:DWORD
	s_mov_b64 s[0:1], 0
                                        ; implicit-def: $sgpr10
	s_and_saveexec_b64 s[8:9], s[6:7]
	s_xor_b64 s[6:7], exec, s[8:9]
	s_cbranch_execnz .LBB267_912
; %bb.645:                              ;   in Loop: Header=BB267_559 Depth=1
	s_or_saveexec_b64 s[6:7], s[6:7]
	v_mov_b32_e32 v2, s10
	s_xor_b64 exec, exec, s[6:7]
	s_cbranch_execnz .LBB267_915
.LBB267_646:                            ;   in Loop: Header=BB267_559 Depth=1
	s_or_b64 exec, exec, s[6:7]
	v_mov_b32_e32 v4, v21
	s_and_saveexec_b64 s[6:7], s[0:1]
	s_cbranch_execz .LBB267_648
.LBB267_647:                            ;   in Loop: Header=BB267_559 Depth=1
	v_and_b32_e32 v2, 7, v21
	v_ffbh_u32_e32 v2, v2
	v_bfe_u32 v6, v21, 3, 4
	v_min_u32_e32 v2, 32, v2
	v_subrev_u32_e32 v7, 28, v2
	v_sub_u32_e32 v2, 29, v2
	v_cmp_eq_u32_e64 s[0:1], 0, v6
	s_nop 1
	v_cndmask_b32_e64 v2, v6, v2, s[0:1]
	v_cndmask_b32_e64 v6, 0, v7, s[0:1]
	v_lshlrev_b64 v[22:23], v6, v[4:5]
	v_lshlrev_b32_e32 v7, 8, v21
	v_lshl_add_u32 v2, v2, 10, v41
	v_lshlrev_b32_e32 v6, 7, v22
	v_and_or_b32 v2, v7, s25, v2
	v_and_or_b32 v2, v6, s26, v2
	v_cvt_f32_f16_e32 v2, v2
.LBB267_648:                            ;   in Loop: Header=BB267_559 Depth=1
	s_or_b64 exec, exec, s[6:7]
	v_lshrrev_b16_e32 v4, 8, v4
	v_cmp_lt_i16_e64 s[0:1], s19, v4
	s_mov_b64 s[6:7], 0
                                        ; implicit-def: $sgpr30
	s_and_saveexec_b64 s[8:9], s[0:1]
	s_xor_b64 s[8:9], exec, s[8:9]
	s_cbranch_execnz .LBB267_916
; %bb.649:                              ;   in Loop: Header=BB267_559 Depth=1
	s_or_saveexec_b64 s[8:9], s[8:9]
	v_mov_b32_e32 v13, s30
	s_xor_b64 exec, exec, s[8:9]
	s_cbranch_execnz .LBB267_919
.LBB267_650:                            ;   in Loop: Header=BB267_559 Depth=1
	s_or_b64 exec, exec, s[8:9]
	s_and_saveexec_b64 s[8:9], s[6:7]
	s_cbranch_execz .LBB267_652
.LBB267_651:                            ;   in Loop: Header=BB267_559 Depth=1
	v_and_b32_e32 v6, 7, v4
	v_ffbh_u32_e32 v12, v6
	v_bfe_u32 v7, v4, 3, 4
	v_min_u32_e32 v12, 32, v12
	v_subrev_u32_e32 v13, 28, v12
	v_sub_u32_e32 v12, 29, v12
	v_cmp_eq_u32_e64 s[0:1], 0, v7
	v_lshlrev_b64 v[22:23], v13, v[4:5]
	v_and_b32_e32 v13, 7, v22
	v_cndmask_b32_e64 v7, v7, v12, s[0:1]
	v_lshlrev_b32_e32 v4, 8, v4
	v_lshl_add_u32 v7, v7, 10, v41
	v_cndmask_b32_e64 v6, v6, v13, s[0:1]
	v_and_or_b32 v4, v4, s25, v7
	v_lshl_or_b32 v4, v6, 7, v4
	v_cvt_f32_f16_e32 v13, v4
.LBB267_652:                            ;   in Loop: Header=BB267_559 Depth=1
	s_or_b64 exec, exec, s[8:9]
	v_lshrrev_b32_e32 v4, 16, v21
	v_cmp_gt_i16_sdwa s[6:7], v4, s19 src0_sel:BYTE_0 src1_sel:DWORD
	s_mov_b64 s[0:1], 0
                                        ; implicit-def: $sgpr10
	s_and_saveexec_b64 s[8:9], s[6:7]
	s_xor_b64 s[6:7], exec, s[8:9]
	s_cbranch_execnz .LBB267_920
; %bb.653:                              ;   in Loop: Header=BB267_559 Depth=1
	s_or_saveexec_b64 s[6:7], s[6:7]
	v_mov_b32_e32 v17, s10
	s_xor_b64 exec, exec, s[6:7]
	s_cbranch_execnz .LBB267_923
.LBB267_654:                            ;   in Loop: Header=BB267_559 Depth=1
	s_or_b64 exec, exec, s[6:7]
	s_and_saveexec_b64 s[6:7], s[0:1]
	s_cbranch_execz .LBB267_656
.LBB267_655:                            ;   in Loop: Header=BB267_559 Depth=1
	v_bfe_u32 v6, v21, 16, 3
	v_ffbh_u32_e32 v12, v6
	v_bfe_u32 v7, v21, 19, 4
	v_min_u32_e32 v12, 32, v12
	v_subrev_u32_e32 v17, 28, v12
	v_sub_u32_e32 v12, 29, v12
	v_cmp_eq_u32_e64 s[0:1], 0, v7
	v_lshlrev_b64 v[22:23], v17, v[4:5]
	v_and_b32_e32 v17, 7, v22
	v_cndmask_b32_e64 v7, v7, v12, s[0:1]
	v_lshlrev_b32_e32 v4, 8, v4
	v_lshl_add_u32 v7, v7, 10, v41
	v_cndmask_b32_e64 v6, v6, v17, s[0:1]
	v_and_or_b32 v4, v4, s25, v7
	v_lshl_or_b32 v4, v6, 7, v4
	v_cvt_f32_f16_e32 v17, v4
.LBB267_656:                            ;   in Loop: Header=BB267_559 Depth=1
	s_or_b64 exec, exec, s[6:7]
	v_lshrrev_b32_e32 v4, 24, v21
	v_cmp_lt_i16_e64 s[0:1], s19, v4
	s_mov_b64 s[6:7], 0
                                        ; implicit-def: $sgpr30
	s_and_saveexec_b64 s[8:9], s[0:1]
	s_xor_b64 s[8:9], exec, s[8:9]
	s_cbranch_execnz .LBB267_924
; %bb.657:                              ;   in Loop: Header=BB267_559 Depth=1
	s_or_saveexec_b64 s[8:9], s[8:9]
	v_mov_b32_e32 v20, s30
	s_xor_b64 exec, exec, s[8:9]
	s_cbranch_execnz .LBB267_927
.LBB267_658:                            ;   in Loop: Header=BB267_559 Depth=1
	s_or_b64 exec, exec, s[8:9]
	s_and_saveexec_b64 s[8:9], s[6:7]
	s_cbranch_execz .LBB267_660
.LBB267_659:                            ;   in Loop: Header=BB267_559 Depth=1
	v_bfe_u32 v6, v21, 24, 3
	v_ffbh_u32_e32 v12, v6
	v_bfe_u32 v7, v21, 27, 4
	v_min_u32_e32 v12, 32, v12
	v_subrev_u32_e32 v18, 28, v12
	v_sub_u32_e32 v12, 29, v12
	v_cmp_eq_u32_e64 s[0:1], 0, v7
	v_lshlrev_b64 v[20:21], v18, v[4:5]
	v_and_b32_e32 v18, 7, v20
	v_cndmask_b32_e64 v7, v7, v12, s[0:1]
	v_lshlrev_b32_e32 v4, 8, v4
	v_lshl_add_u32 v7, v7, 10, v41
	v_cndmask_b32_e64 v6, v6, v18, s[0:1]
	v_and_or_b32 v4, v4, s25, v7
	v_lshl_or_b32 v4, v6, 7, v4
	v_cvt_f32_f16_e32 v20, v4
.LBB267_660:                            ;   in Loop: Header=BB267_559 Depth=1
	s_or_b64 exec, exec, s[8:9]
	v_pk_mul_f32 v[22:23], v[16:17], v[26:27] op_sel_hi:[0,1]
	v_pk_mul_f32 v[24:25], v[16:17], v[24:25] op_sel_hi:[0,1]
	v_cvt_f16_f32_e32 v4, v23
	v_cvt_f16_f32_e32 v6, v22
	;; [unrolled: 1-line block ×4, first 2 shown]
	v_fma_mixlo_f16 v2, v16, v2, 0
	v_pack_b32_f16 v6, v6, v4
	v_fma_mixlo_f16 v17, v16, v17, 0
	v_pack_b32_f16 v7, v12, v7
	v_perm_b32 v4, v7, v6, s27
	v_perm_b32 v18, v7, v6, s28
	v_fma_mixlo_f16 v6, v16, v13, 0
	v_lshlrev_b32_e32 v6, 16, v6
	v_or_b32_sdwa v2, v6, v2 dst_sel:DWORD dst_unused:UNUSED_PAD src0_sel:DWORD src1_sel:WORD_0
	v_fma_mixlo_f16 v6, v16, v20, 0
	v_lshlrev_b32_e32 v6, 16, v6
	v_or_b32_sdwa v13, v6, v17 dst_sel:DWORD dst_unused:UNUSED_PAD src0_sel:DWORD src1_sel:WORD_0
	s_and_saveexec_b64 s[6:7], vcc
	s_cbranch_execz .LBB267_662
; %bb.661:                              ;   in Loop: Header=BB267_559 Depth=1
	v_lshrrev_b32_e32 v6, 16, v18
	v_cmp_lt_i32_e64 s[0:1], v57, v3
	v_accvgpr_read_b32 v12, a8
	s_nop 0
	v_cndmask_b32_e64 v6, 0, v6, s[0:1]
	v_cmp_lt_i32_e64 s[0:1], v44, v12
	s_nop 1
	v_cndmask_b32_e64 v7, 0, v18, s[0:1]
	v_perm_b32 v18, v6, v7, s29
	v_lshrrev_b32_e32 v6, 16, v4
	v_cmp_lt_i32_e64 s[0:1], v56, v3
	s_nop 1
	v_cndmask_b32_e64 v6, 0, v6, s[0:1]
	v_cmp_lt_i32_e64 s[0:1], v47, v12
	s_nop 1
	v_cndmask_b32_e64 v4, 0, v4, s[0:1]
	v_perm_b32 v4, v6, v4, s29
	v_lshrrev_b32_e32 v6, 16, v2
	v_cmp_lt_i32_e64 s[0:1], v46, v3
	;; [unrolled: 8-line block ×3, first 2 shown]
	s_nop 1
	v_cndmask_b32_e64 v6, 0, v6, s[0:1]
	v_cmp_lt_i32_e64 s[0:1], v42, v12
	s_nop 1
	v_cndmask_b32_e64 v7, 0, v17, s[0:1]
	v_perm_b32 v13, v6, v7, s29
.LBB267_662:                            ;   in Loop: Header=BB267_559 Depth=1
	s_or_b64 exec, exec, s[6:7]
	;;#ASMSTART
	v_pk_mul_f16 v6, v61, v18;

	;;#ASMEND
	;;#ASMSTART
	v_pk_mul_f16 v4, v60, v4;

	;;#ASMEND
	;; [unrolled: 4-line block ×4, first 2 shown]
	s_mov_b64 s[0:1], 0
	;;#ASMSTART
	v_pk_add_f16 v4, v6, v4;

	;;#ASMEND
                                        ; implicit-def: $sgpr10
	s_nop 0
	;;#ASMSTART
	v_pk_add_f16 v2, v4, v2;

	;;#ASMEND
	s_nop 0
	;;#ASMSTART
	v_pk_add_f16 v2, v2, v7;

	;;#ASMEND
	v_accvgpr_read_b32 v7, a5
	v_lshrrev_b32_e32 v4, 16, v2
	v_and_b32_e32 v2, 0xffff, v2
	;;#ASMSTART
	v_cvt_f32_f16 v13, v2;
	;;#ASMEND
	;;#ASMSTART
	v_cvt_f32_f16 v36, v4;
	;;#ASMEND
	flat_load_dwordx2 v[20:21], v[14:15] offset:1536
	v_accvgpr_read_b32 v6, a4
	flat_load_dword v16, v[6:7]
	s_waitcnt vmcnt(0) lgkmcnt(0)
	v_cmp_gt_i16_sdwa s[6:7], v20, s19 src0_sel:BYTE_0 src1_sel:DWORD
	s_and_saveexec_b64 s[8:9], s[6:7]
	s_xor_b64 s[6:7], exec, s[8:9]
	s_cbranch_execnz .LBB267_928
; %bb.663:                              ;   in Loop: Header=BB267_559 Depth=1
	s_or_saveexec_b64 s[6:7], s[6:7]
	v_mov_b32_e32 v24, s10
	s_xor_b64 exec, exec, s[6:7]
	s_cbranch_execnz .LBB267_931
.LBB267_664:                            ;   in Loop: Header=BB267_559 Depth=1
	s_or_b64 exec, exec, s[6:7]
	s_and_saveexec_b64 s[6:7], s[0:1]
	s_cbranch_execz .LBB267_666
.LBB267_665:                            ;   in Loop: Header=BB267_559 Depth=1
	v_and_b32_e32 v2, 7, v20
	v_ffbh_u32_e32 v2, v2
	v_bfe_u32 v4, v20, 3, 4
	v_min_u32_e32 v2, 32, v2
	v_subrev_u32_e32 v6, 28, v2
	v_sub_u32_e32 v2, 29, v2
	v_cmp_eq_u32_e64 s[0:1], 0, v4
	s_nop 1
	v_cndmask_b32_e64 v2, v4, v2, s[0:1]
	v_cndmask_b32_e64 v4, 0, v6, s[0:1]
	v_lshlrev_b64 v[22:23], v4, v[20:21]
	v_lshlrev_b32_e32 v6, 8, v20
	v_lshl_add_u32 v2, v2, 10, v41
	v_lshlrev_b32_e32 v4, 7, v22
	v_and_or_b32 v2, v6, s25, v2
	v_and_or_b32 v2, v4, s26, v2
	v_cvt_f32_f16_e32 v24, v2
.LBB267_666:                            ;   in Loop: Header=BB267_559 Depth=1
	s_or_b64 exec, exec, s[6:7]
	v_lshrrev_b16_e32 v4, 8, v20
	v_cmp_lt_i16_e64 s[0:1], s19, v4
	s_mov_b64 s[6:7], 0
                                        ; implicit-def: $sgpr30
	s_and_saveexec_b64 s[8:9], s[0:1]
	s_xor_b64 s[8:9], exec, s[8:9]
	s_cbranch_execnz .LBB267_932
; %bb.667:                              ;   in Loop: Header=BB267_559 Depth=1
	s_or_saveexec_b64 s[8:9], s[8:9]
	v_mov_b32_e32 v26, s30
	s_xor_b64 exec, exec, s[8:9]
	s_cbranch_execnz .LBB267_935
.LBB267_668:                            ;   in Loop: Header=BB267_559 Depth=1
	s_or_b64 exec, exec, s[8:9]
	s_and_saveexec_b64 s[8:9], s[6:7]
	s_cbranch_execz .LBB267_670
.LBB267_669:                            ;   in Loop: Header=BB267_559 Depth=1
	v_and_b32_e32 v2, 7, v4
	v_ffbh_u32_e32 v7, v2
	v_bfe_u32 v6, v4, 3, 4
	v_min_u32_e32 v7, 32, v7
	v_subrev_u32_e32 v12, 28, v7
	v_sub_u32_e32 v7, 29, v7
	v_cmp_eq_u32_e64 s[0:1], 0, v6
	v_lshlrev_b64 v[22:23], v12, v[4:5]
	v_and_b32_e32 v12, 7, v22
	v_cndmask_b32_e64 v6, v6, v7, s[0:1]
	v_lshlrev_b32_e32 v4, 8, v4
	v_lshl_add_u32 v6, v6, 10, v41
	v_cndmask_b32_e64 v2, v2, v12, s[0:1]
	v_and_or_b32 v4, v4, s25, v6
	v_lshl_or_b32 v2, v2, 7, v4
	v_cvt_f32_f16_e32 v26, v2
.LBB267_670:                            ;   in Loop: Header=BB267_559 Depth=1
	s_or_b64 exec, exec, s[8:9]
	v_lshrrev_b32_e32 v4, 16, v20
	v_cmp_gt_i16_sdwa s[6:7], v4, s19 src0_sel:BYTE_0 src1_sel:DWORD
	s_mov_b64 s[0:1], 0
                                        ; implicit-def: $sgpr10
	s_and_saveexec_b64 s[8:9], s[6:7]
	s_xor_b64 s[6:7], exec, s[8:9]
	s_cbranch_execnz .LBB267_936
; %bb.671:                              ;   in Loop: Header=BB267_559 Depth=1
	s_or_saveexec_b64 s[6:7], s[6:7]
	v_mov_b32_e32 v25, s10
	s_xor_b64 exec, exec, s[6:7]
	s_cbranch_execnz .LBB267_939
.LBB267_672:                            ;   in Loop: Header=BB267_559 Depth=1
	s_or_b64 exec, exec, s[6:7]
	s_and_saveexec_b64 s[6:7], s[0:1]
	s_cbranch_execz .LBB267_674
.LBB267_673:                            ;   in Loop: Header=BB267_559 Depth=1
	v_bfe_u32 v2, v20, 16, 3
	v_ffbh_u32_e32 v7, v2
	v_bfe_u32 v6, v20, 19, 4
	v_min_u32_e32 v7, 32, v7
	v_subrev_u32_e32 v12, 28, v7
	v_sub_u32_e32 v7, 29, v7
	v_cmp_eq_u32_e64 s[0:1], 0, v6
	v_lshlrev_b64 v[22:23], v12, v[4:5]
	v_and_b32_e32 v12, 7, v22
	v_cndmask_b32_e64 v6, v6, v7, s[0:1]
	v_lshlrev_b32_e32 v4, 8, v4
	v_lshl_add_u32 v6, v6, 10, v41
	v_cndmask_b32_e64 v2, v2, v12, s[0:1]
	v_and_or_b32 v4, v4, s25, v6
	v_lshl_or_b32 v2, v2, 7, v4
	v_cvt_f32_f16_e32 v25, v2
.LBB267_674:                            ;   in Loop: Header=BB267_559 Depth=1
	s_or_b64 exec, exec, s[6:7]
	v_lshrrev_b32_e32 v4, 24, v20
	v_cmp_lt_i16_e64 s[0:1], s19, v4
	s_mov_b64 s[6:7], 0
                                        ; implicit-def: $sgpr30
	s_and_saveexec_b64 s[8:9], s[0:1]
	s_xor_b64 s[8:9], exec, s[8:9]
	s_cbranch_execnz .LBB267_940
; %bb.675:                              ;   in Loop: Header=BB267_559 Depth=1
	s_or_saveexec_b64 s[8:9], s[8:9]
	v_mov_b32_e32 v27, s30
	s_xor_b64 exec, exec, s[8:9]
	s_cbranch_execnz .LBB267_943
.LBB267_676:                            ;   in Loop: Header=BB267_559 Depth=1
	s_or_b64 exec, exec, s[8:9]
	s_and_saveexec_b64 s[8:9], s[6:7]
	s_cbranch_execz .LBB267_678
.LBB267_677:                            ;   in Loop: Header=BB267_559 Depth=1
	v_bfe_u32 v2, v20, 24, 3
	v_ffbh_u32_e32 v7, v2
	v_bfe_u32 v6, v20, 27, 4
	v_min_u32_e32 v7, 32, v7
	v_subrev_u32_e32 v12, 28, v7
	v_sub_u32_e32 v7, 29, v7
	v_cmp_eq_u32_e64 s[0:1], 0, v6
	v_lshlrev_b64 v[22:23], v12, v[4:5]
	v_and_b32_e32 v12, 7, v22
	v_cndmask_b32_e64 v6, v6, v7, s[0:1]
	v_lshlrev_b32_e32 v4, 8, v4
	v_lshl_add_u32 v6, v6, 10, v41
	v_cndmask_b32_e64 v2, v2, v12, s[0:1]
	v_and_or_b32 v4, v4, s25, v6
	v_lshl_or_b32 v2, v2, 7, v4
	v_cvt_f32_f16_e32 v27, v2
.LBB267_678:                            ;   in Loop: Header=BB267_559 Depth=1
	s_or_b64 exec, exec, s[8:9]
	v_cmp_gt_i16_sdwa s[6:7], v21, s19 src0_sel:BYTE_0 src1_sel:DWORD
	s_mov_b64 s[0:1], 0
                                        ; implicit-def: $sgpr10
	s_and_saveexec_b64 s[8:9], s[6:7]
	s_xor_b64 s[6:7], exec, s[8:9]
	s_cbranch_execnz .LBB267_944
; %bb.679:                              ;   in Loop: Header=BB267_559 Depth=1
	s_or_saveexec_b64 s[6:7], s[6:7]
	v_mov_b32_e32 v2, s10
	s_xor_b64 exec, exec, s[6:7]
	s_cbranch_execnz .LBB267_947
.LBB267_680:                            ;   in Loop: Header=BB267_559 Depth=1
	s_or_b64 exec, exec, s[6:7]
	v_mov_b32_e32 v4, v21
	s_and_saveexec_b64 s[6:7], s[0:1]
	s_cbranch_execz .LBB267_682
.LBB267_681:                            ;   in Loop: Header=BB267_559 Depth=1
	v_and_b32_e32 v2, 7, v21
	v_ffbh_u32_e32 v2, v2
	v_bfe_u32 v6, v21, 3, 4
	v_min_u32_e32 v2, 32, v2
	v_subrev_u32_e32 v7, 28, v2
	v_sub_u32_e32 v2, 29, v2
	v_cmp_eq_u32_e64 s[0:1], 0, v6
	s_nop 1
	v_cndmask_b32_e64 v2, v6, v2, s[0:1]
	v_cndmask_b32_e64 v6, 0, v7, s[0:1]
	v_lshlrev_b64 v[22:23], v6, v[4:5]
	v_lshlrev_b32_e32 v7, 8, v21
	v_lshl_add_u32 v2, v2, 10, v41
	v_lshlrev_b32_e32 v6, 7, v22
	v_and_or_b32 v2, v7, s25, v2
	v_and_or_b32 v2, v6, s26, v2
	v_cvt_f32_f16_e32 v2, v2
.LBB267_682:                            ;   in Loop: Header=BB267_559 Depth=1
	s_or_b64 exec, exec, s[6:7]
	v_lshrrev_b16_e32 v4, 8, v4
	v_cmp_lt_i16_e64 s[0:1], s19, v4
	s_mov_b64 s[6:7], 0
                                        ; implicit-def: $sgpr30
	s_and_saveexec_b64 s[8:9], s[0:1]
	s_xor_b64 s[8:9], exec, s[8:9]
	s_cbranch_execnz .LBB267_948
; %bb.683:                              ;   in Loop: Header=BB267_559 Depth=1
	s_or_saveexec_b64 s[8:9], s[8:9]
	v_mov_b32_e32 v17, s30
	s_xor_b64 exec, exec, s[8:9]
	s_cbranch_execnz .LBB267_951
.LBB267_684:                            ;   in Loop: Header=BB267_559 Depth=1
	s_or_b64 exec, exec, s[8:9]
	s_and_saveexec_b64 s[8:9], s[6:7]
	s_cbranch_execz .LBB267_686
.LBB267_685:                            ;   in Loop: Header=BB267_559 Depth=1
	v_and_b32_e32 v6, 7, v4
	v_ffbh_u32_e32 v12, v6
	v_bfe_u32 v7, v4, 3, 4
	v_min_u32_e32 v12, 32, v12
	v_subrev_u32_e32 v17, 28, v12
	v_sub_u32_e32 v12, 29, v12
	v_cmp_eq_u32_e64 s[0:1], 0, v7
	v_lshlrev_b64 v[22:23], v17, v[4:5]
	v_and_b32_e32 v17, 7, v22
	v_cndmask_b32_e64 v7, v7, v12, s[0:1]
	v_lshlrev_b32_e32 v4, 8, v4
	v_lshl_add_u32 v7, v7, 10, v41
	v_cndmask_b32_e64 v6, v6, v17, s[0:1]
	v_and_or_b32 v4, v4, s25, v7
	v_lshl_or_b32 v4, v6, 7, v4
	v_cvt_f32_f16_e32 v17, v4
.LBB267_686:                            ;   in Loop: Header=BB267_559 Depth=1
	s_or_b64 exec, exec, s[8:9]
	v_lshrrev_b32_e32 v4, 16, v21
	v_cmp_gt_i16_sdwa s[6:7], v4, s19 src0_sel:BYTE_0 src1_sel:DWORD
	s_mov_b64 s[0:1], 0
                                        ; implicit-def: $sgpr10
	s_and_saveexec_b64 s[8:9], s[6:7]
	s_xor_b64 s[6:7], exec, s[8:9]
	s_cbranch_execnz .LBB267_952
; %bb.687:                              ;   in Loop: Header=BB267_559 Depth=1
	s_or_saveexec_b64 s[6:7], s[6:7]
	v_mov_b32_e32 v18, s10
	s_xor_b64 exec, exec, s[6:7]
	s_cbranch_execnz .LBB267_955
.LBB267_688:                            ;   in Loop: Header=BB267_559 Depth=1
	s_or_b64 exec, exec, s[6:7]
	s_and_saveexec_b64 s[6:7], s[0:1]
	s_cbranch_execz .LBB267_690
.LBB267_689:                            ;   in Loop: Header=BB267_559 Depth=1
	v_bfe_u32 v6, v21, 16, 3
	v_ffbh_u32_e32 v12, v6
	v_bfe_u32 v7, v21, 19, 4
	v_min_u32_e32 v12, 32, v12
	v_subrev_u32_e32 v18, 28, v12
	v_sub_u32_e32 v12, 29, v12
	v_cmp_eq_u32_e64 s[0:1], 0, v7
	v_lshlrev_b64 v[22:23], v18, v[4:5]
	v_and_b32_e32 v18, 7, v22
	v_cndmask_b32_e64 v7, v7, v12, s[0:1]
	v_lshlrev_b32_e32 v4, 8, v4
	v_lshl_add_u32 v7, v7, 10, v41
	v_cndmask_b32_e64 v6, v6, v18, s[0:1]
	v_and_or_b32 v4, v4, s25, v7
	v_lshl_or_b32 v4, v6, 7, v4
	v_cvt_f32_f16_e32 v18, v4
.LBB267_690:                            ;   in Loop: Header=BB267_559 Depth=1
	s_or_b64 exec, exec, s[6:7]
	v_lshrrev_b32_e32 v4, 24, v21
	v_cmp_lt_i16_e64 s[0:1], s19, v4
	s_mov_b64 s[6:7], 0
                                        ; implicit-def: $sgpr30
	s_and_saveexec_b64 s[8:9], s[0:1]
	s_xor_b64 s[8:9], exec, s[8:9]
	s_cbranch_execnz .LBB267_956
; %bb.691:                              ;   in Loop: Header=BB267_559 Depth=1
	s_or_saveexec_b64 s[8:9], s[8:9]
	v_mov_b32_e32 v22, s30
	s_xor_b64 exec, exec, s[8:9]
	s_cbranch_execnz .LBB267_959
.LBB267_692:                            ;   in Loop: Header=BB267_559 Depth=1
	s_or_b64 exec, exec, s[8:9]
	s_and_saveexec_b64 s[8:9], s[6:7]
	s_cbranch_execz .LBB267_694
.LBB267_693:                            ;   in Loop: Header=BB267_559 Depth=1
	v_bfe_u32 v6, v21, 24, 3
	v_ffbh_u32_e32 v12, v6
	v_bfe_u32 v7, v21, 27, 4
	v_min_u32_e32 v12, 32, v12
	v_subrev_u32_e32 v19, 28, v12
	v_sub_u32_e32 v12, 29, v12
	v_cmp_eq_u32_e64 s[0:1], 0, v7
	v_lshlrev_b64 v[20:21], v19, v[4:5]
	v_and_b32_e32 v19, 7, v20
	v_cndmask_b32_e64 v7, v7, v12, s[0:1]
	v_lshlrev_b32_e32 v4, 8, v4
	v_lshl_add_u32 v7, v7, 10, v41
	v_cndmask_b32_e64 v6, v6, v19, s[0:1]
	v_and_or_b32 v4, v4, s25, v7
	v_lshl_or_b32 v4, v6, 7, v4
	v_cvt_f32_f16_e32 v22, v4
.LBB267_694:                            ;   in Loop: Header=BB267_559 Depth=1
	s_or_b64 exec, exec, s[8:9]
	v_pk_mul_f32 v[20:21], v[16:17], v[26:27] op_sel_hi:[0,1]
	v_pk_mul_f32 v[24:25], v[16:17], v[24:25] op_sel_hi:[0,1]
	v_cvt_f16_f32_e32 v4, v21
	v_cvt_f16_f32_e32 v6, v20
	v_cvt_f16_f32_e32 v7, v25
	v_cvt_f16_f32_e32 v12, v24
	v_fma_mixlo_f16 v2, v16, v2, 0
	v_pack_b32_f16 v6, v6, v4
	v_pack_b32_f16 v7, v12, v7
	v_perm_b32 v4, v7, v6, s27
	v_perm_b32 v20, v7, v6, s28
	v_fma_mixlo_f16 v6, v16, v17, 0
	v_lshlrev_b32_e32 v6, 16, v6
	v_or_b32_sdwa v2, v6, v2 dst_sel:DWORD dst_unused:UNUSED_PAD src0_sel:DWORD src1_sel:WORD_0
	v_fma_mixlo_f16 v6, v16, v22, 0
	v_fma_mixlo_f16 v17, v16, v18, 0
	v_lshlrev_b32_e32 v6, 16, v6
	v_or_b32_sdwa v16, v6, v17 dst_sel:DWORD dst_unused:UNUSED_PAD src0_sel:DWORD src1_sel:WORD_0
	s_and_saveexec_b64 s[6:7], vcc
	s_cbranch_execz .LBB267_696
; %bb.695:                              ;   in Loop: Header=BB267_559 Depth=1
	v_lshrrev_b32_e32 v6, 16, v20
	v_cmp_lt_i32_e64 s[0:1], v57, v3
	v_accvgpr_read_b32 v12, a8
	s_nop 0
	v_cndmask_b32_e64 v6, 0, v6, s[0:1]
	v_cmp_lt_i32_e64 s[0:1], v44, v12
	s_nop 1
	v_cndmask_b32_e64 v7, 0, v20, s[0:1]
	v_perm_b32 v20, v6, v7, s29
	v_lshrrev_b32_e32 v6, 16, v4
	v_cmp_lt_i32_e64 s[0:1], v56, v3
	s_nop 1
	v_cndmask_b32_e64 v6, 0, v6, s[0:1]
	v_cmp_lt_i32_e64 s[0:1], v47, v12
	s_nop 1
	v_cndmask_b32_e64 v4, 0, v4, s[0:1]
	v_perm_b32 v4, v6, v4, s29
	v_lshrrev_b32_e32 v6, 16, v2
	v_cmp_lt_i32_e64 s[0:1], v46, v3
	;; [unrolled: 8-line block ×3, first 2 shown]
	s_nop 1
	v_cndmask_b32_e64 v6, 0, v6, s[0:1]
	v_cmp_lt_i32_e64 s[0:1], v42, v12
	s_nop 1
	v_cndmask_b32_e64 v7, 0, v17, s[0:1]
	v_perm_b32 v16, v6, v7, s29
.LBB267_696:                            ;   in Loop: Header=BB267_559 Depth=1
	s_or_b64 exec, exec, s[6:7]
	;;#ASMSTART
	v_pk_mul_f16 v6, v61, v20;

	;;#ASMEND
	;;#ASMSTART
	v_pk_mul_f16 v4, v60, v4;

	;;#ASMEND
	;; [unrolled: 4-line block ×4, first 2 shown]
	s_mov_b64 s[0:1], 0
	;;#ASMSTART
	v_pk_add_f16 v4, v6, v4;

	;;#ASMEND
                                        ; implicit-def: $sgpr10
	s_nop 0
	;;#ASMSTART
	v_pk_add_f16 v2, v4, v2;

	;;#ASMEND
	s_nop 0
	;;#ASMSTART
	v_pk_add_f16 v2, v2, v7;

	;;#ASMEND
	v_accvgpr_read_b32 v7, a5
	v_lshrrev_b32_e32 v4, 16, v2
	v_and_b32_e32 v2, 0xffff, v2
	;;#ASMSTART
	v_cvt_f32_f16 v38, v2;
	;;#ASMEND
	;;#ASMSTART
	v_cvt_f32_f16 v50, v4;
	;;#ASMEND
	flat_load_dwordx2 v[20:21], v[14:15] offset:2048
	v_accvgpr_read_b32 v6, a4
	flat_load_dword v16, v[6:7]
	s_waitcnt vmcnt(0) lgkmcnt(0)
	v_cmp_gt_i16_sdwa s[6:7], v20, s19 src0_sel:BYTE_0 src1_sel:DWORD
	s_and_saveexec_b64 s[8:9], s[6:7]
	s_xor_b64 s[6:7], exec, s[8:9]
	s_cbranch_execnz .LBB267_960
; %bb.697:                              ;   in Loop: Header=BB267_559 Depth=1
	s_or_saveexec_b64 s[6:7], s[6:7]
	v_mov_b32_e32 v24, s10
	s_xor_b64 exec, exec, s[6:7]
	s_cbranch_execnz .LBB267_963
.LBB267_698:                            ;   in Loop: Header=BB267_559 Depth=1
	s_or_b64 exec, exec, s[6:7]
	s_and_saveexec_b64 s[6:7], s[0:1]
	s_cbranch_execz .LBB267_700
.LBB267_699:                            ;   in Loop: Header=BB267_559 Depth=1
	v_and_b32_e32 v2, 7, v20
	v_ffbh_u32_e32 v2, v2
	v_bfe_u32 v4, v20, 3, 4
	v_min_u32_e32 v2, 32, v2
	v_subrev_u32_e32 v6, 28, v2
	v_sub_u32_e32 v2, 29, v2
	v_cmp_eq_u32_e64 s[0:1], 0, v4
	s_nop 1
	v_cndmask_b32_e64 v2, v4, v2, s[0:1]
	v_cndmask_b32_e64 v4, 0, v6, s[0:1]
	v_lshlrev_b64 v[22:23], v4, v[20:21]
	v_lshlrev_b32_e32 v6, 8, v20
	v_lshl_add_u32 v2, v2, 10, v41
	v_lshlrev_b32_e32 v4, 7, v22
	v_and_or_b32 v2, v6, s25, v2
	v_and_or_b32 v2, v4, s26, v2
	v_cvt_f32_f16_e32 v24, v2
.LBB267_700:                            ;   in Loop: Header=BB267_559 Depth=1
	s_or_b64 exec, exec, s[6:7]
	v_lshrrev_b16_e32 v4, 8, v20
	v_cmp_lt_i16_e64 s[0:1], s19, v4
	s_mov_b64 s[6:7], 0
                                        ; implicit-def: $sgpr30
	s_and_saveexec_b64 s[8:9], s[0:1]
	s_xor_b64 s[8:9], exec, s[8:9]
	s_cbranch_execnz .LBB267_964
; %bb.701:                              ;   in Loop: Header=BB267_559 Depth=1
	s_or_saveexec_b64 s[8:9], s[8:9]
	v_mov_b32_e32 v26, s30
	s_xor_b64 exec, exec, s[8:9]
	s_cbranch_execnz .LBB267_967
.LBB267_702:                            ;   in Loop: Header=BB267_559 Depth=1
	s_or_b64 exec, exec, s[8:9]
	s_and_saveexec_b64 s[8:9], s[6:7]
	s_cbranch_execz .LBB267_704
.LBB267_703:                            ;   in Loop: Header=BB267_559 Depth=1
	v_and_b32_e32 v2, 7, v4
	v_ffbh_u32_e32 v7, v2
	v_bfe_u32 v6, v4, 3, 4
	v_min_u32_e32 v7, 32, v7
	v_subrev_u32_e32 v12, 28, v7
	v_sub_u32_e32 v7, 29, v7
	v_cmp_eq_u32_e64 s[0:1], 0, v6
	v_lshlrev_b64 v[22:23], v12, v[4:5]
	v_and_b32_e32 v12, 7, v22
	v_cndmask_b32_e64 v6, v6, v7, s[0:1]
	v_lshlrev_b32_e32 v4, 8, v4
	v_lshl_add_u32 v6, v6, 10, v41
	v_cndmask_b32_e64 v2, v2, v12, s[0:1]
	v_and_or_b32 v4, v4, s25, v6
	v_lshl_or_b32 v2, v2, 7, v4
	v_cvt_f32_f16_e32 v26, v2
.LBB267_704:                            ;   in Loop: Header=BB267_559 Depth=1
	s_or_b64 exec, exec, s[8:9]
	v_lshrrev_b32_e32 v4, 16, v20
	v_cmp_gt_i16_sdwa s[6:7], v4, s19 src0_sel:BYTE_0 src1_sel:DWORD
	s_mov_b64 s[0:1], 0
                                        ; implicit-def: $sgpr10
	s_and_saveexec_b64 s[8:9], s[6:7]
	s_xor_b64 s[6:7], exec, s[8:9]
	s_cbranch_execnz .LBB267_968
; %bb.705:                              ;   in Loop: Header=BB267_559 Depth=1
	s_or_saveexec_b64 s[6:7], s[6:7]
	v_mov_b32_e32 v25, s10
	s_xor_b64 exec, exec, s[6:7]
	s_cbranch_execnz .LBB267_971
.LBB267_706:                            ;   in Loop: Header=BB267_559 Depth=1
	s_or_b64 exec, exec, s[6:7]
	s_and_saveexec_b64 s[6:7], s[0:1]
	s_cbranch_execz .LBB267_708
.LBB267_707:                            ;   in Loop: Header=BB267_559 Depth=1
	v_bfe_u32 v2, v20, 16, 3
	v_ffbh_u32_e32 v7, v2
	v_bfe_u32 v6, v20, 19, 4
	v_min_u32_e32 v7, 32, v7
	v_subrev_u32_e32 v12, 28, v7
	v_sub_u32_e32 v7, 29, v7
	v_cmp_eq_u32_e64 s[0:1], 0, v6
	v_lshlrev_b64 v[22:23], v12, v[4:5]
	v_and_b32_e32 v12, 7, v22
	v_cndmask_b32_e64 v6, v6, v7, s[0:1]
	v_lshlrev_b32_e32 v4, 8, v4
	v_lshl_add_u32 v6, v6, 10, v41
	v_cndmask_b32_e64 v2, v2, v12, s[0:1]
	v_and_or_b32 v4, v4, s25, v6
	v_lshl_or_b32 v2, v2, 7, v4
	v_cvt_f32_f16_e32 v25, v2
.LBB267_708:                            ;   in Loop: Header=BB267_559 Depth=1
	s_or_b64 exec, exec, s[6:7]
	v_lshrrev_b32_e32 v4, 24, v20
	v_cmp_lt_i16_e64 s[0:1], s19, v4
	s_mov_b64 s[6:7], 0
                                        ; implicit-def: $sgpr30
	s_and_saveexec_b64 s[8:9], s[0:1]
	s_xor_b64 s[8:9], exec, s[8:9]
	s_cbranch_execnz .LBB267_972
; %bb.709:                              ;   in Loop: Header=BB267_559 Depth=1
	s_or_saveexec_b64 s[8:9], s[8:9]
	v_mov_b32_e32 v27, s30
	s_xor_b64 exec, exec, s[8:9]
	s_cbranch_execnz .LBB267_975
.LBB267_710:                            ;   in Loop: Header=BB267_559 Depth=1
	s_or_b64 exec, exec, s[8:9]
	s_and_saveexec_b64 s[8:9], s[6:7]
	s_cbranch_execz .LBB267_712
.LBB267_711:                            ;   in Loop: Header=BB267_559 Depth=1
	v_bfe_u32 v2, v20, 24, 3
	v_ffbh_u32_e32 v7, v2
	v_bfe_u32 v6, v20, 27, 4
	v_min_u32_e32 v7, 32, v7
	v_subrev_u32_e32 v12, 28, v7
	v_sub_u32_e32 v7, 29, v7
	v_cmp_eq_u32_e64 s[0:1], 0, v6
	v_lshlrev_b64 v[22:23], v12, v[4:5]
	v_and_b32_e32 v12, 7, v22
	v_cndmask_b32_e64 v6, v6, v7, s[0:1]
	v_lshlrev_b32_e32 v4, 8, v4
	v_lshl_add_u32 v6, v6, 10, v41
	v_cndmask_b32_e64 v2, v2, v12, s[0:1]
	v_and_or_b32 v4, v4, s25, v6
	v_lshl_or_b32 v2, v2, 7, v4
	v_cvt_f32_f16_e32 v27, v2
.LBB267_712:                            ;   in Loop: Header=BB267_559 Depth=1
	s_or_b64 exec, exec, s[8:9]
	v_cmp_gt_i16_sdwa s[6:7], v21, s19 src0_sel:BYTE_0 src1_sel:DWORD
	s_mov_b64 s[0:1], 0
                                        ; implicit-def: $sgpr10
	s_and_saveexec_b64 s[8:9], s[6:7]
	s_xor_b64 s[6:7], exec, s[8:9]
	s_cbranch_execnz .LBB267_976
; %bb.713:                              ;   in Loop: Header=BB267_559 Depth=1
	s_or_saveexec_b64 s[6:7], s[6:7]
	v_mov_b32_e32 v2, s10
	s_xor_b64 exec, exec, s[6:7]
	s_cbranch_execnz .LBB267_979
.LBB267_714:                            ;   in Loop: Header=BB267_559 Depth=1
	s_or_b64 exec, exec, s[6:7]
	v_mov_b32_e32 v4, v21
	s_and_saveexec_b64 s[6:7], s[0:1]
	s_cbranch_execz .LBB267_716
.LBB267_715:                            ;   in Loop: Header=BB267_559 Depth=1
	v_and_b32_e32 v2, 7, v21
	v_ffbh_u32_e32 v2, v2
	v_bfe_u32 v6, v21, 3, 4
	v_min_u32_e32 v2, 32, v2
	v_subrev_u32_e32 v7, 28, v2
	v_sub_u32_e32 v2, 29, v2
	v_cmp_eq_u32_e64 s[0:1], 0, v6
	s_nop 1
	v_cndmask_b32_e64 v2, v6, v2, s[0:1]
	v_cndmask_b32_e64 v6, 0, v7, s[0:1]
	v_lshlrev_b64 v[22:23], v6, v[4:5]
	v_lshlrev_b32_e32 v7, 8, v21
	v_lshl_add_u32 v2, v2, 10, v41
	v_lshlrev_b32_e32 v6, 7, v22
	v_and_or_b32 v2, v7, s25, v2
	v_and_or_b32 v2, v6, s26, v2
	v_cvt_f32_f16_e32 v2, v2
.LBB267_716:                            ;   in Loop: Header=BB267_559 Depth=1
	s_or_b64 exec, exec, s[6:7]
	v_lshrrev_b16_e32 v4, 8, v4
	v_cmp_lt_i16_e64 s[0:1], s19, v4
	s_mov_b64 s[6:7], 0
                                        ; implicit-def: $sgpr30
	s_and_saveexec_b64 s[8:9], s[0:1]
	s_xor_b64 s[8:9], exec, s[8:9]
	s_cbranch_execnz .LBB267_980
; %bb.717:                              ;   in Loop: Header=BB267_559 Depth=1
	s_or_saveexec_b64 s[8:9], s[8:9]
	v_mov_b32_e32 v17, s30
	s_xor_b64 exec, exec, s[8:9]
	s_cbranch_execnz .LBB267_983
.LBB267_718:                            ;   in Loop: Header=BB267_559 Depth=1
	s_or_b64 exec, exec, s[8:9]
	s_and_saveexec_b64 s[8:9], s[6:7]
	s_cbranch_execz .LBB267_720
.LBB267_719:                            ;   in Loop: Header=BB267_559 Depth=1
	v_and_b32_e32 v6, 7, v4
	v_ffbh_u32_e32 v12, v6
	v_bfe_u32 v7, v4, 3, 4
	v_min_u32_e32 v12, 32, v12
	v_subrev_u32_e32 v17, 28, v12
	v_sub_u32_e32 v12, 29, v12
	v_cmp_eq_u32_e64 s[0:1], 0, v7
	v_lshlrev_b64 v[22:23], v17, v[4:5]
	v_and_b32_e32 v17, 7, v22
	v_cndmask_b32_e64 v7, v7, v12, s[0:1]
	v_lshlrev_b32_e32 v4, 8, v4
	v_lshl_add_u32 v7, v7, 10, v41
	v_cndmask_b32_e64 v6, v6, v17, s[0:1]
	v_and_or_b32 v4, v4, s25, v7
	v_lshl_or_b32 v4, v6, 7, v4
	v_cvt_f32_f16_e32 v17, v4
.LBB267_720:                            ;   in Loop: Header=BB267_559 Depth=1
	s_or_b64 exec, exec, s[8:9]
	v_lshrrev_b32_e32 v4, 16, v21
	v_cmp_gt_i16_sdwa s[6:7], v4, s19 src0_sel:BYTE_0 src1_sel:DWORD
	s_mov_b64 s[0:1], 0
                                        ; implicit-def: $sgpr10
	s_and_saveexec_b64 s[8:9], s[6:7]
	s_xor_b64 s[6:7], exec, s[8:9]
	s_cbranch_execnz .LBB267_984
; %bb.721:                              ;   in Loop: Header=BB267_559 Depth=1
	s_or_saveexec_b64 s[6:7], s[6:7]
	v_mov_b32_e32 v18, s10
	s_xor_b64 exec, exec, s[6:7]
	s_cbranch_execnz .LBB267_987
.LBB267_722:                            ;   in Loop: Header=BB267_559 Depth=1
	s_or_b64 exec, exec, s[6:7]
	s_and_saveexec_b64 s[6:7], s[0:1]
	s_cbranch_execz .LBB267_724
.LBB267_723:                            ;   in Loop: Header=BB267_559 Depth=1
	v_bfe_u32 v6, v21, 16, 3
	v_ffbh_u32_e32 v12, v6
	v_bfe_u32 v7, v21, 19, 4
	v_min_u32_e32 v12, 32, v12
	v_subrev_u32_e32 v18, 28, v12
	v_sub_u32_e32 v12, 29, v12
	v_cmp_eq_u32_e64 s[0:1], 0, v7
	v_lshlrev_b64 v[22:23], v18, v[4:5]
	v_and_b32_e32 v18, 7, v22
	v_cndmask_b32_e64 v7, v7, v12, s[0:1]
	v_lshlrev_b32_e32 v4, 8, v4
	v_lshl_add_u32 v7, v7, 10, v41
	v_cndmask_b32_e64 v6, v6, v18, s[0:1]
	v_and_or_b32 v4, v4, s25, v7
	v_lshl_or_b32 v4, v6, 7, v4
	v_cvt_f32_f16_e32 v18, v4
.LBB267_724:                            ;   in Loop: Header=BB267_559 Depth=1
	s_or_b64 exec, exec, s[6:7]
	v_lshrrev_b32_e32 v4, 24, v21
	v_cmp_lt_i16_e64 s[0:1], s19, v4
	s_mov_b64 s[6:7], 0
                                        ; implicit-def: $sgpr30
	s_and_saveexec_b64 s[8:9], s[0:1]
	s_xor_b64 s[8:9], exec, s[8:9]
	s_cbranch_execnz .LBB267_988
; %bb.725:                              ;   in Loop: Header=BB267_559 Depth=1
	s_or_saveexec_b64 s[8:9], s[8:9]
	v_mov_b32_e32 v22, s30
	s_xor_b64 exec, exec, s[8:9]
	s_cbranch_execnz .LBB267_991
.LBB267_726:                            ;   in Loop: Header=BB267_559 Depth=1
	s_or_b64 exec, exec, s[8:9]
	s_and_saveexec_b64 s[8:9], s[6:7]
	s_cbranch_execz .LBB267_728
.LBB267_727:                            ;   in Loop: Header=BB267_559 Depth=1
	v_bfe_u32 v6, v21, 24, 3
	v_ffbh_u32_e32 v12, v6
	v_bfe_u32 v7, v21, 27, 4
	v_min_u32_e32 v12, 32, v12
	v_subrev_u32_e32 v19, 28, v12
	v_sub_u32_e32 v12, 29, v12
	v_cmp_eq_u32_e64 s[0:1], 0, v7
	v_lshlrev_b64 v[20:21], v19, v[4:5]
	v_and_b32_e32 v19, 7, v20
	v_cndmask_b32_e64 v7, v7, v12, s[0:1]
	v_lshlrev_b32_e32 v4, 8, v4
	v_lshl_add_u32 v7, v7, 10, v41
	v_cndmask_b32_e64 v6, v6, v19, s[0:1]
	v_and_or_b32 v4, v4, s25, v7
	v_lshl_or_b32 v4, v6, 7, v4
	v_cvt_f32_f16_e32 v22, v4
.LBB267_728:                            ;   in Loop: Header=BB267_559 Depth=1
	s_or_b64 exec, exec, s[8:9]
	v_pk_mul_f32 v[20:21], v[16:17], v[26:27] op_sel_hi:[0,1]
	v_pk_mul_f32 v[24:25], v[16:17], v[24:25] op_sel_hi:[0,1]
	v_cvt_f16_f32_e32 v4, v21
	v_cvt_f16_f32_e32 v6, v20
	;; [unrolled: 1-line block ×4, first 2 shown]
	v_fma_mixlo_f16 v2, v16, v2, 0
	v_pack_b32_f16 v6, v6, v4
	v_pack_b32_f16 v7, v12, v7
	v_perm_b32 v4, v7, v6, s27
	v_perm_b32 v20, v7, v6, s28
	v_fma_mixlo_f16 v6, v16, v17, 0
	v_lshlrev_b32_e32 v6, 16, v6
	v_or_b32_sdwa v2, v6, v2 dst_sel:DWORD dst_unused:UNUSED_PAD src0_sel:DWORD src1_sel:WORD_0
	v_fma_mixlo_f16 v6, v16, v22, 0
	v_fma_mixlo_f16 v17, v16, v18, 0
	v_lshlrev_b32_e32 v6, 16, v6
	v_or_b32_sdwa v16, v6, v17 dst_sel:DWORD dst_unused:UNUSED_PAD src0_sel:DWORD src1_sel:WORD_0
	s_and_saveexec_b64 s[6:7], vcc
	s_cbranch_execz .LBB267_730
; %bb.729:                              ;   in Loop: Header=BB267_559 Depth=1
	v_lshrrev_b32_e32 v6, 16, v20
	v_cmp_lt_i32_e64 s[0:1], v57, v3
	v_accvgpr_read_b32 v12, a8
	s_nop 0
	v_cndmask_b32_e64 v6, 0, v6, s[0:1]
	v_cmp_lt_i32_e64 s[0:1], v44, v12
	s_nop 1
	v_cndmask_b32_e64 v7, 0, v20, s[0:1]
	v_perm_b32 v20, v6, v7, s29
	v_lshrrev_b32_e32 v6, 16, v4
	v_cmp_lt_i32_e64 s[0:1], v56, v3
	s_nop 1
	v_cndmask_b32_e64 v6, 0, v6, s[0:1]
	v_cmp_lt_i32_e64 s[0:1], v47, v12
	s_nop 1
	v_cndmask_b32_e64 v4, 0, v4, s[0:1]
	v_perm_b32 v4, v6, v4, s29
	v_lshrrev_b32_e32 v6, 16, v2
	v_cmp_lt_i32_e64 s[0:1], v46, v3
	s_nop 1
	v_cndmask_b32_e64 v6, 0, v6, s[0:1]
	v_cmp_lt_i32_e64 s[0:1], v45, v12
	s_nop 1
	v_cndmask_b32_e64 v2, 0, v2, s[0:1]
	v_perm_b32 v2, v6, v2, s29
	v_lshrrev_b32_e32 v6, 16, v16
	v_cmp_lt_i32_e64 s[0:1], v43, v3
	s_nop 1
	v_cndmask_b32_e64 v6, 0, v6, s[0:1]
	v_cmp_lt_i32_e64 s[0:1], v42, v12
	s_nop 1
	v_cndmask_b32_e64 v7, 0, v17, s[0:1]
	v_perm_b32 v16, v6, v7, s29
.LBB267_730:                            ;   in Loop: Header=BB267_559 Depth=1
	s_or_b64 exec, exec, s[6:7]
	;;#ASMSTART
	v_pk_mul_f16 v6, v61, v20;

	;;#ASMEND
	;;#ASMSTART
	v_pk_mul_f16 v4, v60, v4;

	;;#ASMEND
	;; [unrolled: 4-line block ×4, first 2 shown]
	s_mov_b64 s[0:1], 0
	;;#ASMSTART
	v_pk_add_f16 v4, v6, v4;

	;;#ASMEND
                                        ; implicit-def: $sgpr10
	s_nop 0
	;;#ASMSTART
	v_pk_add_f16 v2, v4, v2;

	;;#ASMEND
	s_nop 0
	;;#ASMSTART
	v_pk_add_f16 v2, v2, v7;

	;;#ASMEND
	v_accvgpr_read_b32 v7, a5
	v_lshrrev_b32_e32 v4, 16, v2
	v_and_b32_e32 v2, 0xffff, v2
	;;#ASMSTART
	v_cvt_f32_f16 v18, v2;
	;;#ASMEND
	;;#ASMSTART
	v_cvt_f32_f16 v48, v4;
	;;#ASMEND
	flat_load_dwordx2 v[20:21], v[14:15] offset:2560
	v_accvgpr_read_b32 v6, a4
	flat_load_dword v16, v[6:7]
	s_waitcnt vmcnt(0) lgkmcnt(0)
	v_cmp_gt_i16_sdwa s[6:7], v20, s19 src0_sel:BYTE_0 src1_sel:DWORD
	s_and_saveexec_b64 s[8:9], s[6:7]
	s_xor_b64 s[6:7], exec, s[8:9]
	s_cbranch_execnz .LBB267_992
; %bb.731:                              ;   in Loop: Header=BB267_559 Depth=1
	s_or_saveexec_b64 s[6:7], s[6:7]
	v_mov_b32_e32 v24, s10
	s_xor_b64 exec, exec, s[6:7]
	s_cbranch_execnz .LBB267_995
.LBB267_732:                            ;   in Loop: Header=BB267_559 Depth=1
	s_or_b64 exec, exec, s[6:7]
	s_and_saveexec_b64 s[6:7], s[0:1]
	s_cbranch_execz .LBB267_734
.LBB267_733:                            ;   in Loop: Header=BB267_559 Depth=1
	v_and_b32_e32 v2, 7, v20
	v_ffbh_u32_e32 v2, v2
	v_bfe_u32 v4, v20, 3, 4
	v_min_u32_e32 v2, 32, v2
	v_subrev_u32_e32 v6, 28, v2
	v_sub_u32_e32 v2, 29, v2
	v_cmp_eq_u32_e64 s[0:1], 0, v4
	s_nop 1
	v_cndmask_b32_e64 v2, v4, v2, s[0:1]
	v_cndmask_b32_e64 v4, 0, v6, s[0:1]
	v_lshlrev_b64 v[22:23], v4, v[20:21]
	v_lshlrev_b32_e32 v6, 8, v20
	v_lshl_add_u32 v2, v2, 10, v41
	v_lshlrev_b32_e32 v4, 7, v22
	v_and_or_b32 v2, v6, s25, v2
	v_and_or_b32 v2, v4, s26, v2
	v_cvt_f32_f16_e32 v24, v2
.LBB267_734:                            ;   in Loop: Header=BB267_559 Depth=1
	s_or_b64 exec, exec, s[6:7]
	v_lshrrev_b16_e32 v4, 8, v20
	v_cmp_lt_i16_e64 s[0:1], s19, v4
	s_mov_b64 s[6:7], 0
                                        ; implicit-def: $sgpr30
	s_and_saveexec_b64 s[8:9], s[0:1]
	s_xor_b64 s[8:9], exec, s[8:9]
	s_cbranch_execnz .LBB267_996
; %bb.735:                              ;   in Loop: Header=BB267_559 Depth=1
	s_or_saveexec_b64 s[8:9], s[8:9]
	v_mov_b32_e32 v26, s30
	s_xor_b64 exec, exec, s[8:9]
	s_cbranch_execnz .LBB267_999
.LBB267_736:                            ;   in Loop: Header=BB267_559 Depth=1
	s_or_b64 exec, exec, s[8:9]
	s_and_saveexec_b64 s[8:9], s[6:7]
	s_cbranch_execz .LBB267_738
.LBB267_737:                            ;   in Loop: Header=BB267_559 Depth=1
	v_and_b32_e32 v2, 7, v4
	v_ffbh_u32_e32 v7, v2
	v_bfe_u32 v6, v4, 3, 4
	v_min_u32_e32 v7, 32, v7
	v_subrev_u32_e32 v12, 28, v7
	v_sub_u32_e32 v7, 29, v7
	v_cmp_eq_u32_e64 s[0:1], 0, v6
	v_lshlrev_b64 v[22:23], v12, v[4:5]
	v_and_b32_e32 v12, 7, v22
	v_cndmask_b32_e64 v6, v6, v7, s[0:1]
	v_lshlrev_b32_e32 v4, 8, v4
	v_lshl_add_u32 v6, v6, 10, v41
	v_cndmask_b32_e64 v2, v2, v12, s[0:1]
	v_and_or_b32 v4, v4, s25, v6
	v_lshl_or_b32 v2, v2, 7, v4
	v_cvt_f32_f16_e32 v26, v2
.LBB267_738:                            ;   in Loop: Header=BB267_559 Depth=1
	s_or_b64 exec, exec, s[8:9]
	v_lshrrev_b32_e32 v4, 16, v20
	v_cmp_gt_i16_sdwa s[6:7], v4, s19 src0_sel:BYTE_0 src1_sel:DWORD
	s_mov_b64 s[0:1], 0
                                        ; implicit-def: $sgpr10
	s_and_saveexec_b64 s[8:9], s[6:7]
	s_xor_b64 s[6:7], exec, s[8:9]
	s_cbranch_execnz .LBB267_1000
; %bb.739:                              ;   in Loop: Header=BB267_559 Depth=1
	s_or_saveexec_b64 s[6:7], s[6:7]
	v_mov_b32_e32 v25, s10
	s_xor_b64 exec, exec, s[6:7]
	s_cbranch_execnz .LBB267_1003
.LBB267_740:                            ;   in Loop: Header=BB267_559 Depth=1
	s_or_b64 exec, exec, s[6:7]
	s_and_saveexec_b64 s[6:7], s[0:1]
	s_cbranch_execz .LBB267_742
.LBB267_741:                            ;   in Loop: Header=BB267_559 Depth=1
	v_bfe_u32 v2, v20, 16, 3
	v_ffbh_u32_e32 v7, v2
	v_bfe_u32 v6, v20, 19, 4
	v_min_u32_e32 v7, 32, v7
	v_subrev_u32_e32 v12, 28, v7
	v_sub_u32_e32 v7, 29, v7
	v_cmp_eq_u32_e64 s[0:1], 0, v6
	v_lshlrev_b64 v[22:23], v12, v[4:5]
	v_and_b32_e32 v12, 7, v22
	v_cndmask_b32_e64 v6, v6, v7, s[0:1]
	v_lshlrev_b32_e32 v4, 8, v4
	v_lshl_add_u32 v6, v6, 10, v41
	v_cndmask_b32_e64 v2, v2, v12, s[0:1]
	v_and_or_b32 v4, v4, s25, v6
	v_lshl_or_b32 v2, v2, 7, v4
	v_cvt_f32_f16_e32 v25, v2
.LBB267_742:                            ;   in Loop: Header=BB267_559 Depth=1
	s_or_b64 exec, exec, s[6:7]
	v_lshrrev_b32_e32 v4, 24, v20
	v_cmp_lt_i16_e64 s[0:1], s19, v4
	s_mov_b64 s[6:7], 0
                                        ; implicit-def: $sgpr30
	s_and_saveexec_b64 s[8:9], s[0:1]
	s_xor_b64 s[8:9], exec, s[8:9]
	s_cbranch_execnz .LBB267_1004
; %bb.743:                              ;   in Loop: Header=BB267_559 Depth=1
	s_or_saveexec_b64 s[8:9], s[8:9]
	v_mov_b32_e32 v27, s30
	s_xor_b64 exec, exec, s[8:9]
	s_cbranch_execnz .LBB267_1007
.LBB267_744:                            ;   in Loop: Header=BB267_559 Depth=1
	s_or_b64 exec, exec, s[8:9]
	s_and_saveexec_b64 s[8:9], s[6:7]
	s_cbranch_execz .LBB267_746
.LBB267_745:                            ;   in Loop: Header=BB267_559 Depth=1
	v_bfe_u32 v2, v20, 24, 3
	v_ffbh_u32_e32 v7, v2
	v_bfe_u32 v6, v20, 27, 4
	v_min_u32_e32 v7, 32, v7
	v_subrev_u32_e32 v12, 28, v7
	v_sub_u32_e32 v7, 29, v7
	v_cmp_eq_u32_e64 s[0:1], 0, v6
	v_lshlrev_b64 v[22:23], v12, v[4:5]
	v_and_b32_e32 v12, 7, v22
	v_cndmask_b32_e64 v6, v6, v7, s[0:1]
	v_lshlrev_b32_e32 v4, 8, v4
	v_lshl_add_u32 v6, v6, 10, v41
	v_cndmask_b32_e64 v2, v2, v12, s[0:1]
	v_and_or_b32 v4, v4, s25, v6
	v_lshl_or_b32 v2, v2, 7, v4
	v_cvt_f32_f16_e32 v27, v2
.LBB267_746:                            ;   in Loop: Header=BB267_559 Depth=1
	s_or_b64 exec, exec, s[8:9]
	v_cmp_gt_i16_sdwa s[6:7], v21, s19 src0_sel:BYTE_0 src1_sel:DWORD
	s_mov_b64 s[0:1], 0
                                        ; implicit-def: $sgpr10
	s_and_saveexec_b64 s[8:9], s[6:7]
	s_xor_b64 s[6:7], exec, s[8:9]
	s_cbranch_execnz .LBB267_1008
; %bb.747:                              ;   in Loop: Header=BB267_559 Depth=1
	s_or_saveexec_b64 s[6:7], s[6:7]
	v_mov_b32_e32 v2, s10
	s_xor_b64 exec, exec, s[6:7]
	s_cbranch_execnz .LBB267_1011
.LBB267_748:                            ;   in Loop: Header=BB267_559 Depth=1
	s_or_b64 exec, exec, s[6:7]
	v_mov_b32_e32 v4, v21
	s_and_saveexec_b64 s[6:7], s[0:1]
	s_cbranch_execz .LBB267_750
.LBB267_749:                            ;   in Loop: Header=BB267_559 Depth=1
	v_and_b32_e32 v2, 7, v21
	v_ffbh_u32_e32 v2, v2
	v_bfe_u32 v6, v21, 3, 4
	v_min_u32_e32 v2, 32, v2
	v_subrev_u32_e32 v7, 28, v2
	v_sub_u32_e32 v2, 29, v2
	v_cmp_eq_u32_e64 s[0:1], 0, v6
	s_nop 1
	v_cndmask_b32_e64 v2, v6, v2, s[0:1]
	v_cndmask_b32_e64 v6, 0, v7, s[0:1]
	v_lshlrev_b64 v[22:23], v6, v[4:5]
	v_lshlrev_b32_e32 v7, 8, v21
	v_lshl_add_u32 v2, v2, 10, v41
	v_lshlrev_b32_e32 v6, 7, v22
	v_and_or_b32 v2, v7, s25, v2
	v_and_or_b32 v2, v6, s26, v2
	v_cvt_f32_f16_e32 v2, v2
.LBB267_750:                            ;   in Loop: Header=BB267_559 Depth=1
	s_or_b64 exec, exec, s[6:7]
	v_lshrrev_b16_e32 v4, 8, v4
	v_cmp_lt_i16_e64 s[0:1], s19, v4
	s_mov_b64 s[6:7], 0
                                        ; implicit-def: $sgpr30
	s_and_saveexec_b64 s[8:9], s[0:1]
	s_xor_b64 s[8:9], exec, s[8:9]
	s_cbranch_execnz .LBB267_1012
; %bb.751:                              ;   in Loop: Header=BB267_559 Depth=1
	s_or_saveexec_b64 s[8:9], s[8:9]
	v_mov_b32_e32 v17, s30
	s_xor_b64 exec, exec, s[8:9]
	s_cbranch_execnz .LBB267_1015
.LBB267_752:                            ;   in Loop: Header=BB267_559 Depth=1
	s_or_b64 exec, exec, s[8:9]
	s_and_saveexec_b64 s[8:9], s[6:7]
	s_cbranch_execz .LBB267_754
.LBB267_753:                            ;   in Loop: Header=BB267_559 Depth=1
	v_and_b32_e32 v6, 7, v4
	v_ffbh_u32_e32 v12, v6
	v_bfe_u32 v7, v4, 3, 4
	v_min_u32_e32 v12, 32, v12
	v_subrev_u32_e32 v17, 28, v12
	v_sub_u32_e32 v12, 29, v12
	v_cmp_eq_u32_e64 s[0:1], 0, v7
	v_lshlrev_b64 v[22:23], v17, v[4:5]
	v_and_b32_e32 v17, 7, v22
	v_cndmask_b32_e64 v7, v7, v12, s[0:1]
	v_lshlrev_b32_e32 v4, 8, v4
	v_lshl_add_u32 v7, v7, 10, v41
	v_cndmask_b32_e64 v6, v6, v17, s[0:1]
	v_and_or_b32 v4, v4, s25, v7
	v_lshl_or_b32 v4, v6, 7, v4
	v_cvt_f32_f16_e32 v17, v4
.LBB267_754:                            ;   in Loop: Header=BB267_559 Depth=1
	s_or_b64 exec, exec, s[8:9]
	v_lshrrev_b32_e32 v4, 16, v21
	v_cmp_gt_i16_sdwa s[6:7], v4, s19 src0_sel:BYTE_0 src1_sel:DWORD
	s_mov_b64 s[0:1], 0
                                        ; implicit-def: $sgpr10
	s_and_saveexec_b64 s[8:9], s[6:7]
	s_xor_b64 s[6:7], exec, s[8:9]
	s_cbranch_execnz .LBB267_1016
; %bb.755:                              ;   in Loop: Header=BB267_559 Depth=1
	s_or_saveexec_b64 s[6:7], s[6:7]
	v_mov_b32_e32 v20, s10
	s_xor_b64 exec, exec, s[6:7]
	s_cbranch_execnz .LBB267_1019
.LBB267_756:                            ;   in Loop: Header=BB267_559 Depth=1
	s_or_b64 exec, exec, s[6:7]
	s_and_saveexec_b64 s[6:7], s[0:1]
	s_cbranch_execz .LBB267_758
.LBB267_757:                            ;   in Loop: Header=BB267_559 Depth=1
	v_bfe_u32 v6, v21, 16, 3
	v_ffbh_u32_e32 v12, v6
	v_bfe_u32 v7, v21, 19, 4
	v_min_u32_e32 v12, 32, v12
	v_subrev_u32_e32 v19, 28, v12
	v_sub_u32_e32 v12, 29, v12
	v_cmp_eq_u32_e64 s[0:1], 0, v7
	v_lshlrev_b64 v[22:23], v19, v[4:5]
	v_and_b32_e32 v19, 7, v22
	v_cndmask_b32_e64 v7, v7, v12, s[0:1]
	v_lshlrev_b32_e32 v4, 8, v4
	v_lshl_add_u32 v7, v7, 10, v41
	v_cndmask_b32_e64 v6, v6, v19, s[0:1]
	v_and_or_b32 v4, v4, s25, v7
	v_lshl_or_b32 v4, v6, 7, v4
	v_cvt_f32_f16_e32 v20, v4
.LBB267_758:                            ;   in Loop: Header=BB267_559 Depth=1
	s_or_b64 exec, exec, s[6:7]
	v_lshrrev_b32_e32 v4, 24, v21
	v_cmp_lt_i16_e64 s[0:1], s19, v4
	s_mov_b64 s[6:7], 0
                                        ; implicit-def: $sgpr30
	s_and_saveexec_b64 s[8:9], s[0:1]
	s_xor_b64 s[8:9], exec, s[8:9]
	s_cbranch_execnz .LBB267_1020
; %bb.759:                              ;   in Loop: Header=BB267_559 Depth=1
	s_or_saveexec_b64 s[8:9], s[8:9]
	v_mov_b32_e32 v22, s30
	s_xor_b64 exec, exec, s[8:9]
	s_cbranch_execnz .LBB267_1023
.LBB267_760:                            ;   in Loop: Header=BB267_559 Depth=1
	s_or_b64 exec, exec, s[8:9]
	s_and_saveexec_b64 s[8:9], s[6:7]
	s_cbranch_execz .LBB267_762
.LBB267_761:                            ;   in Loop: Header=BB267_559 Depth=1
	v_bfe_u32 v6, v21, 24, 3
	v_ffbh_u32_e32 v12, v6
	v_bfe_u32 v7, v21, 27, 4
	v_min_u32_e32 v12, 32, v12
	v_subrev_u32_e32 v19, 28, v12
	v_sub_u32_e32 v12, 29, v12
	v_cmp_eq_u32_e64 s[0:1], 0, v7
	v_lshlrev_b64 v[22:23], v19, v[4:5]
	v_and_b32_e32 v19, 7, v22
	v_cndmask_b32_e64 v7, v7, v12, s[0:1]
	v_lshlrev_b32_e32 v4, 8, v4
	v_lshl_add_u32 v7, v7, 10, v41
	v_cndmask_b32_e64 v6, v6, v19, s[0:1]
	v_and_or_b32 v4, v4, s25, v7
	v_lshl_or_b32 v4, v6, 7, v4
	v_cvt_f32_f16_e32 v22, v4
.LBB267_762:                            ;   in Loop: Header=BB267_559 Depth=1
	s_or_b64 exec, exec, s[8:9]
	v_pk_mul_f32 v[26:27], v[16:17], v[26:27] op_sel_hi:[0,1]
	v_pk_mul_f32 v[24:25], v[16:17], v[24:25] op_sel_hi:[0,1]
	v_cvt_f16_f32_e32 v4, v27
	v_cvt_f16_f32_e32 v6, v26
	;; [unrolled: 1-line block ×4, first 2 shown]
	v_fma_mixlo_f16 v2, v16, v2, 0
	v_pack_b32_f16 v6, v6, v4
	v_pack_b32_f16 v7, v12, v7
	v_perm_b32 v4, v7, v6, s27
	v_perm_b32 v21, v7, v6, s28
	v_fma_mixlo_f16 v6, v16, v17, 0
	v_lshlrev_b32_e32 v6, 16, v6
	v_or_b32_sdwa v2, v6, v2 dst_sel:DWORD dst_unused:UNUSED_PAD src0_sel:DWORD src1_sel:WORD_0
	v_fma_mixlo_f16 v6, v16, v22, 0
	v_fma_mixlo_f16 v17, v16, v20, 0
	v_lshlrev_b32_e32 v6, 16, v6
	v_or_b32_sdwa v16, v6, v17 dst_sel:DWORD dst_unused:UNUSED_PAD src0_sel:DWORD src1_sel:WORD_0
	s_and_saveexec_b64 s[6:7], vcc
	s_cbranch_execz .LBB267_764
; %bb.763:                              ;   in Loop: Header=BB267_559 Depth=1
	v_lshrrev_b32_e32 v6, 16, v21
	v_cmp_lt_i32_e64 s[0:1], v57, v3
	v_accvgpr_read_b32 v12, a8
	s_nop 0
	v_cndmask_b32_e64 v6, 0, v6, s[0:1]
	v_cmp_lt_i32_e64 s[0:1], v44, v12
	s_nop 1
	v_cndmask_b32_e64 v7, 0, v21, s[0:1]
	v_perm_b32 v21, v6, v7, s29
	v_lshrrev_b32_e32 v6, 16, v4
	v_cmp_lt_i32_e64 s[0:1], v56, v3
	s_nop 1
	v_cndmask_b32_e64 v6, 0, v6, s[0:1]
	v_cmp_lt_i32_e64 s[0:1], v47, v12
	s_nop 1
	v_cndmask_b32_e64 v4, 0, v4, s[0:1]
	v_perm_b32 v4, v6, v4, s29
	v_lshrrev_b32_e32 v6, 16, v2
	v_cmp_lt_i32_e64 s[0:1], v46, v3
	;; [unrolled: 8-line block ×3, first 2 shown]
	s_nop 1
	v_cndmask_b32_e64 v6, 0, v6, s[0:1]
	v_cmp_lt_i32_e64 s[0:1], v42, v12
	s_nop 1
	v_cndmask_b32_e64 v7, 0, v17, s[0:1]
	v_perm_b32 v16, v6, v7, s29
.LBB267_764:                            ;   in Loop: Header=BB267_559 Depth=1
	s_or_b64 exec, exec, s[6:7]
	;;#ASMSTART
	v_pk_mul_f16 v6, v61, v21;

	;;#ASMEND
	;;#ASMSTART
	v_pk_mul_f16 v4, v60, v4;

	;;#ASMEND
	;; [unrolled: 4-line block ×4, first 2 shown]
	s_mov_b64 s[0:1], 0
	;;#ASMSTART
	v_pk_add_f16 v4, v6, v4;

	;;#ASMEND
                                        ; implicit-def: $sgpr10
	s_nop 0
	;;#ASMSTART
	v_pk_add_f16 v2, v4, v2;

	;;#ASMEND
	s_nop 0
	;;#ASMSTART
	v_pk_add_f16 v2, v2, v7;

	;;#ASMEND
	v_accvgpr_read_b32 v7, a5
	v_lshrrev_b32_e32 v4, 16, v2
	v_and_b32_e32 v2, 0xffff, v2
	;;#ASMSTART
	v_cvt_f32_f16 v2, v2;
	;;#ASMEND
	;;#ASMSTART
	v_cvt_f32_f16 v39, v4;
	;;#ASMEND
	flat_load_dwordx2 v[20:21], v[14:15] offset:3072
	v_accvgpr_read_b32 v6, a4
	flat_load_dword v16, v[6:7]
	s_waitcnt vmcnt(0) lgkmcnt(0)
	v_cmp_gt_i16_sdwa s[6:7], v20, s19 src0_sel:BYTE_0 src1_sel:DWORD
	s_and_saveexec_b64 s[8:9], s[6:7]
	s_xor_b64 s[6:7], exec, s[8:9]
	s_cbranch_execnz .LBB267_1024
; %bb.765:                              ;   in Loop: Header=BB267_559 Depth=1
	s_or_saveexec_b64 s[6:7], s[6:7]
	v_mov_b32_e32 v24, s10
	s_xor_b64 exec, exec, s[6:7]
	s_cbranch_execnz .LBB267_1027
.LBB267_766:                            ;   in Loop: Header=BB267_559 Depth=1
	s_or_b64 exec, exec, s[6:7]
	s_and_saveexec_b64 s[6:7], s[0:1]
	s_cbranch_execz .LBB267_768
.LBB267_767:                            ;   in Loop: Header=BB267_559 Depth=1
	v_and_b32_e32 v4, 7, v20
	v_ffbh_u32_e32 v4, v4
	v_bfe_u32 v6, v20, 3, 4
	v_min_u32_e32 v4, 32, v4
	v_subrev_u32_e32 v7, 28, v4
	v_sub_u32_e32 v4, 29, v4
	v_cmp_eq_u32_e64 s[0:1], 0, v6
	s_nop 1
	v_cndmask_b32_e64 v4, v6, v4, s[0:1]
	v_cndmask_b32_e64 v6, 0, v7, s[0:1]
	v_lshlrev_b64 v[22:23], v6, v[20:21]
	v_lshlrev_b32_e32 v7, 8, v20
	v_lshl_add_u32 v4, v4, 10, v41
	v_lshlrev_b32_e32 v6, 7, v22
	v_and_or_b32 v4, v7, s25, v4
	v_and_or_b32 v4, v6, s26, v4
	v_cvt_f32_f16_e32 v24, v4
.LBB267_768:                            ;   in Loop: Header=BB267_559 Depth=1
	s_or_b64 exec, exec, s[6:7]
	v_lshrrev_b16_e32 v4, 8, v20
	v_cmp_lt_i16_e64 s[0:1], s19, v4
	s_mov_b64 s[6:7], 0
                                        ; implicit-def: $sgpr30
	s_and_saveexec_b64 s[8:9], s[0:1]
	s_xor_b64 s[8:9], exec, s[8:9]
	s_cbranch_execnz .LBB267_1028
; %bb.769:                              ;   in Loop: Header=BB267_559 Depth=1
	s_or_saveexec_b64 s[8:9], s[8:9]
	v_mov_b32_e32 v26, s30
	s_xor_b64 exec, exec, s[8:9]
	s_cbranch_execnz .LBB267_1031
.LBB267_770:                            ;   in Loop: Header=BB267_559 Depth=1
	s_or_b64 exec, exec, s[8:9]
	s_and_saveexec_b64 s[8:9], s[6:7]
	s_cbranch_execz .LBB267_772
.LBB267_771:                            ;   in Loop: Header=BB267_559 Depth=1
	v_and_b32_e32 v6, 7, v4
	v_ffbh_u32_e32 v12, v6
	v_bfe_u32 v7, v4, 3, 4
	v_min_u32_e32 v12, 32, v12
	v_subrev_u32_e32 v17, 28, v12
	v_sub_u32_e32 v12, 29, v12
	v_cmp_eq_u32_e64 s[0:1], 0, v7
	v_lshlrev_b64 v[22:23], v17, v[4:5]
	v_and_b32_e32 v17, 7, v22
	v_cndmask_b32_e64 v7, v7, v12, s[0:1]
	v_lshlrev_b32_e32 v4, 8, v4
	v_lshl_add_u32 v7, v7, 10, v41
	v_cndmask_b32_e64 v6, v6, v17, s[0:1]
	v_and_or_b32 v4, v4, s25, v7
	v_lshl_or_b32 v4, v6, 7, v4
	v_cvt_f32_f16_e32 v26, v4
.LBB267_772:                            ;   in Loop: Header=BB267_559 Depth=1
	s_or_b64 exec, exec, s[8:9]
	v_lshrrev_b32_e32 v4, 16, v20
	v_cmp_gt_i16_sdwa s[6:7], v4, s19 src0_sel:BYTE_0 src1_sel:DWORD
	s_mov_b64 s[0:1], 0
                                        ; implicit-def: $sgpr10
	s_and_saveexec_b64 s[8:9], s[6:7]
	s_xor_b64 s[6:7], exec, s[8:9]
	s_cbranch_execnz .LBB267_1032
; %bb.773:                              ;   in Loop: Header=BB267_559 Depth=1
	s_or_saveexec_b64 s[6:7], s[6:7]
	v_mov_b32_e32 v25, s10
	s_xor_b64 exec, exec, s[6:7]
	s_cbranch_execnz .LBB267_1035
.LBB267_774:                            ;   in Loop: Header=BB267_559 Depth=1
	s_or_b64 exec, exec, s[6:7]
	s_and_saveexec_b64 s[6:7], s[0:1]
	s_cbranch_execz .LBB267_776
.LBB267_775:                            ;   in Loop: Header=BB267_559 Depth=1
	v_bfe_u32 v6, v20, 16, 3
	v_ffbh_u32_e32 v12, v6
	v_bfe_u32 v7, v20, 19, 4
	v_min_u32_e32 v12, 32, v12
	v_subrev_u32_e32 v17, 28, v12
	v_sub_u32_e32 v12, 29, v12
	v_cmp_eq_u32_e64 s[0:1], 0, v7
	v_lshlrev_b64 v[22:23], v17, v[4:5]
	v_and_b32_e32 v17, 7, v22
	v_cndmask_b32_e64 v7, v7, v12, s[0:1]
	v_lshlrev_b32_e32 v4, 8, v4
	v_lshl_add_u32 v7, v7, 10, v41
	v_cndmask_b32_e64 v6, v6, v17, s[0:1]
	v_and_or_b32 v4, v4, s25, v7
	v_lshl_or_b32 v4, v6, 7, v4
	v_cvt_f32_f16_e32 v25, v4
.LBB267_776:                            ;   in Loop: Header=BB267_559 Depth=1
	s_or_b64 exec, exec, s[6:7]
	v_lshrrev_b32_e32 v4, 24, v20
	v_cmp_lt_i16_e64 s[0:1], s19, v4
	s_mov_b64 s[6:7], 0
                                        ; implicit-def: $sgpr30
	s_and_saveexec_b64 s[8:9], s[0:1]
	s_xor_b64 s[8:9], exec, s[8:9]
	s_cbranch_execnz .LBB267_1036
; %bb.777:                              ;   in Loop: Header=BB267_559 Depth=1
	s_or_saveexec_b64 s[8:9], s[8:9]
	v_mov_b32_e32 v27, s30
	s_xor_b64 exec, exec, s[8:9]
	s_cbranch_execnz .LBB267_1039
.LBB267_778:                            ;   in Loop: Header=BB267_559 Depth=1
	s_or_b64 exec, exec, s[8:9]
	s_and_saveexec_b64 s[8:9], s[6:7]
	s_cbranch_execz .LBB267_780
.LBB267_779:                            ;   in Loop: Header=BB267_559 Depth=1
	v_bfe_u32 v6, v20, 24, 3
	v_ffbh_u32_e32 v12, v6
	v_bfe_u32 v7, v20, 27, 4
	v_min_u32_e32 v12, 32, v12
	v_subrev_u32_e32 v17, 28, v12
	v_sub_u32_e32 v12, 29, v12
	v_cmp_eq_u32_e64 s[0:1], 0, v7
	v_lshlrev_b64 v[22:23], v17, v[4:5]
	v_and_b32_e32 v17, 7, v22
	v_cndmask_b32_e64 v7, v7, v12, s[0:1]
	v_lshlrev_b32_e32 v4, 8, v4
	v_lshl_add_u32 v7, v7, 10, v41
	v_cndmask_b32_e64 v6, v6, v17, s[0:1]
	v_and_or_b32 v4, v4, s25, v7
	v_lshl_or_b32 v4, v6, 7, v4
	v_cvt_f32_f16_e32 v27, v4
.LBB267_780:                            ;   in Loop: Header=BB267_559 Depth=1
	s_or_b64 exec, exec, s[8:9]
	v_cmp_gt_i16_sdwa s[6:7], v21, s19 src0_sel:BYTE_0 src1_sel:DWORD
	s_mov_b64 s[0:1], 0
                                        ; implicit-def: $sgpr10
	s_and_saveexec_b64 s[8:9], s[6:7]
	s_xor_b64 s[6:7], exec, s[8:9]
	s_cbranch_execnz .LBB267_1040
; %bb.781:                              ;   in Loop: Header=BB267_559 Depth=1
	s_or_saveexec_b64 s[6:7], s[6:7]
	v_mov_b32_e32 v17, s10
	s_xor_b64 exec, exec, s[6:7]
	s_cbranch_execnz .LBB267_1043
.LBB267_782:                            ;   in Loop: Header=BB267_559 Depth=1
	s_or_b64 exec, exec, s[6:7]
	v_mov_b32_e32 v4, v21
	s_and_saveexec_b64 s[6:7], s[0:1]
	s_cbranch_execz .LBB267_784
.LBB267_783:                            ;   in Loop: Header=BB267_559 Depth=1
	v_and_b32_e32 v6, 7, v21
	v_ffbh_u32_e32 v6, v6
	v_bfe_u32 v7, v21, 3, 4
	v_min_u32_e32 v6, 32, v6
	v_subrev_u32_e32 v12, 28, v6
	v_sub_u32_e32 v6, 29, v6
	v_cmp_eq_u32_e64 s[0:1], 0, v7
	s_nop 1
	v_cndmask_b32_e64 v6, v7, v6, s[0:1]
	v_cndmask_b32_e64 v7, 0, v12, s[0:1]
	v_lshlrev_b64 v[22:23], v7, v[4:5]
	v_lshlrev_b32_e32 v12, 8, v21
	v_lshl_add_u32 v6, v6, 10, v41
	v_lshlrev_b32_e32 v7, 7, v22
	v_and_or_b32 v6, v12, s25, v6
	v_and_or_b32 v6, v7, s26, v6
	v_cvt_f32_f16_e32 v17, v6
.LBB267_784:                            ;   in Loop: Header=BB267_559 Depth=1
	s_or_b64 exec, exec, s[6:7]
	v_lshrrev_b16_e32 v4, 8, v4
	v_cmp_lt_i16_e64 s[0:1], s19, v4
	s_mov_b64 s[6:7], 0
                                        ; implicit-def: $sgpr30
	s_and_saveexec_b64 s[8:9], s[0:1]
	s_xor_b64 s[8:9], exec, s[8:9]
	s_cbranch_execnz .LBB267_1044
; %bb.785:                              ;   in Loop: Header=BB267_559 Depth=1
	s_or_saveexec_b64 s[8:9], s[8:9]
	v_mov_b32_e32 v20, s30
	s_xor_b64 exec, exec, s[8:9]
	s_cbranch_execnz .LBB267_1047
.LBB267_786:                            ;   in Loop: Header=BB267_559 Depth=1
	s_or_b64 exec, exec, s[8:9]
	s_and_saveexec_b64 s[8:9], s[6:7]
	s_cbranch_execz .LBB267_788
.LBB267_787:                            ;   in Loop: Header=BB267_559 Depth=1
	v_and_b32_e32 v6, 7, v4
	v_ffbh_u32_e32 v12, v6
	v_bfe_u32 v7, v4, 3, 4
	v_min_u32_e32 v12, 32, v12
	v_subrev_u32_e32 v19, 28, v12
	v_sub_u32_e32 v12, 29, v12
	v_cmp_eq_u32_e64 s[0:1], 0, v7
	v_lshlrev_b64 v[22:23], v19, v[4:5]
	v_and_b32_e32 v19, 7, v22
	v_cndmask_b32_e64 v7, v7, v12, s[0:1]
	v_lshlrev_b32_e32 v4, 8, v4
	v_lshl_add_u32 v7, v7, 10, v41
	v_cndmask_b32_e64 v6, v6, v19, s[0:1]
	v_and_or_b32 v4, v4, s25, v7
	v_lshl_or_b32 v4, v6, 7, v4
	v_cvt_f32_f16_e32 v20, v4
.LBB267_788:                            ;   in Loop: Header=BB267_559 Depth=1
	s_or_b64 exec, exec, s[8:9]
	v_lshrrev_b32_e32 v4, 16, v21
	v_cmp_gt_i16_sdwa s[6:7], v4, s19 src0_sel:BYTE_0 src1_sel:DWORD
	s_mov_b64 s[0:1], 0
                                        ; implicit-def: $sgpr10
	s_and_saveexec_b64 s[8:9], s[6:7]
	s_xor_b64 s[6:7], exec, s[8:9]
	s_cbranch_execnz .LBB267_1048
; %bb.789:                              ;   in Loop: Header=BB267_559 Depth=1
	s_or_saveexec_b64 s[6:7], s[6:7]
	v_mov_b32_e32 v22, s10
	s_xor_b64 exec, exec, s[6:7]
	s_cbranch_execnz .LBB267_1051
.LBB267_790:                            ;   in Loop: Header=BB267_559 Depth=1
	s_or_b64 exec, exec, s[6:7]
	s_and_saveexec_b64 s[6:7], s[0:1]
	s_cbranch_execz .LBB267_792
.LBB267_791:                            ;   in Loop: Header=BB267_559 Depth=1
	v_bfe_u32 v6, v21, 16, 3
	v_ffbh_u32_e32 v12, v6
	v_bfe_u32 v7, v21, 19, 4
	v_min_u32_e32 v12, 32, v12
	v_subrev_u32_e32 v19, 28, v12
	v_sub_u32_e32 v12, 29, v12
	v_cmp_eq_u32_e64 s[0:1], 0, v7
	v_lshlrev_b64 v[22:23], v19, v[4:5]
	v_and_b32_e32 v19, 7, v22
	v_cndmask_b32_e64 v7, v7, v12, s[0:1]
	v_lshlrev_b32_e32 v4, 8, v4
	v_lshl_add_u32 v7, v7, 10, v41
	v_cndmask_b32_e64 v6, v6, v19, s[0:1]
	v_and_or_b32 v4, v4, s25, v7
	v_lshl_or_b32 v4, v6, 7, v4
	v_cvt_f32_f16_e32 v22, v4
.LBB267_792:                            ;   in Loop: Header=BB267_559 Depth=1
	s_or_b64 exec, exec, s[6:7]
	v_lshrrev_b32_e32 v4, 24, v21
	v_cmp_lt_i16_e64 s[0:1], s19, v4
	s_mov_b64 s[6:7], 0
                                        ; implicit-def: $sgpr30
	s_and_saveexec_b64 s[8:9], s[0:1]
	s_xor_b64 s[8:9], exec, s[8:9]
	s_cbranch_execnz .LBB267_1052
; %bb.793:                              ;   in Loop: Header=BB267_559 Depth=1
	s_or_saveexec_b64 s[8:9], s[8:9]
	v_mov_b32_e32 v23, s30
	s_xor_b64 exec, exec, s[8:9]
	s_cbranch_execnz .LBB267_1055
.LBB267_794:                            ;   in Loop: Header=BB267_559 Depth=1
	s_or_b64 exec, exec, s[8:9]
	s_and_saveexec_b64 s[8:9], s[6:7]
	s_cbranch_execz .LBB267_796
.LBB267_795:                            ;   in Loop: Header=BB267_559 Depth=1
	v_bfe_u32 v12, v21, 24, 3
	v_ffbh_u32_e32 v6, v12
	v_bfe_u32 v19, v21, 27, 4
	v_min_u32_e32 v21, 32, v6
	v_subrev_u32_e32 v6, 28, v21
	v_lshlrev_b64 v[6:7], v6, v[4:5]
	v_sub_u32_e32 v7, 29, v21
	v_cmp_eq_u32_e64 s[0:1], 0, v19
	v_and_b32_e32 v6, 7, v6
	v_lshlrev_b32_e32 v4, 8, v4
	v_cndmask_b32_e64 v7, v19, v7, s[0:1]
	v_lshl_add_u32 v7, v7, 10, v41
	v_cndmask_b32_e64 v6, v12, v6, s[0:1]
	v_and_or_b32 v4, v4, s25, v7
	v_lshl_or_b32 v4, v6, 7, v4
	v_cvt_f32_f16_e32 v23, v4
.LBB267_796:                            ;   in Loop: Header=BB267_559 Depth=1
	s_or_b64 exec, exec, s[8:9]
	v_pk_mul_f32 v[6:7], v[16:17], v[26:27] op_sel_hi:[0,1]
	v_pk_mul_f32 v[24:25], v[16:17], v[24:25] op_sel_hi:[0,1]
	v_cvt_f16_f32_e32 v4, v7
	v_cvt_f16_f32_e32 v6, v6
	v_cvt_f16_f32_e32 v7, v25
	v_cvt_f16_f32_e32 v12, v24
	v_pack_b32_f16 v6, v6, v4
	v_pack_b32_f16 v7, v12, v7
	v_perm_b32 v4, v7, v6, s27
	v_perm_b32 v21, v7, v6, s28
	v_fma_mixlo_f16 v6, v16, v20, 0
	v_lshlrev_b32_e32 v6, 16, v6
	v_fma_mixlo_f16 v7, v16, v17, 0
	v_or_b32_sdwa v17, v6, v7 dst_sel:DWORD dst_unused:UNUSED_PAD src0_sel:DWORD src1_sel:WORD_0
	v_fma_mixlo_f16 v6, v16, v23, 0
	v_fma_mixlo_f16 v20, v16, v22, 0
	v_lshlrev_b32_e32 v6, 16, v6
	v_or_b32_sdwa v16, v6, v20 dst_sel:DWORD dst_unused:UNUSED_PAD src0_sel:DWORD src1_sel:WORD_0
	s_and_saveexec_b64 s[6:7], vcc
	s_cbranch_execz .LBB267_798
; %bb.797:                              ;   in Loop: Header=BB267_559 Depth=1
	v_lshrrev_b32_e32 v6, 16, v21
	v_cmp_lt_i32_e64 s[0:1], v57, v3
	v_accvgpr_read_b32 v12, a8
	s_nop 0
	v_cndmask_b32_e64 v6, 0, v6, s[0:1]
	v_cmp_lt_i32_e64 s[0:1], v44, v12
	s_nop 1
	v_cndmask_b32_e64 v7, 0, v21, s[0:1]
	v_perm_b32 v21, v6, v7, s29
	v_lshrrev_b32_e32 v6, 16, v4
	v_cmp_lt_i32_e64 s[0:1], v56, v3
	s_nop 1
	v_cndmask_b32_e64 v6, 0, v6, s[0:1]
	v_cmp_lt_i32_e64 s[0:1], v47, v12
	s_nop 1
	v_cndmask_b32_e64 v4, 0, v4, s[0:1]
	v_perm_b32 v4, v6, v4, s29
	v_lshrrev_b32_e32 v6, 16, v17
	v_cmp_lt_i32_e64 s[0:1], v46, v3
	;; [unrolled: 8-line block ×3, first 2 shown]
	s_nop 1
	v_cndmask_b32_e64 v6, 0, v6, s[0:1]
	v_cmp_lt_i32_e64 s[0:1], v42, v12
	s_nop 1
	v_cndmask_b32_e64 v7, 0, v20, s[0:1]
	v_perm_b32 v16, v6, v7, s29
.LBB267_798:                            ;   in Loop: Header=BB267_559 Depth=1
	s_or_b64 exec, exec, s[6:7]
	;;#ASMSTART
	v_pk_mul_f16 v6, v61, v21;

	;;#ASMEND
	;;#ASMSTART
	v_pk_mul_f16 v4, v60, v4;

	;;#ASMEND
	;; [unrolled: 4-line block ×4, first 2 shown]
	s_mov_b64 s[0:1], 0
	;;#ASMSTART
	v_pk_add_f16 v4, v6, v4;

	;;#ASMEND
                                        ; implicit-def: $sgpr10
	s_nop 0
	;;#ASMSTART
	v_pk_add_f16 v4, v4, v7;

	;;#ASMEND
	s_nop 0
	;;#ASMSTART
	v_pk_add_f16 v4, v4, v12;

	;;#ASMEND
	s_nop 0
	v_lshrrev_b32_e32 v6, 16, v4
	v_and_b32_e32 v4, 0xffff, v4
	;;#ASMSTART
	v_cvt_f32_f16 v22, v4;
	;;#ASMEND
	;;#ASMSTART
	v_cvt_f32_f16 v23, v6;
	;;#ASMEND
	v_accvgpr_read_b32 v7, a5
	flat_load_dwordx2 v[16:17], v[14:15] offset:3584
	v_accvgpr_read_b32 v6, a4
	flat_load_dword v14, v[6:7]
	s_waitcnt vmcnt(0) lgkmcnt(0)
	v_cmp_gt_i16_sdwa s[6:7], v16, s19 src0_sel:BYTE_0 src1_sel:DWORD
	s_and_saveexec_b64 s[8:9], s[6:7]
	s_xor_b64 s[6:7], exec, s[8:9]
	s_cbranch_execnz .LBB267_1056
; %bb.799:                              ;   in Loop: Header=BB267_559 Depth=1
	s_or_saveexec_b64 s[6:7], s[6:7]
	v_mov_b32_e32 v20, s10
	s_xor_b64 exec, exec, s[6:7]
	s_cbranch_execnz .LBB267_1059
.LBB267_800:                            ;   in Loop: Header=BB267_559 Depth=1
	s_or_b64 exec, exec, s[6:7]
	s_and_saveexec_b64 s[6:7], s[0:1]
	s_cbranch_execz .LBB267_802
.LBB267_801:                            ;   in Loop: Header=BB267_559 Depth=1
	v_and_b32_e32 v4, 7, v16
	v_ffbh_u32_e32 v4, v4
	v_bfe_u32 v6, v16, 3, 4
	v_min_u32_e32 v4, 32, v4
	v_subrev_u32_e32 v7, 28, v4
	v_sub_u32_e32 v4, 29, v4
	v_cmp_eq_u32_e64 s[0:1], 0, v6
	s_nop 1
	v_cndmask_b32_e64 v4, v6, v4, s[0:1]
	v_cndmask_b32_e64 v6, 0, v7, s[0:1]
	v_lshlrev_b64 v[6:7], v6, v[16:17]
	v_lshlrev_b32_e32 v7, 8, v16
	v_lshl_add_u32 v4, v4, 10, v41
	v_lshlrev_b32_e32 v6, 7, v6
	v_and_or_b32 v4, v7, s25, v4
	v_and_or_b32 v4, v6, s26, v4
	v_cvt_f32_f16_e32 v20, v4
.LBB267_802:                            ;   in Loop: Header=BB267_559 Depth=1
	s_or_b64 exec, exec, s[6:7]
	v_lshrrev_b16_e32 v4, 8, v16
	v_cmp_lt_i16_e64 s[0:1], s19, v4
	s_mov_b64 s[6:7], 0
                                        ; implicit-def: $sgpr30
	s_and_saveexec_b64 s[8:9], s[0:1]
	s_xor_b64 s[8:9], exec, s[8:9]
	s_cbranch_execnz .LBB267_1060
; %bb.803:                              ;   in Loop: Header=BB267_559 Depth=1
	s_or_saveexec_b64 s[8:9], s[8:9]
	v_mov_b32_e32 v24, s30
	s_xor_b64 exec, exec, s[8:9]
	s_cbranch_execnz .LBB267_1063
.LBB267_804:                            ;   in Loop: Header=BB267_559 Depth=1
	s_or_b64 exec, exec, s[8:9]
	s_and_saveexec_b64 s[8:9], s[6:7]
	s_cbranch_execz .LBB267_806
.LBB267_805:                            ;   in Loop: Header=BB267_559 Depth=1
	v_and_b32_e32 v12, 7, v4
	v_ffbh_u32_e32 v6, v12
	v_min_u32_e32 v19, 32, v6
	v_subrev_u32_e32 v6, 28, v19
	v_bfe_u32 v15, v4, 3, 4
	v_lshlrev_b64 v[6:7], v6, v[4:5]
	v_sub_u32_e32 v7, 29, v19
	v_cmp_eq_u32_e64 s[0:1], 0, v15
	v_and_b32_e32 v6, 7, v6
	v_lshlrev_b32_e32 v4, 8, v4
	v_cndmask_b32_e64 v7, v15, v7, s[0:1]
	v_lshl_add_u32 v7, v7, 10, v41
	v_cndmask_b32_e64 v6, v12, v6, s[0:1]
	v_and_or_b32 v4, v4, s25, v7
	v_lshl_or_b32 v4, v6, 7, v4
	v_cvt_f32_f16_e32 v24, v4
.LBB267_806:                            ;   in Loop: Header=BB267_559 Depth=1
	s_or_b64 exec, exec, s[8:9]
	v_lshrrev_b32_e32 v4, 16, v16
	v_cmp_gt_i16_sdwa s[6:7], v4, s19 src0_sel:BYTE_0 src1_sel:DWORD
	s_mov_b64 s[0:1], 0
                                        ; implicit-def: $sgpr10
	s_and_saveexec_b64 s[8:9], s[6:7]
	s_xor_b64 s[6:7], exec, s[8:9]
	s_cbranch_execnz .LBB267_1064
; %bb.807:                              ;   in Loop: Header=BB267_559 Depth=1
	s_or_saveexec_b64 s[6:7], s[6:7]
	v_mov_b32_e32 v21, s10
	s_xor_b64 exec, exec, s[6:7]
	s_cbranch_execnz .LBB267_1067
.LBB267_808:                            ;   in Loop: Header=BB267_559 Depth=1
	s_or_b64 exec, exec, s[6:7]
	s_and_saveexec_b64 s[6:7], s[0:1]
	s_cbranch_execz .LBB267_810
.LBB267_809:                            ;   in Loop: Header=BB267_559 Depth=1
	v_bfe_u32 v12, v16, 16, 3
	v_ffbh_u32_e32 v6, v12
	v_min_u32_e32 v19, 32, v6
	v_subrev_u32_e32 v6, 28, v19
	v_bfe_u32 v15, v16, 19, 4
	v_lshlrev_b64 v[6:7], v6, v[4:5]
	v_sub_u32_e32 v7, 29, v19
	v_cmp_eq_u32_e64 s[0:1], 0, v15
	v_and_b32_e32 v6, 7, v6
	v_lshlrev_b32_e32 v4, 8, v4
	v_cndmask_b32_e64 v7, v15, v7, s[0:1]
	v_lshl_add_u32 v7, v7, 10, v41
	v_cndmask_b32_e64 v6, v12, v6, s[0:1]
	v_and_or_b32 v4, v4, s25, v7
	v_lshl_or_b32 v4, v6, 7, v4
	v_cvt_f32_f16_e32 v21, v4
.LBB267_810:                            ;   in Loop: Header=BB267_559 Depth=1
	s_or_b64 exec, exec, s[6:7]
	v_lshrrev_b32_e32 v4, 24, v16
	v_cmp_lt_i16_e64 s[0:1], s19, v4
	s_mov_b64 s[6:7], 0
                                        ; implicit-def: $sgpr30
	s_and_saveexec_b64 s[8:9], s[0:1]
	s_xor_b64 s[8:9], exec, s[8:9]
	s_cbranch_execnz .LBB267_1068
; %bb.811:                              ;   in Loop: Header=BB267_559 Depth=1
	s_or_saveexec_b64 s[8:9], s[8:9]
	v_mov_b32_e32 v25, s30
	s_xor_b64 exec, exec, s[8:9]
	s_cbranch_execnz .LBB267_1071
.LBB267_812:                            ;   in Loop: Header=BB267_559 Depth=1
	s_or_b64 exec, exec, s[8:9]
	s_and_saveexec_b64 s[8:9], s[6:7]
	s_cbranch_execz .LBB267_814
.LBB267_813:                            ;   in Loop: Header=BB267_559 Depth=1
	v_bfe_u32 v12, v16, 24, 3
	v_ffbh_u32_e32 v6, v12
	v_bfe_u32 v15, v16, 27, 4
	v_min_u32_e32 v16, 32, v6
	v_subrev_u32_e32 v6, 28, v16
	v_lshlrev_b64 v[6:7], v6, v[4:5]
	v_sub_u32_e32 v7, 29, v16
	v_cmp_eq_u32_e64 s[0:1], 0, v15
	v_and_b32_e32 v6, 7, v6
	v_lshlrev_b32_e32 v4, 8, v4
	v_cndmask_b32_e64 v7, v15, v7, s[0:1]
	v_lshl_add_u32 v7, v7, 10, v41
	v_cndmask_b32_e64 v6, v12, v6, s[0:1]
	v_and_or_b32 v4, v4, s25, v7
	v_lshl_or_b32 v4, v6, 7, v4
	v_cvt_f32_f16_e32 v25, v4
.LBB267_814:                            ;   in Loop: Header=BB267_559 Depth=1
	s_or_b64 exec, exec, s[8:9]
	v_cmp_gt_i16_sdwa s[6:7], v17, s19 src0_sel:BYTE_0 src1_sel:DWORD
	s_mov_b64 s[0:1], 0
                                        ; implicit-def: $sgpr10
	s_and_saveexec_b64 s[8:9], s[6:7]
	s_xor_b64 s[6:7], exec, s[8:9]
	s_cbranch_execnz .LBB267_1072
; %bb.815:                              ;   in Loop: Header=BB267_559 Depth=1
	s_or_saveexec_b64 s[6:7], s[6:7]
	v_mov_b32_e32 v15, s10
	s_xor_b64 exec, exec, s[6:7]
	s_cbranch_execnz .LBB267_1075
.LBB267_816:                            ;   in Loop: Header=BB267_559 Depth=1
	s_or_b64 exec, exec, s[6:7]
	v_mov_b32_e32 v4, v17
	s_and_saveexec_b64 s[6:7], s[0:1]
	s_cbranch_execz .LBB267_818
.LBB267_817:                            ;   in Loop: Header=BB267_559 Depth=1
	v_and_b32_e32 v6, 7, v17
	v_ffbh_u32_e32 v6, v6
	v_bfe_u32 v7, v17, 3, 4
	v_min_u32_e32 v6, 32, v6
	v_subrev_u32_e32 v12, 28, v6
	v_sub_u32_e32 v6, 29, v6
	v_cmp_eq_u32_e64 s[0:1], 0, v7
	s_nop 1
	v_cndmask_b32_e64 v15, v7, v6, s[0:1]
	v_cndmask_b32_e64 v6, 0, v12, s[0:1]
	v_lshlrev_b64 v[6:7], v6, v[4:5]
	v_lshlrev_b32_e32 v7, 8, v17
	v_lshl_add_u32 v12, v15, 10, v41
	v_lshlrev_b32_e32 v6, 7, v6
	v_and_or_b32 v7, v7, s25, v12
	v_and_or_b32 v6, v6, s26, v7
	v_cvt_f32_f16_e32 v15, v6
.LBB267_818:                            ;   in Loop: Header=BB267_559 Depth=1
	s_or_b64 exec, exec, s[6:7]
	v_lshrrev_b16_e32 v4, 8, v4
	v_cmp_lt_i16_e64 s[0:1], s19, v4
	s_mov_b64 s[6:7], 0
                                        ; implicit-def: $sgpr30
	s_and_saveexec_b64 s[8:9], s[0:1]
	s_xor_b64 s[8:9], exec, s[8:9]
	s_cbranch_execnz .LBB267_1076
; %bb.819:                              ;   in Loop: Header=BB267_559 Depth=1
	s_or_saveexec_b64 s[8:9], s[8:9]
	v_mov_b32_e32 v16, s30
	s_xor_b64 exec, exec, s[8:9]
	s_cbranch_execnz .LBB267_1079
.LBB267_820:                            ;   in Loop: Header=BB267_559 Depth=1
	s_or_b64 exec, exec, s[8:9]
	s_and_saveexec_b64 s[8:9], s[6:7]
	s_cbranch_execz .LBB267_822
.LBB267_821:                            ;   in Loop: Header=BB267_559 Depth=1
	v_and_b32_e32 v12, 7, v4
	v_ffbh_u32_e32 v6, v12
	v_min_u32_e32 v19, 32, v6
	v_subrev_u32_e32 v6, 28, v19
	v_bfe_u32 v16, v4, 3, 4
	v_lshlrev_b64 v[6:7], v6, v[4:5]
	v_sub_u32_e32 v7, 29, v19
	v_cmp_eq_u32_e64 s[0:1], 0, v16
	v_and_b32_e32 v6, 7, v6
	v_lshlrev_b32_e32 v4, 8, v4
	v_cndmask_b32_e64 v7, v16, v7, s[0:1]
	v_lshl_add_u32 v7, v7, 10, v41
	v_cndmask_b32_e64 v6, v12, v6, s[0:1]
	v_and_or_b32 v4, v4, s25, v7
	v_lshl_or_b32 v4, v6, 7, v4
	v_cvt_f32_f16_e32 v16, v4
.LBB267_822:                            ;   in Loop: Header=BB267_559 Depth=1
	s_or_b64 exec, exec, s[8:9]
	v_lshrrev_b32_e32 v4, 16, v17
	v_cmp_gt_i16_sdwa s[6:7], v4, s19 src0_sel:BYTE_0 src1_sel:DWORD
	s_mov_b64 s[0:1], 0
                                        ; implicit-def: $sgpr10
	s_and_saveexec_b64 s[8:9], s[6:7]
	s_xor_b64 s[6:7], exec, s[8:9]
	s_cbranch_execnz .LBB267_1080
; %bb.823:                              ;   in Loop: Header=BB267_559 Depth=1
	s_or_saveexec_b64 s[6:7], s[6:7]
	v_mov_b32_e32 v26, s10
	s_xor_b64 exec, exec, s[6:7]
	s_cbranch_execnz .LBB267_1083
.LBB267_824:                            ;   in Loop: Header=BB267_559 Depth=1
	s_or_b64 exec, exec, s[6:7]
	s_and_saveexec_b64 s[6:7], s[0:1]
	s_cbranch_execz .LBB267_826
.LBB267_825:                            ;   in Loop: Header=BB267_559 Depth=1
	v_bfe_u32 v12, v17, 16, 3
	v_ffbh_u32_e32 v6, v12
	v_min_u32_e32 v26, 32, v6
	v_subrev_u32_e32 v6, 28, v26
	v_bfe_u32 v19, v17, 19, 4
	v_lshlrev_b64 v[6:7], v6, v[4:5]
	v_sub_u32_e32 v7, 29, v26
	v_cmp_eq_u32_e64 s[0:1], 0, v19
	v_and_b32_e32 v6, 7, v6
	v_lshlrev_b32_e32 v4, 8, v4
	v_cndmask_b32_e64 v7, v19, v7, s[0:1]
	v_lshl_add_u32 v7, v7, 10, v41
	v_cndmask_b32_e64 v6, v12, v6, s[0:1]
	v_and_or_b32 v4, v4, s25, v7
	v_lshl_or_b32 v4, v6, 7, v4
	v_cvt_f32_f16_e32 v26, v4
.LBB267_826:                            ;   in Loop: Header=BB267_559 Depth=1
	s_or_b64 exec, exec, s[6:7]
	v_lshrrev_b32_e32 v4, 24, v17
	v_cmp_lt_i16_e64 s[0:1], s19, v4
	s_mov_b64 s[6:7], 0
                                        ; implicit-def: $sgpr30
	s_and_saveexec_b64 s[8:9], s[0:1]
	s_xor_b64 s[8:9], exec, s[8:9]
	s_cbranch_execnz .LBB267_1084
; %bb.827:                              ;   in Loop: Header=BB267_559 Depth=1
	s_or_saveexec_b64 s[8:9], s[8:9]
	v_mov_b32_e32 v27, s30
	s_xor_b64 exec, exec, s[8:9]
	s_cbranch_execnz .LBB267_1087
.LBB267_828:                            ;   in Loop: Header=BB267_559 Depth=1
	s_or_b64 exec, exec, s[8:9]
	s_and_saveexec_b64 s[8:9], s[6:7]
	s_cbranch_execz .LBB267_830
.LBB267_829:                            ;   in Loop: Header=BB267_559 Depth=1
	v_bfe_u32 v12, v17, 24, 3
	v_ffbh_u32_e32 v6, v12
	v_min_u32_e32 v19, 32, v6
	v_subrev_u32_e32 v6, 28, v19
	v_bfe_u32 v17, v17, 27, 4
	v_lshlrev_b64 v[6:7], v6, v[4:5]
	v_sub_u32_e32 v7, 29, v19
	v_cmp_eq_u32_e64 s[0:1], 0, v17
	v_and_b32_e32 v6, 7, v6
	v_lshlrev_b32_e32 v4, 8, v4
	v_cndmask_b32_e64 v7, v17, v7, s[0:1]
	v_lshl_add_u32 v7, v7, 10, v41
	v_cndmask_b32_e64 v6, v12, v6, s[0:1]
	v_and_or_b32 v4, v4, s25, v7
	v_lshl_or_b32 v4, v6, 7, v4
	v_cvt_f32_f16_e32 v27, v4
.LBB267_830:                            ;   in Loop: Header=BB267_559 Depth=1
	s_or_b64 exec, exec, s[8:9]
	v_pk_mul_f32 v[6:7], v[14:15], v[24:25] op_sel_hi:[0,1]
	v_pk_mul_f32 v[20:21], v[14:15], v[20:21] op_sel_hi:[0,1]
	v_cvt_f16_f32_e32 v4, v7
	v_cvt_f16_f32_e32 v6, v6
	;; [unrolled: 1-line block ×4, first 2 shown]
	v_pack_b32_f16 v6, v6, v4
	v_pack_b32_f16 v7, v12, v7
	v_perm_b32 v4, v7, v6, s27
	v_perm_b32 v17, v7, v6, s28
	v_fma_mixlo_f16 v6, v14, v16, 0
	v_lshlrev_b32_e32 v6, 16, v6
	v_fma_mixlo_f16 v7, v14, v15, 0
	v_or_b32_sdwa v15, v6, v7 dst_sel:DWORD dst_unused:UNUSED_PAD src0_sel:DWORD src1_sel:WORD_0
	v_fma_mixlo_f16 v6, v14, v27, 0
	v_fma_mixlo_f16 v16, v14, v26, 0
	v_lshlrev_b32_e32 v6, 16, v6
	v_or_b32_sdwa v14, v6, v16 dst_sel:DWORD dst_unused:UNUSED_PAD src0_sel:DWORD src1_sel:WORD_0
	s_and_saveexec_b64 s[0:1], vcc
	s_cbranch_execz .LBB267_557
; %bb.831:                              ;   in Loop: Header=BB267_559 Depth=1
	v_lshrrev_b32_e32 v6, 16, v17
	v_cmp_lt_i32_e32 vcc, v57, v3
	v_accvgpr_read_b32 v12, a8
	s_nop 0
	v_cndmask_b32_e32 v6, 0, v6, vcc
	v_cmp_lt_i32_e32 vcc, v44, v12
	s_nop 1
	v_cndmask_b32_e32 v7, 0, v17, vcc
	v_perm_b32 v17, v6, v7, s29
	v_lshrrev_b32_e32 v6, 16, v4
	v_cmp_lt_i32_e32 vcc, v56, v3
	s_nop 1
	v_cndmask_b32_e32 v6, 0, v6, vcc
	v_cmp_lt_i32_e32 vcc, v47, v12
	s_nop 1
	v_cndmask_b32_e32 v4, 0, v4, vcc
	v_perm_b32 v4, v6, v4, s29
	v_lshrrev_b32_e32 v6, 16, v15
	v_cmp_lt_i32_e32 vcc, v46, v3
	;; [unrolled: 8-line block ×3, first 2 shown]
	s_nop 1
	v_cndmask_b32_e32 v6, 0, v6, vcc
	v_cmp_lt_i32_e32 vcc, v42, v12
	s_nop 1
	v_cndmask_b32_e32 v7, 0, v16, vcc
	v_perm_b32 v14, v6, v7, s29
	s_branch .LBB267_557
.LBB267_832:                            ;   in Loop: Header=BB267_559 Depth=1
	v_cmp_eq_u16_sdwa vcc, v20, s24 src0_sel:BYTE_0 src1_sel:DWORD
	s_mov_b64 s[0:1], -1
                                        ; implicit-def: $sgpr10
	s_and_saveexec_b64 s[8:9], vcc
; %bb.833:                              ;   in Loop: Header=BB267_559 Depth=1
	s_mov_b32 s10, 0x7fc02000
	s_xor_b64 s[0:1], exec, -1
; %bb.834:                              ;   in Loop: Header=BB267_559 Depth=1
	s_or_b64 exec, exec, s[8:9]
	s_and_b64 s[0:1], s[0:1], exec
	s_or_saveexec_b64 s[6:7], s[6:7]
	v_mov_b32_e32 v24, s10
	s_xor_b64 exec, exec, s[6:7]
	s_cbranch_execz .LBB267_562
.LBB267_835:                            ;   in Loop: Header=BB267_559 Depth=1
	v_cmp_ne_u16_sdwa s[8:9], v20, v5 src0_sel:BYTE_0 src1_sel:DWORD
	s_andn2_b64 s[0:1], s[0:1], exec
	s_and_b64 s[8:9], s[8:9], exec
	v_mov_b32_e32 v24, 0
	s_or_b64 s[0:1], s[0:1], s[8:9]
	s_or_b64 exec, exec, s[6:7]
	s_and_saveexec_b64 s[6:7], s[0:1]
	s_cbranch_execnz .LBB267_563
	s_branch .LBB267_564
.LBB267_836:                            ;   in Loop: Header=BB267_559 Depth=1
	v_cmp_eq_u16_e32 vcc, s24, v4
	s_mov_b64 s[0:1], -1
                                        ; implicit-def: $sgpr10
	s_and_saveexec_b64 s[8:9], vcc
; %bb.837:                              ;   in Loop: Header=BB267_559 Depth=1
	s_mov_b32 s10, 0x7fc02000
	s_xor_b64 s[0:1], exec, -1
; %bb.838:                              ;   in Loop: Header=BB267_559 Depth=1
	s_or_b64 exec, exec, s[8:9]
	s_and_b64 s[0:1], s[0:1], exec
	s_or_saveexec_b64 s[6:7], s[6:7]
	v_mov_b32_e32 v26, s10
	s_xor_b64 exec, exec, s[6:7]
	s_cbranch_execz .LBB267_566
.LBB267_839:                            ;   in Loop: Header=BB267_559 Depth=1
	v_cmp_ne_u16_e32 vcc, 0, v4
	s_andn2_b64 s[0:1], s[0:1], exec
	s_and_b64 s[8:9], vcc, exec
	v_mov_b32_e32 v26, 0
	s_or_b64 s[0:1], s[0:1], s[8:9]
	s_or_b64 exec, exec, s[6:7]
	s_and_saveexec_b64 s[6:7], s[0:1]
	s_cbranch_execnz .LBB267_567
	s_branch .LBB267_568
.LBB267_840:                            ;   in Loop: Header=BB267_559 Depth=1
	v_cmp_eq_u16_sdwa vcc, v4, s24 src0_sel:BYTE_0 src1_sel:DWORD
	s_mov_b64 s[0:1], -1
                                        ; implicit-def: $sgpr10
	s_and_saveexec_b64 s[8:9], vcc
; %bb.841:                              ;   in Loop: Header=BB267_559 Depth=1
	s_mov_b32 s10, 0x7fc02000
	s_xor_b64 s[0:1], exec, -1
; %bb.842:                              ;   in Loop: Header=BB267_559 Depth=1
	s_or_b64 exec, exec, s[8:9]
	s_and_b64 s[0:1], s[0:1], exec
	s_or_saveexec_b64 s[6:7], s[6:7]
	v_mov_b32_e32 v25, s10
	s_xor_b64 exec, exec, s[6:7]
	s_cbranch_execz .LBB267_570
.LBB267_843:                            ;   in Loop: Header=BB267_559 Depth=1
	v_cmp_ne_u16_sdwa s[8:9], v4, v5 src0_sel:BYTE_0 src1_sel:DWORD
	s_andn2_b64 s[0:1], s[0:1], exec
	s_and_b64 s[8:9], s[8:9], exec
	v_mov_b32_e32 v25, 0
	s_or_b64 s[0:1], s[0:1], s[8:9]
	s_or_b64 exec, exec, s[6:7]
	s_and_saveexec_b64 s[6:7], s[0:1]
	s_cbranch_execnz .LBB267_571
	s_branch .LBB267_572
.LBB267_844:                            ;   in Loop: Header=BB267_559 Depth=1
	v_cmp_eq_u16_e32 vcc, s24, v4
	s_mov_b64 s[0:1], -1
                                        ; implicit-def: $sgpr10
	s_and_saveexec_b64 s[8:9], vcc
; %bb.845:                              ;   in Loop: Header=BB267_559 Depth=1
	s_mov_b32 s10, 0x7fc02000
	s_xor_b64 s[0:1], exec, -1
; %bb.846:                              ;   in Loop: Header=BB267_559 Depth=1
	s_or_b64 exec, exec, s[8:9]
	s_and_b64 s[0:1], s[0:1], exec
	s_or_saveexec_b64 s[6:7], s[6:7]
	v_mov_b32_e32 v27, s10
	s_xor_b64 exec, exec, s[6:7]
	s_cbranch_execz .LBB267_574
.LBB267_847:                            ;   in Loop: Header=BB267_559 Depth=1
	v_cmp_ne_u16_e32 vcc, 0, v4
	s_andn2_b64 s[0:1], s[0:1], exec
	s_and_b64 s[8:9], vcc, exec
	v_mov_b32_e32 v27, 0
	s_or_b64 s[0:1], s[0:1], s[8:9]
	s_or_b64 exec, exec, s[6:7]
	s_and_saveexec_b64 s[6:7], s[0:1]
	s_cbranch_execnz .LBB267_575
	s_branch .LBB267_576
.LBB267_848:                            ;   in Loop: Header=BB267_559 Depth=1
	v_cmp_eq_u16_sdwa vcc, v21, s24 src0_sel:BYTE_0 src1_sel:DWORD
	s_mov_b64 s[0:1], -1
                                        ; implicit-def: $sgpr10
	s_and_saveexec_b64 s[8:9], vcc
; %bb.849:                              ;   in Loop: Header=BB267_559 Depth=1
	s_mov_b32 s10, 0x7fc02000
	s_xor_b64 s[0:1], exec, -1
; %bb.850:                              ;   in Loop: Header=BB267_559 Depth=1
	s_or_b64 exec, exec, s[8:9]
	s_and_b64 s[0:1], s[0:1], exec
	s_or_saveexec_b64 s[6:7], s[6:7]
	v_mov_b32_e32 v20, s10
	s_xor_b64 exec, exec, s[6:7]
	s_cbranch_execz .LBB267_578
.LBB267_851:                            ;   in Loop: Header=BB267_559 Depth=1
	v_cmp_ne_u16_sdwa s[8:9], v21, v5 src0_sel:BYTE_0 src1_sel:DWORD
	s_andn2_b64 s[0:1], s[0:1], exec
	s_and_b64 s[8:9], s[8:9], exec
	v_mov_b32_e32 v20, 0
	s_or_b64 s[0:1], s[0:1], s[8:9]
	s_or_b64 exec, exec, s[6:7]
	v_mov_b32_e32 v4, v21
	s_and_saveexec_b64 s[6:7], s[0:1]
	s_cbranch_execnz .LBB267_579
	s_branch .LBB267_580
.LBB267_852:                            ;   in Loop: Header=BB267_559 Depth=1
	v_cmp_eq_u16_e32 vcc, s24, v4
	s_mov_b64 s[0:1], -1
                                        ; implicit-def: $sgpr10
	s_and_saveexec_b64 s[8:9], vcc
; %bb.853:                              ;   in Loop: Header=BB267_559 Depth=1
	s_mov_b32 s10, 0x7fc02000
	s_xor_b64 s[0:1], exec, -1
; %bb.854:                              ;   in Loop: Header=BB267_559 Depth=1
	s_or_b64 exec, exec, s[8:9]
	s_and_b64 s[0:1], s[0:1], exec
	s_or_saveexec_b64 s[6:7], s[6:7]
	v_mov_b32_e32 v36, s10
	s_xor_b64 exec, exec, s[6:7]
	s_cbranch_execz .LBB267_582
.LBB267_855:                            ;   in Loop: Header=BB267_559 Depth=1
	v_cmp_ne_u16_e32 vcc, 0, v4
	s_andn2_b64 s[0:1], s[0:1], exec
	s_and_b64 s[8:9], vcc, exec
	v_mov_b32_e32 v36, 0
	s_or_b64 s[0:1], s[0:1], s[8:9]
	s_or_b64 exec, exec, s[6:7]
	s_and_saveexec_b64 s[6:7], s[0:1]
	s_cbranch_execnz .LBB267_583
	s_branch .LBB267_584
.LBB267_856:                            ;   in Loop: Header=BB267_559 Depth=1
	v_cmp_eq_u16_sdwa vcc, v4, s24 src0_sel:BYTE_0 src1_sel:DWORD
	s_mov_b64 s[0:1], -1
                                        ; implicit-def: $sgpr10
	s_and_saveexec_b64 s[8:9], vcc
; %bb.857:                              ;   in Loop: Header=BB267_559 Depth=1
	s_mov_b32 s10, 0x7fc02000
	s_xor_b64 s[0:1], exec, -1
; %bb.858:                              ;   in Loop: Header=BB267_559 Depth=1
	s_or_b64 exec, exec, s[8:9]
	s_and_b64 s[0:1], s[0:1], exec
	s_or_saveexec_b64 s[6:7], s[6:7]
	v_mov_b32_e32 v37, s10
	s_xor_b64 exec, exec, s[6:7]
	s_cbranch_execz .LBB267_586
.LBB267_859:                            ;   in Loop: Header=BB267_559 Depth=1
	v_cmp_ne_u16_sdwa s[8:9], v4, v5 src0_sel:BYTE_0 src1_sel:DWORD
	s_andn2_b64 s[0:1], s[0:1], exec
	s_and_b64 s[8:9], s[8:9], exec
	v_mov_b32_e32 v37, 0
	s_or_b64 s[0:1], s[0:1], s[8:9]
	s_or_b64 exec, exec, s[6:7]
	s_and_saveexec_b64 s[6:7], s[0:1]
	s_cbranch_execnz .LBB267_587
	s_branch .LBB267_588
.LBB267_860:                            ;   in Loop: Header=BB267_559 Depth=1
	v_cmp_eq_u16_e32 vcc, s24, v4
	s_mov_b64 s[0:1], -1
                                        ; implicit-def: $sgpr10
	s_and_saveexec_b64 s[8:9], vcc
; %bb.861:                              ;   in Loop: Header=BB267_559 Depth=1
	s_mov_b32 s10, 0x7fc02000
	s_xor_b64 s[0:1], exec, -1
; %bb.862:                              ;   in Loop: Header=BB267_559 Depth=1
	s_or_b64 exec, exec, s[8:9]
	s_and_b64 s[0:1], s[0:1], exec
	s_or_saveexec_b64 s[6:7], s[6:7]
	v_mov_b32_e32 v38, s10
	s_xor_b64 exec, exec, s[6:7]
	s_cbranch_execz .LBB267_590
.LBB267_863:                            ;   in Loop: Header=BB267_559 Depth=1
	v_cmp_ne_u16_e32 vcc, 0, v4
	s_andn2_b64 s[0:1], s[0:1], exec
	s_and_b64 s[8:9], vcc, exec
	v_mov_b32_e32 v38, 0
	s_or_b64 s[0:1], s[0:1], s[8:9]
	s_or_b64 exec, exec, s[6:7]
	s_and_saveexec_b64 s[6:7], s[0:1]
	s_cbranch_execnz .LBB267_591
	s_branch .LBB267_592
.LBB267_864:                            ;   in Loop: Header=BB267_559 Depth=1
	v_cmp_eq_u16_sdwa s[30:31], v20, s24 src0_sel:BYTE_0 src1_sel:DWORD
	s_mov_b64 s[0:1], -1
                                        ; implicit-def: $sgpr10
	s_and_saveexec_b64 s[8:9], s[30:31]
; %bb.865:                              ;   in Loop: Header=BB267_559 Depth=1
	s_mov_b32 s10, 0x7fc02000
	s_xor_b64 s[0:1], exec, -1
; %bb.866:                              ;   in Loop: Header=BB267_559 Depth=1
	s_or_b64 exec, exec, s[8:9]
	s_and_b64 s[0:1], s[0:1], exec
	s_or_saveexec_b64 s[6:7], s[6:7]
	v_mov_b32_e32 v24, s10
	s_xor_b64 exec, exec, s[6:7]
	s_cbranch_execz .LBB267_596
.LBB267_867:                            ;   in Loop: Header=BB267_559 Depth=1
	v_cmp_ne_u16_sdwa s[8:9], v20, v5 src0_sel:BYTE_0 src1_sel:DWORD
	s_andn2_b64 s[0:1], s[0:1], exec
	s_and_b64 s[8:9], s[8:9], exec
	v_mov_b32_e32 v24, 0
	s_or_b64 s[0:1], s[0:1], s[8:9]
	s_or_b64 exec, exec, s[6:7]
	s_and_saveexec_b64 s[6:7], s[0:1]
	s_cbranch_execnz .LBB267_597
	s_branch .LBB267_598
.LBB267_868:                            ;   in Loop: Header=BB267_559 Depth=1
	v_cmp_eq_u16_e64 s[0:1], s24, v4
	s_mov_b64 s[6:7], -1
                                        ; implicit-def: $sgpr30
	s_and_saveexec_b64 s[10:11], s[0:1]
; %bb.869:                              ;   in Loop: Header=BB267_559 Depth=1
	s_mov_b32 s30, 0x7fc02000
	s_xor_b64 s[6:7], exec, -1
; %bb.870:                              ;   in Loop: Header=BB267_559 Depth=1
	s_or_b64 exec, exec, s[10:11]
	s_and_b64 s[6:7], s[6:7], exec
	s_or_saveexec_b64 s[8:9], s[8:9]
	v_mov_b32_e32 v26, s30
	s_xor_b64 exec, exec, s[8:9]
	s_cbranch_execz .LBB267_600
.LBB267_871:                            ;   in Loop: Header=BB267_559 Depth=1
	v_cmp_ne_u16_e64 s[0:1], 0, v4
	s_andn2_b64 s[6:7], s[6:7], exec
	s_and_b64 s[0:1], s[0:1], exec
	v_mov_b32_e32 v26, 0
	s_or_b64 s[6:7], s[6:7], s[0:1]
	s_or_b64 exec, exec, s[8:9]
	s_and_saveexec_b64 s[8:9], s[6:7]
	s_cbranch_execnz .LBB267_601
	s_branch .LBB267_602
.LBB267_872:                            ;   in Loop: Header=BB267_559 Depth=1
	v_cmp_eq_u16_sdwa s[30:31], v4, s24 src0_sel:BYTE_0 src1_sel:DWORD
	s_mov_b64 s[0:1], -1
                                        ; implicit-def: $sgpr10
	s_and_saveexec_b64 s[8:9], s[30:31]
; %bb.873:                              ;   in Loop: Header=BB267_559 Depth=1
	s_mov_b32 s10, 0x7fc02000
	s_xor_b64 s[0:1], exec, -1
; %bb.874:                              ;   in Loop: Header=BB267_559 Depth=1
	s_or_b64 exec, exec, s[8:9]
	s_and_b64 s[0:1], s[0:1], exec
	s_or_saveexec_b64 s[6:7], s[6:7]
	v_mov_b32_e32 v25, s10
	s_xor_b64 exec, exec, s[6:7]
	s_cbranch_execz .LBB267_604
.LBB267_875:                            ;   in Loop: Header=BB267_559 Depth=1
	v_cmp_ne_u16_sdwa s[8:9], v4, v5 src0_sel:BYTE_0 src1_sel:DWORD
	s_andn2_b64 s[0:1], s[0:1], exec
	s_and_b64 s[8:9], s[8:9], exec
	v_mov_b32_e32 v25, 0
	s_or_b64 s[0:1], s[0:1], s[8:9]
	s_or_b64 exec, exec, s[6:7]
	s_and_saveexec_b64 s[6:7], s[0:1]
	s_cbranch_execnz .LBB267_605
	s_branch .LBB267_606
.LBB267_876:                            ;   in Loop: Header=BB267_559 Depth=1
	v_cmp_eq_u16_e64 s[0:1], s24, v4
	s_mov_b64 s[6:7], -1
                                        ; implicit-def: $sgpr30
	s_and_saveexec_b64 s[10:11], s[0:1]
; %bb.877:                              ;   in Loop: Header=BB267_559 Depth=1
	s_mov_b32 s30, 0x7fc02000
	s_xor_b64 s[6:7], exec, -1
; %bb.878:                              ;   in Loop: Header=BB267_559 Depth=1
	s_or_b64 exec, exec, s[10:11]
	s_and_b64 s[6:7], s[6:7], exec
	s_or_saveexec_b64 s[8:9], s[8:9]
	v_mov_b32_e32 v27, s30
	s_xor_b64 exec, exec, s[8:9]
	s_cbranch_execz .LBB267_608
.LBB267_879:                            ;   in Loop: Header=BB267_559 Depth=1
	v_cmp_ne_u16_e64 s[0:1], 0, v4
	s_andn2_b64 s[6:7], s[6:7], exec
	s_and_b64 s[0:1], s[0:1], exec
	v_mov_b32_e32 v27, 0
	s_or_b64 s[6:7], s[6:7], s[0:1]
	s_or_b64 exec, exec, s[8:9]
	s_and_saveexec_b64 s[8:9], s[6:7]
	s_cbranch_execnz .LBB267_609
	s_branch .LBB267_610
.LBB267_880:                            ;   in Loop: Header=BB267_559 Depth=1
	v_cmp_eq_u16_sdwa s[30:31], v21, s24 src0_sel:BYTE_0 src1_sel:DWORD
	s_mov_b64 s[0:1], -1
                                        ; implicit-def: $sgpr10
	s_and_saveexec_b64 s[8:9], s[30:31]
; %bb.881:                              ;   in Loop: Header=BB267_559 Depth=1
	s_mov_b32 s10, 0x7fc02000
	s_xor_b64 s[0:1], exec, -1
; %bb.882:                              ;   in Loop: Header=BB267_559 Depth=1
	s_or_b64 exec, exec, s[8:9]
	s_and_b64 s[0:1], s[0:1], exec
	s_or_saveexec_b64 s[6:7], s[6:7]
	v_mov_b32_e32 v0, s10
	s_xor_b64 exec, exec, s[6:7]
	s_cbranch_execz .LBB267_612
.LBB267_883:                            ;   in Loop: Header=BB267_559 Depth=1
	v_cmp_ne_u16_sdwa s[8:9], v21, v5 src0_sel:BYTE_0 src1_sel:DWORD
	s_andn2_b64 s[0:1], s[0:1], exec
	s_and_b64 s[8:9], s[8:9], exec
	v_mov_b32_e32 v0, 0
	s_or_b64 s[0:1], s[0:1], s[8:9]
	s_or_b64 exec, exec, s[6:7]
	v_mov_b32_e32 v4, v21
	s_and_saveexec_b64 s[6:7], s[0:1]
	s_cbranch_execnz .LBB267_613
	s_branch .LBB267_614
.LBB267_884:                            ;   in Loop: Header=BB267_559 Depth=1
	v_cmp_eq_u16_e64 s[0:1], s24, v4
	s_mov_b64 s[6:7], -1
                                        ; implicit-def: $sgpr30
	s_and_saveexec_b64 s[10:11], s[0:1]
; %bb.885:                              ;   in Loop: Header=BB267_559 Depth=1
	s_mov_b32 s30, 0x7fc02000
	s_xor_b64 s[6:7], exec, -1
; %bb.886:                              ;   in Loop: Header=BB267_559 Depth=1
	s_or_b64 exec, exec, s[10:11]
	s_and_b64 s[6:7], s[6:7], exec
	s_or_saveexec_b64 s[8:9], s[8:9]
	v_mov_b32_e32 v1, s30
	s_xor_b64 exec, exec, s[8:9]
	s_cbranch_execz .LBB267_616
.LBB267_887:                            ;   in Loop: Header=BB267_559 Depth=1
	v_cmp_ne_u16_e64 s[0:1], 0, v4
	s_andn2_b64 s[6:7], s[6:7], exec
	s_and_b64 s[0:1], s[0:1], exec
	v_mov_b32_e32 v1, 0
	s_or_b64 s[6:7], s[6:7], s[0:1]
	s_or_b64 exec, exec, s[8:9]
	s_and_saveexec_b64 s[8:9], s[6:7]
	s_cbranch_execnz .LBB267_617
	s_branch .LBB267_618
.LBB267_888:                            ;   in Loop: Header=BB267_559 Depth=1
	v_cmp_eq_u16_sdwa s[30:31], v4, s24 src0_sel:BYTE_0 src1_sel:DWORD
	s_mov_b64 s[0:1], -1
                                        ; implicit-def: $sgpr10
	s_and_saveexec_b64 s[8:9], s[30:31]
; %bb.889:                              ;   in Loop: Header=BB267_559 Depth=1
	s_mov_b32 s10, 0x7fc02000
	s_xor_b64 s[0:1], exec, -1
; %bb.890:                              ;   in Loop: Header=BB267_559 Depth=1
	s_or_b64 exec, exec, s[8:9]
	s_and_b64 s[0:1], s[0:1], exec
	s_or_saveexec_b64 s[6:7], s[6:7]
	v_mov_b32_e32 v2, s10
	s_xor_b64 exec, exec, s[6:7]
	s_cbranch_execz .LBB267_620
.LBB267_891:                            ;   in Loop: Header=BB267_559 Depth=1
	v_cmp_ne_u16_sdwa s[8:9], v4, v5 src0_sel:BYTE_0 src1_sel:DWORD
	s_andn2_b64 s[0:1], s[0:1], exec
	s_and_b64 s[8:9], s[8:9], exec
	v_mov_b32_e32 v2, 0
	s_or_b64 s[0:1], s[0:1], s[8:9]
	s_or_b64 exec, exec, s[6:7]
	s_and_saveexec_b64 s[6:7], s[0:1]
	s_cbranch_execnz .LBB267_621
	s_branch .LBB267_622
.LBB267_892:                            ;   in Loop: Header=BB267_559 Depth=1
	v_cmp_eq_u16_e64 s[0:1], s24, v4
	s_mov_b64 s[6:7], -1
                                        ; implicit-def: $sgpr30
	s_and_saveexec_b64 s[10:11], s[0:1]
; %bb.893:                              ;   in Loop: Header=BB267_559 Depth=1
	s_mov_b32 s30, 0x7fc02000
	s_xor_b64 s[6:7], exec, -1
; %bb.894:                              ;   in Loop: Header=BB267_559 Depth=1
	s_or_b64 exec, exec, s[10:11]
	s_and_b64 s[6:7], s[6:7], exec
	s_or_saveexec_b64 s[8:9], s[8:9]
	v_mov_b32_e32 v17, s30
	s_xor_b64 exec, exec, s[8:9]
	s_cbranch_execz .LBB267_624
.LBB267_895:                            ;   in Loop: Header=BB267_559 Depth=1
	v_cmp_ne_u16_e64 s[0:1], 0, v4
	s_andn2_b64 s[6:7], s[6:7], exec
	s_and_b64 s[0:1], s[0:1], exec
	v_mov_b32_e32 v17, 0
	s_or_b64 s[6:7], s[6:7], s[0:1]
	s_or_b64 exec, exec, s[8:9]
	s_and_saveexec_b64 s[8:9], s[6:7]
	s_cbranch_execnz .LBB267_625
	s_branch .LBB267_626
.LBB267_896:                            ;   in Loop: Header=BB267_559 Depth=1
	v_cmp_eq_u16_sdwa s[30:31], v20, s24 src0_sel:BYTE_0 src1_sel:DWORD
	s_mov_b64 s[0:1], -1
                                        ; implicit-def: $sgpr10
	s_and_saveexec_b64 s[8:9], s[30:31]
; %bb.897:                              ;   in Loop: Header=BB267_559 Depth=1
	s_mov_b32 s10, 0x7fc02000
	s_xor_b64 s[0:1], exec, -1
; %bb.898:                              ;   in Loop: Header=BB267_559 Depth=1
	s_or_b64 exec, exec, s[8:9]
	s_and_b64 s[0:1], s[0:1], exec
	s_or_saveexec_b64 s[6:7], s[6:7]
	v_mov_b32_e32 v24, s10
	s_xor_b64 exec, exec, s[6:7]
	s_cbranch_execz .LBB267_630
.LBB267_899:                            ;   in Loop: Header=BB267_559 Depth=1
	v_cmp_ne_u16_sdwa s[8:9], v20, v5 src0_sel:BYTE_0 src1_sel:DWORD
	s_andn2_b64 s[0:1], s[0:1], exec
	s_and_b64 s[8:9], s[8:9], exec
	v_mov_b32_e32 v24, 0
	s_or_b64 s[0:1], s[0:1], s[8:9]
	s_or_b64 exec, exec, s[6:7]
	s_and_saveexec_b64 s[6:7], s[0:1]
	s_cbranch_execnz .LBB267_631
	s_branch .LBB267_632
.LBB267_900:                            ;   in Loop: Header=BB267_559 Depth=1
	v_cmp_eq_u16_e64 s[0:1], s24, v4
	s_mov_b64 s[6:7], -1
                                        ; implicit-def: $sgpr30
	s_and_saveexec_b64 s[10:11], s[0:1]
; %bb.901:                              ;   in Loop: Header=BB267_559 Depth=1
	s_mov_b32 s30, 0x7fc02000
	s_xor_b64 s[6:7], exec, -1
; %bb.902:                              ;   in Loop: Header=BB267_559 Depth=1
	s_or_b64 exec, exec, s[10:11]
	s_and_b64 s[6:7], s[6:7], exec
	s_or_saveexec_b64 s[8:9], s[8:9]
	v_mov_b32_e32 v26, s30
	s_xor_b64 exec, exec, s[8:9]
	s_cbranch_execz .LBB267_634
.LBB267_903:                            ;   in Loop: Header=BB267_559 Depth=1
	v_cmp_ne_u16_e64 s[0:1], 0, v4
	s_andn2_b64 s[6:7], s[6:7], exec
	s_and_b64 s[0:1], s[0:1], exec
	v_mov_b32_e32 v26, 0
	s_or_b64 s[6:7], s[6:7], s[0:1]
	s_or_b64 exec, exec, s[8:9]
	s_and_saveexec_b64 s[8:9], s[6:7]
	s_cbranch_execnz .LBB267_635
	s_branch .LBB267_636
.LBB267_904:                            ;   in Loop: Header=BB267_559 Depth=1
	v_cmp_eq_u16_sdwa s[30:31], v4, s24 src0_sel:BYTE_0 src1_sel:DWORD
	s_mov_b64 s[0:1], -1
                                        ; implicit-def: $sgpr10
	s_and_saveexec_b64 s[8:9], s[30:31]
; %bb.905:                              ;   in Loop: Header=BB267_559 Depth=1
	s_mov_b32 s10, 0x7fc02000
	s_xor_b64 s[0:1], exec, -1
; %bb.906:                              ;   in Loop: Header=BB267_559 Depth=1
	s_or_b64 exec, exec, s[8:9]
	s_and_b64 s[0:1], s[0:1], exec
	s_or_saveexec_b64 s[6:7], s[6:7]
	v_mov_b32_e32 v25, s10
	s_xor_b64 exec, exec, s[6:7]
	s_cbranch_execz .LBB267_638
.LBB267_907:                            ;   in Loop: Header=BB267_559 Depth=1
	v_cmp_ne_u16_sdwa s[8:9], v4, v5 src0_sel:BYTE_0 src1_sel:DWORD
	s_andn2_b64 s[0:1], s[0:1], exec
	s_and_b64 s[8:9], s[8:9], exec
	v_mov_b32_e32 v25, 0
	s_or_b64 s[0:1], s[0:1], s[8:9]
	s_or_b64 exec, exec, s[6:7]
	s_and_saveexec_b64 s[6:7], s[0:1]
	s_cbranch_execnz .LBB267_639
	s_branch .LBB267_640
.LBB267_908:                            ;   in Loop: Header=BB267_559 Depth=1
	v_cmp_eq_u16_e64 s[0:1], s24, v4
	s_mov_b64 s[6:7], -1
                                        ; implicit-def: $sgpr30
	s_and_saveexec_b64 s[10:11], s[0:1]
; %bb.909:                              ;   in Loop: Header=BB267_559 Depth=1
	s_mov_b32 s30, 0x7fc02000
	s_xor_b64 s[6:7], exec, -1
; %bb.910:                              ;   in Loop: Header=BB267_559 Depth=1
	s_or_b64 exec, exec, s[10:11]
	s_and_b64 s[6:7], s[6:7], exec
	s_or_saveexec_b64 s[8:9], s[8:9]
	v_mov_b32_e32 v27, s30
	s_xor_b64 exec, exec, s[8:9]
	s_cbranch_execz .LBB267_642
.LBB267_911:                            ;   in Loop: Header=BB267_559 Depth=1
	v_cmp_ne_u16_e64 s[0:1], 0, v4
	s_andn2_b64 s[6:7], s[6:7], exec
	s_and_b64 s[0:1], s[0:1], exec
	v_mov_b32_e32 v27, 0
	s_or_b64 s[6:7], s[6:7], s[0:1]
	s_or_b64 exec, exec, s[8:9]
	s_and_saveexec_b64 s[8:9], s[6:7]
	s_cbranch_execnz .LBB267_643
	s_branch .LBB267_644
.LBB267_912:                            ;   in Loop: Header=BB267_559 Depth=1
	v_cmp_eq_u16_sdwa s[30:31], v21, s24 src0_sel:BYTE_0 src1_sel:DWORD
	s_mov_b64 s[0:1], -1
                                        ; implicit-def: $sgpr10
	s_and_saveexec_b64 s[8:9], s[30:31]
; %bb.913:                              ;   in Loop: Header=BB267_559 Depth=1
	s_mov_b32 s10, 0x7fc02000
	s_xor_b64 s[0:1], exec, -1
; %bb.914:                              ;   in Loop: Header=BB267_559 Depth=1
	s_or_b64 exec, exec, s[8:9]
	s_and_b64 s[0:1], s[0:1], exec
	s_or_saveexec_b64 s[6:7], s[6:7]
	v_mov_b32_e32 v2, s10
	s_xor_b64 exec, exec, s[6:7]
	s_cbranch_execz .LBB267_646
.LBB267_915:                            ;   in Loop: Header=BB267_559 Depth=1
	v_cmp_ne_u16_sdwa s[8:9], v21, v5 src0_sel:BYTE_0 src1_sel:DWORD
	s_andn2_b64 s[0:1], s[0:1], exec
	s_and_b64 s[8:9], s[8:9], exec
	v_mov_b32_e32 v2, 0
	s_or_b64 s[0:1], s[0:1], s[8:9]
	s_or_b64 exec, exec, s[6:7]
	v_mov_b32_e32 v4, v21
	s_and_saveexec_b64 s[6:7], s[0:1]
	s_cbranch_execnz .LBB267_647
	s_branch .LBB267_648
.LBB267_916:                            ;   in Loop: Header=BB267_559 Depth=1
	v_cmp_eq_u16_e64 s[0:1], s24, v4
	s_mov_b64 s[6:7], -1
                                        ; implicit-def: $sgpr30
	s_and_saveexec_b64 s[10:11], s[0:1]
; %bb.917:                              ;   in Loop: Header=BB267_559 Depth=1
	s_mov_b32 s30, 0x7fc02000
	s_xor_b64 s[6:7], exec, -1
; %bb.918:                              ;   in Loop: Header=BB267_559 Depth=1
	s_or_b64 exec, exec, s[10:11]
	s_and_b64 s[6:7], s[6:7], exec
	s_or_saveexec_b64 s[8:9], s[8:9]
	v_mov_b32_e32 v13, s30
	s_xor_b64 exec, exec, s[8:9]
	s_cbranch_execz .LBB267_650
.LBB267_919:                            ;   in Loop: Header=BB267_559 Depth=1
	v_cmp_ne_u16_e64 s[0:1], 0, v4
	s_andn2_b64 s[6:7], s[6:7], exec
	s_and_b64 s[0:1], s[0:1], exec
	v_mov_b32_e32 v13, 0
	s_or_b64 s[6:7], s[6:7], s[0:1]
	s_or_b64 exec, exec, s[8:9]
	s_and_saveexec_b64 s[8:9], s[6:7]
	s_cbranch_execnz .LBB267_651
	s_branch .LBB267_652
.LBB267_920:                            ;   in Loop: Header=BB267_559 Depth=1
	v_cmp_eq_u16_sdwa s[30:31], v4, s24 src0_sel:BYTE_0 src1_sel:DWORD
	s_mov_b64 s[0:1], -1
                                        ; implicit-def: $sgpr10
	s_and_saveexec_b64 s[8:9], s[30:31]
; %bb.921:                              ;   in Loop: Header=BB267_559 Depth=1
	s_mov_b32 s10, 0x7fc02000
	s_xor_b64 s[0:1], exec, -1
; %bb.922:                              ;   in Loop: Header=BB267_559 Depth=1
	s_or_b64 exec, exec, s[8:9]
	s_and_b64 s[0:1], s[0:1], exec
	s_or_saveexec_b64 s[6:7], s[6:7]
	v_mov_b32_e32 v17, s10
	s_xor_b64 exec, exec, s[6:7]
	s_cbranch_execz .LBB267_654
.LBB267_923:                            ;   in Loop: Header=BB267_559 Depth=1
	v_cmp_ne_u16_sdwa s[8:9], v4, v5 src0_sel:BYTE_0 src1_sel:DWORD
	s_andn2_b64 s[0:1], s[0:1], exec
	s_and_b64 s[8:9], s[8:9], exec
	v_mov_b32_e32 v17, 0
	s_or_b64 s[0:1], s[0:1], s[8:9]
	s_or_b64 exec, exec, s[6:7]
	s_and_saveexec_b64 s[6:7], s[0:1]
	s_cbranch_execnz .LBB267_655
	s_branch .LBB267_656
.LBB267_924:                            ;   in Loop: Header=BB267_559 Depth=1
	v_cmp_eq_u16_e64 s[0:1], s24, v4
	s_mov_b64 s[6:7], -1
                                        ; implicit-def: $sgpr30
	s_and_saveexec_b64 s[10:11], s[0:1]
; %bb.925:                              ;   in Loop: Header=BB267_559 Depth=1
	s_mov_b32 s30, 0x7fc02000
	s_xor_b64 s[6:7], exec, -1
; %bb.926:                              ;   in Loop: Header=BB267_559 Depth=1
	s_or_b64 exec, exec, s[10:11]
	s_and_b64 s[6:7], s[6:7], exec
	s_or_saveexec_b64 s[8:9], s[8:9]
	v_mov_b32_e32 v20, s30
	s_xor_b64 exec, exec, s[8:9]
	s_cbranch_execz .LBB267_658
.LBB267_927:                            ;   in Loop: Header=BB267_559 Depth=1
	v_cmp_ne_u16_e64 s[0:1], 0, v4
	s_andn2_b64 s[6:7], s[6:7], exec
	s_and_b64 s[0:1], s[0:1], exec
	v_mov_b32_e32 v20, 0
	s_or_b64 s[6:7], s[6:7], s[0:1]
	s_or_b64 exec, exec, s[8:9]
	s_and_saveexec_b64 s[8:9], s[6:7]
	s_cbranch_execnz .LBB267_659
	s_branch .LBB267_660
.LBB267_928:                            ;   in Loop: Header=BB267_559 Depth=1
	v_cmp_eq_u16_sdwa s[30:31], v20, s24 src0_sel:BYTE_0 src1_sel:DWORD
	s_mov_b64 s[0:1], -1
                                        ; implicit-def: $sgpr10
	s_and_saveexec_b64 s[8:9], s[30:31]
; %bb.929:                              ;   in Loop: Header=BB267_559 Depth=1
	s_mov_b32 s10, 0x7fc02000
	s_xor_b64 s[0:1], exec, -1
; %bb.930:                              ;   in Loop: Header=BB267_559 Depth=1
	s_or_b64 exec, exec, s[8:9]
	s_and_b64 s[0:1], s[0:1], exec
	s_or_saveexec_b64 s[6:7], s[6:7]
	v_mov_b32_e32 v24, s10
	s_xor_b64 exec, exec, s[6:7]
	s_cbranch_execz .LBB267_664
.LBB267_931:                            ;   in Loop: Header=BB267_559 Depth=1
	v_cmp_ne_u16_sdwa s[8:9], v20, v5 src0_sel:BYTE_0 src1_sel:DWORD
	s_andn2_b64 s[0:1], s[0:1], exec
	s_and_b64 s[8:9], s[8:9], exec
	v_mov_b32_e32 v24, 0
	s_or_b64 s[0:1], s[0:1], s[8:9]
	s_or_b64 exec, exec, s[6:7]
	s_and_saveexec_b64 s[6:7], s[0:1]
	s_cbranch_execnz .LBB267_665
	s_branch .LBB267_666
.LBB267_932:                            ;   in Loop: Header=BB267_559 Depth=1
	v_cmp_eq_u16_e64 s[0:1], s24, v4
	s_mov_b64 s[6:7], -1
                                        ; implicit-def: $sgpr30
	s_and_saveexec_b64 s[10:11], s[0:1]
; %bb.933:                              ;   in Loop: Header=BB267_559 Depth=1
	s_mov_b32 s30, 0x7fc02000
	s_xor_b64 s[6:7], exec, -1
; %bb.934:                              ;   in Loop: Header=BB267_559 Depth=1
	s_or_b64 exec, exec, s[10:11]
	s_and_b64 s[6:7], s[6:7], exec
	s_or_saveexec_b64 s[8:9], s[8:9]
	v_mov_b32_e32 v26, s30
	s_xor_b64 exec, exec, s[8:9]
	s_cbranch_execz .LBB267_668
.LBB267_935:                            ;   in Loop: Header=BB267_559 Depth=1
	v_cmp_ne_u16_e64 s[0:1], 0, v4
	s_andn2_b64 s[6:7], s[6:7], exec
	s_and_b64 s[0:1], s[0:1], exec
	v_mov_b32_e32 v26, 0
	s_or_b64 s[6:7], s[6:7], s[0:1]
	s_or_b64 exec, exec, s[8:9]
	s_and_saveexec_b64 s[8:9], s[6:7]
	s_cbranch_execnz .LBB267_669
	s_branch .LBB267_670
.LBB267_936:                            ;   in Loop: Header=BB267_559 Depth=1
	v_cmp_eq_u16_sdwa s[30:31], v4, s24 src0_sel:BYTE_0 src1_sel:DWORD
	s_mov_b64 s[0:1], -1
                                        ; implicit-def: $sgpr10
	s_and_saveexec_b64 s[8:9], s[30:31]
; %bb.937:                              ;   in Loop: Header=BB267_559 Depth=1
	s_mov_b32 s10, 0x7fc02000
	s_xor_b64 s[0:1], exec, -1
; %bb.938:                              ;   in Loop: Header=BB267_559 Depth=1
	s_or_b64 exec, exec, s[8:9]
	s_and_b64 s[0:1], s[0:1], exec
	s_or_saveexec_b64 s[6:7], s[6:7]
	v_mov_b32_e32 v25, s10
	s_xor_b64 exec, exec, s[6:7]
	s_cbranch_execz .LBB267_672
.LBB267_939:                            ;   in Loop: Header=BB267_559 Depth=1
	v_cmp_ne_u16_sdwa s[8:9], v4, v5 src0_sel:BYTE_0 src1_sel:DWORD
	s_andn2_b64 s[0:1], s[0:1], exec
	s_and_b64 s[8:9], s[8:9], exec
	v_mov_b32_e32 v25, 0
	s_or_b64 s[0:1], s[0:1], s[8:9]
	s_or_b64 exec, exec, s[6:7]
	s_and_saveexec_b64 s[6:7], s[0:1]
	s_cbranch_execnz .LBB267_673
	s_branch .LBB267_674
.LBB267_940:                            ;   in Loop: Header=BB267_559 Depth=1
	v_cmp_eq_u16_e64 s[0:1], s24, v4
	s_mov_b64 s[6:7], -1
                                        ; implicit-def: $sgpr30
	s_and_saveexec_b64 s[10:11], s[0:1]
; %bb.941:                              ;   in Loop: Header=BB267_559 Depth=1
	s_mov_b32 s30, 0x7fc02000
	s_xor_b64 s[6:7], exec, -1
; %bb.942:                              ;   in Loop: Header=BB267_559 Depth=1
	s_or_b64 exec, exec, s[10:11]
	s_and_b64 s[6:7], s[6:7], exec
	s_or_saveexec_b64 s[8:9], s[8:9]
	v_mov_b32_e32 v27, s30
	s_xor_b64 exec, exec, s[8:9]
	s_cbranch_execz .LBB267_676
.LBB267_943:                            ;   in Loop: Header=BB267_559 Depth=1
	v_cmp_ne_u16_e64 s[0:1], 0, v4
	s_andn2_b64 s[6:7], s[6:7], exec
	s_and_b64 s[0:1], s[0:1], exec
	v_mov_b32_e32 v27, 0
	s_or_b64 s[6:7], s[6:7], s[0:1]
	s_or_b64 exec, exec, s[8:9]
	s_and_saveexec_b64 s[8:9], s[6:7]
	s_cbranch_execnz .LBB267_677
	s_branch .LBB267_678
.LBB267_944:                            ;   in Loop: Header=BB267_559 Depth=1
	v_cmp_eq_u16_sdwa s[30:31], v21, s24 src0_sel:BYTE_0 src1_sel:DWORD
	s_mov_b64 s[0:1], -1
                                        ; implicit-def: $sgpr10
	s_and_saveexec_b64 s[8:9], s[30:31]
; %bb.945:                              ;   in Loop: Header=BB267_559 Depth=1
	s_mov_b32 s10, 0x7fc02000
	s_xor_b64 s[0:1], exec, -1
; %bb.946:                              ;   in Loop: Header=BB267_559 Depth=1
	s_or_b64 exec, exec, s[8:9]
	s_and_b64 s[0:1], s[0:1], exec
	s_or_saveexec_b64 s[6:7], s[6:7]
	v_mov_b32_e32 v2, s10
	s_xor_b64 exec, exec, s[6:7]
	s_cbranch_execz .LBB267_680
.LBB267_947:                            ;   in Loop: Header=BB267_559 Depth=1
	v_cmp_ne_u16_sdwa s[8:9], v21, v5 src0_sel:BYTE_0 src1_sel:DWORD
	s_andn2_b64 s[0:1], s[0:1], exec
	s_and_b64 s[8:9], s[8:9], exec
	v_mov_b32_e32 v2, 0
	s_or_b64 s[0:1], s[0:1], s[8:9]
	s_or_b64 exec, exec, s[6:7]
	v_mov_b32_e32 v4, v21
	s_and_saveexec_b64 s[6:7], s[0:1]
	s_cbranch_execnz .LBB267_681
	s_branch .LBB267_682
.LBB267_948:                            ;   in Loop: Header=BB267_559 Depth=1
	v_cmp_eq_u16_e64 s[0:1], s24, v4
	s_mov_b64 s[6:7], -1
                                        ; implicit-def: $sgpr30
	s_and_saveexec_b64 s[10:11], s[0:1]
; %bb.949:                              ;   in Loop: Header=BB267_559 Depth=1
	s_mov_b32 s30, 0x7fc02000
	s_xor_b64 s[6:7], exec, -1
; %bb.950:                              ;   in Loop: Header=BB267_559 Depth=1
	s_or_b64 exec, exec, s[10:11]
	s_and_b64 s[6:7], s[6:7], exec
	s_or_saveexec_b64 s[8:9], s[8:9]
	v_mov_b32_e32 v17, s30
	s_xor_b64 exec, exec, s[8:9]
	s_cbranch_execz .LBB267_684
.LBB267_951:                            ;   in Loop: Header=BB267_559 Depth=1
	v_cmp_ne_u16_e64 s[0:1], 0, v4
	s_andn2_b64 s[6:7], s[6:7], exec
	s_and_b64 s[0:1], s[0:1], exec
	v_mov_b32_e32 v17, 0
	s_or_b64 s[6:7], s[6:7], s[0:1]
	s_or_b64 exec, exec, s[8:9]
	s_and_saveexec_b64 s[8:9], s[6:7]
	s_cbranch_execnz .LBB267_685
	s_branch .LBB267_686
.LBB267_952:                            ;   in Loop: Header=BB267_559 Depth=1
	v_cmp_eq_u16_sdwa s[30:31], v4, s24 src0_sel:BYTE_0 src1_sel:DWORD
	s_mov_b64 s[0:1], -1
                                        ; implicit-def: $sgpr10
	s_and_saveexec_b64 s[8:9], s[30:31]
; %bb.953:                              ;   in Loop: Header=BB267_559 Depth=1
	s_mov_b32 s10, 0x7fc02000
	s_xor_b64 s[0:1], exec, -1
; %bb.954:                              ;   in Loop: Header=BB267_559 Depth=1
	s_or_b64 exec, exec, s[8:9]
	s_and_b64 s[0:1], s[0:1], exec
	s_or_saveexec_b64 s[6:7], s[6:7]
	v_mov_b32_e32 v18, s10
	s_xor_b64 exec, exec, s[6:7]
	s_cbranch_execz .LBB267_688
.LBB267_955:                            ;   in Loop: Header=BB267_559 Depth=1
	v_cmp_ne_u16_sdwa s[8:9], v4, v5 src0_sel:BYTE_0 src1_sel:DWORD
	s_andn2_b64 s[0:1], s[0:1], exec
	s_and_b64 s[8:9], s[8:9], exec
	v_mov_b32_e32 v18, 0
	s_or_b64 s[0:1], s[0:1], s[8:9]
	s_or_b64 exec, exec, s[6:7]
	s_and_saveexec_b64 s[6:7], s[0:1]
	s_cbranch_execnz .LBB267_689
	s_branch .LBB267_690
.LBB267_956:                            ;   in Loop: Header=BB267_559 Depth=1
	v_cmp_eq_u16_e64 s[0:1], s24, v4
	s_mov_b64 s[6:7], -1
                                        ; implicit-def: $sgpr30
	s_and_saveexec_b64 s[10:11], s[0:1]
; %bb.957:                              ;   in Loop: Header=BB267_559 Depth=1
	s_mov_b32 s30, 0x7fc02000
	s_xor_b64 s[6:7], exec, -1
; %bb.958:                              ;   in Loop: Header=BB267_559 Depth=1
	s_or_b64 exec, exec, s[10:11]
	s_and_b64 s[6:7], s[6:7], exec
	s_or_saveexec_b64 s[8:9], s[8:9]
	v_mov_b32_e32 v22, s30
	s_xor_b64 exec, exec, s[8:9]
	s_cbranch_execz .LBB267_692
.LBB267_959:                            ;   in Loop: Header=BB267_559 Depth=1
	v_cmp_ne_u16_e64 s[0:1], 0, v4
	s_andn2_b64 s[6:7], s[6:7], exec
	s_and_b64 s[0:1], s[0:1], exec
	v_mov_b32_e32 v22, 0
	s_or_b64 s[6:7], s[6:7], s[0:1]
	s_or_b64 exec, exec, s[8:9]
	s_and_saveexec_b64 s[8:9], s[6:7]
	s_cbranch_execnz .LBB267_693
	s_branch .LBB267_694
.LBB267_960:                            ;   in Loop: Header=BB267_559 Depth=1
	v_cmp_eq_u16_sdwa s[30:31], v20, s24 src0_sel:BYTE_0 src1_sel:DWORD
	s_mov_b64 s[0:1], -1
                                        ; implicit-def: $sgpr10
	s_and_saveexec_b64 s[8:9], s[30:31]
; %bb.961:                              ;   in Loop: Header=BB267_559 Depth=1
	s_mov_b32 s10, 0x7fc02000
	s_xor_b64 s[0:1], exec, -1
; %bb.962:                              ;   in Loop: Header=BB267_559 Depth=1
	s_or_b64 exec, exec, s[8:9]
	s_and_b64 s[0:1], s[0:1], exec
	s_or_saveexec_b64 s[6:7], s[6:7]
	v_mov_b32_e32 v24, s10
	s_xor_b64 exec, exec, s[6:7]
	s_cbranch_execz .LBB267_698
.LBB267_963:                            ;   in Loop: Header=BB267_559 Depth=1
	v_cmp_ne_u16_sdwa s[8:9], v20, v5 src0_sel:BYTE_0 src1_sel:DWORD
	s_andn2_b64 s[0:1], s[0:1], exec
	s_and_b64 s[8:9], s[8:9], exec
	v_mov_b32_e32 v24, 0
	s_or_b64 s[0:1], s[0:1], s[8:9]
	s_or_b64 exec, exec, s[6:7]
	s_and_saveexec_b64 s[6:7], s[0:1]
	s_cbranch_execnz .LBB267_699
	s_branch .LBB267_700
.LBB267_964:                            ;   in Loop: Header=BB267_559 Depth=1
	v_cmp_eq_u16_e64 s[0:1], s24, v4
	s_mov_b64 s[6:7], -1
                                        ; implicit-def: $sgpr30
	s_and_saveexec_b64 s[10:11], s[0:1]
; %bb.965:                              ;   in Loop: Header=BB267_559 Depth=1
	s_mov_b32 s30, 0x7fc02000
	s_xor_b64 s[6:7], exec, -1
; %bb.966:                              ;   in Loop: Header=BB267_559 Depth=1
	s_or_b64 exec, exec, s[10:11]
	s_and_b64 s[6:7], s[6:7], exec
	s_or_saveexec_b64 s[8:9], s[8:9]
	v_mov_b32_e32 v26, s30
	s_xor_b64 exec, exec, s[8:9]
	s_cbranch_execz .LBB267_702
.LBB267_967:                            ;   in Loop: Header=BB267_559 Depth=1
	v_cmp_ne_u16_e64 s[0:1], 0, v4
	s_andn2_b64 s[6:7], s[6:7], exec
	s_and_b64 s[0:1], s[0:1], exec
	v_mov_b32_e32 v26, 0
	s_or_b64 s[6:7], s[6:7], s[0:1]
	s_or_b64 exec, exec, s[8:9]
	s_and_saveexec_b64 s[8:9], s[6:7]
	s_cbranch_execnz .LBB267_703
	s_branch .LBB267_704
.LBB267_968:                            ;   in Loop: Header=BB267_559 Depth=1
	v_cmp_eq_u16_sdwa s[30:31], v4, s24 src0_sel:BYTE_0 src1_sel:DWORD
	s_mov_b64 s[0:1], -1
                                        ; implicit-def: $sgpr10
	s_and_saveexec_b64 s[8:9], s[30:31]
; %bb.969:                              ;   in Loop: Header=BB267_559 Depth=1
	s_mov_b32 s10, 0x7fc02000
	s_xor_b64 s[0:1], exec, -1
; %bb.970:                              ;   in Loop: Header=BB267_559 Depth=1
	s_or_b64 exec, exec, s[8:9]
	s_and_b64 s[0:1], s[0:1], exec
	s_or_saveexec_b64 s[6:7], s[6:7]
	v_mov_b32_e32 v25, s10
	s_xor_b64 exec, exec, s[6:7]
	s_cbranch_execz .LBB267_706
.LBB267_971:                            ;   in Loop: Header=BB267_559 Depth=1
	v_cmp_ne_u16_sdwa s[8:9], v4, v5 src0_sel:BYTE_0 src1_sel:DWORD
	s_andn2_b64 s[0:1], s[0:1], exec
	s_and_b64 s[8:9], s[8:9], exec
	v_mov_b32_e32 v25, 0
	s_or_b64 s[0:1], s[0:1], s[8:9]
	s_or_b64 exec, exec, s[6:7]
	s_and_saveexec_b64 s[6:7], s[0:1]
	s_cbranch_execnz .LBB267_707
	s_branch .LBB267_708
.LBB267_972:                            ;   in Loop: Header=BB267_559 Depth=1
	v_cmp_eq_u16_e64 s[0:1], s24, v4
	s_mov_b64 s[6:7], -1
                                        ; implicit-def: $sgpr30
	s_and_saveexec_b64 s[10:11], s[0:1]
; %bb.973:                              ;   in Loop: Header=BB267_559 Depth=1
	s_mov_b32 s30, 0x7fc02000
	s_xor_b64 s[6:7], exec, -1
; %bb.974:                              ;   in Loop: Header=BB267_559 Depth=1
	s_or_b64 exec, exec, s[10:11]
	s_and_b64 s[6:7], s[6:7], exec
	s_or_saveexec_b64 s[8:9], s[8:9]
	v_mov_b32_e32 v27, s30
	s_xor_b64 exec, exec, s[8:9]
	s_cbranch_execz .LBB267_710
.LBB267_975:                            ;   in Loop: Header=BB267_559 Depth=1
	v_cmp_ne_u16_e64 s[0:1], 0, v4
	s_andn2_b64 s[6:7], s[6:7], exec
	s_and_b64 s[0:1], s[0:1], exec
	v_mov_b32_e32 v27, 0
	s_or_b64 s[6:7], s[6:7], s[0:1]
	s_or_b64 exec, exec, s[8:9]
	s_and_saveexec_b64 s[8:9], s[6:7]
	s_cbranch_execnz .LBB267_711
	s_branch .LBB267_712
.LBB267_976:                            ;   in Loop: Header=BB267_559 Depth=1
	v_cmp_eq_u16_sdwa s[30:31], v21, s24 src0_sel:BYTE_0 src1_sel:DWORD
	s_mov_b64 s[0:1], -1
                                        ; implicit-def: $sgpr10
	s_and_saveexec_b64 s[8:9], s[30:31]
; %bb.977:                              ;   in Loop: Header=BB267_559 Depth=1
	s_mov_b32 s10, 0x7fc02000
	s_xor_b64 s[0:1], exec, -1
; %bb.978:                              ;   in Loop: Header=BB267_559 Depth=1
	s_or_b64 exec, exec, s[8:9]
	s_and_b64 s[0:1], s[0:1], exec
	s_or_saveexec_b64 s[6:7], s[6:7]
	v_mov_b32_e32 v2, s10
	s_xor_b64 exec, exec, s[6:7]
	s_cbranch_execz .LBB267_714
.LBB267_979:                            ;   in Loop: Header=BB267_559 Depth=1
	v_cmp_ne_u16_sdwa s[8:9], v21, v5 src0_sel:BYTE_0 src1_sel:DWORD
	s_andn2_b64 s[0:1], s[0:1], exec
	s_and_b64 s[8:9], s[8:9], exec
	v_mov_b32_e32 v2, 0
	s_or_b64 s[0:1], s[0:1], s[8:9]
	s_or_b64 exec, exec, s[6:7]
	v_mov_b32_e32 v4, v21
	s_and_saveexec_b64 s[6:7], s[0:1]
	s_cbranch_execnz .LBB267_715
	s_branch .LBB267_716
.LBB267_980:                            ;   in Loop: Header=BB267_559 Depth=1
	v_cmp_eq_u16_e64 s[0:1], s24, v4
	s_mov_b64 s[6:7], -1
                                        ; implicit-def: $sgpr30
	s_and_saveexec_b64 s[10:11], s[0:1]
; %bb.981:                              ;   in Loop: Header=BB267_559 Depth=1
	s_mov_b32 s30, 0x7fc02000
	s_xor_b64 s[6:7], exec, -1
; %bb.982:                              ;   in Loop: Header=BB267_559 Depth=1
	s_or_b64 exec, exec, s[10:11]
	s_and_b64 s[6:7], s[6:7], exec
	s_or_saveexec_b64 s[8:9], s[8:9]
	v_mov_b32_e32 v17, s30
	s_xor_b64 exec, exec, s[8:9]
	s_cbranch_execz .LBB267_718
.LBB267_983:                            ;   in Loop: Header=BB267_559 Depth=1
	v_cmp_ne_u16_e64 s[0:1], 0, v4
	s_andn2_b64 s[6:7], s[6:7], exec
	s_and_b64 s[0:1], s[0:1], exec
	v_mov_b32_e32 v17, 0
	s_or_b64 s[6:7], s[6:7], s[0:1]
	s_or_b64 exec, exec, s[8:9]
	s_and_saveexec_b64 s[8:9], s[6:7]
	s_cbranch_execnz .LBB267_719
	s_branch .LBB267_720
.LBB267_984:                            ;   in Loop: Header=BB267_559 Depth=1
	v_cmp_eq_u16_sdwa s[30:31], v4, s24 src0_sel:BYTE_0 src1_sel:DWORD
	s_mov_b64 s[0:1], -1
                                        ; implicit-def: $sgpr10
	s_and_saveexec_b64 s[8:9], s[30:31]
; %bb.985:                              ;   in Loop: Header=BB267_559 Depth=1
	s_mov_b32 s10, 0x7fc02000
	s_xor_b64 s[0:1], exec, -1
; %bb.986:                              ;   in Loop: Header=BB267_559 Depth=1
	s_or_b64 exec, exec, s[8:9]
	s_and_b64 s[0:1], s[0:1], exec
	s_or_saveexec_b64 s[6:7], s[6:7]
	v_mov_b32_e32 v18, s10
	s_xor_b64 exec, exec, s[6:7]
	s_cbranch_execz .LBB267_722
.LBB267_987:                            ;   in Loop: Header=BB267_559 Depth=1
	v_cmp_ne_u16_sdwa s[8:9], v4, v5 src0_sel:BYTE_0 src1_sel:DWORD
	s_andn2_b64 s[0:1], s[0:1], exec
	s_and_b64 s[8:9], s[8:9], exec
	v_mov_b32_e32 v18, 0
	s_or_b64 s[0:1], s[0:1], s[8:9]
	s_or_b64 exec, exec, s[6:7]
	s_and_saveexec_b64 s[6:7], s[0:1]
	s_cbranch_execnz .LBB267_723
	s_branch .LBB267_724
.LBB267_988:                            ;   in Loop: Header=BB267_559 Depth=1
	v_cmp_eq_u16_e64 s[0:1], s24, v4
	s_mov_b64 s[6:7], -1
                                        ; implicit-def: $sgpr30
	s_and_saveexec_b64 s[10:11], s[0:1]
; %bb.989:                              ;   in Loop: Header=BB267_559 Depth=1
	s_mov_b32 s30, 0x7fc02000
	s_xor_b64 s[6:7], exec, -1
; %bb.990:                              ;   in Loop: Header=BB267_559 Depth=1
	s_or_b64 exec, exec, s[10:11]
	s_and_b64 s[6:7], s[6:7], exec
	s_or_saveexec_b64 s[8:9], s[8:9]
	v_mov_b32_e32 v22, s30
	s_xor_b64 exec, exec, s[8:9]
	s_cbranch_execz .LBB267_726
.LBB267_991:                            ;   in Loop: Header=BB267_559 Depth=1
	v_cmp_ne_u16_e64 s[0:1], 0, v4
	s_andn2_b64 s[6:7], s[6:7], exec
	s_and_b64 s[0:1], s[0:1], exec
	v_mov_b32_e32 v22, 0
	s_or_b64 s[6:7], s[6:7], s[0:1]
	s_or_b64 exec, exec, s[8:9]
	s_and_saveexec_b64 s[8:9], s[6:7]
	s_cbranch_execnz .LBB267_727
	s_branch .LBB267_728
.LBB267_992:                            ;   in Loop: Header=BB267_559 Depth=1
	v_cmp_eq_u16_sdwa s[30:31], v20, s24 src0_sel:BYTE_0 src1_sel:DWORD
	s_mov_b64 s[0:1], -1
                                        ; implicit-def: $sgpr10
	s_and_saveexec_b64 s[8:9], s[30:31]
; %bb.993:                              ;   in Loop: Header=BB267_559 Depth=1
	s_mov_b32 s10, 0x7fc02000
	s_xor_b64 s[0:1], exec, -1
; %bb.994:                              ;   in Loop: Header=BB267_559 Depth=1
	s_or_b64 exec, exec, s[8:9]
	s_and_b64 s[0:1], s[0:1], exec
	s_or_saveexec_b64 s[6:7], s[6:7]
	v_mov_b32_e32 v24, s10
	s_xor_b64 exec, exec, s[6:7]
	s_cbranch_execz .LBB267_732
.LBB267_995:                            ;   in Loop: Header=BB267_559 Depth=1
	v_cmp_ne_u16_sdwa s[8:9], v20, v5 src0_sel:BYTE_0 src1_sel:DWORD
	s_andn2_b64 s[0:1], s[0:1], exec
	s_and_b64 s[8:9], s[8:9], exec
	v_mov_b32_e32 v24, 0
	s_or_b64 s[0:1], s[0:1], s[8:9]
	s_or_b64 exec, exec, s[6:7]
	s_and_saveexec_b64 s[6:7], s[0:1]
	s_cbranch_execnz .LBB267_733
	s_branch .LBB267_734
.LBB267_996:                            ;   in Loop: Header=BB267_559 Depth=1
	v_cmp_eq_u16_e64 s[0:1], s24, v4
	s_mov_b64 s[6:7], -1
                                        ; implicit-def: $sgpr30
	s_and_saveexec_b64 s[10:11], s[0:1]
; %bb.997:                              ;   in Loop: Header=BB267_559 Depth=1
	s_mov_b32 s30, 0x7fc02000
	s_xor_b64 s[6:7], exec, -1
; %bb.998:                              ;   in Loop: Header=BB267_559 Depth=1
	s_or_b64 exec, exec, s[10:11]
	s_and_b64 s[6:7], s[6:7], exec
	s_or_saveexec_b64 s[8:9], s[8:9]
	v_mov_b32_e32 v26, s30
	s_xor_b64 exec, exec, s[8:9]
	s_cbranch_execz .LBB267_736
.LBB267_999:                            ;   in Loop: Header=BB267_559 Depth=1
	v_cmp_ne_u16_e64 s[0:1], 0, v4
	s_andn2_b64 s[6:7], s[6:7], exec
	s_and_b64 s[0:1], s[0:1], exec
	v_mov_b32_e32 v26, 0
	s_or_b64 s[6:7], s[6:7], s[0:1]
	s_or_b64 exec, exec, s[8:9]
	s_and_saveexec_b64 s[8:9], s[6:7]
	s_cbranch_execnz .LBB267_737
	s_branch .LBB267_738
.LBB267_1000:                           ;   in Loop: Header=BB267_559 Depth=1
	v_cmp_eq_u16_sdwa s[30:31], v4, s24 src0_sel:BYTE_0 src1_sel:DWORD
	s_mov_b64 s[0:1], -1
                                        ; implicit-def: $sgpr10
	s_and_saveexec_b64 s[8:9], s[30:31]
; %bb.1001:                             ;   in Loop: Header=BB267_559 Depth=1
	s_mov_b32 s10, 0x7fc02000
	s_xor_b64 s[0:1], exec, -1
; %bb.1002:                             ;   in Loop: Header=BB267_559 Depth=1
	s_or_b64 exec, exec, s[8:9]
	s_and_b64 s[0:1], s[0:1], exec
	s_or_saveexec_b64 s[6:7], s[6:7]
	v_mov_b32_e32 v25, s10
	s_xor_b64 exec, exec, s[6:7]
	s_cbranch_execz .LBB267_740
.LBB267_1003:                           ;   in Loop: Header=BB267_559 Depth=1
	v_cmp_ne_u16_sdwa s[8:9], v4, v5 src0_sel:BYTE_0 src1_sel:DWORD
	s_andn2_b64 s[0:1], s[0:1], exec
	s_and_b64 s[8:9], s[8:9], exec
	v_mov_b32_e32 v25, 0
	s_or_b64 s[0:1], s[0:1], s[8:9]
	s_or_b64 exec, exec, s[6:7]
	s_and_saveexec_b64 s[6:7], s[0:1]
	s_cbranch_execnz .LBB267_741
	s_branch .LBB267_742
.LBB267_1004:                           ;   in Loop: Header=BB267_559 Depth=1
	v_cmp_eq_u16_e64 s[0:1], s24, v4
	s_mov_b64 s[6:7], -1
                                        ; implicit-def: $sgpr30
	s_and_saveexec_b64 s[10:11], s[0:1]
; %bb.1005:                             ;   in Loop: Header=BB267_559 Depth=1
	s_mov_b32 s30, 0x7fc02000
	s_xor_b64 s[6:7], exec, -1
; %bb.1006:                             ;   in Loop: Header=BB267_559 Depth=1
	s_or_b64 exec, exec, s[10:11]
	s_and_b64 s[6:7], s[6:7], exec
	s_or_saveexec_b64 s[8:9], s[8:9]
	v_mov_b32_e32 v27, s30
	s_xor_b64 exec, exec, s[8:9]
	s_cbranch_execz .LBB267_744
.LBB267_1007:                           ;   in Loop: Header=BB267_559 Depth=1
	v_cmp_ne_u16_e64 s[0:1], 0, v4
	s_andn2_b64 s[6:7], s[6:7], exec
	s_and_b64 s[0:1], s[0:1], exec
	v_mov_b32_e32 v27, 0
	s_or_b64 s[6:7], s[6:7], s[0:1]
	s_or_b64 exec, exec, s[8:9]
	s_and_saveexec_b64 s[8:9], s[6:7]
	s_cbranch_execnz .LBB267_745
	s_branch .LBB267_746
.LBB267_1008:                           ;   in Loop: Header=BB267_559 Depth=1
	v_cmp_eq_u16_sdwa s[30:31], v21, s24 src0_sel:BYTE_0 src1_sel:DWORD
	s_mov_b64 s[0:1], -1
                                        ; implicit-def: $sgpr10
	s_and_saveexec_b64 s[8:9], s[30:31]
; %bb.1009:                             ;   in Loop: Header=BB267_559 Depth=1
	s_mov_b32 s10, 0x7fc02000
	s_xor_b64 s[0:1], exec, -1
; %bb.1010:                             ;   in Loop: Header=BB267_559 Depth=1
	s_or_b64 exec, exec, s[8:9]
	s_and_b64 s[0:1], s[0:1], exec
	s_or_saveexec_b64 s[6:7], s[6:7]
	v_mov_b32_e32 v2, s10
	s_xor_b64 exec, exec, s[6:7]
	s_cbranch_execz .LBB267_748
.LBB267_1011:                           ;   in Loop: Header=BB267_559 Depth=1
	v_cmp_ne_u16_sdwa s[8:9], v21, v5 src0_sel:BYTE_0 src1_sel:DWORD
	s_andn2_b64 s[0:1], s[0:1], exec
	s_and_b64 s[8:9], s[8:9], exec
	v_mov_b32_e32 v2, 0
	s_or_b64 s[0:1], s[0:1], s[8:9]
	s_or_b64 exec, exec, s[6:7]
	v_mov_b32_e32 v4, v21
	s_and_saveexec_b64 s[6:7], s[0:1]
	s_cbranch_execnz .LBB267_749
	s_branch .LBB267_750
.LBB267_1012:                           ;   in Loop: Header=BB267_559 Depth=1
	v_cmp_eq_u16_e64 s[0:1], s24, v4
	s_mov_b64 s[6:7], -1
                                        ; implicit-def: $sgpr30
	s_and_saveexec_b64 s[10:11], s[0:1]
; %bb.1013:                             ;   in Loop: Header=BB267_559 Depth=1
	s_mov_b32 s30, 0x7fc02000
	s_xor_b64 s[6:7], exec, -1
; %bb.1014:                             ;   in Loop: Header=BB267_559 Depth=1
	s_or_b64 exec, exec, s[10:11]
	s_and_b64 s[6:7], s[6:7], exec
	s_or_saveexec_b64 s[8:9], s[8:9]
	v_mov_b32_e32 v17, s30
	s_xor_b64 exec, exec, s[8:9]
	s_cbranch_execz .LBB267_752
.LBB267_1015:                           ;   in Loop: Header=BB267_559 Depth=1
	v_cmp_ne_u16_e64 s[0:1], 0, v4
	s_andn2_b64 s[6:7], s[6:7], exec
	s_and_b64 s[0:1], s[0:1], exec
	v_mov_b32_e32 v17, 0
	s_or_b64 s[6:7], s[6:7], s[0:1]
	s_or_b64 exec, exec, s[8:9]
	s_and_saveexec_b64 s[8:9], s[6:7]
	s_cbranch_execnz .LBB267_753
	s_branch .LBB267_754
.LBB267_1016:                           ;   in Loop: Header=BB267_559 Depth=1
	v_cmp_eq_u16_sdwa s[30:31], v4, s24 src0_sel:BYTE_0 src1_sel:DWORD
	s_mov_b64 s[0:1], -1
                                        ; implicit-def: $sgpr10
	s_and_saveexec_b64 s[8:9], s[30:31]
; %bb.1017:                             ;   in Loop: Header=BB267_559 Depth=1
	s_mov_b32 s10, 0x7fc02000
	s_xor_b64 s[0:1], exec, -1
; %bb.1018:                             ;   in Loop: Header=BB267_559 Depth=1
	s_or_b64 exec, exec, s[8:9]
	s_and_b64 s[0:1], s[0:1], exec
	s_or_saveexec_b64 s[6:7], s[6:7]
	v_mov_b32_e32 v20, s10
	s_xor_b64 exec, exec, s[6:7]
	s_cbranch_execz .LBB267_756
.LBB267_1019:                           ;   in Loop: Header=BB267_559 Depth=1
	v_cmp_ne_u16_sdwa s[8:9], v4, v5 src0_sel:BYTE_0 src1_sel:DWORD
	s_andn2_b64 s[0:1], s[0:1], exec
	s_and_b64 s[8:9], s[8:9], exec
	v_mov_b32_e32 v20, 0
	s_or_b64 s[0:1], s[0:1], s[8:9]
	s_or_b64 exec, exec, s[6:7]
	s_and_saveexec_b64 s[6:7], s[0:1]
	s_cbranch_execnz .LBB267_757
	s_branch .LBB267_758
.LBB267_1020:                           ;   in Loop: Header=BB267_559 Depth=1
	v_cmp_eq_u16_e64 s[0:1], s24, v4
	s_mov_b64 s[6:7], -1
                                        ; implicit-def: $sgpr30
	s_and_saveexec_b64 s[10:11], s[0:1]
; %bb.1021:                             ;   in Loop: Header=BB267_559 Depth=1
	s_mov_b32 s30, 0x7fc02000
	s_xor_b64 s[6:7], exec, -1
; %bb.1022:                             ;   in Loop: Header=BB267_559 Depth=1
	s_or_b64 exec, exec, s[10:11]
	s_and_b64 s[6:7], s[6:7], exec
	s_or_saveexec_b64 s[8:9], s[8:9]
	v_mov_b32_e32 v22, s30
	s_xor_b64 exec, exec, s[8:9]
	s_cbranch_execz .LBB267_760
.LBB267_1023:                           ;   in Loop: Header=BB267_559 Depth=1
	v_cmp_ne_u16_e64 s[0:1], 0, v4
	s_andn2_b64 s[6:7], s[6:7], exec
	s_and_b64 s[0:1], s[0:1], exec
	v_mov_b32_e32 v22, 0
	s_or_b64 s[6:7], s[6:7], s[0:1]
	s_or_b64 exec, exec, s[8:9]
	s_and_saveexec_b64 s[8:9], s[6:7]
	s_cbranch_execnz .LBB267_761
	s_branch .LBB267_762
.LBB267_1024:                           ;   in Loop: Header=BB267_559 Depth=1
	v_cmp_eq_u16_sdwa s[30:31], v20, s24 src0_sel:BYTE_0 src1_sel:DWORD
	s_mov_b64 s[0:1], -1
                                        ; implicit-def: $sgpr10
	s_and_saveexec_b64 s[8:9], s[30:31]
; %bb.1025:                             ;   in Loop: Header=BB267_559 Depth=1
	s_mov_b32 s10, 0x7fc02000
	s_xor_b64 s[0:1], exec, -1
; %bb.1026:                             ;   in Loop: Header=BB267_559 Depth=1
	s_or_b64 exec, exec, s[8:9]
	s_and_b64 s[0:1], s[0:1], exec
	s_or_saveexec_b64 s[6:7], s[6:7]
	v_mov_b32_e32 v24, s10
	s_xor_b64 exec, exec, s[6:7]
	s_cbranch_execz .LBB267_766
.LBB267_1027:                           ;   in Loop: Header=BB267_559 Depth=1
	v_cmp_ne_u16_sdwa s[8:9], v20, v5 src0_sel:BYTE_0 src1_sel:DWORD
	s_andn2_b64 s[0:1], s[0:1], exec
	s_and_b64 s[8:9], s[8:9], exec
	v_mov_b32_e32 v24, 0
	s_or_b64 s[0:1], s[0:1], s[8:9]
	s_or_b64 exec, exec, s[6:7]
	s_and_saveexec_b64 s[6:7], s[0:1]
	s_cbranch_execnz .LBB267_767
	s_branch .LBB267_768
.LBB267_1028:                           ;   in Loop: Header=BB267_559 Depth=1
	v_cmp_eq_u16_e64 s[0:1], s24, v4
	s_mov_b64 s[6:7], -1
                                        ; implicit-def: $sgpr30
	s_and_saveexec_b64 s[10:11], s[0:1]
; %bb.1029:                             ;   in Loop: Header=BB267_559 Depth=1
	s_mov_b32 s30, 0x7fc02000
	s_xor_b64 s[6:7], exec, -1
; %bb.1030:                             ;   in Loop: Header=BB267_559 Depth=1
	s_or_b64 exec, exec, s[10:11]
	s_and_b64 s[6:7], s[6:7], exec
	s_or_saveexec_b64 s[8:9], s[8:9]
	v_mov_b32_e32 v26, s30
	s_xor_b64 exec, exec, s[8:9]
	s_cbranch_execz .LBB267_770
.LBB267_1031:                           ;   in Loop: Header=BB267_559 Depth=1
	v_cmp_ne_u16_e64 s[0:1], 0, v4
	s_andn2_b64 s[6:7], s[6:7], exec
	s_and_b64 s[0:1], s[0:1], exec
	v_mov_b32_e32 v26, 0
	s_or_b64 s[6:7], s[6:7], s[0:1]
	s_or_b64 exec, exec, s[8:9]
	s_and_saveexec_b64 s[8:9], s[6:7]
	s_cbranch_execnz .LBB267_771
	s_branch .LBB267_772
.LBB267_1032:                           ;   in Loop: Header=BB267_559 Depth=1
	v_cmp_eq_u16_sdwa s[30:31], v4, s24 src0_sel:BYTE_0 src1_sel:DWORD
	s_mov_b64 s[0:1], -1
                                        ; implicit-def: $sgpr10
	s_and_saveexec_b64 s[8:9], s[30:31]
; %bb.1033:                             ;   in Loop: Header=BB267_559 Depth=1
	s_mov_b32 s10, 0x7fc02000
	s_xor_b64 s[0:1], exec, -1
; %bb.1034:                             ;   in Loop: Header=BB267_559 Depth=1
	s_or_b64 exec, exec, s[8:9]
	s_and_b64 s[0:1], s[0:1], exec
	s_or_saveexec_b64 s[6:7], s[6:7]
	v_mov_b32_e32 v25, s10
	s_xor_b64 exec, exec, s[6:7]
	s_cbranch_execz .LBB267_774
.LBB267_1035:                           ;   in Loop: Header=BB267_559 Depth=1
	v_cmp_ne_u16_sdwa s[8:9], v4, v5 src0_sel:BYTE_0 src1_sel:DWORD
	s_andn2_b64 s[0:1], s[0:1], exec
	s_and_b64 s[8:9], s[8:9], exec
	v_mov_b32_e32 v25, 0
	s_or_b64 s[0:1], s[0:1], s[8:9]
	s_or_b64 exec, exec, s[6:7]
	s_and_saveexec_b64 s[6:7], s[0:1]
	s_cbranch_execnz .LBB267_775
	s_branch .LBB267_776
.LBB267_1036:                           ;   in Loop: Header=BB267_559 Depth=1
	v_cmp_eq_u16_e64 s[0:1], s24, v4
	s_mov_b64 s[6:7], -1
                                        ; implicit-def: $sgpr30
	s_and_saveexec_b64 s[10:11], s[0:1]
; %bb.1037:                             ;   in Loop: Header=BB267_559 Depth=1
	s_mov_b32 s30, 0x7fc02000
	s_xor_b64 s[6:7], exec, -1
; %bb.1038:                             ;   in Loop: Header=BB267_559 Depth=1
	s_or_b64 exec, exec, s[10:11]
	s_and_b64 s[6:7], s[6:7], exec
	s_or_saveexec_b64 s[8:9], s[8:9]
	v_mov_b32_e32 v27, s30
	s_xor_b64 exec, exec, s[8:9]
	s_cbranch_execz .LBB267_778
.LBB267_1039:                           ;   in Loop: Header=BB267_559 Depth=1
	v_cmp_ne_u16_e64 s[0:1], 0, v4
	s_andn2_b64 s[6:7], s[6:7], exec
	s_and_b64 s[0:1], s[0:1], exec
	v_mov_b32_e32 v27, 0
	s_or_b64 s[6:7], s[6:7], s[0:1]
	s_or_b64 exec, exec, s[8:9]
	s_and_saveexec_b64 s[8:9], s[6:7]
	s_cbranch_execnz .LBB267_779
	s_branch .LBB267_780
.LBB267_1040:                           ;   in Loop: Header=BB267_559 Depth=1
	v_cmp_eq_u16_sdwa s[30:31], v21, s24 src0_sel:BYTE_0 src1_sel:DWORD
	s_mov_b64 s[0:1], -1
                                        ; implicit-def: $sgpr10
	s_and_saveexec_b64 s[8:9], s[30:31]
; %bb.1041:                             ;   in Loop: Header=BB267_559 Depth=1
	s_mov_b32 s10, 0x7fc02000
	s_xor_b64 s[0:1], exec, -1
; %bb.1042:                             ;   in Loop: Header=BB267_559 Depth=1
	s_or_b64 exec, exec, s[8:9]
	s_and_b64 s[0:1], s[0:1], exec
	s_or_saveexec_b64 s[6:7], s[6:7]
	v_mov_b32_e32 v17, s10
	s_xor_b64 exec, exec, s[6:7]
	s_cbranch_execz .LBB267_782
.LBB267_1043:                           ;   in Loop: Header=BB267_559 Depth=1
	v_cmp_ne_u16_sdwa s[8:9], v21, v5 src0_sel:BYTE_0 src1_sel:DWORD
	s_andn2_b64 s[0:1], s[0:1], exec
	s_and_b64 s[8:9], s[8:9], exec
	v_mov_b32_e32 v17, 0
	s_or_b64 s[0:1], s[0:1], s[8:9]
	s_or_b64 exec, exec, s[6:7]
	v_mov_b32_e32 v4, v21
	s_and_saveexec_b64 s[6:7], s[0:1]
	s_cbranch_execnz .LBB267_783
	s_branch .LBB267_784
.LBB267_1044:                           ;   in Loop: Header=BB267_559 Depth=1
	v_cmp_eq_u16_e64 s[0:1], s24, v4
	s_mov_b64 s[6:7], -1
                                        ; implicit-def: $sgpr30
	s_and_saveexec_b64 s[10:11], s[0:1]
; %bb.1045:                             ;   in Loop: Header=BB267_559 Depth=1
	s_mov_b32 s30, 0x7fc02000
	s_xor_b64 s[6:7], exec, -1
; %bb.1046:                             ;   in Loop: Header=BB267_559 Depth=1
	s_or_b64 exec, exec, s[10:11]
	s_and_b64 s[6:7], s[6:7], exec
	s_or_saveexec_b64 s[8:9], s[8:9]
	v_mov_b32_e32 v20, s30
	s_xor_b64 exec, exec, s[8:9]
	s_cbranch_execz .LBB267_786
.LBB267_1047:                           ;   in Loop: Header=BB267_559 Depth=1
	v_cmp_ne_u16_e64 s[0:1], 0, v4
	s_andn2_b64 s[6:7], s[6:7], exec
	s_and_b64 s[0:1], s[0:1], exec
	v_mov_b32_e32 v20, 0
	s_or_b64 s[6:7], s[6:7], s[0:1]
	s_or_b64 exec, exec, s[8:9]
	s_and_saveexec_b64 s[8:9], s[6:7]
	s_cbranch_execnz .LBB267_787
	s_branch .LBB267_788
.LBB267_1048:                           ;   in Loop: Header=BB267_559 Depth=1
	v_cmp_eq_u16_sdwa s[30:31], v4, s24 src0_sel:BYTE_0 src1_sel:DWORD
	s_mov_b64 s[0:1], -1
                                        ; implicit-def: $sgpr10
	s_and_saveexec_b64 s[8:9], s[30:31]
; %bb.1049:                             ;   in Loop: Header=BB267_559 Depth=1
	s_mov_b32 s10, 0x7fc02000
	s_xor_b64 s[0:1], exec, -1
; %bb.1050:                             ;   in Loop: Header=BB267_559 Depth=1
	s_or_b64 exec, exec, s[8:9]
	s_and_b64 s[0:1], s[0:1], exec
	s_or_saveexec_b64 s[6:7], s[6:7]
	v_mov_b32_e32 v22, s10
	s_xor_b64 exec, exec, s[6:7]
	s_cbranch_execz .LBB267_790
.LBB267_1051:                           ;   in Loop: Header=BB267_559 Depth=1
	v_cmp_ne_u16_sdwa s[8:9], v4, v5 src0_sel:BYTE_0 src1_sel:DWORD
	s_andn2_b64 s[0:1], s[0:1], exec
	s_and_b64 s[8:9], s[8:9], exec
	v_mov_b32_e32 v22, 0
	s_or_b64 s[0:1], s[0:1], s[8:9]
	s_or_b64 exec, exec, s[6:7]
	s_and_saveexec_b64 s[6:7], s[0:1]
	s_cbranch_execnz .LBB267_791
	s_branch .LBB267_792
.LBB267_1052:                           ;   in Loop: Header=BB267_559 Depth=1
	v_cmp_eq_u16_e64 s[0:1], s24, v4
	s_mov_b64 s[6:7], -1
                                        ; implicit-def: $sgpr30
	s_and_saveexec_b64 s[10:11], s[0:1]
; %bb.1053:                             ;   in Loop: Header=BB267_559 Depth=1
	s_mov_b32 s30, 0x7fc02000
	s_xor_b64 s[6:7], exec, -1
; %bb.1054:                             ;   in Loop: Header=BB267_559 Depth=1
	s_or_b64 exec, exec, s[10:11]
	s_and_b64 s[6:7], s[6:7], exec
	s_or_saveexec_b64 s[8:9], s[8:9]
	v_mov_b32_e32 v23, s30
	s_xor_b64 exec, exec, s[8:9]
	s_cbranch_execz .LBB267_794
.LBB267_1055:                           ;   in Loop: Header=BB267_559 Depth=1
	v_cmp_ne_u16_e64 s[0:1], 0, v4
	s_andn2_b64 s[6:7], s[6:7], exec
	s_and_b64 s[0:1], s[0:1], exec
	v_mov_b32_e32 v23, 0
	s_or_b64 s[6:7], s[6:7], s[0:1]
	s_or_b64 exec, exec, s[8:9]
	s_and_saveexec_b64 s[8:9], s[6:7]
	s_cbranch_execnz .LBB267_795
	s_branch .LBB267_796
.LBB267_1056:                           ;   in Loop: Header=BB267_559 Depth=1
	v_cmp_eq_u16_sdwa s[30:31], v16, s24 src0_sel:BYTE_0 src1_sel:DWORD
	s_mov_b64 s[0:1], -1
                                        ; implicit-def: $sgpr10
	s_and_saveexec_b64 s[8:9], s[30:31]
; %bb.1057:                             ;   in Loop: Header=BB267_559 Depth=1
	s_mov_b32 s10, 0x7fc02000
	s_xor_b64 s[0:1], exec, -1
; %bb.1058:                             ;   in Loop: Header=BB267_559 Depth=1
	s_or_b64 exec, exec, s[8:9]
	s_and_b64 s[0:1], s[0:1], exec
	s_or_saveexec_b64 s[6:7], s[6:7]
	v_mov_b32_e32 v20, s10
	s_xor_b64 exec, exec, s[6:7]
	s_cbranch_execz .LBB267_800
.LBB267_1059:                           ;   in Loop: Header=BB267_559 Depth=1
	v_cmp_ne_u16_sdwa s[8:9], v16, v5 src0_sel:BYTE_0 src1_sel:DWORD
	s_andn2_b64 s[0:1], s[0:1], exec
	s_and_b64 s[8:9], s[8:9], exec
	v_mov_b32_e32 v20, 0
	s_or_b64 s[0:1], s[0:1], s[8:9]
	s_or_b64 exec, exec, s[6:7]
	s_and_saveexec_b64 s[6:7], s[0:1]
	s_cbranch_execnz .LBB267_801
	s_branch .LBB267_802
.LBB267_1060:                           ;   in Loop: Header=BB267_559 Depth=1
	v_cmp_eq_u16_e64 s[0:1], s24, v4
	s_mov_b64 s[6:7], -1
                                        ; implicit-def: $sgpr30
	s_and_saveexec_b64 s[10:11], s[0:1]
; %bb.1061:                             ;   in Loop: Header=BB267_559 Depth=1
	s_mov_b32 s30, 0x7fc02000
	s_xor_b64 s[6:7], exec, -1
; %bb.1062:                             ;   in Loop: Header=BB267_559 Depth=1
	s_or_b64 exec, exec, s[10:11]
	s_and_b64 s[6:7], s[6:7], exec
	s_or_saveexec_b64 s[8:9], s[8:9]
	v_mov_b32_e32 v24, s30
	s_xor_b64 exec, exec, s[8:9]
	s_cbranch_execz .LBB267_804
.LBB267_1063:                           ;   in Loop: Header=BB267_559 Depth=1
	v_cmp_ne_u16_e64 s[0:1], 0, v4
	s_andn2_b64 s[6:7], s[6:7], exec
	s_and_b64 s[0:1], s[0:1], exec
	v_mov_b32_e32 v24, 0
	s_or_b64 s[6:7], s[6:7], s[0:1]
	s_or_b64 exec, exec, s[8:9]
	s_and_saveexec_b64 s[8:9], s[6:7]
	s_cbranch_execnz .LBB267_805
	s_branch .LBB267_806
.LBB267_1064:                           ;   in Loop: Header=BB267_559 Depth=1
	v_cmp_eq_u16_sdwa s[30:31], v4, s24 src0_sel:BYTE_0 src1_sel:DWORD
	s_mov_b64 s[0:1], -1
                                        ; implicit-def: $sgpr10
	s_and_saveexec_b64 s[8:9], s[30:31]
; %bb.1065:                             ;   in Loop: Header=BB267_559 Depth=1
	s_mov_b32 s10, 0x7fc02000
	s_xor_b64 s[0:1], exec, -1
; %bb.1066:                             ;   in Loop: Header=BB267_559 Depth=1
	s_or_b64 exec, exec, s[8:9]
	s_and_b64 s[0:1], s[0:1], exec
	s_or_saveexec_b64 s[6:7], s[6:7]
	v_mov_b32_e32 v21, s10
	s_xor_b64 exec, exec, s[6:7]
	s_cbranch_execz .LBB267_808
.LBB267_1067:                           ;   in Loop: Header=BB267_559 Depth=1
	v_cmp_ne_u16_sdwa s[8:9], v4, v5 src0_sel:BYTE_0 src1_sel:DWORD
	s_andn2_b64 s[0:1], s[0:1], exec
	s_and_b64 s[8:9], s[8:9], exec
	v_mov_b32_e32 v21, 0
	s_or_b64 s[0:1], s[0:1], s[8:9]
	s_or_b64 exec, exec, s[6:7]
	s_and_saveexec_b64 s[6:7], s[0:1]
	s_cbranch_execnz .LBB267_809
	s_branch .LBB267_810
.LBB267_1068:                           ;   in Loop: Header=BB267_559 Depth=1
	v_cmp_eq_u16_e64 s[0:1], s24, v4
	s_mov_b64 s[6:7], -1
                                        ; implicit-def: $sgpr30
	s_and_saveexec_b64 s[10:11], s[0:1]
; %bb.1069:                             ;   in Loop: Header=BB267_559 Depth=1
	s_mov_b32 s30, 0x7fc02000
	s_xor_b64 s[6:7], exec, -1
; %bb.1070:                             ;   in Loop: Header=BB267_559 Depth=1
	s_or_b64 exec, exec, s[10:11]
	s_and_b64 s[6:7], s[6:7], exec
	s_or_saveexec_b64 s[8:9], s[8:9]
	v_mov_b32_e32 v25, s30
	s_xor_b64 exec, exec, s[8:9]
	s_cbranch_execz .LBB267_812
.LBB267_1071:                           ;   in Loop: Header=BB267_559 Depth=1
	v_cmp_ne_u16_e64 s[0:1], 0, v4
	s_andn2_b64 s[6:7], s[6:7], exec
	s_and_b64 s[0:1], s[0:1], exec
	v_mov_b32_e32 v25, 0
	s_or_b64 s[6:7], s[6:7], s[0:1]
	s_or_b64 exec, exec, s[8:9]
	s_and_saveexec_b64 s[8:9], s[6:7]
	s_cbranch_execnz .LBB267_813
	s_branch .LBB267_814
.LBB267_1072:                           ;   in Loop: Header=BB267_559 Depth=1
	v_cmp_eq_u16_sdwa s[30:31], v17, s24 src0_sel:BYTE_0 src1_sel:DWORD
	s_mov_b64 s[0:1], -1
                                        ; implicit-def: $sgpr10
	s_and_saveexec_b64 s[8:9], s[30:31]
; %bb.1073:                             ;   in Loop: Header=BB267_559 Depth=1
	s_mov_b32 s10, 0x7fc02000
	s_xor_b64 s[0:1], exec, -1
; %bb.1074:                             ;   in Loop: Header=BB267_559 Depth=1
	s_or_b64 exec, exec, s[8:9]
	s_and_b64 s[0:1], s[0:1], exec
	s_or_saveexec_b64 s[6:7], s[6:7]
	v_mov_b32_e32 v15, s10
	s_xor_b64 exec, exec, s[6:7]
	s_cbranch_execz .LBB267_816
.LBB267_1075:                           ;   in Loop: Header=BB267_559 Depth=1
	v_cmp_ne_u16_sdwa s[8:9], v17, v5 src0_sel:BYTE_0 src1_sel:DWORD
	s_andn2_b64 s[0:1], s[0:1], exec
	s_and_b64 s[8:9], s[8:9], exec
	v_mov_b32_e32 v15, 0
	s_or_b64 s[0:1], s[0:1], s[8:9]
	s_or_b64 exec, exec, s[6:7]
	v_mov_b32_e32 v4, v17
	s_and_saveexec_b64 s[6:7], s[0:1]
	s_cbranch_execnz .LBB267_817
	s_branch .LBB267_818
.LBB267_1076:                           ;   in Loop: Header=BB267_559 Depth=1
	v_cmp_eq_u16_e64 s[0:1], s24, v4
	s_mov_b64 s[6:7], -1
                                        ; implicit-def: $sgpr30
	s_and_saveexec_b64 s[10:11], s[0:1]
; %bb.1077:                             ;   in Loop: Header=BB267_559 Depth=1
	s_mov_b32 s30, 0x7fc02000
	s_xor_b64 s[6:7], exec, -1
; %bb.1078:                             ;   in Loop: Header=BB267_559 Depth=1
	s_or_b64 exec, exec, s[10:11]
	s_and_b64 s[6:7], s[6:7], exec
	s_or_saveexec_b64 s[8:9], s[8:9]
	v_mov_b32_e32 v16, s30
	s_xor_b64 exec, exec, s[8:9]
	s_cbranch_execz .LBB267_820
.LBB267_1079:                           ;   in Loop: Header=BB267_559 Depth=1
	v_cmp_ne_u16_e64 s[0:1], 0, v4
	s_andn2_b64 s[6:7], s[6:7], exec
	s_and_b64 s[0:1], s[0:1], exec
	v_mov_b32_e32 v16, 0
	s_or_b64 s[6:7], s[6:7], s[0:1]
	s_or_b64 exec, exec, s[8:9]
	s_and_saveexec_b64 s[8:9], s[6:7]
	s_cbranch_execnz .LBB267_821
	s_branch .LBB267_822
.LBB267_1080:                           ;   in Loop: Header=BB267_559 Depth=1
	v_cmp_eq_u16_sdwa s[30:31], v4, s24 src0_sel:BYTE_0 src1_sel:DWORD
	s_mov_b64 s[0:1], -1
                                        ; implicit-def: $sgpr10
	s_and_saveexec_b64 s[8:9], s[30:31]
; %bb.1081:                             ;   in Loop: Header=BB267_559 Depth=1
	s_mov_b32 s10, 0x7fc02000
	s_xor_b64 s[0:1], exec, -1
; %bb.1082:                             ;   in Loop: Header=BB267_559 Depth=1
	s_or_b64 exec, exec, s[8:9]
	s_and_b64 s[0:1], s[0:1], exec
	s_or_saveexec_b64 s[6:7], s[6:7]
	v_mov_b32_e32 v26, s10
	s_xor_b64 exec, exec, s[6:7]
	s_cbranch_execz .LBB267_824
.LBB267_1083:                           ;   in Loop: Header=BB267_559 Depth=1
	v_cmp_ne_u16_sdwa s[8:9], v4, v5 src0_sel:BYTE_0 src1_sel:DWORD
	s_andn2_b64 s[0:1], s[0:1], exec
	s_and_b64 s[8:9], s[8:9], exec
	v_mov_b32_e32 v26, 0
	s_or_b64 s[0:1], s[0:1], s[8:9]
	s_or_b64 exec, exec, s[6:7]
	s_and_saveexec_b64 s[6:7], s[0:1]
	s_cbranch_execnz .LBB267_825
	s_branch .LBB267_826
.LBB267_1084:                           ;   in Loop: Header=BB267_559 Depth=1
	v_cmp_eq_u16_e64 s[0:1], s24, v4
	s_mov_b64 s[6:7], -1
                                        ; implicit-def: $sgpr30
	s_and_saveexec_b64 s[10:11], s[0:1]
; %bb.1085:                             ;   in Loop: Header=BB267_559 Depth=1
	s_mov_b32 s30, 0x7fc02000
	s_xor_b64 s[6:7], exec, -1
; %bb.1086:                             ;   in Loop: Header=BB267_559 Depth=1
	s_or_b64 exec, exec, s[10:11]
	s_and_b64 s[6:7], s[6:7], exec
	s_or_saveexec_b64 s[8:9], s[8:9]
	v_mov_b32_e32 v27, s30
	s_xor_b64 exec, exec, s[8:9]
	s_cbranch_execz .LBB267_828
.LBB267_1087:                           ;   in Loop: Header=BB267_559 Depth=1
	v_cmp_ne_u16_e64 s[0:1], 0, v4
	s_andn2_b64 s[6:7], s[6:7], exec
	s_and_b64 s[0:1], s[0:1], exec
	v_mov_b32_e32 v27, 0
	s_or_b64 s[6:7], s[6:7], s[0:1]
	s_or_b64 exec, exec, s[8:9]
	s_and_saveexec_b64 s[8:9], s[6:7]
	s_cbranch_execnz .LBB267_829
	s_branch .LBB267_830
.LBB267_1088:
	s_or_b64 exec, exec, s[22:23]
	v_accvgpr_read_b32 v20, a15
	v_accvgpr_read_b32 v21, a18
.LBB267_1089:
	s_or_b64 exec, exec, s[2:3]
	ds_bpermute_b32 v0, v51, v28
	ds_bpermute_b32 v1, v51, v29
	;; [unrolled: 1-line block ×8, first 2 shown]
	s_waitcnt lgkmcnt(6)
	v_pk_add_f32 v[0:1], v[28:29], v[0:1]
	ds_bpermute_b32 v4, v52, v0
	ds_bpermute_b32 v5, v52, v1
	s_waitcnt lgkmcnt(6)
	v_pk_add_f32 v[2:3], v[30:31], v[2:3]
	s_waitcnt lgkmcnt(4)
	v_pk_add_f32 v[12:13], v[32:33], v[6:7]
	;; [unrolled: 2-line block ×3, first 2 shown]
	ds_bpermute_b32 v10, v52, v2
	ds_bpermute_b32 v11, v52, v3
	;; [unrolled: 1-line block ×6, first 2 shown]
	s_waitcnt lgkmcnt(6)
	v_pk_add_f32 v[8:9], v[0:1], v[4:5]
	v_accvgpr_read_b32 v0, a2
	v_and_b32_e32 v0, 0x3c3, v0
	s_waitcnt lgkmcnt(4)
	v_pk_add_f32 v[6:7], v[2:3], v[10:11]
	s_waitcnt lgkmcnt(2)
	v_pk_add_f32 v[4:5], v[12:13], v[14:15]
	s_waitcnt lgkmcnt(0)
	v_pk_add_f32 v[2:3], v[16:17], v[18:19]
	v_cmp_eq_u32_e32 vcc, 64, v0
	s_barrier
	s_and_saveexec_b64 s[0:1], vcc
	s_cbranch_execz .LBB267_1091
; %bb.1090:
	s_ashr_i32 s19, s18, 31
	s_lshl_b64 s[2:3], s[18:19], 2
	s_getpc_b64 s[4:5]
	s_add_u32 s4, s4, llvm.amdgcn.dynlds.offset.table@rel32@lo+4
	s_addc_u32 s5, s5, llvm.amdgcn.dynlds.offset.table@rel32@hi+12
	s_add_u32 s2, s2, s4
	s_addc_u32 s3, s3, s5
	s_load_dword s2, s[2:3], 0x0
	s_waitcnt lgkmcnt(0)
	v_add_u32_e32 v1, s2, v20
	ds_write2_b32 v1, v8, v9 offset1:16
	ds_write2_b32 v1, v6, v7 offset0:32 offset1:48
	ds_write2_b32 v1, v4, v5 offset0:64 offset1:80
	;; [unrolled: 1-line block ×3, first 2 shown]
.LBB267_1091:
	s_or_b64 exec, exec, s[0:1]
	v_accvgpr_read_b32 v1, a2
	v_cmp_gt_u32_e32 vcc, 64, v1
	s_waitcnt lgkmcnt(0)
	s_barrier
	s_and_saveexec_b64 s[0:1], vcc
	s_cbranch_execz .LBB267_1102
; %bb.1092:
	v_accvgpr_read_b32 v1, a2
	v_cmp_eq_u32_e32 vcc, 0, v21
	v_lshrrev_b32_e32 v1, 2, v1
	s_and_saveexec_b64 s[2:3], vcc
	s_cbranch_execnz .LBB267_1105
; %bb.1093:
	s_or_b64 exec, exec, s[2:3]
	s_and_saveexec_b64 s[2:3], vcc
	s_cbranch_execnz .LBB267_1106
.LBB267_1094:
	s_or_b64 exec, exec, s[2:3]
	s_and_saveexec_b64 s[2:3], vcc
	s_cbranch_execnz .LBB267_1107
.LBB267_1095:
	s_or_b64 exec, exec, s[2:3]
	s_and_saveexec_b64 s[2:3], vcc
	s_cbranch_execnz .LBB267_1108
.LBB267_1096:
	s_or_b64 exec, exec, s[2:3]
	s_and_saveexec_b64 s[2:3], vcc
	s_cbranch_execnz .LBB267_1109
.LBB267_1097:
	s_or_b64 exec, exec, s[2:3]
	s_and_saveexec_b64 s[2:3], vcc
	s_cbranch_execnz .LBB267_1110
.LBB267_1098:
	s_or_b64 exec, exec, s[2:3]
	s_and_saveexec_b64 s[2:3], vcc
	s_cbranch_execnz .LBB267_1111
.LBB267_1099:
	s_or_b64 exec, exec, s[2:3]
	s_and_saveexec_b64 s[2:3], vcc
	s_cbranch_execz .LBB267_1101
.LBB267_1100:
	s_ashr_i32 s19, s18, 31
	s_lshl_b64 s[4:5], s[18:19], 2
	s_getpc_b64 s[6:7]
	s_add_u32 s6, s6, llvm.amdgcn.dynlds.offset.table@rel32@lo+4
	s_addc_u32 s7, s7, llvm.amdgcn.dynlds.offset.table@rel32@hi+12
	s_add_u32 s4, s4, s6
	s_addc_u32 s5, s5, s7
	s_load_dword s4, s[4:5], 0x0
	s_waitcnt lgkmcnt(0)
	v_lshl_add_u32 v1, v1, 2, s4
	ds_read_b32 v1, v1 offset:448
	s_waitcnt lgkmcnt(0)
	v_add_f32_e32 v3, v3, v1
.LBB267_1101:
	s_or_b64 exec, exec, s[2:3]
.LBB267_1102:
	s_or_b64 exec, exec, s[0:1]
	v_cmp_eq_u32_e32 vcc, 0, v0
	s_barrier
	s_and_saveexec_b64 s[0:1], vcc
	s_cbranch_execz .LBB267_1104
; %bb.1103:
	v_cmp_ne_u16_e64 s[2:3], s21, 0
	s_cmp_lg_u64 s[2:3], 0
	s_addc_u32 s4, s17, 0
	s_mul_i32 s2, s16, s4
	s_mul_i32 s2, s2, s15
	s_lshl_b32 s2, s2, 7
	s_mul_i32 s4, s20, s4
	s_lshl_b32 s6, s14, 7
	s_ashr_i32 s3, s2, 31
	s_ashr_i32 s5, s4, 31
	s_ashr_i32 s7, s6, 31
	s_lshl_b64 s[2:3], s[2:3], 1
	s_lshl_b64 s[4:5], s[4:5], 1
	;; [unrolled: 1-line block ×3, first 2 shown]
	s_add_u32 s4, s6, s4
	s_addc_u32 s5, s7, s5
	s_add_u32 s2, s4, s2
	v_accvgpr_read_b32 v0, a0
	s_addc_u32 s3, s5, s3
	v_accvgpr_read_b32 v1, a1
	v_accvgpr_read_b32 v10, a2
	v_lshl_add_u64 v[0:1], s[2:3], 0, v[0:1]
	v_lshrrev_b32_e32 v10, 1, v10
	v_mov_b32_e32 v11, 0
	v_lshl_add_u64 v[0:1], v[0:1], 0, v[10:11]
	;;#ASMSTART
	v_cvt_f16_f32 v8, v8;

	;;#ASMEND
	flat_store_short v[0:1], v8
	;;#ASMSTART
	v_cvt_f16_f32 v8, v9;

	;;#ASMEND
	flat_store_short v[0:1], v8 offset:32
	;;#ASMSTART
	v_cvt_f16_f32 v6, v6;

	;;#ASMEND
	flat_store_short v[0:1], v6 offset:64
	;; [unrolled: 5-line block ×7, first 2 shown]
.LBB267_1104:
	s_or_b64 exec, exec, s[0:1]
	scratch_load_dword a58, off, s32        ; 4-byte Folded Reload
	scratch_load_dword a57, off, s32 offset:4 ; 4-byte Folded Reload
	scratch_load_dword a56, off, s32 offset:8 ; 4-byte Folded Reload
	;; [unrolled: 1-line block ×41, first 2 shown]
	v_readlane_b32 s30, v63, 0
	v_readlane_b32 s31, v63, 1
	s_or_saveexec_b64 s[0:1], -1
	scratch_load_dword v63, off, s32 offset:192 ; 4-byte Folded Reload
	s_mov_b64 exec, s[0:1]
	s_waitcnt vmcnt(0) lgkmcnt(0)
	s_setpc_b64 s[30:31]
.LBB267_1105:
	s_ashr_i32 s19, s18, 31
	s_lshl_b64 s[4:5], s[18:19], 2
	s_getpc_b64 s[6:7]
	s_add_u32 s6, s6, llvm.amdgcn.dynlds.offset.table@rel32@lo+4
	s_addc_u32 s7, s7, llvm.amdgcn.dynlds.offset.table@rel32@hi+12
	s_add_u32 s4, s4, s6
	s_addc_u32 s5, s5, s7
	s_load_dword s4, s[4:5], 0x0
	s_waitcnt lgkmcnt(0)
	v_lshl_add_u32 v10, v1, 2, s4
	ds_read_b32 v10, v10
	s_waitcnt lgkmcnt(0)
	v_add_f32_e32 v8, v8, v10
	s_or_b64 exec, exec, s[2:3]
	s_and_saveexec_b64 s[2:3], vcc
	s_cbranch_execz .LBB267_1094
.LBB267_1106:
	s_ashr_i32 s19, s18, 31
	s_lshl_b64 s[4:5], s[18:19], 2
	s_getpc_b64 s[6:7]
	s_add_u32 s6, s6, llvm.amdgcn.dynlds.offset.table@rel32@lo+4
	s_addc_u32 s7, s7, llvm.amdgcn.dynlds.offset.table@rel32@hi+12
	s_add_u32 s4, s4, s6
	s_addc_u32 s5, s5, s7
	s_load_dword s4, s[4:5], 0x0
	s_waitcnt lgkmcnt(0)
	v_lshl_add_u32 v10, v1, 2, s4
	ds_read_b32 v10, v10 offset:64
	s_waitcnt lgkmcnt(0)
	v_add_f32_e32 v9, v9, v10
	s_or_b64 exec, exec, s[2:3]
	s_and_saveexec_b64 s[2:3], vcc
	s_cbranch_execz .LBB267_1095
.LBB267_1107:
	s_ashr_i32 s19, s18, 31
	s_lshl_b64 s[4:5], s[18:19], 2
	s_getpc_b64 s[6:7]
	s_add_u32 s6, s6, llvm.amdgcn.dynlds.offset.table@rel32@lo+4
	s_addc_u32 s7, s7, llvm.amdgcn.dynlds.offset.table@rel32@hi+12
	s_add_u32 s4, s4, s6
	s_addc_u32 s5, s5, s7
	s_load_dword s4, s[4:5], 0x0
	s_waitcnt lgkmcnt(0)
	v_lshl_add_u32 v10, v1, 2, s4
	ds_read_b32 v10, v10 offset:128
	s_waitcnt lgkmcnt(0)
	v_add_f32_e32 v6, v6, v10
	s_or_b64 exec, exec, s[2:3]
	s_and_saveexec_b64 s[2:3], vcc
	s_cbranch_execz .LBB267_1096
.LBB267_1108:
	s_ashr_i32 s19, s18, 31
	s_lshl_b64 s[4:5], s[18:19], 2
	s_getpc_b64 s[6:7]
	s_add_u32 s6, s6, llvm.amdgcn.dynlds.offset.table@rel32@lo+4
	s_addc_u32 s7, s7, llvm.amdgcn.dynlds.offset.table@rel32@hi+12
	s_add_u32 s4, s4, s6
	s_addc_u32 s5, s5, s7
	s_load_dword s4, s[4:5], 0x0
	s_waitcnt lgkmcnt(0)
	v_lshl_add_u32 v10, v1, 2, s4
	ds_read_b32 v10, v10 offset:192
	s_waitcnt lgkmcnt(0)
	v_add_f32_e32 v7, v7, v10
	s_or_b64 exec, exec, s[2:3]
	s_and_saveexec_b64 s[2:3], vcc
	s_cbranch_execz .LBB267_1097
.LBB267_1109:
	s_ashr_i32 s19, s18, 31
	s_lshl_b64 s[4:5], s[18:19], 2
	s_getpc_b64 s[6:7]
	s_add_u32 s6, s6, llvm.amdgcn.dynlds.offset.table@rel32@lo+4
	s_addc_u32 s7, s7, llvm.amdgcn.dynlds.offset.table@rel32@hi+12
	s_add_u32 s4, s4, s6
	s_addc_u32 s5, s5, s7
	s_load_dword s4, s[4:5], 0x0
	s_waitcnt lgkmcnt(0)
	v_lshl_add_u32 v10, v1, 2, s4
	ds_read_b32 v10, v10 offset:256
	s_waitcnt lgkmcnt(0)
	v_add_f32_e32 v4, v4, v10
	s_or_b64 exec, exec, s[2:3]
	s_and_saveexec_b64 s[2:3], vcc
	s_cbranch_execz .LBB267_1098
.LBB267_1110:
	s_ashr_i32 s19, s18, 31
	s_lshl_b64 s[4:5], s[18:19], 2
	s_getpc_b64 s[6:7]
	s_add_u32 s6, s6, llvm.amdgcn.dynlds.offset.table@rel32@lo+4
	s_addc_u32 s7, s7, llvm.amdgcn.dynlds.offset.table@rel32@hi+12
	s_add_u32 s4, s4, s6
	s_addc_u32 s5, s5, s7
	s_load_dword s4, s[4:5], 0x0
	s_waitcnt lgkmcnt(0)
	v_lshl_add_u32 v10, v1, 2, s4
	ds_read_b32 v10, v10 offset:320
	s_waitcnt lgkmcnt(0)
	v_add_f32_e32 v5, v5, v10
	s_or_b64 exec, exec, s[2:3]
	s_and_saveexec_b64 s[2:3], vcc
	s_cbranch_execz .LBB267_1099
.LBB267_1111:
	s_ashr_i32 s19, s18, 31
	s_lshl_b64 s[4:5], s[18:19], 2
	s_getpc_b64 s[6:7]
	s_add_u32 s6, s6, llvm.amdgcn.dynlds.offset.table@rel32@lo+4
	s_addc_u32 s7, s7, llvm.amdgcn.dynlds.offset.table@rel32@hi+12
	s_add_u32 s4, s4, s6
	s_addc_u32 s5, s5, s7
	s_load_dword s4, s[4:5], 0x0
	s_waitcnt lgkmcnt(0)
	v_lshl_add_u32 v10, v1, 2, s4
	ds_read_b32 v10, v10 offset:384
	s_waitcnt lgkmcnt(0)
	v_add_f32_e32 v2, v2, v10
	s_or_b64 exec, exec, s[2:3]
	s_and_saveexec_b64 s[2:3], vcc
	s_cbranch_execnz .LBB267_1100
	s_branch .LBB267_1101
.Lfunc_end267:
	.size	_ZN4vllm22paged_attention_kernelIthLi128ELi32ELi128ELNS_18Fp8KVCacheDataTypeE1ELb1ELi0EEEvPfS2_PT_PKS3_PKT0_S9_ifPKiSB_iPKfiiiSD_SD_iiiii, .Lfunc_end267-_ZN4vllm22paged_attention_kernelIthLi128ELi32ELi128ELNS_18Fp8KVCacheDataTypeE1ELb1ELi0EEEvPfS2_PT_PKS3_PKT0_S9_ifPKiSB_iPKfiiiSD_SD_iiiii
                                        ; -- End function
	.section	.AMDGPU.csdata,"",@progbits
; Function info:
; codeLenInByte = 46988
; NumSgprs: 39
; NumVgprs: 64
; NumAgprs: 59
; TotalNumVgprs: 123
; ScratchSize: 200
; MemoryBound: 0
	.section	.text._ZN4vllm25paged_attention_v1_kernelIthLi128ELi32ELi128ELNS_18Fp8KVCacheDataTypeE1ELb1EEEvPT_PKS2_PKT0_S8_ifPKiSA_iPKfiiiSC_SC_iiiii,"axG",@progbits,_ZN4vllm25paged_attention_v1_kernelIthLi128ELi32ELi128ELNS_18Fp8KVCacheDataTypeE1ELb1EEEvPT_PKS2_PKT0_S8_ifPKiSA_iPKfiiiSC_SC_iiiii,comdat
	.protected	_ZN4vllm25paged_attention_v1_kernelIthLi128ELi32ELi128ELNS_18Fp8KVCacheDataTypeE1ELb1EEEvPT_PKS2_PKT0_S8_ifPKiSA_iPKfiiiSC_SC_iiiii ; -- Begin function _ZN4vllm25paged_attention_v1_kernelIthLi128ELi32ELi128ELNS_18Fp8KVCacheDataTypeE1ELb1EEEvPT_PKS2_PKT0_S8_ifPKiSA_iPKfiiiSC_SC_iiiii
	.globl	_ZN4vllm25paged_attention_v1_kernelIthLi128ELi32ELi128ELNS_18Fp8KVCacheDataTypeE1ELb1EEEvPT_PKS2_PKT0_S8_ifPKiSA_iPKfiiiSC_SC_iiiii
	.p2align	8
	.type	_ZN4vllm25paged_attention_v1_kernelIthLi128ELi32ELi128ELNS_18Fp8KVCacheDataTypeE1ELb1EEEvPT_PKS2_PKT0_S8_ifPKiSA_iPKfiiiSC_SC_iiiii,@function
_ZN4vllm25paged_attention_v1_kernelIthLi128ELi32ELi128ELNS_18Fp8KVCacheDataTypeE1ELb1EEEvPT_PKS2_PKT0_S8_ifPKiSA_iPKfiiiSC_SC_iiiii: ; @_ZN4vllm25paged_attention_v1_kernelIthLi128ELi32ELi128ELNS_18Fp8KVCacheDataTypeE1ELb1EEEvPT_PKS2_PKT0_S8_ifPKiSA_iPKfiiiSC_SC_iiiii
; %bb.0:
	s_load_dwordx8 s[16:23], s[0:1], 0x0
	s_load_dwordx4 s[36:39], s[0:1], 0x20
	s_load_dwordx2 s[6:7], s[0:1], 0x30
	s_load_dword s5, s[0:1], 0x38
	s_load_dwordx2 s[10:11], s[0:1], 0x40
	s_load_dwordx8 s[24:31], s[0:1], 0x48
	s_waitcnt lgkmcnt(0)
	s_load_dword s27, s[0:1], 0x78
	s_load_dwordx4 s[40:43], s[0:1], 0x68
	s_add_u32 s8, s0, 0x80
	s_addc_u32 s9, s1, 0
	s_mov_b32 s12, s2
	s_mov_b32 s13, s3
	s_mov_b32 s14, s4
	s_mov_b32 s15, 19
	v_mov_b32_e32 v31, v0
	v_mov_b32_e32 v0, s16
	;; [unrolled: 1-line block ×25, first 2 shown]
	s_waitcnt lgkmcnt(0)
	v_mov_b32_e32 v24, s40
	v_mov_b32_e32 v25, s41
	;; [unrolled: 1-line block ×5, first 2 shown]
	s_mov_b32 s32, 0
	s_getpc_b64 s[0:1]
	s_add_u32 s0, s0, _ZN4vllm22paged_attention_kernelIthLi128ELi32ELi128ELNS_18Fp8KVCacheDataTypeE1ELb1ELi0EEEvPfS2_PT_PKS3_PKT0_S9_ifPKiSB_iPKfiiiSD_SD_iiiii@rel32@lo+4
	s_addc_u32 s1, s1, _ZN4vllm22paged_attention_kernelIthLi128ELi32ELi128ELNS_18Fp8KVCacheDataTypeE1ELb1ELi0EEEvPfS2_PT_PKS3_PKT0_S9_ifPKiSB_iPKfiiiSD_SD_iiiii@rel32@hi+12
	s_swappc_b64 s[30:31], s[0:1]
	s_endpgm
	.section	.rodata,"a",@progbits
	.p2align	6, 0x0
	.amdhsa_kernel _ZN4vllm25paged_attention_v1_kernelIthLi128ELi32ELi128ELNS_18Fp8KVCacheDataTypeE1ELb1EEEvPT_PKS2_PKT0_S8_ifPKiSA_iPKfiiiSC_SC_iiiii
		.amdhsa_group_segment_fixed_size 272
		.amdhsa_private_segment_fixed_size 200
		.amdhsa_kernarg_size 384
		.amdhsa_user_sgpr_count 2
		.amdhsa_user_sgpr_dispatch_ptr 0
		.amdhsa_user_sgpr_queue_ptr 0
		.amdhsa_user_sgpr_kernarg_segment_ptr 1
		.amdhsa_user_sgpr_dispatch_id 0
		.amdhsa_user_sgpr_kernarg_preload_length 0
		.amdhsa_user_sgpr_kernarg_preload_offset 0
		.amdhsa_user_sgpr_private_segment_size 0
		.amdhsa_uses_dynamic_stack 0
		.amdhsa_enable_private_segment 1
		.amdhsa_system_sgpr_workgroup_id_x 1
		.amdhsa_system_sgpr_workgroup_id_y 1
		.amdhsa_system_sgpr_workgroup_id_z 1
		.amdhsa_system_sgpr_workgroup_info 0
		.amdhsa_system_vgpr_workitem_id 0
		.amdhsa_next_free_vgpr 123
		.amdhsa_next_free_sgpr 44
		.amdhsa_accum_offset 64
		.amdhsa_reserve_vcc 1
		.amdhsa_float_round_mode_32 0
		.amdhsa_float_round_mode_16_64 0
		.amdhsa_float_denorm_mode_32 3
		.amdhsa_float_denorm_mode_16_64 3
		.amdhsa_dx10_clamp 1
		.amdhsa_ieee_mode 1
		.amdhsa_fp16_overflow 0
		.amdhsa_tg_split 0
		.amdhsa_exception_fp_ieee_invalid_op 0
		.amdhsa_exception_fp_denorm_src 0
		.amdhsa_exception_fp_ieee_div_zero 0
		.amdhsa_exception_fp_ieee_overflow 0
		.amdhsa_exception_fp_ieee_underflow 0
		.amdhsa_exception_fp_ieee_inexact 0
		.amdhsa_exception_int_div_zero 0
	.end_amdhsa_kernel
	.section	.text._ZN4vllm25paged_attention_v1_kernelIthLi128ELi32ELi128ELNS_18Fp8KVCacheDataTypeE1ELb1EEEvPT_PKS2_PKT0_S8_ifPKiSA_iPKfiiiSC_SC_iiiii,"axG",@progbits,_ZN4vllm25paged_attention_v1_kernelIthLi128ELi32ELi128ELNS_18Fp8KVCacheDataTypeE1ELb1EEEvPT_PKS2_PKT0_S8_ifPKiSA_iPKfiiiSC_SC_iiiii,comdat
.Lfunc_end268:
	.size	_ZN4vllm25paged_attention_v1_kernelIthLi128ELi32ELi128ELNS_18Fp8KVCacheDataTypeE1ELb1EEEvPT_PKS2_PKT0_S8_ifPKiSA_iPKfiiiSC_SC_iiiii, .Lfunc_end268-_ZN4vllm25paged_attention_v1_kernelIthLi128ELi32ELi128ELNS_18Fp8KVCacheDataTypeE1ELb1EEEvPT_PKS2_PKT0_S8_ifPKiSA_iPKfiiiSC_SC_iiiii
                                        ; -- End function
	.section	.AMDGPU.csdata,"",@progbits
; Kernel info:
; codeLenInByte = 252
; NumSgprs: 50
; NumVgprs: 64
; NumAgprs: 59
; TotalNumVgprs: 123
; ScratchSize: 200
; MemoryBound: 0
; FloatMode: 240
; IeeeMode: 1
; LDSByteSize: 272 bytes/workgroup (compile time only)
; SGPRBlocks: 6
; VGPRBlocks: 15
; NumSGPRsForWavesPerEU: 50
; NumVGPRsForWavesPerEU: 123
; AccumOffset: 64
; Occupancy: 4
; WaveLimiterHint : 1
; COMPUTE_PGM_RSRC2:SCRATCH_EN: 1
; COMPUTE_PGM_RSRC2:USER_SGPR: 2
; COMPUTE_PGM_RSRC2:TRAP_HANDLER: 0
; COMPUTE_PGM_RSRC2:TGID_X_EN: 1
; COMPUTE_PGM_RSRC2:TGID_Y_EN: 1
; COMPUTE_PGM_RSRC2:TGID_Z_EN: 1
; COMPUTE_PGM_RSRC2:TIDIG_COMP_CNT: 0
; COMPUTE_PGM_RSRC3_GFX90A:ACCUM_OFFSET: 15
; COMPUTE_PGM_RSRC3_GFX90A:TG_SPLIT: 0
	.text
	.p2align	2                               ; -- Begin function _ZN4vllm22paged_attention_kernelIthLi192ELi32ELi128ELNS_18Fp8KVCacheDataTypeE1ELb1ELi0EEEvPfS2_PT_PKS3_PKT0_S9_ifPKiSB_iPKfiiiSD_SD_iiiii
	.type	_ZN4vllm22paged_attention_kernelIthLi192ELi32ELi128ELNS_18Fp8KVCacheDataTypeE1ELb1ELi0EEEvPfS2_PT_PKS3_PKT0_S9_ifPKiSB_iPKfiiiSD_SD_iiiii,@function
_ZN4vllm22paged_attention_kernelIthLi192ELi32ELi128ELNS_18Fp8KVCacheDataTypeE1ELb1ELi0EEEvPfS2_PT_PKS3_PKT0_S9_ifPKiSB_iPKfiiiSD_SD_iiiii: ; @_ZN4vllm22paged_attention_kernelIthLi192ELi32ELi128ELNS_18Fp8KVCacheDataTypeE1ELb1ELi0EEEvPfS2_PT_PKS3_PKT0_S9_ifPKiSB_iPKfiiiSD_SD_iiiii
; %bb.0:
	s_waitcnt vmcnt(0) expcnt(0) lgkmcnt(0)
	s_or_saveexec_b64 s[0:1], -1
	scratch_store_dword off, v63, s32 offset:472 ; 4-byte Folded Spill
	s_mov_b64 exec, s[0:1]
	scratch_store_dword off, v40, s32 offset:184 ; 4-byte Folded Spill
	scratch_store_dword off, v41, s32 offset:180 ; 4-byte Folded Spill
	;; [unrolled: 1-line block ×46, first 2 shown]
	scratch_store_dword off, a63, s32       ; 4-byte Folded Spill
	v_writelane_b32 v63, s34, 0
	v_writelane_b32 v63, s35, 1
	;; [unrolled: 1-line block ×9, first 2 shown]
	s_nop 1
	v_writelane_b32 v63, s31, 9
	s_mov_b32 s10, s13
	s_ashr_i32 s11, s13, 31
	scratch_store_dwordx2 off, v[20:21], s32 offset:360 ; 8-byte Folded Spill
	scratch_store_dwordx2 off, v[18:19], s32 offset:328 ; 8-byte Folded Spill
	;; [unrolled: 1-line block ×3, first 2 shown]
	v_lshl_add_u64 v[0:1], s[10:11], 2, v[12:13]
	flat_load_dword a8, v[0:1]
	v_sub_u32_e32 v0, 0, v8
	v_max_i32_e32 v0, v8, v0
	v_cvt_f32_u32_e32 v1, v0
	scratch_store_dword off, v9, s32 offset:396 ; 4-byte Folded Spill
	s_load_dword s0, s[8:9], 0x10
	s_load_dword s2, s[8:9], 0x0
	v_mov_b32_e32 v37, v7
	v_rcp_iflag_f32_e32 v1, v1
	v_sub_u32_e32 v7, 0, v0
	s_waitcnt lgkmcnt(0)
	s_lshr_b32 s0, s0, 16
	s_cmp_lg_u32 s0, 0
	v_mul_f32_e32 v1, 0x4f7ffffe, v1
	v_cvt_u32_f32_e32 v1, v1
	s_cselect_b64 s[0:1], -1, 0
	s_cmp_lg_u64 s[0:1], 0
	s_addc_u32 s11, s2, 0
	v_mul_lo_u32 v7, v7, v1
	v_mul_hi_u32 v7, v1, v7
	s_abs_i32 s0, s11
	v_add_u32_e32 v1, v1, v7
	v_mul_hi_u32 v1, s0, v1
	v_mul_lo_u32 v7, v1, v0
	v_sub_u32_e32 v7, s0, v7
	v_add_u32_e32 v9, 1, v1
	v_cmp_ge_u32_e32 vcc, v7, v0
	v_mov_b32_e32 v36, v6
	v_xor_b32_e32 v6, s11, v8
	v_cndmask_b32_e32 v1, v1, v9, vcc
	v_sub_u32_e32 v9, v7, v0
	v_cndmask_b32_e32 v7, v7, v9, vcc
	v_add_u32_e32 v9, 1, v1
	v_cmp_ge_u32_e32 vcc, v7, v0
	v_ashrrev_i32_e32 v6, 31, v6
	v_mov_b32_e32 v33, v16
	v_cndmask_b32_e32 v0, v1, v9, vcc
	v_xor_b32_e32 v0, v0, v6
	v_sub_u32_e32 v0, v0, v6
	v_sub_u32_e32 v1, 0, v0
	v_max_i32_e32 v1, v0, v1
	v_cvt_f32_u32_e32 v6, v1
	v_sub_u32_e32 v7, 0, v1
	v_mov_b32_e32 v32, v15
	v_accvgpr_write_b32 a4, v22
	v_rcp_iflag_f32_e32 v6, v6
	s_abs_i32 s2, s12
	v_accvgpr_write_b32 a5, v23
	v_mov_b32_e32 v23, v11
	v_mul_f32_e32 v6, 0x4f7ffffe, v6
	v_cvt_u32_f32_e32 v6, v6
	v_mov_b32_e32 v22, v10
	s_mov_b32 s16, s15
	v_cmp_ne_u64_e32 vcc, 0, v[32:33]
	v_mul_lo_u32 v7, v7, v6
	v_mul_hi_u32 v7, v6, v7
	v_add_u32_e32 v6, v6, v7
	v_mad_u64_u32 v[34:35], s[0:1], s2, v6, 0
	v_mov_b32_e32 v6, 0
	scratch_store_dword off, v6, s32 offset:392 ; 4-byte Folded Spill
	s_and_saveexec_b64 s[0:1], vcc
	s_cbranch_execz .LBB269_2
; %bb.1:
	s_ashr_i32 s13, s12, 31
	v_lshl_add_u64 v[6:7], s[12:13], 2, v[32:33]
	flat_load_dword v6, v[6:7]
	s_waitcnt vmcnt(0) lgkmcnt(0)
	scratch_store_dword off, v6, s32 offset:392 ; 4-byte Folded Spill
.LBB269_2:
	s_or_b64 exec, exec, s[0:1]
	v_and_b32_e32 v7, 0x3ff, v31
	s_ashr_i32 s3, s12, 31
	v_ashrrev_i32_e32 v6, 31, v0
	v_and_b32_e32 v0, 1, v7
	s_movk_i32 s4, 0xc0
	s_mul_i32 s18, s12, 0xc0
	v_cmp_gt_u32_e32 vcc, 48, v7
	v_lshlrev_b32_e32 v16, 3, v7
	scratch_store_dword off, v7, s32 offset:352 ; 4-byte Folded Spill
	s_and_saveexec_b64 s[0:1], vcc
	s_cbranch_execz .LBB269_4
; %bb.3:
	v_mul_lo_u32 v10, s10, v17
	v_ashrrev_i32_e32 v11, 31, v10
	v_lshl_add_u64 v[2:3], v[10:11], 1, v[2:3]
	s_ashr_i32 s19, s18, 31
	v_lshl_add_u64 v[2:3], s[18:19], 1, v[2:3]
	v_mov_b32_e32 v17, 0
	v_lshl_add_u64 v[2:3], v[2:3], 0, v[16:17]
	flat_load_dwordx2 v[2:3], v[2:3]
	s_nop 0
	scratch_load_dword v7, off, s32 offset:352 ; 4-byte Folded Reload
	s_waitcnt vmcnt(0)
	v_lshlrev_b32_e32 v7, 2, v7
	v_and_b32_e32 v7, 0xff8, v7
	v_mad_u32_u24 v7, v0, s4, v7
	s_waitcnt lgkmcnt(0)
	ds_write_b64 v7, v[2:3]
.LBB269_4:
	s_or_b64 exec, exec, s[0:1]
	v_mul_lo_u32 v3, v35, v1
	v_sub_u32_e32 v3, s2, v3
	v_xor_b32_e32 v2, s3, v6
	v_add_u32_e32 v6, 1, v35
	v_cmp_ge_u32_e32 vcc, v3, v1
	v_sub_u32_e32 v7, v3, v1
	s_waitcnt lgkmcnt(0)
	v_cndmask_b32_e32 v6, v35, v6, vcc
	v_cndmask_b32_e32 v3, v3, v7, vcc
	v_add_u32_e32 v7, 1, v6
	v_cmp_ge_u32_e32 vcc, v3, v1
	v_sub_u32_e32 v3, 0, v27
	s_barrier
	v_cndmask_b32_e32 v1, v6, v7, vcc
	v_max_i32_e32 v6, v27, v3
	v_cvt_f32_u32_e32 v3, v6
	v_xor_b32_e32 v1, v1, v2
	v_sub_u32_e32 v30, v1, v2
	v_rcp_iflag_f32_e32 v1, v3
	s_waitcnt vmcnt(0)
	v_accvgpr_read_b32 v2, a8
	scratch_store_dword off, v6, s32 offset:192 ; 4-byte Folded Spill
	v_sub_u32_e32 v6, 0, v6
	v_mul_f32_e32 v1, 0x4f7ffffe, v1
	v_cvt_u32_f32_e32 v3, v1
	v_add_u32_e32 v2, -1, v2
	v_sub_u32_e32 v1, 0, v2
	v_max_i32_e32 v1, v2, v1
	v_mul_lo_u32 v6, v6, v3
	v_mul_hi_u32 v6, v3, v6
	v_add_u32_e32 v3, v3, v6
	v_mad_u64_u32 v[32:33], s[0:1], v1, v3, 0
	v_cmp_gt_i32_e32 vcc, 0, v28
	scratch_store_dword off, v3, s32 offset:208 ; 4-byte Folded Spill
                                        ; implicit-def: $vgpr6
	scratch_store_dwordx2 off, v[6:7], s32 offset:200 ; 8-byte Folded Spill
	s_and_saveexec_b64 s[0:1], vcc
	s_xor_b64 s[0:1], exec, s[0:1]
	s_cbranch_execz .LBB269_6
; %bb.5:
	v_mad_u64_u32 v[6:7], s[2:3], v24, v8, v[30:31]
	v_mul_lo_u32 v3, v6, v28
	v_sub_u32_e32 v6, 1, v3
	scratch_store_dwordx2 off, v[6:7], s32 offset:200 ; 8-byte Folded Spill
                                        ; implicit-def: $vgpr24
                                        ; implicit-def: $vgpr28
.LBB269_6:
	s_or_saveexec_b64 s[0:1], s[0:1]
	v_ashrrev_i32_e32 v2, 31, v2
	v_ashrrev_i32_e32 v3, 31, v27
	scratch_store_dword off, v3, s32 offset:196 ; 4-byte Folded Spill
	s_xor_b64 exec, exec, s[0:1]
	s_cbranch_execz .LBB269_8
; %bb.7:
	v_mul_lo_u32 v3, s11, v24
	v_add_u32_e32 v3, s12, v3
	v_mad_u64_u32 v[6:7], s[2:3], v3, v28, 1
	scratch_store_dwordx2 off, v[6:7], s32 offset:200 ; 8-byte Folded Spill
.LBB269_8:
	s_or_b64 exec, exec, s[0:1]
	s_load_dword s19, s[8:9], 0x14
	s_load_dword s15, s[8:9], 0x8
	scratch_load_dword v3, off, s32 offset:196 ; 4-byte Folded Reload
	scratch_load_dword v7, off, s32 offset:192 ; 4-byte Folded Reload
	v_mul_lo_u32 v38, s10, v14
	v_mul_lo_u32 v24, v30, v19
	v_ashrrev_i32_e32 v39, 31, v38
	v_sub_u32_e32 v18, 0, v26
	s_waitcnt vmcnt(1)
	v_xor_b32_e32 v2, v2, v3
	s_waitcnt vmcnt(0)
	v_mul_lo_u32 v3, v33, v7
	v_sub_u32_e32 v1, v1, v3
	v_add_u32_e32 v3, 1, v33
	v_cmp_ge_u32_e32 vcc, v1, v7
	v_sub_u32_e32 v6, v1, v7
	s_nop 0
	v_cndmask_b32_e32 v3, v33, v3, vcc
	v_cndmask_b32_e32 v1, v1, v6, vcc
	v_add_u32_e32 v6, 1, v3
	v_cmp_ge_u32_e32 vcc, v1, v7
	s_nop 1
	v_cndmask_b32_e32 v1, v3, v6, vcc
	v_xor_b32_e32 v1, v1, v2
	v_sub_u32_e32 v1, v1, v2
	v_accvgpr_read_b32 v2, a8
	v_add_u32_e32 v2, 31, v2
	v_ashrrev_i32_e32 v3, 31, v2
	v_lshrrev_b32_e32 v3, 27, v3
	v_add_u32_e32 v2, v2, v3
	v_ashrrev_i32_e32 v3, 5, v2
	scratch_load_dword v2, off, s32 offset:352 ; 4-byte Folded Reload
	v_sub_u32_e32 v1, v1, v25
	scratch_store_dword off, v3, s32 offset:188 ; 4-byte Folded Spill
	scratch_store_dword off, v1, s32 offset:212 ; 4-byte Folded Spill
	v_ashrrev_i32_e32 v25, 31, v24
	s_waitcnt vmcnt(2)
	v_lshrrev_b32_e32 v6, 6, v2
	v_cmp_lt_i32_e64 s[0:1], v6, v3
	v_mov_b32_e32 v3, 0xff7fffff
	v_accvgpr_write_b32 a12, v6
	v_lshlrev_b32_e32 v1, 5, v6
	v_lshrrev_b32_e32 v17, 4, v2
	v_mbcnt_lo_u32_b32 v2, -1, 0
	scratch_store_dword off, v1, s32 offset:408 ; 4-byte Folded Spill
	s_and_saveexec_b64 s[8:9], s[0:1]
	s_cbranch_execz .LBB269_786
; %bb.9:
	scratch_store_dwordx2 off, v[16:17], s32 offset:444 ; 8-byte Folded Spill
	scratch_store_dwordx2 off, v[36:37], s32 offset:452 ; 8-byte Folded Spill
	scratch_load_dword v1, off, s32 offset:352 ; 4-byte Folded Reload
	v_max_i32_e32 v8, v26, v18
	v_mov_b32_e32 v6, v2
	v_lshl_add_u64 v[2:3], v[4:5], 0, v[24:25]
	v_mov_b32_e32 v5, 0
	v_cmp_eq_u32_e64 s[2:3], 0, v0
	scratch_store_dword off, v26, s32 offset:460 ; 4-byte Folded Spill
	scratch_store_dword off, v18, s32 offset:420 ; 4-byte Folded Spill
	scratch_store_dwordx2 off, v[24:25], s32 offset:424 ; 8-byte Folded Spill
	s_ashr_i32 s17, s16, 31
	s_lshl_b64 s[6:7], s[16:17], 2
	s_getpc_b64 s[12:13]
	s_add_u32 s12, s12, llvm.amdgcn.dynlds.offset.table@rel32@lo+4
	s_addc_u32 s13, s13, llvm.amdgcn.dynlds.offset.table@rel32@hi+12
	s_add_u32 s12, s6, s12
	s_addc_u32 s13, s7, s13
	s_mov_b64 s[20:21], 0
	s_movk_i32 s17, 0x7f
	s_movk_i32 s38, 0x80
	s_mov_b32 s39, 0x8000
	s_mov_b64 s[22:23], 0x1000
	s_mov_b64 s[24:25], 0x1200
	;; [unrolled: 1-line block ×4, first 2 shown]
	v_mov_b32_e32 v55, 0x1c00
	s_waitcnt vmcnt(3)
	v_bfe_u32 v7, v1, 1, 5
	v_cvt_f32_u32_e32 v1, v8
	v_lshlrev_b32_e32 v4, 4, v7
	v_lshl_add_u64 v[2:3], v[2:3], 0, v[4:5]
	scratch_store_dwordx2 off, v[2:3], s32 offset:376 ; 8-byte Folded Spill
	v_rcp_iflag_f32_e32 v1, v1
	v_lshlrev_b32_e32 v2, 2, v0
	v_mul_u32_u24_e32 v0, 0xc0, v0
	scratch_store_dword off, v0, s32 offset:368 ; 4-byte Folded Spill
	v_mul_f32_e32 v0, 0x4f7ffffe, v1
	scratch_load_dword v1, off, s32 offset:392 ; 4-byte Folded Reload
	v_cvt_u32_f32_e32 v0, v0
	v_mov_b32_e32 v3, v5
	scratch_store_dwordx2 off, v[2:3], s32 offset:384 ; 8-byte Folded Spill
	scratch_store_dword off, v8, s32 offset:336 ; 4-byte Folded Spill
	v_accvgpr_read_b32 v2, a12
	v_and_b32_e32 v4, 60, v17
	v_lshlrev_b32_e32 v3, 5, v2
	s_waitcnt vmcnt(2)
	v_cmp_neq_f32_e64 s[4:5], 0, v1
	v_sub_u32_e32 v1, 0, v8
	v_mul_lo_u32 v1, v1, v0
	v_mul_hi_u32 v1, v0, v1
	v_add_u32_e32 v0, v0, v1
	scratch_store_dwordx2 off, v[0:1], s32 offset:340 ; 8-byte Folded Spill
	v_accvgpr_read_b32 v0, a8
	v_sub_u32_e32 v0, v7, v0
	v_add_u32_e32 v0, 1, v0
	scratch_store_dword off, v0, s32 offset:400 ; 4-byte Folded Spill
	scratch_store_dword off, v7, s32 offset:404 ; 4-byte Folded Spill
	v_lshlrev_b32_e32 v0, 2, v7
	v_lshl_or_b32 v0, v2, 7, v0
	v_accvgpr_write_b32 a41, v0
	v_lshl_add_u64 v[0:1], v[38:39], 2, v[4:5]
	v_lshl_add_u64 v[0:1], v[22:23], 0, v[0:1]
	v_accvgpr_write_b32 a43, v1
	v_accvgpr_write_b32 a42, v0
	v_mbcnt_hi_u32_b32 v0, -1, v6
	v_mov_b32_e32 v1, v3
	scratch_store_dword off, v0, s32 offset:372 ; 4-byte Folded Spill
	v_mov_b32_e32 v0, 0xff7fffff
	v_accvgpr_read_b32 v4, a12
	scratch_store_dword off, v17, s32 offset:432 ; 4-byte Folded Spill
	scratch_store_dwordx2 off, v[38:39], s32 offset:436 ; 8-byte Folded Spill
	scratch_store_dwordx2 off, v[22:23], s32 offset:464 ; 8-byte Folded Spill
	scratch_store_dword off, v0, s32 offset:356 ; 4-byte Folded Spill
	s_branch .LBB269_12
.LBB269_10:                             ;   in Loop: Header=BB269_12 Depth=1
	s_or_b64 exec, exec, s[30:31]
.LBB269_11:                             ;   in Loop: Header=BB269_12 Depth=1
	s_or_b64 exec, exec, s[6:7]
	v_accvgpr_read_b32 v0, a41
	v_add_u32_e32 v0, 0x100, v0
	v_accvgpr_write_b32 a41, v0
	scratch_load_dword v0, off, s32 offset:188 ; 4-byte Folded Reload
	v_accvgpr_read_b32 v2, a42
	v_accvgpr_read_b32 v4, a45
	;; [unrolled: 1-line block ×3, first 2 shown]
	v_add_u32_e32 v4, 2, v4
	v_lshl_add_u64 v[2:3], v[2:3], 0, 8
	s_waitcnt lgkmcnt(0)
	v_accvgpr_read_b32 v1, a39
	v_accvgpr_write_b32 a43, v3
	v_add_u32_e32 v1, 64, v1
	v_accvgpr_write_b32 a42, v2
	s_waitcnt vmcnt(0)
	v_cmp_ge_i32_e32 vcc, v4, v0
	s_or_b64 s[20:21], vcc, s[20:21]
	s_andn2_b64 exec, exec, s[20:21]
	s_cbranch_execz .LBB269_785
.LBB269_12:                             ; =>This Inner Loop Header: Depth=1
	scratch_load_dword v0, off, s32 offset:208 ; 4-byte Folded Reload
	scratch_load_dwordx2 v[6:7], off, s32 offset:340 ; 8-byte Folded Reload
	scratch_load_dword v3, off, s32 offset:192 ; 4-byte Folded Reload
	v_mov_b32_e32 v2, v1
	v_accvgpr_write_b32 a39, v2
	v_accvgpr_write_b32 a45, v4
	scratch_load_dword v4, off, s32 offset:336 ; 4-byte Folded Reload
	s_waitcnt vmcnt(3)
	v_mul_hi_u32 v0, v1, v0
	s_waitcnt vmcnt(1)
	v_mul_lo_u32 v1, v0, v3
	v_sub_u32_e32 v1, v2, v1
	v_add_u32_e32 v2, 1, v0
	v_cmp_ge_u32_e32 vcc, v1, v3
	s_nop 1
	v_cndmask_b32_e32 v0, v0, v2, vcc
	v_sub_u32_e32 v2, v1, v3
	v_cndmask_b32_e32 v1, v1, v2, vcc
	v_cmp_ge_u32_e32 vcc, v1, v3
	scratch_load_dword v1, off, s32 offset:196 ; 4-byte Folded Reload
	v_add_u32_e32 v2, 1, v0
	v_cndmask_b32_e32 v0, v0, v2, vcc
	scratch_load_dwordx2 v[2:3], off, s32 offset:200 ; 8-byte Folded Reload
	s_waitcnt vmcnt(1)
	v_xor_b32_e32 v0, v0, v1
	v_sub_u32_e32 v0, v0, v1
	s_waitcnt vmcnt(0)
	v_add_u32_e32 v1, v0, v2
	v_sub_u32_e32 v3, 0, v1
	v_ashrrev_i32_e32 v2, 31, v1
	v_max_i32_e32 v1, v1, v3
	v_mul_hi_u32 v3, v1, v6
	v_mul_lo_u32 v3, v3, v4
	v_sub_u32_e32 v1, v1, v3
	v_sub_u32_e32 v3, v1, v4
	v_cmp_ge_u32_e32 vcc, v1, v4
	s_nop 1
	v_cndmask_b32_e32 v1, v1, v3, vcc
	v_sub_u32_e32 v3, v1, v4
	v_cmp_ge_u32_e32 vcc, v1, v4
	s_nop 1
	v_cndmask_b32_e32 v1, v1, v3, vcc
	v_xor_b32_e32 v1, v1, v2
	v_sub_u32_e32 v1, v1, v2
	v_cmp_ne_u32_e32 vcc, 0, v1
	scratch_load_dword v1, off, s32 offset:212 ; 4-byte Folded Reload
	s_waitcnt vmcnt(0)
	v_cmp_le_i32_e64 s[6:7], v0, v1
	s_and_b64 s[6:7], vcc, s[6:7]
	s_and_b64 s[30:31], s[2:3], s[6:7]
	s_and_saveexec_b64 vcc, s[30:31]
	s_cbranch_execz .LBB269_14
; %bb.13:                               ;   in Loop: Header=BB269_12 Depth=1
	s_load_dword s30, s[12:13], 0x0
	v_accvgpr_read_b32 v0, a41
	v_mov_b32_e32 v1, 0xff7fffff
	s_waitcnt lgkmcnt(0)
	v_add_u32_e32 v0, s30, v0
	ds_write_b32 v0, v1
.LBB269_14:                             ;   in Loop: Header=BB269_12 Depth=1
	s_or_b64 exec, exec, vcc
	s_xor_b64 vcc, s[6:7], -1
	s_and_saveexec_b64 s[6:7], vcc
	s_cbranch_execz .LBB269_11
; %bb.15:                               ;   in Loop: Header=BB269_12 Depth=1
	v_accvgpr_read_b32 v0, a42
	v_accvgpr_read_b32 v1, a43
	flat_load_dword v0, v[0:1]
	s_nop 0
	scratch_load_dwordx2 v[2:3], off, s32 offset:328 ; 8-byte Folded Reload
	scratch_load_dwordx2 v[6:7], off, s32 offset:376 ; 8-byte Folded Reload
                                        ; implicit-def: $sgpr36
	s_waitcnt vmcnt(0) lgkmcnt(0)
	v_mad_i64_i32 v[0:1], vcc, v0, v2, v[6:7]
	scratch_load_dwordx2 v[2:3], off, s32 offset:384 ; 8-byte Folded Reload
	s_mov_b64 vcc, 0
	s_waitcnt vmcnt(0)
	v_lshl_add_u64 v[34:35], v[0:1], 0, v[2:3]
	flat_load_dword v36, v[34:35]
	scratch_load_dwordx2 v[0:1], off, s32 offset:360 ; 8-byte Folded Reload
	s_waitcnt vmcnt(0) lgkmcnt(0)
	v_cmp_gt_i16_sdwa s[30:31], v36, s17 src0_sel:BYTE_0 src1_sel:DWORD
	flat_load_dword v0, v[0:1]
	s_and_saveexec_b64 s[34:35], s[30:31]
	s_xor_b64 s[30:31], exec, s[34:35]
	s_cbranch_execnz .LBB269_517
; %bb.16:                               ;   in Loop: Header=BB269_12 Depth=1
	s_or_saveexec_b64 s[30:31], s[30:31]
	v_mov_b32_e32 v1, s36
	s_xor_b64 exec, exec, s[30:31]
	s_cbranch_execnz .LBB269_520
.LBB269_17:                             ;   in Loop: Header=BB269_12 Depth=1
	s_or_b64 exec, exec, s[30:31]
	s_and_saveexec_b64 s[30:31], vcc
	s_cbranch_execz .LBB269_19
.LBB269_18:                             ;   in Loop: Header=BB269_12 Depth=1
	v_and_b32_e32 v1, 7, v36
	v_ffbh_u32_e32 v2, v1
	v_min_u32_e32 v6, 32, v2
	v_subrev_u32_e32 v2, 28, v6
	v_bfe_u32 v4, v36, 3, 4
	v_lshlrev_b64 v[2:3], v2, v[36:37]
	v_sub_u32_e32 v3, 29, v6
	v_cmp_eq_u32_e32 vcc, 0, v4
	v_and_b32_e32 v2, 7, v2
	s_nop 0
	v_cndmask_b32_e32 v3, v4, v3, vcc
	v_cndmask_b32_e32 v1, v1, v2, vcc
	v_lshlrev_b32_e32 v2, 8, v36
	v_lshl_add_u32 v3, v3, 10, v55
	v_and_or_b32 v2, v2, s39, v3
	v_lshl_or_b32 v1, v1, 7, v2
	v_cvt_f32_f16_e32 v1, v1
.LBB269_19:                             ;   in Loop: Header=BB269_12 Depth=1
	s_or_b64 exec, exec, s[30:31]
	v_lshrrev_b16_e32 v4, 8, v36
	v_cmp_lt_i16_e32 vcc, s17, v4
	s_mov_b64 s[30:31], 0
	scratch_store_dword off, v1, s32 offset:348 ; 4-byte Folded Spill
                                        ; implicit-def: $sgpr40
	s_and_saveexec_b64 s[34:35], vcc
	s_xor_b64 s[34:35], exec, s[34:35]
	s_cbranch_execz .LBB269_23
; %bb.20:                               ;   in Loop: Header=BB269_12 Depth=1
	v_cmp_eq_u16_e32 vcc, s38, v4
	s_mov_b64 s[30:31], -1
                                        ; implicit-def: $sgpr40
	s_and_saveexec_b64 s[36:37], vcc
; %bb.21:                               ;   in Loop: Header=BB269_12 Depth=1
	s_mov_b32 s40, 0x7fc02000
	s_xor_b64 s[30:31], exec, -1
; %bb.22:                               ;   in Loop: Header=BB269_12 Depth=1
	s_or_b64 exec, exec, s[36:37]
	s_and_b64 s[30:31], s[30:31], exec
.LBB269_23:                             ;   in Loop: Header=BB269_12 Depth=1
	s_or_saveexec_b64 s[34:35], s[34:35]
	v_mov_b32_e32 v1, s40
	scratch_store_dword off, v1, s32 offset:216 ; 4-byte Folded Spill
	s_xor_b64 exec, exec, s[34:35]
	s_cbranch_execz .LBB269_25
; %bb.24:                               ;   in Loop: Header=BB269_12 Depth=1
	v_cmp_ne_u16_e32 vcc, 0, v4
	s_andn2_b64 s[30:31], s[30:31], exec
	s_and_b64 vcc, vcc, exec
	v_mov_b32_e32 v1, 0
	s_or_b64 s[30:31], s[30:31], vcc
	scratch_store_dword off, v1, s32 offset:216 ; 4-byte Folded Spill
.LBB269_25:                             ;   in Loop: Header=BB269_12 Depth=1
	s_or_b64 exec, exec, s[34:35]
	s_and_saveexec_b64 s[34:35], s[30:31]
	s_cbranch_execz .LBB269_27
; %bb.26:                               ;   in Loop: Header=BB269_12 Depth=1
	v_and_b32_e32 v1, 7, v4
	v_ffbh_u32_e32 v2, v1
	v_min_u32_e32 v7, 32, v2
	v_subrev_u32_e32 v2, 28, v7
	v_bfe_u32 v6, v4, 3, 4
	v_lshlrev_b64 v[2:3], v2, v[4:5]
	v_sub_u32_e32 v3, 29, v7
	v_cmp_eq_u32_e32 vcc, 0, v6
	v_and_b32_e32 v2, 7, v2
	s_nop 0
	v_cndmask_b32_e32 v3, v6, v3, vcc
	v_cndmask_b32_e32 v1, v1, v2, vcc
	v_lshlrev_b32_e32 v2, 8, v4
	v_lshl_add_u32 v3, v3, 10, v55
	v_and_or_b32 v2, v2, s39, v3
	v_lshl_or_b32 v1, v1, 7, v2
	v_cvt_f32_f16_e32 v1, v1
	scratch_store_dword off, v1, s32 offset:216 ; 4-byte Folded Spill
.LBB269_27:                             ;   in Loop: Header=BB269_12 Depth=1
	s_or_b64 exec, exec, s[34:35]
	v_lshrrev_b32_e32 v4, 16, v36
	v_cmp_gt_i16_sdwa s[30:31], v4, s17 src0_sel:BYTE_0 src1_sel:DWORD
	s_mov_b64 vcc, 0
                                        ; implicit-def: $sgpr36
	s_and_saveexec_b64 s[34:35], s[30:31]
	s_xor_b64 s[30:31], exec, s[34:35]
	s_cbranch_execnz .LBB269_521
; %bb.28:                               ;   in Loop: Header=BB269_12 Depth=1
	s_or_saveexec_b64 s[30:31], s[30:31]
	v_mov_b32_e32 v44, s36
	s_xor_b64 exec, exec, s[30:31]
	s_cbranch_execnz .LBB269_524
.LBB269_29:                             ;   in Loop: Header=BB269_12 Depth=1
	s_or_b64 exec, exec, s[30:31]
	s_and_saveexec_b64 s[30:31], vcc
	s_cbranch_execz .LBB269_31
.LBB269_30:                             ;   in Loop: Header=BB269_12 Depth=1
	v_bfe_u32 v1, v36, 16, 3
	v_ffbh_u32_e32 v2, v1
	v_min_u32_e32 v7, 32, v2
	v_subrev_u32_e32 v2, 28, v7
	v_bfe_u32 v6, v36, 19, 4
	v_lshlrev_b64 v[2:3], v2, v[4:5]
	v_sub_u32_e32 v3, 29, v7
	v_cmp_eq_u32_e32 vcc, 0, v6
	v_and_b32_e32 v2, 7, v2
	s_nop 0
	v_cndmask_b32_e32 v3, v6, v3, vcc
	v_cndmask_b32_e32 v1, v1, v2, vcc
	v_lshlrev_b32_e32 v2, 8, v4
	v_lshl_add_u32 v3, v3, 10, v55
	v_and_or_b32 v2, v2, s39, v3
	v_lshl_or_b32 v1, v1, 7, v2
	v_cvt_f32_f16_e32 v44, v1
.LBB269_31:                             ;   in Loop: Header=BB269_12 Depth=1
	s_or_b64 exec, exec, s[30:31]
	v_lshrrev_b32_e32 v4, 24, v36
	v_cmp_lt_i16_e32 vcc, s17, v4
	s_mov_b64 s[30:31], 0
                                        ; implicit-def: $sgpr40
	s_and_saveexec_b64 s[34:35], vcc
	s_xor_b64 s[34:35], exec, s[34:35]
	s_cbranch_execnz .LBB269_525
; %bb.32:                               ;   in Loop: Header=BB269_12 Depth=1
	s_or_saveexec_b64 s[34:35], s[34:35]
	v_mov_b32_e32 v45, s40
	s_xor_b64 exec, exec, s[34:35]
	s_cbranch_execnz .LBB269_528
.LBB269_33:                             ;   in Loop: Header=BB269_12 Depth=1
	s_or_b64 exec, exec, s[34:35]
	s_and_saveexec_b64 s[34:35], s[30:31]
	s_cbranch_execz .LBB269_35
.LBB269_34:                             ;   in Loop: Header=BB269_12 Depth=1
	v_bfe_u32 v1, v36, 24, 3
	v_ffbh_u32_e32 v2, v1
	v_min_u32_e32 v7, 32, v2
	v_subrev_u32_e32 v2, 28, v7
	v_bfe_u32 v6, v36, 27, 4
	v_lshlrev_b64 v[2:3], v2, v[4:5]
	v_sub_u32_e32 v3, 29, v7
	v_cmp_eq_u32_e32 vcc, 0, v6
	v_and_b32_e32 v2, 7, v2
	s_nop 0
	v_cndmask_b32_e32 v3, v6, v3, vcc
	v_cndmask_b32_e32 v1, v1, v2, vcc
	v_lshlrev_b32_e32 v2, 8, v4
	v_lshl_add_u32 v3, v3, 10, v55
	v_and_or_b32 v2, v2, s39, v3
	v_lshl_or_b32 v1, v1, 7, v2
	v_cvt_f32_f16_e32 v45, v1
.LBB269_35:                             ;   in Loop: Header=BB269_12 Depth=1
	s_or_b64 exec, exec, s[34:35]
	flat_load_dword v36, v[34:35] offset:8
	s_mov_b64 vcc, 0
                                        ; implicit-def: $sgpr36
	s_waitcnt vmcnt(0) lgkmcnt(0)
	v_cmp_gt_i16_sdwa s[30:31], v36, s17 src0_sel:BYTE_0 src1_sel:DWORD
	s_and_saveexec_b64 s[34:35], s[30:31]
	s_xor_b64 s[30:31], exec, s[34:35]
	s_cbranch_execnz .LBB269_529
; %bb.36:                               ;   in Loop: Header=BB269_12 Depth=1
	s_or_saveexec_b64 s[30:31], s[30:31]
	v_mov_b32_e32 v1, s36
	s_xor_b64 exec, exec, s[30:31]
	s_cbranch_execnz .LBB269_532
.LBB269_37:                             ;   in Loop: Header=BB269_12 Depth=1
	s_or_b64 exec, exec, s[30:31]
	s_and_saveexec_b64 s[30:31], vcc
	s_cbranch_execz .LBB269_39
.LBB269_38:                             ;   in Loop: Header=BB269_12 Depth=1
	v_and_b32_e32 v1, 7, v36
	v_ffbh_u32_e32 v2, v1
	v_min_u32_e32 v6, 32, v2
	v_subrev_u32_e32 v2, 28, v6
	v_bfe_u32 v4, v36, 3, 4
	v_lshlrev_b64 v[2:3], v2, v[36:37]
	v_sub_u32_e32 v3, 29, v6
	v_cmp_eq_u32_e32 vcc, 0, v4
	v_and_b32_e32 v2, 7, v2
	s_nop 0
	v_cndmask_b32_e32 v3, v4, v3, vcc
	v_cndmask_b32_e32 v1, v1, v2, vcc
	v_lshlrev_b32_e32 v2, 8, v36
	v_lshl_add_u32 v3, v3, 10, v55
	v_and_or_b32 v2, v2, s39, v3
	v_lshl_or_b32 v1, v1, 7, v2
	v_cvt_f32_f16_e32 v1, v1
.LBB269_39:                             ;   in Loop: Header=BB269_12 Depth=1
	s_or_b64 exec, exec, s[30:31]
	v_lshrrev_b16_e32 v4, 8, v36
	v_accvgpr_write_b32 a27, v1
	v_cmp_lt_i16_e32 vcc, s17, v4
	s_mov_b64 s[30:31], 0
                                        ; implicit-def: $sgpr40
	s_and_saveexec_b64 s[34:35], vcc
	s_xor_b64 s[34:35], exec, s[34:35]
	s_cbranch_execz .LBB269_43
; %bb.40:                               ;   in Loop: Header=BB269_12 Depth=1
	v_cmp_eq_u16_e32 vcc, s38, v4
	s_mov_b64 s[30:31], -1
                                        ; implicit-def: $sgpr40
	s_and_saveexec_b64 s[36:37], vcc
; %bb.41:                               ;   in Loop: Header=BB269_12 Depth=1
	s_mov_b32 s40, 0x7fc02000
	s_xor_b64 s[30:31], exec, -1
; %bb.42:                               ;   in Loop: Header=BB269_12 Depth=1
	s_or_b64 exec, exec, s[36:37]
	s_and_b64 s[30:31], s[30:31], exec
.LBB269_43:                             ;   in Loop: Header=BB269_12 Depth=1
	s_or_saveexec_b64 s[34:35], s[34:35]
	v_mov_b32_e32 v1, s40
	scratch_store_dword off, v1, s32 offset:220 ; 4-byte Folded Spill
	s_xor_b64 exec, exec, s[34:35]
	s_cbranch_execz .LBB269_45
; %bb.44:                               ;   in Loop: Header=BB269_12 Depth=1
	v_cmp_ne_u16_e32 vcc, 0, v4
	s_andn2_b64 s[30:31], s[30:31], exec
	s_and_b64 vcc, vcc, exec
	v_mov_b32_e32 v1, 0
	s_or_b64 s[30:31], s[30:31], vcc
	scratch_store_dword off, v1, s32 offset:220 ; 4-byte Folded Spill
.LBB269_45:                             ;   in Loop: Header=BB269_12 Depth=1
	s_or_b64 exec, exec, s[34:35]
	s_and_saveexec_b64 s[34:35], s[30:31]
	s_cbranch_execz .LBB269_47
; %bb.46:                               ;   in Loop: Header=BB269_12 Depth=1
	v_and_b32_e32 v1, 7, v4
	v_ffbh_u32_e32 v2, v1
	v_min_u32_e32 v7, 32, v2
	v_subrev_u32_e32 v2, 28, v7
	v_bfe_u32 v6, v4, 3, 4
	v_lshlrev_b64 v[2:3], v2, v[4:5]
	v_sub_u32_e32 v3, 29, v7
	v_cmp_eq_u32_e32 vcc, 0, v6
	v_and_b32_e32 v2, 7, v2
	s_nop 0
	v_cndmask_b32_e32 v3, v6, v3, vcc
	v_cndmask_b32_e32 v1, v1, v2, vcc
	v_lshlrev_b32_e32 v2, 8, v4
	v_lshl_add_u32 v3, v3, 10, v55
	v_and_or_b32 v2, v2, s39, v3
	v_lshl_or_b32 v1, v1, 7, v2
	v_cvt_f32_f16_e32 v1, v1
	scratch_store_dword off, v1, s32 offset:220 ; 4-byte Folded Spill
.LBB269_47:                             ;   in Loop: Header=BB269_12 Depth=1
	s_or_b64 exec, exec, s[34:35]
	v_lshrrev_b32_e32 v4, 16, v36
	v_cmp_gt_i16_sdwa s[30:31], v4, s17 src0_sel:BYTE_0 src1_sel:DWORD
	s_mov_b64 vcc, 0
                                        ; implicit-def: $sgpr36
	s_and_saveexec_b64 s[34:35], s[30:31]
	s_xor_b64 s[30:31], exec, s[34:35]
	s_cbranch_execz .LBB269_51
; %bb.48:                               ;   in Loop: Header=BB269_12 Depth=1
	v_cmp_eq_u16_sdwa s[40:41], v4, s38 src0_sel:BYTE_0 src1_sel:DWORD
	s_mov_b64 vcc, -1
                                        ; implicit-def: $sgpr36
	s_and_saveexec_b64 s[34:35], s[40:41]
; %bb.49:                               ;   in Loop: Header=BB269_12 Depth=1
	s_mov_b32 s36, 0x7fc02000
	s_xor_b64 vcc, exec, -1
; %bb.50:                               ;   in Loop: Header=BB269_12 Depth=1
	s_or_b64 exec, exec, s[34:35]
	s_and_b64 vcc, vcc, exec
.LBB269_51:                             ;   in Loop: Header=BB269_12 Depth=1
	s_or_saveexec_b64 s[30:31], s[30:31]
	v_mov_b32_e32 v1, s36
	scratch_store_dword off, v1, s32 offset:224 ; 4-byte Folded Spill
	s_xor_b64 exec, exec, s[30:31]
	s_cbranch_execz .LBB269_53
; %bb.52:                               ;   in Loop: Header=BB269_12 Depth=1
	v_cmp_ne_u16_sdwa s[34:35], v4, v5 src0_sel:BYTE_0 src1_sel:DWORD
	s_andn2_b64 vcc, vcc, exec
	s_and_b64 s[34:35], s[34:35], exec
	v_mov_b32_e32 v1, 0
	s_or_b64 vcc, vcc, s[34:35]
	scratch_store_dword off, v1, s32 offset:224 ; 4-byte Folded Spill
.LBB269_53:                             ;   in Loop: Header=BB269_12 Depth=1
	s_or_b64 exec, exec, s[30:31]
	s_and_saveexec_b64 s[30:31], vcc
	s_cbranch_execz .LBB269_55
; %bb.54:                               ;   in Loop: Header=BB269_12 Depth=1
	v_bfe_u32 v1, v36, 16, 3
	v_ffbh_u32_e32 v2, v1
	v_min_u32_e32 v7, 32, v2
	v_subrev_u32_e32 v2, 28, v7
	v_bfe_u32 v6, v36, 19, 4
	v_lshlrev_b64 v[2:3], v2, v[4:5]
	v_sub_u32_e32 v3, 29, v7
	v_cmp_eq_u32_e32 vcc, 0, v6
	v_and_b32_e32 v2, 7, v2
	s_nop 0
	v_cndmask_b32_e32 v3, v6, v3, vcc
	v_cndmask_b32_e32 v1, v1, v2, vcc
	v_lshlrev_b32_e32 v2, 8, v4
	v_lshl_add_u32 v3, v3, 10, v55
	v_and_or_b32 v2, v2, s39, v3
	v_lshl_or_b32 v1, v1, 7, v2
	v_cvt_f32_f16_e32 v1, v1
	scratch_store_dword off, v1, s32 offset:224 ; 4-byte Folded Spill
.LBB269_55:                             ;   in Loop: Header=BB269_12 Depth=1
	s_or_b64 exec, exec, s[30:31]
	v_lshrrev_b32_e32 v4, 24, v36
	v_cmp_lt_i16_e32 vcc, s17, v4
	s_mov_b64 s[30:31], 0
                                        ; implicit-def: $sgpr40
	s_and_saveexec_b64 s[34:35], vcc
	s_xor_b64 s[34:35], exec, s[34:35]
	s_cbranch_execz .LBB269_59
; %bb.56:                               ;   in Loop: Header=BB269_12 Depth=1
	v_cmp_eq_u16_e32 vcc, s38, v4
	s_mov_b64 s[30:31], -1
                                        ; implicit-def: $sgpr40
	s_and_saveexec_b64 s[36:37], vcc
; %bb.57:                               ;   in Loop: Header=BB269_12 Depth=1
	s_mov_b32 s40, 0x7fc02000
	s_xor_b64 s[30:31], exec, -1
; %bb.58:                               ;   in Loop: Header=BB269_12 Depth=1
	s_or_b64 exec, exec, s[36:37]
	s_and_b64 s[30:31], s[30:31], exec
.LBB269_59:                             ;   in Loop: Header=BB269_12 Depth=1
	s_or_saveexec_b64 s[34:35], s[34:35]
	v_mov_b32_e32 v1, s40
	scratch_store_dword off, v1, s32 offset:272 ; 4-byte Folded Spill
	s_xor_b64 exec, exec, s[34:35]
	s_cbranch_execz .LBB269_61
; %bb.60:                               ;   in Loop: Header=BB269_12 Depth=1
	v_cmp_ne_u16_e32 vcc, 0, v4
	s_andn2_b64 s[30:31], s[30:31], exec
	s_and_b64 vcc, vcc, exec
	v_mov_b32_e32 v1, 0
	s_or_b64 s[30:31], s[30:31], vcc
	scratch_store_dword off, v1, s32 offset:272 ; 4-byte Folded Spill
.LBB269_61:                             ;   in Loop: Header=BB269_12 Depth=1
	s_or_b64 exec, exec, s[34:35]
	s_and_saveexec_b64 s[34:35], s[30:31]
	s_cbranch_execz .LBB269_63
; %bb.62:                               ;   in Loop: Header=BB269_12 Depth=1
	v_bfe_u32 v1, v36, 24, 3
	v_ffbh_u32_e32 v2, v1
	v_min_u32_e32 v7, 32, v2
	v_subrev_u32_e32 v2, 28, v7
	v_bfe_u32 v6, v36, 27, 4
	v_lshlrev_b64 v[2:3], v2, v[4:5]
	v_sub_u32_e32 v3, 29, v7
	v_cmp_eq_u32_e32 vcc, 0, v6
	v_and_b32_e32 v2, 7, v2
	s_nop 0
	v_cndmask_b32_e32 v3, v6, v3, vcc
	v_cndmask_b32_e32 v1, v1, v2, vcc
	v_lshlrev_b32_e32 v2, 8, v4
	v_lshl_add_u32 v3, v3, 10, v55
	v_and_or_b32 v2, v2, s39, v3
	v_lshl_or_b32 v1, v1, 7, v2
	v_cvt_f32_f16_e32 v1, v1
	scratch_store_dword off, v1, s32 offset:272 ; 4-byte Folded Spill
.LBB269_63:                             ;   in Loop: Header=BB269_12 Depth=1
	s_or_b64 exec, exec, s[34:35]
	flat_load_dword v36, v[34:35] offset:512
	s_mov_b64 vcc, 0
                                        ; implicit-def: $sgpr36
	s_waitcnt vmcnt(0) lgkmcnt(0)
	v_cmp_gt_i16_sdwa s[30:31], v36, s17 src0_sel:BYTE_0 src1_sel:DWORD
	s_and_saveexec_b64 s[34:35], s[30:31]
	s_xor_b64 s[30:31], exec, s[34:35]
	s_cbranch_execnz .LBB269_533
; %bb.64:                               ;   in Loop: Header=BB269_12 Depth=1
	s_or_saveexec_b64 s[30:31], s[30:31]
	v_mov_b32_e32 v1, s36
	s_xor_b64 exec, exec, s[30:31]
	s_cbranch_execnz .LBB269_536
.LBB269_65:                             ;   in Loop: Header=BB269_12 Depth=1
	s_or_b64 exec, exec, s[30:31]
	s_and_saveexec_b64 s[30:31], vcc
	s_cbranch_execz .LBB269_67
.LBB269_66:                             ;   in Loop: Header=BB269_12 Depth=1
	v_and_b32_e32 v1, 7, v36
	v_ffbh_u32_e32 v2, v1
	v_min_u32_e32 v6, 32, v2
	v_subrev_u32_e32 v2, 28, v6
	v_bfe_u32 v4, v36, 3, 4
	v_lshlrev_b64 v[2:3], v2, v[36:37]
	v_sub_u32_e32 v3, 29, v6
	v_cmp_eq_u32_e32 vcc, 0, v4
	v_and_b32_e32 v2, 7, v2
	s_nop 0
	v_cndmask_b32_e32 v3, v4, v3, vcc
	v_cndmask_b32_e32 v1, v1, v2, vcc
	v_lshlrev_b32_e32 v2, 8, v36
	v_lshl_add_u32 v3, v3, 10, v55
	v_and_or_b32 v2, v2, s39, v3
	v_lshl_or_b32 v1, v1, 7, v2
	v_cvt_f32_f16_e32 v1, v1
.LBB269_67:                             ;   in Loop: Header=BB269_12 Depth=1
	s_or_b64 exec, exec, s[30:31]
	v_lshrrev_b16_e32 v4, 8, v36
	v_accvgpr_write_b32 a23, v1
	v_cmp_lt_i16_e32 vcc, s17, v4
	s_mov_b64 s[30:31], 0
                                        ; implicit-def: $sgpr40
	s_and_saveexec_b64 s[34:35], vcc
	s_xor_b64 s[34:35], exec, s[34:35]
	s_cbranch_execz .LBB269_71
; %bb.68:                               ;   in Loop: Header=BB269_12 Depth=1
	v_cmp_eq_u16_e32 vcc, s38, v4
	s_mov_b64 s[30:31], -1
                                        ; implicit-def: $sgpr40
	s_and_saveexec_b64 s[36:37], vcc
; %bb.69:                               ;   in Loop: Header=BB269_12 Depth=1
	s_mov_b32 s40, 0x7fc02000
	s_xor_b64 s[30:31], exec, -1
; %bb.70:                               ;   in Loop: Header=BB269_12 Depth=1
	s_or_b64 exec, exec, s[36:37]
	s_and_b64 s[30:31], s[30:31], exec
.LBB269_71:                             ;   in Loop: Header=BB269_12 Depth=1
	s_or_saveexec_b64 s[34:35], s[34:35]
	v_mov_b32_e32 v1, s40
	scratch_store_dword off, v1, s32 offset:228 ; 4-byte Folded Spill
	s_xor_b64 exec, exec, s[34:35]
	s_cbranch_execz .LBB269_73
; %bb.72:                               ;   in Loop: Header=BB269_12 Depth=1
	v_cmp_ne_u16_e32 vcc, 0, v4
	s_andn2_b64 s[30:31], s[30:31], exec
	s_and_b64 vcc, vcc, exec
	v_mov_b32_e32 v1, 0
	s_or_b64 s[30:31], s[30:31], vcc
	scratch_store_dword off, v1, s32 offset:228 ; 4-byte Folded Spill
.LBB269_73:                             ;   in Loop: Header=BB269_12 Depth=1
	s_or_b64 exec, exec, s[34:35]
	s_and_saveexec_b64 s[34:35], s[30:31]
	s_cbranch_execz .LBB269_75
; %bb.74:                               ;   in Loop: Header=BB269_12 Depth=1
	v_and_b32_e32 v1, 7, v4
	v_ffbh_u32_e32 v2, v1
	v_min_u32_e32 v7, 32, v2
	v_subrev_u32_e32 v2, 28, v7
	v_bfe_u32 v6, v4, 3, 4
	v_lshlrev_b64 v[2:3], v2, v[4:5]
	v_sub_u32_e32 v3, 29, v7
	v_cmp_eq_u32_e32 vcc, 0, v6
	v_and_b32_e32 v2, 7, v2
	s_nop 0
	v_cndmask_b32_e32 v3, v6, v3, vcc
	v_cndmask_b32_e32 v1, v1, v2, vcc
	v_lshlrev_b32_e32 v2, 8, v4
	v_lshl_add_u32 v3, v3, 10, v55
	v_and_or_b32 v2, v2, s39, v3
	v_lshl_or_b32 v1, v1, 7, v2
	v_cvt_f32_f16_e32 v1, v1
	scratch_store_dword off, v1, s32 offset:228 ; 4-byte Folded Spill
.LBB269_75:                             ;   in Loop: Header=BB269_12 Depth=1
	s_or_b64 exec, exec, s[34:35]
	v_lshrrev_b32_e32 v4, 16, v36
	v_cmp_gt_i16_sdwa s[30:31], v4, s17 src0_sel:BYTE_0 src1_sel:DWORD
	s_mov_b64 vcc, 0
                                        ; implicit-def: $sgpr36
	s_and_saveexec_b64 s[34:35], s[30:31]
	s_xor_b64 s[30:31], exec, s[34:35]
	s_cbranch_execz .LBB269_79
; %bb.76:                               ;   in Loop: Header=BB269_12 Depth=1
	v_cmp_eq_u16_sdwa s[40:41], v4, s38 src0_sel:BYTE_0 src1_sel:DWORD
	s_mov_b64 vcc, -1
                                        ; implicit-def: $sgpr36
	s_and_saveexec_b64 s[34:35], s[40:41]
; %bb.77:                               ;   in Loop: Header=BB269_12 Depth=1
	s_mov_b32 s36, 0x7fc02000
	s_xor_b64 vcc, exec, -1
; %bb.78:                               ;   in Loop: Header=BB269_12 Depth=1
	s_or_b64 exec, exec, s[34:35]
	s_and_b64 vcc, vcc, exec
.LBB269_79:                             ;   in Loop: Header=BB269_12 Depth=1
	s_or_saveexec_b64 s[30:31], s[30:31]
	v_mov_b32_e32 v1, s36
	scratch_store_dword off, v1, s32 offset:232 ; 4-byte Folded Spill
	s_xor_b64 exec, exec, s[30:31]
	s_cbranch_execz .LBB269_81
; %bb.80:                               ;   in Loop: Header=BB269_12 Depth=1
	v_cmp_ne_u16_sdwa s[34:35], v4, v5 src0_sel:BYTE_0 src1_sel:DWORD
	s_andn2_b64 vcc, vcc, exec
	s_and_b64 s[34:35], s[34:35], exec
	v_mov_b32_e32 v1, 0
	s_or_b64 vcc, vcc, s[34:35]
	scratch_store_dword off, v1, s32 offset:232 ; 4-byte Folded Spill
.LBB269_81:                             ;   in Loop: Header=BB269_12 Depth=1
	s_or_b64 exec, exec, s[30:31]
	s_and_saveexec_b64 s[30:31], vcc
	s_cbranch_execz .LBB269_83
; %bb.82:                               ;   in Loop: Header=BB269_12 Depth=1
	v_bfe_u32 v1, v36, 16, 3
	v_ffbh_u32_e32 v2, v1
	v_min_u32_e32 v7, 32, v2
	v_subrev_u32_e32 v2, 28, v7
	v_bfe_u32 v6, v36, 19, 4
	v_lshlrev_b64 v[2:3], v2, v[4:5]
	v_sub_u32_e32 v3, 29, v7
	v_cmp_eq_u32_e32 vcc, 0, v6
	v_and_b32_e32 v2, 7, v2
	s_nop 0
	v_cndmask_b32_e32 v3, v6, v3, vcc
	v_cndmask_b32_e32 v1, v1, v2, vcc
	v_lshlrev_b32_e32 v2, 8, v4
	v_lshl_add_u32 v3, v3, 10, v55
	v_and_or_b32 v2, v2, s39, v3
	v_lshl_or_b32 v1, v1, 7, v2
	v_cvt_f32_f16_e32 v1, v1
	scratch_store_dword off, v1, s32 offset:232 ; 4-byte Folded Spill
.LBB269_83:                             ;   in Loop: Header=BB269_12 Depth=1
	s_or_b64 exec, exec, s[30:31]
	v_lshrrev_b32_e32 v4, 24, v36
	v_cmp_lt_i16_e32 vcc, s17, v4
	s_mov_b64 s[30:31], 0
                                        ; implicit-def: $sgpr40
	s_and_saveexec_b64 s[34:35], vcc
	s_xor_b64 s[34:35], exec, s[34:35]
	s_cbranch_execz .LBB269_87
; %bb.84:                               ;   in Loop: Header=BB269_12 Depth=1
	v_cmp_eq_u16_e32 vcc, s38, v4
	s_mov_b64 s[30:31], -1
                                        ; implicit-def: $sgpr40
	s_and_saveexec_b64 s[36:37], vcc
; %bb.85:                               ;   in Loop: Header=BB269_12 Depth=1
	s_mov_b32 s40, 0x7fc02000
	s_xor_b64 s[30:31], exec, -1
; %bb.86:                               ;   in Loop: Header=BB269_12 Depth=1
	s_or_b64 exec, exec, s[36:37]
	s_and_b64 s[30:31], s[30:31], exec
.LBB269_87:                             ;   in Loop: Header=BB269_12 Depth=1
	s_or_saveexec_b64 s[34:35], s[34:35]
	v_mov_b32_e32 v1, s40
	scratch_store_dword off, v1, s32 offset:236 ; 4-byte Folded Spill
	s_xor_b64 exec, exec, s[34:35]
	s_cbranch_execz .LBB269_89
; %bb.88:                               ;   in Loop: Header=BB269_12 Depth=1
	v_cmp_ne_u16_e32 vcc, 0, v4
	s_andn2_b64 s[30:31], s[30:31], exec
	s_and_b64 vcc, vcc, exec
	v_mov_b32_e32 v1, 0
	s_or_b64 s[30:31], s[30:31], vcc
	scratch_store_dword off, v1, s32 offset:236 ; 4-byte Folded Spill
.LBB269_89:                             ;   in Loop: Header=BB269_12 Depth=1
	s_or_b64 exec, exec, s[34:35]
	s_and_saveexec_b64 s[34:35], s[30:31]
	s_cbranch_execz .LBB269_91
; %bb.90:                               ;   in Loop: Header=BB269_12 Depth=1
	v_bfe_u32 v1, v36, 24, 3
	v_ffbh_u32_e32 v2, v1
	v_min_u32_e32 v7, 32, v2
	v_subrev_u32_e32 v2, 28, v7
	v_bfe_u32 v6, v36, 27, 4
	v_lshlrev_b64 v[2:3], v2, v[4:5]
	v_sub_u32_e32 v3, 29, v7
	v_cmp_eq_u32_e32 vcc, 0, v6
	v_and_b32_e32 v2, 7, v2
	s_nop 0
	v_cndmask_b32_e32 v3, v6, v3, vcc
	v_cndmask_b32_e32 v1, v1, v2, vcc
	v_lshlrev_b32_e32 v2, 8, v4
	v_lshl_add_u32 v3, v3, 10, v55
	v_and_or_b32 v2, v2, s39, v3
	v_lshl_or_b32 v1, v1, 7, v2
	v_cvt_f32_f16_e32 v1, v1
	scratch_store_dword off, v1, s32 offset:236 ; 4-byte Folded Spill
.LBB269_91:                             ;   in Loop: Header=BB269_12 Depth=1
	s_or_b64 exec, exec, s[34:35]
	flat_load_dword v36, v[34:35] offset:520
	s_mov_b64 vcc, 0
                                        ; implicit-def: $sgpr36
	s_waitcnt vmcnt(0) lgkmcnt(0)
	v_cmp_gt_i16_sdwa s[30:31], v36, s17 src0_sel:BYTE_0 src1_sel:DWORD
	s_and_saveexec_b64 s[34:35], s[30:31]
	s_xor_b64 s[30:31], exec, s[34:35]
	s_cbranch_execnz .LBB269_537
; %bb.92:                               ;   in Loop: Header=BB269_12 Depth=1
	s_or_saveexec_b64 s[30:31], s[30:31]
	v_mov_b32_e32 v1, s36
	s_xor_b64 exec, exec, s[30:31]
	s_cbranch_execnz .LBB269_540
.LBB269_93:                             ;   in Loop: Header=BB269_12 Depth=1
	s_or_b64 exec, exec, s[30:31]
	s_and_saveexec_b64 s[30:31], vcc
	s_cbranch_execz .LBB269_95
.LBB269_94:                             ;   in Loop: Header=BB269_12 Depth=1
	v_and_b32_e32 v1, 7, v36
	v_ffbh_u32_e32 v2, v1
	v_min_u32_e32 v6, 32, v2
	v_subrev_u32_e32 v2, 28, v6
	v_bfe_u32 v4, v36, 3, 4
	v_lshlrev_b64 v[2:3], v2, v[36:37]
	v_sub_u32_e32 v3, 29, v6
	v_cmp_eq_u32_e32 vcc, 0, v4
	v_and_b32_e32 v2, 7, v2
	s_nop 0
	v_cndmask_b32_e32 v3, v4, v3, vcc
	v_cndmask_b32_e32 v1, v1, v2, vcc
	v_lshlrev_b32_e32 v2, 8, v36
	v_lshl_add_u32 v3, v3, 10, v55
	v_and_or_b32 v2, v2, s39, v3
	v_lshl_or_b32 v1, v1, 7, v2
	v_cvt_f32_f16_e32 v1, v1
.LBB269_95:                             ;   in Loop: Header=BB269_12 Depth=1
	s_or_b64 exec, exec, s[30:31]
	v_lshrrev_b16_e32 v4, 8, v36
	v_accvgpr_write_b32 a54, v1
	v_cmp_lt_i16_e32 vcc, s17, v4
	s_mov_b64 s[30:31], 0
                                        ; implicit-def: $sgpr40
	s_and_saveexec_b64 s[34:35], vcc
	s_xor_b64 s[34:35], exec, s[34:35]
	s_cbranch_execz .LBB269_99
; %bb.96:                               ;   in Loop: Header=BB269_12 Depth=1
	v_cmp_eq_u16_e32 vcc, s38, v4
	s_mov_b64 s[30:31], -1
                                        ; implicit-def: $sgpr40
	s_and_saveexec_b64 s[36:37], vcc
; %bb.97:                               ;   in Loop: Header=BB269_12 Depth=1
	s_mov_b32 s40, 0x7fc02000
	s_xor_b64 s[30:31], exec, -1
; %bb.98:                               ;   in Loop: Header=BB269_12 Depth=1
	s_or_b64 exec, exec, s[36:37]
	s_and_b64 s[30:31], s[30:31], exec
.LBB269_99:                             ;   in Loop: Header=BB269_12 Depth=1
	s_or_saveexec_b64 s[34:35], s[34:35]
	v_mov_b32_e32 v1, s40
	scratch_store_dword off, v1, s32 offset:240 ; 4-byte Folded Spill
	s_xor_b64 exec, exec, s[34:35]
	s_cbranch_execz .LBB269_101
; %bb.100:                              ;   in Loop: Header=BB269_12 Depth=1
	v_cmp_ne_u16_e32 vcc, 0, v4
	s_andn2_b64 s[30:31], s[30:31], exec
	s_and_b64 vcc, vcc, exec
	v_mov_b32_e32 v1, 0
	s_or_b64 s[30:31], s[30:31], vcc
	scratch_store_dword off, v1, s32 offset:240 ; 4-byte Folded Spill
.LBB269_101:                            ;   in Loop: Header=BB269_12 Depth=1
	s_or_b64 exec, exec, s[34:35]
	s_and_saveexec_b64 s[34:35], s[30:31]
	s_cbranch_execz .LBB269_103
; %bb.102:                              ;   in Loop: Header=BB269_12 Depth=1
	v_and_b32_e32 v1, 7, v4
	v_ffbh_u32_e32 v2, v1
	v_min_u32_e32 v7, 32, v2
	v_subrev_u32_e32 v2, 28, v7
	v_bfe_u32 v6, v4, 3, 4
	v_lshlrev_b64 v[2:3], v2, v[4:5]
	v_sub_u32_e32 v3, 29, v7
	v_cmp_eq_u32_e32 vcc, 0, v6
	v_and_b32_e32 v2, 7, v2
	s_nop 0
	v_cndmask_b32_e32 v3, v6, v3, vcc
	v_cndmask_b32_e32 v1, v1, v2, vcc
	v_lshlrev_b32_e32 v2, 8, v4
	v_lshl_add_u32 v3, v3, 10, v55
	v_and_or_b32 v2, v2, s39, v3
	v_lshl_or_b32 v1, v1, 7, v2
	v_cvt_f32_f16_e32 v1, v1
	scratch_store_dword off, v1, s32 offset:240 ; 4-byte Folded Spill
.LBB269_103:                            ;   in Loop: Header=BB269_12 Depth=1
	s_or_b64 exec, exec, s[34:35]
	v_lshrrev_b32_e32 v4, 16, v36
	v_cmp_gt_i16_sdwa s[30:31], v4, s17 src0_sel:BYTE_0 src1_sel:DWORD
	s_mov_b64 vcc, 0
                                        ; implicit-def: $sgpr36
	s_and_saveexec_b64 s[34:35], s[30:31]
	s_xor_b64 s[30:31], exec, s[34:35]
	s_cbranch_execz .LBB269_107
; %bb.104:                              ;   in Loop: Header=BB269_12 Depth=1
	v_cmp_eq_u16_sdwa s[40:41], v4, s38 src0_sel:BYTE_0 src1_sel:DWORD
	s_mov_b64 vcc, -1
                                        ; implicit-def: $sgpr36
	s_and_saveexec_b64 s[34:35], s[40:41]
; %bb.105:                              ;   in Loop: Header=BB269_12 Depth=1
	s_mov_b32 s36, 0x7fc02000
	s_xor_b64 vcc, exec, -1
; %bb.106:                              ;   in Loop: Header=BB269_12 Depth=1
	s_or_b64 exec, exec, s[34:35]
	s_and_b64 vcc, vcc, exec
.LBB269_107:                            ;   in Loop: Header=BB269_12 Depth=1
	s_or_saveexec_b64 s[30:31], s[30:31]
	v_mov_b32_e32 v1, s36
	scratch_store_dword off, v1, s32 offset:244 ; 4-byte Folded Spill
	s_xor_b64 exec, exec, s[30:31]
	s_cbranch_execz .LBB269_109
; %bb.108:                              ;   in Loop: Header=BB269_12 Depth=1
	v_cmp_ne_u16_sdwa s[34:35], v4, v5 src0_sel:BYTE_0 src1_sel:DWORD
	s_andn2_b64 vcc, vcc, exec
	s_and_b64 s[34:35], s[34:35], exec
	v_mov_b32_e32 v1, 0
	s_or_b64 vcc, vcc, s[34:35]
	scratch_store_dword off, v1, s32 offset:244 ; 4-byte Folded Spill
.LBB269_109:                            ;   in Loop: Header=BB269_12 Depth=1
	s_or_b64 exec, exec, s[30:31]
	s_and_saveexec_b64 s[30:31], vcc
	s_cbranch_execz .LBB269_111
; %bb.110:                              ;   in Loop: Header=BB269_12 Depth=1
	v_bfe_u32 v1, v36, 16, 3
	v_ffbh_u32_e32 v2, v1
	v_min_u32_e32 v7, 32, v2
	v_subrev_u32_e32 v2, 28, v7
	v_bfe_u32 v6, v36, 19, 4
	v_lshlrev_b64 v[2:3], v2, v[4:5]
	v_sub_u32_e32 v3, 29, v7
	v_cmp_eq_u32_e32 vcc, 0, v6
	v_and_b32_e32 v2, 7, v2
	s_nop 0
	v_cndmask_b32_e32 v3, v6, v3, vcc
	v_cndmask_b32_e32 v1, v1, v2, vcc
	v_lshlrev_b32_e32 v2, 8, v4
	v_lshl_add_u32 v3, v3, 10, v55
	v_and_or_b32 v2, v2, s39, v3
	v_lshl_or_b32 v1, v1, 7, v2
	v_cvt_f32_f16_e32 v1, v1
	scratch_store_dword off, v1, s32 offset:244 ; 4-byte Folded Spill
.LBB269_111:                            ;   in Loop: Header=BB269_12 Depth=1
	s_or_b64 exec, exec, s[30:31]
	v_lshrrev_b32_e32 v4, 24, v36
	v_cmp_lt_i16_e32 vcc, s17, v4
	s_mov_b64 s[30:31], 0
                                        ; implicit-def: $sgpr40
	s_and_saveexec_b64 s[34:35], vcc
	s_xor_b64 s[34:35], exec, s[34:35]
	s_cbranch_execz .LBB269_115
; %bb.112:                              ;   in Loop: Header=BB269_12 Depth=1
	v_cmp_eq_u16_e32 vcc, s38, v4
	s_mov_b64 s[30:31], -1
                                        ; implicit-def: $sgpr40
	s_and_saveexec_b64 s[36:37], vcc
; %bb.113:                              ;   in Loop: Header=BB269_12 Depth=1
	s_mov_b32 s40, 0x7fc02000
	s_xor_b64 s[30:31], exec, -1
; %bb.114:                              ;   in Loop: Header=BB269_12 Depth=1
	s_or_b64 exec, exec, s[36:37]
	s_and_b64 s[30:31], s[30:31], exec
.LBB269_115:                            ;   in Loop: Header=BB269_12 Depth=1
	s_or_saveexec_b64 s[34:35], s[34:35]
	v_mov_b32_e32 v1, s40
	scratch_store_dword off, v1, s32 offset:248 ; 4-byte Folded Spill
	s_xor_b64 exec, exec, s[34:35]
	s_cbranch_execz .LBB269_117
; %bb.116:                              ;   in Loop: Header=BB269_12 Depth=1
	v_cmp_ne_u16_e32 vcc, 0, v4
	s_andn2_b64 s[30:31], s[30:31], exec
	s_and_b64 vcc, vcc, exec
	v_mov_b32_e32 v1, 0
	s_or_b64 s[30:31], s[30:31], vcc
	scratch_store_dword off, v1, s32 offset:248 ; 4-byte Folded Spill
.LBB269_117:                            ;   in Loop: Header=BB269_12 Depth=1
	s_or_b64 exec, exec, s[34:35]
	s_and_saveexec_b64 s[34:35], s[30:31]
	s_cbranch_execz .LBB269_119
; %bb.118:                              ;   in Loop: Header=BB269_12 Depth=1
	v_bfe_u32 v1, v36, 24, 3
	v_ffbh_u32_e32 v2, v1
	v_min_u32_e32 v7, 32, v2
	v_subrev_u32_e32 v2, 28, v7
	v_bfe_u32 v6, v36, 27, 4
	v_lshlrev_b64 v[2:3], v2, v[4:5]
	v_sub_u32_e32 v3, 29, v7
	v_cmp_eq_u32_e32 vcc, 0, v6
	v_and_b32_e32 v2, 7, v2
	s_nop 0
	v_cndmask_b32_e32 v3, v6, v3, vcc
	v_cndmask_b32_e32 v1, v1, v2, vcc
	v_lshlrev_b32_e32 v2, 8, v4
	v_lshl_add_u32 v3, v3, 10, v55
	v_and_or_b32 v2, v2, s39, v3
	v_lshl_or_b32 v1, v1, 7, v2
	v_cvt_f32_f16_e32 v1, v1
	scratch_store_dword off, v1, s32 offset:248 ; 4-byte Folded Spill
.LBB269_119:                            ;   in Loop: Header=BB269_12 Depth=1
	s_or_b64 exec, exec, s[34:35]
	flat_load_dword v36, v[34:35] offset:1024
	s_mov_b64 vcc, 0
                                        ; implicit-def: $sgpr36
	s_waitcnt vmcnt(0) lgkmcnt(0)
	v_cmp_gt_i16_sdwa s[30:31], v36, s17 src0_sel:BYTE_0 src1_sel:DWORD
	s_and_saveexec_b64 s[34:35], s[30:31]
	s_xor_b64 s[30:31], exec, s[34:35]
	s_cbranch_execnz .LBB269_541
; %bb.120:                              ;   in Loop: Header=BB269_12 Depth=1
	s_or_saveexec_b64 s[30:31], s[30:31]
	v_mov_b32_e32 v1, s36
	s_xor_b64 exec, exec, s[30:31]
	s_cbranch_execnz .LBB269_544
.LBB269_121:                            ;   in Loop: Header=BB269_12 Depth=1
	s_or_b64 exec, exec, s[30:31]
	s_and_saveexec_b64 s[30:31], vcc
	s_cbranch_execz .LBB269_123
.LBB269_122:                            ;   in Loop: Header=BB269_12 Depth=1
	v_and_b32_e32 v1, 7, v36
	v_ffbh_u32_e32 v2, v1
	v_min_u32_e32 v6, 32, v2
	v_subrev_u32_e32 v2, 28, v6
	v_bfe_u32 v4, v36, 3, 4
	v_lshlrev_b64 v[2:3], v2, v[36:37]
	v_sub_u32_e32 v3, 29, v6
	v_cmp_eq_u32_e32 vcc, 0, v4
	v_and_b32_e32 v2, 7, v2
	s_nop 0
	v_cndmask_b32_e32 v3, v4, v3, vcc
	v_cndmask_b32_e32 v1, v1, v2, vcc
	v_lshlrev_b32_e32 v2, 8, v36
	v_lshl_add_u32 v3, v3, 10, v55
	v_and_or_b32 v2, v2, s39, v3
	v_lshl_or_b32 v1, v1, 7, v2
	v_cvt_f32_f16_e32 v1, v1
.LBB269_123:                            ;   in Loop: Header=BB269_12 Depth=1
	s_or_b64 exec, exec, s[30:31]
	v_lshrrev_b16_e32 v4, 8, v36
	v_accvgpr_write_b32 a55, v1
	v_cmp_lt_i16_e32 vcc, s17, v4
	s_mov_b64 s[30:31], 0
                                        ; implicit-def: $sgpr40
	s_and_saveexec_b64 s[34:35], vcc
	s_xor_b64 s[34:35], exec, s[34:35]
	s_cbranch_execz .LBB269_127
; %bb.124:                              ;   in Loop: Header=BB269_12 Depth=1
	v_cmp_eq_u16_e32 vcc, s38, v4
	s_mov_b64 s[30:31], -1
                                        ; implicit-def: $sgpr40
	s_and_saveexec_b64 s[36:37], vcc
; %bb.125:                              ;   in Loop: Header=BB269_12 Depth=1
	s_mov_b32 s40, 0x7fc02000
	s_xor_b64 s[30:31], exec, -1
; %bb.126:                              ;   in Loop: Header=BB269_12 Depth=1
	s_or_b64 exec, exec, s[36:37]
	s_and_b64 s[30:31], s[30:31], exec
.LBB269_127:                            ;   in Loop: Header=BB269_12 Depth=1
	s_or_saveexec_b64 s[34:35], s[34:35]
	v_mov_b32_e32 v1, s40
	scratch_store_dword off, v1, s32 offset:252 ; 4-byte Folded Spill
	s_xor_b64 exec, exec, s[34:35]
	s_cbranch_execz .LBB269_129
; %bb.128:                              ;   in Loop: Header=BB269_12 Depth=1
	v_cmp_ne_u16_e32 vcc, 0, v4
	s_andn2_b64 s[30:31], s[30:31], exec
	s_and_b64 vcc, vcc, exec
	v_mov_b32_e32 v1, 0
	s_or_b64 s[30:31], s[30:31], vcc
	scratch_store_dword off, v1, s32 offset:252 ; 4-byte Folded Spill
.LBB269_129:                            ;   in Loop: Header=BB269_12 Depth=1
	s_or_b64 exec, exec, s[34:35]
	s_and_saveexec_b64 s[34:35], s[30:31]
	s_cbranch_execz .LBB269_131
; %bb.130:                              ;   in Loop: Header=BB269_12 Depth=1
	v_and_b32_e32 v1, 7, v4
	v_ffbh_u32_e32 v2, v1
	v_min_u32_e32 v7, 32, v2
	v_subrev_u32_e32 v2, 28, v7
	v_bfe_u32 v6, v4, 3, 4
	v_lshlrev_b64 v[2:3], v2, v[4:5]
	v_sub_u32_e32 v3, 29, v7
	v_cmp_eq_u32_e32 vcc, 0, v6
	v_and_b32_e32 v2, 7, v2
	s_nop 0
	v_cndmask_b32_e32 v3, v6, v3, vcc
	v_cndmask_b32_e32 v1, v1, v2, vcc
	v_lshlrev_b32_e32 v2, 8, v4
	v_lshl_add_u32 v3, v3, 10, v55
	v_and_or_b32 v2, v2, s39, v3
	v_lshl_or_b32 v1, v1, 7, v2
	v_cvt_f32_f16_e32 v1, v1
	scratch_store_dword off, v1, s32 offset:252 ; 4-byte Folded Spill
.LBB269_131:                            ;   in Loop: Header=BB269_12 Depth=1
	s_or_b64 exec, exec, s[34:35]
	v_lshrrev_b32_e32 v4, 16, v36
	v_cmp_gt_i16_sdwa s[30:31], v4, s17 src0_sel:BYTE_0 src1_sel:DWORD
	s_mov_b64 vcc, 0
                                        ; implicit-def: $sgpr36
	s_and_saveexec_b64 s[34:35], s[30:31]
	s_xor_b64 s[30:31], exec, s[34:35]
	s_cbranch_execz .LBB269_135
; %bb.132:                              ;   in Loop: Header=BB269_12 Depth=1
	v_cmp_eq_u16_sdwa s[40:41], v4, s38 src0_sel:BYTE_0 src1_sel:DWORD
	s_mov_b64 vcc, -1
                                        ; implicit-def: $sgpr36
	s_and_saveexec_b64 s[34:35], s[40:41]
; %bb.133:                              ;   in Loop: Header=BB269_12 Depth=1
	s_mov_b32 s36, 0x7fc02000
	s_xor_b64 vcc, exec, -1
; %bb.134:                              ;   in Loop: Header=BB269_12 Depth=1
	s_or_b64 exec, exec, s[34:35]
	s_and_b64 vcc, vcc, exec
.LBB269_135:                            ;   in Loop: Header=BB269_12 Depth=1
	s_or_saveexec_b64 s[30:31], s[30:31]
	v_mov_b32_e32 v1, s36
	scratch_store_dword off, v1, s32 offset:256 ; 4-byte Folded Spill
	s_xor_b64 exec, exec, s[30:31]
	s_cbranch_execz .LBB269_137
; %bb.136:                              ;   in Loop: Header=BB269_12 Depth=1
	v_cmp_ne_u16_sdwa s[34:35], v4, v5 src0_sel:BYTE_0 src1_sel:DWORD
	s_andn2_b64 vcc, vcc, exec
	s_and_b64 s[34:35], s[34:35], exec
	v_mov_b32_e32 v1, 0
	s_or_b64 vcc, vcc, s[34:35]
	scratch_store_dword off, v1, s32 offset:256 ; 4-byte Folded Spill
.LBB269_137:                            ;   in Loop: Header=BB269_12 Depth=1
	s_or_b64 exec, exec, s[30:31]
	s_and_saveexec_b64 s[30:31], vcc
	s_cbranch_execz .LBB269_139
; %bb.138:                              ;   in Loop: Header=BB269_12 Depth=1
	v_bfe_u32 v1, v36, 16, 3
	v_ffbh_u32_e32 v2, v1
	v_min_u32_e32 v7, 32, v2
	v_subrev_u32_e32 v2, 28, v7
	v_bfe_u32 v6, v36, 19, 4
	v_lshlrev_b64 v[2:3], v2, v[4:5]
	v_sub_u32_e32 v3, 29, v7
	v_cmp_eq_u32_e32 vcc, 0, v6
	v_and_b32_e32 v2, 7, v2
	s_nop 0
	v_cndmask_b32_e32 v3, v6, v3, vcc
	v_cndmask_b32_e32 v1, v1, v2, vcc
	v_lshlrev_b32_e32 v2, 8, v4
	v_lshl_add_u32 v3, v3, 10, v55
	v_and_or_b32 v2, v2, s39, v3
	v_lshl_or_b32 v1, v1, 7, v2
	v_cvt_f32_f16_e32 v1, v1
	scratch_store_dword off, v1, s32 offset:256 ; 4-byte Folded Spill
.LBB269_139:                            ;   in Loop: Header=BB269_12 Depth=1
	s_or_b64 exec, exec, s[30:31]
	v_lshrrev_b32_e32 v4, 24, v36
	v_cmp_lt_i16_e32 vcc, s17, v4
	s_mov_b64 s[30:31], 0
                                        ; implicit-def: $sgpr40
	s_and_saveexec_b64 s[34:35], vcc
	s_xor_b64 s[34:35], exec, s[34:35]
	s_cbranch_execz .LBB269_143
; %bb.140:                              ;   in Loop: Header=BB269_12 Depth=1
	v_cmp_eq_u16_e32 vcc, s38, v4
	s_mov_b64 s[30:31], -1
                                        ; implicit-def: $sgpr40
	s_and_saveexec_b64 s[36:37], vcc
; %bb.141:                              ;   in Loop: Header=BB269_12 Depth=1
	s_mov_b32 s40, 0x7fc02000
	s_xor_b64 s[30:31], exec, -1
; %bb.142:                              ;   in Loop: Header=BB269_12 Depth=1
	s_or_b64 exec, exec, s[36:37]
	s_and_b64 s[30:31], s[30:31], exec
.LBB269_143:                            ;   in Loop: Header=BB269_12 Depth=1
	s_or_saveexec_b64 s[34:35], s[34:35]
	v_mov_b32_e32 v1, s40
	scratch_store_dword off, v1, s32 offset:260 ; 4-byte Folded Spill
	s_xor_b64 exec, exec, s[34:35]
	s_cbranch_execz .LBB269_145
; %bb.144:                              ;   in Loop: Header=BB269_12 Depth=1
	v_cmp_ne_u16_e32 vcc, 0, v4
	s_andn2_b64 s[30:31], s[30:31], exec
	s_and_b64 vcc, vcc, exec
	v_mov_b32_e32 v1, 0
	s_or_b64 s[30:31], s[30:31], vcc
	scratch_store_dword off, v1, s32 offset:260 ; 4-byte Folded Spill
.LBB269_145:                            ;   in Loop: Header=BB269_12 Depth=1
	s_or_b64 exec, exec, s[34:35]
	s_and_saveexec_b64 s[34:35], s[30:31]
	s_cbranch_execz .LBB269_147
; %bb.146:                              ;   in Loop: Header=BB269_12 Depth=1
	v_bfe_u32 v1, v36, 24, 3
	v_ffbh_u32_e32 v2, v1
	v_min_u32_e32 v7, 32, v2
	v_subrev_u32_e32 v2, 28, v7
	v_bfe_u32 v6, v36, 27, 4
	v_lshlrev_b64 v[2:3], v2, v[4:5]
	v_sub_u32_e32 v3, 29, v7
	v_cmp_eq_u32_e32 vcc, 0, v6
	v_and_b32_e32 v2, 7, v2
	s_nop 0
	v_cndmask_b32_e32 v3, v6, v3, vcc
	v_cndmask_b32_e32 v1, v1, v2, vcc
	v_lshlrev_b32_e32 v2, 8, v4
	v_lshl_add_u32 v3, v3, 10, v55
	v_and_or_b32 v2, v2, s39, v3
	v_lshl_or_b32 v1, v1, 7, v2
	v_cvt_f32_f16_e32 v1, v1
	scratch_store_dword off, v1, s32 offset:260 ; 4-byte Folded Spill
.LBB269_147:                            ;   in Loop: Header=BB269_12 Depth=1
	s_or_b64 exec, exec, s[34:35]
	flat_load_dword v36, v[34:35] offset:1032
	s_mov_b64 vcc, 0
                                        ; implicit-def: $sgpr36
	s_waitcnt vmcnt(0) lgkmcnt(0)
	v_cmp_gt_i16_sdwa s[30:31], v36, s17 src0_sel:BYTE_0 src1_sel:DWORD
	s_and_saveexec_b64 s[34:35], s[30:31]
	s_xor_b64 s[30:31], exec, s[34:35]
	s_cbranch_execnz .LBB269_545
; %bb.148:                              ;   in Loop: Header=BB269_12 Depth=1
	s_or_saveexec_b64 s[30:31], s[30:31]
	v_mov_b32_e32 v1, s36
	s_xor_b64 exec, exec, s[30:31]
	s_cbranch_execnz .LBB269_548
.LBB269_149:                            ;   in Loop: Header=BB269_12 Depth=1
	s_or_b64 exec, exec, s[30:31]
	s_and_saveexec_b64 s[30:31], vcc
	s_cbranch_execz .LBB269_151
.LBB269_150:                            ;   in Loop: Header=BB269_12 Depth=1
	v_and_b32_e32 v1, 7, v36
	v_ffbh_u32_e32 v2, v1
	v_min_u32_e32 v6, 32, v2
	v_subrev_u32_e32 v2, 28, v6
	v_bfe_u32 v4, v36, 3, 4
	v_lshlrev_b64 v[2:3], v2, v[36:37]
	v_sub_u32_e32 v3, 29, v6
	v_cmp_eq_u32_e32 vcc, 0, v4
	v_and_b32_e32 v2, 7, v2
	s_nop 0
	v_cndmask_b32_e32 v3, v4, v3, vcc
	v_cndmask_b32_e32 v1, v1, v2, vcc
	v_lshlrev_b32_e32 v2, 8, v36
	v_lshl_add_u32 v3, v3, 10, v55
	v_and_or_b32 v2, v2, s39, v3
	v_lshl_or_b32 v1, v1, 7, v2
	v_cvt_f32_f16_e32 v1, v1
.LBB269_151:                            ;   in Loop: Header=BB269_12 Depth=1
	s_or_b64 exec, exec, s[30:31]
	v_lshrrev_b16_e32 v4, 8, v36
	v_accvgpr_write_b32 a56, v1
	v_cmp_lt_i16_e32 vcc, s17, v4
	s_mov_b64 s[30:31], 0
                                        ; implicit-def: $sgpr40
	s_and_saveexec_b64 s[34:35], vcc
	s_xor_b64 s[34:35], exec, s[34:35]
	s_cbranch_execz .LBB269_155
; %bb.152:                              ;   in Loop: Header=BB269_12 Depth=1
	v_cmp_eq_u16_e32 vcc, s38, v4
	s_mov_b64 s[30:31], -1
                                        ; implicit-def: $sgpr40
	s_and_saveexec_b64 s[36:37], vcc
; %bb.153:                              ;   in Loop: Header=BB269_12 Depth=1
	s_mov_b32 s40, 0x7fc02000
	s_xor_b64 s[30:31], exec, -1
; %bb.154:                              ;   in Loop: Header=BB269_12 Depth=1
	s_or_b64 exec, exec, s[36:37]
	s_and_b64 s[30:31], s[30:31], exec
.LBB269_155:                            ;   in Loop: Header=BB269_12 Depth=1
	s_or_saveexec_b64 s[34:35], s[34:35]
	v_mov_b32_e32 v1, s40
	scratch_store_dword off, v1, s32 offset:264 ; 4-byte Folded Spill
	s_xor_b64 exec, exec, s[34:35]
	s_cbranch_execz .LBB269_157
; %bb.156:                              ;   in Loop: Header=BB269_12 Depth=1
	v_cmp_ne_u16_e32 vcc, 0, v4
	s_andn2_b64 s[30:31], s[30:31], exec
	s_and_b64 vcc, vcc, exec
	v_mov_b32_e32 v1, 0
	s_or_b64 s[30:31], s[30:31], vcc
	scratch_store_dword off, v1, s32 offset:264 ; 4-byte Folded Spill
.LBB269_157:                            ;   in Loop: Header=BB269_12 Depth=1
	s_or_b64 exec, exec, s[34:35]
	s_and_saveexec_b64 s[34:35], s[30:31]
	s_cbranch_execz .LBB269_159
; %bb.158:                              ;   in Loop: Header=BB269_12 Depth=1
	v_and_b32_e32 v1, 7, v4
	v_ffbh_u32_e32 v2, v1
	v_min_u32_e32 v7, 32, v2
	v_subrev_u32_e32 v2, 28, v7
	v_bfe_u32 v6, v4, 3, 4
	v_lshlrev_b64 v[2:3], v2, v[4:5]
	v_sub_u32_e32 v3, 29, v7
	v_cmp_eq_u32_e32 vcc, 0, v6
	v_and_b32_e32 v2, 7, v2
	s_nop 0
	v_cndmask_b32_e32 v3, v6, v3, vcc
	v_cndmask_b32_e32 v1, v1, v2, vcc
	v_lshlrev_b32_e32 v2, 8, v4
	v_lshl_add_u32 v3, v3, 10, v55
	v_and_or_b32 v2, v2, s39, v3
	v_lshl_or_b32 v1, v1, 7, v2
	v_cvt_f32_f16_e32 v1, v1
	scratch_store_dword off, v1, s32 offset:264 ; 4-byte Folded Spill
.LBB269_159:                            ;   in Loop: Header=BB269_12 Depth=1
	s_or_b64 exec, exec, s[34:35]
	v_lshrrev_b32_e32 v4, 16, v36
	v_cmp_gt_i16_sdwa s[30:31], v4, s17 src0_sel:BYTE_0 src1_sel:DWORD
	s_mov_b64 vcc, 0
                                        ; implicit-def: $sgpr36
	s_and_saveexec_b64 s[34:35], s[30:31]
	s_xor_b64 s[30:31], exec, s[34:35]
	s_cbranch_execz .LBB269_163
; %bb.160:                              ;   in Loop: Header=BB269_12 Depth=1
	v_cmp_eq_u16_sdwa s[40:41], v4, s38 src0_sel:BYTE_0 src1_sel:DWORD
	s_mov_b64 vcc, -1
                                        ; implicit-def: $sgpr36
	s_and_saveexec_b64 s[34:35], s[40:41]
; %bb.161:                              ;   in Loop: Header=BB269_12 Depth=1
	s_mov_b32 s36, 0x7fc02000
	s_xor_b64 vcc, exec, -1
; %bb.162:                              ;   in Loop: Header=BB269_12 Depth=1
	s_or_b64 exec, exec, s[34:35]
	s_and_b64 vcc, vcc, exec
.LBB269_163:                            ;   in Loop: Header=BB269_12 Depth=1
	s_or_saveexec_b64 s[30:31], s[30:31]
	v_mov_b32_e32 v1, s36
	scratch_store_dword off, v1, s32 offset:268 ; 4-byte Folded Spill
	s_xor_b64 exec, exec, s[30:31]
	s_cbranch_execz .LBB269_165
; %bb.164:                              ;   in Loop: Header=BB269_12 Depth=1
	v_cmp_ne_u16_sdwa s[34:35], v4, v5 src0_sel:BYTE_0 src1_sel:DWORD
	s_andn2_b64 vcc, vcc, exec
	s_and_b64 s[34:35], s[34:35], exec
	v_mov_b32_e32 v1, 0
	s_or_b64 vcc, vcc, s[34:35]
	scratch_store_dword off, v1, s32 offset:268 ; 4-byte Folded Spill
.LBB269_165:                            ;   in Loop: Header=BB269_12 Depth=1
	s_or_b64 exec, exec, s[30:31]
	s_and_saveexec_b64 s[30:31], vcc
	s_cbranch_execz .LBB269_167
; %bb.166:                              ;   in Loop: Header=BB269_12 Depth=1
	v_bfe_u32 v1, v36, 16, 3
	v_ffbh_u32_e32 v2, v1
	v_min_u32_e32 v7, 32, v2
	v_subrev_u32_e32 v2, 28, v7
	v_bfe_u32 v6, v36, 19, 4
	v_lshlrev_b64 v[2:3], v2, v[4:5]
	v_sub_u32_e32 v3, 29, v7
	v_cmp_eq_u32_e32 vcc, 0, v6
	v_and_b32_e32 v2, 7, v2
	s_nop 0
	v_cndmask_b32_e32 v3, v6, v3, vcc
	v_cndmask_b32_e32 v1, v1, v2, vcc
	v_lshlrev_b32_e32 v2, 8, v4
	v_lshl_add_u32 v3, v3, 10, v55
	v_and_or_b32 v2, v2, s39, v3
	v_lshl_or_b32 v1, v1, 7, v2
	v_cvt_f32_f16_e32 v1, v1
	scratch_store_dword off, v1, s32 offset:268 ; 4-byte Folded Spill
.LBB269_167:                            ;   in Loop: Header=BB269_12 Depth=1
	s_or_b64 exec, exec, s[30:31]
	v_lshrrev_b32_e32 v4, 24, v36
	v_cmp_lt_i16_e32 vcc, s17, v4
	s_mov_b64 s[30:31], 0
                                        ; implicit-def: $sgpr40
	s_and_saveexec_b64 s[34:35], vcc
	s_xor_b64 s[34:35], exec, s[34:35]
	s_cbranch_execz .LBB269_171
; %bb.168:                              ;   in Loop: Header=BB269_12 Depth=1
	v_cmp_eq_u16_e32 vcc, s38, v4
	s_mov_b64 s[30:31], -1
                                        ; implicit-def: $sgpr40
	s_and_saveexec_b64 s[36:37], vcc
; %bb.169:                              ;   in Loop: Header=BB269_12 Depth=1
	s_mov_b32 s40, 0x7fc02000
	s_xor_b64 s[30:31], exec, -1
; %bb.170:                              ;   in Loop: Header=BB269_12 Depth=1
	s_or_b64 exec, exec, s[36:37]
	s_and_b64 s[30:31], s[30:31], exec
.LBB269_171:                            ;   in Loop: Header=BB269_12 Depth=1
	s_or_saveexec_b64 s[34:35], s[34:35]
	v_mov_b32_e32 v1, s40
	scratch_store_dword off, v1, s32 offset:276 ; 4-byte Folded Spill
	s_xor_b64 exec, exec, s[34:35]
	s_cbranch_execz .LBB269_173
; %bb.172:                              ;   in Loop: Header=BB269_12 Depth=1
	v_cmp_ne_u16_e32 vcc, 0, v4
	s_andn2_b64 s[30:31], s[30:31], exec
	s_and_b64 vcc, vcc, exec
	v_mov_b32_e32 v1, 0
	s_or_b64 s[30:31], s[30:31], vcc
	scratch_store_dword off, v1, s32 offset:276 ; 4-byte Folded Spill
.LBB269_173:                            ;   in Loop: Header=BB269_12 Depth=1
	s_or_b64 exec, exec, s[34:35]
	s_and_saveexec_b64 s[34:35], s[30:31]
	s_cbranch_execz .LBB269_175
; %bb.174:                              ;   in Loop: Header=BB269_12 Depth=1
	v_bfe_u32 v1, v36, 24, 3
	v_ffbh_u32_e32 v2, v1
	v_min_u32_e32 v7, 32, v2
	v_subrev_u32_e32 v2, 28, v7
	v_bfe_u32 v6, v36, 27, 4
	v_lshlrev_b64 v[2:3], v2, v[4:5]
	v_sub_u32_e32 v3, 29, v7
	v_cmp_eq_u32_e32 vcc, 0, v6
	v_and_b32_e32 v2, 7, v2
	s_nop 0
	v_cndmask_b32_e32 v3, v6, v3, vcc
	v_cndmask_b32_e32 v1, v1, v2, vcc
	v_lshlrev_b32_e32 v2, 8, v4
	v_lshl_add_u32 v3, v3, 10, v55
	v_and_or_b32 v2, v2, s39, v3
	v_lshl_or_b32 v1, v1, 7, v2
	v_cvt_f32_f16_e32 v1, v1
	scratch_store_dword off, v1, s32 offset:276 ; 4-byte Folded Spill
.LBB269_175:                            ;   in Loop: Header=BB269_12 Depth=1
	s_or_b64 exec, exec, s[34:35]
	flat_load_dword v36, v[34:35] offset:1536
	s_mov_b64 vcc, 0
                                        ; implicit-def: $sgpr36
	s_waitcnt vmcnt(0) lgkmcnt(0)
	v_cmp_gt_i16_sdwa s[30:31], v36, s17 src0_sel:BYTE_0 src1_sel:DWORD
	s_and_saveexec_b64 s[34:35], s[30:31]
	s_xor_b64 s[30:31], exec, s[34:35]
	s_cbranch_execnz .LBB269_549
; %bb.176:                              ;   in Loop: Header=BB269_12 Depth=1
	s_or_saveexec_b64 s[30:31], s[30:31]
	v_mov_b32_e32 v1, s36
	s_xor_b64 exec, exec, s[30:31]
	s_cbranch_execnz .LBB269_552
.LBB269_177:                            ;   in Loop: Header=BB269_12 Depth=1
	s_or_b64 exec, exec, s[30:31]
	s_and_saveexec_b64 s[30:31], vcc
	s_cbranch_execz .LBB269_179
.LBB269_178:                            ;   in Loop: Header=BB269_12 Depth=1
	v_and_b32_e32 v1, 7, v36
	v_ffbh_u32_e32 v2, v1
	v_min_u32_e32 v6, 32, v2
	v_subrev_u32_e32 v2, 28, v6
	v_bfe_u32 v4, v36, 3, 4
	v_lshlrev_b64 v[2:3], v2, v[36:37]
	v_sub_u32_e32 v3, 29, v6
	v_cmp_eq_u32_e32 vcc, 0, v4
	v_and_b32_e32 v2, 7, v2
	s_nop 0
	v_cndmask_b32_e32 v3, v4, v3, vcc
	v_cndmask_b32_e32 v1, v1, v2, vcc
	v_lshlrev_b32_e32 v2, 8, v36
	v_lshl_add_u32 v3, v3, 10, v55
	v_and_or_b32 v2, v2, s39, v3
	v_lshl_or_b32 v1, v1, 7, v2
	v_cvt_f32_f16_e32 v1, v1
.LBB269_179:                            ;   in Loop: Header=BB269_12 Depth=1
	s_or_b64 exec, exec, s[30:31]
	v_lshrrev_b16_e32 v4, 8, v36
	v_accvgpr_write_b32 a57, v1
	v_cmp_lt_i16_e32 vcc, s17, v4
	s_mov_b64 s[30:31], 0
                                        ; implicit-def: $sgpr40
	s_and_saveexec_b64 s[34:35], vcc
	s_xor_b64 s[34:35], exec, s[34:35]
	s_cbranch_execz .LBB269_183
; %bb.180:                              ;   in Loop: Header=BB269_12 Depth=1
	v_cmp_eq_u16_e32 vcc, s38, v4
	s_mov_b64 s[30:31], -1
                                        ; implicit-def: $sgpr40
	s_and_saveexec_b64 s[36:37], vcc
; %bb.181:                              ;   in Loop: Header=BB269_12 Depth=1
	s_mov_b32 s40, 0x7fc02000
	s_xor_b64 s[30:31], exec, -1
; %bb.182:                              ;   in Loop: Header=BB269_12 Depth=1
	s_or_b64 exec, exec, s[36:37]
	s_and_b64 s[30:31], s[30:31], exec
.LBB269_183:                            ;   in Loop: Header=BB269_12 Depth=1
	s_or_saveexec_b64 s[34:35], s[34:35]
	v_mov_b32_e32 v1, s40
	scratch_store_dword off, v1, s32 offset:280 ; 4-byte Folded Spill
	s_xor_b64 exec, exec, s[34:35]
	s_cbranch_execz .LBB269_185
; %bb.184:                              ;   in Loop: Header=BB269_12 Depth=1
	v_cmp_ne_u16_e32 vcc, 0, v4
	s_andn2_b64 s[30:31], s[30:31], exec
	s_and_b64 vcc, vcc, exec
	v_mov_b32_e32 v1, 0
	s_or_b64 s[30:31], s[30:31], vcc
	scratch_store_dword off, v1, s32 offset:280 ; 4-byte Folded Spill
.LBB269_185:                            ;   in Loop: Header=BB269_12 Depth=1
	s_or_b64 exec, exec, s[34:35]
	s_and_saveexec_b64 s[34:35], s[30:31]
	s_cbranch_execz .LBB269_187
; %bb.186:                              ;   in Loop: Header=BB269_12 Depth=1
	v_and_b32_e32 v1, 7, v4
	v_ffbh_u32_e32 v2, v1
	v_min_u32_e32 v7, 32, v2
	v_subrev_u32_e32 v2, 28, v7
	v_bfe_u32 v6, v4, 3, 4
	v_lshlrev_b64 v[2:3], v2, v[4:5]
	v_sub_u32_e32 v3, 29, v7
	v_cmp_eq_u32_e32 vcc, 0, v6
	v_and_b32_e32 v2, 7, v2
	s_nop 0
	v_cndmask_b32_e32 v3, v6, v3, vcc
	v_cndmask_b32_e32 v1, v1, v2, vcc
	v_lshlrev_b32_e32 v2, 8, v4
	v_lshl_add_u32 v3, v3, 10, v55
	v_and_or_b32 v2, v2, s39, v3
	v_lshl_or_b32 v1, v1, 7, v2
	v_cvt_f32_f16_e32 v1, v1
	scratch_store_dword off, v1, s32 offset:280 ; 4-byte Folded Spill
.LBB269_187:                            ;   in Loop: Header=BB269_12 Depth=1
	s_or_b64 exec, exec, s[34:35]
	v_lshrrev_b32_e32 v4, 16, v36
	v_cmp_gt_i16_sdwa s[30:31], v4, s17 src0_sel:BYTE_0 src1_sel:DWORD
	s_mov_b64 vcc, 0
                                        ; implicit-def: $sgpr36
	s_and_saveexec_b64 s[34:35], s[30:31]
	s_xor_b64 s[30:31], exec, s[34:35]
	s_cbranch_execz .LBB269_191
; %bb.188:                              ;   in Loop: Header=BB269_12 Depth=1
	v_cmp_eq_u16_sdwa s[40:41], v4, s38 src0_sel:BYTE_0 src1_sel:DWORD
	s_mov_b64 vcc, -1
                                        ; implicit-def: $sgpr36
	s_and_saveexec_b64 s[34:35], s[40:41]
; %bb.189:                              ;   in Loop: Header=BB269_12 Depth=1
	s_mov_b32 s36, 0x7fc02000
	s_xor_b64 vcc, exec, -1
; %bb.190:                              ;   in Loop: Header=BB269_12 Depth=1
	s_or_b64 exec, exec, s[34:35]
	s_and_b64 vcc, vcc, exec
.LBB269_191:                            ;   in Loop: Header=BB269_12 Depth=1
	s_or_saveexec_b64 s[30:31], s[30:31]
	v_mov_b32_e32 v1, s36
	scratch_store_dword off, v1, s32 offset:284 ; 4-byte Folded Spill
	s_xor_b64 exec, exec, s[30:31]
	s_cbranch_execz .LBB269_193
; %bb.192:                              ;   in Loop: Header=BB269_12 Depth=1
	v_cmp_ne_u16_sdwa s[34:35], v4, v5 src0_sel:BYTE_0 src1_sel:DWORD
	s_andn2_b64 vcc, vcc, exec
	s_and_b64 s[34:35], s[34:35], exec
	v_mov_b32_e32 v1, 0
	s_or_b64 vcc, vcc, s[34:35]
	scratch_store_dword off, v1, s32 offset:284 ; 4-byte Folded Spill
.LBB269_193:                            ;   in Loop: Header=BB269_12 Depth=1
	s_or_b64 exec, exec, s[30:31]
	s_and_saveexec_b64 s[30:31], vcc
	s_cbranch_execz .LBB269_195
; %bb.194:                              ;   in Loop: Header=BB269_12 Depth=1
	v_bfe_u32 v1, v36, 16, 3
	v_ffbh_u32_e32 v2, v1
	v_min_u32_e32 v7, 32, v2
	v_subrev_u32_e32 v2, 28, v7
	v_bfe_u32 v6, v36, 19, 4
	v_lshlrev_b64 v[2:3], v2, v[4:5]
	v_sub_u32_e32 v3, 29, v7
	v_cmp_eq_u32_e32 vcc, 0, v6
	v_and_b32_e32 v2, 7, v2
	s_nop 0
	v_cndmask_b32_e32 v3, v6, v3, vcc
	v_cndmask_b32_e32 v1, v1, v2, vcc
	v_lshlrev_b32_e32 v2, 8, v4
	v_lshl_add_u32 v3, v3, 10, v55
	v_and_or_b32 v2, v2, s39, v3
	v_lshl_or_b32 v1, v1, 7, v2
	v_cvt_f32_f16_e32 v1, v1
	scratch_store_dword off, v1, s32 offset:284 ; 4-byte Folded Spill
.LBB269_195:                            ;   in Loop: Header=BB269_12 Depth=1
	s_or_b64 exec, exec, s[30:31]
	v_lshrrev_b32_e32 v4, 24, v36
	v_cmp_lt_i16_e32 vcc, s17, v4
	s_mov_b64 s[30:31], 0
                                        ; implicit-def: $sgpr40
	s_and_saveexec_b64 s[34:35], vcc
	s_xor_b64 s[34:35], exec, s[34:35]
	s_cbranch_execz .LBB269_199
; %bb.196:                              ;   in Loop: Header=BB269_12 Depth=1
	v_cmp_eq_u16_e32 vcc, s38, v4
	s_mov_b64 s[30:31], -1
                                        ; implicit-def: $sgpr40
	s_and_saveexec_b64 s[36:37], vcc
; %bb.197:                              ;   in Loop: Header=BB269_12 Depth=1
	s_mov_b32 s40, 0x7fc02000
	s_xor_b64 s[30:31], exec, -1
; %bb.198:                              ;   in Loop: Header=BB269_12 Depth=1
	s_or_b64 exec, exec, s[36:37]
	s_and_b64 s[30:31], s[30:31], exec
.LBB269_199:                            ;   in Loop: Header=BB269_12 Depth=1
	s_or_saveexec_b64 s[34:35], s[34:35]
	v_mov_b32_e32 v1, s40
	scratch_store_dword off, v1, s32 offset:288 ; 4-byte Folded Spill
	s_xor_b64 exec, exec, s[34:35]
	s_cbranch_execz .LBB269_201
; %bb.200:                              ;   in Loop: Header=BB269_12 Depth=1
	v_cmp_ne_u16_e32 vcc, 0, v4
	s_andn2_b64 s[30:31], s[30:31], exec
	s_and_b64 vcc, vcc, exec
	v_mov_b32_e32 v1, 0
	s_or_b64 s[30:31], s[30:31], vcc
	scratch_store_dword off, v1, s32 offset:288 ; 4-byte Folded Spill
.LBB269_201:                            ;   in Loop: Header=BB269_12 Depth=1
	s_or_b64 exec, exec, s[34:35]
	s_and_saveexec_b64 s[34:35], s[30:31]
	s_cbranch_execz .LBB269_203
; %bb.202:                              ;   in Loop: Header=BB269_12 Depth=1
	v_bfe_u32 v1, v36, 24, 3
	v_ffbh_u32_e32 v2, v1
	v_min_u32_e32 v7, 32, v2
	v_subrev_u32_e32 v2, 28, v7
	v_bfe_u32 v6, v36, 27, 4
	v_lshlrev_b64 v[2:3], v2, v[4:5]
	v_sub_u32_e32 v3, 29, v7
	v_cmp_eq_u32_e32 vcc, 0, v6
	v_and_b32_e32 v2, 7, v2
	s_nop 0
	v_cndmask_b32_e32 v3, v6, v3, vcc
	v_cndmask_b32_e32 v1, v1, v2, vcc
	v_lshlrev_b32_e32 v2, 8, v4
	v_lshl_add_u32 v3, v3, 10, v55
	v_and_or_b32 v2, v2, s39, v3
	v_lshl_or_b32 v1, v1, 7, v2
	v_cvt_f32_f16_e32 v1, v1
	scratch_store_dword off, v1, s32 offset:288 ; 4-byte Folded Spill
.LBB269_203:                            ;   in Loop: Header=BB269_12 Depth=1
	s_or_b64 exec, exec, s[34:35]
	flat_load_dword v36, v[34:35] offset:1544
	s_mov_b64 vcc, 0
                                        ; implicit-def: $sgpr36
	s_waitcnt vmcnt(0) lgkmcnt(0)
	v_cmp_gt_i16_sdwa s[30:31], v36, s17 src0_sel:BYTE_0 src1_sel:DWORD
	s_and_saveexec_b64 s[34:35], s[30:31]
	s_xor_b64 s[30:31], exec, s[34:35]
	s_cbranch_execnz .LBB269_553
; %bb.204:                              ;   in Loop: Header=BB269_12 Depth=1
	s_or_saveexec_b64 s[30:31], s[30:31]
	v_mov_b32_e32 v1, s36
	s_xor_b64 exec, exec, s[30:31]
	s_cbranch_execnz .LBB269_556
.LBB269_205:                            ;   in Loop: Header=BB269_12 Depth=1
	s_or_b64 exec, exec, s[30:31]
	s_and_saveexec_b64 s[30:31], vcc
	s_cbranch_execz .LBB269_207
.LBB269_206:                            ;   in Loop: Header=BB269_12 Depth=1
	v_and_b32_e32 v1, 7, v36
	v_ffbh_u32_e32 v2, v1
	v_min_u32_e32 v6, 32, v2
	v_subrev_u32_e32 v2, 28, v6
	v_bfe_u32 v4, v36, 3, 4
	v_lshlrev_b64 v[2:3], v2, v[36:37]
	v_sub_u32_e32 v3, 29, v6
	v_cmp_eq_u32_e32 vcc, 0, v4
	v_and_b32_e32 v2, 7, v2
	s_nop 0
	v_cndmask_b32_e32 v3, v4, v3, vcc
	v_cndmask_b32_e32 v1, v1, v2, vcc
	v_lshlrev_b32_e32 v2, 8, v36
	v_lshl_add_u32 v3, v3, 10, v55
	v_and_or_b32 v2, v2, s39, v3
	v_lshl_or_b32 v1, v1, 7, v2
	v_cvt_f32_f16_e32 v1, v1
.LBB269_207:                            ;   in Loop: Header=BB269_12 Depth=1
	s_or_b64 exec, exec, s[30:31]
	v_lshrrev_b16_e32 v4, 8, v36
	v_accvgpr_write_b32 a58, v1
	v_cmp_lt_i16_e32 vcc, s17, v4
	s_mov_b64 s[30:31], 0
                                        ; implicit-def: $sgpr40
	s_and_saveexec_b64 s[34:35], vcc
	s_xor_b64 s[34:35], exec, s[34:35]
	s_cbranch_execz .LBB269_211
; %bb.208:                              ;   in Loop: Header=BB269_12 Depth=1
	v_cmp_eq_u16_e32 vcc, s38, v4
	s_mov_b64 s[30:31], -1
                                        ; implicit-def: $sgpr40
	s_and_saveexec_b64 s[36:37], vcc
; %bb.209:                              ;   in Loop: Header=BB269_12 Depth=1
	s_mov_b32 s40, 0x7fc02000
	s_xor_b64 s[30:31], exec, -1
; %bb.210:                              ;   in Loop: Header=BB269_12 Depth=1
	s_or_b64 exec, exec, s[36:37]
	s_and_b64 s[30:31], s[30:31], exec
.LBB269_211:                            ;   in Loop: Header=BB269_12 Depth=1
	s_or_saveexec_b64 s[34:35], s[34:35]
	v_mov_b32_e32 v1, s40
	scratch_store_dword off, v1, s32 offset:292 ; 4-byte Folded Spill
	s_xor_b64 exec, exec, s[34:35]
	s_cbranch_execz .LBB269_213
; %bb.212:                              ;   in Loop: Header=BB269_12 Depth=1
	v_cmp_ne_u16_e32 vcc, 0, v4
	s_andn2_b64 s[30:31], s[30:31], exec
	s_and_b64 vcc, vcc, exec
	v_mov_b32_e32 v1, 0
	s_or_b64 s[30:31], s[30:31], vcc
	scratch_store_dword off, v1, s32 offset:292 ; 4-byte Folded Spill
.LBB269_213:                            ;   in Loop: Header=BB269_12 Depth=1
	s_or_b64 exec, exec, s[34:35]
	s_and_saveexec_b64 s[34:35], s[30:31]
	s_cbranch_execz .LBB269_215
; %bb.214:                              ;   in Loop: Header=BB269_12 Depth=1
	v_and_b32_e32 v1, 7, v4
	v_ffbh_u32_e32 v2, v1
	v_min_u32_e32 v7, 32, v2
	v_subrev_u32_e32 v2, 28, v7
	v_bfe_u32 v6, v4, 3, 4
	v_lshlrev_b64 v[2:3], v2, v[4:5]
	v_sub_u32_e32 v3, 29, v7
	v_cmp_eq_u32_e32 vcc, 0, v6
	v_and_b32_e32 v2, 7, v2
	s_nop 0
	v_cndmask_b32_e32 v3, v6, v3, vcc
	v_cndmask_b32_e32 v1, v1, v2, vcc
	v_lshlrev_b32_e32 v2, 8, v4
	v_lshl_add_u32 v3, v3, 10, v55
	v_and_or_b32 v2, v2, s39, v3
	v_lshl_or_b32 v1, v1, 7, v2
	v_cvt_f32_f16_e32 v1, v1
	scratch_store_dword off, v1, s32 offset:292 ; 4-byte Folded Spill
.LBB269_215:                            ;   in Loop: Header=BB269_12 Depth=1
	s_or_b64 exec, exec, s[34:35]
	v_lshrrev_b32_e32 v4, 16, v36
	v_cmp_gt_i16_sdwa s[30:31], v4, s17 src0_sel:BYTE_0 src1_sel:DWORD
	s_mov_b64 vcc, 0
                                        ; implicit-def: $sgpr36
	s_and_saveexec_b64 s[34:35], s[30:31]
	s_xor_b64 s[30:31], exec, s[34:35]
	s_cbranch_execz .LBB269_219
; %bb.216:                              ;   in Loop: Header=BB269_12 Depth=1
	v_cmp_eq_u16_sdwa s[40:41], v4, s38 src0_sel:BYTE_0 src1_sel:DWORD
	s_mov_b64 vcc, -1
                                        ; implicit-def: $sgpr36
	s_and_saveexec_b64 s[34:35], s[40:41]
; %bb.217:                              ;   in Loop: Header=BB269_12 Depth=1
	s_mov_b32 s36, 0x7fc02000
	s_xor_b64 vcc, exec, -1
; %bb.218:                              ;   in Loop: Header=BB269_12 Depth=1
	s_or_b64 exec, exec, s[34:35]
	s_and_b64 vcc, vcc, exec
.LBB269_219:                            ;   in Loop: Header=BB269_12 Depth=1
	s_or_saveexec_b64 s[30:31], s[30:31]
	v_mov_b32_e32 v1, s36
	scratch_store_dword off, v1, s32 offset:296 ; 4-byte Folded Spill
	s_xor_b64 exec, exec, s[30:31]
	s_cbranch_execz .LBB269_221
; %bb.220:                              ;   in Loop: Header=BB269_12 Depth=1
	v_cmp_ne_u16_sdwa s[34:35], v4, v5 src0_sel:BYTE_0 src1_sel:DWORD
	s_andn2_b64 vcc, vcc, exec
	s_and_b64 s[34:35], s[34:35], exec
	v_mov_b32_e32 v1, 0
	s_or_b64 vcc, vcc, s[34:35]
	scratch_store_dword off, v1, s32 offset:296 ; 4-byte Folded Spill
.LBB269_221:                            ;   in Loop: Header=BB269_12 Depth=1
	s_or_b64 exec, exec, s[30:31]
	s_and_saveexec_b64 s[30:31], vcc
	s_cbranch_execz .LBB269_223
; %bb.222:                              ;   in Loop: Header=BB269_12 Depth=1
	v_bfe_u32 v1, v36, 16, 3
	v_ffbh_u32_e32 v2, v1
	v_min_u32_e32 v7, 32, v2
	v_subrev_u32_e32 v2, 28, v7
	v_bfe_u32 v6, v36, 19, 4
	v_lshlrev_b64 v[2:3], v2, v[4:5]
	v_sub_u32_e32 v3, 29, v7
	v_cmp_eq_u32_e32 vcc, 0, v6
	v_and_b32_e32 v2, 7, v2
	s_nop 0
	v_cndmask_b32_e32 v3, v6, v3, vcc
	v_cndmask_b32_e32 v1, v1, v2, vcc
	v_lshlrev_b32_e32 v2, 8, v4
	v_lshl_add_u32 v3, v3, 10, v55
	v_and_or_b32 v2, v2, s39, v3
	v_lshl_or_b32 v1, v1, 7, v2
	v_cvt_f32_f16_e32 v1, v1
	scratch_store_dword off, v1, s32 offset:296 ; 4-byte Folded Spill
.LBB269_223:                            ;   in Loop: Header=BB269_12 Depth=1
	s_or_b64 exec, exec, s[30:31]
	v_lshrrev_b32_e32 v4, 24, v36
	v_cmp_lt_i16_e32 vcc, s17, v4
	s_mov_b64 s[30:31], 0
                                        ; implicit-def: $sgpr40
	s_and_saveexec_b64 s[34:35], vcc
	s_xor_b64 s[34:35], exec, s[34:35]
	s_cbranch_execz .LBB269_227
; %bb.224:                              ;   in Loop: Header=BB269_12 Depth=1
	v_cmp_eq_u16_e32 vcc, s38, v4
	s_mov_b64 s[30:31], -1
                                        ; implicit-def: $sgpr40
	s_and_saveexec_b64 s[36:37], vcc
; %bb.225:                              ;   in Loop: Header=BB269_12 Depth=1
	s_mov_b32 s40, 0x7fc02000
	s_xor_b64 s[30:31], exec, -1
; %bb.226:                              ;   in Loop: Header=BB269_12 Depth=1
	s_or_b64 exec, exec, s[36:37]
	s_and_b64 s[30:31], s[30:31], exec
.LBB269_227:                            ;   in Loop: Header=BB269_12 Depth=1
	s_or_saveexec_b64 s[34:35], s[34:35]
	v_mov_b32_e32 v1, s40
	scratch_store_dword off, v1, s32 offset:300 ; 4-byte Folded Spill
	s_xor_b64 exec, exec, s[34:35]
	s_cbranch_execz .LBB269_229
; %bb.228:                              ;   in Loop: Header=BB269_12 Depth=1
	v_cmp_ne_u16_e32 vcc, 0, v4
	s_andn2_b64 s[30:31], s[30:31], exec
	s_and_b64 vcc, vcc, exec
	v_mov_b32_e32 v1, 0
	s_or_b64 s[30:31], s[30:31], vcc
	scratch_store_dword off, v1, s32 offset:300 ; 4-byte Folded Spill
.LBB269_229:                            ;   in Loop: Header=BB269_12 Depth=1
	s_or_b64 exec, exec, s[34:35]
	s_and_saveexec_b64 s[34:35], s[30:31]
	s_cbranch_execz .LBB269_231
; %bb.230:                              ;   in Loop: Header=BB269_12 Depth=1
	v_bfe_u32 v1, v36, 24, 3
	v_ffbh_u32_e32 v2, v1
	v_min_u32_e32 v7, 32, v2
	v_subrev_u32_e32 v2, 28, v7
	v_bfe_u32 v6, v36, 27, 4
	v_lshlrev_b64 v[2:3], v2, v[4:5]
	v_sub_u32_e32 v3, 29, v7
	v_cmp_eq_u32_e32 vcc, 0, v6
	v_and_b32_e32 v2, 7, v2
	s_nop 0
	v_cndmask_b32_e32 v3, v6, v3, vcc
	v_cndmask_b32_e32 v1, v1, v2, vcc
	v_lshlrev_b32_e32 v2, 8, v4
	v_lshl_add_u32 v3, v3, 10, v55
	v_and_or_b32 v2, v2, s39, v3
	v_lshl_or_b32 v1, v1, 7, v2
	v_cvt_f32_f16_e32 v1, v1
	scratch_store_dword off, v1, s32 offset:300 ; 4-byte Folded Spill
.LBB269_231:                            ;   in Loop: Header=BB269_12 Depth=1
	s_or_b64 exec, exec, s[34:35]
	flat_load_dword v36, v[34:35] offset:2048
	s_mov_b64 vcc, 0
                                        ; implicit-def: $sgpr36
	s_waitcnt vmcnt(0) lgkmcnt(0)
	v_cmp_gt_i16_sdwa s[30:31], v36, s17 src0_sel:BYTE_0 src1_sel:DWORD
	s_and_saveexec_b64 s[34:35], s[30:31]
	s_xor_b64 s[30:31], exec, s[34:35]
	s_cbranch_execnz .LBB269_557
; %bb.232:                              ;   in Loop: Header=BB269_12 Depth=1
	s_or_saveexec_b64 s[30:31], s[30:31]
	v_mov_b32_e32 v1, s36
	s_xor_b64 exec, exec, s[30:31]
	s_cbranch_execnz .LBB269_560
.LBB269_233:                            ;   in Loop: Header=BB269_12 Depth=1
	s_or_b64 exec, exec, s[30:31]
	s_and_saveexec_b64 s[30:31], vcc
	s_cbranch_execz .LBB269_235
.LBB269_234:                            ;   in Loop: Header=BB269_12 Depth=1
	v_and_b32_e32 v1, 7, v36
	v_ffbh_u32_e32 v2, v1
	v_min_u32_e32 v6, 32, v2
	v_subrev_u32_e32 v2, 28, v6
	v_bfe_u32 v4, v36, 3, 4
	v_lshlrev_b64 v[2:3], v2, v[36:37]
	v_sub_u32_e32 v3, 29, v6
	v_cmp_eq_u32_e32 vcc, 0, v4
	v_and_b32_e32 v2, 7, v2
	s_nop 0
	v_cndmask_b32_e32 v3, v4, v3, vcc
	v_cndmask_b32_e32 v1, v1, v2, vcc
	v_lshlrev_b32_e32 v2, 8, v36
	v_lshl_add_u32 v3, v3, 10, v55
	v_and_or_b32 v2, v2, s39, v3
	v_lshl_or_b32 v1, v1, 7, v2
	v_cvt_f32_f16_e32 v1, v1
.LBB269_235:                            ;   in Loop: Header=BB269_12 Depth=1
	s_or_b64 exec, exec, s[30:31]
	v_lshrrev_b16_e32 v4, 8, v36
	v_accvgpr_write_b32 a59, v1
	v_cmp_lt_i16_e32 vcc, s17, v4
	s_mov_b64 s[30:31], 0
                                        ; implicit-def: $sgpr40
	s_and_saveexec_b64 s[34:35], vcc
	s_xor_b64 s[34:35], exec, s[34:35]
	s_cbranch_execz .LBB269_239
; %bb.236:                              ;   in Loop: Header=BB269_12 Depth=1
	v_cmp_eq_u16_e32 vcc, s38, v4
	s_mov_b64 s[30:31], -1
                                        ; implicit-def: $sgpr40
	s_and_saveexec_b64 s[36:37], vcc
; %bb.237:                              ;   in Loop: Header=BB269_12 Depth=1
	s_mov_b32 s40, 0x7fc02000
	s_xor_b64 s[30:31], exec, -1
; %bb.238:                              ;   in Loop: Header=BB269_12 Depth=1
	s_or_b64 exec, exec, s[36:37]
	s_and_b64 s[30:31], s[30:31], exec
.LBB269_239:                            ;   in Loop: Header=BB269_12 Depth=1
	s_or_saveexec_b64 s[34:35], s[34:35]
	v_mov_b32_e32 v1, s40
	scratch_store_dword off, v1, s32 offset:304 ; 4-byte Folded Spill
	s_xor_b64 exec, exec, s[34:35]
	s_cbranch_execz .LBB269_241
; %bb.240:                              ;   in Loop: Header=BB269_12 Depth=1
	v_cmp_ne_u16_e32 vcc, 0, v4
	s_andn2_b64 s[30:31], s[30:31], exec
	s_and_b64 vcc, vcc, exec
	v_mov_b32_e32 v1, 0
	s_or_b64 s[30:31], s[30:31], vcc
	scratch_store_dword off, v1, s32 offset:304 ; 4-byte Folded Spill
.LBB269_241:                            ;   in Loop: Header=BB269_12 Depth=1
	s_or_b64 exec, exec, s[34:35]
	s_and_saveexec_b64 s[34:35], s[30:31]
	s_cbranch_execz .LBB269_243
; %bb.242:                              ;   in Loop: Header=BB269_12 Depth=1
	v_and_b32_e32 v1, 7, v4
	v_ffbh_u32_e32 v2, v1
	v_min_u32_e32 v7, 32, v2
	v_subrev_u32_e32 v2, 28, v7
	v_bfe_u32 v6, v4, 3, 4
	v_lshlrev_b64 v[2:3], v2, v[4:5]
	v_sub_u32_e32 v3, 29, v7
	v_cmp_eq_u32_e32 vcc, 0, v6
	v_and_b32_e32 v2, 7, v2
	s_nop 0
	v_cndmask_b32_e32 v3, v6, v3, vcc
	v_cndmask_b32_e32 v1, v1, v2, vcc
	v_lshlrev_b32_e32 v2, 8, v4
	v_lshl_add_u32 v3, v3, 10, v55
	v_and_or_b32 v2, v2, s39, v3
	v_lshl_or_b32 v1, v1, 7, v2
	v_cvt_f32_f16_e32 v1, v1
	scratch_store_dword off, v1, s32 offset:304 ; 4-byte Folded Spill
.LBB269_243:                            ;   in Loop: Header=BB269_12 Depth=1
	s_or_b64 exec, exec, s[34:35]
	v_lshrrev_b32_e32 v4, 16, v36
	v_cmp_gt_i16_sdwa s[30:31], v4, s17 src0_sel:BYTE_0 src1_sel:DWORD
	s_mov_b64 vcc, 0
                                        ; implicit-def: $sgpr36
	s_and_saveexec_b64 s[34:35], s[30:31]
	s_xor_b64 s[30:31], exec, s[34:35]
	s_cbranch_execz .LBB269_247
; %bb.244:                              ;   in Loop: Header=BB269_12 Depth=1
	v_cmp_eq_u16_sdwa s[40:41], v4, s38 src0_sel:BYTE_0 src1_sel:DWORD
	s_mov_b64 vcc, -1
                                        ; implicit-def: $sgpr36
	s_and_saveexec_b64 s[34:35], s[40:41]
; %bb.245:                              ;   in Loop: Header=BB269_12 Depth=1
	s_mov_b32 s36, 0x7fc02000
	s_xor_b64 vcc, exec, -1
; %bb.246:                              ;   in Loop: Header=BB269_12 Depth=1
	s_or_b64 exec, exec, s[34:35]
	s_and_b64 vcc, vcc, exec
.LBB269_247:                            ;   in Loop: Header=BB269_12 Depth=1
	s_or_saveexec_b64 s[30:31], s[30:31]
	v_mov_b32_e32 v1, s36
	scratch_store_dword off, v1, s32 offset:308 ; 4-byte Folded Spill
	s_xor_b64 exec, exec, s[30:31]
	s_cbranch_execz .LBB269_249
; %bb.248:                              ;   in Loop: Header=BB269_12 Depth=1
	v_cmp_ne_u16_sdwa s[34:35], v4, v5 src0_sel:BYTE_0 src1_sel:DWORD
	s_andn2_b64 vcc, vcc, exec
	s_and_b64 s[34:35], s[34:35], exec
	v_mov_b32_e32 v1, 0
	s_or_b64 vcc, vcc, s[34:35]
	scratch_store_dword off, v1, s32 offset:308 ; 4-byte Folded Spill
.LBB269_249:                            ;   in Loop: Header=BB269_12 Depth=1
	s_or_b64 exec, exec, s[30:31]
	s_and_saveexec_b64 s[30:31], vcc
	s_cbranch_execz .LBB269_251
; %bb.250:                              ;   in Loop: Header=BB269_12 Depth=1
	v_bfe_u32 v1, v36, 16, 3
	v_ffbh_u32_e32 v2, v1
	v_min_u32_e32 v7, 32, v2
	v_subrev_u32_e32 v2, 28, v7
	v_bfe_u32 v6, v36, 19, 4
	v_lshlrev_b64 v[2:3], v2, v[4:5]
	v_sub_u32_e32 v3, 29, v7
	v_cmp_eq_u32_e32 vcc, 0, v6
	v_and_b32_e32 v2, 7, v2
	s_nop 0
	v_cndmask_b32_e32 v3, v6, v3, vcc
	v_cndmask_b32_e32 v1, v1, v2, vcc
	v_lshlrev_b32_e32 v2, 8, v4
	v_lshl_add_u32 v3, v3, 10, v55
	v_and_or_b32 v2, v2, s39, v3
	v_lshl_or_b32 v1, v1, 7, v2
	v_cvt_f32_f16_e32 v1, v1
	scratch_store_dword off, v1, s32 offset:308 ; 4-byte Folded Spill
.LBB269_251:                            ;   in Loop: Header=BB269_12 Depth=1
	s_or_b64 exec, exec, s[30:31]
	v_lshrrev_b32_e32 v4, 24, v36
	v_cmp_lt_i16_e32 vcc, s17, v4
	s_mov_b64 s[30:31], 0
                                        ; implicit-def: $sgpr40
	s_and_saveexec_b64 s[34:35], vcc
	s_xor_b64 s[34:35], exec, s[34:35]
	s_cbranch_execz .LBB269_255
; %bb.252:                              ;   in Loop: Header=BB269_12 Depth=1
	v_cmp_eq_u16_e32 vcc, s38, v4
	s_mov_b64 s[30:31], -1
                                        ; implicit-def: $sgpr40
	s_and_saveexec_b64 s[36:37], vcc
; %bb.253:                              ;   in Loop: Header=BB269_12 Depth=1
	s_mov_b32 s40, 0x7fc02000
	s_xor_b64 s[30:31], exec, -1
; %bb.254:                              ;   in Loop: Header=BB269_12 Depth=1
	s_or_b64 exec, exec, s[36:37]
	s_and_b64 s[30:31], s[30:31], exec
.LBB269_255:                            ;   in Loop: Header=BB269_12 Depth=1
	s_or_saveexec_b64 s[34:35], s[34:35]
	v_mov_b32_e32 v1, s40
	scratch_store_dword off, v1, s32 offset:312 ; 4-byte Folded Spill
	s_xor_b64 exec, exec, s[34:35]
	s_cbranch_execz .LBB269_257
; %bb.256:                              ;   in Loop: Header=BB269_12 Depth=1
	v_cmp_ne_u16_e32 vcc, 0, v4
	s_andn2_b64 s[30:31], s[30:31], exec
	s_and_b64 vcc, vcc, exec
	v_mov_b32_e32 v1, 0
	s_or_b64 s[30:31], s[30:31], vcc
	scratch_store_dword off, v1, s32 offset:312 ; 4-byte Folded Spill
.LBB269_257:                            ;   in Loop: Header=BB269_12 Depth=1
	s_or_b64 exec, exec, s[34:35]
	s_and_saveexec_b64 s[34:35], s[30:31]
	s_cbranch_execz .LBB269_259
; %bb.258:                              ;   in Loop: Header=BB269_12 Depth=1
	v_bfe_u32 v1, v36, 24, 3
	v_ffbh_u32_e32 v2, v1
	v_min_u32_e32 v7, 32, v2
	v_subrev_u32_e32 v2, 28, v7
	v_bfe_u32 v6, v36, 27, 4
	v_lshlrev_b64 v[2:3], v2, v[4:5]
	v_sub_u32_e32 v3, 29, v7
	v_cmp_eq_u32_e32 vcc, 0, v6
	v_and_b32_e32 v2, 7, v2
	s_nop 0
	v_cndmask_b32_e32 v3, v6, v3, vcc
	v_cndmask_b32_e32 v1, v1, v2, vcc
	v_lshlrev_b32_e32 v2, 8, v4
	v_lshl_add_u32 v3, v3, 10, v55
	v_and_or_b32 v2, v2, s39, v3
	v_lshl_or_b32 v1, v1, 7, v2
	v_cvt_f32_f16_e32 v1, v1
	scratch_store_dword off, v1, s32 offset:312 ; 4-byte Folded Spill
.LBB269_259:                            ;   in Loop: Header=BB269_12 Depth=1
	s_or_b64 exec, exec, s[34:35]
	flat_load_dword v36, v[34:35] offset:2056
	s_mov_b64 vcc, 0
                                        ; implicit-def: $sgpr36
	s_waitcnt vmcnt(0) lgkmcnt(0)
	v_cmp_gt_i16_sdwa s[30:31], v36, s17 src0_sel:BYTE_0 src1_sel:DWORD
	s_and_saveexec_b64 s[34:35], s[30:31]
	s_xor_b64 s[30:31], exec, s[34:35]
	s_cbranch_execnz .LBB269_561
; %bb.260:                              ;   in Loop: Header=BB269_12 Depth=1
	s_or_saveexec_b64 s[30:31], s[30:31]
	v_mov_b32_e32 v1, s36
	s_xor_b64 exec, exec, s[30:31]
	s_cbranch_execnz .LBB269_564
.LBB269_261:                            ;   in Loop: Header=BB269_12 Depth=1
	s_or_b64 exec, exec, s[30:31]
	s_and_saveexec_b64 s[30:31], vcc
	s_cbranch_execz .LBB269_263
.LBB269_262:                            ;   in Loop: Header=BB269_12 Depth=1
	v_and_b32_e32 v1, 7, v36
	v_ffbh_u32_e32 v2, v1
	v_min_u32_e32 v6, 32, v2
	v_subrev_u32_e32 v2, 28, v6
	v_bfe_u32 v4, v36, 3, 4
	v_lshlrev_b64 v[2:3], v2, v[36:37]
	v_sub_u32_e32 v3, 29, v6
	v_cmp_eq_u32_e32 vcc, 0, v4
	v_and_b32_e32 v2, 7, v2
	s_nop 0
	v_cndmask_b32_e32 v3, v4, v3, vcc
	v_cndmask_b32_e32 v1, v1, v2, vcc
	v_lshlrev_b32_e32 v2, 8, v36
	v_lshl_add_u32 v3, v3, 10, v55
	v_and_or_b32 v2, v2, s39, v3
	v_lshl_or_b32 v1, v1, 7, v2
	v_cvt_f32_f16_e32 v1, v1
.LBB269_263:                            ;   in Loop: Header=BB269_12 Depth=1
	s_or_b64 exec, exec, s[30:31]
	v_lshrrev_b16_e32 v4, 8, v36
	v_accvgpr_write_b32 a60, v1
	v_cmp_lt_i16_e32 vcc, s17, v4
	s_mov_b64 s[30:31], 0
                                        ; implicit-def: $sgpr40
	s_and_saveexec_b64 s[34:35], vcc
	s_xor_b64 s[34:35], exec, s[34:35]
	s_cbranch_execz .LBB269_267
; %bb.264:                              ;   in Loop: Header=BB269_12 Depth=1
	v_cmp_eq_u16_e32 vcc, s38, v4
	s_mov_b64 s[30:31], -1
                                        ; implicit-def: $sgpr40
	s_and_saveexec_b64 s[36:37], vcc
; %bb.265:                              ;   in Loop: Header=BB269_12 Depth=1
	s_mov_b32 s40, 0x7fc02000
	s_xor_b64 s[30:31], exec, -1
; %bb.266:                              ;   in Loop: Header=BB269_12 Depth=1
	s_or_b64 exec, exec, s[36:37]
	s_and_b64 s[30:31], s[30:31], exec
.LBB269_267:                            ;   in Loop: Header=BB269_12 Depth=1
	s_or_saveexec_b64 s[34:35], s[34:35]
	v_mov_b32_e32 v1, s40
	scratch_store_dword off, v1, s32 offset:316 ; 4-byte Folded Spill
	s_xor_b64 exec, exec, s[34:35]
	s_cbranch_execz .LBB269_269
; %bb.268:                              ;   in Loop: Header=BB269_12 Depth=1
	v_cmp_ne_u16_e32 vcc, 0, v4
	s_andn2_b64 s[30:31], s[30:31], exec
	s_and_b64 vcc, vcc, exec
	v_mov_b32_e32 v1, 0
	s_or_b64 s[30:31], s[30:31], vcc
	scratch_store_dword off, v1, s32 offset:316 ; 4-byte Folded Spill
.LBB269_269:                            ;   in Loop: Header=BB269_12 Depth=1
	s_or_b64 exec, exec, s[34:35]
	s_and_saveexec_b64 s[34:35], s[30:31]
	s_cbranch_execz .LBB269_271
; %bb.270:                              ;   in Loop: Header=BB269_12 Depth=1
	v_and_b32_e32 v1, 7, v4
	v_ffbh_u32_e32 v2, v1
	v_min_u32_e32 v7, 32, v2
	v_subrev_u32_e32 v2, 28, v7
	v_bfe_u32 v6, v4, 3, 4
	v_lshlrev_b64 v[2:3], v2, v[4:5]
	v_sub_u32_e32 v3, 29, v7
	v_cmp_eq_u32_e32 vcc, 0, v6
	v_and_b32_e32 v2, 7, v2
	s_nop 0
	v_cndmask_b32_e32 v3, v6, v3, vcc
	v_cndmask_b32_e32 v1, v1, v2, vcc
	v_lshlrev_b32_e32 v2, 8, v4
	v_lshl_add_u32 v3, v3, 10, v55
	v_and_or_b32 v2, v2, s39, v3
	v_lshl_or_b32 v1, v1, 7, v2
	v_cvt_f32_f16_e32 v1, v1
	scratch_store_dword off, v1, s32 offset:316 ; 4-byte Folded Spill
.LBB269_271:                            ;   in Loop: Header=BB269_12 Depth=1
	s_or_b64 exec, exec, s[34:35]
	v_lshrrev_b32_e32 v4, 16, v36
	v_cmp_gt_i16_sdwa s[30:31], v4, s17 src0_sel:BYTE_0 src1_sel:DWORD
	s_mov_b64 vcc, 0
                                        ; implicit-def: $sgpr36
	s_and_saveexec_b64 s[34:35], s[30:31]
	s_xor_b64 s[30:31], exec, s[34:35]
	s_cbranch_execz .LBB269_275
; %bb.272:                              ;   in Loop: Header=BB269_12 Depth=1
	v_cmp_eq_u16_sdwa s[40:41], v4, s38 src0_sel:BYTE_0 src1_sel:DWORD
	s_mov_b64 vcc, -1
                                        ; implicit-def: $sgpr36
	s_and_saveexec_b64 s[34:35], s[40:41]
; %bb.273:                              ;   in Loop: Header=BB269_12 Depth=1
	s_mov_b32 s36, 0x7fc02000
	s_xor_b64 vcc, exec, -1
; %bb.274:                              ;   in Loop: Header=BB269_12 Depth=1
	s_or_b64 exec, exec, s[34:35]
	s_and_b64 vcc, vcc, exec
.LBB269_275:                            ;   in Loop: Header=BB269_12 Depth=1
	s_or_saveexec_b64 s[30:31], s[30:31]
	v_mov_b32_e32 v1, s36
	scratch_store_dword off, v1, s32 offset:320 ; 4-byte Folded Spill
	s_xor_b64 exec, exec, s[30:31]
	s_cbranch_execz .LBB269_277
; %bb.276:                              ;   in Loop: Header=BB269_12 Depth=1
	v_cmp_ne_u16_sdwa s[34:35], v4, v5 src0_sel:BYTE_0 src1_sel:DWORD
	s_andn2_b64 vcc, vcc, exec
	s_and_b64 s[34:35], s[34:35], exec
	v_mov_b32_e32 v1, 0
	s_or_b64 vcc, vcc, s[34:35]
	scratch_store_dword off, v1, s32 offset:320 ; 4-byte Folded Spill
.LBB269_277:                            ;   in Loop: Header=BB269_12 Depth=1
	s_or_b64 exec, exec, s[30:31]
	s_and_saveexec_b64 s[30:31], vcc
	s_cbranch_execz .LBB269_279
; %bb.278:                              ;   in Loop: Header=BB269_12 Depth=1
	v_bfe_u32 v1, v36, 16, 3
	v_ffbh_u32_e32 v2, v1
	v_min_u32_e32 v7, 32, v2
	v_subrev_u32_e32 v2, 28, v7
	v_bfe_u32 v6, v36, 19, 4
	v_lshlrev_b64 v[2:3], v2, v[4:5]
	v_sub_u32_e32 v3, 29, v7
	v_cmp_eq_u32_e32 vcc, 0, v6
	v_and_b32_e32 v2, 7, v2
	s_nop 0
	v_cndmask_b32_e32 v3, v6, v3, vcc
	v_cndmask_b32_e32 v1, v1, v2, vcc
	v_lshlrev_b32_e32 v2, 8, v4
	v_lshl_add_u32 v3, v3, 10, v55
	v_and_or_b32 v2, v2, s39, v3
	v_lshl_or_b32 v1, v1, 7, v2
	v_cvt_f32_f16_e32 v1, v1
	scratch_store_dword off, v1, s32 offset:320 ; 4-byte Folded Spill
.LBB269_279:                            ;   in Loop: Header=BB269_12 Depth=1
	s_or_b64 exec, exec, s[30:31]
	v_lshrrev_b32_e32 v4, 24, v36
	v_cmp_lt_i16_e32 vcc, s17, v4
	s_mov_b64 s[30:31], 0
                                        ; implicit-def: $sgpr40
	s_and_saveexec_b64 s[34:35], vcc
	s_xor_b64 s[34:35], exec, s[34:35]
	s_cbranch_execz .LBB269_283
; %bb.280:                              ;   in Loop: Header=BB269_12 Depth=1
	v_cmp_eq_u16_e32 vcc, s38, v4
	s_mov_b64 s[30:31], -1
                                        ; implicit-def: $sgpr40
	s_and_saveexec_b64 s[36:37], vcc
; %bb.281:                              ;   in Loop: Header=BB269_12 Depth=1
	s_mov_b32 s40, 0x7fc02000
	s_xor_b64 s[30:31], exec, -1
; %bb.282:                              ;   in Loop: Header=BB269_12 Depth=1
	s_or_b64 exec, exec, s[36:37]
	s_and_b64 s[30:31], s[30:31], exec
.LBB269_283:                            ;   in Loop: Header=BB269_12 Depth=1
	s_or_saveexec_b64 s[34:35], s[34:35]
	v_mov_b32_e32 v1, s40
	scratch_store_dword off, v1, s32 offset:324 ; 4-byte Folded Spill
	s_xor_b64 exec, exec, s[34:35]
	s_cbranch_execz .LBB269_285
; %bb.284:                              ;   in Loop: Header=BB269_12 Depth=1
	v_cmp_ne_u16_e32 vcc, 0, v4
	s_andn2_b64 s[30:31], s[30:31], exec
	s_and_b64 vcc, vcc, exec
	v_mov_b32_e32 v1, 0
	s_or_b64 s[30:31], s[30:31], vcc
	scratch_store_dword off, v1, s32 offset:324 ; 4-byte Folded Spill
.LBB269_285:                            ;   in Loop: Header=BB269_12 Depth=1
	s_or_b64 exec, exec, s[34:35]
	s_and_saveexec_b64 s[34:35], s[30:31]
	s_cbranch_execz .LBB269_287
; %bb.286:                              ;   in Loop: Header=BB269_12 Depth=1
	v_bfe_u32 v1, v36, 24, 3
	v_ffbh_u32_e32 v2, v1
	v_min_u32_e32 v7, 32, v2
	v_subrev_u32_e32 v2, 28, v7
	v_bfe_u32 v6, v36, 27, 4
	v_lshlrev_b64 v[2:3], v2, v[4:5]
	v_sub_u32_e32 v3, 29, v7
	v_cmp_eq_u32_e32 vcc, 0, v6
	v_and_b32_e32 v2, 7, v2
	s_nop 0
	v_cndmask_b32_e32 v3, v6, v3, vcc
	v_cndmask_b32_e32 v1, v1, v2, vcc
	v_lshlrev_b32_e32 v2, 8, v4
	v_lshl_add_u32 v3, v3, 10, v55
	v_and_or_b32 v2, v2, s39, v3
	v_lshl_or_b32 v1, v1, 7, v2
	v_cvt_f32_f16_e32 v1, v1
	scratch_store_dword off, v1, s32 offset:324 ; 4-byte Folded Spill
.LBB269_287:                            ;   in Loop: Header=BB269_12 Depth=1
	s_or_b64 exec, exec, s[34:35]
	flat_load_dword v36, v[34:35] offset:2560
	s_mov_b64 vcc, 0
                                        ; implicit-def: $sgpr36
	s_waitcnt vmcnt(0) lgkmcnt(0)
	v_cmp_gt_i16_sdwa s[30:31], v36, s17 src0_sel:BYTE_0 src1_sel:DWORD
	s_and_saveexec_b64 s[34:35], s[30:31]
	s_xor_b64 s[30:31], exec, s[34:35]
	s_cbranch_execnz .LBB269_565
; %bb.288:                              ;   in Loop: Header=BB269_12 Depth=1
	s_or_saveexec_b64 s[30:31], s[30:31]
	v_mov_b32_e32 v1, s36
	s_xor_b64 exec, exec, s[30:31]
	s_cbranch_execnz .LBB269_568
.LBB269_289:                            ;   in Loop: Header=BB269_12 Depth=1
	s_or_b64 exec, exec, s[30:31]
	s_and_saveexec_b64 s[30:31], vcc
	s_cbranch_execz .LBB269_291
.LBB269_290:                            ;   in Loop: Header=BB269_12 Depth=1
	v_and_b32_e32 v1, 7, v36
	v_ffbh_u32_e32 v2, v1
	v_min_u32_e32 v6, 32, v2
	v_subrev_u32_e32 v2, 28, v6
	v_bfe_u32 v4, v36, 3, 4
	v_lshlrev_b64 v[2:3], v2, v[36:37]
	v_sub_u32_e32 v3, 29, v6
	v_cmp_eq_u32_e32 vcc, 0, v4
	v_and_b32_e32 v2, 7, v2
	s_nop 0
	v_cndmask_b32_e32 v3, v4, v3, vcc
	v_cndmask_b32_e32 v1, v1, v2, vcc
	v_lshlrev_b32_e32 v2, 8, v36
	v_lshl_add_u32 v3, v3, 10, v55
	v_and_or_b32 v2, v2, s39, v3
	v_lshl_or_b32 v1, v1, 7, v2
	v_cvt_f32_f16_e32 v1, v1
.LBB269_291:                            ;   in Loop: Header=BB269_12 Depth=1
	s_or_b64 exec, exec, s[30:31]
	v_lshrrev_b16_e32 v4, 8, v36
	v_accvgpr_write_b32 a61, v1
	v_cmp_lt_i16_e32 vcc, s17, v4
	s_mov_b64 s[30:31], 0
                                        ; implicit-def: $sgpr40
	s_and_saveexec_b64 s[34:35], vcc
	s_xor_b64 s[34:35], exec, s[34:35]
	s_cbranch_execnz .LBB269_569
; %bb.292:                              ;   in Loop: Header=BB269_12 Depth=1
	s_or_saveexec_b64 s[34:35], s[34:35]
	v_mov_b32_e32 v60, s40
	s_xor_b64 exec, exec, s[34:35]
	s_cbranch_execnz .LBB269_572
.LBB269_293:                            ;   in Loop: Header=BB269_12 Depth=1
	s_or_b64 exec, exec, s[34:35]
	s_and_saveexec_b64 s[34:35], s[30:31]
	s_cbranch_execz .LBB269_295
.LBB269_294:                            ;   in Loop: Header=BB269_12 Depth=1
	v_and_b32_e32 v1, 7, v4
	v_ffbh_u32_e32 v2, v1
	v_min_u32_e32 v7, 32, v2
	v_subrev_u32_e32 v2, 28, v7
	v_bfe_u32 v6, v4, 3, 4
	v_lshlrev_b64 v[2:3], v2, v[4:5]
	v_sub_u32_e32 v3, 29, v7
	v_cmp_eq_u32_e32 vcc, 0, v6
	v_and_b32_e32 v2, 7, v2
	s_nop 0
	v_cndmask_b32_e32 v3, v6, v3, vcc
	v_cndmask_b32_e32 v1, v1, v2, vcc
	v_lshlrev_b32_e32 v2, 8, v4
	v_lshl_add_u32 v3, v3, 10, v55
	v_and_or_b32 v2, v2, s39, v3
	v_lshl_or_b32 v1, v1, 7, v2
	v_cvt_f32_f16_e32 v60, v1
.LBB269_295:                            ;   in Loop: Header=BB269_12 Depth=1
	s_or_b64 exec, exec, s[34:35]
	v_lshrrev_b32_e32 v4, 16, v36
	v_cmp_gt_i16_sdwa s[30:31], v4, s17 src0_sel:BYTE_0 src1_sel:DWORD
	s_mov_b64 vcc, 0
                                        ; implicit-def: $sgpr36
	s_and_saveexec_b64 s[34:35], s[30:31]
	s_xor_b64 s[30:31], exec, s[34:35]
	s_cbranch_execnz .LBB269_573
; %bb.296:                              ;   in Loop: Header=BB269_12 Depth=1
	s_or_saveexec_b64 s[30:31], s[30:31]
	v_mov_b32_e32 v57, s36
	s_xor_b64 exec, exec, s[30:31]
	s_cbranch_execnz .LBB269_576
.LBB269_297:                            ;   in Loop: Header=BB269_12 Depth=1
	s_or_b64 exec, exec, s[30:31]
	s_and_saveexec_b64 s[30:31], vcc
	s_cbranch_execz .LBB269_299
.LBB269_298:                            ;   in Loop: Header=BB269_12 Depth=1
	v_bfe_u32 v1, v36, 16, 3
	v_ffbh_u32_e32 v2, v1
	v_min_u32_e32 v7, 32, v2
	v_subrev_u32_e32 v2, 28, v7
	v_bfe_u32 v6, v36, 19, 4
	v_lshlrev_b64 v[2:3], v2, v[4:5]
	v_sub_u32_e32 v3, 29, v7
	v_cmp_eq_u32_e32 vcc, 0, v6
	v_and_b32_e32 v2, 7, v2
	s_nop 0
	v_cndmask_b32_e32 v3, v6, v3, vcc
	v_cndmask_b32_e32 v1, v1, v2, vcc
	v_lshlrev_b32_e32 v2, 8, v4
	v_lshl_add_u32 v3, v3, 10, v55
	v_and_or_b32 v2, v2, s39, v3
	v_lshl_or_b32 v1, v1, 7, v2
	v_cvt_f32_f16_e32 v57, v1
.LBB269_299:                            ;   in Loop: Header=BB269_12 Depth=1
	s_or_b64 exec, exec, s[30:31]
	v_lshrrev_b32_e32 v4, 24, v36
	v_cmp_lt_i16_e32 vcc, s17, v4
	s_mov_b64 s[30:31], 0
                                        ; implicit-def: $sgpr40
	s_and_saveexec_b64 s[34:35], vcc
	s_xor_b64 s[34:35], exec, s[34:35]
	s_cbranch_execnz .LBB269_577
; %bb.300:                              ;   in Loop: Header=BB269_12 Depth=1
	s_or_saveexec_b64 s[34:35], s[34:35]
	v_mov_b32_e32 v56, s40
	s_xor_b64 exec, exec, s[34:35]
	s_cbranch_execnz .LBB269_580
.LBB269_301:                            ;   in Loop: Header=BB269_12 Depth=1
	s_or_b64 exec, exec, s[34:35]
	s_and_saveexec_b64 s[34:35], s[30:31]
	s_cbranch_execz .LBB269_303
.LBB269_302:                            ;   in Loop: Header=BB269_12 Depth=1
	v_bfe_u32 v1, v36, 24, 3
	v_ffbh_u32_e32 v2, v1
	v_min_u32_e32 v7, 32, v2
	v_subrev_u32_e32 v2, 28, v7
	v_bfe_u32 v6, v36, 27, 4
	v_lshlrev_b64 v[2:3], v2, v[4:5]
	v_sub_u32_e32 v3, 29, v7
	v_cmp_eq_u32_e32 vcc, 0, v6
	v_and_b32_e32 v2, 7, v2
	s_nop 0
	v_cndmask_b32_e32 v3, v6, v3, vcc
	v_cndmask_b32_e32 v1, v1, v2, vcc
	v_lshlrev_b32_e32 v2, 8, v4
	v_lshl_add_u32 v3, v3, 10, v55
	v_and_or_b32 v2, v2, s39, v3
	v_lshl_or_b32 v1, v1, 7, v2
	v_cvt_f32_f16_e32 v56, v1
.LBB269_303:                            ;   in Loop: Header=BB269_12 Depth=1
	s_or_b64 exec, exec, s[34:35]
	flat_load_dword v36, v[34:35] offset:2568
	s_mov_b64 vcc, 0
                                        ; implicit-def: $sgpr36
	s_waitcnt vmcnt(0) lgkmcnt(0)
	v_cmp_gt_i16_sdwa s[30:31], v36, s17 src0_sel:BYTE_0 src1_sel:DWORD
	s_and_saveexec_b64 s[34:35], s[30:31]
	s_xor_b64 s[30:31], exec, s[34:35]
	s_cbranch_execnz .LBB269_581
; %bb.304:                              ;   in Loop: Header=BB269_12 Depth=1
	s_or_saveexec_b64 s[30:31], s[30:31]
	v_mov_b32_e32 v58, s36
	s_xor_b64 exec, exec, s[30:31]
	s_cbranch_execnz .LBB269_584
.LBB269_305:                            ;   in Loop: Header=BB269_12 Depth=1
	s_or_b64 exec, exec, s[30:31]
	s_and_saveexec_b64 s[30:31], vcc
	s_cbranch_execz .LBB269_307
.LBB269_306:                            ;   in Loop: Header=BB269_12 Depth=1
	v_and_b32_e32 v1, 7, v36
	v_ffbh_u32_e32 v2, v1
	v_min_u32_e32 v6, 32, v2
	v_subrev_u32_e32 v2, 28, v6
	v_bfe_u32 v4, v36, 3, 4
	v_lshlrev_b64 v[2:3], v2, v[36:37]
	v_sub_u32_e32 v3, 29, v6
	v_cmp_eq_u32_e32 vcc, 0, v4
	v_and_b32_e32 v2, 7, v2
	s_nop 0
	v_cndmask_b32_e32 v3, v4, v3, vcc
	v_cndmask_b32_e32 v1, v1, v2, vcc
	v_lshlrev_b32_e32 v2, 8, v36
	v_lshl_add_u32 v3, v3, 10, v55
	v_and_or_b32 v2, v2, s39, v3
	v_lshl_or_b32 v1, v1, 7, v2
	v_cvt_f32_f16_e32 v58, v1
.LBB269_307:                            ;   in Loop: Header=BB269_12 Depth=1
	s_or_b64 exec, exec, s[30:31]
	v_lshrrev_b16_e32 v4, 8, v36
	v_cmp_lt_i16_e32 vcc, s17, v4
	s_mov_b64 s[30:31], 0
                                        ; implicit-def: $sgpr40
	s_and_saveexec_b64 s[34:35], vcc
	s_xor_b64 s[34:35], exec, s[34:35]
	s_cbranch_execnz .LBB269_585
; %bb.308:                              ;   in Loop: Header=BB269_12 Depth=1
	s_or_saveexec_b64 s[34:35], s[34:35]
	v_mov_b32_e32 v59, s40
	s_xor_b64 exec, exec, s[34:35]
	s_cbranch_execnz .LBB269_588
.LBB269_309:                            ;   in Loop: Header=BB269_12 Depth=1
	s_or_b64 exec, exec, s[34:35]
	s_and_saveexec_b64 s[34:35], s[30:31]
	s_cbranch_execz .LBB269_311
.LBB269_310:                            ;   in Loop: Header=BB269_12 Depth=1
	v_and_b32_e32 v1, 7, v4
	v_ffbh_u32_e32 v2, v1
	v_min_u32_e32 v7, 32, v2
	v_subrev_u32_e32 v2, 28, v7
	v_bfe_u32 v6, v4, 3, 4
	v_lshlrev_b64 v[2:3], v2, v[4:5]
	v_sub_u32_e32 v3, 29, v7
	v_cmp_eq_u32_e32 vcc, 0, v6
	v_and_b32_e32 v2, 7, v2
	s_nop 0
	v_cndmask_b32_e32 v3, v6, v3, vcc
	v_cndmask_b32_e32 v1, v1, v2, vcc
	v_lshlrev_b32_e32 v2, 8, v4
	v_lshl_add_u32 v3, v3, 10, v55
	v_and_or_b32 v2, v2, s39, v3
	v_lshl_or_b32 v1, v1, 7, v2
	v_cvt_f32_f16_e32 v59, v1
.LBB269_311:                            ;   in Loop: Header=BB269_12 Depth=1
	s_or_b64 exec, exec, s[34:35]
	v_lshrrev_b32_e32 v4, 16, v36
	v_cmp_gt_i16_sdwa s[30:31], v4, s17 src0_sel:BYTE_0 src1_sel:DWORD
	s_mov_b64 vcc, 0
                                        ; implicit-def: $sgpr36
	s_and_saveexec_b64 s[34:35], s[30:31]
	s_xor_b64 s[30:31], exec, s[34:35]
	s_cbranch_execnz .LBB269_589
; %bb.312:                              ;   in Loop: Header=BB269_12 Depth=1
	s_or_saveexec_b64 s[30:31], s[30:31]
	v_mov_b32_e32 v62, s36
	s_xor_b64 exec, exec, s[30:31]
	s_cbranch_execnz .LBB269_592
.LBB269_313:                            ;   in Loop: Header=BB269_12 Depth=1
	s_or_b64 exec, exec, s[30:31]
	s_and_saveexec_b64 s[30:31], vcc
	s_cbranch_execz .LBB269_315
.LBB269_314:                            ;   in Loop: Header=BB269_12 Depth=1
	v_bfe_u32 v1, v36, 16, 3
	v_ffbh_u32_e32 v2, v1
	v_min_u32_e32 v7, 32, v2
	v_subrev_u32_e32 v2, 28, v7
	v_bfe_u32 v6, v36, 19, 4
	v_lshlrev_b64 v[2:3], v2, v[4:5]
	v_sub_u32_e32 v3, 29, v7
	v_cmp_eq_u32_e32 vcc, 0, v6
	v_and_b32_e32 v2, 7, v2
	s_nop 0
	v_cndmask_b32_e32 v3, v6, v3, vcc
	v_cndmask_b32_e32 v1, v1, v2, vcc
	v_lshlrev_b32_e32 v2, 8, v4
	v_lshl_add_u32 v3, v3, 10, v55
	v_and_or_b32 v2, v2, s39, v3
	v_lshl_or_b32 v1, v1, 7, v2
	v_cvt_f32_f16_e32 v62, v1
.LBB269_315:                            ;   in Loop: Header=BB269_12 Depth=1
	s_or_b64 exec, exec, s[30:31]
	v_lshrrev_b32_e32 v4, 24, v36
	v_cmp_lt_i16_e32 vcc, s17, v4
	s_mov_b64 s[30:31], 0
                                        ; implicit-def: $sgpr40
	s_and_saveexec_b64 s[34:35], vcc
	s_xor_b64 s[34:35], exec, s[34:35]
	s_cbranch_execnz .LBB269_593
; %bb.316:                              ;   in Loop: Header=BB269_12 Depth=1
	s_or_saveexec_b64 s[34:35], s[34:35]
	v_mov_b32_e32 v47, s40
	s_xor_b64 exec, exec, s[34:35]
	s_cbranch_execnz .LBB269_596
.LBB269_317:                            ;   in Loop: Header=BB269_12 Depth=1
	s_or_b64 exec, exec, s[34:35]
	s_and_saveexec_b64 s[34:35], s[30:31]
	s_cbranch_execz .LBB269_319
.LBB269_318:                            ;   in Loop: Header=BB269_12 Depth=1
	v_bfe_u32 v1, v36, 24, 3
	v_ffbh_u32_e32 v2, v1
	v_min_u32_e32 v7, 32, v2
	v_subrev_u32_e32 v2, 28, v7
	v_bfe_u32 v6, v36, 27, 4
	v_lshlrev_b64 v[2:3], v2, v[4:5]
	v_sub_u32_e32 v3, 29, v7
	v_cmp_eq_u32_e32 vcc, 0, v6
	v_and_b32_e32 v2, 7, v2
	s_nop 0
	v_cndmask_b32_e32 v3, v6, v3, vcc
	v_cndmask_b32_e32 v1, v1, v2, vcc
	v_lshlrev_b32_e32 v2, 8, v4
	v_lshl_add_u32 v3, v3, 10, v55
	v_and_or_b32 v2, v2, s39, v3
	v_lshl_or_b32 v1, v1, 7, v2
	v_cvt_f32_f16_e32 v47, v1
.LBB269_319:                            ;   in Loop: Header=BB269_12 Depth=1
	s_or_b64 exec, exec, s[34:35]
	flat_load_dword v36, v[34:35] offset:3072
	s_mov_b64 vcc, 0
                                        ; implicit-def: $sgpr36
	s_waitcnt vmcnt(0) lgkmcnt(0)
	v_cmp_gt_i16_sdwa s[30:31], v36, s17 src0_sel:BYTE_0 src1_sel:DWORD
	s_and_saveexec_b64 s[34:35], s[30:31]
	s_xor_b64 s[30:31], exec, s[34:35]
	s_cbranch_execnz .LBB269_597
; %bb.320:                              ;   in Loop: Header=BB269_12 Depth=1
	s_or_saveexec_b64 s[30:31], s[30:31]
	v_mov_b32_e32 v61, s36
	s_xor_b64 exec, exec, s[30:31]
	s_cbranch_execnz .LBB269_600
.LBB269_321:                            ;   in Loop: Header=BB269_12 Depth=1
	s_or_b64 exec, exec, s[30:31]
	s_and_saveexec_b64 s[30:31], vcc
	s_cbranch_execz .LBB269_323
.LBB269_322:                            ;   in Loop: Header=BB269_12 Depth=1
	v_and_b32_e32 v1, 7, v36
	v_ffbh_u32_e32 v2, v1
	v_min_u32_e32 v6, 32, v2
	v_subrev_u32_e32 v2, 28, v6
	v_bfe_u32 v4, v36, 3, 4
	v_lshlrev_b64 v[2:3], v2, v[36:37]
	v_sub_u32_e32 v3, 29, v6
	v_cmp_eq_u32_e32 vcc, 0, v4
	v_and_b32_e32 v2, 7, v2
	s_nop 0
	v_cndmask_b32_e32 v3, v4, v3, vcc
	v_cndmask_b32_e32 v1, v1, v2, vcc
	v_lshlrev_b32_e32 v2, 8, v36
	v_lshl_add_u32 v3, v3, 10, v55
	v_and_or_b32 v2, v2, s39, v3
	v_lshl_or_b32 v1, v1, 7, v2
	v_cvt_f32_f16_e32 v61, v1
.LBB269_323:                            ;   in Loop: Header=BB269_12 Depth=1
	s_or_b64 exec, exec, s[30:31]
	v_lshrrev_b16_e32 v4, 8, v36
	v_cmp_lt_i16_e32 vcc, s17, v4
	s_mov_b64 s[30:31], 0
                                        ; implicit-def: $sgpr40
	s_and_saveexec_b64 s[34:35], vcc
	s_xor_b64 s[34:35], exec, s[34:35]
	s_cbranch_execnz .LBB269_601
; %bb.324:                              ;   in Loop: Header=BB269_12 Depth=1
	s_or_saveexec_b64 s[34:35], s[34:35]
	v_mov_b32_e32 v46, s40
	s_xor_b64 exec, exec, s[34:35]
	s_cbranch_execnz .LBB269_604
.LBB269_325:                            ;   in Loop: Header=BB269_12 Depth=1
	s_or_b64 exec, exec, s[34:35]
	s_and_saveexec_b64 s[34:35], s[30:31]
	s_cbranch_execz .LBB269_327
.LBB269_326:                            ;   in Loop: Header=BB269_12 Depth=1
	v_and_b32_e32 v1, 7, v4
	v_ffbh_u32_e32 v2, v1
	v_min_u32_e32 v7, 32, v2
	v_subrev_u32_e32 v2, 28, v7
	v_bfe_u32 v6, v4, 3, 4
	v_lshlrev_b64 v[2:3], v2, v[4:5]
	v_sub_u32_e32 v3, 29, v7
	v_cmp_eq_u32_e32 vcc, 0, v6
	v_and_b32_e32 v2, 7, v2
	s_nop 0
	v_cndmask_b32_e32 v3, v6, v3, vcc
	v_cndmask_b32_e32 v1, v1, v2, vcc
	v_lshlrev_b32_e32 v2, 8, v4
	v_lshl_add_u32 v3, v3, 10, v55
	v_and_or_b32 v2, v2, s39, v3
	v_lshl_or_b32 v1, v1, 7, v2
	v_cvt_f32_f16_e32 v46, v1
.LBB269_327:                            ;   in Loop: Header=BB269_12 Depth=1
	s_or_b64 exec, exec, s[34:35]
	v_lshrrev_b32_e32 v4, 16, v36
	v_cmp_gt_i16_sdwa s[30:31], v4, s17 src0_sel:BYTE_0 src1_sel:DWORD
	s_mov_b64 vcc, 0
                                        ; implicit-def: $sgpr36
	s_and_saveexec_b64 s[34:35], s[30:31]
	s_xor_b64 s[30:31], exec, s[34:35]
	s_cbranch_execnz .LBB269_605
; %bb.328:                              ;   in Loop: Header=BB269_12 Depth=1
	s_or_saveexec_b64 s[30:31], s[30:31]
	v_mov_b32_e32 v29, s36
	s_xor_b64 exec, exec, s[30:31]
	s_cbranch_execnz .LBB269_608
.LBB269_329:                            ;   in Loop: Header=BB269_12 Depth=1
	s_or_b64 exec, exec, s[30:31]
	s_and_saveexec_b64 s[30:31], vcc
	s_cbranch_execz .LBB269_331
.LBB269_330:                            ;   in Loop: Header=BB269_12 Depth=1
	v_bfe_u32 v1, v36, 16, 3
	v_ffbh_u32_e32 v2, v1
	v_min_u32_e32 v7, 32, v2
	v_subrev_u32_e32 v2, 28, v7
	v_bfe_u32 v6, v36, 19, 4
	v_lshlrev_b64 v[2:3], v2, v[4:5]
	v_sub_u32_e32 v3, 29, v7
	v_cmp_eq_u32_e32 vcc, 0, v6
	v_and_b32_e32 v2, 7, v2
	s_nop 0
	v_cndmask_b32_e32 v3, v6, v3, vcc
	v_cndmask_b32_e32 v1, v1, v2, vcc
	v_lshlrev_b32_e32 v2, 8, v4
	v_lshl_add_u32 v3, v3, 10, v55
	v_and_or_b32 v2, v2, s39, v3
	v_lshl_or_b32 v1, v1, 7, v2
	v_cvt_f32_f16_e32 v29, v1
.LBB269_331:                            ;   in Loop: Header=BB269_12 Depth=1
	s_or_b64 exec, exec, s[30:31]
	v_lshrrev_b32_e32 v4, 24, v36
	v_cmp_lt_i16_e32 vcc, s17, v4
	s_mov_b64 s[30:31], 0
                                        ; implicit-def: $sgpr40
	s_and_saveexec_b64 s[34:35], vcc
	s_xor_b64 s[34:35], exec, s[34:35]
	s_cbranch_execnz .LBB269_609
; %bb.332:                              ;   in Loop: Header=BB269_12 Depth=1
	s_or_saveexec_b64 s[34:35], s[34:35]
	v_mov_b32_e32 v30, s40
	s_xor_b64 exec, exec, s[34:35]
	s_cbranch_execnz .LBB269_612
.LBB269_333:                            ;   in Loop: Header=BB269_12 Depth=1
	s_or_b64 exec, exec, s[34:35]
	s_and_saveexec_b64 s[34:35], s[30:31]
	s_cbranch_execz .LBB269_335
.LBB269_334:                            ;   in Loop: Header=BB269_12 Depth=1
	v_bfe_u32 v1, v36, 24, 3
	v_ffbh_u32_e32 v2, v1
	v_min_u32_e32 v7, 32, v2
	v_subrev_u32_e32 v2, 28, v7
	v_bfe_u32 v6, v36, 27, 4
	v_lshlrev_b64 v[2:3], v2, v[4:5]
	v_sub_u32_e32 v3, 29, v7
	v_cmp_eq_u32_e32 vcc, 0, v6
	v_and_b32_e32 v2, 7, v2
	s_nop 0
	v_cndmask_b32_e32 v3, v6, v3, vcc
	v_cndmask_b32_e32 v1, v1, v2, vcc
	v_lshlrev_b32_e32 v2, 8, v4
	v_lshl_add_u32 v3, v3, 10, v55
	v_and_or_b32 v2, v2, s39, v3
	v_lshl_or_b32 v1, v1, 7, v2
	v_cvt_f32_f16_e32 v30, v1
.LBB269_335:                            ;   in Loop: Header=BB269_12 Depth=1
	s_or_b64 exec, exec, s[34:35]
	flat_load_dword v36, v[34:35] offset:3080
	s_mov_b64 vcc, 0
                                        ; implicit-def: $sgpr36
	s_waitcnt vmcnt(0) lgkmcnt(0)
	v_cmp_gt_i16_sdwa s[30:31], v36, s17 src0_sel:BYTE_0 src1_sel:DWORD
	s_and_saveexec_b64 s[34:35], s[30:31]
	s_xor_b64 s[30:31], exec, s[34:35]
	s_cbranch_execnz .LBB269_613
; %bb.336:                              ;   in Loop: Header=BB269_12 Depth=1
	s_or_saveexec_b64 s[30:31], s[30:31]
	v_mov_b32_e32 v28, s36
	s_xor_b64 exec, exec, s[30:31]
	s_cbranch_execnz .LBB269_616
.LBB269_337:                            ;   in Loop: Header=BB269_12 Depth=1
	s_or_b64 exec, exec, s[30:31]
	s_and_saveexec_b64 s[30:31], vcc
	s_cbranch_execz .LBB269_339
.LBB269_338:                            ;   in Loop: Header=BB269_12 Depth=1
	v_and_b32_e32 v1, 7, v36
	v_ffbh_u32_e32 v2, v1
	v_min_u32_e32 v6, 32, v2
	v_subrev_u32_e32 v2, 28, v6
	v_bfe_u32 v4, v36, 3, 4
	v_lshlrev_b64 v[2:3], v2, v[36:37]
	v_sub_u32_e32 v3, 29, v6
	v_cmp_eq_u32_e32 vcc, 0, v4
	v_and_b32_e32 v2, 7, v2
	s_nop 0
	v_cndmask_b32_e32 v3, v4, v3, vcc
	v_cndmask_b32_e32 v1, v1, v2, vcc
	v_lshlrev_b32_e32 v2, 8, v36
	v_lshl_add_u32 v3, v3, 10, v55
	v_and_or_b32 v2, v2, s39, v3
	v_lshl_or_b32 v1, v1, 7, v2
	v_cvt_f32_f16_e32 v28, v1
.LBB269_339:                            ;   in Loop: Header=BB269_12 Depth=1
	s_or_b64 exec, exec, s[30:31]
	v_lshrrev_b16_e32 v4, 8, v36
	v_cmp_lt_i16_e32 vcc, s17, v4
	s_mov_b64 s[30:31], 0
                                        ; implicit-def: $sgpr40
	s_and_saveexec_b64 s[34:35], vcc
	s_xor_b64 s[34:35], exec, s[34:35]
	s_cbranch_execnz .LBB269_617
; %bb.340:                              ;   in Loop: Header=BB269_12 Depth=1
	s_or_saveexec_b64 s[34:35], s[34:35]
	v_mov_b32_e32 v53, s40
	s_xor_b64 exec, exec, s[34:35]
	s_cbranch_execnz .LBB269_620
.LBB269_341:                            ;   in Loop: Header=BB269_12 Depth=1
	s_or_b64 exec, exec, s[34:35]
	s_and_saveexec_b64 s[34:35], s[30:31]
	s_cbranch_execz .LBB269_343
.LBB269_342:                            ;   in Loop: Header=BB269_12 Depth=1
	v_and_b32_e32 v1, 7, v4
	v_ffbh_u32_e32 v2, v1
	v_min_u32_e32 v7, 32, v2
	v_subrev_u32_e32 v2, 28, v7
	v_bfe_u32 v6, v4, 3, 4
	v_lshlrev_b64 v[2:3], v2, v[4:5]
	v_sub_u32_e32 v3, 29, v7
	v_cmp_eq_u32_e32 vcc, 0, v6
	v_and_b32_e32 v2, 7, v2
	s_nop 0
	v_cndmask_b32_e32 v3, v6, v3, vcc
	v_cndmask_b32_e32 v1, v1, v2, vcc
	v_lshlrev_b32_e32 v2, 8, v4
	v_lshl_add_u32 v3, v3, 10, v55
	v_and_or_b32 v2, v2, s39, v3
	v_lshl_or_b32 v1, v1, 7, v2
	v_cvt_f32_f16_e32 v53, v1
.LBB269_343:                            ;   in Loop: Header=BB269_12 Depth=1
	s_or_b64 exec, exec, s[34:35]
	v_lshrrev_b32_e32 v4, 16, v36
	v_cmp_gt_i16_sdwa s[30:31], v4, s17 src0_sel:BYTE_0 src1_sel:DWORD
	s_mov_b64 vcc, 0
                                        ; implicit-def: $sgpr36
	s_and_saveexec_b64 s[34:35], s[30:31]
	s_xor_b64 s[30:31], exec, s[34:35]
	s_cbranch_execnz .LBB269_621
; %bb.344:                              ;   in Loop: Header=BB269_12 Depth=1
	s_or_saveexec_b64 s[30:31], s[30:31]
	v_mov_b32_e32 v13, s36
	s_xor_b64 exec, exec, s[30:31]
	s_cbranch_execnz .LBB269_624
.LBB269_345:                            ;   in Loop: Header=BB269_12 Depth=1
	s_or_b64 exec, exec, s[30:31]
	s_and_saveexec_b64 s[30:31], vcc
	s_cbranch_execz .LBB269_347
.LBB269_346:                            ;   in Loop: Header=BB269_12 Depth=1
	v_bfe_u32 v1, v36, 16, 3
	v_ffbh_u32_e32 v2, v1
	v_min_u32_e32 v7, 32, v2
	v_subrev_u32_e32 v2, 28, v7
	v_bfe_u32 v6, v36, 19, 4
	v_lshlrev_b64 v[2:3], v2, v[4:5]
	v_sub_u32_e32 v3, 29, v7
	v_cmp_eq_u32_e32 vcc, 0, v6
	v_and_b32_e32 v2, 7, v2
	s_nop 0
	v_cndmask_b32_e32 v3, v6, v3, vcc
	v_cndmask_b32_e32 v1, v1, v2, vcc
	v_lshlrev_b32_e32 v2, 8, v4
	v_lshl_add_u32 v3, v3, 10, v55
	v_and_or_b32 v2, v2, s39, v3
	v_lshl_or_b32 v1, v1, 7, v2
	v_cvt_f32_f16_e32 v13, v1
.LBB269_347:                            ;   in Loop: Header=BB269_12 Depth=1
	s_or_b64 exec, exec, s[30:31]
	v_lshrrev_b32_e32 v4, 24, v36
	v_cmp_lt_i16_e32 vcc, s17, v4
	s_mov_b64 s[30:31], 0
                                        ; implicit-def: $sgpr40
	s_and_saveexec_b64 s[34:35], vcc
	s_xor_b64 s[34:35], exec, s[34:35]
	s_cbranch_execnz .LBB269_625
; %bb.348:                              ;   in Loop: Header=BB269_12 Depth=1
	s_or_saveexec_b64 s[34:35], s[34:35]
	v_mov_b32_e32 v12, s40
	s_xor_b64 exec, exec, s[34:35]
	s_cbranch_execnz .LBB269_628
.LBB269_349:                            ;   in Loop: Header=BB269_12 Depth=1
	s_or_b64 exec, exec, s[34:35]
	s_and_saveexec_b64 s[34:35], s[30:31]
	s_cbranch_execz .LBB269_351
.LBB269_350:                            ;   in Loop: Header=BB269_12 Depth=1
	v_bfe_u32 v1, v36, 24, 3
	v_ffbh_u32_e32 v2, v1
	v_min_u32_e32 v7, 32, v2
	v_subrev_u32_e32 v2, 28, v7
	v_bfe_u32 v6, v36, 27, 4
	v_lshlrev_b64 v[2:3], v2, v[4:5]
	v_sub_u32_e32 v3, 29, v7
	v_cmp_eq_u32_e32 vcc, 0, v6
	v_and_b32_e32 v2, 7, v2
	s_nop 0
	v_cndmask_b32_e32 v3, v6, v3, vcc
	v_cndmask_b32_e32 v1, v1, v2, vcc
	v_lshlrev_b32_e32 v2, 8, v4
	v_lshl_add_u32 v3, v3, 10, v55
	v_and_or_b32 v2, v2, s39, v3
	v_lshl_or_b32 v1, v1, 7, v2
	v_cvt_f32_f16_e32 v12, v1
.LBB269_351:                            ;   in Loop: Header=BB269_12 Depth=1
	s_or_b64 exec, exec, s[34:35]
	flat_load_dword v36, v[34:35] offset:3584
	s_mov_b64 vcc, 0
                                        ; implicit-def: $sgpr36
	s_waitcnt vmcnt(0) lgkmcnt(0)
	v_cmp_gt_i16_sdwa s[30:31], v36, s17 src0_sel:BYTE_0 src1_sel:DWORD
	s_and_saveexec_b64 s[34:35], s[30:31]
	s_xor_b64 s[30:31], exec, s[34:35]
	s_cbranch_execnz .LBB269_629
; %bb.352:                              ;   in Loop: Header=BB269_12 Depth=1
	s_or_saveexec_b64 s[30:31], s[30:31]
	v_mov_b32_e32 v17, s36
	s_xor_b64 exec, exec, s[30:31]
	s_cbranch_execnz .LBB269_632
.LBB269_353:                            ;   in Loop: Header=BB269_12 Depth=1
	s_or_b64 exec, exec, s[30:31]
	s_and_saveexec_b64 s[30:31], vcc
	s_cbranch_execz .LBB269_355
.LBB269_354:                            ;   in Loop: Header=BB269_12 Depth=1
	v_and_b32_e32 v1, 7, v36
	v_ffbh_u32_e32 v2, v1
	v_min_u32_e32 v6, 32, v2
	v_subrev_u32_e32 v2, 28, v6
	v_bfe_u32 v4, v36, 3, 4
	v_lshlrev_b64 v[2:3], v2, v[36:37]
	v_sub_u32_e32 v3, 29, v6
	v_cmp_eq_u32_e32 vcc, 0, v4
	v_and_b32_e32 v2, 7, v2
	s_nop 0
	v_cndmask_b32_e32 v3, v4, v3, vcc
	v_cndmask_b32_e32 v1, v1, v2, vcc
	v_lshlrev_b32_e32 v2, 8, v36
	v_lshl_add_u32 v3, v3, 10, v55
	v_and_or_b32 v2, v2, s39, v3
	v_lshl_or_b32 v1, v1, 7, v2
	v_cvt_f32_f16_e32 v17, v1
.LBB269_355:                            ;   in Loop: Header=BB269_12 Depth=1
	s_or_b64 exec, exec, s[30:31]
	v_lshrrev_b16_e32 v4, 8, v36
	v_cmp_lt_i16_e32 vcc, s17, v4
	s_mov_b64 s[30:31], 0
                                        ; implicit-def: $sgpr40
	s_and_saveexec_b64 s[34:35], vcc
	s_xor_b64 s[34:35], exec, s[34:35]
	s_cbranch_execnz .LBB269_633
; %bb.356:                              ;   in Loop: Header=BB269_12 Depth=1
	s_or_saveexec_b64 s[34:35], s[34:35]
	v_mov_b32_e32 v8, s40
	s_xor_b64 exec, exec, s[34:35]
	s_cbranch_execnz .LBB269_636
.LBB269_357:                            ;   in Loop: Header=BB269_12 Depth=1
	s_or_b64 exec, exec, s[34:35]
	s_and_saveexec_b64 s[34:35], s[30:31]
	s_cbranch_execz .LBB269_359
.LBB269_358:                            ;   in Loop: Header=BB269_12 Depth=1
	v_and_b32_e32 v1, 7, v4
	v_ffbh_u32_e32 v2, v1
	v_min_u32_e32 v7, 32, v2
	v_subrev_u32_e32 v2, 28, v7
	v_bfe_u32 v6, v4, 3, 4
	v_lshlrev_b64 v[2:3], v2, v[4:5]
	v_sub_u32_e32 v3, 29, v7
	v_cmp_eq_u32_e32 vcc, 0, v6
	v_and_b32_e32 v2, 7, v2
	s_nop 0
	v_cndmask_b32_e32 v3, v6, v3, vcc
	v_cndmask_b32_e32 v1, v1, v2, vcc
	v_lshlrev_b32_e32 v2, 8, v4
	v_lshl_add_u32 v3, v3, 10, v55
	v_and_or_b32 v2, v2, s39, v3
	v_lshl_or_b32 v1, v1, 7, v2
	v_cvt_f32_f16_e32 v8, v1
.LBB269_359:                            ;   in Loop: Header=BB269_12 Depth=1
	s_or_b64 exec, exec, s[34:35]
	v_lshrrev_b32_e32 v4, 16, v36
	v_cmp_gt_i16_sdwa s[30:31], v4, s17 src0_sel:BYTE_0 src1_sel:DWORD
	s_mov_b64 vcc, 0
                                        ; implicit-def: $sgpr36
	s_and_saveexec_b64 s[34:35], s[30:31]
	s_xor_b64 s[30:31], exec, s[34:35]
	s_cbranch_execnz .LBB269_637
; %bb.360:                              ;   in Loop: Header=BB269_12 Depth=1
	s_or_saveexec_b64 s[30:31], s[30:31]
	v_mov_b32_e32 v14, s36
	s_xor_b64 exec, exec, s[30:31]
	s_cbranch_execnz .LBB269_640
.LBB269_361:                            ;   in Loop: Header=BB269_12 Depth=1
	s_or_b64 exec, exec, s[30:31]
	s_and_saveexec_b64 s[30:31], vcc
	s_cbranch_execz .LBB269_363
.LBB269_362:                            ;   in Loop: Header=BB269_12 Depth=1
	v_bfe_u32 v1, v36, 16, 3
	v_ffbh_u32_e32 v2, v1
	v_min_u32_e32 v7, 32, v2
	v_subrev_u32_e32 v2, 28, v7
	v_bfe_u32 v6, v36, 19, 4
	v_lshlrev_b64 v[2:3], v2, v[4:5]
	v_sub_u32_e32 v3, 29, v7
	v_cmp_eq_u32_e32 vcc, 0, v6
	v_and_b32_e32 v2, 7, v2
	s_nop 0
	v_cndmask_b32_e32 v3, v6, v3, vcc
	v_cndmask_b32_e32 v1, v1, v2, vcc
	v_lshlrev_b32_e32 v2, 8, v4
	v_lshl_add_u32 v3, v3, 10, v55
	v_and_or_b32 v2, v2, s39, v3
	v_lshl_or_b32 v1, v1, 7, v2
	v_cvt_f32_f16_e32 v14, v1
.LBB269_363:                            ;   in Loop: Header=BB269_12 Depth=1
	s_or_b64 exec, exec, s[30:31]
	v_lshrrev_b32_e32 v4, 24, v36
	v_cmp_lt_i16_e32 vcc, s17, v4
	s_mov_b64 s[30:31], 0
                                        ; implicit-def: $sgpr40
	s_and_saveexec_b64 s[34:35], vcc
	s_xor_b64 s[34:35], exec, s[34:35]
	s_cbranch_execnz .LBB269_641
; %bb.364:                              ;   in Loop: Header=BB269_12 Depth=1
	s_or_saveexec_b64 s[34:35], s[34:35]
	v_mov_b32_e32 v54, s40
	s_xor_b64 exec, exec, s[34:35]
	s_cbranch_execnz .LBB269_644
.LBB269_365:                            ;   in Loop: Header=BB269_12 Depth=1
	s_or_b64 exec, exec, s[34:35]
	s_and_saveexec_b64 s[34:35], s[30:31]
	s_cbranch_execz .LBB269_367
.LBB269_366:                            ;   in Loop: Header=BB269_12 Depth=1
	v_bfe_u32 v1, v36, 24, 3
	v_ffbh_u32_e32 v2, v1
	v_min_u32_e32 v7, 32, v2
	v_subrev_u32_e32 v2, 28, v7
	v_bfe_u32 v6, v36, 27, 4
	v_lshlrev_b64 v[2:3], v2, v[4:5]
	v_sub_u32_e32 v3, 29, v7
	v_cmp_eq_u32_e32 vcc, 0, v6
	v_and_b32_e32 v2, 7, v2
	s_nop 0
	v_cndmask_b32_e32 v3, v6, v3, vcc
	v_cndmask_b32_e32 v1, v1, v2, vcc
	v_lshlrev_b32_e32 v2, 8, v4
	v_lshl_add_u32 v3, v3, 10, v55
	v_and_or_b32 v2, v2, s39, v3
	v_lshl_or_b32 v1, v1, 7, v2
	v_cvt_f32_f16_e32 v54, v1
.LBB269_367:                            ;   in Loop: Header=BB269_12 Depth=1
	s_or_b64 exec, exec, s[34:35]
	flat_load_dword v36, v[34:35] offset:3592
	s_mov_b64 vcc, 0
                                        ; implicit-def: $sgpr36
	s_waitcnt vmcnt(0) lgkmcnt(0)
	v_cmp_gt_i16_sdwa s[30:31], v36, s17 src0_sel:BYTE_0 src1_sel:DWORD
	s_and_saveexec_b64 s[34:35], s[30:31]
	s_xor_b64 s[30:31], exec, s[34:35]
	s_cbranch_execnz .LBB269_645
; %bb.368:                              ;   in Loop: Header=BB269_12 Depth=1
	s_or_saveexec_b64 s[30:31], s[30:31]
	v_mov_b32_e32 v26, s36
	s_xor_b64 exec, exec, s[30:31]
	s_cbranch_execnz .LBB269_648
.LBB269_369:                            ;   in Loop: Header=BB269_12 Depth=1
	s_or_b64 exec, exec, s[30:31]
	s_and_saveexec_b64 s[30:31], vcc
	s_cbranch_execz .LBB269_371
.LBB269_370:                            ;   in Loop: Header=BB269_12 Depth=1
	v_and_b32_e32 v1, 7, v36
	v_ffbh_u32_e32 v2, v1
	v_min_u32_e32 v6, 32, v2
	v_subrev_u32_e32 v2, 28, v6
	v_bfe_u32 v4, v36, 3, 4
	v_lshlrev_b64 v[2:3], v2, v[36:37]
	v_sub_u32_e32 v3, 29, v6
	v_cmp_eq_u32_e32 vcc, 0, v4
	v_and_b32_e32 v2, 7, v2
	s_nop 0
	v_cndmask_b32_e32 v3, v4, v3, vcc
	v_cndmask_b32_e32 v1, v1, v2, vcc
	v_lshlrev_b32_e32 v2, 8, v36
	v_lshl_add_u32 v3, v3, 10, v55
	v_and_or_b32 v2, v2, s39, v3
	v_lshl_or_b32 v1, v1, 7, v2
	v_cvt_f32_f16_e32 v26, v1
.LBB269_371:                            ;   in Loop: Header=BB269_12 Depth=1
	s_or_b64 exec, exec, s[30:31]
	v_lshrrev_b16_e32 v4, 8, v36
	v_cmp_lt_i16_e32 vcc, s17, v4
	s_mov_b64 s[30:31], 0
                                        ; implicit-def: $sgpr40
	s_and_saveexec_b64 s[34:35], vcc
	s_xor_b64 s[34:35], exec, s[34:35]
	s_cbranch_execnz .LBB269_649
; %bb.372:                              ;   in Loop: Header=BB269_12 Depth=1
	s_or_saveexec_b64 s[34:35], s[34:35]
	v_mov_b32_e32 v16, s40
	s_xor_b64 exec, exec, s[34:35]
	s_cbranch_execnz .LBB269_652
.LBB269_373:                            ;   in Loop: Header=BB269_12 Depth=1
	s_or_b64 exec, exec, s[34:35]
	s_and_saveexec_b64 s[34:35], s[30:31]
	s_cbranch_execz .LBB269_375
.LBB269_374:                            ;   in Loop: Header=BB269_12 Depth=1
	v_and_b32_e32 v1, 7, v4
	v_ffbh_u32_e32 v2, v1
	v_min_u32_e32 v7, 32, v2
	v_subrev_u32_e32 v2, 28, v7
	v_bfe_u32 v6, v4, 3, 4
	v_lshlrev_b64 v[2:3], v2, v[4:5]
	v_sub_u32_e32 v3, 29, v7
	v_cmp_eq_u32_e32 vcc, 0, v6
	v_and_b32_e32 v2, 7, v2
	s_nop 0
	v_cndmask_b32_e32 v3, v6, v3, vcc
	v_cndmask_b32_e32 v1, v1, v2, vcc
	v_lshlrev_b32_e32 v2, 8, v4
	v_lshl_add_u32 v3, v3, 10, v55
	v_and_or_b32 v2, v2, s39, v3
	v_lshl_or_b32 v1, v1, 7, v2
	v_cvt_f32_f16_e32 v16, v1
.LBB269_375:                            ;   in Loop: Header=BB269_12 Depth=1
	s_or_b64 exec, exec, s[34:35]
	v_lshrrev_b32_e32 v4, 16, v36
	v_cmp_gt_i16_sdwa s[30:31], v4, s17 src0_sel:BYTE_0 src1_sel:DWORD
	s_mov_b64 vcc, 0
                                        ; implicit-def: $sgpr36
	s_and_saveexec_b64 s[34:35], s[30:31]
	s_xor_b64 s[30:31], exec, s[34:35]
	s_cbranch_execnz .LBB269_653
; %bb.376:                              ;   in Loop: Header=BB269_12 Depth=1
	s_or_saveexec_b64 s[30:31], s[30:31]
	v_mov_b32_e32 v10, s36
	s_xor_b64 exec, exec, s[30:31]
	s_cbranch_execnz .LBB269_656
.LBB269_377:                            ;   in Loop: Header=BB269_12 Depth=1
	s_or_b64 exec, exec, s[30:31]
	s_and_saveexec_b64 s[30:31], vcc
	s_cbranch_execz .LBB269_379
.LBB269_378:                            ;   in Loop: Header=BB269_12 Depth=1
	v_bfe_u32 v1, v36, 16, 3
	v_ffbh_u32_e32 v2, v1
	v_min_u32_e32 v7, 32, v2
	v_subrev_u32_e32 v2, 28, v7
	v_bfe_u32 v6, v36, 19, 4
	v_lshlrev_b64 v[2:3], v2, v[4:5]
	v_sub_u32_e32 v3, 29, v7
	v_cmp_eq_u32_e32 vcc, 0, v6
	v_and_b32_e32 v2, 7, v2
	s_nop 0
	v_cndmask_b32_e32 v3, v6, v3, vcc
	v_cndmask_b32_e32 v1, v1, v2, vcc
	v_lshlrev_b32_e32 v2, 8, v4
	v_lshl_add_u32 v3, v3, 10, v55
	v_and_or_b32 v2, v2, s39, v3
	v_lshl_or_b32 v1, v1, 7, v2
	v_cvt_f32_f16_e32 v10, v1
.LBB269_379:                            ;   in Loop: Header=BB269_12 Depth=1
	s_or_b64 exec, exec, s[30:31]
	v_lshrrev_b32_e32 v4, 24, v36
	v_cmp_lt_i16_e32 vcc, s17, v4
	s_mov_b64 s[30:31], 0
                                        ; implicit-def: $sgpr40
	s_and_saveexec_b64 s[34:35], vcc
	s_xor_b64 s[34:35], exec, s[34:35]
	s_cbranch_execnz .LBB269_657
; %bb.380:                              ;   in Loop: Header=BB269_12 Depth=1
	s_or_saveexec_b64 s[34:35], s[34:35]
	v_mov_b32_e32 v15, s40
	s_xor_b64 exec, exec, s[34:35]
	s_cbranch_execnz .LBB269_660
.LBB269_381:                            ;   in Loop: Header=BB269_12 Depth=1
	s_or_b64 exec, exec, s[34:35]
	s_and_saveexec_b64 s[34:35], s[30:31]
	s_cbranch_execz .LBB269_383
.LBB269_382:                            ;   in Loop: Header=BB269_12 Depth=1
	v_bfe_u32 v1, v36, 24, 3
	v_ffbh_u32_e32 v2, v1
	v_min_u32_e32 v7, 32, v2
	v_subrev_u32_e32 v2, 28, v7
	v_bfe_u32 v6, v36, 27, 4
	v_lshlrev_b64 v[2:3], v2, v[4:5]
	v_sub_u32_e32 v3, 29, v7
	v_cmp_eq_u32_e32 vcc, 0, v6
	v_and_b32_e32 v2, 7, v2
	s_nop 0
	v_cndmask_b32_e32 v3, v6, v3, vcc
	v_cndmask_b32_e32 v1, v1, v2, vcc
	v_lshlrev_b32_e32 v2, 8, v4
	v_lshl_add_u32 v3, v3, 10, v55
	v_and_or_b32 v2, v2, s39, v3
	v_lshl_or_b32 v1, v1, 7, v2
	v_cvt_f32_f16_e32 v15, v1
.LBB269_383:                            ;   in Loop: Header=BB269_12 Depth=1
	s_or_b64 exec, exec, s[34:35]
	v_add_co_u32_e32 v2, vcc, 0x1000, v34
                                        ; implicit-def: $sgpr36
	s_nop 1
	v_addc_co_u32_e32 v3, vcc, 0, v35, vcc
	flat_load_dword v36, v[2:3]
	s_mov_b64 vcc, 0
	s_waitcnt vmcnt(0) lgkmcnt(0)
	v_cmp_gt_i16_sdwa s[30:31], v36, s17 src0_sel:BYTE_0 src1_sel:DWORD
	s_and_saveexec_b64 s[34:35], s[30:31]
	s_xor_b64 s[30:31], exec, s[34:35]
	s_cbranch_execnz .LBB269_661
; %bb.384:                              ;   in Loop: Header=BB269_12 Depth=1
	s_or_saveexec_b64 s[30:31], s[30:31]
	v_mov_b32_e32 v33, s36
	s_xor_b64 exec, exec, s[30:31]
	s_cbranch_execnz .LBB269_664
.LBB269_385:                            ;   in Loop: Header=BB269_12 Depth=1
	s_or_b64 exec, exec, s[30:31]
	s_and_saveexec_b64 s[30:31], vcc
	s_cbranch_execz .LBB269_387
.LBB269_386:                            ;   in Loop: Header=BB269_12 Depth=1
	v_and_b32_e32 v1, 7, v36
	v_ffbh_u32_e32 v2, v1
	v_min_u32_e32 v6, 32, v2
	v_subrev_u32_e32 v2, 28, v6
	v_bfe_u32 v4, v36, 3, 4
	v_lshlrev_b64 v[2:3], v2, v[36:37]
	v_sub_u32_e32 v3, 29, v6
	v_cmp_eq_u32_e32 vcc, 0, v4
	v_and_b32_e32 v2, 7, v2
	s_nop 0
	v_cndmask_b32_e32 v3, v4, v3, vcc
	v_cndmask_b32_e32 v1, v1, v2, vcc
	v_lshlrev_b32_e32 v2, 8, v36
	v_lshl_add_u32 v3, v3, 10, v55
	v_and_or_b32 v2, v2, s39, v3
	v_lshl_or_b32 v1, v1, 7, v2
	v_cvt_f32_f16_e32 v33, v1
.LBB269_387:                            ;   in Loop: Header=BB269_12 Depth=1
	s_or_b64 exec, exec, s[30:31]
	v_lshrrev_b16_e32 v4, 8, v36
	v_lshl_add_u64 v[38:39], v[34:35], 0, s[22:23]
	v_cmp_lt_i16_e32 vcc, s17, v4
	s_mov_b64 s[30:31], 0
                                        ; implicit-def: $sgpr40
	s_and_saveexec_b64 s[34:35], vcc
	s_xor_b64 s[34:35], exec, s[34:35]
	s_cbranch_execnz .LBB269_665
; %bb.388:                              ;   in Loop: Header=BB269_12 Depth=1
	s_or_saveexec_b64 s[34:35], s[34:35]
	v_mov_b32_e32 v31, s40
	s_xor_b64 exec, exec, s[34:35]
	s_cbranch_execnz .LBB269_668
.LBB269_389:                            ;   in Loop: Header=BB269_12 Depth=1
	s_or_b64 exec, exec, s[34:35]
	s_and_saveexec_b64 s[34:35], s[30:31]
	s_cbranch_execz .LBB269_391
.LBB269_390:                            ;   in Loop: Header=BB269_12 Depth=1
	v_and_b32_e32 v1, 7, v4
	v_ffbh_u32_e32 v2, v1
	v_min_u32_e32 v7, 32, v2
	v_subrev_u32_e32 v2, 28, v7
	v_bfe_u32 v6, v4, 3, 4
	v_lshlrev_b64 v[2:3], v2, v[4:5]
	v_sub_u32_e32 v3, 29, v7
	v_cmp_eq_u32_e32 vcc, 0, v6
	v_and_b32_e32 v2, 7, v2
	s_nop 0
	v_cndmask_b32_e32 v3, v6, v3, vcc
	v_cndmask_b32_e32 v1, v1, v2, vcc
	v_lshlrev_b32_e32 v2, 8, v4
	v_lshl_add_u32 v3, v3, 10, v55
	v_and_or_b32 v2, v2, s39, v3
	v_lshl_or_b32 v1, v1, 7, v2
	v_cvt_f32_f16_e32 v31, v1
.LBB269_391:                            ;   in Loop: Header=BB269_12 Depth=1
	s_or_b64 exec, exec, s[34:35]
	v_lshrrev_b32_e32 v4, 16, v36
	v_cmp_gt_i16_sdwa s[30:31], v4, s17 src0_sel:BYTE_0 src1_sel:DWORD
	s_mov_b64 vcc, 0
                                        ; implicit-def: $sgpr36
	s_and_saveexec_b64 s[34:35], s[30:31]
	s_xor_b64 s[30:31], exec, s[34:35]
	s_cbranch_execnz .LBB269_669
; %bb.392:                              ;   in Loop: Header=BB269_12 Depth=1
	s_or_saveexec_b64 s[30:31], s[30:31]
	v_mov_b32_e32 v6, s36
	s_xor_b64 exec, exec, s[30:31]
	s_cbranch_execnz .LBB269_672
.LBB269_393:                            ;   in Loop: Header=BB269_12 Depth=1
	s_or_b64 exec, exec, s[30:31]
	s_and_saveexec_b64 s[30:31], vcc
	s_cbranch_execz .LBB269_395
.LBB269_394:                            ;   in Loop: Header=BB269_12 Depth=1
	v_bfe_u32 v1, v36, 16, 3
	v_ffbh_u32_e32 v2, v1
	v_min_u32_e32 v7, 32, v2
	v_subrev_u32_e32 v2, 28, v7
	v_bfe_u32 v6, v36, 19, 4
	v_lshlrev_b64 v[2:3], v2, v[4:5]
	v_sub_u32_e32 v3, 29, v7
	v_cmp_eq_u32_e32 vcc, 0, v6
	v_and_b32_e32 v2, 7, v2
	s_nop 0
	v_cndmask_b32_e32 v3, v6, v3, vcc
	v_cndmask_b32_e32 v1, v1, v2, vcc
	v_lshlrev_b32_e32 v2, 8, v4
	v_lshl_add_u32 v3, v3, 10, v55
	v_and_or_b32 v2, v2, s39, v3
	v_lshl_or_b32 v1, v1, 7, v2
	v_cvt_f32_f16_e32 v6, v1
.LBB269_395:                            ;   in Loop: Header=BB269_12 Depth=1
	s_or_b64 exec, exec, s[30:31]
	v_lshrrev_b32_e32 v4, 24, v36
	v_cmp_lt_i16_e32 vcc, s17, v4
	s_mov_b64 s[30:31], 0
                                        ; implicit-def: $sgpr40
	s_and_saveexec_b64 s[34:35], vcc
	s_xor_b64 s[34:35], exec, s[34:35]
	s_cbranch_execnz .LBB269_673
; %bb.396:                              ;   in Loop: Header=BB269_12 Depth=1
	s_or_saveexec_b64 s[34:35], s[34:35]
	v_mov_b32_e32 v9, s40
	s_xor_b64 exec, exec, s[34:35]
	s_cbranch_execnz .LBB269_676
.LBB269_397:                            ;   in Loop: Header=BB269_12 Depth=1
	s_or_b64 exec, exec, s[34:35]
	s_and_saveexec_b64 s[34:35], s[30:31]
	s_cbranch_execz .LBB269_399
.LBB269_398:                            ;   in Loop: Header=BB269_12 Depth=1
	v_bfe_u32 v1, v36, 24, 3
	v_ffbh_u32_e32 v2, v1
	v_min_u32_e32 v9, 32, v2
	v_subrev_u32_e32 v2, 28, v9
	v_bfe_u32 v7, v36, 27, 4
	v_lshlrev_b64 v[2:3], v2, v[4:5]
	v_sub_u32_e32 v3, 29, v9
	v_cmp_eq_u32_e32 vcc, 0, v7
	v_and_b32_e32 v2, 7, v2
	s_nop 0
	v_cndmask_b32_e32 v3, v7, v3, vcc
	v_cndmask_b32_e32 v1, v1, v2, vcc
	v_lshlrev_b32_e32 v2, 8, v4
	v_lshl_add_u32 v3, v3, 10, v55
	v_and_or_b32 v2, v2, s39, v3
	v_lshl_or_b32 v1, v1, 7, v2
	v_cvt_f32_f16_e32 v9, v1
.LBB269_399:                            ;   in Loop: Header=BB269_12 Depth=1
	s_or_b64 exec, exec, s[34:35]
	flat_load_dword v36, v[38:39] offset:8
	s_mov_b64 vcc, 0
                                        ; implicit-def: $sgpr36
	s_waitcnt vmcnt(0) lgkmcnt(0)
	v_cmp_gt_i16_sdwa s[30:31], v36, s17 src0_sel:BYTE_0 src1_sel:DWORD
	s_and_saveexec_b64 s[34:35], s[30:31]
	s_xor_b64 s[30:31], exec, s[34:35]
	s_cbranch_execnz .LBB269_677
; %bb.400:                              ;   in Loop: Header=BB269_12 Depth=1
	s_or_saveexec_b64 s[30:31], s[30:31]
	v_mov_b32_e32 v20, s36
	s_xor_b64 exec, exec, s[30:31]
	s_cbranch_execnz .LBB269_680
.LBB269_401:                            ;   in Loop: Header=BB269_12 Depth=1
	s_or_b64 exec, exec, s[30:31]
	s_and_saveexec_b64 s[30:31], vcc
	s_cbranch_execz .LBB269_403
.LBB269_402:                            ;   in Loop: Header=BB269_12 Depth=1
	v_and_b32_e32 v1, 7, v36
	v_ffbh_u32_e32 v2, v1
	v_min_u32_e32 v7, 32, v2
	v_subrev_u32_e32 v2, 28, v7
	v_bfe_u32 v4, v36, 3, 4
	v_lshlrev_b64 v[2:3], v2, v[36:37]
	v_sub_u32_e32 v3, 29, v7
	v_cmp_eq_u32_e32 vcc, 0, v4
	v_and_b32_e32 v2, 7, v2
	s_nop 0
	v_cndmask_b32_e32 v3, v4, v3, vcc
	v_cndmask_b32_e32 v1, v1, v2, vcc
	v_lshlrev_b32_e32 v2, 8, v36
	v_lshl_add_u32 v3, v3, 10, v55
	v_and_or_b32 v2, v2, s39, v3
	v_lshl_or_b32 v1, v1, 7, v2
	v_cvt_f32_f16_e32 v20, v1
.LBB269_403:                            ;   in Loop: Header=BB269_12 Depth=1
	s_or_b64 exec, exec, s[30:31]
	v_lshrrev_b16_e32 v4, 8, v36
	v_cmp_lt_i16_e32 vcc, s17, v4
	s_mov_b64 s[30:31], 0
                                        ; implicit-def: $sgpr40
	s_and_saveexec_b64 s[34:35], vcc
	s_xor_b64 s[34:35], exec, s[34:35]
	s_cbranch_execnz .LBB269_681
; %bb.404:                              ;   in Loop: Header=BB269_12 Depth=1
	s_or_saveexec_b64 s[34:35], s[34:35]
	v_mov_b32_e32 v11, s40
	s_xor_b64 exec, exec, s[34:35]
	s_cbranch_execnz .LBB269_684
.LBB269_405:                            ;   in Loop: Header=BB269_12 Depth=1
	s_or_b64 exec, exec, s[34:35]
	s_and_saveexec_b64 s[34:35], s[30:31]
	s_cbranch_execz .LBB269_407
.LBB269_406:                            ;   in Loop: Header=BB269_12 Depth=1
	v_and_b32_e32 v1, 7, v4
	v_ffbh_u32_e32 v2, v1
	v_min_u32_e32 v11, 32, v2
	v_subrev_u32_e32 v2, 28, v11
	v_bfe_u32 v7, v4, 3, 4
	v_lshlrev_b64 v[2:3], v2, v[4:5]
	v_sub_u32_e32 v3, 29, v11
	v_cmp_eq_u32_e32 vcc, 0, v7
	v_and_b32_e32 v2, 7, v2
	s_nop 0
	v_cndmask_b32_e32 v3, v7, v3, vcc
	v_cndmask_b32_e32 v1, v1, v2, vcc
	v_lshlrev_b32_e32 v2, 8, v4
	v_lshl_add_u32 v3, v3, 10, v55
	v_and_or_b32 v2, v2, s39, v3
	v_lshl_or_b32 v1, v1, 7, v2
	v_cvt_f32_f16_e32 v11, v1
.LBB269_407:                            ;   in Loop: Header=BB269_12 Depth=1
	s_or_b64 exec, exec, s[34:35]
	v_lshrrev_b32_e32 v4, 16, v36
	v_cmp_gt_i16_sdwa s[30:31], v4, s17 src0_sel:BYTE_0 src1_sel:DWORD
	s_mov_b64 vcc, 0
                                        ; implicit-def: $sgpr36
	s_and_saveexec_b64 s[34:35], s[30:31]
	s_xor_b64 s[30:31], exec, s[34:35]
	s_cbranch_execnz .LBB269_685
; %bb.408:                              ;   in Loop: Header=BB269_12 Depth=1
	s_or_saveexec_b64 s[30:31], s[30:31]
	v_mov_b32_e32 v24, s36
	s_xor_b64 exec, exec, s[30:31]
	s_cbranch_execnz .LBB269_688
.LBB269_409:                            ;   in Loop: Header=BB269_12 Depth=1
	s_or_b64 exec, exec, s[30:31]
	s_and_saveexec_b64 s[30:31], vcc
	s_cbranch_execz .LBB269_411
.LBB269_410:                            ;   in Loop: Header=BB269_12 Depth=1
	v_bfe_u32 v1, v36, 16, 3
	v_ffbh_u32_e32 v2, v1
	v_min_u32_e32 v18, 32, v2
	v_subrev_u32_e32 v2, 28, v18
	v_bfe_u32 v7, v36, 19, 4
	v_lshlrev_b64 v[2:3], v2, v[4:5]
	v_sub_u32_e32 v3, 29, v18
	v_cmp_eq_u32_e32 vcc, 0, v7
	v_and_b32_e32 v2, 7, v2
	s_nop 0
	v_cndmask_b32_e32 v3, v7, v3, vcc
	v_cndmask_b32_e32 v1, v1, v2, vcc
	v_lshlrev_b32_e32 v2, 8, v4
	v_lshl_add_u32 v3, v3, 10, v55
	v_and_or_b32 v2, v2, s39, v3
	v_lshl_or_b32 v1, v1, 7, v2
	v_cvt_f32_f16_e32 v24, v1
.LBB269_411:                            ;   in Loop: Header=BB269_12 Depth=1
	s_or_b64 exec, exec, s[30:31]
	v_lshrrev_b32_e32 v4, 24, v36
	v_cmp_lt_i16_e32 vcc, s17, v4
	s_mov_b64 s[30:31], 0
                                        ; implicit-def: $sgpr40
	s_and_saveexec_b64 s[34:35], vcc
	s_xor_b64 s[34:35], exec, s[34:35]
	s_cbranch_execnz .LBB269_689
; %bb.412:                              ;   in Loop: Header=BB269_12 Depth=1
	s_or_saveexec_b64 s[34:35], s[34:35]
	v_mov_b32_e32 v7, s40
	s_xor_b64 exec, exec, s[34:35]
	s_cbranch_execnz .LBB269_692
.LBB269_413:                            ;   in Loop: Header=BB269_12 Depth=1
	s_or_b64 exec, exec, s[34:35]
	s_and_saveexec_b64 s[34:35], s[30:31]
	s_cbranch_execz .LBB269_415
.LBB269_414:                            ;   in Loop: Header=BB269_12 Depth=1
	v_bfe_u32 v1, v36, 24, 3
	v_ffbh_u32_e32 v2, v1
	v_min_u32_e32 v18, 32, v2
	v_subrev_u32_e32 v2, 28, v18
	v_bfe_u32 v7, v36, 27, 4
	v_lshlrev_b64 v[2:3], v2, v[4:5]
	v_sub_u32_e32 v3, 29, v18
	v_cmp_eq_u32_e32 vcc, 0, v7
	v_and_b32_e32 v2, 7, v2
	s_nop 0
	v_cndmask_b32_e32 v3, v7, v3, vcc
	v_cndmask_b32_e32 v1, v1, v2, vcc
	v_lshlrev_b32_e32 v2, 8, v4
	v_lshl_add_u32 v3, v3, 10, v55
	v_and_or_b32 v2, v2, s39, v3
	v_lshl_or_b32 v1, v1, 7, v2
	v_cvt_f32_f16_e32 v7, v1
.LBB269_415:                            ;   in Loop: Header=BB269_12 Depth=1
	s_or_b64 exec, exec, s[34:35]
	v_add_co_u32_e32 v2, vcc, 0x1000, v34
                                        ; implicit-def: $sgpr36
	s_nop 1
	v_addc_co_u32_e32 v3, vcc, 0, v35, vcc
	flat_load_dword v36, v[2:3] offset:512
	s_mov_b64 vcc, 0
	s_waitcnt vmcnt(0) lgkmcnt(0)
	v_cmp_gt_i16_sdwa s[30:31], v36, s17 src0_sel:BYTE_0 src1_sel:DWORD
	s_and_saveexec_b64 s[34:35], s[30:31]
	s_xor_b64 s[30:31], exec, s[34:35]
	s_cbranch_execnz .LBB269_693
; %bb.416:                              ;   in Loop: Header=BB269_12 Depth=1
	s_or_saveexec_b64 s[30:31], s[30:31]
	v_mov_b32_e32 v25, s36
	s_xor_b64 exec, exec, s[30:31]
	s_cbranch_execnz .LBB269_696
.LBB269_417:                            ;   in Loop: Header=BB269_12 Depth=1
	s_or_b64 exec, exec, s[30:31]
	s_and_saveexec_b64 s[30:31], vcc
	s_cbranch_execz .LBB269_419
.LBB269_418:                            ;   in Loop: Header=BB269_12 Depth=1
	v_and_b32_e32 v1, 7, v36
	v_ffbh_u32_e32 v2, v1
	v_min_u32_e32 v18, 32, v2
	v_subrev_u32_e32 v2, 28, v18
	v_bfe_u32 v4, v36, 3, 4
	v_lshlrev_b64 v[2:3], v2, v[36:37]
	v_sub_u32_e32 v3, 29, v18
	v_cmp_eq_u32_e32 vcc, 0, v4
	v_and_b32_e32 v2, 7, v2
	s_nop 0
	v_cndmask_b32_e32 v3, v4, v3, vcc
	v_cndmask_b32_e32 v1, v1, v2, vcc
	v_lshlrev_b32_e32 v2, 8, v36
	v_lshl_add_u32 v3, v3, 10, v55
	v_and_or_b32 v2, v2, s39, v3
	v_lshl_or_b32 v1, v1, 7, v2
	v_cvt_f32_f16_e32 v25, v1
.LBB269_419:                            ;   in Loop: Header=BB269_12 Depth=1
	s_or_b64 exec, exec, s[30:31]
	v_lshrrev_b16_e32 v4, 8, v36
	v_lshl_add_u64 v[38:39], v[34:35], 0, s[24:25]
	v_cmp_lt_i16_e32 vcc, s17, v4
	s_mov_b64 s[30:31], 0
                                        ; implicit-def: $sgpr40
	s_and_saveexec_b64 s[34:35], vcc
	s_xor_b64 s[34:35], exec, s[34:35]
	s_cbranch_execnz .LBB269_697
; %bb.420:                              ;   in Loop: Header=BB269_12 Depth=1
	s_or_saveexec_b64 s[34:35], s[34:35]
	v_mov_b32_e32 v27, s40
	s_xor_b64 exec, exec, s[34:35]
	s_cbranch_execnz .LBB269_700
.LBB269_421:                            ;   in Loop: Header=BB269_12 Depth=1
	s_or_b64 exec, exec, s[34:35]
	s_and_saveexec_b64 s[34:35], s[30:31]
	s_cbranch_execz .LBB269_423
.LBB269_422:                            ;   in Loop: Header=BB269_12 Depth=1
	v_and_b32_e32 v1, 7, v4
	v_ffbh_u32_e32 v2, v1
	v_min_u32_e32 v19, 32, v2
	v_subrev_u32_e32 v2, 28, v19
	v_bfe_u32 v18, v4, 3, 4
	v_lshlrev_b64 v[2:3], v2, v[4:5]
	v_sub_u32_e32 v3, 29, v19
	v_cmp_eq_u32_e32 vcc, 0, v18
	v_and_b32_e32 v2, 7, v2
	s_nop 0
	v_cndmask_b32_e32 v3, v18, v3, vcc
	v_cndmask_b32_e32 v1, v1, v2, vcc
	v_lshlrev_b32_e32 v2, 8, v4
	v_lshl_add_u32 v3, v3, 10, v55
	v_and_or_b32 v2, v2, s39, v3
	v_lshl_or_b32 v1, v1, 7, v2
	v_cvt_f32_f16_e32 v27, v1
.LBB269_423:                            ;   in Loop: Header=BB269_12 Depth=1
	s_or_b64 exec, exec, s[34:35]
	v_lshrrev_b32_e32 v4, 16, v36
	v_cmp_gt_i16_sdwa s[30:31], v4, s17 src0_sel:BYTE_0 src1_sel:DWORD
	s_mov_b64 vcc, 0
                                        ; implicit-def: $sgpr36
	s_and_saveexec_b64 s[34:35], s[30:31]
	s_xor_b64 s[30:31], exec, s[34:35]
	s_cbranch_execnz .LBB269_701
; %bb.424:                              ;   in Loop: Header=BB269_12 Depth=1
	s_or_saveexec_b64 s[30:31], s[30:31]
	v_mov_b32_e32 v48, s36
	s_xor_b64 exec, exec, s[30:31]
	s_cbranch_execnz .LBB269_704
.LBB269_425:                            ;   in Loop: Header=BB269_12 Depth=1
	s_or_b64 exec, exec, s[30:31]
	s_and_saveexec_b64 s[30:31], vcc
	s_cbranch_execz .LBB269_427
.LBB269_426:                            ;   in Loop: Header=BB269_12 Depth=1
	v_bfe_u32 v1, v36, 16, 3
	v_ffbh_u32_e32 v2, v1
	v_min_u32_e32 v19, 32, v2
	v_subrev_u32_e32 v2, 28, v19
	v_bfe_u32 v18, v36, 19, 4
	v_lshlrev_b64 v[2:3], v2, v[4:5]
	v_sub_u32_e32 v3, 29, v19
	v_cmp_eq_u32_e32 vcc, 0, v18
	v_and_b32_e32 v2, 7, v2
	s_nop 0
	v_cndmask_b32_e32 v3, v18, v3, vcc
	v_cndmask_b32_e32 v1, v1, v2, vcc
	v_lshlrev_b32_e32 v2, 8, v4
	v_lshl_add_u32 v3, v3, 10, v55
	v_and_or_b32 v2, v2, s39, v3
	v_lshl_or_b32 v1, v1, 7, v2
	v_cvt_f32_f16_e32 v48, v1
.LBB269_427:                            ;   in Loop: Header=BB269_12 Depth=1
	s_or_b64 exec, exec, s[30:31]
	v_lshrrev_b32_e32 v4, 24, v36
	v_cmp_lt_i16_e32 vcc, s17, v4
	s_mov_b64 s[30:31], 0
                                        ; implicit-def: $sgpr40
	s_and_saveexec_b64 s[34:35], vcc
	s_xor_b64 s[34:35], exec, s[34:35]
	s_cbranch_execnz .LBB269_705
; %bb.428:                              ;   in Loop: Header=BB269_12 Depth=1
	s_or_saveexec_b64 s[34:35], s[34:35]
	v_mov_b32_e32 v41, s40
	s_xor_b64 exec, exec, s[34:35]
	s_cbranch_execnz .LBB269_708
.LBB269_429:                            ;   in Loop: Header=BB269_12 Depth=1
	s_or_b64 exec, exec, s[34:35]
	s_and_saveexec_b64 s[34:35], s[30:31]
	s_cbranch_execz .LBB269_431
.LBB269_430:                            ;   in Loop: Header=BB269_12 Depth=1
	v_bfe_u32 v1, v36, 24, 3
	v_ffbh_u32_e32 v2, v1
	v_min_u32_e32 v19, 32, v2
	v_subrev_u32_e32 v2, 28, v19
	v_bfe_u32 v18, v36, 27, 4
	v_lshlrev_b64 v[2:3], v2, v[4:5]
	v_sub_u32_e32 v3, 29, v19
	v_cmp_eq_u32_e32 vcc, 0, v18
	v_and_b32_e32 v2, 7, v2
	s_nop 0
	v_cndmask_b32_e32 v3, v18, v3, vcc
	v_cndmask_b32_e32 v1, v1, v2, vcc
	v_lshlrev_b32_e32 v2, 8, v4
	v_lshl_add_u32 v3, v3, 10, v55
	v_and_or_b32 v2, v2, s39, v3
	v_lshl_or_b32 v1, v1, 7, v2
	v_cvt_f32_f16_e32 v41, v1
.LBB269_431:                            ;   in Loop: Header=BB269_12 Depth=1
	s_or_b64 exec, exec, s[34:35]
	flat_load_dword v36, v[38:39] offset:8
	s_mov_b64 vcc, 0
                                        ; implicit-def: $sgpr36
	s_waitcnt vmcnt(0) lgkmcnt(0)
	v_cmp_gt_i16_sdwa s[30:31], v36, s17 src0_sel:BYTE_0 src1_sel:DWORD
	s_and_saveexec_b64 s[34:35], s[30:31]
	s_xor_b64 s[30:31], exec, s[34:35]
	s_cbranch_execnz .LBB269_709
; %bb.432:                              ;   in Loop: Header=BB269_12 Depth=1
	s_or_saveexec_b64 s[30:31], s[30:31]
	v_mov_b32_e32 v40, s36
	s_xor_b64 exec, exec, s[30:31]
	s_cbranch_execnz .LBB269_712
.LBB269_433:                            ;   in Loop: Header=BB269_12 Depth=1
	s_or_b64 exec, exec, s[30:31]
	s_and_saveexec_b64 s[30:31], vcc
	s_cbranch_execz .LBB269_435
.LBB269_434:                            ;   in Loop: Header=BB269_12 Depth=1
	v_and_b32_e32 v1, 7, v36
	v_ffbh_u32_e32 v2, v1
	v_min_u32_e32 v18, 32, v2
	v_subrev_u32_e32 v2, 28, v18
	v_bfe_u32 v4, v36, 3, 4
	v_lshlrev_b64 v[2:3], v2, v[36:37]
	v_sub_u32_e32 v3, 29, v18
	v_cmp_eq_u32_e32 vcc, 0, v4
	v_and_b32_e32 v2, 7, v2
	s_nop 0
	v_cndmask_b32_e32 v3, v4, v3, vcc
	v_cndmask_b32_e32 v1, v1, v2, vcc
	v_lshlrev_b32_e32 v2, 8, v36
	v_lshl_add_u32 v3, v3, 10, v55
	v_and_or_b32 v2, v2, s39, v3
	v_lshl_or_b32 v1, v1, 7, v2
	v_cvt_f32_f16_e32 v40, v1
.LBB269_435:                            ;   in Loop: Header=BB269_12 Depth=1
	s_or_b64 exec, exec, s[30:31]
	v_lshrrev_b16_e32 v4, 8, v36
	v_cmp_lt_i16_e32 vcc, s17, v4
	s_mov_b64 s[30:31], 0
                                        ; implicit-def: $sgpr40
	s_and_saveexec_b64 s[34:35], vcc
	s_xor_b64 s[34:35], exec, s[34:35]
	s_cbranch_execnz .LBB269_713
; %bb.436:                              ;   in Loop: Header=BB269_12 Depth=1
	s_or_saveexec_b64 s[34:35], s[34:35]
	v_mov_b32_e32 v43, s40
	s_xor_b64 exec, exec, s[34:35]
	s_cbranch_execnz .LBB269_716
.LBB269_437:                            ;   in Loop: Header=BB269_12 Depth=1
	s_or_b64 exec, exec, s[34:35]
	s_and_saveexec_b64 s[34:35], s[30:31]
	s_cbranch_execz .LBB269_439
.LBB269_438:                            ;   in Loop: Header=BB269_12 Depth=1
	v_and_b32_e32 v1, 7, v4
	v_ffbh_u32_e32 v2, v1
	v_min_u32_e32 v19, 32, v2
	v_subrev_u32_e32 v2, 28, v19
	v_bfe_u32 v18, v4, 3, 4
	v_lshlrev_b64 v[2:3], v2, v[4:5]
	v_sub_u32_e32 v3, 29, v19
	v_cmp_eq_u32_e32 vcc, 0, v18
	v_and_b32_e32 v2, 7, v2
	s_nop 0
	v_cndmask_b32_e32 v3, v18, v3, vcc
	v_cndmask_b32_e32 v1, v1, v2, vcc
	v_lshlrev_b32_e32 v2, 8, v4
	v_lshl_add_u32 v3, v3, 10, v55
	v_and_or_b32 v2, v2, s39, v3
	v_lshl_or_b32 v1, v1, 7, v2
	v_cvt_f32_f16_e32 v43, v1
.LBB269_439:                            ;   in Loop: Header=BB269_12 Depth=1
	s_or_b64 exec, exec, s[34:35]
	v_lshrrev_b32_e32 v4, 16, v36
	v_cmp_gt_i16_sdwa s[30:31], v4, s17 src0_sel:BYTE_0 src1_sel:DWORD
	s_mov_b64 vcc, 0
                                        ; implicit-def: $sgpr36
	s_and_saveexec_b64 s[34:35], s[30:31]
	s_xor_b64 s[30:31], exec, s[34:35]
	s_cbranch_execnz .LBB269_717
; %bb.440:                              ;   in Loop: Header=BB269_12 Depth=1
	s_or_saveexec_b64 s[30:31], s[30:31]
	v_mov_b32_e32 v1, s36
	s_xor_b64 exec, exec, s[30:31]
	s_cbranch_execnz .LBB269_720
.LBB269_441:                            ;   in Loop: Header=BB269_12 Depth=1
	s_or_b64 exec, exec, s[30:31]
	s_and_saveexec_b64 s[30:31], vcc
	s_cbranch_execz .LBB269_443
.LBB269_442:                            ;   in Loop: Header=BB269_12 Depth=1
	v_bfe_u32 v1, v36, 16, 3
	v_ffbh_u32_e32 v2, v1
	v_min_u32_e32 v19, 32, v2
	v_subrev_u32_e32 v2, 28, v19
	v_bfe_u32 v18, v36, 19, 4
	v_lshlrev_b64 v[2:3], v2, v[4:5]
	v_sub_u32_e32 v3, 29, v19
	v_cmp_eq_u32_e32 vcc, 0, v18
	v_and_b32_e32 v2, 7, v2
	s_nop 0
	v_cndmask_b32_e32 v3, v18, v3, vcc
	v_cndmask_b32_e32 v1, v1, v2, vcc
	v_lshlrev_b32_e32 v2, 8, v4
	v_lshl_add_u32 v3, v3, 10, v55
	v_and_or_b32 v2, v2, s39, v3
	v_lshl_or_b32 v1, v1, 7, v2
	v_cvt_f32_f16_e32 v1, v1
.LBB269_443:                            ;   in Loop: Header=BB269_12 Depth=1
	s_or_b64 exec, exec, s[30:31]
	v_lshrrev_b32_e32 v4, 24, v36
	v_cmp_lt_i16_e32 vcc, s17, v4
	s_mov_b64 s[30:31], 0
                                        ; implicit-def: $sgpr40
	s_and_saveexec_b64 s[34:35], vcc
	s_xor_b64 s[34:35], exec, s[34:35]
	s_cbranch_execnz .LBB269_721
; %bb.444:                              ;   in Loop: Header=BB269_12 Depth=1
	s_or_saveexec_b64 s[34:35], s[34:35]
	v_mov_b32_e32 v32, s40
	s_xor_b64 exec, exec, s[34:35]
	s_cbranch_execnz .LBB269_724
.LBB269_445:                            ;   in Loop: Header=BB269_12 Depth=1
	s_or_b64 exec, exec, s[34:35]
	s_and_saveexec_b64 s[34:35], s[30:31]
	s_cbranch_execz .LBB269_447
.LBB269_446:                            ;   in Loop: Header=BB269_12 Depth=1
	v_bfe_u32 v18, v36, 24, 3
	v_ffbh_u32_e32 v2, v18
	v_min_u32_e32 v21, 32, v2
	v_subrev_u32_e32 v2, 28, v21
	v_bfe_u32 v19, v36, 27, 4
	v_lshlrev_b64 v[2:3], v2, v[4:5]
	v_sub_u32_e32 v3, 29, v21
	v_cmp_eq_u32_e32 vcc, 0, v19
	v_and_b32_e32 v2, 7, v2
	v_lshlrev_b32_e32 v4, 8, v4
	v_cndmask_b32_e32 v3, v19, v3, vcc
	v_lshl_add_u32 v3, v3, 10, v55
	v_cndmask_b32_e32 v2, v18, v2, vcc
	v_and_or_b32 v3, v4, s39, v3
	v_lshl_or_b32 v2, v2, 7, v3
	v_cvt_f32_f16_e32 v32, v2
.LBB269_447:                            ;   in Loop: Header=BB269_12 Depth=1
	s_or_b64 exec, exec, s[34:35]
	v_add_co_u32_e32 v2, vcc, 0x1000, v34
                                        ; implicit-def: $sgpr36
	s_nop 1
	v_addc_co_u32_e32 v3, vcc, 0, v35, vcc
	flat_load_dword v36, v[2:3] offset:1024
	s_mov_b64 vcc, 0
	s_waitcnt vmcnt(0) lgkmcnt(0)
	v_cmp_gt_i16_sdwa s[30:31], v36, s17 src0_sel:BYTE_0 src1_sel:DWORD
	s_and_saveexec_b64 s[34:35], s[30:31]
	s_xor_b64 s[30:31], exec, s[34:35]
	s_cbranch_execnz .LBB269_725
; %bb.448:                              ;   in Loop: Header=BB269_12 Depth=1
	s_or_saveexec_b64 s[30:31], s[30:31]
	v_mov_b32_e32 v18, s36
	s_xor_b64 exec, exec, s[30:31]
	s_cbranch_execnz .LBB269_728
.LBB269_449:                            ;   in Loop: Header=BB269_12 Depth=1
	s_or_b64 exec, exec, s[30:31]
	s_and_saveexec_b64 s[30:31], vcc
	s_cbranch_execz .LBB269_451
.LBB269_450:                            ;   in Loop: Header=BB269_12 Depth=1
	v_and_b32_e32 v4, 7, v36
	v_ffbh_u32_e32 v2, v4
	v_min_u32_e32 v19, 32, v2
	v_subrev_u32_e32 v2, 28, v19
	v_bfe_u32 v18, v36, 3, 4
	v_lshlrev_b64 v[2:3], v2, v[36:37]
	v_sub_u32_e32 v3, 29, v19
	v_cmp_eq_u32_e32 vcc, 0, v18
	v_and_b32_e32 v2, 7, v2
	s_nop 0
	v_cndmask_b32_e32 v3, v18, v3, vcc
	v_cndmask_b32_e32 v2, v4, v2, vcc
	v_lshlrev_b32_e32 v4, 8, v36
	v_lshl_add_u32 v3, v3, 10, v55
	v_and_or_b32 v3, v4, s39, v3
	v_lshl_or_b32 v2, v2, 7, v3
	v_cvt_f32_f16_e32 v18, v2
.LBB269_451:                            ;   in Loop: Header=BB269_12 Depth=1
	s_or_b64 exec, exec, s[30:31]
	v_lshrrev_b16_e32 v4, 8, v36
	v_lshl_add_u64 v[38:39], v[34:35], 0, s[26:27]
	v_cmp_lt_i16_e32 vcc, s17, v4
	s_mov_b64 s[30:31], 0
                                        ; implicit-def: $sgpr40
	s_and_saveexec_b64 s[34:35], vcc
	s_xor_b64 s[34:35], exec, s[34:35]
	s_cbranch_execnz .LBB269_729
; %bb.452:                              ;   in Loop: Header=BB269_12 Depth=1
	s_or_saveexec_b64 s[34:35], s[34:35]
	v_mov_b32_e32 v22, s40
	s_xor_b64 exec, exec, s[34:35]
	s_cbranch_execnz .LBB269_732
.LBB269_453:                            ;   in Loop: Header=BB269_12 Depth=1
	s_or_b64 exec, exec, s[34:35]
	s_and_saveexec_b64 s[34:35], s[30:31]
	s_cbranch_execz .LBB269_455
.LBB269_454:                            ;   in Loop: Header=BB269_12 Depth=1
	v_and_b32_e32 v19, 7, v4
	v_ffbh_u32_e32 v2, v19
	v_min_u32_e32 v22, 32, v2
	v_subrev_u32_e32 v2, 28, v22
	v_bfe_u32 v21, v4, 3, 4
	v_lshlrev_b64 v[2:3], v2, v[4:5]
	v_sub_u32_e32 v3, 29, v22
	v_cmp_eq_u32_e32 vcc, 0, v21
	v_and_b32_e32 v2, 7, v2
	v_lshlrev_b32_e32 v4, 8, v4
	v_cndmask_b32_e32 v3, v21, v3, vcc
	v_lshl_add_u32 v3, v3, 10, v55
	v_cndmask_b32_e32 v2, v19, v2, vcc
	v_and_or_b32 v3, v4, s39, v3
	v_lshl_or_b32 v2, v2, 7, v3
	v_cvt_f32_f16_e32 v22, v2
.LBB269_455:                            ;   in Loop: Header=BB269_12 Depth=1
	s_or_b64 exec, exec, s[34:35]
	v_lshrrev_b32_e32 v4, 16, v36
	v_cmp_gt_i16_sdwa s[30:31], v4, s17 src0_sel:BYTE_0 src1_sel:DWORD
	s_mov_b64 vcc, 0
                                        ; implicit-def: $sgpr36
	s_and_saveexec_b64 s[34:35], s[30:31]
	s_xor_b64 s[30:31], exec, s[34:35]
	s_cbranch_execnz .LBB269_733
; %bb.456:                              ;   in Loop: Header=BB269_12 Depth=1
	s_or_saveexec_b64 s[30:31], s[30:31]
	v_mov_b32_e32 v49, s36
	s_xor_b64 exec, exec, s[30:31]
	s_cbranch_execnz .LBB269_736
.LBB269_457:                            ;   in Loop: Header=BB269_12 Depth=1
	s_or_b64 exec, exec, s[30:31]
	s_and_saveexec_b64 s[30:31], vcc
	s_cbranch_execz .LBB269_459
.LBB269_458:                            ;   in Loop: Header=BB269_12 Depth=1
	v_bfe_u32 v19, v36, 16, 3
	v_ffbh_u32_e32 v2, v19
	v_min_u32_e32 v23, 32, v2
	v_subrev_u32_e32 v2, 28, v23
	v_bfe_u32 v21, v36, 19, 4
	v_lshlrev_b64 v[2:3], v2, v[4:5]
	v_sub_u32_e32 v3, 29, v23
	v_cmp_eq_u32_e32 vcc, 0, v21
	v_and_b32_e32 v2, 7, v2
	v_lshlrev_b32_e32 v4, 8, v4
	v_cndmask_b32_e32 v3, v21, v3, vcc
	v_lshl_add_u32 v3, v3, 10, v55
	v_cndmask_b32_e32 v2, v19, v2, vcc
	v_and_or_b32 v3, v4, s39, v3
	v_lshl_or_b32 v2, v2, 7, v3
	v_cvt_f32_f16_e32 v49, v2
.LBB269_459:                            ;   in Loop: Header=BB269_12 Depth=1
	s_or_b64 exec, exec, s[30:31]
	v_lshrrev_b32_e32 v4, 24, v36
	v_cmp_lt_i16_e32 vcc, s17, v4
	s_mov_b64 s[30:31], 0
                                        ; implicit-def: $sgpr40
	s_and_saveexec_b64 s[34:35], vcc
	s_xor_b64 s[34:35], exec, s[34:35]
	s_cbranch_execnz .LBB269_737
; %bb.460:                              ;   in Loop: Header=BB269_12 Depth=1
	s_or_saveexec_b64 s[34:35], s[34:35]
	v_mov_b32_e32 v19, s40
	s_xor_b64 exec, exec, s[34:35]
	s_cbranch_execnz .LBB269_740
.LBB269_461:                            ;   in Loop: Header=BB269_12 Depth=1
	s_or_b64 exec, exec, s[34:35]
	s_and_saveexec_b64 s[34:35], s[30:31]
	s_cbranch_execz .LBB269_463
.LBB269_462:                            ;   in Loop: Header=BB269_12 Depth=1
	v_bfe_u32 v19, v36, 24, 3
	v_ffbh_u32_e32 v2, v19
	v_min_u32_e32 v23, 32, v2
	v_subrev_u32_e32 v2, 28, v23
	v_bfe_u32 v21, v36, 27, 4
	v_lshlrev_b64 v[2:3], v2, v[4:5]
	v_sub_u32_e32 v3, 29, v23
	v_cmp_eq_u32_e32 vcc, 0, v21
	v_and_b32_e32 v2, 7, v2
	v_lshlrev_b32_e32 v4, 8, v4
	v_cndmask_b32_e32 v3, v21, v3, vcc
	v_lshl_add_u32 v3, v3, 10, v55
	v_cndmask_b32_e32 v2, v19, v2, vcc
	v_and_or_b32 v3, v4, s39, v3
	v_lshl_or_b32 v2, v2, 7, v3
	v_cvt_f32_f16_e32 v19, v2
.LBB269_463:                            ;   in Loop: Header=BB269_12 Depth=1
	s_or_b64 exec, exec, s[34:35]
	flat_load_dword v36, v[38:39] offset:8
	s_mov_b64 vcc, 0
                                        ; implicit-def: $sgpr36
	s_waitcnt vmcnt(0) lgkmcnt(0)
	v_cmp_gt_i16_sdwa s[30:31], v36, s17 src0_sel:BYTE_0 src1_sel:DWORD
	s_and_saveexec_b64 s[34:35], s[30:31]
	s_xor_b64 s[30:31], exec, s[34:35]
	s_cbranch_execnz .LBB269_741
; %bb.464:                              ;   in Loop: Header=BB269_12 Depth=1
	s_or_saveexec_b64 s[30:31], s[30:31]
	v_mov_b32_e32 v21, s36
	s_xor_b64 exec, exec, s[30:31]
	s_cbranch_execnz .LBB269_744
.LBB269_465:                            ;   in Loop: Header=BB269_12 Depth=1
	s_or_b64 exec, exec, s[30:31]
	s_and_saveexec_b64 s[30:31], vcc
	s_cbranch_execz .LBB269_467
.LBB269_466:                            ;   in Loop: Header=BB269_12 Depth=1
	v_and_b32_e32 v4, 7, v36
	v_ffbh_u32_e32 v2, v4
	v_min_u32_e32 v23, 32, v2
	v_subrev_u32_e32 v2, 28, v23
	v_bfe_u32 v21, v36, 3, 4
	v_lshlrev_b64 v[2:3], v2, v[36:37]
	v_sub_u32_e32 v3, 29, v23
	v_cmp_eq_u32_e32 vcc, 0, v21
	v_and_b32_e32 v2, 7, v2
	s_nop 0
	v_cndmask_b32_e32 v3, v21, v3, vcc
	v_cndmask_b32_e32 v2, v4, v2, vcc
	v_lshlrev_b32_e32 v4, 8, v36
	v_lshl_add_u32 v3, v3, 10, v55
	v_and_or_b32 v3, v4, s39, v3
	v_lshl_or_b32 v2, v2, 7, v3
	v_cvt_f32_f16_e32 v21, v2
.LBB269_467:                            ;   in Loop: Header=BB269_12 Depth=1
	s_or_b64 exec, exec, s[30:31]
	v_lshrrev_b16_e32 v4, 8, v36
	v_cmp_lt_i16_e32 vcc, s17, v4
	s_mov_b64 s[30:31], 0
                                        ; implicit-def: $sgpr40
	s_and_saveexec_b64 s[34:35], vcc
	s_xor_b64 s[34:35], exec, s[34:35]
	s_cbranch_execnz .LBB269_745
; %bb.468:                              ;   in Loop: Header=BB269_12 Depth=1
	s_or_saveexec_b64 s[34:35], s[34:35]
	v_mov_b32_e32 v2, s40
	s_xor_b64 exec, exec, s[34:35]
	s_cbranch_execnz .LBB269_748
.LBB269_469:                            ;   in Loop: Header=BB269_12 Depth=1
	s_or_b64 exec, exec, s[34:35]
	s_and_saveexec_b64 s[34:35], s[30:31]
	s_cbranch_execz .LBB269_471
.LBB269_470:                            ;   in Loop: Header=BB269_12 Depth=1
	v_and_b32_e32 v23, 7, v4
	v_ffbh_u32_e32 v2, v23
	v_min_u32_e32 v38, 32, v2
	v_subrev_u32_e32 v2, 28, v38
	v_bfe_u32 v37, v4, 3, 4
	v_lshlrev_b64 v[2:3], v2, v[4:5]
	v_sub_u32_e32 v3, 29, v38
	v_cmp_eq_u32_e32 vcc, 0, v37
	v_and_b32_e32 v2, 7, v2
	v_lshlrev_b32_e32 v4, 8, v4
	v_cndmask_b32_e32 v3, v37, v3, vcc
	v_lshl_add_u32 v3, v3, 10, v55
	v_cndmask_b32_e32 v2, v23, v2, vcc
	v_and_or_b32 v3, v4, s39, v3
	v_lshl_or_b32 v2, v2, 7, v3
	v_cvt_f32_f16_e32 v2, v2
.LBB269_471:                            ;   in Loop: Header=BB269_12 Depth=1
	s_or_b64 exec, exec, s[34:35]
	v_lshrrev_b32_e32 v4, 16, v36
	v_cmp_gt_i16_sdwa s[30:31], v4, s17 src0_sel:BYTE_0 src1_sel:DWORD
	s_mov_b64 vcc, 0
                                        ; implicit-def: $sgpr36
	s_and_saveexec_b64 s[34:35], s[30:31]
	s_xor_b64 s[30:31], exec, s[34:35]
	s_cbranch_execnz .LBB269_749
; %bb.472:                              ;   in Loop: Header=BB269_12 Depth=1
	s_or_saveexec_b64 s[30:31], s[30:31]
	v_mov_b32_e32 v3, s36
	s_xor_b64 exec, exec, s[30:31]
	s_cbranch_execnz .LBB269_752
.LBB269_473:                            ;   in Loop: Header=BB269_12 Depth=1
	s_or_b64 exec, exec, s[30:31]
	s_and_saveexec_b64 s[30:31], vcc
	s_cbranch_execz .LBB269_475
.LBB269_474:                            ;   in Loop: Header=BB269_12 Depth=1
	v_bfe_u32 v3, v36, 16, 3
	v_ffbh_u32_e32 v37, v3
	v_bfe_u32 v23, v36, 19, 4
	v_min_u32_e32 v37, 32, v37
	v_subrev_u32_e32 v38, 28, v37
	v_sub_u32_e32 v37, 29, v37
	v_cmp_eq_u32_e32 vcc, 0, v23
	v_lshlrev_b64 v[38:39], v38, v[4:5]
	v_and_b32_e32 v38, 7, v38
	v_cndmask_b32_e32 v23, v23, v37, vcc
	v_lshlrev_b32_e32 v4, 8, v4
	v_lshl_add_u32 v23, v23, 10, v55
	v_cndmask_b32_e32 v3, v3, v38, vcc
	v_and_or_b32 v4, v4, s39, v23
	v_lshl_or_b32 v3, v3, 7, v4
	v_cvt_f32_f16_e32 v3, v3
.LBB269_475:                            ;   in Loop: Header=BB269_12 Depth=1
	s_or_b64 exec, exec, s[30:31]
	v_lshrrev_b32_e32 v4, 24, v36
	v_cmp_lt_i16_e32 vcc, s17, v4
	s_mov_b64 s[30:31], 0
                                        ; implicit-def: $sgpr40
	s_and_saveexec_b64 s[34:35], vcc
	s_xor_b64 s[34:35], exec, s[34:35]
	s_cbranch_execnz .LBB269_753
; %bb.476:                              ;   in Loop: Header=BB269_12 Depth=1
	s_or_saveexec_b64 s[34:35], s[34:35]
	v_mov_b32_e32 v23, s40
	s_xor_b64 exec, exec, s[34:35]
	s_cbranch_execnz .LBB269_756
.LBB269_477:                            ;   in Loop: Header=BB269_12 Depth=1
	s_or_b64 exec, exec, s[34:35]
	s_and_saveexec_b64 s[34:35], s[30:31]
	s_cbranch_execz .LBB269_479
.LBB269_478:                            ;   in Loop: Header=BB269_12 Depth=1
	v_bfe_u32 v23, v36, 24, 3
	v_bfe_u32 v38, v36, 27, 4
	v_ffbh_u32_e32 v36, v23
	v_min_u32_e32 v39, 32, v36
	v_subrev_u32_e32 v36, 28, v39
	v_lshlrev_b64 v[36:37], v36, v[4:5]
	v_sub_u32_e32 v37, 29, v39
	v_cmp_eq_u32_e32 vcc, 0, v38
	v_and_b32_e32 v36, 7, v36
	v_lshlrev_b32_e32 v4, 8, v4
	v_cndmask_b32_e32 v37, v38, v37, vcc
	v_cndmask_b32_e32 v23, v23, v36, vcc
	v_lshl_add_u32 v36, v37, 10, v55
	v_and_or_b32 v4, v4, s39, v36
	v_lshl_or_b32 v4, v23, 7, v4
	v_cvt_f32_f16_e32 v23, v4
.LBB269_479:                            ;   in Loop: Header=BB269_12 Depth=1
	s_or_b64 exec, exec, s[34:35]
	v_add_co_u32_e32 v36, vcc, 0x1000, v34
                                        ; implicit-def: $sgpr36
	s_nop 1
	v_addc_co_u32_e32 v37, vcc, 0, v35, vcc
	flat_load_dword v36, v[36:37] offset:1536
	s_mov_b64 vcc, 0
	s_waitcnt vmcnt(0) lgkmcnt(0)
	v_cmp_gt_i16_sdwa s[30:31], v36, s17 src0_sel:BYTE_0 src1_sel:DWORD
	s_and_saveexec_b64 s[34:35], s[30:31]
	s_xor_b64 s[30:31], exec, s[34:35]
	s_cbranch_execnz .LBB269_757
; %bb.480:                              ;   in Loop: Header=BB269_12 Depth=1
	s_or_saveexec_b64 s[30:31], s[30:31]
	v_mov_b32_e32 v37, s36
	s_xor_b64 exec, exec, s[30:31]
	s_cbranch_execnz .LBB269_760
.LBB269_481:                            ;   in Loop: Header=BB269_12 Depth=1
	s_or_b64 exec, exec, s[30:31]
	s_and_saveexec_b64 s[30:31], vcc
	s_cbranch_execz .LBB269_483
.LBB269_482:                            ;   in Loop: Header=BB269_12 Depth=1
	v_and_b32_e32 v4, 7, v36
	v_ffbh_u32_e32 v38, v4
	v_min_u32_e32 v50, 32, v38
	v_bfe_u32 v37, v36, 3, 4
	v_subrev_u32_e32 v38, 28, v50
	v_lshlrev_b64 v[38:39], v38, v[36:37]
	v_sub_u32_e32 v39, 29, v50
	v_cmp_eq_u32_e32 vcc, 0, v37
	v_and_b32_e32 v38, 7, v38
	s_nop 0
	v_cndmask_b32_e32 v37, v37, v39, vcc
	v_cndmask_b32_e32 v4, v4, v38, vcc
	v_lshlrev_b32_e32 v38, 8, v36
	v_lshl_add_u32 v37, v37, 10, v55
	v_and_or_b32 v37, v38, s39, v37
	v_lshl_or_b32 v4, v4, 7, v37
	v_cvt_f32_f16_e32 v37, v4
.LBB269_483:                            ;   in Loop: Header=BB269_12 Depth=1
	s_or_b64 exec, exec, s[30:31]
	v_lshrrev_b16_e32 v4, 8, v36
	v_lshl_add_u64 v[34:35], v[34:35], 0, s[28:29]
	v_cmp_lt_i16_e32 vcc, s17, v4
	s_mov_b64 s[30:31], 0
                                        ; implicit-def: $sgpr40
	s_and_saveexec_b64 s[34:35], vcc
	s_xor_b64 s[34:35], exec, s[34:35]
	s_cbranch_execnz .LBB269_761
; %bb.484:                              ;   in Loop: Header=BB269_12 Depth=1
	s_or_saveexec_b64 s[34:35], s[34:35]
	v_mov_b32_e32 v38, s40
	s_xor_b64 exec, exec, s[34:35]
	s_cbranch_execnz .LBB269_764
.LBB269_485:                            ;   in Loop: Header=BB269_12 Depth=1
	s_or_b64 exec, exec, s[34:35]
	s_and_saveexec_b64 s[34:35], s[30:31]
	s_cbranch_execz .LBB269_487
.LBB269_486:                            ;   in Loop: Header=BB269_12 Depth=1
	v_and_b32_e32 v50, 7, v4
	v_ffbh_u32_e32 v38, v50
	v_min_u32_e32 v52, 32, v38
	v_subrev_u32_e32 v38, 28, v52
	v_bfe_u32 v51, v4, 3, 4
	v_lshlrev_b64 v[38:39], v38, v[4:5]
	v_sub_u32_e32 v39, 29, v52
	v_cmp_eq_u32_e32 vcc, 0, v51
	v_and_b32_e32 v38, 7, v38
	v_lshlrev_b32_e32 v4, 8, v4
	v_cndmask_b32_e32 v39, v51, v39, vcc
	v_lshl_add_u32 v39, v39, 10, v55
	v_cndmask_b32_e32 v38, v50, v38, vcc
	v_and_or_b32 v4, v4, s39, v39
	v_lshl_or_b32 v4, v38, 7, v4
	v_cvt_f32_f16_e32 v38, v4
.LBB269_487:                            ;   in Loop: Header=BB269_12 Depth=1
	s_or_b64 exec, exec, s[34:35]
	v_lshrrev_b32_e32 v4, 16, v36
	v_cmp_gt_i16_sdwa s[30:31], v4, s17 src0_sel:BYTE_0 src1_sel:DWORD
	s_mov_b64 vcc, 0
                                        ; implicit-def: $sgpr36
	s_and_saveexec_b64 s[34:35], s[30:31]
	s_xor_b64 s[30:31], exec, s[34:35]
	s_cbranch_execnz .LBB269_765
; %bb.488:                              ;   in Loop: Header=BB269_12 Depth=1
	s_or_saveexec_b64 s[30:31], s[30:31]
	v_mov_b32_e32 v39, s36
	s_xor_b64 exec, exec, s[30:31]
	s_cbranch_execnz .LBB269_768
.LBB269_489:                            ;   in Loop: Header=BB269_12 Depth=1
	s_or_b64 exec, exec, s[30:31]
	s_and_saveexec_b64 s[30:31], vcc
	s_cbranch_execz .LBB269_491
.LBB269_490:                            ;   in Loop: Header=BB269_12 Depth=1
	v_bfe_u32 v39, v36, 16, 3
	v_ffbh_u32_e32 v50, v39
	v_min_u32_e32 v42, 32, v50
	v_subrev_u32_e32 v50, 28, v42
	v_bfe_u32 v52, v36, 19, 4
	v_lshlrev_b64 v[50:51], v50, v[4:5]
	v_sub_u32_e32 v51, 29, v42
	v_cmp_eq_u32_e32 vcc, 0, v52
	v_and_b32_e32 v50, 7, v50
	v_lshlrev_b32_e32 v4, 8, v4
	v_cndmask_b32_e32 v51, v52, v51, vcc
	v_cndmask_b32_e32 v39, v39, v50, vcc
	v_lshl_add_u32 v50, v51, 10, v55
	v_and_or_b32 v4, v4, s39, v50
	v_lshl_or_b32 v4, v39, 7, v4
	v_cvt_f32_f16_e32 v39, v4
.LBB269_491:                            ;   in Loop: Header=BB269_12 Depth=1
	s_or_b64 exec, exec, s[30:31]
	v_lshrrev_b32_e32 v4, 24, v36
	v_cmp_lt_i16_e32 vcc, s17, v4
	s_mov_b64 s[30:31], 0
                                        ; implicit-def: $sgpr40
	s_and_saveexec_b64 s[34:35], vcc
	s_xor_b64 s[34:35], exec, s[34:35]
	s_cbranch_execnz .LBB269_769
; %bb.492:                              ;   in Loop: Header=BB269_12 Depth=1
	s_or_saveexec_b64 s[34:35], s[34:35]
	v_mov_b32_e32 v52, s40
	s_xor_b64 exec, exec, s[34:35]
	s_cbranch_execnz .LBB269_772
.LBB269_493:                            ;   in Loop: Header=BB269_12 Depth=1
	s_or_b64 exec, exec, s[34:35]
	s_and_saveexec_b64 s[34:35], s[30:31]
	s_cbranch_execz .LBB269_495
.LBB269_494:                            ;   in Loop: Header=BB269_12 Depth=1
	v_bfe_u32 v52, v36, 24, 3
	v_ffbh_u32_e32 v50, v52
	v_min_u32_e32 v42, 32, v50
	v_subrev_u32_e32 v50, 28, v42
	v_bfe_u32 v36, v36, 27, 4
	v_lshlrev_b64 v[50:51], v50, v[4:5]
	v_sub_u32_e32 v51, 29, v42
	v_cmp_eq_u32_e32 vcc, 0, v36
	v_and_b32_e32 v50, 7, v50
	v_lshlrev_b32_e32 v4, 8, v4
	v_cndmask_b32_e32 v36, v36, v51, vcc
	v_lshl_add_u32 v36, v36, 10, v55
	v_cndmask_b32_e32 v50, v52, v50, vcc
	v_and_or_b32 v4, v4, s39, v36
	v_lshl_or_b32 v4, v50, 7, v4
	v_cvt_f32_f16_e32 v52, v4
.LBB269_495:                            ;   in Loop: Header=BB269_12 Depth=1
	s_or_b64 exec, exec, s[34:35]
	flat_load_dword v34, v[34:35] offset:8
	s_mov_b64 vcc, 0
                                        ; implicit-def: $sgpr36
	s_waitcnt vmcnt(0) lgkmcnt(0)
	v_cmp_gt_i16_sdwa s[30:31], v34, s17 src0_sel:BYTE_0 src1_sel:DWORD
	s_and_saveexec_b64 s[34:35], s[30:31]
	s_xor_b64 s[30:31], exec, s[34:35]
	s_cbranch_execnz .LBB269_773
; %bb.496:                              ;   in Loop: Header=BB269_12 Depth=1
	s_or_saveexec_b64 s[30:31], s[30:31]
	v_mov_b32_e32 v50, s36
	s_xor_b64 exec, exec, s[30:31]
	s_cbranch_execnz .LBB269_776
.LBB269_497:                            ;   in Loop: Header=BB269_12 Depth=1
	s_or_b64 exec, exec, s[30:31]
	s_and_saveexec_b64 s[30:31], vcc
	s_cbranch_execz .LBB269_499
.LBB269_498:                            ;   in Loop: Header=BB269_12 Depth=1
	v_and_b32_e32 v4, 7, v34
	v_ffbh_u32_e32 v36, v4
	v_bfe_u32 v35, v34, 3, 4
	v_min_u32_e32 v36, 32, v36
	v_subrev_u32_e32 v50, 28, v36
	v_sub_u32_e32 v36, 29, v36
	v_cmp_eq_u32_e32 vcc, 0, v35
	v_lshlrev_b64 v[50:51], v50, v[34:35]
	v_and_b32_e32 v50, 7, v50
	v_cndmask_b32_e32 v35, v35, v36, vcc
	v_lshlrev_b32_e32 v36, 8, v34
	v_lshl_add_u32 v35, v35, 10, v55
	v_cndmask_b32_e32 v4, v4, v50, vcc
	v_and_or_b32 v35, v36, s39, v35
	v_lshl_or_b32 v4, v4, 7, v35
	v_cvt_f32_f16_e32 v50, v4
.LBB269_499:                            ;   in Loop: Header=BB269_12 Depth=1
	s_or_b64 exec, exec, s[30:31]
	v_lshrrev_b16_e32 v4, 8, v34
	v_cmp_lt_i16_e32 vcc, s17, v4
	s_mov_b64 s[30:31], 0
                                        ; implicit-def: $sgpr40
	s_and_saveexec_b64 s[34:35], vcc
	s_xor_b64 s[34:35], exec, s[34:35]
	s_cbranch_execnz .LBB269_777
; %bb.500:                              ;   in Loop: Header=BB269_12 Depth=1
	s_or_saveexec_b64 s[34:35], s[34:35]
	v_mov_b32_e32 v36, s40
	s_xor_b64 exec, exec, s[34:35]
	s_cbranch_execnz .LBB269_780
.LBB269_501:                            ;   in Loop: Header=BB269_12 Depth=1
	s_or_b64 exec, exec, s[34:35]
	s_and_saveexec_b64 s[34:35], s[30:31]
	s_cbranch_execz .LBB269_503
.LBB269_502:                            ;   in Loop: Header=BB269_12 Depth=1
	v_and_b32_e32 v35, 7, v4
	v_ffbh_u32_e32 v51, v35
	v_bfe_u32 v36, v4, 3, 4
	v_min_u32_e32 v51, 32, v51
	v_subrev_u32_e32 v42, 28, v51
	v_sub_u32_e32 v51, 29, v51
	v_cmp_eq_u32_e32 vcc, 0, v36
	v_accvgpr_write_b32 a46, v44
	v_accvgpr_write_b32 a47, v45
	v_lshlrev_b64 v[44:45], v42, v[4:5]
	v_cndmask_b32_e32 v36, v36, v51, vcc
	v_and_b32_e32 v42, 7, v44
	v_lshlrev_b32_e32 v4, 8, v4
	v_lshl_add_u32 v36, v36, 10, v55
	v_cndmask_b32_e32 v35, v35, v42, vcc
	v_and_or_b32 v4, v4, s39, v36
	v_lshl_or_b32 v4, v35, 7, v4
	v_cvt_f32_f16_e32 v36, v4
	v_accvgpr_read_b32 v45, a47
	v_accvgpr_read_b32 v44, a46
.LBB269_503:                            ;   in Loop: Header=BB269_12 Depth=1
	s_or_b64 exec, exec, s[34:35]
	v_lshrrev_b32_e32 v4, 16, v34
	v_cmp_gt_i16_sdwa s[30:31], v4, s17 src0_sel:BYTE_0 src1_sel:DWORD
	s_mov_b64 vcc, 0
                                        ; implicit-def: $sgpr36
	s_and_saveexec_b64 s[34:35], s[30:31]
	s_xor_b64 s[30:31], exec, s[34:35]
	s_cbranch_execnz .LBB269_781
; %bb.504:                              ;   in Loop: Header=BB269_12 Depth=1
	s_or_saveexec_b64 s[30:31], s[30:31]
	v_mov_b32_e32 v51, s36
	s_xor_b64 exec, exec, s[30:31]
	s_cbranch_execnz .LBB269_784
.LBB269_505:                            ;   in Loop: Header=BB269_12 Depth=1
	s_or_b64 exec, exec, s[30:31]
	s_and_saveexec_b64 s[30:31], vcc
	s_cbranch_execz .LBB269_507
.LBB269_506:                            ;   in Loop: Header=BB269_12 Depth=1
	v_bfe_u32 v35, v34, 16, 3
	v_ffbh_u32_e32 v42, v35
	v_bfe_u32 v51, v34, 19, 4
	v_min_u32_e32 v42, 32, v42
	v_accvgpr_write_b32 a46, v44
	v_subrev_u32_e32 v44, 28, v42
	v_sub_u32_e32 v42, 29, v42
	v_cmp_eq_u32_e32 vcc, 0, v51
	v_accvgpr_write_b32 a47, v45
	v_lshlrev_b64 v[44:45], v44, v[4:5]
	v_cndmask_b32_e32 v51, v51, v42, vcc
	v_and_b32_e32 v44, 7, v44
	v_lshlrev_b32_e32 v4, 8, v4
	v_lshl_add_u32 v51, v51, 10, v55
	v_cndmask_b32_e32 v35, v35, v44, vcc
	v_and_or_b32 v4, v4, s39, v51
	v_lshl_or_b32 v4, v35, 7, v4
	v_cvt_f32_f16_e32 v51, v4
	v_accvgpr_read_b32 v45, a47
	v_accvgpr_read_b32 v44, a46
.LBB269_507:                            ;   in Loop: Header=BB269_12 Depth=1
	s_or_b64 exec, exec, s[30:31]
	v_lshrrev_b32_e32 v4, 24, v34
	v_cmp_lt_i16_e32 vcc, s17, v4
	s_mov_b64 s[30:31], 0
                                        ; implicit-def: $sgpr40
	s_and_saveexec_b64 s[34:35], vcc
	s_xor_b64 s[34:35], exec, s[34:35]
	s_cbranch_execz .LBB269_511
; %bb.508:                              ;   in Loop: Header=BB269_12 Depth=1
	v_cmp_eq_u16_e32 vcc, s38, v4
	s_mov_b64 s[30:31], -1
                                        ; implicit-def: $sgpr40
	s_and_saveexec_b64 s[36:37], vcc
; %bb.509:                              ;   in Loop: Header=BB269_12 Depth=1
	s_mov_b32 s40, 0x7fc02000
	s_xor_b64 s[30:31], exec, -1
; %bb.510:                              ;   in Loop: Header=BB269_12 Depth=1
	s_or_b64 exec, exec, s[36:37]
	s_and_b64 s[30:31], s[30:31], exec
.LBB269_511:                            ;   in Loop: Header=BB269_12 Depth=1
	s_or_saveexec_b64 s[34:35], s[34:35]
	v_mov_b32_e32 v42, s40
	s_xor_b64 exec, exec, s[34:35]
; %bb.512:                              ;   in Loop: Header=BB269_12 Depth=1
	v_cmp_ne_u16_e32 vcc, 0, v4
	s_andn2_b64 s[30:31], s[30:31], exec
	s_and_b64 vcc, vcc, exec
	v_mov_b32_e32 v42, 0
	s_or_b64 s[30:31], s[30:31], vcc
; %bb.513:                              ;   in Loop: Header=BB269_12 Depth=1
	s_or_b64 exec, exec, s[34:35]
	scratch_load_dword v35, off, s32 offset:272 ; 4-byte Folded Reload
	v_accvgpr_write_b32 a47, v45
	v_accvgpr_write_b32 a46, v44
	s_waitcnt vmcnt(0)
	v_accvgpr_write_b32 a50, v35
	scratch_load_dword v35, off, s32 offset:224 ; 4-byte Folded Reload
	s_waitcnt vmcnt(0)
	v_accvgpr_write_b32 a49, v35
	scratch_load_dword v35, off, s32 offset:220 ; 4-byte Folded Reload
	s_waitcnt vmcnt(0)
	v_accvgpr_write_b32 a48, v35
	s_and_saveexec_b64 s[34:35], s[30:31]
	s_cbranch_execz .LBB269_515
; %bb.514:                              ;   in Loop: Header=BB269_12 Depth=1
	v_bfe_u32 v42, v34, 24, 3
	v_bfe_u32 v44, v34, 27, 4
	v_ffbh_u32_e32 v34, v42
	v_min_u32_e32 v45, 32, v34
	v_subrev_u32_e32 v34, 28, v45
	v_lshlrev_b64 v[34:35], v34, v[4:5]
	v_sub_u32_e32 v35, 29, v45
	v_cmp_eq_u32_e32 vcc, 0, v44
	v_and_b32_e32 v34, 7, v34
	v_lshlrev_b32_e32 v4, 8, v4
	v_cndmask_b32_e32 v35, v44, v35, vcc
	v_lshl_add_u32 v35, v35, 10, v55
	v_cndmask_b32_e32 v34, v42, v34, vcc
	v_and_or_b32 v4, v4, s39, v35
	v_lshl_or_b32 v4, v34, 7, v4
	v_cvt_f32_f16_e32 v42, v4
.LBB269_515:                            ;   in Loop: Header=BB269_12 Depth=1
	s_or_b64 exec, exec, s[34:35]
	v_fma_mixlo_f16 v1, v0, v1, 0
	v_accvgpr_write_b32 a15, v1
	v_fma_mixlo_f16 v1, v0, v32, 0
	v_accvgpr_write_b32 a19, v1
	;; [unrolled: 2-line block ×26, first 2 shown]
	v_accvgpr_read_b32 v1, a61
	v_fma_mixlo_f16 v44, v0, v1, 0
	scratch_load_dword v1, off, s32 offset:316 ; 4-byte Folded Reload
	v_fma_mixlo_f16 v2, v0, v2, 0
	v_accvgpr_write_b32 a30, v2
	v_fma_mixlo_f16 v2, v0, v21, 0
	v_accvgpr_write_b32 a14, v2
	;; [unrolled: 2-line block ×10, first 2 shown]
	v_fma_mixlo_f16 v34, v0, v56, 0
	v_fma_mixlo_f16 v4, v0, v38, 0
	v_accvgpr_write_b32 a24, v4
	v_fma_mixlo_f16 v4, v0, v37, 0
	v_accvgpr_write_b32 a26, v4
	;; [unrolled: 2-line block ×3, first 2 shown]
	v_fma_mixlo_f16 v4, v0, v52, 0
	v_fma_mixlo_f16 v19, v0, v62, 0
	v_accvgpr_write_b32 a62, v4
	v_fma_mixlo_f16 v4, v0, v58, 0
	v_fma_mixlo_f16 v18, v0, v59, 0
	;; [unrolled: 1-line block ×6, first 2 shown]
	v_accvgpr_read_b32 v12, a47
	v_fma_mixlo_f16 v22, v0, v61, 0
	v_fma_mixlo_f16 v61, v0, v12, 0
	;; [unrolled: 1-line block ×5, first 2 shown]
	scratch_load_dword v46, off, s32 offset:368 ; 4-byte Folded Reload
	s_waitcnt vmcnt(1)
	v_fma_mixlo_f16 v31, v0, v1, 0
	v_accvgpr_read_b32 v1, a60
	v_fma_mixlo_f16 v33, v0, v1, 0
	scratch_load_dword v1, off, s32 offset:320 ; 4-byte Folded Reload
	s_waitcnt vmcnt(0)
	v_fma_mixlo_f16 v2, v0, v1, 0
	scratch_load_dword v1, off, s32 offset:324 ; 4-byte Folded Reload
	s_waitcnt vmcnt(0)
	;; [unrolled: 3-line block ×3, first 2 shown]
	v_fma_mixlo_f16 v23, v0, v1, 0
	v_accvgpr_read_b32 v1, a59
	v_fma_mixlo_f16 v56, v0, v1, 0
	scratch_load_dword v1, off, s32 offset:308 ; 4-byte Folded Reload
	s_waitcnt vmcnt(0)
	v_fma_mixlo_f16 v52, v0, v1, 0
	scratch_load_dword v1, off, s32 offset:312 ; 4-byte Folded Reload
	s_waitcnt vmcnt(0)
	;; [unrolled: 3-line block ×3, first 2 shown]
	v_fma_mixlo_f16 v48, v0, v1, 0
	v_accvgpr_read_b32 v1, a58
	v_fma_mixlo_f16 v6, v0, v1, 0
	scratch_load_dword v1, off, s32 offset:296 ; 4-byte Folded Reload
	v_and_b32_e32 v6, 0xffff, v6
	s_waitcnt vmcnt(0)
	v_fma_mixlo_f16 v11, v0, v1, 0
	scratch_load_dword v1, off, s32 offset:300 ; 4-byte Folded Reload
	s_waitcnt vmcnt(0)
	v_fma_mixlo_f16 v43, v0, v1, 0
	scratch_load_dword v1, off, s32 offset:280 ; 4-byte Folded Reload
	s_waitcnt vmcnt(0)
	v_fma_mixlo_f16 v37, v0, v1, 0
	v_accvgpr_read_b32 v1, a57
	v_fma_mixlo_f16 v25, v0, v1, 0
	scratch_load_dword v1, off, s32 offset:284 ; 4-byte Folded Reload
	s_waitcnt vmcnt(0)
	v_fma_mixlo_f16 v53, v0, v1, 0
	scratch_load_dword v1, off, s32 offset:288 ; 4-byte Folded Reload
	s_waitcnt vmcnt(0)
	v_fma_mixlo_f16 v7, v0, v1, 0
	scratch_load_dword v1, off, s32 offset:264 ; 4-byte Folded Reload
	v_and_b32_e32 v7, 0xffff, v7
	s_waitcnt vmcnt(0)
	v_fma_mixlo_f16 v16, v0, v1, 0
	v_accvgpr_read_b32 v1, a56
	v_fma_mixlo_f16 v26, v0, v1, 0
	scratch_load_dword v1, off, s32 offset:268 ; 4-byte Folded Reload
	s_waitcnt vmcnt(0)
	v_fma_mixlo_f16 v10, v0, v1, 0
	scratch_load_dword v1, off, s32 offset:276 ; 4-byte Folded Reload
	s_waitcnt vmcnt(0)
	v_fma_mixlo_f16 v9, v0, v1, 0
	scratch_load_dword v1, off, s32 offset:252 ; 4-byte Folded Reload
	v_and_b32_e32 v9, 0xffff, v9
	s_waitcnt vmcnt(0)
	v_fma_mixlo_f16 v14, v0, v1, 0
	v_accvgpr_read_b32 v1, a55
	v_fma_mixlo_f16 v15, v0, v1, 0
	scratch_load_dword v1, off, s32 offset:256 ; 4-byte Folded Reload
	v_and_b32_e32 v14, 0xffff, v14
	s_waitcnt vmcnt(0)
	v_fma_mixlo_f16 v8, v0, v1, 0
	scratch_load_dword v1, off, s32 offset:260 ; 4-byte Folded Reload
	v_and_b32_e32 v8, 0xffff, v8
	s_waitcnt vmcnt(0)
	v_fma_mixlo_f16 v27, v0, v1, 0
	scratch_load_dword v1, off, s32 offset:240 ; 4-byte Folded Reload
	s_waitcnt vmcnt(0)
	v_fma_mixlo_f16 v28, v0, v1, 0
	v_accvgpr_read_b32 v1, a54
	v_fma_mixlo_f16 v62, v0, v1, 0
	scratch_load_dword v1, off, s32 offset:244 ; 4-byte Folded Reload
	v_and_b32_e32 v28, 0xffff, v28
	s_waitcnt vmcnt(0)
	v_fma_mixlo_f16 v40, v0, v1, 0
	scratch_load_dword v1, off, s32 offset:248 ; 4-byte Folded Reload
	s_waitcnt vmcnt(0)
	v_fma_mixlo_f16 v24, v0, v1, 0
	scratch_load_dword v1, off, s32 offset:228 ; 4-byte Folded Reload
	v_and_b32_e32 v24, 0xffff, v24
	s_waitcnt vmcnt(0)
	v_fma_mixlo_f16 v58, v0, v1, 0
	v_accvgpr_read_b32 v1, a23
	v_fma_mixlo_f16 v59, v0, v1, 0
	scratch_load_dword v1, off, s32 offset:232 ; 4-byte Folded Reload
	v_accvgpr_write_b32 a23, v12
	v_fma_mixlo_f16 v12, v0, v50, 0
	v_accvgpr_write_b32 a47, v12
	v_fma_mixlo_f16 v12, v0, v51, 0
	ds_read_b64 v[50:51], v46
	s_waitcnt lgkmcnt(0)
	v_lshrrev_b32_e32 v36, 16, v50
	v_and_b32_e32 v50, 0xffff, v50
	s_waitcnt vmcnt(0)
	v_fma_mixlo_f16 v29, v0, v1, 0
	scratch_load_dword v1, off, s32 offset:236 ; 4-byte Folded Reload
	s_waitcnt vmcnt(0)
	v_fma_mixlo_f16 v57, v0, v1, 0
	v_accvgpr_read_b32 v1, a48
	v_fma_mixlo_f16 v13, v0, v1, 0
	v_accvgpr_read_b32 v1, a27
	;; [unrolled: 2-line block ×4, first 2 shown]
	v_fma_mixlo_f16 v54, v0, v1, 0
	scratch_load_dword v1, off, s32 offset:216 ; 4-byte Folded Reload
	v_and_b32_e32 v17, 0xffff, v17
	v_and_b32_e32 v13, 0xffff, v13
	s_waitcnt vmcnt(0)
	v_fma_mixlo_f16 v41, v0, v1, 0
	scratch_load_dword v1, off, s32 offset:348 ; 4-byte Folded Reload
	s_waitcnt vmcnt(0)
	v_fma_mixlo_f16 v47, v0, v1, 0
	v_accvgpr_read_b32 v1, a46
	v_fma_mixlo_f16 v1, v0, v1, 0
	v_fma_mixlo_f16 v0, v0, v42, 0
	;;#ASMSTART
	v_cvt_f32_f16 v42, v50;
	;;#ASMEND
	v_and_b32_e32 v50, 0xffff, v47
	;;#ASMSTART
	v_cvt_f32_f16 v36, v36;
	;;#ASMEND
	;;#ASMSTART
	v_cvt_f32_f16 v47, v50;
	;;#ASMEND
	v_and_b32_e32 v50, 0xffff, v41
	;;#ASMSTART
	v_cvt_f32_f16 v41, v50;
	;;#ASMEND
	v_lshrrev_b32_e32 v50, 16, v51
	v_accvgpr_write_b32 a27, v0
	v_and_b32_e32 v51, 0xffff, v51
	;;#ASMSTART
	v_cvt_f32_f16 v0, v51;
	;;#ASMEND
	;;#ASMSTART
	v_cvt_f32_f16 v30, v50;
	;;#ASMEND
	v_and_b32_e32 v1, 0xffff, v1
	v_and_b32_e32 v50, 0xffff, v61
	;;#ASMSTART
	v_cvt_f32_f16 v1, v1;
	;;#ASMEND
	;;#ASMSTART
	v_cvt_f32_f16 v61, v50;
	;;#ASMEND
	ds_read_b64 v[50:51], v46 offset:8
	v_accvgpr_write_b32 a46, v12
	s_waitcnt lgkmcnt(0)
	v_lshrrev_b32_e32 v12, 16, v50
	v_and_b32_e32 v50, 0xffff, v50
	;;#ASMSTART
	v_cvt_f32_f16 v50, v50;
	;;#ASMEND
	;;#ASMSTART
	v_cvt_f32_f16 v12, v12;
	;;#ASMEND
	;; [unrolled: 3-line block ×4, first 2 shown]
	s_nop 0
	v_mul_f32_e32 v13, v50, v17
	v_mul_f32_e32 v17, v12, v32
	v_fmac_f32_e32 v17, v36, v41
	v_lshrrev_b32_e32 v12, 16, v51
	v_and_b32_e32 v32, 0xffff, v51
	v_and_b32_e32 v36, 0xffff, v60
	;;#ASMSTART
	v_cvt_f32_f16 v32, v32;
	;;#ASMEND
	;;#ASMSTART
	v_cvt_f32_f16 v12, v12;
	;;#ASMEND
	;; [unrolled: 3-line block ×3, first 2 shown]
	v_and_b32_e32 v50, 0xffff, v54
	;;#ASMSTART
	v_cvt_f32_f16 v51, v50;
	;;#ASMEND
	v_mul_f32_e32 v50, v32, v36
	v_mul_f32_e32 v54, v12, v51
	v_fmac_f32_e32 v54, v30, v61
	ds_read_b64 v[60:61], v46 offset:16
	v_fmac_f32_e32 v50, v0, v1
	v_and_b32_e32 v12, 0xffff, v59
	v_fmac_f32_e32 v13, v42, v47
	v_and_b32_e32 v30, 0xffff, v58
	s_waitcnt lgkmcnt(0)
	v_lshrrev_b32_e32 v0, 16, v60
	v_and_b32_e32 v1, 0xffff, v60
	;;#ASMSTART
	v_cvt_f32_f16 v1, v1;
	;;#ASMEND
	;;#ASMSTART
	v_cvt_f32_f16 v0, v0;
	;;#ASMEND
	;; [unrolled: 3-line block ×4, first 2 shown]
	s_nop 0
	v_fmac_f32_e32 v13, v1, v12
	v_fmac_f32_e32 v17, v0, v30
	v_lshrrev_b32_e32 v0, 16, v61
	v_and_b32_e32 v1, 0xffff, v61
	v_and_b32_e32 v12, 0xffff, v29
	;; [unrolled: 1-line block ×3, first 2 shown]
	;;#ASMSTART
	v_cvt_f32_f16 v1, v1;
	;;#ASMEND
	;;#ASMSTART
	v_cvt_f32_f16 v0, v0;
	;;#ASMEND
	;; [unrolled: 3-line block ×4, first 2 shown]
	ds_read_b64 v[58:59], v46 offset:24
	v_fmac_f32_e32 v50, v1, v12
	v_fmac_f32_e32 v54, v0, v29
	v_and_b32_e32 v12, 0xffff, v62
	s_waitcnt lgkmcnt(0)
	v_lshrrev_b32_e32 v0, 16, v58
	v_and_b32_e32 v1, 0xffff, v58
	;;#ASMSTART
	v_cvt_f32_f16 v1, v1;
	;;#ASMEND
	;;#ASMSTART
	v_cvt_f32_f16 v0, v0;
	;;#ASMEND
	;; [unrolled: 3-line block ×4, first 2 shown]
	s_nop 0
	v_fmac_f32_e32 v13, v1, v12
	v_fmac_f32_e32 v17, v0, v28
	v_lshrrev_b32_e32 v0, 16, v59
	v_and_b32_e32 v1, 0xffff, v59
	v_and_b32_e32 v12, 0xffff, v40
	;;#ASMSTART
	v_cvt_f32_f16 v1, v1;
	;;#ASMEND
	;;#ASMSTART
	v_cvt_f32_f16 v0, v0;
	;;#ASMEND
	;; [unrolled: 3-line block ×4, first 2 shown]
	ds_read_b64 v[28:29], v46 offset:32
	v_fmac_f32_e32 v50, v1, v12
	v_fmac_f32_e32 v54, v0, v24
	v_and_b32_e32 v12, 0xffff, v15
	s_waitcnt lgkmcnt(0)
	v_lshrrev_b32_e32 v0, 16, v28
	v_and_b32_e32 v1, 0xffff, v28
	;;#ASMSTART
	v_cvt_f32_f16 v1, v1;
	;;#ASMEND
	;;#ASMSTART
	v_cvt_f32_f16 v0, v0;
	;;#ASMEND
	;; [unrolled: 3-line block ×4, first 2 shown]
	s_nop 0
	v_fmac_f32_e32 v13, v1, v12
	v_fmac_f32_e32 v17, v0, v14
	v_lshrrev_b32_e32 v0, 16, v29
	v_and_b32_e32 v1, 0xffff, v29
	v_and_b32_e32 v12, 0xffff, v27
	;;#ASMSTART
	v_cvt_f32_f16 v1, v1;
	;;#ASMEND
	;;#ASMSTART
	v_cvt_f32_f16 v0, v0;
	;;#ASMEND
	;; [unrolled: 3-line block ×4, first 2 shown]
	ds_read_b64 v[14:15], v46 offset:40
	v_fmac_f32_e32 v50, v1, v8
	v_fmac_f32_e32 v54, v0, v12
	v_and_b32_e32 v8, 0xffff, v26
	v_and_b32_e32 v12, 0xffff, v16
	s_waitcnt lgkmcnt(0)
	v_lshrrev_b32_e32 v0, 16, v14
	v_and_b32_e32 v1, 0xffff, v14
	;;#ASMSTART
	v_cvt_f32_f16 v1, v1;
	;;#ASMEND
	;;#ASMSTART
	v_cvt_f32_f16 v0, v0;
	;;#ASMEND
	;; [unrolled: 3-line block ×4, first 2 shown]
	s_nop 0
	v_fmac_f32_e32 v13, v1, v8
	v_fmac_f32_e32 v17, v0, v12
	v_lshrrev_b32_e32 v0, 16, v15
	v_and_b32_e32 v1, 0xffff, v15
	v_and_b32_e32 v8, 0xffff, v10
	;;#ASMSTART
	v_cvt_f32_f16 v1, v1;
	;;#ASMEND
	;;#ASMSTART
	v_cvt_f32_f16 v0, v0;
	;;#ASMEND
	;; [unrolled: 3-line block ×4, first 2 shown]
	v_and_b32_e32 v10, 0xffff, v37
	v_fmac_f32_e32 v50, v1, v8
	v_fmac_f32_e32 v54, v0, v9
	ds_read_b64 v[8:9], v46 offset:48
	s_waitcnt lgkmcnt(0)
	v_lshrrev_b32_e32 v0, 16, v8
	v_and_b32_e32 v1, 0xffff, v8
	v_and_b32_e32 v8, 0xffff, v25
	;;#ASMSTART
	v_cvt_f32_f16 v1, v1;
	;;#ASMEND
	;;#ASMSTART
	v_cvt_f32_f16 v0, v0;
	;;#ASMEND
	;; [unrolled: 3-line block ×4, first 2 shown]
	s_nop 0
	v_fmac_f32_e32 v13, v1, v8
	v_fmac_f32_e32 v17, v0, v10
	v_lshrrev_b32_e32 v0, 16, v9
	v_and_b32_e32 v1, 0xffff, v9
	v_and_b32_e32 v8, 0xffff, v53
	;;#ASMSTART
	v_cvt_f32_f16 v1, v1;
	;;#ASMEND
	;;#ASMSTART
	v_cvt_f32_f16 v0, v0;
	;;#ASMEND
	;; [unrolled: 3-line block ×4, first 2 shown]
	s_nop 0
	v_fmac_f32_e32 v50, v1, v8
	ds_read_b64 v[8:9], v46 offset:56
	v_fmac_f32_e32 v54, v0, v7
	v_and_b32_e32 v7, 0xffff, v48
	s_waitcnt lgkmcnt(0)
	v_lshrrev_b32_e32 v0, 16, v8
	v_and_b32_e32 v1, 0xffff, v8
	;;#ASMSTART
	v_cvt_f32_f16 v1, v1;
	;;#ASMEND
	;;#ASMSTART
	v_cvt_f32_f16 v0, v0;
	;;#ASMEND
	;; [unrolled: 3-line block ×4, first 2 shown]
	v_and_b32_e32 v8, 0xffff, v23
	v_fmac_f32_e32 v13, v1, v6
	v_fmac_f32_e32 v17, v0, v7
	v_lshrrev_b32_e32 v0, 16, v9
	v_and_b32_e32 v1, 0xffff, v9
	v_and_b32_e32 v6, 0xffff, v11
	;; [unrolled: 1-line block ×3, first 2 shown]
	;;#ASMSTART
	v_cvt_f32_f16 v1, v1;
	;;#ASMEND
	;;#ASMSTART
	v_cvt_f32_f16 v0, v0;
	;;#ASMEND
	;; [unrolled: 3-line block ×4, first 2 shown]
	s_nop 0
	v_fmac_f32_e32 v50, v1, v6
	v_fmac_f32_e32 v54, v0, v7
	ds_read_b64 v[6:7], v46 offset:64
	s_waitcnt lgkmcnt(0)
	v_lshrrev_b32_e32 v0, 16, v6
	v_and_b32_e32 v1, 0xffff, v6
	v_and_b32_e32 v6, 0xffff, v56
	;;#ASMSTART
	v_cvt_f32_f16 v1, v1;
	;;#ASMEND
	;;#ASMSTART
	v_cvt_f32_f16 v0, v0;
	;;#ASMEND
	;; [unrolled: 3-line block ×4, first 2 shown]
	s_nop 0
	v_fmac_f32_e32 v13, v1, v6
	v_fmac_f32_e32 v17, v0, v8
	v_lshrrev_b32_e32 v0, 16, v7
	v_and_b32_e32 v1, 0xffff, v7
	v_and_b32_e32 v6, 0xffff, v52
	;; [unrolled: 1-line block ×3, first 2 shown]
	;;#ASMSTART
	v_cvt_f32_f16 v1, v1;
	;;#ASMEND
	;;#ASMSTART
	v_cvt_f32_f16 v0, v0;
	;;#ASMEND
	;; [unrolled: 3-line block ×4, first 2 shown]
	v_and_b32_e32 v8, 0xffff, v31
	v_fmac_f32_e32 v50, v1, v6
	v_fmac_f32_e32 v54, v0, v7
	ds_read_b64 v[6:7], v46 offset:72
	s_waitcnt lgkmcnt(0)
	v_lshrrev_b32_e32 v0, 16, v6
	v_and_b32_e32 v1, 0xffff, v6
	v_and_b32_e32 v6, 0xffff, v33
	;;#ASMSTART
	v_cvt_f32_f16 v1, v1;
	;;#ASMEND
	;;#ASMSTART
	v_cvt_f32_f16 v0, v0;
	;;#ASMEND
	;; [unrolled: 3-line block ×4, first 2 shown]
	s_nop 0
	v_fmac_f32_e32 v13, v1, v6
	v_fmac_f32_e32 v17, v0, v8
	v_lshrrev_b32_e32 v0, 16, v7
	v_and_b32_e32 v1, 0xffff, v7
	v_and_b32_e32 v6, 0xffff, v2
	;; [unrolled: 1-line block ×3, first 2 shown]
	;;#ASMSTART
	v_cvt_f32_f16 v1, v1;
	;;#ASMEND
	;;#ASMSTART
	v_cvt_f32_f16 v0, v0;
	;;#ASMEND
	;; [unrolled: 3-line block ×4, first 2 shown]
	v_and_b32_e32 v2, 0xffff, v3
	v_fmac_f32_e32 v50, v1, v6
	v_fmac_f32_e32 v54, v0, v7
	ds_read_b64 v[6:7], v46 offset:80
	v_and_b32_e32 v3, 0xffff, v18
	s_waitcnt lgkmcnt(0)
	v_lshrrev_b32_e32 v0, 16, v6
	v_and_b32_e32 v1, 0xffff, v6
	v_and_b32_e32 v6, 0xffff, v44
	;;#ASMSTART
	v_cvt_f32_f16 v1, v1;
	;;#ASMEND
	;;#ASMSTART
	v_cvt_f32_f16 v0, v0;
	;;#ASMEND
	;; [unrolled: 3-line block ×4, first 2 shown]
	s_nop 0
	v_fmac_f32_e32 v13, v1, v6
	v_fmac_f32_e32 v17, v0, v2
	v_lshrrev_b32_e32 v0, 16, v7
	v_and_b32_e32 v1, 0xffff, v7
	v_and_b32_e32 v2, 0xffff, v35
	;; [unrolled: 1-line block ×3, first 2 shown]
	;;#ASMSTART
	v_cvt_f32_f16 v1, v1;
	;;#ASMEND
	;;#ASMSTART
	v_cvt_f32_f16 v0, v0;
	;;#ASMEND
	;; [unrolled: 3-line block ×4, first 2 shown]
	ds_read_b64 v[34:35], v46 offset:88
	v_fmac_f32_e32 v50, v1, v2
	v_fmac_f32_e32 v54, v0, v6
	v_and_b32_e32 v2, 0xffff, v4
	v_and_b32_e32 v4, 0xffff, v38
	s_waitcnt lgkmcnt(0)
	v_lshrrev_b32_e32 v0, 16, v34
	v_and_b32_e32 v1, 0xffff, v34
	;;#ASMSTART
	v_cvt_f32_f16 v1, v1;
	;;#ASMEND
	;;#ASMSTART
	v_cvt_f32_f16 v0, v0;
	;;#ASMEND
	;; [unrolled: 3-line block ×4, first 2 shown]
	s_nop 0
	v_fmac_f32_e32 v13, v1, v2
	v_fmac_f32_e32 v17, v0, v3
	v_lshrrev_b32_e32 v0, 16, v35
	v_and_b32_e32 v1, 0xffff, v35
	v_and_b32_e32 v2, 0xffff, v19
	;; [unrolled: 1-line block ×3, first 2 shown]
	;;#ASMSTART
	v_cvt_f32_f16 v1, v1;
	;;#ASMEND
	;;#ASMSTART
	v_cvt_f32_f16 v0, v0;
	;;#ASMEND
	;; [unrolled: 3-line block ×4, first 2 shown]
	s_nop 0
	v_fmac_f32_e32 v50, v1, v2
	v_fmac_f32_e32 v54, v0, v3
	ds_read_b64 v[2:3], v46 offset:96
	s_waitcnt lgkmcnt(0)
	v_lshrrev_b32_e32 v0, 16, v2
	v_and_b32_e32 v1, 0xffff, v2
	v_and_b32_e32 v2, 0xffff, v22
	;;#ASMSTART
	v_cvt_f32_f16 v1, v1;
	;;#ASMEND
	;;#ASMSTART
	v_cvt_f32_f16 v0, v0;
	;;#ASMEND
	;; [unrolled: 3-line block ×4, first 2 shown]
	s_nop 0
	v_fmac_f32_e32 v13, v1, v2
	v_fmac_f32_e32 v17, v0, v4
	v_lshrrev_b32_e32 v0, 16, v3
	v_and_b32_e32 v1, 0xffff, v3
	v_and_b32_e32 v2, 0xffff, v39
	;; [unrolled: 1-line block ×3, first 2 shown]
	;;#ASMSTART
	v_cvt_f32_f16 v1, v1;
	;;#ASMEND
	;;#ASMSTART
	v_cvt_f32_f16 v0, v0;
	;;#ASMEND
	;;#ASMSTART
	v_cvt_f32_f16 v2, v2;
	;;#ASMEND
	;;#ASMSTART
	v_cvt_f32_f16 v3, v3;
	;;#ASMEND
	ds_read_b64 v[34:35], v46 offset:104
	v_fmac_f32_e32 v50, v1, v2
	v_fmac_f32_e32 v54, v0, v3
	v_accvgpr_read_b32 v2, a51
	v_accvgpr_read_b32 v3, a53
	s_waitcnt lgkmcnt(0)
	v_lshrrev_b32_e32 v0, 16, v34
	v_and_b32_e32 v1, 0xffff, v34
	v_and_b32_e32 v2, 0xffff, v2
	;; [unrolled: 1-line block ×3, first 2 shown]
	;;#ASMSTART
	v_cvt_f32_f16 v1, v1;
	;;#ASMEND
	;;#ASMSTART
	v_cvt_f32_f16 v0, v0;
	;;#ASMEND
	;; [unrolled: 3-line block ×4, first 2 shown]
	v_accvgpr_read_b32 v4, a29
	v_fmac_f32_e32 v13, v1, v2
	v_fmac_f32_e32 v17, v0, v3
	v_accvgpr_read_b32 v2, a52
	v_accvgpr_read_b32 v3, a10
	v_lshrrev_b32_e32 v0, 16, v35
	v_and_b32_e32 v1, 0xffff, v35
	v_and_b32_e32 v2, 0xffff, v2
	;; [unrolled: 1-line block ×3, first 2 shown]
	;;#ASMSTART
	v_cvt_f32_f16 v1, v1;
	;;#ASMEND
	;;#ASMSTART
	v_cvt_f32_f16 v0, v0;
	;;#ASMEND
	;; [unrolled: 3-line block ×4, first 2 shown]
	v_and_b32_e32 v4, 0xffff, v4
	v_fmac_f32_e32 v50, v1, v2
	v_fmac_f32_e32 v54, v0, v3
	ds_read_b64 v[2:3], v46 offset:112
	s_waitcnt lgkmcnt(0)
	v_lshrrev_b32_e32 v0, 16, v2
	v_and_b32_e32 v1, 0xffff, v2
	v_accvgpr_read_b32 v2, a38
	v_and_b32_e32 v2, 0xffff, v2
	;;#ASMSTART
	v_cvt_f32_f16 v1, v1;
	;;#ASMEND
	;;#ASMSTART
	v_cvt_f32_f16 v0, v0;
	;;#ASMEND
	;;#ASMSTART
	v_cvt_f32_f16 v2, v2;
	;;#ASMEND
	;;#ASMSTART
	v_cvt_f32_f16 v4, v4;
	;;#ASMEND
	s_nop 0
	v_fmac_f32_e32 v13, v1, v2
	v_fmac_f32_e32 v17, v0, v4
	v_lshrrev_b32_e32 v0, 16, v3
	v_and_b32_e32 v1, 0xffff, v3
	v_accvgpr_read_b32 v2, a28
	v_accvgpr_read_b32 v3, a11
	v_and_b32_e32 v2, 0xffff, v2
	v_and_b32_e32 v3, 0xffff, v3
	;;#ASMSTART
	v_cvt_f32_f16 v1, v1;
	;;#ASMEND
	;;#ASMSTART
	v_cvt_f32_f16 v0, v0;
	;;#ASMEND
	;;#ASMSTART
	v_cvt_f32_f16 v2, v2;
	;;#ASMEND
	;;#ASMSTART
	v_cvt_f32_f16 v3, v3;
	;;#ASMEND
	v_accvgpr_read_b32 v4, a3
	v_fmac_f32_e32 v50, v1, v2
	v_fmac_f32_e32 v54, v0, v3
	ds_read_b64 v[2:3], v46 offset:120
	v_and_b32_e32 v4, 0xffff, v4
	s_waitcnt lgkmcnt(0)
	v_lshrrev_b32_e32 v0, 16, v2
	v_and_b32_e32 v1, 0xffff, v2
	v_accvgpr_read_b32 v2, a9
	v_and_b32_e32 v2, 0xffff, v2
	;;#ASMSTART
	v_cvt_f32_f16 v1, v1;
	;;#ASMEND
	;;#ASMSTART
	v_cvt_f32_f16 v0, v0;
	;;#ASMEND
	;;#ASMSTART
	v_cvt_f32_f16 v2, v2;
	;;#ASMEND
	;;#ASMSTART
	v_cvt_f32_f16 v4, v4;
	;;#ASMEND
	s_nop 0
	v_fmac_f32_e32 v13, v1, v2
	v_fmac_f32_e32 v17, v0, v4
	v_lshrrev_b32_e32 v0, 16, v3
	v_and_b32_e32 v1, 0xffff, v3
	v_accvgpr_read_b32 v2, a37
	v_accvgpr_read_b32 v3, a36
	v_and_b32_e32 v2, 0xffff, v2
	v_and_b32_e32 v3, 0xffff, v3
	;;#ASMSTART
	v_cvt_f32_f16 v1, v1;
	;;#ASMEND
	;;#ASMSTART
	v_cvt_f32_f16 v0, v0;
	;;#ASMEND
	;;#ASMSTART
	v_cvt_f32_f16 v2, v2;
	;;#ASMEND
	;;#ASMSTART
	v_cvt_f32_f16 v3, v3;
	;;#ASMEND
	v_accvgpr_read_b32 v4, a34
	v_fmac_f32_e32 v50, v1, v2
	v_fmac_f32_e32 v54, v0, v3
	ds_read_b64 v[2:3], v46 offset:128
	v_and_b32_e32 v4, 0xffff, v4
	;; [unrolled: 43-line block ×9, first 2 shown]
	s_waitcnt lgkmcnt(0)
	v_lshrrev_b32_e32 v0, 16, v2
	v_and_b32_e32 v1, 0xffff, v2
	v_accvgpr_read_b32 v2, a47
	v_and_b32_e32 v2, 0xffff, v2
	;;#ASMSTART
	v_cvt_f32_f16 v1, v1;
	;;#ASMEND
	;;#ASMSTART
	v_cvt_f32_f16 v0, v0;
	;;#ASMEND
	;; [unrolled: 3-line block ×4, first 2 shown]
	s_nop 0
	v_fmac_f32_e32 v13, v1, v2
	v_fmac_f32_e32 v17, v0, v4
	v_lshrrev_b32_e32 v0, 16, v3
	v_and_b32_e32 v1, 0xffff, v3
	v_accvgpr_read_b32 v2, a46
	v_accvgpr_read_b32 v3, a27
	v_and_b32_e32 v2, 0xffff, v2
	v_and_b32_e32 v3, 0xffff, v3
	;;#ASMSTART
	v_cvt_f32_f16 v1, v1;
	;;#ASMEND
	;;#ASMSTART
	v_cvt_f32_f16 v0, v0;
	;;#ASMEND
	;; [unrolled: 3-line block ×4, first 2 shown]
	s_nop 0
	v_fmac_f32_e32 v54, v0, v3
	scratch_load_dword v3, off, s32 offset:372 ; 4-byte Folded Reload
	v_fmac_f32_e32 v50, v1, v2
	v_add_f32_e32 v0, v13, v17
	v_add_f32_e32 v0, v0, v50
	;; [unrolled: 1-line block ×3, first 2 shown]
	s_waitcnt vmcnt(0)
	v_and_b32_e32 v2, 64, v3
	v_xor_b32_e32 v1, 1, v3
	v_add_u32_e32 v2, 64, v2
	v_cmp_lt_i32_e32 vcc, v1, v2
	s_nop 1
	v_cndmask_b32_e32 v1, v3, v1, vcc
	v_lshlrev_b32_e32 v1, 2, v1
	ds_bpermute_b32 v1, v1, v0
	s_and_saveexec_b64 s[30:31], s[2:3]
	s_cbranch_execz .LBB269_10
; %bb.516:                              ;   in Loop: Header=BB269_12 Depth=1
	scratch_load_dword v2, off, s32 offset:400 ; 4-byte Folded Reload
	scratch_load_dword v3, off, s32 offset:404 ; 4-byte Folded Reload
	v_accvgpr_read_b32 v4, a39
	s_waitcnt lgkmcnt(0)
	v_add_f32_e32 v0, v0, v1
	s_load_dword vcc_lo, s[12:13], 0x0
	scratch_load_dword v1, off, s32 offset:396 ; 4-byte Folded Reload
	s_waitcnt vmcnt(2)
	v_add_u32_e32 v2, v2, v4
	s_waitcnt vmcnt(1)
	v_add_u32_e32 v3, v3, v4
	scratch_load_dword v4, off, s32 offset:392 ; 4-byte Folded Reload
	v_cvt_f32_i32_e32 v2, v2
	s_waitcnt vmcnt(0)
	v_mul_f32_e32 v2, v4, v2
	v_cndmask_b32_e64 v2, 0, v2, s[4:5]
	v_fmac_f32_e32 v2, v0, v1
	scratch_load_dword v1, off, s32 offset:356 ; 4-byte Folded Reload
	v_accvgpr_read_b32 v4, a41
	v_accvgpr_read_b32 v0, a8
	s_waitcnt lgkmcnt(0)
	v_add_u32_e32 v4, vcc_lo, v4
	v_cmp_lt_i32_e32 vcc, v3, v0
	s_nop 1
	v_cndmask_b32_e32 v0, 0, v2, vcc
	ds_write_b32 v4, v0
	s_waitcnt vmcnt(0)
	v_max_f32_e32 v0, v1, v1
	v_max_f32_e32 v0, v0, v2
	v_cndmask_b32_e32 v1, v1, v0, vcc
	scratch_store_dword off, v1, s32 offset:356 ; 4-byte Folded Spill
	s_branch .LBB269_10
.LBB269_517:                            ;   in Loop: Header=BB269_12 Depth=1
	v_cmp_eq_u16_sdwa s[40:41], v36, s38 src0_sel:BYTE_0 src1_sel:DWORD
	s_mov_b64 vcc, -1
                                        ; implicit-def: $sgpr36
	s_and_saveexec_b64 s[34:35], s[40:41]
; %bb.518:                              ;   in Loop: Header=BB269_12 Depth=1
	s_mov_b32 s36, 0x7fc02000
	s_xor_b64 vcc, exec, -1
; %bb.519:                              ;   in Loop: Header=BB269_12 Depth=1
	s_or_b64 exec, exec, s[34:35]
	s_and_b64 vcc, vcc, exec
	s_or_saveexec_b64 s[30:31], s[30:31]
	v_mov_b32_e32 v1, s36
	s_xor_b64 exec, exec, s[30:31]
	s_cbranch_execz .LBB269_17
.LBB269_520:                            ;   in Loop: Header=BB269_12 Depth=1
	v_cmp_ne_u16_sdwa s[34:35], v36, v5 src0_sel:BYTE_0 src1_sel:DWORD
	s_andn2_b64 vcc, vcc, exec
	s_and_b64 s[34:35], s[34:35], exec
	v_mov_b32_e32 v1, 0
	s_or_b64 vcc, vcc, s[34:35]
	s_or_b64 exec, exec, s[30:31]
	s_and_saveexec_b64 s[30:31], vcc
	s_cbranch_execnz .LBB269_18
	s_branch .LBB269_19
.LBB269_521:                            ;   in Loop: Header=BB269_12 Depth=1
	v_cmp_eq_u16_sdwa s[40:41], v4, s38 src0_sel:BYTE_0 src1_sel:DWORD
	s_mov_b64 vcc, -1
                                        ; implicit-def: $sgpr36
	s_and_saveexec_b64 s[34:35], s[40:41]
; %bb.522:                              ;   in Loop: Header=BB269_12 Depth=1
	s_mov_b32 s36, 0x7fc02000
	s_xor_b64 vcc, exec, -1
; %bb.523:                              ;   in Loop: Header=BB269_12 Depth=1
	s_or_b64 exec, exec, s[34:35]
	s_and_b64 vcc, vcc, exec
	s_or_saveexec_b64 s[30:31], s[30:31]
	v_mov_b32_e32 v44, s36
	s_xor_b64 exec, exec, s[30:31]
	s_cbranch_execz .LBB269_29
.LBB269_524:                            ;   in Loop: Header=BB269_12 Depth=1
	v_cmp_ne_u16_sdwa s[34:35], v4, v5 src0_sel:BYTE_0 src1_sel:DWORD
	s_andn2_b64 vcc, vcc, exec
	s_and_b64 s[34:35], s[34:35], exec
	v_mov_b32_e32 v44, 0
	s_or_b64 vcc, vcc, s[34:35]
	s_or_b64 exec, exec, s[30:31]
	s_and_saveexec_b64 s[30:31], vcc
	s_cbranch_execnz .LBB269_30
	s_branch .LBB269_31
.LBB269_525:                            ;   in Loop: Header=BB269_12 Depth=1
	v_cmp_eq_u16_e32 vcc, s38, v4
	s_mov_b64 s[30:31], -1
                                        ; implicit-def: $sgpr40
	s_and_saveexec_b64 s[36:37], vcc
; %bb.526:                              ;   in Loop: Header=BB269_12 Depth=1
	s_mov_b32 s40, 0x7fc02000
	s_xor_b64 s[30:31], exec, -1
; %bb.527:                              ;   in Loop: Header=BB269_12 Depth=1
	s_or_b64 exec, exec, s[36:37]
	s_and_b64 s[30:31], s[30:31], exec
	s_or_saveexec_b64 s[34:35], s[34:35]
	v_mov_b32_e32 v45, s40
	s_xor_b64 exec, exec, s[34:35]
	s_cbranch_execz .LBB269_33
.LBB269_528:                            ;   in Loop: Header=BB269_12 Depth=1
	v_cmp_ne_u16_e32 vcc, 0, v4
	s_andn2_b64 s[30:31], s[30:31], exec
	s_and_b64 vcc, vcc, exec
	v_mov_b32_e32 v45, 0
	s_or_b64 s[30:31], s[30:31], vcc
	s_or_b64 exec, exec, s[34:35]
	s_and_saveexec_b64 s[34:35], s[30:31]
	s_cbranch_execnz .LBB269_34
	s_branch .LBB269_35
.LBB269_529:                            ;   in Loop: Header=BB269_12 Depth=1
	v_cmp_eq_u16_sdwa s[40:41], v36, s38 src0_sel:BYTE_0 src1_sel:DWORD
	s_mov_b64 vcc, -1
                                        ; implicit-def: $sgpr36
	s_and_saveexec_b64 s[34:35], s[40:41]
; %bb.530:                              ;   in Loop: Header=BB269_12 Depth=1
	s_mov_b32 s36, 0x7fc02000
	s_xor_b64 vcc, exec, -1
; %bb.531:                              ;   in Loop: Header=BB269_12 Depth=1
	s_or_b64 exec, exec, s[34:35]
	s_and_b64 vcc, vcc, exec
	s_or_saveexec_b64 s[30:31], s[30:31]
	v_mov_b32_e32 v1, s36
	s_xor_b64 exec, exec, s[30:31]
	s_cbranch_execz .LBB269_37
.LBB269_532:                            ;   in Loop: Header=BB269_12 Depth=1
	v_cmp_ne_u16_sdwa s[34:35], v36, v5 src0_sel:BYTE_0 src1_sel:DWORD
	s_andn2_b64 vcc, vcc, exec
	s_and_b64 s[34:35], s[34:35], exec
	v_mov_b32_e32 v1, 0
	s_or_b64 vcc, vcc, s[34:35]
	s_or_b64 exec, exec, s[30:31]
	s_and_saveexec_b64 s[30:31], vcc
	s_cbranch_execnz .LBB269_38
	s_branch .LBB269_39
.LBB269_533:                            ;   in Loop: Header=BB269_12 Depth=1
	v_cmp_eq_u16_sdwa s[40:41], v36, s38 src0_sel:BYTE_0 src1_sel:DWORD
	s_mov_b64 vcc, -1
                                        ; implicit-def: $sgpr36
	s_and_saveexec_b64 s[34:35], s[40:41]
; %bb.534:                              ;   in Loop: Header=BB269_12 Depth=1
	s_mov_b32 s36, 0x7fc02000
	s_xor_b64 vcc, exec, -1
; %bb.535:                              ;   in Loop: Header=BB269_12 Depth=1
	s_or_b64 exec, exec, s[34:35]
	s_and_b64 vcc, vcc, exec
	s_or_saveexec_b64 s[30:31], s[30:31]
	v_mov_b32_e32 v1, s36
	s_xor_b64 exec, exec, s[30:31]
	s_cbranch_execz .LBB269_65
.LBB269_536:                            ;   in Loop: Header=BB269_12 Depth=1
	v_cmp_ne_u16_sdwa s[34:35], v36, v5 src0_sel:BYTE_0 src1_sel:DWORD
	s_andn2_b64 vcc, vcc, exec
	s_and_b64 s[34:35], s[34:35], exec
	v_mov_b32_e32 v1, 0
	s_or_b64 vcc, vcc, s[34:35]
	s_or_b64 exec, exec, s[30:31]
	s_and_saveexec_b64 s[30:31], vcc
	s_cbranch_execnz .LBB269_66
	s_branch .LBB269_67
.LBB269_537:                            ;   in Loop: Header=BB269_12 Depth=1
	v_cmp_eq_u16_sdwa s[40:41], v36, s38 src0_sel:BYTE_0 src1_sel:DWORD
	s_mov_b64 vcc, -1
                                        ; implicit-def: $sgpr36
	s_and_saveexec_b64 s[34:35], s[40:41]
; %bb.538:                              ;   in Loop: Header=BB269_12 Depth=1
	s_mov_b32 s36, 0x7fc02000
	s_xor_b64 vcc, exec, -1
; %bb.539:                              ;   in Loop: Header=BB269_12 Depth=1
	s_or_b64 exec, exec, s[34:35]
	s_and_b64 vcc, vcc, exec
	s_or_saveexec_b64 s[30:31], s[30:31]
	v_mov_b32_e32 v1, s36
	s_xor_b64 exec, exec, s[30:31]
	s_cbranch_execz .LBB269_93
.LBB269_540:                            ;   in Loop: Header=BB269_12 Depth=1
	v_cmp_ne_u16_sdwa s[34:35], v36, v5 src0_sel:BYTE_0 src1_sel:DWORD
	s_andn2_b64 vcc, vcc, exec
	s_and_b64 s[34:35], s[34:35], exec
	v_mov_b32_e32 v1, 0
	s_or_b64 vcc, vcc, s[34:35]
	s_or_b64 exec, exec, s[30:31]
	s_and_saveexec_b64 s[30:31], vcc
	s_cbranch_execnz .LBB269_94
	s_branch .LBB269_95
.LBB269_541:                            ;   in Loop: Header=BB269_12 Depth=1
	v_cmp_eq_u16_sdwa s[40:41], v36, s38 src0_sel:BYTE_0 src1_sel:DWORD
	s_mov_b64 vcc, -1
                                        ; implicit-def: $sgpr36
	s_and_saveexec_b64 s[34:35], s[40:41]
; %bb.542:                              ;   in Loop: Header=BB269_12 Depth=1
	s_mov_b32 s36, 0x7fc02000
	s_xor_b64 vcc, exec, -1
; %bb.543:                              ;   in Loop: Header=BB269_12 Depth=1
	s_or_b64 exec, exec, s[34:35]
	s_and_b64 vcc, vcc, exec
	s_or_saveexec_b64 s[30:31], s[30:31]
	v_mov_b32_e32 v1, s36
	s_xor_b64 exec, exec, s[30:31]
	s_cbranch_execz .LBB269_121
.LBB269_544:                            ;   in Loop: Header=BB269_12 Depth=1
	v_cmp_ne_u16_sdwa s[34:35], v36, v5 src0_sel:BYTE_0 src1_sel:DWORD
	s_andn2_b64 vcc, vcc, exec
	s_and_b64 s[34:35], s[34:35], exec
	v_mov_b32_e32 v1, 0
	s_or_b64 vcc, vcc, s[34:35]
	s_or_b64 exec, exec, s[30:31]
	s_and_saveexec_b64 s[30:31], vcc
	s_cbranch_execnz .LBB269_122
	s_branch .LBB269_123
.LBB269_545:                            ;   in Loop: Header=BB269_12 Depth=1
	v_cmp_eq_u16_sdwa s[40:41], v36, s38 src0_sel:BYTE_0 src1_sel:DWORD
	s_mov_b64 vcc, -1
                                        ; implicit-def: $sgpr36
	s_and_saveexec_b64 s[34:35], s[40:41]
; %bb.546:                              ;   in Loop: Header=BB269_12 Depth=1
	s_mov_b32 s36, 0x7fc02000
	s_xor_b64 vcc, exec, -1
; %bb.547:                              ;   in Loop: Header=BB269_12 Depth=1
	s_or_b64 exec, exec, s[34:35]
	s_and_b64 vcc, vcc, exec
	s_or_saveexec_b64 s[30:31], s[30:31]
	v_mov_b32_e32 v1, s36
	s_xor_b64 exec, exec, s[30:31]
	s_cbranch_execz .LBB269_149
.LBB269_548:                            ;   in Loop: Header=BB269_12 Depth=1
	v_cmp_ne_u16_sdwa s[34:35], v36, v5 src0_sel:BYTE_0 src1_sel:DWORD
	s_andn2_b64 vcc, vcc, exec
	s_and_b64 s[34:35], s[34:35], exec
	v_mov_b32_e32 v1, 0
	s_or_b64 vcc, vcc, s[34:35]
	s_or_b64 exec, exec, s[30:31]
	s_and_saveexec_b64 s[30:31], vcc
	s_cbranch_execnz .LBB269_150
	s_branch .LBB269_151
.LBB269_549:                            ;   in Loop: Header=BB269_12 Depth=1
	v_cmp_eq_u16_sdwa s[40:41], v36, s38 src0_sel:BYTE_0 src1_sel:DWORD
	s_mov_b64 vcc, -1
                                        ; implicit-def: $sgpr36
	s_and_saveexec_b64 s[34:35], s[40:41]
; %bb.550:                              ;   in Loop: Header=BB269_12 Depth=1
	s_mov_b32 s36, 0x7fc02000
	s_xor_b64 vcc, exec, -1
; %bb.551:                              ;   in Loop: Header=BB269_12 Depth=1
	s_or_b64 exec, exec, s[34:35]
	s_and_b64 vcc, vcc, exec
	s_or_saveexec_b64 s[30:31], s[30:31]
	v_mov_b32_e32 v1, s36
	s_xor_b64 exec, exec, s[30:31]
	s_cbranch_execz .LBB269_177
.LBB269_552:                            ;   in Loop: Header=BB269_12 Depth=1
	v_cmp_ne_u16_sdwa s[34:35], v36, v5 src0_sel:BYTE_0 src1_sel:DWORD
	s_andn2_b64 vcc, vcc, exec
	s_and_b64 s[34:35], s[34:35], exec
	v_mov_b32_e32 v1, 0
	s_or_b64 vcc, vcc, s[34:35]
	s_or_b64 exec, exec, s[30:31]
	s_and_saveexec_b64 s[30:31], vcc
	s_cbranch_execnz .LBB269_178
	s_branch .LBB269_179
.LBB269_553:                            ;   in Loop: Header=BB269_12 Depth=1
	v_cmp_eq_u16_sdwa s[40:41], v36, s38 src0_sel:BYTE_0 src1_sel:DWORD
	s_mov_b64 vcc, -1
                                        ; implicit-def: $sgpr36
	s_and_saveexec_b64 s[34:35], s[40:41]
; %bb.554:                              ;   in Loop: Header=BB269_12 Depth=1
	s_mov_b32 s36, 0x7fc02000
	s_xor_b64 vcc, exec, -1
; %bb.555:                              ;   in Loop: Header=BB269_12 Depth=1
	s_or_b64 exec, exec, s[34:35]
	s_and_b64 vcc, vcc, exec
	s_or_saveexec_b64 s[30:31], s[30:31]
	v_mov_b32_e32 v1, s36
	s_xor_b64 exec, exec, s[30:31]
	s_cbranch_execz .LBB269_205
.LBB269_556:                            ;   in Loop: Header=BB269_12 Depth=1
	v_cmp_ne_u16_sdwa s[34:35], v36, v5 src0_sel:BYTE_0 src1_sel:DWORD
	s_andn2_b64 vcc, vcc, exec
	s_and_b64 s[34:35], s[34:35], exec
	v_mov_b32_e32 v1, 0
	s_or_b64 vcc, vcc, s[34:35]
	s_or_b64 exec, exec, s[30:31]
	s_and_saveexec_b64 s[30:31], vcc
	s_cbranch_execnz .LBB269_206
	s_branch .LBB269_207
.LBB269_557:                            ;   in Loop: Header=BB269_12 Depth=1
	v_cmp_eq_u16_sdwa s[40:41], v36, s38 src0_sel:BYTE_0 src1_sel:DWORD
	s_mov_b64 vcc, -1
                                        ; implicit-def: $sgpr36
	s_and_saveexec_b64 s[34:35], s[40:41]
; %bb.558:                              ;   in Loop: Header=BB269_12 Depth=1
	s_mov_b32 s36, 0x7fc02000
	s_xor_b64 vcc, exec, -1
; %bb.559:                              ;   in Loop: Header=BB269_12 Depth=1
	s_or_b64 exec, exec, s[34:35]
	s_and_b64 vcc, vcc, exec
	s_or_saveexec_b64 s[30:31], s[30:31]
	v_mov_b32_e32 v1, s36
	s_xor_b64 exec, exec, s[30:31]
	s_cbranch_execz .LBB269_233
.LBB269_560:                            ;   in Loop: Header=BB269_12 Depth=1
	v_cmp_ne_u16_sdwa s[34:35], v36, v5 src0_sel:BYTE_0 src1_sel:DWORD
	s_andn2_b64 vcc, vcc, exec
	s_and_b64 s[34:35], s[34:35], exec
	v_mov_b32_e32 v1, 0
	s_or_b64 vcc, vcc, s[34:35]
	s_or_b64 exec, exec, s[30:31]
	s_and_saveexec_b64 s[30:31], vcc
	s_cbranch_execnz .LBB269_234
	s_branch .LBB269_235
.LBB269_561:                            ;   in Loop: Header=BB269_12 Depth=1
	v_cmp_eq_u16_sdwa s[40:41], v36, s38 src0_sel:BYTE_0 src1_sel:DWORD
	s_mov_b64 vcc, -1
                                        ; implicit-def: $sgpr36
	s_and_saveexec_b64 s[34:35], s[40:41]
; %bb.562:                              ;   in Loop: Header=BB269_12 Depth=1
	s_mov_b32 s36, 0x7fc02000
	s_xor_b64 vcc, exec, -1
; %bb.563:                              ;   in Loop: Header=BB269_12 Depth=1
	s_or_b64 exec, exec, s[34:35]
	s_and_b64 vcc, vcc, exec
	s_or_saveexec_b64 s[30:31], s[30:31]
	v_mov_b32_e32 v1, s36
	s_xor_b64 exec, exec, s[30:31]
	s_cbranch_execz .LBB269_261
.LBB269_564:                            ;   in Loop: Header=BB269_12 Depth=1
	v_cmp_ne_u16_sdwa s[34:35], v36, v5 src0_sel:BYTE_0 src1_sel:DWORD
	s_andn2_b64 vcc, vcc, exec
	s_and_b64 s[34:35], s[34:35], exec
	v_mov_b32_e32 v1, 0
	s_or_b64 vcc, vcc, s[34:35]
	s_or_b64 exec, exec, s[30:31]
	s_and_saveexec_b64 s[30:31], vcc
	s_cbranch_execnz .LBB269_262
	s_branch .LBB269_263
.LBB269_565:                            ;   in Loop: Header=BB269_12 Depth=1
	v_cmp_eq_u16_sdwa s[40:41], v36, s38 src0_sel:BYTE_0 src1_sel:DWORD
	s_mov_b64 vcc, -1
                                        ; implicit-def: $sgpr36
	s_and_saveexec_b64 s[34:35], s[40:41]
; %bb.566:                              ;   in Loop: Header=BB269_12 Depth=1
	s_mov_b32 s36, 0x7fc02000
	s_xor_b64 vcc, exec, -1
; %bb.567:                              ;   in Loop: Header=BB269_12 Depth=1
	s_or_b64 exec, exec, s[34:35]
	s_and_b64 vcc, vcc, exec
	s_or_saveexec_b64 s[30:31], s[30:31]
	v_mov_b32_e32 v1, s36
	s_xor_b64 exec, exec, s[30:31]
	s_cbranch_execz .LBB269_289
.LBB269_568:                            ;   in Loop: Header=BB269_12 Depth=1
	v_cmp_ne_u16_sdwa s[34:35], v36, v5 src0_sel:BYTE_0 src1_sel:DWORD
	s_andn2_b64 vcc, vcc, exec
	s_and_b64 s[34:35], s[34:35], exec
	v_mov_b32_e32 v1, 0
	s_or_b64 vcc, vcc, s[34:35]
	s_or_b64 exec, exec, s[30:31]
	s_and_saveexec_b64 s[30:31], vcc
	s_cbranch_execnz .LBB269_290
	s_branch .LBB269_291
.LBB269_569:                            ;   in Loop: Header=BB269_12 Depth=1
	v_cmp_eq_u16_e32 vcc, s38, v4
	s_mov_b64 s[30:31], -1
                                        ; implicit-def: $sgpr40
	s_and_saveexec_b64 s[36:37], vcc
; %bb.570:                              ;   in Loop: Header=BB269_12 Depth=1
	s_mov_b32 s40, 0x7fc02000
	s_xor_b64 s[30:31], exec, -1
; %bb.571:                              ;   in Loop: Header=BB269_12 Depth=1
	s_or_b64 exec, exec, s[36:37]
	s_and_b64 s[30:31], s[30:31], exec
	s_or_saveexec_b64 s[34:35], s[34:35]
	v_mov_b32_e32 v60, s40
	s_xor_b64 exec, exec, s[34:35]
	s_cbranch_execz .LBB269_293
.LBB269_572:                            ;   in Loop: Header=BB269_12 Depth=1
	v_cmp_ne_u16_e32 vcc, 0, v4
	s_andn2_b64 s[30:31], s[30:31], exec
	s_and_b64 vcc, vcc, exec
	v_mov_b32_e32 v60, 0
	s_or_b64 s[30:31], s[30:31], vcc
	s_or_b64 exec, exec, s[34:35]
	s_and_saveexec_b64 s[34:35], s[30:31]
	s_cbranch_execnz .LBB269_294
	s_branch .LBB269_295
.LBB269_573:                            ;   in Loop: Header=BB269_12 Depth=1
	v_cmp_eq_u16_sdwa s[40:41], v4, s38 src0_sel:BYTE_0 src1_sel:DWORD
	s_mov_b64 vcc, -1
                                        ; implicit-def: $sgpr36
	s_and_saveexec_b64 s[34:35], s[40:41]
; %bb.574:                              ;   in Loop: Header=BB269_12 Depth=1
	s_mov_b32 s36, 0x7fc02000
	s_xor_b64 vcc, exec, -1
; %bb.575:                              ;   in Loop: Header=BB269_12 Depth=1
	s_or_b64 exec, exec, s[34:35]
	s_and_b64 vcc, vcc, exec
	s_or_saveexec_b64 s[30:31], s[30:31]
	v_mov_b32_e32 v57, s36
	s_xor_b64 exec, exec, s[30:31]
	s_cbranch_execz .LBB269_297
.LBB269_576:                            ;   in Loop: Header=BB269_12 Depth=1
	v_cmp_ne_u16_sdwa s[34:35], v4, v5 src0_sel:BYTE_0 src1_sel:DWORD
	s_andn2_b64 vcc, vcc, exec
	s_and_b64 s[34:35], s[34:35], exec
	v_mov_b32_e32 v57, 0
	s_or_b64 vcc, vcc, s[34:35]
	s_or_b64 exec, exec, s[30:31]
	s_and_saveexec_b64 s[30:31], vcc
	s_cbranch_execnz .LBB269_298
	s_branch .LBB269_299
.LBB269_577:                            ;   in Loop: Header=BB269_12 Depth=1
	v_cmp_eq_u16_e32 vcc, s38, v4
	s_mov_b64 s[30:31], -1
                                        ; implicit-def: $sgpr40
	s_and_saveexec_b64 s[36:37], vcc
; %bb.578:                              ;   in Loop: Header=BB269_12 Depth=1
	s_mov_b32 s40, 0x7fc02000
	s_xor_b64 s[30:31], exec, -1
; %bb.579:                              ;   in Loop: Header=BB269_12 Depth=1
	s_or_b64 exec, exec, s[36:37]
	s_and_b64 s[30:31], s[30:31], exec
	s_or_saveexec_b64 s[34:35], s[34:35]
	v_mov_b32_e32 v56, s40
	s_xor_b64 exec, exec, s[34:35]
	s_cbranch_execz .LBB269_301
.LBB269_580:                            ;   in Loop: Header=BB269_12 Depth=1
	v_cmp_ne_u16_e32 vcc, 0, v4
	s_andn2_b64 s[30:31], s[30:31], exec
	s_and_b64 vcc, vcc, exec
	v_mov_b32_e32 v56, 0
	s_or_b64 s[30:31], s[30:31], vcc
	s_or_b64 exec, exec, s[34:35]
	s_and_saveexec_b64 s[34:35], s[30:31]
	s_cbranch_execnz .LBB269_302
	s_branch .LBB269_303
.LBB269_581:                            ;   in Loop: Header=BB269_12 Depth=1
	v_cmp_eq_u16_sdwa s[40:41], v36, s38 src0_sel:BYTE_0 src1_sel:DWORD
	s_mov_b64 vcc, -1
                                        ; implicit-def: $sgpr36
	s_and_saveexec_b64 s[34:35], s[40:41]
; %bb.582:                              ;   in Loop: Header=BB269_12 Depth=1
	s_mov_b32 s36, 0x7fc02000
	s_xor_b64 vcc, exec, -1
; %bb.583:                              ;   in Loop: Header=BB269_12 Depth=1
	s_or_b64 exec, exec, s[34:35]
	s_and_b64 vcc, vcc, exec
	s_or_saveexec_b64 s[30:31], s[30:31]
	v_mov_b32_e32 v58, s36
	s_xor_b64 exec, exec, s[30:31]
	s_cbranch_execz .LBB269_305
.LBB269_584:                            ;   in Loop: Header=BB269_12 Depth=1
	v_cmp_ne_u16_sdwa s[34:35], v36, v5 src0_sel:BYTE_0 src1_sel:DWORD
	s_andn2_b64 vcc, vcc, exec
	s_and_b64 s[34:35], s[34:35], exec
	v_mov_b32_e32 v58, 0
	s_or_b64 vcc, vcc, s[34:35]
	s_or_b64 exec, exec, s[30:31]
	s_and_saveexec_b64 s[30:31], vcc
	s_cbranch_execnz .LBB269_306
	s_branch .LBB269_307
.LBB269_585:                            ;   in Loop: Header=BB269_12 Depth=1
	v_cmp_eq_u16_e32 vcc, s38, v4
	s_mov_b64 s[30:31], -1
                                        ; implicit-def: $sgpr40
	s_and_saveexec_b64 s[36:37], vcc
; %bb.586:                              ;   in Loop: Header=BB269_12 Depth=1
	s_mov_b32 s40, 0x7fc02000
	s_xor_b64 s[30:31], exec, -1
; %bb.587:                              ;   in Loop: Header=BB269_12 Depth=1
	s_or_b64 exec, exec, s[36:37]
	s_and_b64 s[30:31], s[30:31], exec
	s_or_saveexec_b64 s[34:35], s[34:35]
	v_mov_b32_e32 v59, s40
	s_xor_b64 exec, exec, s[34:35]
	s_cbranch_execz .LBB269_309
.LBB269_588:                            ;   in Loop: Header=BB269_12 Depth=1
	v_cmp_ne_u16_e32 vcc, 0, v4
	s_andn2_b64 s[30:31], s[30:31], exec
	s_and_b64 vcc, vcc, exec
	v_mov_b32_e32 v59, 0
	s_or_b64 s[30:31], s[30:31], vcc
	s_or_b64 exec, exec, s[34:35]
	s_and_saveexec_b64 s[34:35], s[30:31]
	s_cbranch_execnz .LBB269_310
	s_branch .LBB269_311
.LBB269_589:                            ;   in Loop: Header=BB269_12 Depth=1
	v_cmp_eq_u16_sdwa s[40:41], v4, s38 src0_sel:BYTE_0 src1_sel:DWORD
	s_mov_b64 vcc, -1
                                        ; implicit-def: $sgpr36
	s_and_saveexec_b64 s[34:35], s[40:41]
; %bb.590:                              ;   in Loop: Header=BB269_12 Depth=1
	s_mov_b32 s36, 0x7fc02000
	s_xor_b64 vcc, exec, -1
; %bb.591:                              ;   in Loop: Header=BB269_12 Depth=1
	s_or_b64 exec, exec, s[34:35]
	s_and_b64 vcc, vcc, exec
	s_or_saveexec_b64 s[30:31], s[30:31]
	v_mov_b32_e32 v62, s36
	s_xor_b64 exec, exec, s[30:31]
	s_cbranch_execz .LBB269_313
.LBB269_592:                            ;   in Loop: Header=BB269_12 Depth=1
	v_cmp_ne_u16_sdwa s[34:35], v4, v5 src0_sel:BYTE_0 src1_sel:DWORD
	s_andn2_b64 vcc, vcc, exec
	s_and_b64 s[34:35], s[34:35], exec
	v_mov_b32_e32 v62, 0
	s_or_b64 vcc, vcc, s[34:35]
	s_or_b64 exec, exec, s[30:31]
	s_and_saveexec_b64 s[30:31], vcc
	s_cbranch_execnz .LBB269_314
	s_branch .LBB269_315
.LBB269_593:                            ;   in Loop: Header=BB269_12 Depth=1
	v_cmp_eq_u16_e32 vcc, s38, v4
	s_mov_b64 s[30:31], -1
                                        ; implicit-def: $sgpr40
	s_and_saveexec_b64 s[36:37], vcc
; %bb.594:                              ;   in Loop: Header=BB269_12 Depth=1
	s_mov_b32 s40, 0x7fc02000
	s_xor_b64 s[30:31], exec, -1
; %bb.595:                              ;   in Loop: Header=BB269_12 Depth=1
	s_or_b64 exec, exec, s[36:37]
	s_and_b64 s[30:31], s[30:31], exec
	s_or_saveexec_b64 s[34:35], s[34:35]
	v_mov_b32_e32 v47, s40
	s_xor_b64 exec, exec, s[34:35]
	s_cbranch_execz .LBB269_317
.LBB269_596:                            ;   in Loop: Header=BB269_12 Depth=1
	v_cmp_ne_u16_e32 vcc, 0, v4
	s_andn2_b64 s[30:31], s[30:31], exec
	s_and_b64 vcc, vcc, exec
	v_mov_b32_e32 v47, 0
	s_or_b64 s[30:31], s[30:31], vcc
	s_or_b64 exec, exec, s[34:35]
	s_and_saveexec_b64 s[34:35], s[30:31]
	s_cbranch_execnz .LBB269_318
	s_branch .LBB269_319
.LBB269_597:                            ;   in Loop: Header=BB269_12 Depth=1
	v_cmp_eq_u16_sdwa s[40:41], v36, s38 src0_sel:BYTE_0 src1_sel:DWORD
	s_mov_b64 vcc, -1
                                        ; implicit-def: $sgpr36
	s_and_saveexec_b64 s[34:35], s[40:41]
; %bb.598:                              ;   in Loop: Header=BB269_12 Depth=1
	s_mov_b32 s36, 0x7fc02000
	s_xor_b64 vcc, exec, -1
; %bb.599:                              ;   in Loop: Header=BB269_12 Depth=1
	s_or_b64 exec, exec, s[34:35]
	s_and_b64 vcc, vcc, exec
	s_or_saveexec_b64 s[30:31], s[30:31]
	v_mov_b32_e32 v61, s36
	s_xor_b64 exec, exec, s[30:31]
	s_cbranch_execz .LBB269_321
.LBB269_600:                            ;   in Loop: Header=BB269_12 Depth=1
	v_cmp_ne_u16_sdwa s[34:35], v36, v5 src0_sel:BYTE_0 src1_sel:DWORD
	s_andn2_b64 vcc, vcc, exec
	s_and_b64 s[34:35], s[34:35], exec
	v_mov_b32_e32 v61, 0
	s_or_b64 vcc, vcc, s[34:35]
	s_or_b64 exec, exec, s[30:31]
	s_and_saveexec_b64 s[30:31], vcc
	s_cbranch_execnz .LBB269_322
	s_branch .LBB269_323
.LBB269_601:                            ;   in Loop: Header=BB269_12 Depth=1
	v_cmp_eq_u16_e32 vcc, s38, v4
	s_mov_b64 s[30:31], -1
                                        ; implicit-def: $sgpr40
	s_and_saveexec_b64 s[36:37], vcc
; %bb.602:                              ;   in Loop: Header=BB269_12 Depth=1
	s_mov_b32 s40, 0x7fc02000
	s_xor_b64 s[30:31], exec, -1
; %bb.603:                              ;   in Loop: Header=BB269_12 Depth=1
	s_or_b64 exec, exec, s[36:37]
	s_and_b64 s[30:31], s[30:31], exec
	s_or_saveexec_b64 s[34:35], s[34:35]
	v_mov_b32_e32 v46, s40
	s_xor_b64 exec, exec, s[34:35]
	s_cbranch_execz .LBB269_325
.LBB269_604:                            ;   in Loop: Header=BB269_12 Depth=1
	v_cmp_ne_u16_e32 vcc, 0, v4
	s_andn2_b64 s[30:31], s[30:31], exec
	s_and_b64 vcc, vcc, exec
	v_mov_b32_e32 v46, 0
	s_or_b64 s[30:31], s[30:31], vcc
	s_or_b64 exec, exec, s[34:35]
	s_and_saveexec_b64 s[34:35], s[30:31]
	s_cbranch_execnz .LBB269_326
	s_branch .LBB269_327
.LBB269_605:                            ;   in Loop: Header=BB269_12 Depth=1
	v_cmp_eq_u16_sdwa s[40:41], v4, s38 src0_sel:BYTE_0 src1_sel:DWORD
	s_mov_b64 vcc, -1
                                        ; implicit-def: $sgpr36
	s_and_saveexec_b64 s[34:35], s[40:41]
; %bb.606:                              ;   in Loop: Header=BB269_12 Depth=1
	s_mov_b32 s36, 0x7fc02000
	s_xor_b64 vcc, exec, -1
; %bb.607:                              ;   in Loop: Header=BB269_12 Depth=1
	s_or_b64 exec, exec, s[34:35]
	s_and_b64 vcc, vcc, exec
	s_or_saveexec_b64 s[30:31], s[30:31]
	v_mov_b32_e32 v29, s36
	s_xor_b64 exec, exec, s[30:31]
	s_cbranch_execz .LBB269_329
.LBB269_608:                            ;   in Loop: Header=BB269_12 Depth=1
	v_cmp_ne_u16_sdwa s[34:35], v4, v5 src0_sel:BYTE_0 src1_sel:DWORD
	s_andn2_b64 vcc, vcc, exec
	s_and_b64 s[34:35], s[34:35], exec
	v_mov_b32_e32 v29, 0
	s_or_b64 vcc, vcc, s[34:35]
	s_or_b64 exec, exec, s[30:31]
	s_and_saveexec_b64 s[30:31], vcc
	s_cbranch_execnz .LBB269_330
	s_branch .LBB269_331
.LBB269_609:                            ;   in Loop: Header=BB269_12 Depth=1
	v_cmp_eq_u16_e32 vcc, s38, v4
	s_mov_b64 s[30:31], -1
                                        ; implicit-def: $sgpr40
	s_and_saveexec_b64 s[36:37], vcc
; %bb.610:                              ;   in Loop: Header=BB269_12 Depth=1
	s_mov_b32 s40, 0x7fc02000
	s_xor_b64 s[30:31], exec, -1
; %bb.611:                              ;   in Loop: Header=BB269_12 Depth=1
	s_or_b64 exec, exec, s[36:37]
	s_and_b64 s[30:31], s[30:31], exec
	s_or_saveexec_b64 s[34:35], s[34:35]
	v_mov_b32_e32 v30, s40
	s_xor_b64 exec, exec, s[34:35]
	s_cbranch_execz .LBB269_333
.LBB269_612:                            ;   in Loop: Header=BB269_12 Depth=1
	v_cmp_ne_u16_e32 vcc, 0, v4
	s_andn2_b64 s[30:31], s[30:31], exec
	s_and_b64 vcc, vcc, exec
	v_mov_b32_e32 v30, 0
	s_or_b64 s[30:31], s[30:31], vcc
	s_or_b64 exec, exec, s[34:35]
	s_and_saveexec_b64 s[34:35], s[30:31]
	s_cbranch_execnz .LBB269_334
	s_branch .LBB269_335
.LBB269_613:                            ;   in Loop: Header=BB269_12 Depth=1
	v_cmp_eq_u16_sdwa s[40:41], v36, s38 src0_sel:BYTE_0 src1_sel:DWORD
	s_mov_b64 vcc, -1
                                        ; implicit-def: $sgpr36
	s_and_saveexec_b64 s[34:35], s[40:41]
; %bb.614:                              ;   in Loop: Header=BB269_12 Depth=1
	s_mov_b32 s36, 0x7fc02000
	s_xor_b64 vcc, exec, -1
; %bb.615:                              ;   in Loop: Header=BB269_12 Depth=1
	s_or_b64 exec, exec, s[34:35]
	s_and_b64 vcc, vcc, exec
	s_or_saveexec_b64 s[30:31], s[30:31]
	v_mov_b32_e32 v28, s36
	s_xor_b64 exec, exec, s[30:31]
	s_cbranch_execz .LBB269_337
.LBB269_616:                            ;   in Loop: Header=BB269_12 Depth=1
	v_cmp_ne_u16_sdwa s[34:35], v36, v5 src0_sel:BYTE_0 src1_sel:DWORD
	s_andn2_b64 vcc, vcc, exec
	s_and_b64 s[34:35], s[34:35], exec
	v_mov_b32_e32 v28, 0
	s_or_b64 vcc, vcc, s[34:35]
	s_or_b64 exec, exec, s[30:31]
	s_and_saveexec_b64 s[30:31], vcc
	s_cbranch_execnz .LBB269_338
	s_branch .LBB269_339
.LBB269_617:                            ;   in Loop: Header=BB269_12 Depth=1
	v_cmp_eq_u16_e32 vcc, s38, v4
	s_mov_b64 s[30:31], -1
                                        ; implicit-def: $sgpr40
	s_and_saveexec_b64 s[36:37], vcc
; %bb.618:                              ;   in Loop: Header=BB269_12 Depth=1
	s_mov_b32 s40, 0x7fc02000
	s_xor_b64 s[30:31], exec, -1
; %bb.619:                              ;   in Loop: Header=BB269_12 Depth=1
	s_or_b64 exec, exec, s[36:37]
	s_and_b64 s[30:31], s[30:31], exec
	s_or_saveexec_b64 s[34:35], s[34:35]
	v_mov_b32_e32 v53, s40
	s_xor_b64 exec, exec, s[34:35]
	s_cbranch_execz .LBB269_341
.LBB269_620:                            ;   in Loop: Header=BB269_12 Depth=1
	v_cmp_ne_u16_e32 vcc, 0, v4
	s_andn2_b64 s[30:31], s[30:31], exec
	s_and_b64 vcc, vcc, exec
	v_mov_b32_e32 v53, 0
	s_or_b64 s[30:31], s[30:31], vcc
	s_or_b64 exec, exec, s[34:35]
	s_and_saveexec_b64 s[34:35], s[30:31]
	s_cbranch_execnz .LBB269_342
	s_branch .LBB269_343
.LBB269_621:                            ;   in Loop: Header=BB269_12 Depth=1
	v_cmp_eq_u16_sdwa s[40:41], v4, s38 src0_sel:BYTE_0 src1_sel:DWORD
	s_mov_b64 vcc, -1
                                        ; implicit-def: $sgpr36
	s_and_saveexec_b64 s[34:35], s[40:41]
; %bb.622:                              ;   in Loop: Header=BB269_12 Depth=1
	s_mov_b32 s36, 0x7fc02000
	s_xor_b64 vcc, exec, -1
; %bb.623:                              ;   in Loop: Header=BB269_12 Depth=1
	s_or_b64 exec, exec, s[34:35]
	s_and_b64 vcc, vcc, exec
	s_or_saveexec_b64 s[30:31], s[30:31]
	v_mov_b32_e32 v13, s36
	s_xor_b64 exec, exec, s[30:31]
	s_cbranch_execz .LBB269_345
.LBB269_624:                            ;   in Loop: Header=BB269_12 Depth=1
	v_cmp_ne_u16_sdwa s[34:35], v4, v5 src0_sel:BYTE_0 src1_sel:DWORD
	s_andn2_b64 vcc, vcc, exec
	s_and_b64 s[34:35], s[34:35], exec
	v_mov_b32_e32 v13, 0
	s_or_b64 vcc, vcc, s[34:35]
	s_or_b64 exec, exec, s[30:31]
	s_and_saveexec_b64 s[30:31], vcc
	s_cbranch_execnz .LBB269_346
	s_branch .LBB269_347
.LBB269_625:                            ;   in Loop: Header=BB269_12 Depth=1
	v_cmp_eq_u16_e32 vcc, s38, v4
	s_mov_b64 s[30:31], -1
                                        ; implicit-def: $sgpr40
	s_and_saveexec_b64 s[36:37], vcc
; %bb.626:                              ;   in Loop: Header=BB269_12 Depth=1
	s_mov_b32 s40, 0x7fc02000
	s_xor_b64 s[30:31], exec, -1
; %bb.627:                              ;   in Loop: Header=BB269_12 Depth=1
	s_or_b64 exec, exec, s[36:37]
	s_and_b64 s[30:31], s[30:31], exec
	s_or_saveexec_b64 s[34:35], s[34:35]
	v_mov_b32_e32 v12, s40
	s_xor_b64 exec, exec, s[34:35]
	s_cbranch_execz .LBB269_349
.LBB269_628:                            ;   in Loop: Header=BB269_12 Depth=1
	v_cmp_ne_u16_e32 vcc, 0, v4
	s_andn2_b64 s[30:31], s[30:31], exec
	s_and_b64 vcc, vcc, exec
	v_mov_b32_e32 v12, 0
	s_or_b64 s[30:31], s[30:31], vcc
	s_or_b64 exec, exec, s[34:35]
	s_and_saveexec_b64 s[34:35], s[30:31]
	s_cbranch_execnz .LBB269_350
	s_branch .LBB269_351
.LBB269_629:                            ;   in Loop: Header=BB269_12 Depth=1
	v_cmp_eq_u16_sdwa s[40:41], v36, s38 src0_sel:BYTE_0 src1_sel:DWORD
	s_mov_b64 vcc, -1
                                        ; implicit-def: $sgpr36
	s_and_saveexec_b64 s[34:35], s[40:41]
; %bb.630:                              ;   in Loop: Header=BB269_12 Depth=1
	s_mov_b32 s36, 0x7fc02000
	s_xor_b64 vcc, exec, -1
; %bb.631:                              ;   in Loop: Header=BB269_12 Depth=1
	s_or_b64 exec, exec, s[34:35]
	s_and_b64 vcc, vcc, exec
	s_or_saveexec_b64 s[30:31], s[30:31]
	v_mov_b32_e32 v17, s36
	s_xor_b64 exec, exec, s[30:31]
	s_cbranch_execz .LBB269_353
.LBB269_632:                            ;   in Loop: Header=BB269_12 Depth=1
	v_cmp_ne_u16_sdwa s[34:35], v36, v5 src0_sel:BYTE_0 src1_sel:DWORD
	s_andn2_b64 vcc, vcc, exec
	s_and_b64 s[34:35], s[34:35], exec
	v_mov_b32_e32 v17, 0
	s_or_b64 vcc, vcc, s[34:35]
	s_or_b64 exec, exec, s[30:31]
	s_and_saveexec_b64 s[30:31], vcc
	s_cbranch_execnz .LBB269_354
	s_branch .LBB269_355
.LBB269_633:                            ;   in Loop: Header=BB269_12 Depth=1
	v_cmp_eq_u16_e32 vcc, s38, v4
	s_mov_b64 s[30:31], -1
                                        ; implicit-def: $sgpr40
	s_and_saveexec_b64 s[36:37], vcc
; %bb.634:                              ;   in Loop: Header=BB269_12 Depth=1
	s_mov_b32 s40, 0x7fc02000
	s_xor_b64 s[30:31], exec, -1
; %bb.635:                              ;   in Loop: Header=BB269_12 Depth=1
	s_or_b64 exec, exec, s[36:37]
	s_and_b64 s[30:31], s[30:31], exec
	s_or_saveexec_b64 s[34:35], s[34:35]
	v_mov_b32_e32 v8, s40
	s_xor_b64 exec, exec, s[34:35]
	s_cbranch_execz .LBB269_357
.LBB269_636:                            ;   in Loop: Header=BB269_12 Depth=1
	v_cmp_ne_u16_e32 vcc, 0, v4
	s_andn2_b64 s[30:31], s[30:31], exec
	s_and_b64 vcc, vcc, exec
	v_mov_b32_e32 v8, 0
	s_or_b64 s[30:31], s[30:31], vcc
	s_or_b64 exec, exec, s[34:35]
	s_and_saveexec_b64 s[34:35], s[30:31]
	s_cbranch_execnz .LBB269_358
	s_branch .LBB269_359
.LBB269_637:                            ;   in Loop: Header=BB269_12 Depth=1
	v_cmp_eq_u16_sdwa s[40:41], v4, s38 src0_sel:BYTE_0 src1_sel:DWORD
	s_mov_b64 vcc, -1
                                        ; implicit-def: $sgpr36
	s_and_saveexec_b64 s[34:35], s[40:41]
; %bb.638:                              ;   in Loop: Header=BB269_12 Depth=1
	s_mov_b32 s36, 0x7fc02000
	s_xor_b64 vcc, exec, -1
; %bb.639:                              ;   in Loop: Header=BB269_12 Depth=1
	s_or_b64 exec, exec, s[34:35]
	s_and_b64 vcc, vcc, exec
	s_or_saveexec_b64 s[30:31], s[30:31]
	v_mov_b32_e32 v14, s36
	s_xor_b64 exec, exec, s[30:31]
	s_cbranch_execz .LBB269_361
.LBB269_640:                            ;   in Loop: Header=BB269_12 Depth=1
	v_cmp_ne_u16_sdwa s[34:35], v4, v5 src0_sel:BYTE_0 src1_sel:DWORD
	s_andn2_b64 vcc, vcc, exec
	s_and_b64 s[34:35], s[34:35], exec
	v_mov_b32_e32 v14, 0
	s_or_b64 vcc, vcc, s[34:35]
	s_or_b64 exec, exec, s[30:31]
	s_and_saveexec_b64 s[30:31], vcc
	s_cbranch_execnz .LBB269_362
	s_branch .LBB269_363
.LBB269_641:                            ;   in Loop: Header=BB269_12 Depth=1
	v_cmp_eq_u16_e32 vcc, s38, v4
	s_mov_b64 s[30:31], -1
                                        ; implicit-def: $sgpr40
	s_and_saveexec_b64 s[36:37], vcc
; %bb.642:                              ;   in Loop: Header=BB269_12 Depth=1
	s_mov_b32 s40, 0x7fc02000
	s_xor_b64 s[30:31], exec, -1
; %bb.643:                              ;   in Loop: Header=BB269_12 Depth=1
	s_or_b64 exec, exec, s[36:37]
	s_and_b64 s[30:31], s[30:31], exec
	s_or_saveexec_b64 s[34:35], s[34:35]
	v_mov_b32_e32 v54, s40
	s_xor_b64 exec, exec, s[34:35]
	s_cbranch_execz .LBB269_365
.LBB269_644:                            ;   in Loop: Header=BB269_12 Depth=1
	v_cmp_ne_u16_e32 vcc, 0, v4
	s_andn2_b64 s[30:31], s[30:31], exec
	s_and_b64 vcc, vcc, exec
	v_mov_b32_e32 v54, 0
	s_or_b64 s[30:31], s[30:31], vcc
	s_or_b64 exec, exec, s[34:35]
	s_and_saveexec_b64 s[34:35], s[30:31]
	s_cbranch_execnz .LBB269_366
	s_branch .LBB269_367
.LBB269_645:                            ;   in Loop: Header=BB269_12 Depth=1
	v_cmp_eq_u16_sdwa s[40:41], v36, s38 src0_sel:BYTE_0 src1_sel:DWORD
	s_mov_b64 vcc, -1
                                        ; implicit-def: $sgpr36
	s_and_saveexec_b64 s[34:35], s[40:41]
; %bb.646:                              ;   in Loop: Header=BB269_12 Depth=1
	s_mov_b32 s36, 0x7fc02000
	s_xor_b64 vcc, exec, -1
; %bb.647:                              ;   in Loop: Header=BB269_12 Depth=1
	s_or_b64 exec, exec, s[34:35]
	s_and_b64 vcc, vcc, exec
	s_or_saveexec_b64 s[30:31], s[30:31]
	v_mov_b32_e32 v26, s36
	s_xor_b64 exec, exec, s[30:31]
	s_cbranch_execz .LBB269_369
.LBB269_648:                            ;   in Loop: Header=BB269_12 Depth=1
	v_cmp_ne_u16_sdwa s[34:35], v36, v5 src0_sel:BYTE_0 src1_sel:DWORD
	s_andn2_b64 vcc, vcc, exec
	s_and_b64 s[34:35], s[34:35], exec
	v_mov_b32_e32 v26, 0
	s_or_b64 vcc, vcc, s[34:35]
	s_or_b64 exec, exec, s[30:31]
	s_and_saveexec_b64 s[30:31], vcc
	s_cbranch_execnz .LBB269_370
	s_branch .LBB269_371
.LBB269_649:                            ;   in Loop: Header=BB269_12 Depth=1
	v_cmp_eq_u16_e32 vcc, s38, v4
	s_mov_b64 s[30:31], -1
                                        ; implicit-def: $sgpr40
	s_and_saveexec_b64 s[36:37], vcc
; %bb.650:                              ;   in Loop: Header=BB269_12 Depth=1
	s_mov_b32 s40, 0x7fc02000
	s_xor_b64 s[30:31], exec, -1
; %bb.651:                              ;   in Loop: Header=BB269_12 Depth=1
	s_or_b64 exec, exec, s[36:37]
	s_and_b64 s[30:31], s[30:31], exec
	s_or_saveexec_b64 s[34:35], s[34:35]
	v_mov_b32_e32 v16, s40
	s_xor_b64 exec, exec, s[34:35]
	s_cbranch_execz .LBB269_373
.LBB269_652:                            ;   in Loop: Header=BB269_12 Depth=1
	v_cmp_ne_u16_e32 vcc, 0, v4
	s_andn2_b64 s[30:31], s[30:31], exec
	s_and_b64 vcc, vcc, exec
	v_mov_b32_e32 v16, 0
	s_or_b64 s[30:31], s[30:31], vcc
	s_or_b64 exec, exec, s[34:35]
	s_and_saveexec_b64 s[34:35], s[30:31]
	s_cbranch_execnz .LBB269_374
	s_branch .LBB269_375
.LBB269_653:                            ;   in Loop: Header=BB269_12 Depth=1
	v_cmp_eq_u16_sdwa s[40:41], v4, s38 src0_sel:BYTE_0 src1_sel:DWORD
	s_mov_b64 vcc, -1
                                        ; implicit-def: $sgpr36
	s_and_saveexec_b64 s[34:35], s[40:41]
; %bb.654:                              ;   in Loop: Header=BB269_12 Depth=1
	s_mov_b32 s36, 0x7fc02000
	s_xor_b64 vcc, exec, -1
; %bb.655:                              ;   in Loop: Header=BB269_12 Depth=1
	s_or_b64 exec, exec, s[34:35]
	s_and_b64 vcc, vcc, exec
	s_or_saveexec_b64 s[30:31], s[30:31]
	v_mov_b32_e32 v10, s36
	s_xor_b64 exec, exec, s[30:31]
	s_cbranch_execz .LBB269_377
.LBB269_656:                            ;   in Loop: Header=BB269_12 Depth=1
	v_cmp_ne_u16_sdwa s[34:35], v4, v5 src0_sel:BYTE_0 src1_sel:DWORD
	s_andn2_b64 vcc, vcc, exec
	s_and_b64 s[34:35], s[34:35], exec
	v_mov_b32_e32 v10, 0
	s_or_b64 vcc, vcc, s[34:35]
	s_or_b64 exec, exec, s[30:31]
	s_and_saveexec_b64 s[30:31], vcc
	s_cbranch_execnz .LBB269_378
	s_branch .LBB269_379
.LBB269_657:                            ;   in Loop: Header=BB269_12 Depth=1
	v_cmp_eq_u16_e32 vcc, s38, v4
	s_mov_b64 s[30:31], -1
                                        ; implicit-def: $sgpr40
	s_and_saveexec_b64 s[36:37], vcc
; %bb.658:                              ;   in Loop: Header=BB269_12 Depth=1
	s_mov_b32 s40, 0x7fc02000
	s_xor_b64 s[30:31], exec, -1
; %bb.659:                              ;   in Loop: Header=BB269_12 Depth=1
	s_or_b64 exec, exec, s[36:37]
	s_and_b64 s[30:31], s[30:31], exec
	s_or_saveexec_b64 s[34:35], s[34:35]
	v_mov_b32_e32 v15, s40
	s_xor_b64 exec, exec, s[34:35]
	s_cbranch_execz .LBB269_381
.LBB269_660:                            ;   in Loop: Header=BB269_12 Depth=1
	v_cmp_ne_u16_e32 vcc, 0, v4
	s_andn2_b64 s[30:31], s[30:31], exec
	s_and_b64 vcc, vcc, exec
	v_mov_b32_e32 v15, 0
	s_or_b64 s[30:31], s[30:31], vcc
	s_or_b64 exec, exec, s[34:35]
	s_and_saveexec_b64 s[34:35], s[30:31]
	s_cbranch_execnz .LBB269_382
	s_branch .LBB269_383
.LBB269_661:                            ;   in Loop: Header=BB269_12 Depth=1
	v_cmp_eq_u16_sdwa s[40:41], v36, s38 src0_sel:BYTE_0 src1_sel:DWORD
	s_mov_b64 vcc, -1
                                        ; implicit-def: $sgpr36
	s_and_saveexec_b64 s[34:35], s[40:41]
; %bb.662:                              ;   in Loop: Header=BB269_12 Depth=1
	s_mov_b32 s36, 0x7fc02000
	s_xor_b64 vcc, exec, -1
; %bb.663:                              ;   in Loop: Header=BB269_12 Depth=1
	s_or_b64 exec, exec, s[34:35]
	s_and_b64 vcc, vcc, exec
	s_or_saveexec_b64 s[30:31], s[30:31]
	v_mov_b32_e32 v33, s36
	s_xor_b64 exec, exec, s[30:31]
	s_cbranch_execz .LBB269_385
.LBB269_664:                            ;   in Loop: Header=BB269_12 Depth=1
	v_cmp_ne_u16_sdwa s[34:35], v36, v5 src0_sel:BYTE_0 src1_sel:DWORD
	s_andn2_b64 vcc, vcc, exec
	s_and_b64 s[34:35], s[34:35], exec
	v_mov_b32_e32 v33, 0
	s_or_b64 vcc, vcc, s[34:35]
	s_or_b64 exec, exec, s[30:31]
	s_and_saveexec_b64 s[30:31], vcc
	s_cbranch_execnz .LBB269_386
	s_branch .LBB269_387
.LBB269_665:                            ;   in Loop: Header=BB269_12 Depth=1
	v_cmp_eq_u16_e32 vcc, s38, v4
	s_mov_b64 s[30:31], -1
                                        ; implicit-def: $sgpr40
	s_and_saveexec_b64 s[36:37], vcc
; %bb.666:                              ;   in Loop: Header=BB269_12 Depth=1
	s_mov_b32 s40, 0x7fc02000
	s_xor_b64 s[30:31], exec, -1
; %bb.667:                              ;   in Loop: Header=BB269_12 Depth=1
	s_or_b64 exec, exec, s[36:37]
	s_and_b64 s[30:31], s[30:31], exec
	s_or_saveexec_b64 s[34:35], s[34:35]
	v_mov_b32_e32 v31, s40
	s_xor_b64 exec, exec, s[34:35]
	s_cbranch_execz .LBB269_389
.LBB269_668:                            ;   in Loop: Header=BB269_12 Depth=1
	v_cmp_ne_u16_e32 vcc, 0, v4
	s_andn2_b64 s[30:31], s[30:31], exec
	s_and_b64 vcc, vcc, exec
	v_mov_b32_e32 v31, 0
	s_or_b64 s[30:31], s[30:31], vcc
	s_or_b64 exec, exec, s[34:35]
	s_and_saveexec_b64 s[34:35], s[30:31]
	s_cbranch_execnz .LBB269_390
	s_branch .LBB269_391
.LBB269_669:                            ;   in Loop: Header=BB269_12 Depth=1
	v_cmp_eq_u16_sdwa s[40:41], v4, s38 src0_sel:BYTE_0 src1_sel:DWORD
	s_mov_b64 vcc, -1
                                        ; implicit-def: $sgpr36
	s_and_saveexec_b64 s[34:35], s[40:41]
; %bb.670:                              ;   in Loop: Header=BB269_12 Depth=1
	s_mov_b32 s36, 0x7fc02000
	s_xor_b64 vcc, exec, -1
; %bb.671:                              ;   in Loop: Header=BB269_12 Depth=1
	s_or_b64 exec, exec, s[34:35]
	s_and_b64 vcc, vcc, exec
	s_or_saveexec_b64 s[30:31], s[30:31]
	v_mov_b32_e32 v6, s36
	s_xor_b64 exec, exec, s[30:31]
	s_cbranch_execz .LBB269_393
.LBB269_672:                            ;   in Loop: Header=BB269_12 Depth=1
	v_cmp_ne_u16_sdwa s[34:35], v4, v5 src0_sel:BYTE_0 src1_sel:DWORD
	s_andn2_b64 vcc, vcc, exec
	s_and_b64 s[34:35], s[34:35], exec
	v_mov_b32_e32 v6, 0
	s_or_b64 vcc, vcc, s[34:35]
	s_or_b64 exec, exec, s[30:31]
	s_and_saveexec_b64 s[30:31], vcc
	s_cbranch_execnz .LBB269_394
	s_branch .LBB269_395
.LBB269_673:                            ;   in Loop: Header=BB269_12 Depth=1
	v_cmp_eq_u16_e32 vcc, s38, v4
	s_mov_b64 s[30:31], -1
                                        ; implicit-def: $sgpr40
	s_and_saveexec_b64 s[36:37], vcc
; %bb.674:                              ;   in Loop: Header=BB269_12 Depth=1
	s_mov_b32 s40, 0x7fc02000
	s_xor_b64 s[30:31], exec, -1
; %bb.675:                              ;   in Loop: Header=BB269_12 Depth=1
	s_or_b64 exec, exec, s[36:37]
	s_and_b64 s[30:31], s[30:31], exec
	s_or_saveexec_b64 s[34:35], s[34:35]
	v_mov_b32_e32 v9, s40
	s_xor_b64 exec, exec, s[34:35]
	s_cbranch_execz .LBB269_397
.LBB269_676:                            ;   in Loop: Header=BB269_12 Depth=1
	v_cmp_ne_u16_e32 vcc, 0, v4
	s_andn2_b64 s[30:31], s[30:31], exec
	s_and_b64 vcc, vcc, exec
	v_mov_b32_e32 v9, 0
	s_or_b64 s[30:31], s[30:31], vcc
	s_or_b64 exec, exec, s[34:35]
	s_and_saveexec_b64 s[34:35], s[30:31]
	s_cbranch_execnz .LBB269_398
	s_branch .LBB269_399
.LBB269_677:                            ;   in Loop: Header=BB269_12 Depth=1
	v_cmp_eq_u16_sdwa s[40:41], v36, s38 src0_sel:BYTE_0 src1_sel:DWORD
	s_mov_b64 vcc, -1
                                        ; implicit-def: $sgpr36
	s_and_saveexec_b64 s[34:35], s[40:41]
; %bb.678:                              ;   in Loop: Header=BB269_12 Depth=1
	s_mov_b32 s36, 0x7fc02000
	s_xor_b64 vcc, exec, -1
; %bb.679:                              ;   in Loop: Header=BB269_12 Depth=1
	s_or_b64 exec, exec, s[34:35]
	s_and_b64 vcc, vcc, exec
	s_or_saveexec_b64 s[30:31], s[30:31]
	v_mov_b32_e32 v20, s36
	s_xor_b64 exec, exec, s[30:31]
	s_cbranch_execz .LBB269_401
.LBB269_680:                            ;   in Loop: Header=BB269_12 Depth=1
	v_cmp_ne_u16_sdwa s[34:35], v36, v5 src0_sel:BYTE_0 src1_sel:DWORD
	s_andn2_b64 vcc, vcc, exec
	s_and_b64 s[34:35], s[34:35], exec
	v_mov_b32_e32 v20, 0
	s_or_b64 vcc, vcc, s[34:35]
	s_or_b64 exec, exec, s[30:31]
	s_and_saveexec_b64 s[30:31], vcc
	s_cbranch_execnz .LBB269_402
	s_branch .LBB269_403
.LBB269_681:                            ;   in Loop: Header=BB269_12 Depth=1
	v_cmp_eq_u16_e32 vcc, s38, v4
	s_mov_b64 s[30:31], -1
                                        ; implicit-def: $sgpr40
	s_and_saveexec_b64 s[36:37], vcc
; %bb.682:                              ;   in Loop: Header=BB269_12 Depth=1
	s_mov_b32 s40, 0x7fc02000
	s_xor_b64 s[30:31], exec, -1
; %bb.683:                              ;   in Loop: Header=BB269_12 Depth=1
	s_or_b64 exec, exec, s[36:37]
	s_and_b64 s[30:31], s[30:31], exec
	s_or_saveexec_b64 s[34:35], s[34:35]
	v_mov_b32_e32 v11, s40
	s_xor_b64 exec, exec, s[34:35]
	s_cbranch_execz .LBB269_405
.LBB269_684:                            ;   in Loop: Header=BB269_12 Depth=1
	v_cmp_ne_u16_e32 vcc, 0, v4
	s_andn2_b64 s[30:31], s[30:31], exec
	s_and_b64 vcc, vcc, exec
	v_mov_b32_e32 v11, 0
	s_or_b64 s[30:31], s[30:31], vcc
	s_or_b64 exec, exec, s[34:35]
	s_and_saveexec_b64 s[34:35], s[30:31]
	s_cbranch_execnz .LBB269_406
	s_branch .LBB269_407
.LBB269_685:                            ;   in Loop: Header=BB269_12 Depth=1
	v_cmp_eq_u16_sdwa s[40:41], v4, s38 src0_sel:BYTE_0 src1_sel:DWORD
	s_mov_b64 vcc, -1
                                        ; implicit-def: $sgpr36
	s_and_saveexec_b64 s[34:35], s[40:41]
; %bb.686:                              ;   in Loop: Header=BB269_12 Depth=1
	s_mov_b32 s36, 0x7fc02000
	s_xor_b64 vcc, exec, -1
; %bb.687:                              ;   in Loop: Header=BB269_12 Depth=1
	s_or_b64 exec, exec, s[34:35]
	s_and_b64 vcc, vcc, exec
	s_or_saveexec_b64 s[30:31], s[30:31]
	v_mov_b32_e32 v24, s36
	s_xor_b64 exec, exec, s[30:31]
	s_cbranch_execz .LBB269_409
.LBB269_688:                            ;   in Loop: Header=BB269_12 Depth=1
	v_cmp_ne_u16_sdwa s[34:35], v4, v5 src0_sel:BYTE_0 src1_sel:DWORD
	s_andn2_b64 vcc, vcc, exec
	s_and_b64 s[34:35], s[34:35], exec
	v_mov_b32_e32 v24, 0
	s_or_b64 vcc, vcc, s[34:35]
	s_or_b64 exec, exec, s[30:31]
	s_and_saveexec_b64 s[30:31], vcc
	s_cbranch_execnz .LBB269_410
	s_branch .LBB269_411
.LBB269_689:                            ;   in Loop: Header=BB269_12 Depth=1
	v_cmp_eq_u16_e32 vcc, s38, v4
	s_mov_b64 s[30:31], -1
                                        ; implicit-def: $sgpr40
	s_and_saveexec_b64 s[36:37], vcc
; %bb.690:                              ;   in Loop: Header=BB269_12 Depth=1
	s_mov_b32 s40, 0x7fc02000
	s_xor_b64 s[30:31], exec, -1
; %bb.691:                              ;   in Loop: Header=BB269_12 Depth=1
	s_or_b64 exec, exec, s[36:37]
	s_and_b64 s[30:31], s[30:31], exec
	s_or_saveexec_b64 s[34:35], s[34:35]
	v_mov_b32_e32 v7, s40
	s_xor_b64 exec, exec, s[34:35]
	s_cbranch_execz .LBB269_413
.LBB269_692:                            ;   in Loop: Header=BB269_12 Depth=1
	v_cmp_ne_u16_e32 vcc, 0, v4
	s_andn2_b64 s[30:31], s[30:31], exec
	s_and_b64 vcc, vcc, exec
	v_mov_b32_e32 v7, 0
	s_or_b64 s[30:31], s[30:31], vcc
	s_or_b64 exec, exec, s[34:35]
	s_and_saveexec_b64 s[34:35], s[30:31]
	s_cbranch_execnz .LBB269_414
	s_branch .LBB269_415
.LBB269_693:                            ;   in Loop: Header=BB269_12 Depth=1
	v_cmp_eq_u16_sdwa s[40:41], v36, s38 src0_sel:BYTE_0 src1_sel:DWORD
	s_mov_b64 vcc, -1
                                        ; implicit-def: $sgpr36
	s_and_saveexec_b64 s[34:35], s[40:41]
; %bb.694:                              ;   in Loop: Header=BB269_12 Depth=1
	s_mov_b32 s36, 0x7fc02000
	s_xor_b64 vcc, exec, -1
; %bb.695:                              ;   in Loop: Header=BB269_12 Depth=1
	s_or_b64 exec, exec, s[34:35]
	s_and_b64 vcc, vcc, exec
	s_or_saveexec_b64 s[30:31], s[30:31]
	v_mov_b32_e32 v25, s36
	s_xor_b64 exec, exec, s[30:31]
	s_cbranch_execz .LBB269_417
.LBB269_696:                            ;   in Loop: Header=BB269_12 Depth=1
	v_cmp_ne_u16_sdwa s[34:35], v36, v5 src0_sel:BYTE_0 src1_sel:DWORD
	s_andn2_b64 vcc, vcc, exec
	s_and_b64 s[34:35], s[34:35], exec
	v_mov_b32_e32 v25, 0
	s_or_b64 vcc, vcc, s[34:35]
	s_or_b64 exec, exec, s[30:31]
	s_and_saveexec_b64 s[30:31], vcc
	s_cbranch_execnz .LBB269_418
	s_branch .LBB269_419
.LBB269_697:                            ;   in Loop: Header=BB269_12 Depth=1
	v_cmp_eq_u16_e32 vcc, s38, v4
	s_mov_b64 s[30:31], -1
                                        ; implicit-def: $sgpr40
	s_and_saveexec_b64 s[36:37], vcc
; %bb.698:                              ;   in Loop: Header=BB269_12 Depth=1
	s_mov_b32 s40, 0x7fc02000
	s_xor_b64 s[30:31], exec, -1
; %bb.699:                              ;   in Loop: Header=BB269_12 Depth=1
	s_or_b64 exec, exec, s[36:37]
	s_and_b64 s[30:31], s[30:31], exec
	s_or_saveexec_b64 s[34:35], s[34:35]
	v_mov_b32_e32 v27, s40
	s_xor_b64 exec, exec, s[34:35]
	s_cbranch_execz .LBB269_421
.LBB269_700:                            ;   in Loop: Header=BB269_12 Depth=1
	v_cmp_ne_u16_e32 vcc, 0, v4
	s_andn2_b64 s[30:31], s[30:31], exec
	s_and_b64 vcc, vcc, exec
	v_mov_b32_e32 v27, 0
	s_or_b64 s[30:31], s[30:31], vcc
	s_or_b64 exec, exec, s[34:35]
	s_and_saveexec_b64 s[34:35], s[30:31]
	s_cbranch_execnz .LBB269_422
	s_branch .LBB269_423
.LBB269_701:                            ;   in Loop: Header=BB269_12 Depth=1
	v_cmp_eq_u16_sdwa s[40:41], v4, s38 src0_sel:BYTE_0 src1_sel:DWORD
	s_mov_b64 vcc, -1
                                        ; implicit-def: $sgpr36
	s_and_saveexec_b64 s[34:35], s[40:41]
; %bb.702:                              ;   in Loop: Header=BB269_12 Depth=1
	s_mov_b32 s36, 0x7fc02000
	s_xor_b64 vcc, exec, -1
; %bb.703:                              ;   in Loop: Header=BB269_12 Depth=1
	s_or_b64 exec, exec, s[34:35]
	s_and_b64 vcc, vcc, exec
	s_or_saveexec_b64 s[30:31], s[30:31]
	v_mov_b32_e32 v48, s36
	s_xor_b64 exec, exec, s[30:31]
	s_cbranch_execz .LBB269_425
.LBB269_704:                            ;   in Loop: Header=BB269_12 Depth=1
	v_cmp_ne_u16_sdwa s[34:35], v4, v5 src0_sel:BYTE_0 src1_sel:DWORD
	s_andn2_b64 vcc, vcc, exec
	s_and_b64 s[34:35], s[34:35], exec
	v_mov_b32_e32 v48, 0
	s_or_b64 vcc, vcc, s[34:35]
	s_or_b64 exec, exec, s[30:31]
	s_and_saveexec_b64 s[30:31], vcc
	s_cbranch_execnz .LBB269_426
	s_branch .LBB269_427
.LBB269_705:                            ;   in Loop: Header=BB269_12 Depth=1
	v_cmp_eq_u16_e32 vcc, s38, v4
	s_mov_b64 s[30:31], -1
                                        ; implicit-def: $sgpr40
	s_and_saveexec_b64 s[36:37], vcc
; %bb.706:                              ;   in Loop: Header=BB269_12 Depth=1
	s_mov_b32 s40, 0x7fc02000
	s_xor_b64 s[30:31], exec, -1
; %bb.707:                              ;   in Loop: Header=BB269_12 Depth=1
	s_or_b64 exec, exec, s[36:37]
	s_and_b64 s[30:31], s[30:31], exec
	s_or_saveexec_b64 s[34:35], s[34:35]
	v_mov_b32_e32 v41, s40
	s_xor_b64 exec, exec, s[34:35]
	s_cbranch_execz .LBB269_429
.LBB269_708:                            ;   in Loop: Header=BB269_12 Depth=1
	v_cmp_ne_u16_e32 vcc, 0, v4
	s_andn2_b64 s[30:31], s[30:31], exec
	s_and_b64 vcc, vcc, exec
	v_mov_b32_e32 v41, 0
	s_or_b64 s[30:31], s[30:31], vcc
	s_or_b64 exec, exec, s[34:35]
	s_and_saveexec_b64 s[34:35], s[30:31]
	s_cbranch_execnz .LBB269_430
	s_branch .LBB269_431
.LBB269_709:                            ;   in Loop: Header=BB269_12 Depth=1
	v_cmp_eq_u16_sdwa s[40:41], v36, s38 src0_sel:BYTE_0 src1_sel:DWORD
	s_mov_b64 vcc, -1
                                        ; implicit-def: $sgpr36
	s_and_saveexec_b64 s[34:35], s[40:41]
; %bb.710:                              ;   in Loop: Header=BB269_12 Depth=1
	s_mov_b32 s36, 0x7fc02000
	s_xor_b64 vcc, exec, -1
; %bb.711:                              ;   in Loop: Header=BB269_12 Depth=1
	s_or_b64 exec, exec, s[34:35]
	s_and_b64 vcc, vcc, exec
	s_or_saveexec_b64 s[30:31], s[30:31]
	v_mov_b32_e32 v40, s36
	s_xor_b64 exec, exec, s[30:31]
	s_cbranch_execz .LBB269_433
.LBB269_712:                            ;   in Loop: Header=BB269_12 Depth=1
	v_cmp_ne_u16_sdwa s[34:35], v36, v5 src0_sel:BYTE_0 src1_sel:DWORD
	s_andn2_b64 vcc, vcc, exec
	s_and_b64 s[34:35], s[34:35], exec
	v_mov_b32_e32 v40, 0
	s_or_b64 vcc, vcc, s[34:35]
	s_or_b64 exec, exec, s[30:31]
	s_and_saveexec_b64 s[30:31], vcc
	s_cbranch_execnz .LBB269_434
	s_branch .LBB269_435
.LBB269_713:                            ;   in Loop: Header=BB269_12 Depth=1
	v_cmp_eq_u16_e32 vcc, s38, v4
	s_mov_b64 s[30:31], -1
                                        ; implicit-def: $sgpr40
	s_and_saveexec_b64 s[36:37], vcc
; %bb.714:                              ;   in Loop: Header=BB269_12 Depth=1
	s_mov_b32 s40, 0x7fc02000
	s_xor_b64 s[30:31], exec, -1
; %bb.715:                              ;   in Loop: Header=BB269_12 Depth=1
	s_or_b64 exec, exec, s[36:37]
	s_and_b64 s[30:31], s[30:31], exec
	s_or_saveexec_b64 s[34:35], s[34:35]
	v_mov_b32_e32 v43, s40
	s_xor_b64 exec, exec, s[34:35]
	s_cbranch_execz .LBB269_437
.LBB269_716:                            ;   in Loop: Header=BB269_12 Depth=1
	v_cmp_ne_u16_e32 vcc, 0, v4
	s_andn2_b64 s[30:31], s[30:31], exec
	s_and_b64 vcc, vcc, exec
	v_mov_b32_e32 v43, 0
	s_or_b64 s[30:31], s[30:31], vcc
	s_or_b64 exec, exec, s[34:35]
	s_and_saveexec_b64 s[34:35], s[30:31]
	s_cbranch_execnz .LBB269_438
	s_branch .LBB269_439
.LBB269_717:                            ;   in Loop: Header=BB269_12 Depth=1
	v_cmp_eq_u16_sdwa s[40:41], v4, s38 src0_sel:BYTE_0 src1_sel:DWORD
	s_mov_b64 vcc, -1
                                        ; implicit-def: $sgpr36
	s_and_saveexec_b64 s[34:35], s[40:41]
; %bb.718:                              ;   in Loop: Header=BB269_12 Depth=1
	s_mov_b32 s36, 0x7fc02000
	s_xor_b64 vcc, exec, -1
; %bb.719:                              ;   in Loop: Header=BB269_12 Depth=1
	s_or_b64 exec, exec, s[34:35]
	s_and_b64 vcc, vcc, exec
	s_or_saveexec_b64 s[30:31], s[30:31]
	v_mov_b32_e32 v1, s36
	s_xor_b64 exec, exec, s[30:31]
	s_cbranch_execz .LBB269_441
.LBB269_720:                            ;   in Loop: Header=BB269_12 Depth=1
	v_cmp_ne_u16_sdwa s[34:35], v4, v5 src0_sel:BYTE_0 src1_sel:DWORD
	s_andn2_b64 vcc, vcc, exec
	s_and_b64 s[34:35], s[34:35], exec
	v_mov_b32_e32 v1, 0
	s_or_b64 vcc, vcc, s[34:35]
	s_or_b64 exec, exec, s[30:31]
	s_and_saveexec_b64 s[30:31], vcc
	s_cbranch_execnz .LBB269_442
	s_branch .LBB269_443
.LBB269_721:                            ;   in Loop: Header=BB269_12 Depth=1
	v_cmp_eq_u16_e32 vcc, s38, v4
	s_mov_b64 s[30:31], -1
                                        ; implicit-def: $sgpr40
	s_and_saveexec_b64 s[36:37], vcc
; %bb.722:                              ;   in Loop: Header=BB269_12 Depth=1
	s_mov_b32 s40, 0x7fc02000
	s_xor_b64 s[30:31], exec, -1
; %bb.723:                              ;   in Loop: Header=BB269_12 Depth=1
	s_or_b64 exec, exec, s[36:37]
	s_and_b64 s[30:31], s[30:31], exec
	s_or_saveexec_b64 s[34:35], s[34:35]
	v_mov_b32_e32 v32, s40
	s_xor_b64 exec, exec, s[34:35]
	s_cbranch_execz .LBB269_445
.LBB269_724:                            ;   in Loop: Header=BB269_12 Depth=1
	v_cmp_ne_u16_e32 vcc, 0, v4
	s_andn2_b64 s[30:31], s[30:31], exec
	s_and_b64 vcc, vcc, exec
	v_mov_b32_e32 v32, 0
	s_or_b64 s[30:31], s[30:31], vcc
	s_or_b64 exec, exec, s[34:35]
	s_and_saveexec_b64 s[34:35], s[30:31]
	s_cbranch_execnz .LBB269_446
	s_branch .LBB269_447
.LBB269_725:                            ;   in Loop: Header=BB269_12 Depth=1
	v_cmp_eq_u16_sdwa s[40:41], v36, s38 src0_sel:BYTE_0 src1_sel:DWORD
	s_mov_b64 vcc, -1
                                        ; implicit-def: $sgpr36
	s_and_saveexec_b64 s[34:35], s[40:41]
; %bb.726:                              ;   in Loop: Header=BB269_12 Depth=1
	s_mov_b32 s36, 0x7fc02000
	s_xor_b64 vcc, exec, -1
; %bb.727:                              ;   in Loop: Header=BB269_12 Depth=1
	s_or_b64 exec, exec, s[34:35]
	s_and_b64 vcc, vcc, exec
	s_or_saveexec_b64 s[30:31], s[30:31]
	v_mov_b32_e32 v18, s36
	s_xor_b64 exec, exec, s[30:31]
	s_cbranch_execz .LBB269_449
.LBB269_728:                            ;   in Loop: Header=BB269_12 Depth=1
	v_cmp_ne_u16_sdwa s[34:35], v36, v5 src0_sel:BYTE_0 src1_sel:DWORD
	s_andn2_b64 vcc, vcc, exec
	s_and_b64 s[34:35], s[34:35], exec
	v_mov_b32_e32 v18, 0
	s_or_b64 vcc, vcc, s[34:35]
	s_or_b64 exec, exec, s[30:31]
	s_and_saveexec_b64 s[30:31], vcc
	s_cbranch_execnz .LBB269_450
	s_branch .LBB269_451
.LBB269_729:                            ;   in Loop: Header=BB269_12 Depth=1
	v_cmp_eq_u16_e32 vcc, s38, v4
	s_mov_b64 s[30:31], -1
                                        ; implicit-def: $sgpr40
	s_and_saveexec_b64 s[36:37], vcc
; %bb.730:                              ;   in Loop: Header=BB269_12 Depth=1
	s_mov_b32 s40, 0x7fc02000
	s_xor_b64 s[30:31], exec, -1
; %bb.731:                              ;   in Loop: Header=BB269_12 Depth=1
	s_or_b64 exec, exec, s[36:37]
	s_and_b64 s[30:31], s[30:31], exec
	s_or_saveexec_b64 s[34:35], s[34:35]
	v_mov_b32_e32 v22, s40
	s_xor_b64 exec, exec, s[34:35]
	s_cbranch_execz .LBB269_453
.LBB269_732:                            ;   in Loop: Header=BB269_12 Depth=1
	v_cmp_ne_u16_e32 vcc, 0, v4
	s_andn2_b64 s[30:31], s[30:31], exec
	s_and_b64 vcc, vcc, exec
	v_mov_b32_e32 v22, 0
	s_or_b64 s[30:31], s[30:31], vcc
	s_or_b64 exec, exec, s[34:35]
	s_and_saveexec_b64 s[34:35], s[30:31]
	s_cbranch_execnz .LBB269_454
	s_branch .LBB269_455
.LBB269_733:                            ;   in Loop: Header=BB269_12 Depth=1
	v_cmp_eq_u16_sdwa s[40:41], v4, s38 src0_sel:BYTE_0 src1_sel:DWORD
	s_mov_b64 vcc, -1
                                        ; implicit-def: $sgpr36
	s_and_saveexec_b64 s[34:35], s[40:41]
; %bb.734:                              ;   in Loop: Header=BB269_12 Depth=1
	s_mov_b32 s36, 0x7fc02000
	s_xor_b64 vcc, exec, -1
; %bb.735:                              ;   in Loop: Header=BB269_12 Depth=1
	s_or_b64 exec, exec, s[34:35]
	s_and_b64 vcc, vcc, exec
	s_or_saveexec_b64 s[30:31], s[30:31]
	v_mov_b32_e32 v49, s36
	s_xor_b64 exec, exec, s[30:31]
	s_cbranch_execz .LBB269_457
.LBB269_736:                            ;   in Loop: Header=BB269_12 Depth=1
	v_cmp_ne_u16_sdwa s[34:35], v4, v5 src0_sel:BYTE_0 src1_sel:DWORD
	s_andn2_b64 vcc, vcc, exec
	s_and_b64 s[34:35], s[34:35], exec
	v_mov_b32_e32 v49, 0
	s_or_b64 vcc, vcc, s[34:35]
	s_or_b64 exec, exec, s[30:31]
	s_and_saveexec_b64 s[30:31], vcc
	s_cbranch_execnz .LBB269_458
	s_branch .LBB269_459
.LBB269_737:                            ;   in Loop: Header=BB269_12 Depth=1
	v_cmp_eq_u16_e32 vcc, s38, v4
	s_mov_b64 s[30:31], -1
                                        ; implicit-def: $sgpr40
	s_and_saveexec_b64 s[36:37], vcc
; %bb.738:                              ;   in Loop: Header=BB269_12 Depth=1
	s_mov_b32 s40, 0x7fc02000
	s_xor_b64 s[30:31], exec, -1
; %bb.739:                              ;   in Loop: Header=BB269_12 Depth=1
	s_or_b64 exec, exec, s[36:37]
	s_and_b64 s[30:31], s[30:31], exec
	s_or_saveexec_b64 s[34:35], s[34:35]
	v_mov_b32_e32 v19, s40
	s_xor_b64 exec, exec, s[34:35]
	s_cbranch_execz .LBB269_461
.LBB269_740:                            ;   in Loop: Header=BB269_12 Depth=1
	v_cmp_ne_u16_e32 vcc, 0, v4
	s_andn2_b64 s[30:31], s[30:31], exec
	s_and_b64 vcc, vcc, exec
	v_mov_b32_e32 v19, 0
	s_or_b64 s[30:31], s[30:31], vcc
	s_or_b64 exec, exec, s[34:35]
	s_and_saveexec_b64 s[34:35], s[30:31]
	s_cbranch_execnz .LBB269_462
	s_branch .LBB269_463
.LBB269_741:                            ;   in Loop: Header=BB269_12 Depth=1
	v_cmp_eq_u16_sdwa s[40:41], v36, s38 src0_sel:BYTE_0 src1_sel:DWORD
	s_mov_b64 vcc, -1
                                        ; implicit-def: $sgpr36
	s_and_saveexec_b64 s[34:35], s[40:41]
; %bb.742:                              ;   in Loop: Header=BB269_12 Depth=1
	s_mov_b32 s36, 0x7fc02000
	s_xor_b64 vcc, exec, -1
; %bb.743:                              ;   in Loop: Header=BB269_12 Depth=1
	s_or_b64 exec, exec, s[34:35]
	s_and_b64 vcc, vcc, exec
	s_or_saveexec_b64 s[30:31], s[30:31]
	v_mov_b32_e32 v21, s36
	s_xor_b64 exec, exec, s[30:31]
	s_cbranch_execz .LBB269_465
.LBB269_744:                            ;   in Loop: Header=BB269_12 Depth=1
	v_cmp_ne_u16_sdwa s[34:35], v36, v5 src0_sel:BYTE_0 src1_sel:DWORD
	s_andn2_b64 vcc, vcc, exec
	s_and_b64 s[34:35], s[34:35], exec
	v_mov_b32_e32 v21, 0
	s_or_b64 vcc, vcc, s[34:35]
	s_or_b64 exec, exec, s[30:31]
	s_and_saveexec_b64 s[30:31], vcc
	s_cbranch_execnz .LBB269_466
	s_branch .LBB269_467
.LBB269_745:                            ;   in Loop: Header=BB269_12 Depth=1
	v_cmp_eq_u16_e32 vcc, s38, v4
	s_mov_b64 s[30:31], -1
                                        ; implicit-def: $sgpr40
	s_and_saveexec_b64 s[36:37], vcc
; %bb.746:                              ;   in Loop: Header=BB269_12 Depth=1
	s_mov_b32 s40, 0x7fc02000
	s_xor_b64 s[30:31], exec, -1
; %bb.747:                              ;   in Loop: Header=BB269_12 Depth=1
	s_or_b64 exec, exec, s[36:37]
	s_and_b64 s[30:31], s[30:31], exec
	s_or_saveexec_b64 s[34:35], s[34:35]
	v_mov_b32_e32 v2, s40
	s_xor_b64 exec, exec, s[34:35]
	s_cbranch_execz .LBB269_469
.LBB269_748:                            ;   in Loop: Header=BB269_12 Depth=1
	v_cmp_ne_u16_e32 vcc, 0, v4
	s_andn2_b64 s[30:31], s[30:31], exec
	s_and_b64 vcc, vcc, exec
	v_mov_b32_e32 v2, 0
	s_or_b64 s[30:31], s[30:31], vcc
	s_or_b64 exec, exec, s[34:35]
	s_and_saveexec_b64 s[34:35], s[30:31]
	s_cbranch_execnz .LBB269_470
	s_branch .LBB269_471
.LBB269_749:                            ;   in Loop: Header=BB269_12 Depth=1
	v_cmp_eq_u16_sdwa s[40:41], v4, s38 src0_sel:BYTE_0 src1_sel:DWORD
	s_mov_b64 vcc, -1
                                        ; implicit-def: $sgpr36
	s_and_saveexec_b64 s[34:35], s[40:41]
; %bb.750:                              ;   in Loop: Header=BB269_12 Depth=1
	s_mov_b32 s36, 0x7fc02000
	s_xor_b64 vcc, exec, -1
; %bb.751:                              ;   in Loop: Header=BB269_12 Depth=1
	s_or_b64 exec, exec, s[34:35]
	s_and_b64 vcc, vcc, exec
	s_or_saveexec_b64 s[30:31], s[30:31]
	v_mov_b32_e32 v3, s36
	s_xor_b64 exec, exec, s[30:31]
	s_cbranch_execz .LBB269_473
.LBB269_752:                            ;   in Loop: Header=BB269_12 Depth=1
	v_cmp_ne_u16_sdwa s[34:35], v4, v5 src0_sel:BYTE_0 src1_sel:DWORD
	s_andn2_b64 vcc, vcc, exec
	s_and_b64 s[34:35], s[34:35], exec
	v_mov_b32_e32 v3, 0
	s_or_b64 vcc, vcc, s[34:35]
	s_or_b64 exec, exec, s[30:31]
	s_and_saveexec_b64 s[30:31], vcc
	s_cbranch_execnz .LBB269_474
	s_branch .LBB269_475
.LBB269_753:                            ;   in Loop: Header=BB269_12 Depth=1
	v_cmp_eq_u16_e32 vcc, s38, v4
	s_mov_b64 s[30:31], -1
                                        ; implicit-def: $sgpr40
	s_and_saveexec_b64 s[36:37], vcc
; %bb.754:                              ;   in Loop: Header=BB269_12 Depth=1
	s_mov_b32 s40, 0x7fc02000
	s_xor_b64 s[30:31], exec, -1
; %bb.755:                              ;   in Loop: Header=BB269_12 Depth=1
	s_or_b64 exec, exec, s[36:37]
	s_and_b64 s[30:31], s[30:31], exec
	s_or_saveexec_b64 s[34:35], s[34:35]
	v_mov_b32_e32 v23, s40
	s_xor_b64 exec, exec, s[34:35]
	s_cbranch_execz .LBB269_477
.LBB269_756:                            ;   in Loop: Header=BB269_12 Depth=1
	v_cmp_ne_u16_e32 vcc, 0, v4
	s_andn2_b64 s[30:31], s[30:31], exec
	s_and_b64 vcc, vcc, exec
	v_mov_b32_e32 v23, 0
	s_or_b64 s[30:31], s[30:31], vcc
	s_or_b64 exec, exec, s[34:35]
	s_and_saveexec_b64 s[34:35], s[30:31]
	s_cbranch_execnz .LBB269_478
	s_branch .LBB269_479
.LBB269_757:                            ;   in Loop: Header=BB269_12 Depth=1
	v_cmp_eq_u16_sdwa s[40:41], v36, s38 src0_sel:BYTE_0 src1_sel:DWORD
	s_mov_b64 vcc, -1
                                        ; implicit-def: $sgpr36
	s_and_saveexec_b64 s[34:35], s[40:41]
; %bb.758:                              ;   in Loop: Header=BB269_12 Depth=1
	s_mov_b32 s36, 0x7fc02000
	s_xor_b64 vcc, exec, -1
; %bb.759:                              ;   in Loop: Header=BB269_12 Depth=1
	s_or_b64 exec, exec, s[34:35]
	s_and_b64 vcc, vcc, exec
	s_or_saveexec_b64 s[30:31], s[30:31]
	v_mov_b32_e32 v37, s36
	s_xor_b64 exec, exec, s[30:31]
	s_cbranch_execz .LBB269_481
.LBB269_760:                            ;   in Loop: Header=BB269_12 Depth=1
	v_cmp_ne_u16_sdwa s[34:35], v36, v5 src0_sel:BYTE_0 src1_sel:DWORD
	s_andn2_b64 vcc, vcc, exec
	s_and_b64 s[34:35], s[34:35], exec
	v_mov_b32_e32 v37, 0
	s_or_b64 vcc, vcc, s[34:35]
	s_or_b64 exec, exec, s[30:31]
	s_and_saveexec_b64 s[30:31], vcc
	s_cbranch_execnz .LBB269_482
	s_branch .LBB269_483
.LBB269_761:                            ;   in Loop: Header=BB269_12 Depth=1
	v_cmp_eq_u16_e32 vcc, s38, v4
	s_mov_b64 s[30:31], -1
                                        ; implicit-def: $sgpr40
	s_and_saveexec_b64 s[36:37], vcc
; %bb.762:                              ;   in Loop: Header=BB269_12 Depth=1
	s_mov_b32 s40, 0x7fc02000
	s_xor_b64 s[30:31], exec, -1
; %bb.763:                              ;   in Loop: Header=BB269_12 Depth=1
	s_or_b64 exec, exec, s[36:37]
	s_and_b64 s[30:31], s[30:31], exec
	s_or_saveexec_b64 s[34:35], s[34:35]
	v_mov_b32_e32 v38, s40
	s_xor_b64 exec, exec, s[34:35]
	s_cbranch_execz .LBB269_485
.LBB269_764:                            ;   in Loop: Header=BB269_12 Depth=1
	v_cmp_ne_u16_e32 vcc, 0, v4
	s_andn2_b64 s[30:31], s[30:31], exec
	s_and_b64 vcc, vcc, exec
	v_mov_b32_e32 v38, 0
	s_or_b64 s[30:31], s[30:31], vcc
	s_or_b64 exec, exec, s[34:35]
	s_and_saveexec_b64 s[34:35], s[30:31]
	s_cbranch_execnz .LBB269_486
	s_branch .LBB269_487
.LBB269_765:                            ;   in Loop: Header=BB269_12 Depth=1
	v_cmp_eq_u16_sdwa s[40:41], v4, s38 src0_sel:BYTE_0 src1_sel:DWORD
	s_mov_b64 vcc, -1
                                        ; implicit-def: $sgpr36
	s_and_saveexec_b64 s[34:35], s[40:41]
; %bb.766:                              ;   in Loop: Header=BB269_12 Depth=1
	s_mov_b32 s36, 0x7fc02000
	s_xor_b64 vcc, exec, -1
; %bb.767:                              ;   in Loop: Header=BB269_12 Depth=1
	s_or_b64 exec, exec, s[34:35]
	s_and_b64 vcc, vcc, exec
	s_or_saveexec_b64 s[30:31], s[30:31]
	v_mov_b32_e32 v39, s36
	s_xor_b64 exec, exec, s[30:31]
	s_cbranch_execz .LBB269_489
.LBB269_768:                            ;   in Loop: Header=BB269_12 Depth=1
	v_cmp_ne_u16_sdwa s[34:35], v4, v5 src0_sel:BYTE_0 src1_sel:DWORD
	s_andn2_b64 vcc, vcc, exec
	s_and_b64 s[34:35], s[34:35], exec
	v_mov_b32_e32 v39, 0
	s_or_b64 vcc, vcc, s[34:35]
	s_or_b64 exec, exec, s[30:31]
	s_and_saveexec_b64 s[30:31], vcc
	s_cbranch_execnz .LBB269_490
	s_branch .LBB269_491
.LBB269_769:                            ;   in Loop: Header=BB269_12 Depth=1
	v_cmp_eq_u16_e32 vcc, s38, v4
	s_mov_b64 s[30:31], -1
                                        ; implicit-def: $sgpr40
	s_and_saveexec_b64 s[36:37], vcc
; %bb.770:                              ;   in Loop: Header=BB269_12 Depth=1
	s_mov_b32 s40, 0x7fc02000
	s_xor_b64 s[30:31], exec, -1
; %bb.771:                              ;   in Loop: Header=BB269_12 Depth=1
	s_or_b64 exec, exec, s[36:37]
	s_and_b64 s[30:31], s[30:31], exec
	s_or_saveexec_b64 s[34:35], s[34:35]
	v_mov_b32_e32 v52, s40
	s_xor_b64 exec, exec, s[34:35]
	s_cbranch_execz .LBB269_493
.LBB269_772:                            ;   in Loop: Header=BB269_12 Depth=1
	v_cmp_ne_u16_e32 vcc, 0, v4
	s_andn2_b64 s[30:31], s[30:31], exec
	s_and_b64 vcc, vcc, exec
	v_mov_b32_e32 v52, 0
	s_or_b64 s[30:31], s[30:31], vcc
	s_or_b64 exec, exec, s[34:35]
	s_and_saveexec_b64 s[34:35], s[30:31]
	s_cbranch_execnz .LBB269_494
	s_branch .LBB269_495
.LBB269_773:                            ;   in Loop: Header=BB269_12 Depth=1
	v_cmp_eq_u16_sdwa s[40:41], v34, s38 src0_sel:BYTE_0 src1_sel:DWORD
	s_mov_b64 vcc, -1
                                        ; implicit-def: $sgpr36
	s_and_saveexec_b64 s[34:35], s[40:41]
; %bb.774:                              ;   in Loop: Header=BB269_12 Depth=1
	s_mov_b32 s36, 0x7fc02000
	s_xor_b64 vcc, exec, -1
; %bb.775:                              ;   in Loop: Header=BB269_12 Depth=1
	s_or_b64 exec, exec, s[34:35]
	s_and_b64 vcc, vcc, exec
	s_or_saveexec_b64 s[30:31], s[30:31]
	v_mov_b32_e32 v50, s36
	s_xor_b64 exec, exec, s[30:31]
	s_cbranch_execz .LBB269_497
.LBB269_776:                            ;   in Loop: Header=BB269_12 Depth=1
	v_cmp_ne_u16_sdwa s[34:35], v34, v5 src0_sel:BYTE_0 src1_sel:DWORD
	s_andn2_b64 vcc, vcc, exec
	s_and_b64 s[34:35], s[34:35], exec
	v_mov_b32_e32 v50, 0
	s_or_b64 vcc, vcc, s[34:35]
	s_or_b64 exec, exec, s[30:31]
	s_and_saveexec_b64 s[30:31], vcc
	s_cbranch_execnz .LBB269_498
	s_branch .LBB269_499
.LBB269_777:                            ;   in Loop: Header=BB269_12 Depth=1
	v_cmp_eq_u16_e32 vcc, s38, v4
	s_mov_b64 s[30:31], -1
                                        ; implicit-def: $sgpr40
	s_and_saveexec_b64 s[36:37], vcc
; %bb.778:                              ;   in Loop: Header=BB269_12 Depth=1
	s_mov_b32 s40, 0x7fc02000
	s_xor_b64 s[30:31], exec, -1
; %bb.779:                              ;   in Loop: Header=BB269_12 Depth=1
	s_or_b64 exec, exec, s[36:37]
	s_and_b64 s[30:31], s[30:31], exec
	s_or_saveexec_b64 s[34:35], s[34:35]
	v_mov_b32_e32 v36, s40
	s_xor_b64 exec, exec, s[34:35]
	s_cbranch_execz .LBB269_501
.LBB269_780:                            ;   in Loop: Header=BB269_12 Depth=1
	v_cmp_ne_u16_e32 vcc, 0, v4
	s_andn2_b64 s[30:31], s[30:31], exec
	s_and_b64 vcc, vcc, exec
	v_mov_b32_e32 v36, 0
	s_or_b64 s[30:31], s[30:31], vcc
	s_or_b64 exec, exec, s[34:35]
	s_and_saveexec_b64 s[34:35], s[30:31]
	s_cbranch_execnz .LBB269_502
	s_branch .LBB269_503
.LBB269_781:                            ;   in Loop: Header=BB269_12 Depth=1
	v_cmp_eq_u16_sdwa s[40:41], v4, s38 src0_sel:BYTE_0 src1_sel:DWORD
	s_mov_b64 vcc, -1
                                        ; implicit-def: $sgpr36
	s_and_saveexec_b64 s[34:35], s[40:41]
; %bb.782:                              ;   in Loop: Header=BB269_12 Depth=1
	s_mov_b32 s36, 0x7fc02000
	s_xor_b64 vcc, exec, -1
; %bb.783:                              ;   in Loop: Header=BB269_12 Depth=1
	s_or_b64 exec, exec, s[34:35]
	s_and_b64 vcc, vcc, exec
	s_or_saveexec_b64 s[30:31], s[30:31]
	v_mov_b32_e32 v51, s36
	s_xor_b64 exec, exec, s[30:31]
	s_cbranch_execz .LBB269_505
.LBB269_784:                            ;   in Loop: Header=BB269_12 Depth=1
	v_cmp_ne_u16_sdwa s[34:35], v4, v5 src0_sel:BYTE_0 src1_sel:DWORD
	s_andn2_b64 vcc, vcc, exec
	s_and_b64 s[34:35], s[34:35], exec
	v_mov_b32_e32 v51, 0
	s_or_b64 vcc, vcc, s[34:35]
	s_or_b64 exec, exec, s[30:31]
	s_and_saveexec_b64 s[30:31], vcc
	s_cbranch_execnz .LBB269_506
	s_branch .LBB269_507
.LBB269_785:
	s_or_b64 exec, exec, s[20:21]
	scratch_load_dwordx2 v[22:23], off, s32 offset:464 ; 8-byte Folded Reload
	scratch_load_dword v26, off, s32 offset:460 ; 4-byte Folded Reload
	scratch_load_dwordx2 v[36:37], off, s32 offset:452 ; 8-byte Folded Reload
	scratch_load_dwordx2 v[16:17], off, s32 offset:444 ; 8-byte Folded Reload
	;; [unrolled: 1-line block ×3, first 2 shown]
	scratch_load_dword v17, off, s32 offset:432 ; 4-byte Folded Reload
	scratch_load_dword v18, off, s32 offset:420 ; 4-byte Folded Reload
	scratch_load_dwordx2 v[24:25], off, s32 offset:424 ; 8-byte Folded Reload
	scratch_load_dword v3, off, s32 offset:356 ; 4-byte Folded Reload
	v_mbcnt_lo_u32_b32 v2, -1, 0
.LBB269_786:
	s_or_b64 exec, exec, s[8:9]
	v_mbcnt_hi_u32_b32 v0, -1, v2
	v_and_b32_e32 v1, 64, v0
	v_add_u32_e32 v7, 64, v1
	v_xor_b32_e32 v1, 32, v0
	v_cmp_lt_i32_e32 vcc, v1, v7
	v_xor_b32_e32 v4, 16, v0
	v_xor_b32_e32 v5, 8, v0
	v_cndmask_b32_e32 v1, v0, v1, vcc
	v_lshlrev_b32_e32 v1, 2, v1
	s_waitcnt vmcnt(0)
	ds_bpermute_b32 v2, v1, v3
	v_max_f32_e32 v3, v3, v3
	v_cmp_lt_i32_e32 vcc, v4, v7
	v_xor_b32_e32 v6, 4, v0
	v_xor_b32_e32 v8, 2, v0
	s_waitcnt lgkmcnt(0)
	v_max_f32_e32 v2, v2, v2
	v_max_f32_e32 v3, v3, v2
	v_cndmask_b32_e32 v2, v0, v4, vcc
	v_lshlrev_b32_e32 v2, 2, v2
	ds_bpermute_b32 v4, v2, v3
	v_cmp_lt_i32_e32 vcc, v5, v7
	s_lshr_b32 s19, s19, 16
	s_waitcnt lgkmcnt(0)
	v_max_f32_e32 v4, v4, v4
	v_max_f32_e32 v4, v3, v4
	v_cndmask_b32_e32 v3, v0, v5, vcc
	v_lshlrev_b32_e32 v3, 2, v3
	ds_bpermute_b32 v5, v3, v4
	v_cmp_lt_i32_e32 vcc, v6, v7
	s_waitcnt lgkmcnt(0)
	v_max_f32_e32 v5, v5, v5
	v_max_f32_e32 v5, v4, v5
	v_cndmask_b32_e32 v4, v0, v6, vcc
	v_lshlrev_b32_e32 v4, 2, v4
	ds_bpermute_b32 v6, v4, v5
	v_cmp_lt_i32_e32 vcc, v8, v7
	s_waitcnt lgkmcnt(0)
	v_max_f32_e32 v6, v6, v6
	v_max_f32_e32 v6, v5, v6
	v_cndmask_b32_e32 v5, v0, v8, vcc
	v_lshlrev_b32_e32 v32, 2, v5
	scratch_load_dword v5, off, s32 offset:352 ; 4-byte Folded Reload
	ds_bpermute_b32 v8, v32, v6
	s_waitcnt vmcnt(0)
	v_and_b32_e32 v27, 63, v5
	v_accvgpr_read_b32 v5, a12
	v_cmp_eq_u32_e32 vcc, 0, v27
	v_lshlrev_b32_e32 v5, 2, v5
	s_and_saveexec_b64 s[2:3], vcc
	s_cbranch_execz .LBB269_788
; %bb.787:
	s_waitcnt lgkmcnt(0)
	v_max_f32_e32 v8, v8, v8
	v_max_f32_e32 v6, v6, v6
	;; [unrolled: 1-line block ×3, first 2 shown]
	ds_write_b32 v5, v6 offset:384
.LBB269_788:
	s_or_b64 exec, exec, s[2:3]
	v_cmp_gt_u32_e64 s[2:3], 2, v27
	s_waitcnt lgkmcnt(0)
	v_mov_b32_e32 v8, 0xff7fffff
	v_lshlrev_b32_e32 v6, 2, v27
	s_barrier
	s_and_saveexec_b64 s[4:5], s[2:3]
	s_cbranch_execz .LBB269_790
; %bb.789:
	ds_read_b32 v8, v6 offset:384
.LBB269_790:
	s_or_b64 exec, exec, s[4:5]
	v_xor_b32_e32 v9, 1, v0
	v_cmp_lt_i32_e64 s[4:5], v9, v7
	v_accvgpr_read_b32 v10, a8
	s_nop 0
	v_cndmask_b32_e64 v7, v0, v9, s[4:5]
	v_lshlrev_b32_e32 v33, 2, v7
	s_waitcnt lgkmcnt(0)
	ds_bpermute_b32 v7, v33, v8
	v_max_f32_e32 v8, v8, v8
	v_lshlrev_b32_e32 v0, 2, v0
	scratch_load_dword v9, off, s32 offset:352 ; 4-byte Folded Reload
	s_waitcnt lgkmcnt(0)
	v_max_f32_e32 v7, v7, v7
	v_max_f32_e32 v8, v8, v7
	v_and_b32_e32 v7, 0x100, v0
	scratch_load_dword v0, off, s32 offset:188 ; 4-byte Folded Reload
	ds_bpermute_b32 v8, v7, v8
	s_waitcnt vmcnt(0)
	v_lshlrev_b32_e32 v0, 5, v0
	v_min_i32_e32 v0, v0, v10
	v_cmp_lt_i32_e64 s[4:5], v9, v0
	v_mov_b32_e32 v9, 0
	s_and_saveexec_b64 s[8:9], s[4:5]
	s_cbranch_execz .LBB269_794
; %bb.791:
	scratch_load_dword v11, off, s32 offset:352 ; 4-byte Folded Reload
	s_ashr_i32 s17, s16, 31
	s_lshl_b64 s[6:7], s[16:17], 2
	s_getpc_b64 s[12:13]
	s_add_u32 s12, s12, llvm.amdgcn.dynlds.offset.table@rel32@lo+4
	s_addc_u32 s13, s13, llvm.amdgcn.dynlds.offset.table@rel32@hi+12
	s_add_u32 s6, s6, s12
	s_addc_u32 s7, s7, s13
	s_load_dword s6, s[6:7], 0x0
	s_mov_b64 s[12:13], 0
	v_mov_b32_e32 v9, 0
	s_waitcnt vmcnt(0) lgkmcnt(0)
	v_lshl_add_u32 v10, v11, 2, s6
.LBB269_792:                            ; =>This Inner Loop Header: Depth=1
	ds_read_b32 v12, v10
	v_add_u32_e32 v11, 0x80, v11
	v_cmp_ge_i32_e64 s[6:7], v11, v0
	s_or_b64 s[12:13], s[6:7], s[12:13]
	s_waitcnt lgkmcnt(0)
	v_sub_f32_e32 v12, v12, v8
	v_mul_f32_e32 v12, 0x3fb8aa3b, v12
	v_exp_f32_e32 v12, v12
	ds_write_b32 v10, v12
	v_add_f32_e32 v9, v9, v12
	v_add_u32_e32 v10, 0x200, v10
	s_andn2_b64 exec, exec, s[12:13]
	s_cbranch_execnz .LBB269_792
; %bb.793:
	s_or_b64 exec, exec, s[12:13]
.LBB269_794:
	s_or_b64 exec, exec, s[8:9]
	ds_bpermute_b32 v1, v1, v9
	s_waitcnt lgkmcnt(0)
	v_add_f32_e32 v1, v9, v1
	ds_bpermute_b32 v2, v2, v1
	s_waitcnt lgkmcnt(0)
	v_add_f32_e32 v1, v1, v2
	;; [unrolled: 3-line block ×6, first 2 shown]
	s_and_saveexec_b64 s[6:7], vcc
	s_cbranch_execz .LBB269_796
; %bb.795:
	ds_write_b32 v5, v1 offset:392
.LBB269_796:
	s_or_b64 exec, exec, s[6:7]
	s_waitcnt lgkmcnt(0)
	s_barrier
	s_and_saveexec_b64 s[6:7], s[2:3]
	s_cbranch_execz .LBB269_798
; %bb.797:
	ds_read_b32 v1, v6 offset:392
.LBB269_798:
	s_or_b64 exec, exec, s[6:7]
	s_waitcnt lgkmcnt(0)
	ds_bpermute_b32 v2, v33, v1
	s_waitcnt lgkmcnt(0)
	v_add_f32_e32 v1, v1, v2
	ds_bpermute_b32 v1, v7, v1
	s_and_saveexec_b64 s[2:3], s[4:5]
	s_cbranch_execz .LBB269_811
; %bb.799:
	s_waitcnt lgkmcnt(0)
	v_add_f32_e32 v1, 0x358637bd, v1
	v_div_scale_f32 v2, s[4:5], v1, v1, 1.0
	v_rcp_f32_e32 v3, v2
	v_div_scale_f32 v4, vcc, 1.0, v1, 1.0
	s_movk_i32 s4, 0x7f
	v_fma_f32 v5, -v2, v3, 1.0
	v_fmac_f32_e32 v3, v5, v3
	v_mul_f32_e32 v5, v4, v3
	v_fma_f32 v6, -v2, v5, v4
	v_fmac_f32_e32 v5, v6, v3
	v_fma_f32 v2, -v2, v5, v4
	v_div_fmas_f32 v2, v2, v3, v5
	v_div_fixup_f32 v4, v2, v1, 1.0
	scratch_load_dword v1, off, s32 offset:352 ; 4-byte Folded Reload
	s_mov_b64 s[6:7], -1
	s_waitcnt vmcnt(0)
	v_xad_u32 v2, v1, -1, v0
	v_cmp_lt_u32_e32 vcc, s4, v2
	s_and_saveexec_b64 s[4:5], vcc
	s_cbranch_execz .LBB269_808
; %bb.800:
	v_lshrrev_b32_e32 v1, 7, v2
	v_add_u32_e32 v3, -1, v1
	v_lshrrev_b32_e32 v2, 1, v3
	v_mov_b32_e32 v5, v4
	v_add_u32_e32 v2, 1, v2
	v_cmp_lt_u32_e32 vcc, 13, v3
	v_mov_b32_e32 v7, 0
	s_and_saveexec_b64 s[6:7], vcc
	s_cbranch_execz .LBB269_804
; %bb.801:
	scratch_load_dword v6, off, s32 offset:352 ; 4-byte Folded Reload
	s_ashr_i32 s17, s16, 31
	s_lshl_b64 s[8:9], s[16:17], 2
	s_getpc_b64 s[12:13]
	s_add_u32 s12, s12, llvm.amdgcn.dynlds.offset.table@rel32@lo+4
	s_addc_u32 s13, s13, llvm.amdgcn.dynlds.offset.table@rel32@hi+12
	s_add_u32 s8, s8, s12
	s_addc_u32 s9, s9, s13
	s_load_dword s8, s[8:9], 0x0
	v_and_b32_e32 v3, -8, v2
	s_mov_b32 s12, 0
	s_waitcnt vmcnt(0) lgkmcnt(0)
	v_lshl_add_u32 v6, v6, 2, s8
	s_mov_b64 s[8:9], 0
.LBB269_802:                            ; =>This Inner Loop Header: Depth=1
	ds_read2st64_b32 v[8:9], v6 offset1:2
	ds_read2st64_b32 v[10:11], v6 offset0:4 offset1:6
	ds_read2st64_b32 v[12:13], v6 offset0:8 offset1:10
	;; [unrolled: 1-line block ×3, first 2 shown]
	v_add_u32_e32 v3, -8, v3
	s_waitcnt lgkmcnt(3)
	v_pk_mul_f32 v[8:9], v[4:5], v[8:9]
	s_waitcnt lgkmcnt(2)
	v_pk_mul_f32 v[10:11], v[4:5], v[10:11]
	ds_write2st64_b32 v6, v8, v9 offset1:2
	ds_write2st64_b32 v6, v10, v11 offset0:4 offset1:6
	ds_read2st64_b32 v[10:11], v6 offset0:16 offset1:18
	s_waitcnt lgkmcnt(4)
	v_pk_mul_f32 v[8:9], v[4:5], v[12:13]
	ds_write2st64_b32 v6, v8, v9 offset0:8 offset1:10
	s_waitcnt lgkmcnt(4)
	v_pk_mul_f32 v[8:9], v[4:5], v[14:15]
	ds_write2st64_b32 v6, v8, v9 offset0:12 offset1:14
	ds_read2st64_b32 v[8:9], v6 offset0:20 offset1:22
	s_waitcnt lgkmcnt(3)
	v_pk_mul_f32 v[10:11], v[4:5], v[10:11]
	ds_read2st64_b32 v[12:13], v6 offset0:24 offset1:26
	ds_write2st64_b32 v6, v10, v11 offset0:16 offset1:18
	ds_read2st64_b32 v[10:11], v6 offset0:28 offset1:30
	s_waitcnt lgkmcnt(3)
	v_pk_mul_f32 v[8:9], v[4:5], v[8:9]
	ds_write2st64_b32 v6, v8, v9 offset0:20 offset1:22
	s_waitcnt lgkmcnt(3)
	v_pk_mul_f32 v[8:9], v[4:5], v[12:13]
	ds_write2st64_b32 v6, v8, v9 offset0:24 offset1:26
	s_waitcnt lgkmcnt(2)
	v_pk_mul_f32 v[8:9], v[4:5], v[10:11]
	s_add_i32 s12, s12, 16
	v_cmp_eq_u32_e32 vcc, 0, v3
	ds_write2st64_b32 v6, v8, v9 offset0:28 offset1:30
	v_add_u32_e32 v6, 0x2000, v6
	s_or_b64 s[8:9], vcc, s[8:9]
	v_mov_b32_e32 v7, s12
	s_andn2_b64 exec, exec, s[8:9]
	s_cbranch_execnz .LBB269_802
; %bb.803:
	s_or_b64 exec, exec, s[8:9]
.LBB269_804:
	s_or_b64 exec, exec, s[6:7]
	v_and_b32_e32 v2, 7, v2
	v_cmp_ne_u32_e32 vcc, 0, v2
	s_and_saveexec_b64 s[6:7], vcc
	s_cbranch_execz .LBB269_807
; %bb.805:
	scratch_load_dword v6, off, s32 offset:352 ; 4-byte Folded Reload
	s_ashr_i32 s17, s16, 31
	s_lshl_b64 s[8:9], s[16:17], 2
	s_getpc_b64 s[12:13]
	s_add_u32 s12, s12, llvm.amdgcn.dynlds.offset.table@rel32@lo+4
	s_addc_u32 s13, s13, llvm.amdgcn.dynlds.offset.table@rel32@hi+12
	s_add_u32 s8, s8, s12
	s_addc_u32 s9, s9, s13
	s_load_dword s8, s[8:9], 0x0
	v_lshlrev_b32_e32 v3, 9, v7
	s_waitcnt vmcnt(0)
	v_lshlrev_b32_e32 v6, 2, v6
	s_waitcnt lgkmcnt(0)
	v_add3_u32 v3, v3, v6, s8
	s_mov_b64 s[8:9], 0
.LBB269_806:                            ; =>This Inner Loop Header: Depth=1
	ds_read2st64_b32 v[6:7], v3 offset1:2
	v_add_u32_e32 v2, -1, v2
	v_cmp_eq_u32_e32 vcc, 0, v2
	s_or_b64 s[8:9], vcc, s[8:9]
	s_waitcnt lgkmcnt(0)
	v_pk_mul_f32 v[6:7], v[4:5], v[6:7]
	ds_write2st64_b32 v3, v6, v7 offset1:2
	v_add_u32_e32 v3, 0x400, v3
	s_andn2_b64 exec, exec, s[8:9]
	s_cbranch_execnz .LBB269_806
.LBB269_807:
	s_or_b64 exec, exec, s[6:7]
	v_add_u32_e32 v2, 1, v1
	scratch_load_dword v1, off, s32 offset:352 ; 4-byte Folded Reload
	v_and_b32_e32 v3, 0x3fffffe, v2
	v_cmp_ne_u32_e32 vcc, v2, v3
	s_orn2_b64 s[6:7], vcc, exec
	s_waitcnt vmcnt(0)
	v_lshl_add_u32 v1, v3, 7, v1
.LBB269_808:
	s_or_b64 exec, exec, s[4:5]
	s_and_b64 exec, exec, s[6:7]
	s_cbranch_execz .LBB269_811
; %bb.809:
	s_ashr_i32 s17, s16, 31
	s_lshl_b64 s[4:5], s[16:17], 2
	s_getpc_b64 s[6:7]
	s_add_u32 s6, s6, llvm.amdgcn.dynlds.offset.table@rel32@lo+4
	s_addc_u32 s7, s7, llvm.amdgcn.dynlds.offset.table@rel32@hi+12
	s_add_u32 s4, s4, s6
	s_addc_u32 s5, s5, s7
	s_load_dword s4, s[4:5], 0x0
	s_waitcnt lgkmcnt(0)
	v_lshl_add_u32 v2, v1, 2, s4
	s_mov_b64 s[4:5], 0
.LBB269_810:                            ; =>This Inner Loop Header: Depth=1
	ds_read_b32 v3, v2
	v_add_u32_e32 v1, 0x80, v1
	v_cmp_ge_i32_e32 vcc, v1, v0
	s_or_b64 s[4:5], vcc, s[4:5]
	s_waitcnt lgkmcnt(0)
	v_mul_f32_e32 v3, v4, v3
	ds_write_b32 v2, v3
	v_add_u32_e32 v2, 0x200, v2
	s_andn2_b64 exec, exec, s[4:5]
	s_cbranch_execnz .LBB269_810
.LBB269_811:
	s_or_b64 exec, exec, s[2:3]
	s_waitcnt lgkmcnt(0)
	s_barrier
	scratch_load_dword v0, off, s32 offset:352 ; 4-byte Folded Reload
	v_mov_b32_e32 v34, 0
	v_mov_b32_e32 v35, 0
	;; [unrolled: 1-line block ×12, first 2 shown]
	s_waitcnt vmcnt(0)
	v_and_b32_e32 v48, 3, v0
	s_and_saveexec_b64 s[2:3], s[0:1]
	s_cbranch_execz .LBB269_1609
; %bb.812:
	v_and_b32_e32 v0, 24, v16
	v_accvgpr_write_b32 a19, v0
	v_lshl_add_u64 v[0:1], v[36:37], 0, v[24:25]
	v_accvgpr_write_b32 a21, v1
	v_accvgpr_write_b32 a20, v0
	scratch_load_dword v0, off, s32 offset:188 ; 4-byte Folded Reload
	scratch_load_dword v6, off, s32 offset:408 ; 4-byte Folded Reload
	v_max_i32_e32 v60, v26, v18
	v_sub_u32_e32 v1, 0, v60
	v_mov_b32_e32 v25, 0
	v_and_b32_e32 v2, 0x1f8, v16
	v_mov_b32_e32 v5, v25
	s_ashr_i32 s17, s16, 31
	v_mov_b32_e32 v3, v25
	v_or_b32_e32 v4, 0x1000, v2
	v_accvgpr_write_b32 a27, v5
	s_lshl_b64 s[0:1], s[16:17], 2
	v_accvgpr_write_b32 a26, v4
	v_or_b32_e32 v4, 0x1200, v2
	v_accvgpr_write_b32 a29, v5
	v_accvgpr_write_b32 a25, v3
	s_getpc_b64 s[4:5]
	s_add_u32 s4, s4, llvm.amdgcn.dynlds.offset.table@rel32@lo+4
	s_addc_u32 s5, s5, llvm.amdgcn.dynlds.offset.table@rel32@hi+12
	v_and_b32_e32 v24, 60, v17
	v_accvgpr_write_b32 a28, v4
	v_or_b32_e32 v4, 0x1400, v2
	v_accvgpr_write_b32 a31, v5
	v_accvgpr_write_b32 a24, v2
	v_or_b32_e32 v2, 0x1600, v2
	v_accvgpr_write_b32 a33, v3
	s_add_u32 s4, s0, s4
	v_accvgpr_write_b32 a17, v33
	v_accvgpr_write_b32 a16, v32
	;; [unrolled: 1-line block ×5, first 2 shown]
	v_accvgpr_read_b32 v3, a8
	s_addc_u32 s5, s1, s5
	v_accvgpr_write_b32 a18, v48
	s_mov_b64 s[6:7], 0
	s_movk_i32 s17, 0x7f
	s_movk_i32 s24, 0x80
	s_mov_b32 s25, 0x8000
	s_movk_i32 s26, 0x380
	s_mov_b32 s27, 0x3020706
	s_mov_b32 s28, 0x1000504
	;; [unrolled: 1-line block ×3, first 2 shown]
	v_mov_b32_e32 v5, 0
	v_mov_b32_e32 v4, 0
	;; [unrolled: 1-line block ×12, first 2 shown]
	v_accvgpr_read_b32 v2, a8
	s_waitcnt vmcnt(1)
	v_add_u32_e32 v0, -1, v0
	v_accvgpr_write_b32 a22, v0
	v_cvt_f32_u32_e32 v0, v60
	v_rcp_iflag_f32_e32 v0, v0
	s_nop 0
	v_mul_f32_e32 v0, 0x4f7ffffe, v0
	v_cvt_u32_f32_e32 v0, v0
	v_mul_lo_u32 v1, v1, v0
	v_mul_hi_u32 v1, v0, v1
	v_add_u32_e32 v0, v0, v1
	v_accvgpr_write_b32 a34, v0
	v_lshlrev_b32_e32 v0, 5, v48
	v_accvgpr_read_b32 v1, a12
	v_lshl_or_b32 v49, v1, 7, v0
	v_lshl_add_u64 v[0:1], v[38:39], 2, v[24:25]
	v_lshl_add_u64 v[10:11], v[22:23], 0, v[0:1]
	v_mov_b32_e32 v1, 0x1c00
	s_branch .LBB269_815
.LBB269_813:                            ;   in Loop: Header=BB269_815 Depth=1
	s_or_b64 exec, exec, s[0:1]
	v_add_f32_e32 v0, v12, v19
	v_add_f32_e32 v4, v4, v0
	;; [unrolled: 1-line block ×16, first 2 shown]
	v_accvgpr_read_b32 v0, a37
	v_add_f32_e32 v0, v0, v36
	v_add_f32_e32 v30, v30, v0
	v_accvgpr_read_b32 v0, a36
	v_add_f32_e32 v0, v0, v33
	v_add_f32_e32 v35, v35, v0
	v_accvgpr_read_b32 v0, a23
	v_accvgpr_read_b32 v2, a35
	v_add_f32_e32 v0, v0, v2
	v_add_f32_e32 v34, v34, v0
	;;#ASMSTART
	v_pk_mul_f16 v0, v18, v51;

	;;#ASMEND
	;;#ASMSTART
	v_pk_mul_f16 v2, v46, v24;

	;;#ASMEND
	;; [unrolled: 4-line block ×4, first 2 shown]
	s_nop 0
	;;#ASMSTART
	v_pk_add_f16 v0, v0, v2;

	;;#ASMEND
	s_nop 0
	;;#ASMSTART
	v_pk_add_f16 v0, v0, v6;

	;;#ASMEND
	;; [unrolled: 5-line block ×3, first 2 shown]
	s_nop 0
	v_lshrrev_b32_e32 v2, 16, v0
	v_and_b32_e32 v0, 0xffff, v0
	;;#ASMSTART
	v_cvt_f32_f16 v0, v0;
	;;#ASMEND
	;;#ASMSTART
	v_cvt_f32_f16 v2, v2;
	;;#ASMEND
	s_nop 0
	v_add_f32_e32 v0, v0, v2
	v_add_f32_e32 v5, v5, v0
.LBB269_814:                            ;   in Loop: Header=BB269_815 Depth=1
	s_or_b64 exec, exec, s[8:9]
	scratch_load_dword v0, off, s32 offset:188 ; 4-byte Folded Reload
	v_accvgpr_read_b32 v2, a12
	v_add_u32_e32 v2, 2, v2
	v_accvgpr_read_b32 v6, a14
	v_add_u32_e32 v6, 64, v6
	v_add_u32_e32 v49, 0x100, v49
	v_accvgpr_write_b32 a12, v2
	v_lshl_add_u64 v[10:11], v[10:11], 0, 8
	s_waitcnt vmcnt(0)
	v_cmp_ge_i32_e32 vcc, v2, v0
	s_or_b64 s[6:7], vcc, s[6:7]
	s_andn2_b64 exec, exec, s[6:7]
	s_cbranch_execz .LBB269_1608
.LBB269_815:                            ; =>This Inner Loop Header: Depth=1
	scratch_load_dword v0, off, s32 offset:208 ; 4-byte Folded Reload
	scratch_load_dword v7, off, s32 offset:192 ; 4-byte Folded Reload
	s_waitcnt vmcnt(2)
	v_accvgpr_write_b32 a14, v6
	v_accvgpr_read_b32 v12, a34
	s_waitcnt vmcnt(1)
	v_mul_hi_u32 v0, v6, v0
	s_waitcnt vmcnt(0)
	v_mul_lo_u32 v2, v0, v7
	v_sub_u32_e32 v2, v6, v2
	v_add_u32_e32 v6, 1, v0
	v_cmp_ge_u32_e32 vcc, v2, v7
	s_nop 1
	v_cndmask_b32_e32 v0, v0, v6, vcc
	v_sub_u32_e32 v6, v2, v7
	v_cndmask_b32_e32 v2, v2, v6, vcc
	v_cmp_ge_u32_e32 vcc, v2, v7
	scratch_load_dword v2, off, s32 offset:196 ; 4-byte Folded Reload
	v_add_u32_e32 v6, 1, v0
	v_cndmask_b32_e32 v0, v0, v6, vcc
	scratch_load_dwordx2 v[6:7], off, s32 offset:200 ; 8-byte Folded Reload
	s_waitcnt vmcnt(1)
	v_xor_b32_e32 v0, v0, v2
	v_sub_u32_e32 v0, v0, v2
	s_waitcnt vmcnt(0)
	v_add_u32_e32 v2, v0, v6
	v_sub_u32_e32 v7, 0, v2
	v_ashrrev_i32_e32 v6, 31, v2
	v_max_i32_e32 v2, v2, v7
	v_mul_hi_u32 v7, v2, v12
	v_mul_lo_u32 v7, v7, v60
	v_sub_u32_e32 v2, v2, v7
	v_sub_u32_e32 v7, v2, v60
	v_cmp_ge_u32_e32 vcc, v2, v60
	s_nop 1
	v_cndmask_b32_e32 v2, v2, v7, vcc
	v_sub_u32_e32 v7, v2, v60
	v_cmp_ge_u32_e32 vcc, v2, v60
	s_nop 1
	v_cndmask_b32_e32 v2, v2, v7, vcc
	v_xor_b32_e32 v2, v2, v6
	v_sub_u32_e32 v2, v2, v6
	v_cmp_eq_u32_e32 vcc, 0, v2
	scratch_load_dword v2, off, s32 offset:212 ; 4-byte Folded Reload
	s_waitcnt vmcnt(0)
	v_cmp_gt_i32_e64 s[0:1], v0, v2
	s_or_b64 s[0:1], vcc, s[0:1]
	s_and_saveexec_b64 s[8:9], s[0:1]
	s_cbranch_execz .LBB269_814
; %bb.816:                              ;   in Loop: Header=BB269_815 Depth=1
	s_load_dword s0, s[4:5], 0x0
                                        ; implicit-def: $sgpr22
	s_waitcnt lgkmcnt(0)
	v_add_u32_e32 v0, s0, v49
	ds_read2_b64 v[12:15], v0 offset1:1
	ds_read2_b64 v[36:39], v0 offset0:2 offset1:3
	s_waitcnt lgkmcnt(1)
	;;#ASMSTART
	v_cvt_f16_f32 v2, v12;

	;;#ASMEND
	;;#ASMSTART
	v_cvt_f16_f32 v7, v13;

	;;#ASMEND
	;; [unrolled: 4-line block ×4, first 2 shown]
	s_waitcnt lgkmcnt(0)
	;;#ASMSTART
	v_cvt_f16_f32 v16, v36;

	;;#ASMEND
	;;#ASMSTART
	v_cvt_f16_f32 v17, v37;

	;;#ASMEND
	;; [unrolled: 4-line block ×4, first 2 shown]
	flat_load_dword v0, v[10:11]
	scratch_load_dwordx2 v[26:27], off, s32 offset:328 ; 8-byte Folded Reload
	v_accvgpr_read_b32 v14, a20
	v_accvgpr_read_b32 v15, a21
	s_waitcnt vmcnt(0) lgkmcnt(0)
	v_mad_i64_i32 v[14:15], s[0:1], v0, v26, v[14:15]
	v_accvgpr_read_b32 v27, a25
	v_accvgpr_read_b32 v26, a24
	v_lshl_add_u64 v[50:51], v[14:15], 0, v[26:27]
	v_accvgpr_read_b32 v27, a5
	flat_load_dwordx2 v[54:55], v[50:51]
	v_accvgpr_read_b32 v26, a4
	flat_load_dword v52, v[26:27]
	s_mov_b64 s[0:1], 0
	s_waitcnt vmcnt(0) lgkmcnt(0)
	v_cmp_gt_i16_sdwa s[12:13], v54, s17 src0_sel:BYTE_0 src1_sel:DWORD
	s_and_saveexec_b64 s[20:21], s[12:13]
	s_xor_b64 s[12:13], exec, s[20:21]
	s_cbranch_execnz .LBB269_1224
; %bb.817:                              ;   in Loop: Header=BB269_815 Depth=1
	s_or_saveexec_b64 s[12:13], s[12:13]
	v_mov_b32_e32 v40, s22
	s_xor_b64 exec, exec, s[12:13]
	s_cbranch_execnz .LBB269_1227
.LBB269_818:                            ;   in Loop: Header=BB269_815 Depth=1
	s_or_b64 exec, exec, s[12:13]
	s_and_saveexec_b64 s[12:13], s[0:1]
	s_cbranch_execz .LBB269_820
.LBB269_819:                            ;   in Loop: Header=BB269_815 Depth=1
	v_and_b32_e32 v0, 7, v54
	v_ffbh_u32_e32 v0, v0
	v_bfe_u32 v6, v54, 3, 4
	v_min_u32_e32 v0, 32, v0
	v_subrev_u32_e32 v18, 28, v0
	v_sub_u32_e32 v0, 29, v0
	v_cmp_eq_u32_e32 vcc, 0, v6
	s_nop 1
	v_cndmask_b32_e32 v0, v6, v0, vcc
	v_cndmask_b32_e32 v6, 0, v18, vcc
	v_lshlrev_b64 v[26:27], v6, v[54:55]
	v_lshlrev_b32_e32 v18, 8, v54
	v_lshl_add_u32 v0, v0, 10, v1
	v_lshlrev_b32_e32 v6, 7, v26
	v_and_or_b32 v0, v18, s25, v0
	v_and_or_b32 v0, v6, s26, v0
	v_cvt_f32_f16_e32 v40, v0
.LBB269_820:                            ;   in Loop: Header=BB269_815 Depth=1
	s_or_b64 exec, exec, s[12:13]
	v_lshrrev_b16_e32 v24, 8, v54
	v_cmp_lt_i16_e32 vcc, s17, v24
	s_mov_b64 s[0:1], 0
                                        ; implicit-def: $sgpr22
	s_and_saveexec_b64 s[12:13], vcc
	s_xor_b64 s[12:13], exec, s[12:13]
	s_cbranch_execnz .LBB269_1228
; %bb.821:                              ;   in Loop: Header=BB269_815 Depth=1
	s_or_saveexec_b64 s[12:13], s[12:13]
	v_mov_b32_e32 v42, s22
	s_xor_b64 exec, exec, s[12:13]
	s_cbranch_execnz .LBB269_1231
.LBB269_822:                            ;   in Loop: Header=BB269_815 Depth=1
	s_or_b64 exec, exec, s[12:13]
	s_and_saveexec_b64 s[12:13], s[0:1]
	s_cbranch_execz .LBB269_824
.LBB269_823:                            ;   in Loop: Header=BB269_815 Depth=1
	v_and_b32_e32 v0, 7, v24
	v_ffbh_u32_e32 v18, v0
	v_bfe_u32 v6, v24, 3, 4
	v_min_u32_e32 v18, 32, v18
	v_subrev_u32_e32 v23, 28, v18
	v_sub_u32_e32 v18, 29, v18
	v_cmp_eq_u32_e32 vcc, 0, v6
	v_lshlrev_b64 v[26:27], v23, v[24:25]
	v_and_b32_e32 v23, 7, v26
	v_cndmask_b32_e32 v6, v6, v18, vcc
	v_lshlrev_b32_e32 v18, 8, v24
	v_lshl_add_u32 v6, v6, 10, v1
	v_cndmask_b32_e32 v0, v0, v23, vcc
	v_and_or_b32 v6, v18, s25, v6
	v_lshl_or_b32 v0, v0, 7, v6
	v_cvt_f32_f16_e32 v42, v0
.LBB269_824:                            ;   in Loop: Header=BB269_815 Depth=1
	s_or_b64 exec, exec, s[12:13]
	v_lshrrev_b32_e32 v24, 16, v54
	v_cmp_gt_i16_sdwa s[12:13], v24, s17 src0_sel:BYTE_0 src1_sel:DWORD
	s_mov_b64 s[0:1], 0
                                        ; implicit-def: $sgpr22
	s_and_saveexec_b64 s[20:21], s[12:13]
	s_xor_b64 s[12:13], exec, s[20:21]
	s_cbranch_execnz .LBB269_1232
; %bb.825:                              ;   in Loop: Header=BB269_815 Depth=1
	s_or_saveexec_b64 s[12:13], s[12:13]
	v_mov_b32_e32 v41, s22
	s_xor_b64 exec, exec, s[12:13]
	s_cbranch_execnz .LBB269_1235
.LBB269_826:                            ;   in Loop: Header=BB269_815 Depth=1
	s_or_b64 exec, exec, s[12:13]
	s_and_saveexec_b64 s[12:13], s[0:1]
	s_cbranch_execz .LBB269_828
.LBB269_827:                            ;   in Loop: Header=BB269_815 Depth=1
	v_bfe_u32 v0, v54, 16, 3
	v_ffbh_u32_e32 v18, v0
	v_bfe_u32 v6, v54, 19, 4
	v_min_u32_e32 v18, 32, v18
	v_subrev_u32_e32 v23, 28, v18
	v_sub_u32_e32 v18, 29, v18
	v_cmp_eq_u32_e32 vcc, 0, v6
	v_lshlrev_b64 v[26:27], v23, v[24:25]
	v_and_b32_e32 v23, 7, v26
	v_cndmask_b32_e32 v6, v6, v18, vcc
	v_lshlrev_b32_e32 v18, 8, v24
	v_lshl_add_u32 v6, v6, 10, v1
	v_cndmask_b32_e32 v0, v0, v23, vcc
	v_and_or_b32 v6, v18, s25, v6
	v_lshl_or_b32 v0, v0, 7, v6
	v_cvt_f32_f16_e32 v41, v0
.LBB269_828:                            ;   in Loop: Header=BB269_815 Depth=1
	s_or_b64 exec, exec, s[12:13]
	v_lshrrev_b32_e32 v24, 24, v54
	v_cmp_lt_i16_e32 vcc, s17, v24
	s_mov_b64 s[0:1], 0
                                        ; implicit-def: $sgpr22
	s_and_saveexec_b64 s[12:13], vcc
	s_xor_b64 s[12:13], exec, s[12:13]
	s_cbranch_execnz .LBB269_1236
; %bb.829:                              ;   in Loop: Header=BB269_815 Depth=1
	s_or_saveexec_b64 s[12:13], s[12:13]
	v_mov_b32_e32 v43, s22
	s_xor_b64 exec, exec, s[12:13]
	s_cbranch_execnz .LBB269_1239
.LBB269_830:                            ;   in Loop: Header=BB269_815 Depth=1
	s_or_b64 exec, exec, s[12:13]
	s_and_saveexec_b64 s[12:13], s[0:1]
	s_cbranch_execz .LBB269_832
.LBB269_831:                            ;   in Loop: Header=BB269_815 Depth=1
	v_bfe_u32 v0, v54, 24, 3
	v_ffbh_u32_e32 v18, v0
	v_bfe_u32 v6, v54, 27, 4
	v_min_u32_e32 v18, 32, v18
	v_subrev_u32_e32 v23, 28, v18
	v_sub_u32_e32 v18, 29, v18
	v_cmp_eq_u32_e32 vcc, 0, v6
	v_lshlrev_b64 v[26:27], v23, v[24:25]
	v_and_b32_e32 v23, 7, v26
	v_cndmask_b32_e32 v6, v6, v18, vcc
	v_lshlrev_b32_e32 v18, 8, v24
	v_lshl_add_u32 v6, v6, 10, v1
	v_cndmask_b32_e32 v0, v0, v23, vcc
	v_and_or_b32 v6, v18, s25, v6
	v_lshl_or_b32 v0, v0, 7, v6
	v_cvt_f32_f16_e32 v43, v0
.LBB269_832:                            ;   in Loop: Header=BB269_815 Depth=1
	s_or_b64 exec, exec, s[12:13]
	v_cmp_gt_i16_sdwa s[12:13], v55, s17 src0_sel:BYTE_0 src1_sel:DWORD
	s_mov_b64 s[0:1], 0
                                        ; implicit-def: $sgpr22
	s_and_saveexec_b64 s[20:21], s[12:13]
	s_xor_b64 s[12:13], exec, s[20:21]
	s_cbranch_execnz .LBB269_1240
; %bb.833:                              ;   in Loop: Header=BB269_815 Depth=1
	s_or_saveexec_b64 s[12:13], s[12:13]
	v_mov_b32_e32 v0, s22
	s_xor_b64 exec, exec, s[12:13]
	s_cbranch_execnz .LBB269_1243
.LBB269_834:                            ;   in Loop: Header=BB269_815 Depth=1
	s_or_b64 exec, exec, s[12:13]
	v_mov_b32_e32 v24, v55
	s_and_saveexec_b64 s[12:13], s[0:1]
	s_cbranch_execz .LBB269_836
.LBB269_835:                            ;   in Loop: Header=BB269_815 Depth=1
	v_and_b32_e32 v0, 7, v55
	v_ffbh_u32_e32 v0, v0
	v_bfe_u32 v6, v55, 3, 4
	v_min_u32_e32 v0, 32, v0
	v_subrev_u32_e32 v18, 28, v0
	v_sub_u32_e32 v0, 29, v0
	v_cmp_eq_u32_e32 vcc, 0, v6
	s_nop 1
	v_cndmask_b32_e32 v0, v6, v0, vcc
	v_cndmask_b32_e32 v6, 0, v18, vcc
	v_lshlrev_b64 v[26:27], v6, v[24:25]
	v_lshlrev_b32_e32 v18, 8, v55
	v_lshl_add_u32 v0, v0, 10, v1
	v_lshlrev_b32_e32 v6, 7, v26
	v_and_or_b32 v0, v18, s25, v0
	v_and_or_b32 v0, v6, s26, v0
	v_cvt_f32_f16_e32 v0, v0
.LBB269_836:                            ;   in Loop: Header=BB269_815 Depth=1
	s_or_b64 exec, exec, s[12:13]
	v_lshrrev_b16_e32 v24, 8, v24
	v_cmp_lt_i16_e32 vcc, s17, v24
	s_mov_b64 s[0:1], 0
                                        ; implicit-def: $sgpr22
	s_and_saveexec_b64 s[12:13], vcc
	s_xor_b64 s[12:13], exec, s[12:13]
	s_cbranch_execnz .LBB269_1244
; %bb.837:                              ;   in Loop: Header=BB269_815 Depth=1
	s_or_saveexec_b64 s[12:13], s[12:13]
	v_mov_b32_e32 v6, s22
	s_xor_b64 exec, exec, s[12:13]
	s_cbranch_execnz .LBB269_1247
.LBB269_838:                            ;   in Loop: Header=BB269_815 Depth=1
	s_or_b64 exec, exec, s[12:13]
	s_and_saveexec_b64 s[12:13], s[0:1]
	s_cbranch_execz .LBB269_840
.LBB269_839:                            ;   in Loop: Header=BB269_815 Depth=1
	v_and_b32_e32 v6, 7, v24
	v_ffbh_u32_e32 v23, v6
	v_bfe_u32 v18, v24, 3, 4
	v_min_u32_e32 v23, 32, v23
	v_subrev_u32_e32 v26, 28, v23
	v_sub_u32_e32 v23, 29, v23
	v_cmp_eq_u32_e32 vcc, 0, v18
	v_lshlrev_b64 v[26:27], v26, v[24:25]
	v_and_b32_e32 v26, 7, v26
	v_cndmask_b32_e32 v18, v18, v23, vcc
	v_lshlrev_b32_e32 v23, 8, v24
	v_lshl_add_u32 v18, v18, 10, v1
	v_cndmask_b32_e32 v6, v6, v26, vcc
	v_and_or_b32 v18, v23, s25, v18
	v_lshl_or_b32 v6, v6, 7, v18
	v_cvt_f32_f16_e32 v6, v6
.LBB269_840:                            ;   in Loop: Header=BB269_815 Depth=1
	s_or_b64 exec, exec, s[12:13]
	v_lshrrev_b32_e32 v24, 16, v55
	v_cmp_gt_i16_sdwa s[12:13], v24, s17 src0_sel:BYTE_0 src1_sel:DWORD
	s_mov_b64 s[0:1], 0
                                        ; implicit-def: $sgpr22
	s_and_saveexec_b64 s[20:21], s[12:13]
	s_xor_b64 s[12:13], exec, s[20:21]
	s_cbranch_execnz .LBB269_1248
; %bb.841:                              ;   in Loop: Header=BB269_815 Depth=1
	s_or_saveexec_b64 s[12:13], s[12:13]
	v_mov_b32_e32 v18, s22
	s_xor_b64 exec, exec, s[12:13]
	s_cbranch_execnz .LBB269_1251
.LBB269_842:                            ;   in Loop: Header=BB269_815 Depth=1
	s_or_b64 exec, exec, s[12:13]
	s_and_saveexec_b64 s[12:13], s[0:1]
	s_cbranch_execz .LBB269_844
.LBB269_843:                            ;   in Loop: Header=BB269_815 Depth=1
	v_bfe_u32 v18, v55, 16, 3
	v_ffbh_u32_e32 v26, v18
	v_min_u32_e32 v32, 32, v26
	v_subrev_u32_e32 v26, 28, v32
	v_bfe_u32 v23, v55, 19, 4
	v_lshlrev_b64 v[26:27], v26, v[24:25]
	v_sub_u32_e32 v27, 29, v32
	v_cmp_eq_u32_e32 vcc, 0, v23
	v_and_b32_e32 v26, 7, v26
	v_lshlrev_b32_e32 v24, 8, v24
	v_cndmask_b32_e32 v23, v23, v27, vcc
	v_lshl_add_u32 v23, v23, 10, v1
	v_cndmask_b32_e32 v18, v18, v26, vcc
	v_and_or_b32 v23, v24, s25, v23
	v_lshl_or_b32 v18, v18, 7, v23
	v_cvt_f32_f16_e32 v18, v18
.LBB269_844:                            ;   in Loop: Header=BB269_815 Depth=1
	s_or_b64 exec, exec, s[12:13]
	v_lshrrev_b32_e32 v24, 24, v55
	v_cmp_lt_i16_e32 vcc, s17, v24
	s_mov_b64 s[0:1], 0
                                        ; implicit-def: $sgpr22
	s_and_saveexec_b64 s[12:13], vcc
	s_xor_b64 s[12:13], exec, s[12:13]
	s_cbranch_execnz .LBB269_1252
; %bb.845:                              ;   in Loop: Header=BB269_815 Depth=1
	s_or_saveexec_b64 s[12:13], s[12:13]
	v_mov_b32_e32 v27, s22
	s_xor_b64 exec, exec, s[12:13]
	s_cbranch_execnz .LBB269_1255
.LBB269_846:                            ;   in Loop: Header=BB269_815 Depth=1
	s_or_b64 exec, exec, s[12:13]
	s_and_saveexec_b64 s[12:13], s[0:1]
	s_cbranch_execz .LBB269_848
.LBB269_847:                            ;   in Loop: Header=BB269_815 Depth=1
	v_bfe_u32 v23, v55, 24, 3
	v_ffbh_u32_e32 v26, v23
	v_min_u32_e32 v33, 32, v26
	v_subrev_u32_e32 v26, 28, v33
	v_bfe_u32 v32, v55, 27, 4
	v_lshlrev_b64 v[26:27], v26, v[24:25]
	v_sub_u32_e32 v27, 29, v33
	v_cmp_eq_u32_e32 vcc, 0, v32
	v_and_b32_e32 v26, 7, v26
	v_lshlrev_b32_e32 v24, 8, v24
	v_cndmask_b32_e32 v27, v32, v27, vcc
	v_cndmask_b32_e32 v23, v23, v26, vcc
	v_lshl_add_u32 v26, v27, 10, v1
	v_and_or_b32 v24, v24, s25, v26
	v_lshl_or_b32 v23, v23, 7, v24
	v_cvt_f32_f16_e32 v27, v23
.LBB269_848:                            ;   in Loop: Header=BB269_815 Depth=1
	s_or_b64 exec, exec, s[12:13]
	v_pk_mul_f32 v[32:33], v[52:53], v[42:43] op_sel_hi:[0,1]
	v_pk_mul_f32 v[36:37], v[52:53], v[40:41] op_sel_hi:[0,1]
	v_cvt_f16_f32_e32 v23, v33
	v_cvt_f16_f32_e32 v24, v32
	;; [unrolled: 1-line block ×4, first 2 shown]
	v_fma_mixlo_f16 v6, v52, v6, 0
	v_pack_b32_f16 v24, v24, v23
	v_lshlrev_b32_e32 v6, 16, v6
	v_pack_b32_f16 v26, v32, v26
	v_fma_mixlo_f16 v0, v52, v0, 0
	v_accvgpr_read_b32 v33, a14
	v_accvgpr_read_b32 v36, a19
	v_perm_b32 v23, v26, v24, s27
	v_perm_b32 v24, v26, v24, s28
	v_or_b32_sdwa v26, v6, v0 dst_sel:DWORD dst_unused:UNUSED_PAD src0_sel:DWORD src1_sel:WORD_0
	v_fma_mixlo_f16 v0, v52, v27, 0
	v_add_u32_e32 v61, v36, v33
	v_accvgpr_read_b32 v33, a12
	v_accvgpr_read_b32 v36, a22
	v_fma_mixlo_f16 v18, v52, v18, 0
	v_lshlrev_b32_e32 v0, 16, v0
	v_cmp_eq_u32_e32 vcc, v36, v33
	v_or_b32_sdwa v27, v0, v18 dst_sel:DWORD dst_unused:UNUSED_PAD src0_sel:DWORD src1_sel:WORD_0
	v_add_u32_e32 v6, 1, v61
	v_or_b32_e32 v56, 3, v61
	v_or_b32_e32 v59, 2, v61
	;; [unrolled: 1-line block ×6, first 2 shown]
	s_and_saveexec_b64 s[12:13], vcc
	s_cbranch_execz .LBB269_850
; %bb.849:                              ;   in Loop: Header=BB269_815 Depth=1
	v_lshrrev_b32_e32 v32, 16, v24
	v_cmp_lt_i32_e64 s[0:1], v6, v3
	v_accvgpr_read_b32 v36, a8
	v_lshrrev_b32_e32 v27, 16, v27
	v_cndmask_b32_e64 v32, 0, v32, s[0:1]
	v_cmp_lt_i32_e64 s[0:1], v61, v36
	s_nop 1
	v_cndmask_b32_e64 v24, 0, v24, s[0:1]
	v_perm_b32 v24, v32, v24, s29
	v_lshrrev_b32_e32 v32, 16, v23
	v_cmp_lt_i32_e64 s[0:1], v56, v3
	s_nop 1
	v_cndmask_b32_e64 v32, 0, v32, s[0:1]
	v_cmp_lt_i32_e64 s[0:1], v59, v36
	s_nop 1
	v_cndmask_b32_e64 v23, 0, v23, s[0:1]
	v_perm_b32 v23, v32, v23, s29
	v_lshrrev_b32_e32 v32, 16, v26
	v_cmp_lt_i32_e64 s[0:1], v58, v3
	s_nop 1
	v_cndmask_b32_e64 v32, 0, v32, s[0:1]
	v_cmp_lt_i32_e64 s[0:1], v62, v36
	s_nop 1
	v_cndmask_b32_e64 v26, 0, v26, s[0:1]
	v_cmp_lt_i32_e64 s[0:1], v57, v3
	v_perm_b32 v26, v32, v26, s29
	s_nop 0
	v_cndmask_b32_e64 v27, 0, v27, s[0:1]
	v_cmp_lt_i32_e64 s[0:1], v0, v36
	s_nop 1
	v_cndmask_b32_e64 v18, 0, v18, s[0:1]
	v_perm_b32 v27, v27, v18, s29
.LBB269_850:                            ;   in Loop: Header=BB269_815 Depth=1
	s_or_b64 exec, exec, s[12:13]
	v_and_b32_e32 v2, 0xffff, v2
	v_lshl_or_b32 v18, v7, 16, v2
	v_and_b32_e32 v2, 0xffff, v12
	v_lshl_or_b32 v46, v13, 16, v2
	;; [unrolled: 2-line block ×4, first 2 shown]
	;;#ASMSTART
	v_pk_mul_f16 v2, v18, v24;

	;;#ASMEND
	;;#ASMSTART
	v_pk_mul_f16 v7, v46, v23;

	;;#ASMEND
	;; [unrolled: 4-line block ×4, first 2 shown]
	s_mov_b64 s[0:1], 0
	;;#ASMSTART
	v_pk_add_f16 v2, v2, v7;

	;;#ASMEND
                                        ; implicit-def: $sgpr22
	s_nop 0
	;;#ASMSTART
	v_pk_add_f16 v2, v2, v12;

	;;#ASMEND
	s_nop 0
	;;#ASMSTART
	v_pk_add_f16 v2, v2, v13;

	;;#ASMEND
	v_accvgpr_read_b32 v13, a5
	v_lshrrev_b32_e32 v7, 16, v2
	v_and_b32_e32 v2, 0xffff, v2
	;;#ASMSTART
	v_cvt_f32_f16 v2, v2;
	;;#ASMEND
	v_accvgpr_read_b32 v12, a4
	v_accvgpr_write_b32 a23, v2
	;;#ASMSTART
	v_cvt_f32_f16 v2, v7;
	;;#ASMEND
	flat_load_dwordx2 v[54:55], v[50:51] offset:512
	flat_load_dword v52, v[12:13]
	v_accvgpr_write_b32 a35, v2
	s_waitcnt vmcnt(0) lgkmcnt(0)
	v_cmp_gt_i16_sdwa s[12:13], v54, s17 src0_sel:BYTE_0 src1_sel:DWORD
	s_and_saveexec_b64 s[20:21], s[12:13]
	s_xor_b64 s[12:13], exec, s[20:21]
	s_cbranch_execnz .LBB269_1256
; %bb.851:                              ;   in Loop: Header=BB269_815 Depth=1
	s_or_saveexec_b64 s[12:13], s[12:13]
	v_mov_b32_e32 v40, s22
	s_xor_b64 exec, exec, s[12:13]
	s_cbranch_execnz .LBB269_1259
.LBB269_852:                            ;   in Loop: Header=BB269_815 Depth=1
	s_or_b64 exec, exec, s[12:13]
	s_and_saveexec_b64 s[12:13], s[0:1]
	s_cbranch_execz .LBB269_854
.LBB269_853:                            ;   in Loop: Header=BB269_815 Depth=1
	v_and_b32_e32 v2, 7, v54
	v_ffbh_u32_e32 v2, v2
	v_bfe_u32 v7, v54, 3, 4
	v_min_u32_e32 v2, 32, v2
	v_subrev_u32_e32 v12, 28, v2
	v_sub_u32_e32 v2, 29, v2
	v_cmp_eq_u32_e64 s[0:1], 0, v7
	s_nop 1
	v_cndmask_b32_e64 v2, v7, v2, s[0:1]
	v_cndmask_b32_e64 v7, 0, v12, s[0:1]
	v_lshlrev_b64 v[12:13], v7, v[54:55]
	v_lshlrev_b32_e32 v7, 7, v12
	v_lshlrev_b32_e32 v12, 8, v54
	v_lshl_add_u32 v2, v2, 10, v1
	v_and_or_b32 v2, v12, s25, v2
	v_and_or_b32 v2, v7, s26, v2
	v_cvt_f32_f16_e32 v40, v2
.LBB269_854:                            ;   in Loop: Header=BB269_815 Depth=1
	s_or_b64 exec, exec, s[12:13]
	v_lshrrev_b16_e32 v24, 8, v54
	v_cmp_lt_i16_e64 s[0:1], s17, v24
	s_mov_b64 s[12:13], 0
                                        ; implicit-def: $sgpr30
	s_and_saveexec_b64 s[20:21], s[0:1]
	s_xor_b64 s[20:21], exec, s[20:21]
	s_cbranch_execnz .LBB269_1260
; %bb.855:                              ;   in Loop: Header=BB269_815 Depth=1
	s_or_saveexec_b64 s[20:21], s[20:21]
	v_mov_b32_e32 v42, s30
	s_xor_b64 exec, exec, s[20:21]
	s_cbranch_execnz .LBB269_1263
.LBB269_856:                            ;   in Loop: Header=BB269_815 Depth=1
	s_or_b64 exec, exec, s[20:21]
	s_and_saveexec_b64 s[20:21], s[12:13]
	s_cbranch_execz .LBB269_858
.LBB269_857:                            ;   in Loop: Header=BB269_815 Depth=1
	v_and_b32_e32 v2, 7, v24
	v_ffbh_u32_e32 v12, v2
	v_min_u32_e32 v16, 32, v12
	v_subrev_u32_e32 v12, 28, v16
	v_bfe_u32 v7, v24, 3, 4
	v_lshlrev_b64 v[12:13], v12, v[24:25]
	v_sub_u32_e32 v13, 29, v16
	v_cmp_eq_u32_e64 s[0:1], 0, v7
	v_and_b32_e32 v12, 7, v12
	s_nop 0
	v_cndmask_b32_e64 v7, v7, v13, s[0:1]
	v_cndmask_b32_e64 v2, v2, v12, s[0:1]
	v_lshlrev_b32_e32 v12, 8, v24
	v_lshl_add_u32 v7, v7, 10, v1
	v_and_or_b32 v7, v12, s25, v7
	v_lshl_or_b32 v2, v2, 7, v7
	v_cvt_f32_f16_e32 v42, v2
.LBB269_858:                            ;   in Loop: Header=BB269_815 Depth=1
	s_or_b64 exec, exec, s[20:21]
	v_lshrrev_b32_e32 v24, 16, v54
	v_cmp_gt_i16_sdwa s[12:13], v24, s17 src0_sel:BYTE_0 src1_sel:DWORD
	s_mov_b64 s[0:1], 0
                                        ; implicit-def: $sgpr22
	s_and_saveexec_b64 s[20:21], s[12:13]
	s_xor_b64 s[12:13], exec, s[20:21]
	s_cbranch_execnz .LBB269_1264
; %bb.859:                              ;   in Loop: Header=BB269_815 Depth=1
	s_or_saveexec_b64 s[12:13], s[12:13]
	v_mov_b32_e32 v41, s22
	s_xor_b64 exec, exec, s[12:13]
	s_cbranch_execnz .LBB269_1267
.LBB269_860:                            ;   in Loop: Header=BB269_815 Depth=1
	s_or_b64 exec, exec, s[12:13]
	s_and_saveexec_b64 s[12:13], s[0:1]
	s_cbranch_execz .LBB269_862
.LBB269_861:                            ;   in Loop: Header=BB269_815 Depth=1
	v_bfe_u32 v2, v54, 16, 3
	v_ffbh_u32_e32 v12, v2
	v_min_u32_e32 v16, 32, v12
	v_subrev_u32_e32 v12, 28, v16
	v_bfe_u32 v7, v54, 19, 4
	v_lshlrev_b64 v[12:13], v12, v[24:25]
	v_sub_u32_e32 v13, 29, v16
	v_cmp_eq_u32_e64 s[0:1], 0, v7
	v_and_b32_e32 v12, 7, v12
	s_nop 0
	v_cndmask_b32_e64 v7, v7, v13, s[0:1]
	v_cndmask_b32_e64 v2, v2, v12, s[0:1]
	v_lshlrev_b32_e32 v12, 8, v24
	v_lshl_add_u32 v7, v7, 10, v1
	v_and_or_b32 v7, v12, s25, v7
	v_lshl_or_b32 v2, v2, 7, v7
	v_cvt_f32_f16_e32 v41, v2
.LBB269_862:                            ;   in Loop: Header=BB269_815 Depth=1
	s_or_b64 exec, exec, s[12:13]
	v_lshrrev_b32_e32 v24, 24, v54
	v_cmp_lt_i16_e64 s[0:1], s17, v24
	s_mov_b64 s[12:13], 0
                                        ; implicit-def: $sgpr30
	s_and_saveexec_b64 s[20:21], s[0:1]
	s_xor_b64 s[20:21], exec, s[20:21]
	s_cbranch_execnz .LBB269_1268
; %bb.863:                              ;   in Loop: Header=BB269_815 Depth=1
	s_or_saveexec_b64 s[20:21], s[20:21]
	v_mov_b32_e32 v43, s30
	s_xor_b64 exec, exec, s[20:21]
	s_cbranch_execnz .LBB269_1271
.LBB269_864:                            ;   in Loop: Header=BB269_815 Depth=1
	s_or_b64 exec, exec, s[20:21]
	s_and_saveexec_b64 s[20:21], s[12:13]
	s_cbranch_execz .LBB269_866
.LBB269_865:                            ;   in Loop: Header=BB269_815 Depth=1
	v_bfe_u32 v2, v54, 24, 3
	v_ffbh_u32_e32 v12, v2
	v_min_u32_e32 v16, 32, v12
	v_subrev_u32_e32 v12, 28, v16
	v_bfe_u32 v7, v54, 27, 4
	v_lshlrev_b64 v[12:13], v12, v[24:25]
	v_sub_u32_e32 v13, 29, v16
	v_cmp_eq_u32_e64 s[0:1], 0, v7
	v_and_b32_e32 v12, 7, v12
	s_nop 0
	v_cndmask_b32_e64 v7, v7, v13, s[0:1]
	v_cndmask_b32_e64 v2, v2, v12, s[0:1]
	v_lshlrev_b32_e32 v12, 8, v24
	v_lshl_add_u32 v7, v7, 10, v1
	v_and_or_b32 v7, v12, s25, v7
	v_lshl_or_b32 v2, v2, 7, v7
	v_cvt_f32_f16_e32 v43, v2
.LBB269_866:                            ;   in Loop: Header=BB269_815 Depth=1
	s_or_b64 exec, exec, s[20:21]
	v_cmp_gt_i16_sdwa s[12:13], v55, s17 src0_sel:BYTE_0 src1_sel:DWORD
	s_mov_b64 s[0:1], 0
                                        ; implicit-def: $sgpr22
	s_and_saveexec_b64 s[20:21], s[12:13]
	s_xor_b64 s[12:13], exec, s[20:21]
	s_cbranch_execnz .LBB269_1272
; %bb.867:                              ;   in Loop: Header=BB269_815 Depth=1
	s_or_saveexec_b64 s[12:13], s[12:13]
	v_mov_b32_e32 v2, s22
	s_xor_b64 exec, exec, s[12:13]
	s_cbranch_execnz .LBB269_1275
.LBB269_868:                            ;   in Loop: Header=BB269_815 Depth=1
	s_or_b64 exec, exec, s[12:13]
	v_mov_b32_e32 v24, v55
	s_and_saveexec_b64 s[12:13], s[0:1]
	s_cbranch_execz .LBB269_870
.LBB269_869:                            ;   in Loop: Header=BB269_815 Depth=1
	v_and_b32_e32 v2, 7, v55
	v_ffbh_u32_e32 v2, v2
	v_bfe_u32 v7, v55, 3, 4
	v_min_u32_e32 v2, 32, v2
	v_subrev_u32_e32 v12, 28, v2
	v_sub_u32_e32 v2, 29, v2
	v_cmp_eq_u32_e64 s[0:1], 0, v7
	s_nop 1
	v_cndmask_b32_e64 v2, v7, v2, s[0:1]
	v_cndmask_b32_e64 v7, 0, v12, s[0:1]
	v_lshlrev_b64 v[12:13], v7, v[24:25]
	v_lshlrev_b32_e32 v7, 7, v12
	v_lshlrev_b32_e32 v12, 8, v55
	v_lshl_add_u32 v2, v2, 10, v1
	v_and_or_b32 v2, v12, s25, v2
	v_and_or_b32 v2, v7, s26, v2
	v_cvt_f32_f16_e32 v2, v2
.LBB269_870:                            ;   in Loop: Header=BB269_815 Depth=1
	s_or_b64 exec, exec, s[12:13]
	v_lshrrev_b16_e32 v24, 8, v24
	v_cmp_lt_i16_e64 s[0:1], s17, v24
	s_mov_b64 s[12:13], 0
                                        ; implicit-def: $sgpr30
	s_and_saveexec_b64 s[20:21], s[0:1]
	s_xor_b64 s[20:21], exec, s[20:21]
	s_cbranch_execnz .LBB269_1276
; %bb.871:                              ;   in Loop: Header=BB269_815 Depth=1
	s_or_saveexec_b64 s[20:21], s[20:21]
	v_mov_b32_e32 v7, s30
	s_xor_b64 exec, exec, s[20:21]
	s_cbranch_execnz .LBB269_1279
.LBB269_872:                            ;   in Loop: Header=BB269_815 Depth=1
	s_or_b64 exec, exec, s[20:21]
	s_and_saveexec_b64 s[20:21], s[12:13]
	s_cbranch_execz .LBB269_874
.LBB269_873:                            ;   in Loop: Header=BB269_815 Depth=1
	v_and_b32_e32 v7, 7, v24
	v_ffbh_u32_e32 v12, v7
	v_min_u32_e32 v17, 32, v12
	v_subrev_u32_e32 v12, 28, v17
	v_bfe_u32 v16, v24, 3, 4
	v_lshlrev_b64 v[12:13], v12, v[24:25]
	v_sub_u32_e32 v13, 29, v17
	v_cmp_eq_u32_e64 s[0:1], 0, v16
	v_and_b32_e32 v12, 7, v12
	s_nop 0
	v_cndmask_b32_e64 v13, v16, v13, s[0:1]
	v_cndmask_b32_e64 v7, v7, v12, s[0:1]
	v_lshlrev_b32_e32 v12, 8, v24
	v_lshl_add_u32 v13, v13, 10, v1
	v_and_or_b32 v12, v12, s25, v13
	v_lshl_or_b32 v7, v7, 7, v12
	v_cvt_f32_f16_e32 v7, v7
.LBB269_874:                            ;   in Loop: Header=BB269_815 Depth=1
	s_or_b64 exec, exec, s[20:21]
	v_lshrrev_b32_e32 v24, 16, v55
	v_cmp_gt_i16_sdwa s[12:13], v24, s17 src0_sel:BYTE_0 src1_sel:DWORD
	s_mov_b64 s[0:1], 0
                                        ; implicit-def: $sgpr22
	s_and_saveexec_b64 s[20:21], s[12:13]
	s_xor_b64 s[12:13], exec, s[20:21]
	s_cbranch_execnz .LBB269_1280
; %bb.875:                              ;   in Loop: Header=BB269_815 Depth=1
	s_or_saveexec_b64 s[12:13], s[12:13]
	v_mov_b32_e32 v12, s22
	s_xor_b64 exec, exec, s[12:13]
	s_cbranch_execnz .LBB269_1283
.LBB269_876:                            ;   in Loop: Header=BB269_815 Depth=1
	s_or_b64 exec, exec, s[12:13]
	s_and_saveexec_b64 s[12:13], s[0:1]
	s_cbranch_execz .LBB269_878
.LBB269_877:                            ;   in Loop: Header=BB269_815 Depth=1
	v_bfe_u32 v16, v55, 16, 3
	v_ffbh_u32_e32 v12, v16
	v_min_u32_e32 v19, 32, v12
	v_subrev_u32_e32 v12, 28, v19
	v_bfe_u32 v17, v55, 19, 4
	v_lshlrev_b64 v[12:13], v12, v[24:25]
	v_sub_u32_e32 v13, 29, v19
	v_cmp_eq_u32_e64 s[0:1], 0, v17
	v_and_b32_e32 v12, 7, v12
	s_nop 0
	v_cndmask_b32_e64 v13, v17, v13, s[0:1]
	v_cndmask_b32_e64 v12, v16, v12, s[0:1]
	v_lshlrev_b32_e32 v16, 8, v24
	v_lshl_add_u32 v13, v13, 10, v1
	v_and_or_b32 v13, v16, s25, v13
	v_lshl_or_b32 v12, v12, 7, v13
	v_cvt_f32_f16_e32 v12, v12
.LBB269_878:                            ;   in Loop: Header=BB269_815 Depth=1
	s_or_b64 exec, exec, s[12:13]
	v_lshrrev_b32_e32 v24, 24, v55
	v_cmp_lt_i16_e64 s[0:1], s17, v24
	s_mov_b64 s[12:13], 0
                                        ; implicit-def: $sgpr30
	s_and_saveexec_b64 s[20:21], s[0:1]
	s_xor_b64 s[20:21], exec, s[20:21]
	s_cbranch_execnz .LBB269_1284
; %bb.879:                              ;   in Loop: Header=BB269_815 Depth=1
	s_or_saveexec_b64 s[20:21], s[20:21]
	v_mov_b32_e32 v17, s30
	s_xor_b64 exec, exec, s[20:21]
	s_cbranch_execnz .LBB269_1287
.LBB269_880:                            ;   in Loop: Header=BB269_815 Depth=1
	s_or_b64 exec, exec, s[20:21]
	s_and_saveexec_b64 s[20:21], s[12:13]
	s_cbranch_execz .LBB269_882
.LBB269_881:                            ;   in Loop: Header=BB269_815 Depth=1
	v_bfe_u32 v13, v55, 24, 3
	v_ffbh_u32_e32 v16, v13
	v_min_u32_e32 v22, 32, v16
	v_subrev_u32_e32 v16, 28, v22
	v_bfe_u32 v19, v55, 27, 4
	v_lshlrev_b64 v[16:17], v16, v[24:25]
	v_sub_u32_e32 v17, 29, v22
	v_cmp_eq_u32_e64 s[0:1], 0, v19
	v_and_b32_e32 v16, 7, v16
	s_nop 0
	v_cndmask_b32_e64 v17, v19, v17, s[0:1]
	v_cndmask_b32_e64 v13, v13, v16, s[0:1]
	v_lshlrev_b32_e32 v16, 8, v24
	v_lshl_add_u32 v17, v17, 10, v1
	v_and_or_b32 v16, v16, s25, v17
	v_lshl_or_b32 v13, v13, 7, v16
	v_cvt_f32_f16_e32 v17, v13
.LBB269_882:                            ;   in Loop: Header=BB269_815 Depth=1
	s_or_b64 exec, exec, s[20:21]
	v_pk_mul_f32 v[22:23], v[52:53], v[42:43] op_sel_hi:[0,1]
	v_pk_mul_f32 v[26:27], v[52:53], v[40:41] op_sel_hi:[0,1]
	v_cvt_f16_f32_e32 v13, v23
	v_cvt_f16_f32_e32 v16, v22
	;; [unrolled: 1-line block ×4, first 2 shown]
	v_fma_mixlo_f16 v7, v52, v7, 0
	v_lshlrev_b32_e32 v7, 16, v7
	v_fma_mixlo_f16 v2, v52, v2, 0
	v_or_b32_sdwa v2, v7, v2 dst_sel:DWORD dst_unused:UNUSED_PAD src0_sel:DWORD src1_sel:WORD_0
	v_fma_mixlo_f16 v7, v52, v17, 0
	v_pack_b32_f16 v16, v16, v13
	v_pack_b32_f16 v19, v22, v19
	v_fma_mixlo_f16 v12, v52, v12, 0
	v_lshlrev_b32_e32 v7, 16, v7
	v_perm_b32 v13, v19, v16, s27
	v_perm_b32 v16, v19, v16, s28
	v_or_b32_sdwa v7, v7, v12 dst_sel:DWORD dst_unused:UNUSED_PAD src0_sel:DWORD src1_sel:WORD_0
	s_and_saveexec_b64 s[12:13], vcc
	s_cbranch_execz .LBB269_884
; %bb.883:                              ;   in Loop: Header=BB269_815 Depth=1
	v_lshrrev_b32_e32 v17, 16, v16
	v_cmp_lt_i32_e64 s[0:1], v6, v3
	v_accvgpr_read_b32 v22, a8
	v_lshrrev_b32_e32 v7, 16, v7
	v_cndmask_b32_e64 v17, 0, v17, s[0:1]
	v_cmp_lt_i32_e64 s[0:1], v61, v22
	s_nop 1
	v_cndmask_b32_e64 v16, 0, v16, s[0:1]
	v_perm_b32 v16, v17, v16, s29
	v_lshrrev_b32_e32 v17, 16, v13
	v_cmp_lt_i32_e64 s[0:1], v56, v3
	s_nop 1
	v_cndmask_b32_e64 v17, 0, v17, s[0:1]
	v_cmp_lt_i32_e64 s[0:1], v59, v22
	s_nop 1
	v_cndmask_b32_e64 v13, 0, v13, s[0:1]
	v_perm_b32 v13, v17, v13, s29
	v_lshrrev_b32_e32 v17, 16, v2
	v_cmp_lt_i32_e64 s[0:1], v58, v3
	s_nop 1
	v_cndmask_b32_e64 v17, 0, v17, s[0:1]
	v_cmp_lt_i32_e64 s[0:1], v62, v22
	s_nop 1
	v_cndmask_b32_e64 v2, 0, v2, s[0:1]
	v_cmp_lt_i32_e64 s[0:1], v57, v3
	v_perm_b32 v2, v17, v2, s29
	s_nop 0
	v_cndmask_b32_e64 v7, 0, v7, s[0:1]
	v_cmp_lt_i32_e64 s[0:1], v0, v22
	s_nop 1
	v_cndmask_b32_e64 v12, 0, v12, s[0:1]
	v_perm_b32 v7, v7, v12, s29
.LBB269_884:                            ;   in Loop: Header=BB269_815 Depth=1
	s_or_b64 exec, exec, s[12:13]
	;;#ASMSTART
	v_pk_mul_f16 v12, v18, v16;

	;;#ASMEND
	;;#ASMSTART
	v_pk_mul_f16 v13, v46, v13;

	;;#ASMEND
	;;#ASMSTART
	v_pk_mul_f16 v2, v48, v2;

	;;#ASMEND
	;;#ASMSTART
	v_pk_mul_f16 v7, v44, v7;

	;;#ASMEND
	s_mov_b64 s[0:1], 0
	;;#ASMSTART
	v_pk_add_f16 v12, v12, v13;

	;;#ASMEND
                                        ; implicit-def: $sgpr22
	s_nop 0
	;;#ASMSTART
	v_pk_add_f16 v2, v12, v2;

	;;#ASMEND
	v_accvgpr_read_b32 v13, a5
	;;#ASMSTART
	v_pk_add_f16 v2, v2, v7;

	;;#ASMEND
	v_accvgpr_read_b32 v12, a4
	v_lshrrev_b32_e32 v7, 16, v2
	v_and_b32_e32 v2, 0xffff, v2
	;;#ASMSTART
	v_cvt_f32_f16 v2, v2;
	;;#ASMEND
	;;#ASMSTART
	v_cvt_f32_f16 v33, v7;
	;;#ASMEND
	flat_load_dwordx2 v[54:55], v[50:51] offset:1024
	flat_load_dword v52, v[12:13]
	v_accvgpr_write_b32 a36, v2
	s_waitcnt vmcnt(0) lgkmcnt(0)
	v_cmp_gt_i16_sdwa s[12:13], v54, s17 src0_sel:BYTE_0 src1_sel:DWORD
	s_and_saveexec_b64 s[20:21], s[12:13]
	s_xor_b64 s[12:13], exec, s[20:21]
	s_cbranch_execnz .LBB269_1288
; %bb.885:                              ;   in Loop: Header=BB269_815 Depth=1
	s_or_saveexec_b64 s[12:13], s[12:13]
	v_mov_b32_e32 v40, s22
	s_xor_b64 exec, exec, s[12:13]
	s_cbranch_execnz .LBB269_1291
.LBB269_886:                            ;   in Loop: Header=BB269_815 Depth=1
	s_or_b64 exec, exec, s[12:13]
	s_and_saveexec_b64 s[12:13], s[0:1]
	s_cbranch_execz .LBB269_888
.LBB269_887:                            ;   in Loop: Header=BB269_815 Depth=1
	v_and_b32_e32 v2, 7, v54
	v_ffbh_u32_e32 v2, v2
	v_bfe_u32 v7, v54, 3, 4
	v_min_u32_e32 v2, 32, v2
	v_subrev_u32_e32 v12, 28, v2
	v_sub_u32_e32 v2, 29, v2
	v_cmp_eq_u32_e64 s[0:1], 0, v7
	s_nop 1
	v_cndmask_b32_e64 v2, v7, v2, s[0:1]
	v_cndmask_b32_e64 v7, 0, v12, s[0:1]
	v_lshlrev_b64 v[12:13], v7, v[54:55]
	v_lshlrev_b32_e32 v7, 7, v12
	v_lshlrev_b32_e32 v12, 8, v54
	v_lshl_add_u32 v2, v2, 10, v1
	v_and_or_b32 v2, v12, s25, v2
	v_and_or_b32 v2, v7, s26, v2
	v_cvt_f32_f16_e32 v40, v2
.LBB269_888:                            ;   in Loop: Header=BB269_815 Depth=1
	s_or_b64 exec, exec, s[12:13]
	v_lshrrev_b16_e32 v24, 8, v54
	v_cmp_lt_i16_e64 s[0:1], s17, v24
	s_mov_b64 s[12:13], 0
                                        ; implicit-def: $sgpr30
	s_and_saveexec_b64 s[20:21], s[0:1]
	s_xor_b64 s[20:21], exec, s[20:21]
	s_cbranch_execnz .LBB269_1292
; %bb.889:                              ;   in Loop: Header=BB269_815 Depth=1
	s_or_saveexec_b64 s[20:21], s[20:21]
	v_mov_b32_e32 v42, s30
	s_xor_b64 exec, exec, s[20:21]
	s_cbranch_execnz .LBB269_1295
.LBB269_890:                            ;   in Loop: Header=BB269_815 Depth=1
	s_or_b64 exec, exec, s[20:21]
	s_and_saveexec_b64 s[20:21], s[12:13]
	s_cbranch_execz .LBB269_892
.LBB269_891:                            ;   in Loop: Header=BB269_815 Depth=1
	v_and_b32_e32 v2, 7, v24
	v_ffbh_u32_e32 v12, v2
	v_min_u32_e32 v16, 32, v12
	v_subrev_u32_e32 v12, 28, v16
	v_bfe_u32 v7, v24, 3, 4
	v_lshlrev_b64 v[12:13], v12, v[24:25]
	v_sub_u32_e32 v13, 29, v16
	v_cmp_eq_u32_e64 s[0:1], 0, v7
	v_and_b32_e32 v12, 7, v12
	s_nop 0
	v_cndmask_b32_e64 v7, v7, v13, s[0:1]
	v_cndmask_b32_e64 v2, v2, v12, s[0:1]
	v_lshlrev_b32_e32 v12, 8, v24
	v_lshl_add_u32 v7, v7, 10, v1
	v_and_or_b32 v7, v12, s25, v7
	v_lshl_or_b32 v2, v2, 7, v7
	v_cvt_f32_f16_e32 v42, v2
.LBB269_892:                            ;   in Loop: Header=BB269_815 Depth=1
	s_or_b64 exec, exec, s[20:21]
	v_lshrrev_b32_e32 v24, 16, v54
	v_cmp_gt_i16_sdwa s[12:13], v24, s17 src0_sel:BYTE_0 src1_sel:DWORD
	s_mov_b64 s[0:1], 0
                                        ; implicit-def: $sgpr22
	s_and_saveexec_b64 s[20:21], s[12:13]
	s_xor_b64 s[12:13], exec, s[20:21]
	s_cbranch_execnz .LBB269_1296
; %bb.893:                              ;   in Loop: Header=BB269_815 Depth=1
	s_or_saveexec_b64 s[12:13], s[12:13]
	v_mov_b32_e32 v41, s22
	s_xor_b64 exec, exec, s[12:13]
	s_cbranch_execnz .LBB269_1299
.LBB269_894:                            ;   in Loop: Header=BB269_815 Depth=1
	s_or_b64 exec, exec, s[12:13]
	s_and_saveexec_b64 s[12:13], s[0:1]
	s_cbranch_execz .LBB269_896
.LBB269_895:                            ;   in Loop: Header=BB269_815 Depth=1
	v_bfe_u32 v2, v54, 16, 3
	v_ffbh_u32_e32 v12, v2
	v_min_u32_e32 v16, 32, v12
	v_subrev_u32_e32 v12, 28, v16
	v_bfe_u32 v7, v54, 19, 4
	v_lshlrev_b64 v[12:13], v12, v[24:25]
	v_sub_u32_e32 v13, 29, v16
	v_cmp_eq_u32_e64 s[0:1], 0, v7
	v_and_b32_e32 v12, 7, v12
	s_nop 0
	v_cndmask_b32_e64 v7, v7, v13, s[0:1]
	v_cndmask_b32_e64 v2, v2, v12, s[0:1]
	v_lshlrev_b32_e32 v12, 8, v24
	v_lshl_add_u32 v7, v7, 10, v1
	v_and_or_b32 v7, v12, s25, v7
	v_lshl_or_b32 v2, v2, 7, v7
	v_cvt_f32_f16_e32 v41, v2
.LBB269_896:                            ;   in Loop: Header=BB269_815 Depth=1
	s_or_b64 exec, exec, s[12:13]
	v_lshrrev_b32_e32 v24, 24, v54
	v_cmp_lt_i16_e64 s[0:1], s17, v24
	s_mov_b64 s[12:13], 0
                                        ; implicit-def: $sgpr30
	s_and_saveexec_b64 s[20:21], s[0:1]
	s_xor_b64 s[20:21], exec, s[20:21]
	s_cbranch_execnz .LBB269_1300
; %bb.897:                              ;   in Loop: Header=BB269_815 Depth=1
	s_or_saveexec_b64 s[20:21], s[20:21]
	v_mov_b32_e32 v43, s30
	s_xor_b64 exec, exec, s[20:21]
	s_cbranch_execnz .LBB269_1303
.LBB269_898:                            ;   in Loop: Header=BB269_815 Depth=1
	s_or_b64 exec, exec, s[20:21]
	s_and_saveexec_b64 s[20:21], s[12:13]
	s_cbranch_execz .LBB269_900
.LBB269_899:                            ;   in Loop: Header=BB269_815 Depth=1
	v_bfe_u32 v2, v54, 24, 3
	v_ffbh_u32_e32 v12, v2
	v_min_u32_e32 v16, 32, v12
	v_subrev_u32_e32 v12, 28, v16
	v_bfe_u32 v7, v54, 27, 4
	v_lshlrev_b64 v[12:13], v12, v[24:25]
	v_sub_u32_e32 v13, 29, v16
	v_cmp_eq_u32_e64 s[0:1], 0, v7
	v_and_b32_e32 v12, 7, v12
	s_nop 0
	v_cndmask_b32_e64 v7, v7, v13, s[0:1]
	v_cndmask_b32_e64 v2, v2, v12, s[0:1]
	v_lshlrev_b32_e32 v12, 8, v24
	v_lshl_add_u32 v7, v7, 10, v1
	v_and_or_b32 v7, v12, s25, v7
	v_lshl_or_b32 v2, v2, 7, v7
	v_cvt_f32_f16_e32 v43, v2
.LBB269_900:                            ;   in Loop: Header=BB269_815 Depth=1
	s_or_b64 exec, exec, s[20:21]
	v_cmp_gt_i16_sdwa s[12:13], v55, s17 src0_sel:BYTE_0 src1_sel:DWORD
	s_mov_b64 s[0:1], 0
                                        ; implicit-def: $sgpr22
	s_and_saveexec_b64 s[20:21], s[12:13]
	s_xor_b64 s[12:13], exec, s[20:21]
	s_cbranch_execnz .LBB269_1304
; %bb.901:                              ;   in Loop: Header=BB269_815 Depth=1
	s_or_saveexec_b64 s[12:13], s[12:13]
	v_mov_b32_e32 v2, s22
	s_xor_b64 exec, exec, s[12:13]
	s_cbranch_execnz .LBB269_1307
.LBB269_902:                            ;   in Loop: Header=BB269_815 Depth=1
	s_or_b64 exec, exec, s[12:13]
	v_mov_b32_e32 v24, v55
	s_and_saveexec_b64 s[12:13], s[0:1]
	s_cbranch_execz .LBB269_904
.LBB269_903:                            ;   in Loop: Header=BB269_815 Depth=1
	v_and_b32_e32 v2, 7, v55
	v_ffbh_u32_e32 v2, v2
	v_bfe_u32 v7, v55, 3, 4
	v_min_u32_e32 v2, 32, v2
	v_subrev_u32_e32 v12, 28, v2
	v_sub_u32_e32 v2, 29, v2
	v_cmp_eq_u32_e64 s[0:1], 0, v7
	s_nop 1
	v_cndmask_b32_e64 v2, v7, v2, s[0:1]
	v_cndmask_b32_e64 v7, 0, v12, s[0:1]
	v_lshlrev_b64 v[12:13], v7, v[24:25]
	v_lshlrev_b32_e32 v7, 7, v12
	v_lshlrev_b32_e32 v12, 8, v55
	v_lshl_add_u32 v2, v2, 10, v1
	v_and_or_b32 v2, v12, s25, v2
	v_and_or_b32 v2, v7, s26, v2
	v_cvt_f32_f16_e32 v2, v2
.LBB269_904:                            ;   in Loop: Header=BB269_815 Depth=1
	s_or_b64 exec, exec, s[12:13]
	v_lshrrev_b16_e32 v24, 8, v24
	v_cmp_lt_i16_e64 s[0:1], s17, v24
	s_mov_b64 s[12:13], 0
                                        ; implicit-def: $sgpr30
	s_and_saveexec_b64 s[20:21], s[0:1]
	s_xor_b64 s[20:21], exec, s[20:21]
	s_cbranch_execnz .LBB269_1308
; %bb.905:                              ;   in Loop: Header=BB269_815 Depth=1
	s_or_saveexec_b64 s[20:21], s[20:21]
	v_mov_b32_e32 v7, s30
	s_xor_b64 exec, exec, s[20:21]
	s_cbranch_execnz .LBB269_1311
.LBB269_906:                            ;   in Loop: Header=BB269_815 Depth=1
	s_or_b64 exec, exec, s[20:21]
	s_and_saveexec_b64 s[20:21], s[12:13]
	s_cbranch_execz .LBB269_908
.LBB269_907:                            ;   in Loop: Header=BB269_815 Depth=1
	v_and_b32_e32 v7, 7, v24
	v_ffbh_u32_e32 v12, v7
	v_min_u32_e32 v17, 32, v12
	v_subrev_u32_e32 v12, 28, v17
	v_bfe_u32 v16, v24, 3, 4
	v_lshlrev_b64 v[12:13], v12, v[24:25]
	v_sub_u32_e32 v13, 29, v17
	v_cmp_eq_u32_e64 s[0:1], 0, v16
	v_and_b32_e32 v12, 7, v12
	s_nop 0
	v_cndmask_b32_e64 v13, v16, v13, s[0:1]
	v_cndmask_b32_e64 v7, v7, v12, s[0:1]
	v_lshlrev_b32_e32 v12, 8, v24
	v_lshl_add_u32 v13, v13, 10, v1
	v_and_or_b32 v12, v12, s25, v13
	v_lshl_or_b32 v7, v7, 7, v12
	v_cvt_f32_f16_e32 v7, v7
.LBB269_908:                            ;   in Loop: Header=BB269_815 Depth=1
	s_or_b64 exec, exec, s[20:21]
	v_lshrrev_b32_e32 v24, 16, v55
	v_cmp_gt_i16_sdwa s[12:13], v24, s17 src0_sel:BYTE_0 src1_sel:DWORD
	s_mov_b64 s[0:1], 0
                                        ; implicit-def: $sgpr22
	s_and_saveexec_b64 s[20:21], s[12:13]
	s_xor_b64 s[12:13], exec, s[20:21]
	s_cbranch_execnz .LBB269_1312
; %bb.909:                              ;   in Loop: Header=BB269_815 Depth=1
	s_or_saveexec_b64 s[12:13], s[12:13]
	v_mov_b32_e32 v12, s22
	s_xor_b64 exec, exec, s[12:13]
	s_cbranch_execnz .LBB269_1315
.LBB269_910:                            ;   in Loop: Header=BB269_815 Depth=1
	s_or_b64 exec, exec, s[12:13]
	s_and_saveexec_b64 s[12:13], s[0:1]
	s_cbranch_execz .LBB269_912
.LBB269_911:                            ;   in Loop: Header=BB269_815 Depth=1
	v_bfe_u32 v16, v55, 16, 3
	v_ffbh_u32_e32 v12, v16
	v_min_u32_e32 v19, 32, v12
	v_subrev_u32_e32 v12, 28, v19
	v_bfe_u32 v17, v55, 19, 4
	v_lshlrev_b64 v[12:13], v12, v[24:25]
	v_sub_u32_e32 v13, 29, v19
	v_cmp_eq_u32_e64 s[0:1], 0, v17
	v_and_b32_e32 v12, 7, v12
	s_nop 0
	v_cndmask_b32_e64 v13, v17, v13, s[0:1]
	v_cndmask_b32_e64 v12, v16, v12, s[0:1]
	v_lshlrev_b32_e32 v16, 8, v24
	v_lshl_add_u32 v13, v13, 10, v1
	v_and_or_b32 v13, v16, s25, v13
	v_lshl_or_b32 v12, v12, 7, v13
	v_cvt_f32_f16_e32 v12, v12
.LBB269_912:                            ;   in Loop: Header=BB269_815 Depth=1
	s_or_b64 exec, exec, s[12:13]
	v_lshrrev_b32_e32 v24, 24, v55
	v_cmp_lt_i16_e64 s[0:1], s17, v24
	s_mov_b64 s[12:13], 0
                                        ; implicit-def: $sgpr30
	s_and_saveexec_b64 s[20:21], s[0:1]
	s_xor_b64 s[20:21], exec, s[20:21]
	s_cbranch_execnz .LBB269_1316
; %bb.913:                              ;   in Loop: Header=BB269_815 Depth=1
	s_or_saveexec_b64 s[20:21], s[20:21]
	v_mov_b32_e32 v17, s30
	s_xor_b64 exec, exec, s[20:21]
	s_cbranch_execnz .LBB269_1319
.LBB269_914:                            ;   in Loop: Header=BB269_815 Depth=1
	s_or_b64 exec, exec, s[20:21]
	s_and_saveexec_b64 s[20:21], s[12:13]
	s_cbranch_execz .LBB269_916
.LBB269_915:                            ;   in Loop: Header=BB269_815 Depth=1
	v_bfe_u32 v13, v55, 24, 3
	v_ffbh_u32_e32 v16, v13
	v_min_u32_e32 v22, 32, v16
	v_subrev_u32_e32 v16, 28, v22
	v_bfe_u32 v19, v55, 27, 4
	v_lshlrev_b64 v[16:17], v16, v[24:25]
	v_sub_u32_e32 v17, 29, v22
	v_cmp_eq_u32_e64 s[0:1], 0, v19
	v_and_b32_e32 v16, 7, v16
	s_nop 0
	v_cndmask_b32_e64 v17, v19, v17, s[0:1]
	v_cndmask_b32_e64 v13, v13, v16, s[0:1]
	v_lshlrev_b32_e32 v16, 8, v24
	v_lshl_add_u32 v17, v17, 10, v1
	v_and_or_b32 v16, v16, s25, v17
	v_lshl_or_b32 v13, v13, 7, v16
	v_cvt_f32_f16_e32 v17, v13
.LBB269_916:                            ;   in Loop: Header=BB269_815 Depth=1
	s_or_b64 exec, exec, s[20:21]
	v_pk_mul_f32 v[22:23], v[52:53], v[42:43] op_sel_hi:[0,1]
	v_pk_mul_f32 v[36:37], v[52:53], v[40:41] op_sel_hi:[0,1]
	v_cvt_f16_f32_e32 v13, v23
	v_cvt_f16_f32_e32 v16, v22
	;; [unrolled: 1-line block ×4, first 2 shown]
	v_fma_mixlo_f16 v7, v52, v7, 0
	v_lshlrev_b32_e32 v7, 16, v7
	v_fma_mixlo_f16 v2, v52, v2, 0
	v_or_b32_sdwa v2, v7, v2 dst_sel:DWORD dst_unused:UNUSED_PAD src0_sel:DWORD src1_sel:WORD_0
	v_fma_mixlo_f16 v7, v52, v17, 0
	v_pack_b32_f16 v16, v16, v13
	v_pack_b32_f16 v19, v22, v19
	v_fma_mixlo_f16 v12, v52, v12, 0
	v_lshlrev_b32_e32 v7, 16, v7
	v_perm_b32 v13, v19, v16, s27
	v_perm_b32 v16, v19, v16, s28
	v_or_b32_sdwa v7, v7, v12 dst_sel:DWORD dst_unused:UNUSED_PAD src0_sel:DWORD src1_sel:WORD_0
	s_and_saveexec_b64 s[12:13], vcc
	s_cbranch_execz .LBB269_918
; %bb.917:                              ;   in Loop: Header=BB269_815 Depth=1
	v_lshrrev_b32_e32 v17, 16, v16
	v_cmp_lt_i32_e64 s[0:1], v6, v3
	v_accvgpr_read_b32 v22, a8
	v_lshrrev_b32_e32 v7, 16, v7
	v_cndmask_b32_e64 v17, 0, v17, s[0:1]
	v_cmp_lt_i32_e64 s[0:1], v61, v22
	s_nop 1
	v_cndmask_b32_e64 v16, 0, v16, s[0:1]
	v_perm_b32 v16, v17, v16, s29
	v_lshrrev_b32_e32 v17, 16, v13
	v_cmp_lt_i32_e64 s[0:1], v56, v3
	s_nop 1
	v_cndmask_b32_e64 v17, 0, v17, s[0:1]
	v_cmp_lt_i32_e64 s[0:1], v59, v22
	s_nop 1
	v_cndmask_b32_e64 v13, 0, v13, s[0:1]
	v_perm_b32 v13, v17, v13, s29
	v_lshrrev_b32_e32 v17, 16, v2
	v_cmp_lt_i32_e64 s[0:1], v58, v3
	s_nop 1
	v_cndmask_b32_e64 v17, 0, v17, s[0:1]
	v_cmp_lt_i32_e64 s[0:1], v62, v22
	s_nop 1
	v_cndmask_b32_e64 v2, 0, v2, s[0:1]
	v_cmp_lt_i32_e64 s[0:1], v57, v3
	v_perm_b32 v2, v17, v2, s29
	s_nop 0
	v_cndmask_b32_e64 v7, 0, v7, s[0:1]
	v_cmp_lt_i32_e64 s[0:1], v0, v22
	s_nop 1
	v_cndmask_b32_e64 v12, 0, v12, s[0:1]
	v_perm_b32 v7, v7, v12, s29
.LBB269_918:                            ;   in Loop: Header=BB269_815 Depth=1
	s_or_b64 exec, exec, s[12:13]
	;;#ASMSTART
	v_pk_mul_f16 v12, v18, v16;

	;;#ASMEND
	;;#ASMSTART
	v_pk_mul_f16 v13, v46, v13;

	;;#ASMEND
	;; [unrolled: 4-line block ×4, first 2 shown]
	s_mov_b64 s[0:1], 0
	;;#ASMSTART
	v_pk_add_f16 v12, v12, v13;

	;;#ASMEND
                                        ; implicit-def: $sgpr22
	s_nop 0
	;;#ASMSTART
	v_pk_add_f16 v2, v12, v2;

	;;#ASMEND
	v_accvgpr_read_b32 v13, a5
	;;#ASMSTART
	v_pk_add_f16 v2, v2, v7;

	;;#ASMEND
	v_accvgpr_read_b32 v12, a4
	v_lshrrev_b32_e32 v7, 16, v2
	v_and_b32_e32 v2, 0xffff, v2
	;;#ASMSTART
	v_cvt_f32_f16 v2, v2;
	;;#ASMEND
	;;#ASMSTART
	v_cvt_f32_f16 v36, v7;
	;;#ASMEND
	flat_load_dwordx2 v[54:55], v[50:51] offset:1536
	flat_load_dword v52, v[12:13]
	v_accvgpr_write_b32 a37, v2
	s_waitcnt vmcnt(0) lgkmcnt(0)
	v_cmp_gt_i16_sdwa s[12:13], v54, s17 src0_sel:BYTE_0 src1_sel:DWORD
	s_and_saveexec_b64 s[20:21], s[12:13]
	s_xor_b64 s[12:13], exec, s[20:21]
	s_cbranch_execnz .LBB269_1320
; %bb.919:                              ;   in Loop: Header=BB269_815 Depth=1
	s_or_saveexec_b64 s[12:13], s[12:13]
	v_mov_b32_e32 v40, s22
	s_xor_b64 exec, exec, s[12:13]
	s_cbranch_execnz .LBB269_1323
.LBB269_920:                            ;   in Loop: Header=BB269_815 Depth=1
	s_or_b64 exec, exec, s[12:13]
	s_and_saveexec_b64 s[12:13], s[0:1]
	s_cbranch_execz .LBB269_922
.LBB269_921:                            ;   in Loop: Header=BB269_815 Depth=1
	v_and_b32_e32 v2, 7, v54
	v_ffbh_u32_e32 v2, v2
	v_bfe_u32 v7, v54, 3, 4
	v_min_u32_e32 v2, 32, v2
	v_subrev_u32_e32 v12, 28, v2
	v_sub_u32_e32 v2, 29, v2
	v_cmp_eq_u32_e64 s[0:1], 0, v7
	s_nop 1
	v_cndmask_b32_e64 v2, v7, v2, s[0:1]
	v_cndmask_b32_e64 v7, 0, v12, s[0:1]
	v_lshlrev_b64 v[12:13], v7, v[54:55]
	v_lshlrev_b32_e32 v7, 7, v12
	v_lshlrev_b32_e32 v12, 8, v54
	v_lshl_add_u32 v2, v2, 10, v1
	v_and_or_b32 v2, v12, s25, v2
	v_and_or_b32 v2, v7, s26, v2
	v_cvt_f32_f16_e32 v40, v2
.LBB269_922:                            ;   in Loop: Header=BB269_815 Depth=1
	s_or_b64 exec, exec, s[12:13]
	v_lshrrev_b16_e32 v24, 8, v54
	v_cmp_lt_i16_e64 s[0:1], s17, v24
	s_mov_b64 s[12:13], 0
                                        ; implicit-def: $sgpr30
	s_and_saveexec_b64 s[20:21], s[0:1]
	s_xor_b64 s[20:21], exec, s[20:21]
	s_cbranch_execnz .LBB269_1324
; %bb.923:                              ;   in Loop: Header=BB269_815 Depth=1
	s_or_saveexec_b64 s[20:21], s[20:21]
	v_mov_b32_e32 v42, s30
	s_xor_b64 exec, exec, s[20:21]
	s_cbranch_execnz .LBB269_1327
.LBB269_924:                            ;   in Loop: Header=BB269_815 Depth=1
	s_or_b64 exec, exec, s[20:21]
	s_and_saveexec_b64 s[20:21], s[12:13]
	s_cbranch_execz .LBB269_926
.LBB269_925:                            ;   in Loop: Header=BB269_815 Depth=1
	v_and_b32_e32 v2, 7, v24
	v_ffbh_u32_e32 v12, v2
	v_min_u32_e32 v16, 32, v12
	v_subrev_u32_e32 v12, 28, v16
	v_bfe_u32 v7, v24, 3, 4
	v_lshlrev_b64 v[12:13], v12, v[24:25]
	v_sub_u32_e32 v13, 29, v16
	v_cmp_eq_u32_e64 s[0:1], 0, v7
	v_and_b32_e32 v12, 7, v12
	s_nop 0
	v_cndmask_b32_e64 v7, v7, v13, s[0:1]
	v_cndmask_b32_e64 v2, v2, v12, s[0:1]
	v_lshlrev_b32_e32 v12, 8, v24
	v_lshl_add_u32 v7, v7, 10, v1
	v_and_or_b32 v7, v12, s25, v7
	v_lshl_or_b32 v2, v2, 7, v7
	v_cvt_f32_f16_e32 v42, v2
.LBB269_926:                            ;   in Loop: Header=BB269_815 Depth=1
	s_or_b64 exec, exec, s[20:21]
	v_lshrrev_b32_e32 v24, 16, v54
	v_cmp_gt_i16_sdwa s[12:13], v24, s17 src0_sel:BYTE_0 src1_sel:DWORD
	s_mov_b64 s[0:1], 0
                                        ; implicit-def: $sgpr22
	s_and_saveexec_b64 s[20:21], s[12:13]
	s_xor_b64 s[12:13], exec, s[20:21]
	s_cbranch_execnz .LBB269_1328
; %bb.927:                              ;   in Loop: Header=BB269_815 Depth=1
	s_or_saveexec_b64 s[12:13], s[12:13]
	v_mov_b32_e32 v41, s22
	s_xor_b64 exec, exec, s[12:13]
	s_cbranch_execnz .LBB269_1331
.LBB269_928:                            ;   in Loop: Header=BB269_815 Depth=1
	s_or_b64 exec, exec, s[12:13]
	s_and_saveexec_b64 s[12:13], s[0:1]
	s_cbranch_execz .LBB269_930
.LBB269_929:                            ;   in Loop: Header=BB269_815 Depth=1
	v_bfe_u32 v2, v54, 16, 3
	v_ffbh_u32_e32 v12, v2
	v_min_u32_e32 v16, 32, v12
	v_subrev_u32_e32 v12, 28, v16
	v_bfe_u32 v7, v54, 19, 4
	v_lshlrev_b64 v[12:13], v12, v[24:25]
	v_sub_u32_e32 v13, 29, v16
	v_cmp_eq_u32_e64 s[0:1], 0, v7
	v_and_b32_e32 v12, 7, v12
	s_nop 0
	v_cndmask_b32_e64 v7, v7, v13, s[0:1]
	v_cndmask_b32_e64 v2, v2, v12, s[0:1]
	v_lshlrev_b32_e32 v12, 8, v24
	v_lshl_add_u32 v7, v7, 10, v1
	v_and_or_b32 v7, v12, s25, v7
	v_lshl_or_b32 v2, v2, 7, v7
	v_cvt_f32_f16_e32 v41, v2
.LBB269_930:                            ;   in Loop: Header=BB269_815 Depth=1
	s_or_b64 exec, exec, s[12:13]
	v_lshrrev_b32_e32 v24, 24, v54
	v_cmp_lt_i16_e64 s[0:1], s17, v24
	s_mov_b64 s[12:13], 0
                                        ; implicit-def: $sgpr30
	s_and_saveexec_b64 s[20:21], s[0:1]
	s_xor_b64 s[20:21], exec, s[20:21]
	s_cbranch_execnz .LBB269_1332
; %bb.931:                              ;   in Loop: Header=BB269_815 Depth=1
	s_or_saveexec_b64 s[20:21], s[20:21]
	v_mov_b32_e32 v43, s30
	s_xor_b64 exec, exec, s[20:21]
	s_cbranch_execnz .LBB269_1335
.LBB269_932:                            ;   in Loop: Header=BB269_815 Depth=1
	s_or_b64 exec, exec, s[20:21]
	s_and_saveexec_b64 s[20:21], s[12:13]
	s_cbranch_execz .LBB269_934
.LBB269_933:                            ;   in Loop: Header=BB269_815 Depth=1
	v_bfe_u32 v2, v54, 24, 3
	v_ffbh_u32_e32 v12, v2
	v_min_u32_e32 v16, 32, v12
	v_subrev_u32_e32 v12, 28, v16
	v_bfe_u32 v7, v54, 27, 4
	v_lshlrev_b64 v[12:13], v12, v[24:25]
	v_sub_u32_e32 v13, 29, v16
	v_cmp_eq_u32_e64 s[0:1], 0, v7
	v_and_b32_e32 v12, 7, v12
	s_nop 0
	v_cndmask_b32_e64 v7, v7, v13, s[0:1]
	v_cndmask_b32_e64 v2, v2, v12, s[0:1]
	v_lshlrev_b32_e32 v12, 8, v24
	v_lshl_add_u32 v7, v7, 10, v1
	v_and_or_b32 v7, v12, s25, v7
	v_lshl_or_b32 v2, v2, 7, v7
	v_cvt_f32_f16_e32 v43, v2
.LBB269_934:                            ;   in Loop: Header=BB269_815 Depth=1
	s_or_b64 exec, exec, s[20:21]
	v_cmp_gt_i16_sdwa s[12:13], v55, s17 src0_sel:BYTE_0 src1_sel:DWORD
	s_mov_b64 s[0:1], 0
                                        ; implicit-def: $sgpr22
	s_and_saveexec_b64 s[20:21], s[12:13]
	s_xor_b64 s[12:13], exec, s[20:21]
	s_cbranch_execnz .LBB269_1336
; %bb.935:                              ;   in Loop: Header=BB269_815 Depth=1
	s_or_saveexec_b64 s[12:13], s[12:13]
	v_mov_b32_e32 v2, s22
	s_xor_b64 exec, exec, s[12:13]
	s_cbranch_execnz .LBB269_1339
.LBB269_936:                            ;   in Loop: Header=BB269_815 Depth=1
	s_or_b64 exec, exec, s[12:13]
	v_mov_b32_e32 v24, v55
	s_and_saveexec_b64 s[12:13], s[0:1]
	s_cbranch_execz .LBB269_938
.LBB269_937:                            ;   in Loop: Header=BB269_815 Depth=1
	v_and_b32_e32 v2, 7, v55
	v_ffbh_u32_e32 v2, v2
	v_bfe_u32 v7, v55, 3, 4
	v_min_u32_e32 v2, 32, v2
	v_subrev_u32_e32 v12, 28, v2
	v_sub_u32_e32 v2, 29, v2
	v_cmp_eq_u32_e64 s[0:1], 0, v7
	s_nop 1
	v_cndmask_b32_e64 v2, v7, v2, s[0:1]
	v_cndmask_b32_e64 v7, 0, v12, s[0:1]
	v_lshlrev_b64 v[12:13], v7, v[24:25]
	v_lshlrev_b32_e32 v7, 7, v12
	v_lshlrev_b32_e32 v12, 8, v55
	v_lshl_add_u32 v2, v2, 10, v1
	v_and_or_b32 v2, v12, s25, v2
	v_and_or_b32 v2, v7, s26, v2
	v_cvt_f32_f16_e32 v2, v2
.LBB269_938:                            ;   in Loop: Header=BB269_815 Depth=1
	s_or_b64 exec, exec, s[12:13]
	v_lshrrev_b16_e32 v24, 8, v24
	v_cmp_lt_i16_e64 s[0:1], s17, v24
	s_mov_b64 s[12:13], 0
                                        ; implicit-def: $sgpr30
	s_and_saveexec_b64 s[20:21], s[0:1]
	s_xor_b64 s[20:21], exec, s[20:21]
	s_cbranch_execnz .LBB269_1340
; %bb.939:                              ;   in Loop: Header=BB269_815 Depth=1
	s_or_saveexec_b64 s[20:21], s[20:21]
	v_mov_b32_e32 v7, s30
	s_xor_b64 exec, exec, s[20:21]
	s_cbranch_execnz .LBB269_1343
.LBB269_940:                            ;   in Loop: Header=BB269_815 Depth=1
	s_or_b64 exec, exec, s[20:21]
	s_and_saveexec_b64 s[20:21], s[12:13]
	s_cbranch_execz .LBB269_942
.LBB269_941:                            ;   in Loop: Header=BB269_815 Depth=1
	v_and_b32_e32 v7, 7, v24
	v_ffbh_u32_e32 v12, v7
	v_min_u32_e32 v17, 32, v12
	v_subrev_u32_e32 v12, 28, v17
	v_bfe_u32 v16, v24, 3, 4
	v_lshlrev_b64 v[12:13], v12, v[24:25]
	v_sub_u32_e32 v13, 29, v17
	v_cmp_eq_u32_e64 s[0:1], 0, v16
	v_and_b32_e32 v12, 7, v12
	s_nop 0
	v_cndmask_b32_e64 v13, v16, v13, s[0:1]
	v_cndmask_b32_e64 v7, v7, v12, s[0:1]
	v_lshlrev_b32_e32 v12, 8, v24
	v_lshl_add_u32 v13, v13, 10, v1
	v_and_or_b32 v12, v12, s25, v13
	v_lshl_or_b32 v7, v7, 7, v12
	v_cvt_f32_f16_e32 v7, v7
.LBB269_942:                            ;   in Loop: Header=BB269_815 Depth=1
	s_or_b64 exec, exec, s[20:21]
	v_lshrrev_b32_e32 v24, 16, v55
	v_cmp_gt_i16_sdwa s[12:13], v24, s17 src0_sel:BYTE_0 src1_sel:DWORD
	s_mov_b64 s[0:1], 0
                                        ; implicit-def: $sgpr22
	s_and_saveexec_b64 s[20:21], s[12:13]
	s_xor_b64 s[12:13], exec, s[20:21]
	s_cbranch_execnz .LBB269_1344
; %bb.943:                              ;   in Loop: Header=BB269_815 Depth=1
	s_or_saveexec_b64 s[12:13], s[12:13]
	v_mov_b32_e32 v12, s22
	s_xor_b64 exec, exec, s[12:13]
	s_cbranch_execnz .LBB269_1347
.LBB269_944:                            ;   in Loop: Header=BB269_815 Depth=1
	s_or_b64 exec, exec, s[12:13]
	s_and_saveexec_b64 s[12:13], s[0:1]
	s_cbranch_execz .LBB269_946
.LBB269_945:                            ;   in Loop: Header=BB269_815 Depth=1
	v_bfe_u32 v16, v55, 16, 3
	v_ffbh_u32_e32 v12, v16
	v_min_u32_e32 v19, 32, v12
	v_subrev_u32_e32 v12, 28, v19
	v_bfe_u32 v17, v55, 19, 4
	v_lshlrev_b64 v[12:13], v12, v[24:25]
	v_sub_u32_e32 v13, 29, v19
	v_cmp_eq_u32_e64 s[0:1], 0, v17
	v_and_b32_e32 v12, 7, v12
	s_nop 0
	v_cndmask_b32_e64 v13, v17, v13, s[0:1]
	v_cndmask_b32_e64 v12, v16, v12, s[0:1]
	v_lshlrev_b32_e32 v16, 8, v24
	v_lshl_add_u32 v13, v13, 10, v1
	v_and_or_b32 v13, v16, s25, v13
	v_lshl_or_b32 v12, v12, 7, v13
	v_cvt_f32_f16_e32 v12, v12
.LBB269_946:                            ;   in Loop: Header=BB269_815 Depth=1
	s_or_b64 exec, exec, s[12:13]
	v_lshrrev_b32_e32 v24, 24, v55
	v_cmp_lt_i16_e64 s[0:1], s17, v24
	s_mov_b64 s[12:13], 0
                                        ; implicit-def: $sgpr30
	s_and_saveexec_b64 s[20:21], s[0:1]
	s_xor_b64 s[20:21], exec, s[20:21]
	s_cbranch_execnz .LBB269_1348
; %bb.947:                              ;   in Loop: Header=BB269_815 Depth=1
	s_or_saveexec_b64 s[20:21], s[20:21]
	v_mov_b32_e32 v17, s30
	s_xor_b64 exec, exec, s[20:21]
	s_cbranch_execnz .LBB269_1351
.LBB269_948:                            ;   in Loop: Header=BB269_815 Depth=1
	s_or_b64 exec, exec, s[20:21]
	s_and_saveexec_b64 s[20:21], s[12:13]
	s_cbranch_execz .LBB269_950
.LBB269_949:                            ;   in Loop: Header=BB269_815 Depth=1
	v_bfe_u32 v13, v55, 24, 3
	v_ffbh_u32_e32 v16, v13
	v_min_u32_e32 v22, 32, v16
	v_subrev_u32_e32 v16, 28, v22
	v_bfe_u32 v19, v55, 27, 4
	v_lshlrev_b64 v[16:17], v16, v[24:25]
	v_sub_u32_e32 v17, 29, v22
	v_cmp_eq_u32_e64 s[0:1], 0, v19
	v_and_b32_e32 v16, 7, v16
	s_nop 0
	v_cndmask_b32_e64 v17, v19, v17, s[0:1]
	v_cndmask_b32_e64 v13, v13, v16, s[0:1]
	v_lshlrev_b32_e32 v16, 8, v24
	v_lshl_add_u32 v17, v17, 10, v1
	v_and_or_b32 v16, v16, s25, v17
	v_lshl_or_b32 v13, v13, 7, v16
	v_cvt_f32_f16_e32 v17, v13
.LBB269_950:                            ;   in Loop: Header=BB269_815 Depth=1
	s_or_b64 exec, exec, s[20:21]
	v_pk_mul_f32 v[22:23], v[52:53], v[42:43] op_sel_hi:[0,1]
	v_pk_mul_f32 v[38:39], v[52:53], v[40:41] op_sel_hi:[0,1]
	v_cvt_f16_f32_e32 v13, v23
	v_cvt_f16_f32_e32 v16, v22
	;; [unrolled: 1-line block ×4, first 2 shown]
	v_fma_mixlo_f16 v7, v52, v7, 0
	v_lshlrev_b32_e32 v7, 16, v7
	v_fma_mixlo_f16 v2, v52, v2, 0
	v_or_b32_sdwa v2, v7, v2 dst_sel:DWORD dst_unused:UNUSED_PAD src0_sel:DWORD src1_sel:WORD_0
	v_fma_mixlo_f16 v7, v52, v17, 0
	v_pack_b32_f16 v16, v16, v13
	v_pack_b32_f16 v19, v22, v19
	v_fma_mixlo_f16 v12, v52, v12, 0
	v_lshlrev_b32_e32 v7, 16, v7
	v_perm_b32 v13, v19, v16, s27
	v_perm_b32 v16, v19, v16, s28
	v_or_b32_sdwa v7, v7, v12 dst_sel:DWORD dst_unused:UNUSED_PAD src0_sel:DWORD src1_sel:WORD_0
	s_and_saveexec_b64 s[12:13], vcc
	s_cbranch_execz .LBB269_952
; %bb.951:                              ;   in Loop: Header=BB269_815 Depth=1
	v_lshrrev_b32_e32 v17, 16, v16
	v_cmp_lt_i32_e64 s[0:1], v6, v3
	v_accvgpr_read_b32 v22, a8
	v_lshrrev_b32_e32 v7, 16, v7
	v_cndmask_b32_e64 v17, 0, v17, s[0:1]
	v_cmp_lt_i32_e64 s[0:1], v61, v22
	s_nop 1
	v_cndmask_b32_e64 v16, 0, v16, s[0:1]
	v_perm_b32 v16, v17, v16, s29
	v_lshrrev_b32_e32 v17, 16, v13
	v_cmp_lt_i32_e64 s[0:1], v56, v3
	s_nop 1
	v_cndmask_b32_e64 v17, 0, v17, s[0:1]
	v_cmp_lt_i32_e64 s[0:1], v59, v22
	s_nop 1
	v_cndmask_b32_e64 v13, 0, v13, s[0:1]
	v_perm_b32 v13, v17, v13, s29
	v_lshrrev_b32_e32 v17, 16, v2
	v_cmp_lt_i32_e64 s[0:1], v58, v3
	s_nop 1
	v_cndmask_b32_e64 v17, 0, v17, s[0:1]
	v_cmp_lt_i32_e64 s[0:1], v62, v22
	s_nop 1
	v_cndmask_b32_e64 v2, 0, v2, s[0:1]
	v_cmp_lt_i32_e64 s[0:1], v57, v3
	v_perm_b32 v2, v17, v2, s29
	s_nop 0
	v_cndmask_b32_e64 v7, 0, v7, s[0:1]
	v_cmp_lt_i32_e64 s[0:1], v0, v22
	s_nop 1
	v_cndmask_b32_e64 v12, 0, v12, s[0:1]
	v_perm_b32 v7, v7, v12, s29
.LBB269_952:                            ;   in Loop: Header=BB269_815 Depth=1
	s_or_b64 exec, exec, s[12:13]
	;;#ASMSTART
	v_pk_mul_f16 v12, v18, v16;

	;;#ASMEND
	;;#ASMSTART
	v_pk_mul_f16 v13, v46, v13;

	;;#ASMEND
	;; [unrolled: 4-line block ×4, first 2 shown]
	s_mov_b64 s[0:1], 0
	;;#ASMSTART
	v_pk_add_f16 v12, v12, v13;

	;;#ASMEND
                                        ; implicit-def: $sgpr22
	s_nop 0
	;;#ASMSTART
	v_pk_add_f16 v2, v12, v2;

	;;#ASMEND
	v_accvgpr_read_b32 v13, a5
	;;#ASMSTART
	v_pk_add_f16 v2, v2, v7;

	;;#ASMEND
	v_accvgpr_read_b32 v12, a4
	v_lshrrev_b32_e32 v7, 16, v2
	v_and_b32_e32 v2, 0xffff, v2
	;;#ASMSTART
	v_cvt_f32_f16 v37, v2;
	;;#ASMEND
	;;#ASMSTART
	v_cvt_f32_f16 v38, v7;
	;;#ASMEND
	flat_load_dwordx2 v[54:55], v[50:51] offset:2048
	flat_load_dword v52, v[12:13]
	s_waitcnt vmcnt(0) lgkmcnt(0)
	v_cmp_gt_i16_sdwa s[12:13], v54, s17 src0_sel:BYTE_0 src1_sel:DWORD
	s_and_saveexec_b64 s[20:21], s[12:13]
	s_xor_b64 s[12:13], exec, s[20:21]
	s_cbranch_execnz .LBB269_1352
; %bb.953:                              ;   in Loop: Header=BB269_815 Depth=1
	s_or_saveexec_b64 s[12:13], s[12:13]
	v_mov_b32_e32 v40, s22
	s_xor_b64 exec, exec, s[12:13]
	s_cbranch_execnz .LBB269_1355
.LBB269_954:                            ;   in Loop: Header=BB269_815 Depth=1
	s_or_b64 exec, exec, s[12:13]
	s_and_saveexec_b64 s[12:13], s[0:1]
	s_cbranch_execz .LBB269_956
.LBB269_955:                            ;   in Loop: Header=BB269_815 Depth=1
	v_and_b32_e32 v2, 7, v54
	v_ffbh_u32_e32 v2, v2
	v_bfe_u32 v7, v54, 3, 4
	v_min_u32_e32 v2, 32, v2
	v_subrev_u32_e32 v12, 28, v2
	v_sub_u32_e32 v2, 29, v2
	v_cmp_eq_u32_e64 s[0:1], 0, v7
	s_nop 1
	v_cndmask_b32_e64 v2, v7, v2, s[0:1]
	v_cndmask_b32_e64 v7, 0, v12, s[0:1]
	v_lshlrev_b64 v[12:13], v7, v[54:55]
	v_lshlrev_b32_e32 v7, 7, v12
	v_lshlrev_b32_e32 v12, 8, v54
	v_lshl_add_u32 v2, v2, 10, v1
	v_and_or_b32 v2, v12, s25, v2
	v_and_or_b32 v2, v7, s26, v2
	v_cvt_f32_f16_e32 v40, v2
.LBB269_956:                            ;   in Loop: Header=BB269_815 Depth=1
	s_or_b64 exec, exec, s[12:13]
	v_lshrrev_b16_e32 v24, 8, v54
	v_cmp_lt_i16_e64 s[0:1], s17, v24
	s_mov_b64 s[12:13], 0
                                        ; implicit-def: $sgpr30
	s_and_saveexec_b64 s[20:21], s[0:1]
	s_xor_b64 s[20:21], exec, s[20:21]
	s_cbranch_execnz .LBB269_1356
; %bb.957:                              ;   in Loop: Header=BB269_815 Depth=1
	s_or_saveexec_b64 s[20:21], s[20:21]
	v_mov_b32_e32 v42, s30
	s_xor_b64 exec, exec, s[20:21]
	s_cbranch_execnz .LBB269_1359
.LBB269_958:                            ;   in Loop: Header=BB269_815 Depth=1
	s_or_b64 exec, exec, s[20:21]
	s_and_saveexec_b64 s[20:21], s[12:13]
	s_cbranch_execz .LBB269_960
.LBB269_959:                            ;   in Loop: Header=BB269_815 Depth=1
	v_and_b32_e32 v2, 7, v24
	v_ffbh_u32_e32 v12, v2
	v_min_u32_e32 v16, 32, v12
	v_subrev_u32_e32 v12, 28, v16
	v_bfe_u32 v7, v24, 3, 4
	v_lshlrev_b64 v[12:13], v12, v[24:25]
	v_sub_u32_e32 v13, 29, v16
	v_cmp_eq_u32_e64 s[0:1], 0, v7
	v_and_b32_e32 v12, 7, v12
	s_nop 0
	v_cndmask_b32_e64 v7, v7, v13, s[0:1]
	v_cndmask_b32_e64 v2, v2, v12, s[0:1]
	v_lshlrev_b32_e32 v12, 8, v24
	v_lshl_add_u32 v7, v7, 10, v1
	v_and_or_b32 v7, v12, s25, v7
	v_lshl_or_b32 v2, v2, 7, v7
	v_cvt_f32_f16_e32 v42, v2
.LBB269_960:                            ;   in Loop: Header=BB269_815 Depth=1
	s_or_b64 exec, exec, s[20:21]
	v_lshrrev_b32_e32 v24, 16, v54
	v_cmp_gt_i16_sdwa s[12:13], v24, s17 src0_sel:BYTE_0 src1_sel:DWORD
	s_mov_b64 s[0:1], 0
                                        ; implicit-def: $sgpr22
	s_and_saveexec_b64 s[20:21], s[12:13]
	s_xor_b64 s[12:13], exec, s[20:21]
	s_cbranch_execnz .LBB269_1360
; %bb.961:                              ;   in Loop: Header=BB269_815 Depth=1
	s_or_saveexec_b64 s[12:13], s[12:13]
	v_mov_b32_e32 v41, s22
	s_xor_b64 exec, exec, s[12:13]
	s_cbranch_execnz .LBB269_1363
.LBB269_962:                            ;   in Loop: Header=BB269_815 Depth=1
	s_or_b64 exec, exec, s[12:13]
	s_and_saveexec_b64 s[12:13], s[0:1]
	s_cbranch_execz .LBB269_964
.LBB269_963:                            ;   in Loop: Header=BB269_815 Depth=1
	v_bfe_u32 v2, v54, 16, 3
	v_ffbh_u32_e32 v12, v2
	v_min_u32_e32 v16, 32, v12
	v_subrev_u32_e32 v12, 28, v16
	v_bfe_u32 v7, v54, 19, 4
	v_lshlrev_b64 v[12:13], v12, v[24:25]
	v_sub_u32_e32 v13, 29, v16
	v_cmp_eq_u32_e64 s[0:1], 0, v7
	v_and_b32_e32 v12, 7, v12
	s_nop 0
	v_cndmask_b32_e64 v7, v7, v13, s[0:1]
	v_cndmask_b32_e64 v2, v2, v12, s[0:1]
	v_lshlrev_b32_e32 v12, 8, v24
	v_lshl_add_u32 v7, v7, 10, v1
	v_and_or_b32 v7, v12, s25, v7
	v_lshl_or_b32 v2, v2, 7, v7
	v_cvt_f32_f16_e32 v41, v2
.LBB269_964:                            ;   in Loop: Header=BB269_815 Depth=1
	s_or_b64 exec, exec, s[12:13]
	v_lshrrev_b32_e32 v24, 24, v54
	v_cmp_lt_i16_e64 s[0:1], s17, v24
	s_mov_b64 s[12:13], 0
                                        ; implicit-def: $sgpr30
	s_and_saveexec_b64 s[20:21], s[0:1]
	s_xor_b64 s[20:21], exec, s[20:21]
	s_cbranch_execnz .LBB269_1364
; %bb.965:                              ;   in Loop: Header=BB269_815 Depth=1
	s_or_saveexec_b64 s[20:21], s[20:21]
	v_mov_b32_e32 v43, s30
	s_xor_b64 exec, exec, s[20:21]
	s_cbranch_execnz .LBB269_1367
.LBB269_966:                            ;   in Loop: Header=BB269_815 Depth=1
	s_or_b64 exec, exec, s[20:21]
	s_and_saveexec_b64 s[20:21], s[12:13]
	s_cbranch_execz .LBB269_968
.LBB269_967:                            ;   in Loop: Header=BB269_815 Depth=1
	v_bfe_u32 v2, v54, 24, 3
	v_ffbh_u32_e32 v12, v2
	v_min_u32_e32 v16, 32, v12
	v_subrev_u32_e32 v12, 28, v16
	v_bfe_u32 v7, v54, 27, 4
	v_lshlrev_b64 v[12:13], v12, v[24:25]
	v_sub_u32_e32 v13, 29, v16
	v_cmp_eq_u32_e64 s[0:1], 0, v7
	v_and_b32_e32 v12, 7, v12
	s_nop 0
	v_cndmask_b32_e64 v7, v7, v13, s[0:1]
	v_cndmask_b32_e64 v2, v2, v12, s[0:1]
	v_lshlrev_b32_e32 v12, 8, v24
	v_lshl_add_u32 v7, v7, 10, v1
	v_and_or_b32 v7, v12, s25, v7
	v_lshl_or_b32 v2, v2, 7, v7
	v_cvt_f32_f16_e32 v43, v2
.LBB269_968:                            ;   in Loop: Header=BB269_815 Depth=1
	s_or_b64 exec, exec, s[20:21]
	v_cmp_gt_i16_sdwa s[12:13], v55, s17 src0_sel:BYTE_0 src1_sel:DWORD
	s_mov_b64 s[0:1], 0
                                        ; implicit-def: $sgpr22
	s_and_saveexec_b64 s[20:21], s[12:13]
	s_xor_b64 s[12:13], exec, s[20:21]
	s_cbranch_execnz .LBB269_1368
; %bb.969:                              ;   in Loop: Header=BB269_815 Depth=1
	s_or_saveexec_b64 s[12:13], s[12:13]
	v_mov_b32_e32 v2, s22
	s_xor_b64 exec, exec, s[12:13]
	s_cbranch_execnz .LBB269_1371
.LBB269_970:                            ;   in Loop: Header=BB269_815 Depth=1
	s_or_b64 exec, exec, s[12:13]
	v_mov_b32_e32 v24, v55
	s_and_saveexec_b64 s[12:13], s[0:1]
	s_cbranch_execz .LBB269_972
.LBB269_971:                            ;   in Loop: Header=BB269_815 Depth=1
	v_and_b32_e32 v2, 7, v55
	v_ffbh_u32_e32 v2, v2
	v_bfe_u32 v7, v55, 3, 4
	v_min_u32_e32 v2, 32, v2
	v_subrev_u32_e32 v12, 28, v2
	v_sub_u32_e32 v2, 29, v2
	v_cmp_eq_u32_e64 s[0:1], 0, v7
	s_nop 1
	v_cndmask_b32_e64 v2, v7, v2, s[0:1]
	v_cndmask_b32_e64 v7, 0, v12, s[0:1]
	v_lshlrev_b64 v[12:13], v7, v[24:25]
	v_lshlrev_b32_e32 v7, 7, v12
	v_lshlrev_b32_e32 v12, 8, v55
	v_lshl_add_u32 v2, v2, 10, v1
	v_and_or_b32 v2, v12, s25, v2
	v_and_or_b32 v2, v7, s26, v2
	v_cvt_f32_f16_e32 v2, v2
.LBB269_972:                            ;   in Loop: Header=BB269_815 Depth=1
	s_or_b64 exec, exec, s[12:13]
	v_lshrrev_b16_e32 v24, 8, v24
	v_cmp_lt_i16_e64 s[0:1], s17, v24
	s_mov_b64 s[12:13], 0
                                        ; implicit-def: $sgpr30
	s_and_saveexec_b64 s[20:21], s[0:1]
	s_xor_b64 s[20:21], exec, s[20:21]
	s_cbranch_execnz .LBB269_1372
; %bb.973:                              ;   in Loop: Header=BB269_815 Depth=1
	s_or_saveexec_b64 s[20:21], s[20:21]
	v_mov_b32_e32 v7, s30
	s_xor_b64 exec, exec, s[20:21]
	s_cbranch_execnz .LBB269_1375
.LBB269_974:                            ;   in Loop: Header=BB269_815 Depth=1
	s_or_b64 exec, exec, s[20:21]
	s_and_saveexec_b64 s[20:21], s[12:13]
	s_cbranch_execz .LBB269_976
.LBB269_975:                            ;   in Loop: Header=BB269_815 Depth=1
	v_and_b32_e32 v7, 7, v24
	v_ffbh_u32_e32 v12, v7
	v_min_u32_e32 v17, 32, v12
	v_subrev_u32_e32 v12, 28, v17
	v_bfe_u32 v16, v24, 3, 4
	v_lshlrev_b64 v[12:13], v12, v[24:25]
	v_sub_u32_e32 v13, 29, v17
	v_cmp_eq_u32_e64 s[0:1], 0, v16
	v_and_b32_e32 v12, 7, v12
	s_nop 0
	v_cndmask_b32_e64 v13, v16, v13, s[0:1]
	v_cndmask_b32_e64 v7, v7, v12, s[0:1]
	v_lshlrev_b32_e32 v12, 8, v24
	v_lshl_add_u32 v13, v13, 10, v1
	v_and_or_b32 v12, v12, s25, v13
	v_lshl_or_b32 v7, v7, 7, v12
	v_cvt_f32_f16_e32 v7, v7
.LBB269_976:                            ;   in Loop: Header=BB269_815 Depth=1
	s_or_b64 exec, exec, s[20:21]
	v_lshrrev_b32_e32 v24, 16, v55
	v_cmp_gt_i16_sdwa s[12:13], v24, s17 src0_sel:BYTE_0 src1_sel:DWORD
	s_mov_b64 s[0:1], 0
                                        ; implicit-def: $sgpr22
	s_and_saveexec_b64 s[20:21], s[12:13]
	s_xor_b64 s[12:13], exec, s[20:21]
	s_cbranch_execnz .LBB269_1376
; %bb.977:                              ;   in Loop: Header=BB269_815 Depth=1
	s_or_saveexec_b64 s[12:13], s[12:13]
	v_mov_b32_e32 v12, s22
	s_xor_b64 exec, exec, s[12:13]
	s_cbranch_execnz .LBB269_1379
.LBB269_978:                            ;   in Loop: Header=BB269_815 Depth=1
	s_or_b64 exec, exec, s[12:13]
	s_and_saveexec_b64 s[12:13], s[0:1]
	s_cbranch_execz .LBB269_980
.LBB269_979:                            ;   in Loop: Header=BB269_815 Depth=1
	v_bfe_u32 v16, v55, 16, 3
	v_ffbh_u32_e32 v12, v16
	v_min_u32_e32 v19, 32, v12
	v_subrev_u32_e32 v12, 28, v19
	v_bfe_u32 v17, v55, 19, 4
	v_lshlrev_b64 v[12:13], v12, v[24:25]
	v_sub_u32_e32 v13, 29, v19
	v_cmp_eq_u32_e64 s[0:1], 0, v17
	v_and_b32_e32 v12, 7, v12
	s_nop 0
	v_cndmask_b32_e64 v13, v17, v13, s[0:1]
	v_cndmask_b32_e64 v12, v16, v12, s[0:1]
	v_lshlrev_b32_e32 v16, 8, v24
	v_lshl_add_u32 v13, v13, 10, v1
	v_and_or_b32 v13, v16, s25, v13
	v_lshl_or_b32 v12, v12, 7, v13
	v_cvt_f32_f16_e32 v12, v12
.LBB269_980:                            ;   in Loop: Header=BB269_815 Depth=1
	s_or_b64 exec, exec, s[12:13]
	v_lshrrev_b32_e32 v24, 24, v55
	v_cmp_lt_i16_e64 s[0:1], s17, v24
	s_mov_b64 s[12:13], 0
                                        ; implicit-def: $sgpr30
	s_and_saveexec_b64 s[20:21], s[0:1]
	s_xor_b64 s[20:21], exec, s[20:21]
	s_cbranch_execnz .LBB269_1380
; %bb.981:                              ;   in Loop: Header=BB269_815 Depth=1
	s_or_saveexec_b64 s[20:21], s[20:21]
	v_mov_b32_e32 v17, s30
	s_xor_b64 exec, exec, s[20:21]
	s_cbranch_execnz .LBB269_1383
.LBB269_982:                            ;   in Loop: Header=BB269_815 Depth=1
	s_or_b64 exec, exec, s[20:21]
	s_and_saveexec_b64 s[20:21], s[12:13]
	s_cbranch_execz .LBB269_984
.LBB269_983:                            ;   in Loop: Header=BB269_815 Depth=1
	v_bfe_u32 v13, v55, 24, 3
	v_ffbh_u32_e32 v16, v13
	v_min_u32_e32 v22, 32, v16
	v_subrev_u32_e32 v16, 28, v22
	v_bfe_u32 v19, v55, 27, 4
	v_lshlrev_b64 v[16:17], v16, v[24:25]
	v_sub_u32_e32 v17, 29, v22
	v_cmp_eq_u32_e64 s[0:1], 0, v19
	v_and_b32_e32 v16, 7, v16
	s_nop 0
	v_cndmask_b32_e64 v17, v19, v17, s[0:1]
	v_cndmask_b32_e64 v13, v13, v16, s[0:1]
	v_lshlrev_b32_e32 v16, 8, v24
	v_lshl_add_u32 v17, v17, 10, v1
	v_and_or_b32 v16, v16, s25, v17
	v_lshl_or_b32 v13, v13, 7, v16
	v_cvt_f32_f16_e32 v17, v13
.LBB269_984:                            ;   in Loop: Header=BB269_815 Depth=1
	s_or_b64 exec, exec, s[20:21]
	v_pk_mul_f32 v[22:23], v[52:53], v[42:43] op_sel_hi:[0,1]
	v_pk_mul_f32 v[54:55], v[52:53], v[40:41] op_sel_hi:[0,1]
	v_cvt_f16_f32_e32 v13, v23
	v_cvt_f16_f32_e32 v16, v22
	;; [unrolled: 1-line block ×4, first 2 shown]
	v_fma_mixlo_f16 v7, v52, v7, 0
	v_lshlrev_b32_e32 v7, 16, v7
	v_fma_mixlo_f16 v2, v52, v2, 0
	v_or_b32_sdwa v2, v7, v2 dst_sel:DWORD dst_unused:UNUSED_PAD src0_sel:DWORD src1_sel:WORD_0
	v_fma_mixlo_f16 v7, v52, v17, 0
	v_pack_b32_f16 v16, v16, v13
	v_pack_b32_f16 v19, v22, v19
	v_fma_mixlo_f16 v12, v52, v12, 0
	v_lshlrev_b32_e32 v7, 16, v7
	v_perm_b32 v13, v19, v16, s27
	v_perm_b32 v16, v19, v16, s28
	v_or_b32_sdwa v7, v7, v12 dst_sel:DWORD dst_unused:UNUSED_PAD src0_sel:DWORD src1_sel:WORD_0
	s_and_saveexec_b64 s[12:13], vcc
	s_cbranch_execz .LBB269_986
; %bb.985:                              ;   in Loop: Header=BB269_815 Depth=1
	v_lshrrev_b32_e32 v17, 16, v16
	v_cmp_lt_i32_e64 s[0:1], v6, v3
	v_accvgpr_read_b32 v22, a8
	v_lshrrev_b32_e32 v7, 16, v7
	v_cndmask_b32_e64 v17, 0, v17, s[0:1]
	v_cmp_lt_i32_e64 s[0:1], v61, v22
	s_nop 1
	v_cndmask_b32_e64 v16, 0, v16, s[0:1]
	v_perm_b32 v16, v17, v16, s29
	v_lshrrev_b32_e32 v17, 16, v13
	v_cmp_lt_i32_e64 s[0:1], v56, v3
	s_nop 1
	v_cndmask_b32_e64 v17, 0, v17, s[0:1]
	v_cmp_lt_i32_e64 s[0:1], v59, v22
	s_nop 1
	v_cndmask_b32_e64 v13, 0, v13, s[0:1]
	v_perm_b32 v13, v17, v13, s29
	v_lshrrev_b32_e32 v17, 16, v2
	v_cmp_lt_i32_e64 s[0:1], v58, v3
	s_nop 1
	v_cndmask_b32_e64 v17, 0, v17, s[0:1]
	v_cmp_lt_i32_e64 s[0:1], v62, v22
	s_nop 1
	v_cndmask_b32_e64 v2, 0, v2, s[0:1]
	v_cmp_lt_i32_e64 s[0:1], v57, v3
	v_perm_b32 v2, v17, v2, s29
	s_nop 0
	v_cndmask_b32_e64 v7, 0, v7, s[0:1]
	v_cmp_lt_i32_e64 s[0:1], v0, v22
	s_nop 1
	v_cndmask_b32_e64 v12, 0, v12, s[0:1]
	v_perm_b32 v7, v7, v12, s29
.LBB269_986:                            ;   in Loop: Header=BB269_815 Depth=1
	s_or_b64 exec, exec, s[12:13]
	;;#ASMSTART
	v_pk_mul_f16 v12, v18, v16;

	;;#ASMEND
	;;#ASMSTART
	v_pk_mul_f16 v13, v46, v13;

	;;#ASMEND
	;; [unrolled: 4-line block ×4, first 2 shown]
	s_mov_b64 s[0:1], 0
	;;#ASMSTART
	v_pk_add_f16 v12, v12, v13;

	;;#ASMEND
                                        ; implicit-def: $sgpr22
	s_nop 0
	;;#ASMSTART
	v_pk_add_f16 v2, v12, v2;

	;;#ASMEND
	v_accvgpr_read_b32 v13, a5
	;;#ASMSTART
	v_pk_add_f16 v2, v2, v7;

	;;#ASMEND
	v_accvgpr_read_b32 v12, a4
	v_lshrrev_b32_e32 v7, 16, v2
	v_and_b32_e32 v2, 0xffff, v2
	;;#ASMSTART
	v_cvt_f32_f16 v39, v2;
	;;#ASMEND
	;;#ASMSTART
	v_cvt_f32_f16 v16, v7;
	;;#ASMEND
	flat_load_dwordx2 v[54:55], v[50:51] offset:2560
	flat_load_dword v52, v[12:13]
	s_waitcnt vmcnt(0) lgkmcnt(0)
	v_cmp_gt_i16_sdwa s[12:13], v54, s17 src0_sel:BYTE_0 src1_sel:DWORD
	s_and_saveexec_b64 s[20:21], s[12:13]
	s_xor_b64 s[12:13], exec, s[20:21]
	s_cbranch_execnz .LBB269_1384
; %bb.987:                              ;   in Loop: Header=BB269_815 Depth=1
	s_or_saveexec_b64 s[12:13], s[12:13]
	v_mov_b32_e32 v40, s22
	s_xor_b64 exec, exec, s[12:13]
	s_cbranch_execnz .LBB269_1387
.LBB269_988:                            ;   in Loop: Header=BB269_815 Depth=1
	s_or_b64 exec, exec, s[12:13]
	s_and_saveexec_b64 s[12:13], s[0:1]
	s_cbranch_execz .LBB269_990
.LBB269_989:                            ;   in Loop: Header=BB269_815 Depth=1
	v_and_b32_e32 v2, 7, v54
	v_ffbh_u32_e32 v2, v2
	v_bfe_u32 v7, v54, 3, 4
	v_min_u32_e32 v2, 32, v2
	v_subrev_u32_e32 v12, 28, v2
	v_sub_u32_e32 v2, 29, v2
	v_cmp_eq_u32_e64 s[0:1], 0, v7
	s_nop 1
	v_cndmask_b32_e64 v2, v7, v2, s[0:1]
	v_cndmask_b32_e64 v7, 0, v12, s[0:1]
	v_lshlrev_b64 v[12:13], v7, v[54:55]
	v_lshlrev_b32_e32 v7, 7, v12
	v_lshlrev_b32_e32 v12, 8, v54
	v_lshl_add_u32 v2, v2, 10, v1
	v_and_or_b32 v2, v12, s25, v2
	v_and_or_b32 v2, v7, s26, v2
	v_cvt_f32_f16_e32 v40, v2
.LBB269_990:                            ;   in Loop: Header=BB269_815 Depth=1
	s_or_b64 exec, exec, s[12:13]
	v_lshrrev_b16_e32 v24, 8, v54
	v_cmp_lt_i16_e64 s[0:1], s17, v24
	s_mov_b64 s[12:13], 0
                                        ; implicit-def: $sgpr30
	s_and_saveexec_b64 s[20:21], s[0:1]
	s_xor_b64 s[20:21], exec, s[20:21]
	s_cbranch_execnz .LBB269_1388
; %bb.991:                              ;   in Loop: Header=BB269_815 Depth=1
	s_or_saveexec_b64 s[20:21], s[20:21]
	v_mov_b32_e32 v42, s30
	s_xor_b64 exec, exec, s[20:21]
	s_cbranch_execnz .LBB269_1391
.LBB269_992:                            ;   in Loop: Header=BB269_815 Depth=1
	s_or_b64 exec, exec, s[20:21]
	s_and_saveexec_b64 s[20:21], s[12:13]
	s_cbranch_execz .LBB269_994
.LBB269_993:                            ;   in Loop: Header=BB269_815 Depth=1
	v_and_b32_e32 v2, 7, v24
	v_ffbh_u32_e32 v12, v2
	v_min_u32_e32 v17, 32, v12
	v_subrev_u32_e32 v12, 28, v17
	v_bfe_u32 v7, v24, 3, 4
	v_lshlrev_b64 v[12:13], v12, v[24:25]
	v_sub_u32_e32 v13, 29, v17
	v_cmp_eq_u32_e64 s[0:1], 0, v7
	v_and_b32_e32 v12, 7, v12
	s_nop 0
	v_cndmask_b32_e64 v7, v7, v13, s[0:1]
	v_cndmask_b32_e64 v2, v2, v12, s[0:1]
	v_lshlrev_b32_e32 v12, 8, v24
	v_lshl_add_u32 v7, v7, 10, v1
	v_and_or_b32 v7, v12, s25, v7
	v_lshl_or_b32 v2, v2, 7, v7
	v_cvt_f32_f16_e32 v42, v2
.LBB269_994:                            ;   in Loop: Header=BB269_815 Depth=1
	s_or_b64 exec, exec, s[20:21]
	v_lshrrev_b32_e32 v24, 16, v54
	v_cmp_gt_i16_sdwa s[12:13], v24, s17 src0_sel:BYTE_0 src1_sel:DWORD
	s_mov_b64 s[0:1], 0
                                        ; implicit-def: $sgpr22
	s_and_saveexec_b64 s[20:21], s[12:13]
	s_xor_b64 s[12:13], exec, s[20:21]
	s_cbranch_execnz .LBB269_1392
; %bb.995:                              ;   in Loop: Header=BB269_815 Depth=1
	s_or_saveexec_b64 s[12:13], s[12:13]
	v_mov_b32_e32 v41, s22
	s_xor_b64 exec, exec, s[12:13]
	s_cbranch_execnz .LBB269_1395
.LBB269_996:                            ;   in Loop: Header=BB269_815 Depth=1
	s_or_b64 exec, exec, s[12:13]
	s_and_saveexec_b64 s[12:13], s[0:1]
	s_cbranch_execz .LBB269_998
.LBB269_997:                            ;   in Loop: Header=BB269_815 Depth=1
	v_bfe_u32 v2, v54, 16, 3
	v_ffbh_u32_e32 v12, v2
	v_min_u32_e32 v17, 32, v12
	v_subrev_u32_e32 v12, 28, v17
	v_bfe_u32 v7, v54, 19, 4
	v_lshlrev_b64 v[12:13], v12, v[24:25]
	v_sub_u32_e32 v13, 29, v17
	v_cmp_eq_u32_e64 s[0:1], 0, v7
	v_and_b32_e32 v12, 7, v12
	s_nop 0
	v_cndmask_b32_e64 v7, v7, v13, s[0:1]
	v_cndmask_b32_e64 v2, v2, v12, s[0:1]
	v_lshlrev_b32_e32 v12, 8, v24
	v_lshl_add_u32 v7, v7, 10, v1
	v_and_or_b32 v7, v12, s25, v7
	v_lshl_or_b32 v2, v2, 7, v7
	v_cvt_f32_f16_e32 v41, v2
.LBB269_998:                            ;   in Loop: Header=BB269_815 Depth=1
	s_or_b64 exec, exec, s[12:13]
	v_lshrrev_b32_e32 v24, 24, v54
	v_cmp_lt_i16_e64 s[0:1], s17, v24
	s_mov_b64 s[12:13], 0
                                        ; implicit-def: $sgpr30
	s_and_saveexec_b64 s[20:21], s[0:1]
	s_xor_b64 s[20:21], exec, s[20:21]
	s_cbranch_execnz .LBB269_1396
; %bb.999:                              ;   in Loop: Header=BB269_815 Depth=1
	s_or_saveexec_b64 s[20:21], s[20:21]
	v_mov_b32_e32 v43, s30
	s_xor_b64 exec, exec, s[20:21]
	s_cbranch_execnz .LBB269_1399
.LBB269_1000:                           ;   in Loop: Header=BB269_815 Depth=1
	s_or_b64 exec, exec, s[20:21]
	s_and_saveexec_b64 s[20:21], s[12:13]
	s_cbranch_execz .LBB269_1002
.LBB269_1001:                           ;   in Loop: Header=BB269_815 Depth=1
	v_bfe_u32 v2, v54, 24, 3
	v_ffbh_u32_e32 v12, v2
	v_min_u32_e32 v17, 32, v12
	v_subrev_u32_e32 v12, 28, v17
	v_bfe_u32 v7, v54, 27, 4
	v_lshlrev_b64 v[12:13], v12, v[24:25]
	v_sub_u32_e32 v13, 29, v17
	v_cmp_eq_u32_e64 s[0:1], 0, v7
	v_and_b32_e32 v12, 7, v12
	s_nop 0
	v_cndmask_b32_e64 v7, v7, v13, s[0:1]
	v_cndmask_b32_e64 v2, v2, v12, s[0:1]
	v_lshlrev_b32_e32 v12, 8, v24
	v_lshl_add_u32 v7, v7, 10, v1
	v_and_or_b32 v7, v12, s25, v7
	v_lshl_or_b32 v2, v2, 7, v7
	v_cvt_f32_f16_e32 v43, v2
.LBB269_1002:                           ;   in Loop: Header=BB269_815 Depth=1
	s_or_b64 exec, exec, s[20:21]
	v_cmp_gt_i16_sdwa s[12:13], v55, s17 src0_sel:BYTE_0 src1_sel:DWORD
	s_mov_b64 s[0:1], 0
                                        ; implicit-def: $sgpr22
	s_and_saveexec_b64 s[20:21], s[12:13]
	s_xor_b64 s[12:13], exec, s[20:21]
	s_cbranch_execnz .LBB269_1400
; %bb.1003:                             ;   in Loop: Header=BB269_815 Depth=1
	s_or_saveexec_b64 s[12:13], s[12:13]
	v_mov_b32_e32 v2, s22
	s_xor_b64 exec, exec, s[12:13]
	s_cbranch_execnz .LBB269_1403
.LBB269_1004:                           ;   in Loop: Header=BB269_815 Depth=1
	s_or_b64 exec, exec, s[12:13]
	v_mov_b32_e32 v24, v55
	s_and_saveexec_b64 s[12:13], s[0:1]
	s_cbranch_execz .LBB269_1006
.LBB269_1005:                           ;   in Loop: Header=BB269_815 Depth=1
	v_and_b32_e32 v2, 7, v55
	v_ffbh_u32_e32 v2, v2
	v_bfe_u32 v7, v55, 3, 4
	v_min_u32_e32 v2, 32, v2
	v_subrev_u32_e32 v12, 28, v2
	v_sub_u32_e32 v2, 29, v2
	v_cmp_eq_u32_e64 s[0:1], 0, v7
	s_nop 1
	v_cndmask_b32_e64 v2, v7, v2, s[0:1]
	v_cndmask_b32_e64 v7, 0, v12, s[0:1]
	v_lshlrev_b64 v[12:13], v7, v[24:25]
	v_lshlrev_b32_e32 v7, 7, v12
	v_lshlrev_b32_e32 v12, 8, v55
	v_lshl_add_u32 v2, v2, 10, v1
	v_and_or_b32 v2, v12, s25, v2
	v_and_or_b32 v2, v7, s26, v2
	v_cvt_f32_f16_e32 v2, v2
.LBB269_1006:                           ;   in Loop: Header=BB269_815 Depth=1
	s_or_b64 exec, exec, s[12:13]
	v_lshrrev_b16_e32 v24, 8, v24
	v_cmp_lt_i16_e64 s[0:1], s17, v24
	s_mov_b64 s[12:13], 0
                                        ; implicit-def: $sgpr30
	s_and_saveexec_b64 s[20:21], s[0:1]
	s_xor_b64 s[20:21], exec, s[20:21]
	s_cbranch_execnz .LBB269_1404
; %bb.1007:                             ;   in Loop: Header=BB269_815 Depth=1
	s_or_saveexec_b64 s[20:21], s[20:21]
	v_mov_b32_e32 v7, s30
	s_xor_b64 exec, exec, s[20:21]
	s_cbranch_execnz .LBB269_1407
.LBB269_1008:                           ;   in Loop: Header=BB269_815 Depth=1
	s_or_b64 exec, exec, s[20:21]
	s_and_saveexec_b64 s[20:21], s[12:13]
	s_cbranch_execz .LBB269_1010
.LBB269_1009:                           ;   in Loop: Header=BB269_815 Depth=1
	v_and_b32_e32 v7, 7, v24
	v_ffbh_u32_e32 v12, v7
	v_min_u32_e32 v19, 32, v12
	v_subrev_u32_e32 v12, 28, v19
	v_bfe_u32 v17, v24, 3, 4
	v_lshlrev_b64 v[12:13], v12, v[24:25]
	v_sub_u32_e32 v13, 29, v19
	v_cmp_eq_u32_e64 s[0:1], 0, v17
	v_and_b32_e32 v12, 7, v12
	s_nop 0
	v_cndmask_b32_e64 v13, v17, v13, s[0:1]
	v_cndmask_b32_e64 v7, v7, v12, s[0:1]
	v_lshlrev_b32_e32 v12, 8, v24
	v_lshl_add_u32 v13, v13, 10, v1
	v_and_or_b32 v12, v12, s25, v13
	v_lshl_or_b32 v7, v7, 7, v12
	v_cvt_f32_f16_e32 v7, v7
.LBB269_1010:                           ;   in Loop: Header=BB269_815 Depth=1
	s_or_b64 exec, exec, s[20:21]
	v_lshrrev_b32_e32 v24, 16, v55
	v_cmp_gt_i16_sdwa s[12:13], v24, s17 src0_sel:BYTE_0 src1_sel:DWORD
	s_mov_b64 s[0:1], 0
                                        ; implicit-def: $sgpr22
	s_and_saveexec_b64 s[20:21], s[12:13]
	s_xor_b64 s[12:13], exec, s[20:21]
	s_cbranch_execnz .LBB269_1408
; %bb.1011:                             ;   in Loop: Header=BB269_815 Depth=1
	s_or_saveexec_b64 s[12:13], s[12:13]
	v_mov_b32_e32 v12, s22
	s_xor_b64 exec, exec, s[12:13]
	s_cbranch_execnz .LBB269_1411
.LBB269_1012:                           ;   in Loop: Header=BB269_815 Depth=1
	s_or_b64 exec, exec, s[12:13]
	s_and_saveexec_b64 s[12:13], s[0:1]
	s_cbranch_execz .LBB269_1014
.LBB269_1013:                           ;   in Loop: Header=BB269_815 Depth=1
	v_bfe_u32 v17, v55, 16, 3
	v_ffbh_u32_e32 v12, v17
	v_min_u32_e32 v22, 32, v12
	v_subrev_u32_e32 v12, 28, v22
	v_bfe_u32 v19, v55, 19, 4
	v_lshlrev_b64 v[12:13], v12, v[24:25]
	v_sub_u32_e32 v13, 29, v22
	v_cmp_eq_u32_e64 s[0:1], 0, v19
	v_and_b32_e32 v12, 7, v12
	s_nop 0
	v_cndmask_b32_e64 v13, v19, v13, s[0:1]
	v_cndmask_b32_e64 v12, v17, v12, s[0:1]
	v_lshlrev_b32_e32 v17, 8, v24
	v_lshl_add_u32 v13, v13, 10, v1
	v_and_or_b32 v13, v17, s25, v13
	v_lshl_or_b32 v12, v12, 7, v13
	v_cvt_f32_f16_e32 v12, v12
.LBB269_1014:                           ;   in Loop: Header=BB269_815 Depth=1
	s_or_b64 exec, exec, s[12:13]
	v_lshrrev_b32_e32 v24, 24, v55
	v_cmp_lt_i16_e64 s[0:1], s17, v24
	s_mov_b64 s[12:13], 0
                                        ; implicit-def: $sgpr30
	s_and_saveexec_b64 s[20:21], s[0:1]
	s_xor_b64 s[20:21], exec, s[20:21]
	s_cbranch_execnz .LBB269_1412
; %bb.1015:                             ;   in Loop: Header=BB269_815 Depth=1
	s_or_saveexec_b64 s[20:21], s[20:21]
	v_mov_b32_e32 v19, s30
	s_xor_b64 exec, exec, s[20:21]
	s_cbranch_execnz .LBB269_1415
.LBB269_1016:                           ;   in Loop: Header=BB269_815 Depth=1
	s_or_b64 exec, exec, s[20:21]
	s_and_saveexec_b64 s[20:21], s[12:13]
	s_cbranch_execz .LBB269_1018
.LBB269_1017:                           ;   in Loop: Header=BB269_815 Depth=1
	v_bfe_u32 v13, v55, 24, 3
	v_ffbh_u32_e32 v19, v13
	v_bfe_u32 v17, v55, 27, 4
	v_min_u32_e32 v19, 32, v19
	v_subrev_u32_e32 v22, 28, v19
	v_sub_u32_e32 v19, 29, v19
	v_cmp_eq_u32_e64 s[0:1], 0, v17
	v_lshlrev_b64 v[22:23], v22, v[24:25]
	v_and_b32_e32 v22, 7, v22
	v_cndmask_b32_e64 v17, v17, v19, s[0:1]
	v_lshlrev_b32_e32 v19, 8, v24
	v_lshl_add_u32 v17, v17, 10, v1
	v_cndmask_b32_e64 v13, v13, v22, s[0:1]
	v_and_or_b32 v17, v19, s25, v17
	v_lshl_or_b32 v13, v13, 7, v17
	v_cvt_f32_f16_e32 v19, v13
.LBB269_1018:                           ;   in Loop: Header=BB269_815 Depth=1
	s_or_b64 exec, exec, s[20:21]
	v_pk_mul_f32 v[22:23], v[52:53], v[42:43] op_sel_hi:[0,1]
	v_pk_mul_f32 v[54:55], v[52:53], v[40:41] op_sel_hi:[0,1]
	v_cvt_f16_f32_e32 v13, v23
	v_cvt_f16_f32_e32 v17, v22
	;; [unrolled: 1-line block ×4, first 2 shown]
	v_fma_mixlo_f16 v7, v52, v7, 0
	v_lshlrev_b32_e32 v7, 16, v7
	v_fma_mixlo_f16 v2, v52, v2, 0
	v_or_b32_sdwa v2, v7, v2 dst_sel:DWORD dst_unused:UNUSED_PAD src0_sel:DWORD src1_sel:WORD_0
	v_fma_mixlo_f16 v7, v52, v19, 0
	v_pack_b32_f16 v17, v17, v13
	v_pack_b32_f16 v22, v23, v22
	v_fma_mixlo_f16 v12, v52, v12, 0
	v_lshlrev_b32_e32 v7, 16, v7
	v_perm_b32 v13, v22, v17, s27
	v_perm_b32 v17, v22, v17, s28
	v_or_b32_sdwa v7, v7, v12 dst_sel:DWORD dst_unused:UNUSED_PAD src0_sel:DWORD src1_sel:WORD_0
	s_and_saveexec_b64 s[12:13], vcc
	s_cbranch_execz .LBB269_1020
; %bb.1019:                             ;   in Loop: Header=BB269_815 Depth=1
	v_lshrrev_b32_e32 v19, 16, v17
	v_cmp_lt_i32_e64 s[0:1], v6, v3
	v_accvgpr_read_b32 v22, a8
	v_lshrrev_b32_e32 v7, 16, v7
	v_cndmask_b32_e64 v19, 0, v19, s[0:1]
	v_cmp_lt_i32_e64 s[0:1], v61, v22
	s_nop 1
	v_cndmask_b32_e64 v17, 0, v17, s[0:1]
	v_perm_b32 v17, v19, v17, s29
	v_lshrrev_b32_e32 v19, 16, v13
	v_cmp_lt_i32_e64 s[0:1], v56, v3
	s_nop 1
	v_cndmask_b32_e64 v19, 0, v19, s[0:1]
	v_cmp_lt_i32_e64 s[0:1], v59, v22
	s_nop 1
	v_cndmask_b32_e64 v13, 0, v13, s[0:1]
	v_perm_b32 v13, v19, v13, s29
	v_lshrrev_b32_e32 v19, 16, v2
	v_cmp_lt_i32_e64 s[0:1], v58, v3
	s_nop 1
	v_cndmask_b32_e64 v19, 0, v19, s[0:1]
	v_cmp_lt_i32_e64 s[0:1], v62, v22
	s_nop 1
	v_cndmask_b32_e64 v2, 0, v2, s[0:1]
	v_cmp_lt_i32_e64 s[0:1], v57, v3
	v_perm_b32 v2, v19, v2, s29
	s_nop 0
	v_cndmask_b32_e64 v7, 0, v7, s[0:1]
	v_cmp_lt_i32_e64 s[0:1], v0, v22
	s_nop 1
	v_cndmask_b32_e64 v12, 0, v12, s[0:1]
	v_perm_b32 v7, v7, v12, s29
.LBB269_1020:                           ;   in Loop: Header=BB269_815 Depth=1
	s_or_b64 exec, exec, s[12:13]
	;;#ASMSTART
	v_pk_mul_f16 v12, v18, v17;

	;;#ASMEND
	;;#ASMSTART
	v_pk_mul_f16 v13, v46, v13;

	;;#ASMEND
	;; [unrolled: 4-line block ×4, first 2 shown]
	s_mov_b64 s[0:1], 0
	;;#ASMSTART
	v_pk_add_f16 v12, v12, v13;

	;;#ASMEND
                                        ; implicit-def: $sgpr22
	s_nop 0
	;;#ASMSTART
	v_pk_add_f16 v2, v12, v2;

	;;#ASMEND
	v_accvgpr_read_b32 v13, a5
	;;#ASMSTART
	v_pk_add_f16 v2, v2, v7;

	;;#ASMEND
	v_accvgpr_read_b32 v12, a4
	v_lshrrev_b32_e32 v7, 16, v2
	v_and_b32_e32 v2, 0xffff, v2
	;;#ASMSTART
	v_cvt_f32_f16 v2, v2;
	;;#ASMEND
	;;#ASMSTART
	v_cvt_f32_f16 v17, v7;
	;;#ASMEND
	flat_load_dwordx2 v[54:55], v[50:51] offset:3072
	flat_load_dword v52, v[12:13]
	s_waitcnt vmcnt(0) lgkmcnt(0)
	v_cmp_gt_i16_sdwa s[12:13], v54, s17 src0_sel:BYTE_0 src1_sel:DWORD
	s_and_saveexec_b64 s[20:21], s[12:13]
	s_xor_b64 s[12:13], exec, s[20:21]
	s_cbranch_execnz .LBB269_1416
; %bb.1021:                             ;   in Loop: Header=BB269_815 Depth=1
	s_or_saveexec_b64 s[12:13], s[12:13]
	v_mov_b32_e32 v40, s22
	s_xor_b64 exec, exec, s[12:13]
	s_cbranch_execnz .LBB269_1419
.LBB269_1022:                           ;   in Loop: Header=BB269_815 Depth=1
	s_or_b64 exec, exec, s[12:13]
	s_and_saveexec_b64 s[12:13], s[0:1]
	s_cbranch_execz .LBB269_1024
.LBB269_1023:                           ;   in Loop: Header=BB269_815 Depth=1
	v_and_b32_e32 v7, 7, v54
	v_ffbh_u32_e32 v7, v7
	v_bfe_u32 v12, v54, 3, 4
	v_min_u32_e32 v7, 32, v7
	v_subrev_u32_e32 v13, 28, v7
	v_sub_u32_e32 v7, 29, v7
	v_cmp_eq_u32_e64 s[0:1], 0, v12
	s_nop 1
	v_cndmask_b32_e64 v7, v12, v7, s[0:1]
	v_cndmask_b32_e64 v12, 0, v13, s[0:1]
	v_lshlrev_b64 v[12:13], v12, v[54:55]
	v_lshlrev_b32_e32 v13, 8, v54
	v_lshl_add_u32 v7, v7, 10, v1
	v_lshlrev_b32_e32 v12, 7, v12
	v_and_or_b32 v7, v13, s25, v7
	v_and_or_b32 v7, v12, s26, v7
	v_cvt_f32_f16_e32 v40, v7
.LBB269_1024:                           ;   in Loop: Header=BB269_815 Depth=1
	s_or_b64 exec, exec, s[12:13]
	v_lshrrev_b16_e32 v24, 8, v54
	v_cmp_lt_i16_e64 s[0:1], s17, v24
	s_mov_b64 s[12:13], 0
                                        ; implicit-def: $sgpr30
	s_and_saveexec_b64 s[20:21], s[0:1]
	s_xor_b64 s[20:21], exec, s[20:21]
	s_cbranch_execnz .LBB269_1420
; %bb.1025:                             ;   in Loop: Header=BB269_815 Depth=1
	s_or_saveexec_b64 s[20:21], s[20:21]
	v_mov_b32_e32 v42, s30
	s_xor_b64 exec, exec, s[20:21]
	s_cbranch_execnz .LBB269_1423
.LBB269_1026:                           ;   in Loop: Header=BB269_815 Depth=1
	s_or_b64 exec, exec, s[20:21]
	s_and_saveexec_b64 s[20:21], s[12:13]
	s_cbranch_execz .LBB269_1028
.LBB269_1027:                           ;   in Loop: Header=BB269_815 Depth=1
	v_and_b32_e32 v7, 7, v24
	v_ffbh_u32_e32 v12, v7
	v_min_u32_e32 v22, 32, v12
	v_subrev_u32_e32 v12, 28, v22
	v_bfe_u32 v19, v24, 3, 4
	v_lshlrev_b64 v[12:13], v12, v[24:25]
	v_sub_u32_e32 v13, 29, v22
	v_cmp_eq_u32_e64 s[0:1], 0, v19
	v_and_b32_e32 v12, 7, v12
	s_nop 0
	v_cndmask_b32_e64 v13, v19, v13, s[0:1]
	v_cndmask_b32_e64 v7, v7, v12, s[0:1]
	v_lshlrev_b32_e32 v12, 8, v24
	v_lshl_add_u32 v13, v13, 10, v1
	v_and_or_b32 v12, v12, s25, v13
	v_lshl_or_b32 v7, v7, 7, v12
	v_cvt_f32_f16_e32 v42, v7
.LBB269_1028:                           ;   in Loop: Header=BB269_815 Depth=1
	s_or_b64 exec, exec, s[20:21]
	v_lshrrev_b32_e32 v24, 16, v54
	v_cmp_gt_i16_sdwa s[12:13], v24, s17 src0_sel:BYTE_0 src1_sel:DWORD
	s_mov_b64 s[0:1], 0
                                        ; implicit-def: $sgpr22
	s_and_saveexec_b64 s[20:21], s[12:13]
	s_xor_b64 s[12:13], exec, s[20:21]
	s_cbranch_execnz .LBB269_1424
; %bb.1029:                             ;   in Loop: Header=BB269_815 Depth=1
	s_or_saveexec_b64 s[12:13], s[12:13]
	v_mov_b32_e32 v41, s22
	s_xor_b64 exec, exec, s[12:13]
	s_cbranch_execnz .LBB269_1427
.LBB269_1030:                           ;   in Loop: Header=BB269_815 Depth=1
	s_or_b64 exec, exec, s[12:13]
	s_and_saveexec_b64 s[12:13], s[0:1]
	s_cbranch_execz .LBB269_1032
.LBB269_1031:                           ;   in Loop: Header=BB269_815 Depth=1
	v_bfe_u32 v7, v54, 16, 3
	v_ffbh_u32_e32 v12, v7
	v_min_u32_e32 v22, 32, v12
	v_subrev_u32_e32 v12, 28, v22
	v_bfe_u32 v19, v54, 19, 4
	v_lshlrev_b64 v[12:13], v12, v[24:25]
	v_sub_u32_e32 v13, 29, v22
	v_cmp_eq_u32_e64 s[0:1], 0, v19
	v_and_b32_e32 v12, 7, v12
	s_nop 0
	v_cndmask_b32_e64 v13, v19, v13, s[0:1]
	v_cndmask_b32_e64 v7, v7, v12, s[0:1]
	v_lshlrev_b32_e32 v12, 8, v24
	v_lshl_add_u32 v13, v13, 10, v1
	v_and_or_b32 v12, v12, s25, v13
	v_lshl_or_b32 v7, v7, 7, v12
	v_cvt_f32_f16_e32 v41, v7
.LBB269_1032:                           ;   in Loop: Header=BB269_815 Depth=1
	s_or_b64 exec, exec, s[12:13]
	v_lshrrev_b32_e32 v24, 24, v54
	v_cmp_lt_i16_e64 s[0:1], s17, v24
	s_mov_b64 s[12:13], 0
                                        ; implicit-def: $sgpr30
	s_and_saveexec_b64 s[20:21], s[0:1]
	s_xor_b64 s[20:21], exec, s[20:21]
	s_cbranch_execnz .LBB269_1428
; %bb.1033:                             ;   in Loop: Header=BB269_815 Depth=1
	s_or_saveexec_b64 s[20:21], s[20:21]
	v_mov_b32_e32 v43, s30
	s_xor_b64 exec, exec, s[20:21]
	s_cbranch_execnz .LBB269_1431
.LBB269_1034:                           ;   in Loop: Header=BB269_815 Depth=1
	s_or_b64 exec, exec, s[20:21]
	s_and_saveexec_b64 s[20:21], s[12:13]
	s_cbranch_execz .LBB269_1036
.LBB269_1035:                           ;   in Loop: Header=BB269_815 Depth=1
	v_bfe_u32 v7, v54, 24, 3
	v_ffbh_u32_e32 v12, v7
	v_min_u32_e32 v22, 32, v12
	v_subrev_u32_e32 v12, 28, v22
	v_bfe_u32 v19, v54, 27, 4
	v_lshlrev_b64 v[12:13], v12, v[24:25]
	v_sub_u32_e32 v13, 29, v22
	v_cmp_eq_u32_e64 s[0:1], 0, v19
	v_and_b32_e32 v12, 7, v12
	s_nop 0
	v_cndmask_b32_e64 v13, v19, v13, s[0:1]
	v_cndmask_b32_e64 v7, v7, v12, s[0:1]
	v_lshlrev_b32_e32 v12, 8, v24
	v_lshl_add_u32 v13, v13, 10, v1
	v_and_or_b32 v12, v12, s25, v13
	v_lshl_or_b32 v7, v7, 7, v12
	v_cvt_f32_f16_e32 v43, v7
.LBB269_1036:                           ;   in Loop: Header=BB269_815 Depth=1
	s_or_b64 exec, exec, s[20:21]
	v_cmp_gt_i16_sdwa s[12:13], v55, s17 src0_sel:BYTE_0 src1_sel:DWORD
	s_mov_b64 s[0:1], 0
                                        ; implicit-def: $sgpr22
	s_and_saveexec_b64 s[20:21], s[12:13]
	s_xor_b64 s[12:13], exec, s[20:21]
	s_cbranch_execnz .LBB269_1432
; %bb.1037:                             ;   in Loop: Header=BB269_815 Depth=1
	s_or_saveexec_b64 s[12:13], s[12:13]
	v_mov_b32_e32 v7, s22
	s_xor_b64 exec, exec, s[12:13]
	s_cbranch_execnz .LBB269_1435
.LBB269_1038:                           ;   in Loop: Header=BB269_815 Depth=1
	s_or_b64 exec, exec, s[12:13]
	v_mov_b32_e32 v24, v55
	s_and_saveexec_b64 s[12:13], s[0:1]
	s_cbranch_execz .LBB269_1040
.LBB269_1039:                           ;   in Loop: Header=BB269_815 Depth=1
	v_and_b32_e32 v7, 7, v55
	v_ffbh_u32_e32 v7, v7
	v_bfe_u32 v12, v55, 3, 4
	v_min_u32_e32 v7, 32, v7
	v_subrev_u32_e32 v13, 28, v7
	v_sub_u32_e32 v7, 29, v7
	v_cmp_eq_u32_e64 s[0:1], 0, v12
	s_nop 1
	v_cndmask_b32_e64 v7, v12, v7, s[0:1]
	v_cndmask_b32_e64 v12, 0, v13, s[0:1]
	v_lshlrev_b64 v[12:13], v12, v[24:25]
	v_lshlrev_b32_e32 v13, 8, v55
	v_lshl_add_u32 v7, v7, 10, v1
	v_lshlrev_b32_e32 v12, 7, v12
	v_and_or_b32 v7, v13, s25, v7
	v_and_or_b32 v7, v12, s26, v7
	v_cvt_f32_f16_e32 v7, v7
.LBB269_1040:                           ;   in Loop: Header=BB269_815 Depth=1
	s_or_b64 exec, exec, s[12:13]
	v_lshrrev_b16_e32 v24, 8, v24
	v_cmp_lt_i16_e64 s[0:1], s17, v24
	s_mov_b64 s[12:13], 0
                                        ; implicit-def: $sgpr30
	s_and_saveexec_b64 s[20:21], s[0:1]
	s_xor_b64 s[20:21], exec, s[20:21]
	s_cbranch_execnz .LBB269_1436
; %bb.1041:                             ;   in Loop: Header=BB269_815 Depth=1
	s_or_saveexec_b64 s[20:21], s[20:21]
	v_mov_b32_e32 v12, s30
	s_xor_b64 exec, exec, s[20:21]
	s_cbranch_execnz .LBB269_1439
.LBB269_1042:                           ;   in Loop: Header=BB269_815 Depth=1
	s_or_b64 exec, exec, s[20:21]
	s_and_saveexec_b64 s[20:21], s[12:13]
	s_cbranch_execz .LBB269_1044
.LBB269_1043:                           ;   in Loop: Header=BB269_815 Depth=1
	v_and_b32_e32 v19, 7, v24
	v_ffbh_u32_e32 v12, v19
	v_min_u32_e32 v23, 32, v12
	v_subrev_u32_e32 v12, 28, v23
	v_bfe_u32 v22, v24, 3, 4
	v_lshlrev_b64 v[12:13], v12, v[24:25]
	v_sub_u32_e32 v13, 29, v23
	v_cmp_eq_u32_e64 s[0:1], 0, v22
	v_and_b32_e32 v12, 7, v12
	s_nop 0
	v_cndmask_b32_e64 v13, v22, v13, s[0:1]
	v_cndmask_b32_e64 v12, v19, v12, s[0:1]
	v_lshlrev_b32_e32 v19, 8, v24
	v_lshl_add_u32 v13, v13, 10, v1
	v_and_or_b32 v13, v19, s25, v13
	v_lshl_or_b32 v12, v12, 7, v13
	v_cvt_f32_f16_e32 v12, v12
.LBB269_1044:                           ;   in Loop: Header=BB269_815 Depth=1
	s_or_b64 exec, exec, s[20:21]
	v_lshrrev_b32_e32 v24, 16, v55
	v_cmp_gt_i16_sdwa s[12:13], v24, s17 src0_sel:BYTE_0 src1_sel:DWORD
	s_mov_b64 s[0:1], 0
                                        ; implicit-def: $sgpr22
	s_and_saveexec_b64 s[20:21], s[12:13]
	s_xor_b64 s[12:13], exec, s[20:21]
	s_cbranch_execnz .LBB269_1440
; %bb.1045:                             ;   in Loop: Header=BB269_815 Depth=1
	s_or_saveexec_b64 s[12:13], s[12:13]
	v_mov_b32_e32 v13, s22
	s_xor_b64 exec, exec, s[12:13]
	s_cbranch_execnz .LBB269_1443
.LBB269_1046:                           ;   in Loop: Header=BB269_815 Depth=1
	s_or_b64 exec, exec, s[12:13]
	s_and_saveexec_b64 s[12:13], s[0:1]
	s_cbranch_execz .LBB269_1048
.LBB269_1047:                           ;   in Loop: Header=BB269_815 Depth=1
	v_bfe_u32 v13, v55, 16, 3
	v_ffbh_u32_e32 v22, v13
	v_min_u32_e32 v26, 32, v22
	v_subrev_u32_e32 v22, 28, v26
	v_bfe_u32 v19, v55, 19, 4
	v_lshlrev_b64 v[22:23], v22, v[24:25]
	v_sub_u32_e32 v23, 29, v26
	v_cmp_eq_u32_e64 s[0:1], 0, v19
	v_and_b32_e32 v22, 7, v22
	s_nop 0
	v_cndmask_b32_e64 v19, v19, v23, s[0:1]
	v_cndmask_b32_e64 v13, v13, v22, s[0:1]
	v_lshlrev_b32_e32 v22, 8, v24
	v_lshl_add_u32 v19, v19, 10, v1
	v_and_or_b32 v19, v22, s25, v19
	v_lshl_or_b32 v13, v13, 7, v19
	v_cvt_f32_f16_e32 v13, v13
.LBB269_1048:                           ;   in Loop: Header=BB269_815 Depth=1
	s_or_b64 exec, exec, s[12:13]
	v_lshrrev_b32_e32 v24, 24, v55
	v_cmp_lt_i16_e64 s[0:1], s17, v24
	s_mov_b64 s[12:13], 0
                                        ; implicit-def: $sgpr30
	s_and_saveexec_b64 s[20:21], s[0:1]
	s_xor_b64 s[20:21], exec, s[20:21]
	s_cbranch_execnz .LBB269_1444
; %bb.1049:                             ;   in Loop: Header=BB269_815 Depth=1
	s_or_saveexec_b64 s[20:21], s[20:21]
	v_mov_b32_e32 v23, s30
	s_xor_b64 exec, exec, s[20:21]
	s_cbranch_execnz .LBB269_1447
.LBB269_1050:                           ;   in Loop: Header=BB269_815 Depth=1
	s_or_b64 exec, exec, s[20:21]
	s_and_saveexec_b64 s[20:21], s[12:13]
	s_cbranch_execz .LBB269_1052
.LBB269_1051:                           ;   in Loop: Header=BB269_815 Depth=1
	v_bfe_u32 v19, v55, 24, 3
	v_ffbh_u32_e32 v22, v19
	v_min_u32_e32 v27, 32, v22
	v_subrev_u32_e32 v22, 28, v27
	v_bfe_u32 v26, v55, 27, 4
	v_lshlrev_b64 v[22:23], v22, v[24:25]
	v_sub_u32_e32 v23, 29, v27
	v_cmp_eq_u32_e64 s[0:1], 0, v26
	v_and_b32_e32 v22, 7, v22
	s_nop 0
	v_cndmask_b32_e64 v23, v26, v23, s[0:1]
	v_cndmask_b32_e64 v19, v19, v22, s[0:1]
	v_lshlrev_b32_e32 v22, 8, v24
	v_lshl_add_u32 v23, v23, 10, v1
	v_and_or_b32 v22, v22, s25, v23
	v_lshl_or_b32 v19, v19, 7, v22
	v_cvt_f32_f16_e32 v23, v19
.LBB269_1052:                           ;   in Loop: Header=BB269_815 Depth=1
	s_or_b64 exec, exec, s[20:21]
	v_pk_mul_f32 v[54:55], v[52:53], v[42:43] op_sel_hi:[0,1]
	v_pk_mul_f32 v[40:41], v[52:53], v[40:41] op_sel_hi:[0,1]
	v_cvt_f16_f32_e32 v19, v55
	v_cvt_f16_f32_e32 v22, v54
	;; [unrolled: 1-line block ×4, first 2 shown]
	v_fma_mixlo_f16 v12, v52, v12, 0
	v_lshlrev_b32_e32 v12, 16, v12
	v_fma_mixlo_f16 v7, v52, v7, 0
	v_or_b32_sdwa v7, v12, v7 dst_sel:DWORD dst_unused:UNUSED_PAD src0_sel:DWORD src1_sel:WORD_0
	v_fma_mixlo_f16 v12, v52, v23, 0
	v_pack_b32_f16 v22, v22, v19
	v_pack_b32_f16 v24, v26, v24
	v_fma_mixlo_f16 v13, v52, v13, 0
	v_lshlrev_b32_e32 v12, 16, v12
	v_perm_b32 v19, v24, v22, s27
	v_perm_b32 v22, v24, v22, s28
	v_or_b32_sdwa v12, v12, v13 dst_sel:DWORD dst_unused:UNUSED_PAD src0_sel:DWORD src1_sel:WORD_0
	s_and_saveexec_b64 s[12:13], vcc
	s_cbranch_execz .LBB269_1054
; %bb.1053:                             ;   in Loop: Header=BB269_815 Depth=1
	v_lshrrev_b32_e32 v23, 16, v22
	v_cmp_lt_i32_e64 s[0:1], v6, v3
	v_accvgpr_read_b32 v24, a8
	v_lshrrev_b32_e32 v12, 16, v12
	v_cndmask_b32_e64 v23, 0, v23, s[0:1]
	v_cmp_lt_i32_e64 s[0:1], v61, v24
	s_nop 1
	v_cndmask_b32_e64 v22, 0, v22, s[0:1]
	v_perm_b32 v22, v23, v22, s29
	v_lshrrev_b32_e32 v23, 16, v19
	v_cmp_lt_i32_e64 s[0:1], v56, v3
	s_nop 1
	v_cndmask_b32_e64 v23, 0, v23, s[0:1]
	v_cmp_lt_i32_e64 s[0:1], v59, v24
	s_nop 1
	v_cndmask_b32_e64 v19, 0, v19, s[0:1]
	v_perm_b32 v19, v23, v19, s29
	v_lshrrev_b32_e32 v23, 16, v7
	v_cmp_lt_i32_e64 s[0:1], v58, v3
	s_nop 1
	v_cndmask_b32_e64 v23, 0, v23, s[0:1]
	v_cmp_lt_i32_e64 s[0:1], v62, v24
	s_nop 1
	v_cndmask_b32_e64 v7, 0, v7, s[0:1]
	v_cmp_lt_i32_e64 s[0:1], v57, v3
	v_perm_b32 v7, v23, v7, s29
	s_nop 0
	v_cndmask_b32_e64 v12, 0, v12, s[0:1]
	v_cmp_lt_i32_e64 s[0:1], v0, v24
	s_nop 1
	v_cndmask_b32_e64 v13, 0, v13, s[0:1]
	v_perm_b32 v12, v12, v13, s29
.LBB269_1054:                           ;   in Loop: Header=BB269_815 Depth=1
	s_or_b64 exec, exec, s[12:13]
	;;#ASMSTART
	v_pk_mul_f16 v13, v18, v22;

	;;#ASMEND
	;;#ASMSTART
	v_pk_mul_f16 v19, v46, v19;

	;;#ASMEND
	;; [unrolled: 4-line block ×4, first 2 shown]
	s_mov_b64 s[0:1], 0
	;;#ASMSTART
	v_pk_add_f16 v13, v13, v19;

	;;#ASMEND
                                        ; implicit-def: $sgpr22
	s_nop 0
	;;#ASMSTART
	v_pk_add_f16 v7, v13, v7;

	;;#ASMEND
	s_nop 0
	;;#ASMSTART
	v_pk_add_f16 v7, v7, v12;

	;;#ASMEND
	s_nop 0
	v_lshrrev_b32_e32 v12, 16, v7
	v_and_b32_e32 v7, 0xffff, v7
	;;#ASMSTART
	v_cvt_f32_f16 v42, v7;
	;;#ASMEND
	;;#ASMSTART
	v_cvt_f32_f16 v43, v12;
	;;#ASMEND
	v_accvgpr_read_b32 v13, a5
	flat_load_dwordx2 v[52:53], v[50:51] offset:3584
	v_accvgpr_read_b32 v12, a4
	flat_load_dword v50, v[12:13]
	s_waitcnt vmcnt(0) lgkmcnt(0)
	v_cmp_gt_i16_sdwa s[12:13], v52, s17 src0_sel:BYTE_0 src1_sel:DWORD
	s_and_saveexec_b64 s[20:21], s[12:13]
	s_xor_b64 s[12:13], exec, s[20:21]
	s_cbranch_execnz .LBB269_1448
; %bb.1055:                             ;   in Loop: Header=BB269_815 Depth=1
	s_or_saveexec_b64 s[12:13], s[12:13]
	v_mov_b32_e32 v54, s22
	s_xor_b64 exec, exec, s[12:13]
	s_cbranch_execnz .LBB269_1451
.LBB269_1056:                           ;   in Loop: Header=BB269_815 Depth=1
	s_or_b64 exec, exec, s[12:13]
	s_and_saveexec_b64 s[12:13], s[0:1]
	s_cbranch_execz .LBB269_1058
.LBB269_1057:                           ;   in Loop: Header=BB269_815 Depth=1
	v_and_b32_e32 v7, 7, v52
	v_ffbh_u32_e32 v7, v7
	v_bfe_u32 v12, v52, 3, 4
	v_min_u32_e32 v7, 32, v7
	v_subrev_u32_e32 v13, 28, v7
	v_sub_u32_e32 v7, 29, v7
	v_cmp_eq_u32_e64 s[0:1], 0, v12
	s_nop 1
	v_cndmask_b32_e64 v7, v12, v7, s[0:1]
	v_cndmask_b32_e64 v12, 0, v13, s[0:1]
	v_lshlrev_b64 v[12:13], v12, v[52:53]
	v_lshlrev_b32_e32 v13, 8, v52
	v_lshl_add_u32 v7, v7, 10, v1
	v_lshlrev_b32_e32 v12, 7, v12
	v_and_or_b32 v7, v13, s25, v7
	v_and_or_b32 v7, v12, s26, v7
	v_cvt_f32_f16_e32 v54, v7
.LBB269_1058:                           ;   in Loop: Header=BB269_815 Depth=1
	s_or_b64 exec, exec, s[12:13]
	v_lshrrev_b16_e32 v24, 8, v52
	v_cmp_lt_i16_e64 s[0:1], s17, v24
	s_mov_b64 s[12:13], 0
                                        ; implicit-def: $sgpr30
	s_and_saveexec_b64 s[20:21], s[0:1]
	s_xor_b64 s[20:21], exec, s[20:21]
	s_cbranch_execnz .LBB269_1452
; %bb.1059:                             ;   in Loop: Header=BB269_815 Depth=1
	s_or_saveexec_b64 s[20:21], s[20:21]
	v_mov_b32_e32 v40, s30
	s_xor_b64 exec, exec, s[20:21]
	s_cbranch_execnz .LBB269_1455
.LBB269_1060:                           ;   in Loop: Header=BB269_815 Depth=1
	s_or_b64 exec, exec, s[20:21]
	s_and_saveexec_b64 s[20:21], s[12:13]
	s_cbranch_execz .LBB269_1062
.LBB269_1061:                           ;   in Loop: Header=BB269_815 Depth=1
	v_and_b32_e32 v7, 7, v24
	v_ffbh_u32_e32 v12, v7
	v_min_u32_e32 v22, 32, v12
	v_subrev_u32_e32 v12, 28, v22
	v_bfe_u32 v19, v24, 3, 4
	v_lshlrev_b64 v[12:13], v12, v[24:25]
	v_sub_u32_e32 v13, 29, v22
	v_cmp_eq_u32_e64 s[0:1], 0, v19
	v_and_b32_e32 v12, 7, v12
	s_nop 0
	v_cndmask_b32_e64 v13, v19, v13, s[0:1]
	v_cndmask_b32_e64 v7, v7, v12, s[0:1]
	v_lshlrev_b32_e32 v12, 8, v24
	v_lshl_add_u32 v13, v13, 10, v1
	v_and_or_b32 v12, v12, s25, v13
	v_lshl_or_b32 v7, v7, 7, v12
	v_cvt_f32_f16_e32 v40, v7
.LBB269_1062:                           ;   in Loop: Header=BB269_815 Depth=1
	s_or_b64 exec, exec, s[20:21]
	v_lshrrev_b32_e32 v24, 16, v52
	v_cmp_gt_i16_sdwa s[12:13], v24, s17 src0_sel:BYTE_0 src1_sel:DWORD
	s_mov_b64 s[0:1], 0
                                        ; implicit-def: $sgpr22
	s_and_saveexec_b64 s[20:21], s[12:13]
	s_xor_b64 s[12:13], exec, s[20:21]
	s_cbranch_execnz .LBB269_1456
; %bb.1063:                             ;   in Loop: Header=BB269_815 Depth=1
	s_or_saveexec_b64 s[12:13], s[12:13]
	v_mov_b32_e32 v55, s22
	s_xor_b64 exec, exec, s[12:13]
	s_cbranch_execnz .LBB269_1459
.LBB269_1064:                           ;   in Loop: Header=BB269_815 Depth=1
	s_or_b64 exec, exec, s[12:13]
	s_and_saveexec_b64 s[12:13], s[0:1]
	s_cbranch_execz .LBB269_1066
.LBB269_1065:                           ;   in Loop: Header=BB269_815 Depth=1
	v_bfe_u32 v7, v52, 16, 3
	v_ffbh_u32_e32 v12, v7
	v_min_u32_e32 v22, 32, v12
	v_subrev_u32_e32 v12, 28, v22
	v_bfe_u32 v19, v52, 19, 4
	v_lshlrev_b64 v[12:13], v12, v[24:25]
	v_sub_u32_e32 v13, 29, v22
	v_cmp_eq_u32_e64 s[0:1], 0, v19
	v_and_b32_e32 v12, 7, v12
	s_nop 0
	v_cndmask_b32_e64 v13, v19, v13, s[0:1]
	v_cndmask_b32_e64 v7, v7, v12, s[0:1]
	v_lshlrev_b32_e32 v12, 8, v24
	v_lshl_add_u32 v13, v13, 10, v1
	v_and_or_b32 v12, v12, s25, v13
	v_lshl_or_b32 v7, v7, 7, v12
	v_cvt_f32_f16_e32 v55, v7
.LBB269_1066:                           ;   in Loop: Header=BB269_815 Depth=1
	s_or_b64 exec, exec, s[12:13]
	v_lshrrev_b32_e32 v24, 24, v52
	v_cmp_lt_i16_e64 s[0:1], s17, v24
	s_mov_b64 s[12:13], 0
                                        ; implicit-def: $sgpr30
	s_and_saveexec_b64 s[20:21], s[0:1]
	s_xor_b64 s[20:21], exec, s[20:21]
	s_cbranch_execnz .LBB269_1460
; %bb.1067:                             ;   in Loop: Header=BB269_815 Depth=1
	s_or_saveexec_b64 s[20:21], s[20:21]
	v_mov_b32_e32 v41, s30
	s_xor_b64 exec, exec, s[20:21]
	s_cbranch_execnz .LBB269_1463
.LBB269_1068:                           ;   in Loop: Header=BB269_815 Depth=1
	s_or_b64 exec, exec, s[20:21]
	s_and_saveexec_b64 s[20:21], s[12:13]
	s_cbranch_execz .LBB269_1070
.LBB269_1069:                           ;   in Loop: Header=BB269_815 Depth=1
	v_bfe_u32 v7, v52, 24, 3
	v_ffbh_u32_e32 v12, v7
	v_min_u32_e32 v22, 32, v12
	v_subrev_u32_e32 v12, 28, v22
	v_bfe_u32 v19, v52, 27, 4
	v_lshlrev_b64 v[12:13], v12, v[24:25]
	v_sub_u32_e32 v13, 29, v22
	v_cmp_eq_u32_e64 s[0:1], 0, v19
	v_and_b32_e32 v12, 7, v12
	s_nop 0
	v_cndmask_b32_e64 v13, v19, v13, s[0:1]
	v_cndmask_b32_e64 v7, v7, v12, s[0:1]
	v_lshlrev_b32_e32 v12, 8, v24
	v_lshl_add_u32 v13, v13, 10, v1
	v_and_or_b32 v12, v12, s25, v13
	v_lshl_or_b32 v7, v7, 7, v12
	v_cvt_f32_f16_e32 v41, v7
.LBB269_1070:                           ;   in Loop: Header=BB269_815 Depth=1
	s_or_b64 exec, exec, s[20:21]
	v_cmp_gt_i16_sdwa s[12:13], v53, s17 src0_sel:BYTE_0 src1_sel:DWORD
	s_mov_b64 s[0:1], 0
                                        ; implicit-def: $sgpr22
	s_and_saveexec_b64 s[20:21], s[12:13]
	s_xor_b64 s[12:13], exec, s[20:21]
	s_cbranch_execnz .LBB269_1464
; %bb.1071:                             ;   in Loop: Header=BB269_815 Depth=1
	s_or_saveexec_b64 s[12:13], s[12:13]
	v_mov_b32_e32 v7, s22
	s_xor_b64 exec, exec, s[12:13]
	s_cbranch_execnz .LBB269_1467
.LBB269_1072:                           ;   in Loop: Header=BB269_815 Depth=1
	s_or_b64 exec, exec, s[12:13]
	v_mov_b32_e32 v24, v53
	s_and_saveexec_b64 s[12:13], s[0:1]
	s_cbranch_execz .LBB269_1074
.LBB269_1073:                           ;   in Loop: Header=BB269_815 Depth=1
	v_and_b32_e32 v7, 7, v53
	v_ffbh_u32_e32 v7, v7
	v_bfe_u32 v12, v53, 3, 4
	v_min_u32_e32 v7, 32, v7
	v_subrev_u32_e32 v13, 28, v7
	v_sub_u32_e32 v7, 29, v7
	v_cmp_eq_u32_e64 s[0:1], 0, v12
	s_nop 1
	v_cndmask_b32_e64 v7, v12, v7, s[0:1]
	v_cndmask_b32_e64 v12, 0, v13, s[0:1]
	v_lshlrev_b64 v[12:13], v12, v[24:25]
	v_lshlrev_b32_e32 v13, 8, v53
	v_lshl_add_u32 v7, v7, 10, v1
	v_lshlrev_b32_e32 v12, 7, v12
	v_and_or_b32 v7, v13, s25, v7
	v_and_or_b32 v7, v12, s26, v7
	v_cvt_f32_f16_e32 v7, v7
.LBB269_1074:                           ;   in Loop: Header=BB269_815 Depth=1
	s_or_b64 exec, exec, s[12:13]
	v_lshrrev_b16_e32 v24, 8, v24
	v_cmp_lt_i16_e64 s[0:1], s17, v24
	s_mov_b64 s[12:13], 0
                                        ; implicit-def: $sgpr30
	s_and_saveexec_b64 s[20:21], s[0:1]
	s_xor_b64 s[20:21], exec, s[20:21]
	s_cbranch_execnz .LBB269_1468
; %bb.1075:                             ;   in Loop: Header=BB269_815 Depth=1
	s_or_saveexec_b64 s[20:21], s[20:21]
	v_mov_b32_e32 v12, s30
	s_xor_b64 exec, exec, s[20:21]
	s_cbranch_execnz .LBB269_1471
.LBB269_1076:                           ;   in Loop: Header=BB269_815 Depth=1
	s_or_b64 exec, exec, s[20:21]
	s_and_saveexec_b64 s[20:21], s[12:13]
	s_cbranch_execz .LBB269_1078
.LBB269_1077:                           ;   in Loop: Header=BB269_815 Depth=1
	v_and_b32_e32 v19, 7, v24
	v_ffbh_u32_e32 v12, v19
	v_min_u32_e32 v23, 32, v12
	v_subrev_u32_e32 v12, 28, v23
	v_bfe_u32 v22, v24, 3, 4
	v_lshlrev_b64 v[12:13], v12, v[24:25]
	v_sub_u32_e32 v13, 29, v23
	v_cmp_eq_u32_e64 s[0:1], 0, v22
	v_and_b32_e32 v12, 7, v12
	s_nop 0
	v_cndmask_b32_e64 v13, v22, v13, s[0:1]
	v_cndmask_b32_e64 v12, v19, v12, s[0:1]
	v_lshlrev_b32_e32 v19, 8, v24
	v_lshl_add_u32 v13, v13, 10, v1
	v_and_or_b32 v13, v19, s25, v13
	v_lshl_or_b32 v12, v12, 7, v13
	v_cvt_f32_f16_e32 v12, v12
.LBB269_1078:                           ;   in Loop: Header=BB269_815 Depth=1
	s_or_b64 exec, exec, s[20:21]
	v_lshrrev_b32_e32 v24, 16, v53
	v_cmp_gt_i16_sdwa s[12:13], v24, s17 src0_sel:BYTE_0 src1_sel:DWORD
	s_mov_b64 s[0:1], 0
                                        ; implicit-def: $sgpr22
	s_and_saveexec_b64 s[20:21], s[12:13]
	s_xor_b64 s[12:13], exec, s[20:21]
	s_cbranch_execnz .LBB269_1472
; %bb.1079:                             ;   in Loop: Header=BB269_815 Depth=1
	s_or_saveexec_b64 s[12:13], s[12:13]
	v_mov_b32_e32 v13, s22
	s_xor_b64 exec, exec, s[12:13]
	s_cbranch_execnz .LBB269_1475
.LBB269_1080:                           ;   in Loop: Header=BB269_815 Depth=1
	s_or_b64 exec, exec, s[12:13]
	s_and_saveexec_b64 s[12:13], s[0:1]
	s_cbranch_execz .LBB269_1082
.LBB269_1081:                           ;   in Loop: Header=BB269_815 Depth=1
	v_bfe_u32 v13, v53, 16, 3
	v_ffbh_u32_e32 v22, v13
	v_min_u32_e32 v26, 32, v22
	v_subrev_u32_e32 v22, 28, v26
	v_bfe_u32 v19, v53, 19, 4
	v_lshlrev_b64 v[22:23], v22, v[24:25]
	v_sub_u32_e32 v23, 29, v26
	v_cmp_eq_u32_e64 s[0:1], 0, v19
	v_and_b32_e32 v22, 7, v22
	s_nop 0
	v_cndmask_b32_e64 v19, v19, v23, s[0:1]
	v_cndmask_b32_e64 v13, v13, v22, s[0:1]
	v_lshlrev_b32_e32 v22, 8, v24
	v_lshl_add_u32 v19, v19, 10, v1
	v_and_or_b32 v19, v22, s25, v19
	v_lshl_or_b32 v13, v13, 7, v19
	v_cvt_f32_f16_e32 v13, v13
.LBB269_1082:                           ;   in Loop: Header=BB269_815 Depth=1
	s_or_b64 exec, exec, s[12:13]
	v_lshrrev_b32_e32 v24, 24, v53
	v_cmp_lt_i16_e64 s[0:1], s17, v24
	s_mov_b64 s[12:13], 0
                                        ; implicit-def: $sgpr30
	s_and_saveexec_b64 s[20:21], s[0:1]
	s_xor_b64 s[20:21], exec, s[20:21]
	s_cbranch_execnz .LBB269_1476
; %bb.1083:                             ;   in Loop: Header=BB269_815 Depth=1
	s_or_saveexec_b64 s[20:21], s[20:21]
	v_mov_b32_e32 v23, s30
	s_xor_b64 exec, exec, s[20:21]
	s_cbranch_execnz .LBB269_1479
.LBB269_1084:                           ;   in Loop: Header=BB269_815 Depth=1
	s_or_b64 exec, exec, s[20:21]
	s_and_saveexec_b64 s[20:21], s[12:13]
	s_cbranch_execz .LBB269_1086
.LBB269_1085:                           ;   in Loop: Header=BB269_815 Depth=1
	v_bfe_u32 v19, v53, 24, 3
	v_ffbh_u32_e32 v22, v19
	v_min_u32_e32 v27, 32, v22
	v_subrev_u32_e32 v22, 28, v27
	v_bfe_u32 v26, v53, 27, 4
	v_lshlrev_b64 v[22:23], v22, v[24:25]
	v_sub_u32_e32 v23, 29, v27
	v_cmp_eq_u32_e64 s[0:1], 0, v26
	v_and_b32_e32 v22, 7, v22
	s_nop 0
	v_cndmask_b32_e64 v23, v26, v23, s[0:1]
	v_cndmask_b32_e64 v19, v19, v22, s[0:1]
	v_lshlrev_b32_e32 v22, 8, v24
	v_lshl_add_u32 v23, v23, 10, v1
	v_and_or_b32 v22, v22, s25, v23
	v_lshl_or_b32 v19, v19, 7, v22
	v_cvt_f32_f16_e32 v23, v19
.LBB269_1086:                           ;   in Loop: Header=BB269_815 Depth=1
	s_or_b64 exec, exec, s[20:21]
	v_pk_mul_f32 v[52:53], v[50:51], v[40:41] op_sel_hi:[0,1]
	v_pk_mul_f32 v[54:55], v[50:51], v[54:55] op_sel_hi:[0,1]
	v_cvt_f16_f32_e32 v19, v53
	v_cvt_f16_f32_e32 v22, v52
	;; [unrolled: 1-line block ×4, first 2 shown]
	v_fma_mixlo_f16 v12, v50, v12, 0
	v_lshlrev_b32_e32 v12, 16, v12
	v_fma_mixlo_f16 v7, v50, v7, 0
	v_or_b32_sdwa v7, v12, v7 dst_sel:DWORD dst_unused:UNUSED_PAD src0_sel:DWORD src1_sel:WORD_0
	v_fma_mixlo_f16 v12, v50, v23, 0
	v_pack_b32_f16 v22, v22, v19
	v_pack_b32_f16 v24, v26, v24
	v_fma_mixlo_f16 v13, v50, v13, 0
	v_lshlrev_b32_e32 v12, 16, v12
	v_perm_b32 v19, v24, v22, s27
	v_perm_b32 v22, v24, v22, s28
	v_or_b32_sdwa v12, v12, v13 dst_sel:DWORD dst_unused:UNUSED_PAD src0_sel:DWORD src1_sel:WORD_0
	s_and_saveexec_b64 s[12:13], vcc
	s_cbranch_execz .LBB269_1088
; %bb.1087:                             ;   in Loop: Header=BB269_815 Depth=1
	v_lshrrev_b32_e32 v23, 16, v22
	v_cmp_lt_i32_e64 s[0:1], v6, v3
	v_accvgpr_read_b32 v24, a8
	v_lshrrev_b32_e32 v12, 16, v12
	v_cndmask_b32_e64 v23, 0, v23, s[0:1]
	v_cmp_lt_i32_e64 s[0:1], v61, v24
	s_nop 1
	v_cndmask_b32_e64 v22, 0, v22, s[0:1]
	v_perm_b32 v22, v23, v22, s29
	v_lshrrev_b32_e32 v23, 16, v19
	v_cmp_lt_i32_e64 s[0:1], v56, v3
	s_nop 1
	v_cndmask_b32_e64 v23, 0, v23, s[0:1]
	v_cmp_lt_i32_e64 s[0:1], v59, v24
	s_nop 1
	v_cndmask_b32_e64 v19, 0, v19, s[0:1]
	v_perm_b32 v19, v23, v19, s29
	v_lshrrev_b32_e32 v23, 16, v7
	v_cmp_lt_i32_e64 s[0:1], v58, v3
	s_nop 1
	v_cndmask_b32_e64 v23, 0, v23, s[0:1]
	v_cmp_lt_i32_e64 s[0:1], v62, v24
	s_nop 1
	v_cndmask_b32_e64 v7, 0, v7, s[0:1]
	v_cmp_lt_i32_e64 s[0:1], v57, v3
	v_perm_b32 v7, v23, v7, s29
	s_nop 0
	v_cndmask_b32_e64 v12, 0, v12, s[0:1]
	v_cmp_lt_i32_e64 s[0:1], v0, v24
	s_nop 1
	v_cndmask_b32_e64 v13, 0, v13, s[0:1]
	v_perm_b32 v12, v12, v13, s29
.LBB269_1088:                           ;   in Loop: Header=BB269_815 Depth=1
	s_or_b64 exec, exec, s[12:13]
	;;#ASMSTART
	v_pk_mul_f16 v13, v18, v22;

	;;#ASMEND
	;;#ASMSTART
	v_pk_mul_f16 v19, v46, v19;

	;;#ASMEND
	;; [unrolled: 4-line block ×3, first 2 shown]
	v_accvgpr_read_b32 v22, a26
	;;#ASMSTART
	v_pk_mul_f16 v12, v44, v12;

	;;#ASMEND
	;;#ASMSTART
	v_pk_add_f16 v13, v13, v19;

	;;#ASMEND
	v_accvgpr_read_b32 v23, a27
	;;#ASMSTART
	v_pk_add_f16 v7, v13, v7;

	;;#ASMEND
	v_lshl_add_u64 v[22:23], v[14:15], 0, v[22:23]
	;;#ASMSTART
	v_pk_add_f16 v7, v7, v12;

	;;#ASMEND
	s_mov_b64 s[0:1], 0
	v_lshrrev_b32_e32 v12, 16, v7
	v_and_b32_e32 v7, 0xffff, v7
	;;#ASMSTART
	v_cvt_f32_f16 v13, v7;
	;;#ASMEND
	;;#ASMSTART
	v_cvt_f32_f16 v45, v12;
	;;#ASMEND
	flat_load_dwordx2 v[52:53], v[22:23]
	v_accvgpr_read_b32 v23, a5
	v_accvgpr_read_b32 v22, a4
	flat_load_dword v50, v[22:23]
                                        ; implicit-def: $sgpr22
	s_waitcnt vmcnt(0) lgkmcnt(0)
	v_cmp_gt_i16_sdwa s[12:13], v52, s17 src0_sel:BYTE_0 src1_sel:DWORD
	s_and_saveexec_b64 s[20:21], s[12:13]
	s_xor_b64 s[12:13], exec, s[20:21]
	s_cbranch_execnz .LBB269_1480
; %bb.1089:                             ;   in Loop: Header=BB269_815 Depth=1
	s_or_saveexec_b64 s[12:13], s[12:13]
	v_mov_b32_e32 v54, s22
	s_xor_b64 exec, exec, s[12:13]
	s_cbranch_execnz .LBB269_1483
.LBB269_1090:                           ;   in Loop: Header=BB269_815 Depth=1
	s_or_b64 exec, exec, s[12:13]
	s_and_saveexec_b64 s[12:13], s[0:1]
	s_cbranch_execz .LBB269_1092
.LBB269_1091:                           ;   in Loop: Header=BB269_815 Depth=1
	v_and_b32_e32 v7, 7, v52
	v_ffbh_u32_e32 v7, v7
	v_bfe_u32 v12, v52, 3, 4
	v_min_u32_e32 v7, 32, v7
	v_subrev_u32_e32 v19, 28, v7
	v_sub_u32_e32 v7, 29, v7
	v_cmp_eq_u32_e64 s[0:1], 0, v12
	s_nop 1
	v_cndmask_b32_e64 v7, v12, v7, s[0:1]
	v_cndmask_b32_e64 v12, 0, v19, s[0:1]
	v_lshlrev_b64 v[22:23], v12, v[52:53]
	v_lshlrev_b32_e32 v19, 8, v52
	v_lshl_add_u32 v7, v7, 10, v1
	v_lshlrev_b32_e32 v12, 7, v22
	v_and_or_b32 v7, v19, s25, v7
	v_and_or_b32 v7, v12, s26, v7
	v_cvt_f32_f16_e32 v54, v7
.LBB269_1092:                           ;   in Loop: Header=BB269_815 Depth=1
	s_or_b64 exec, exec, s[12:13]
	v_lshrrev_b16_e32 v24, 8, v52
	v_cmp_lt_i16_e64 s[0:1], s17, v24
	s_mov_b64 s[12:13], 0
                                        ; implicit-def: $sgpr30
	s_and_saveexec_b64 s[20:21], s[0:1]
	s_xor_b64 s[20:21], exec, s[20:21]
	s_cbranch_execnz .LBB269_1484
; %bb.1093:                             ;   in Loop: Header=BB269_815 Depth=1
	s_or_saveexec_b64 s[20:21], s[20:21]
	v_mov_b32_e32 v40, s30
	s_xor_b64 exec, exec, s[20:21]
	s_cbranch_execnz .LBB269_1487
.LBB269_1094:                           ;   in Loop: Header=BB269_815 Depth=1
	s_or_b64 exec, exec, s[20:21]
	s_and_saveexec_b64 s[20:21], s[12:13]
	s_cbranch_execz .LBB269_1096
.LBB269_1095:                           ;   in Loop: Header=BB269_815 Depth=1
	v_and_b32_e32 v7, 7, v24
	v_ffbh_u32_e32 v19, v7
	v_bfe_u32 v12, v24, 3, 4
	v_min_u32_e32 v19, 32, v19
	v_subrev_u32_e32 v22, 28, v19
	v_sub_u32_e32 v19, 29, v19
	v_cmp_eq_u32_e64 s[0:1], 0, v12
	v_lshlrev_b64 v[22:23], v22, v[24:25]
	v_and_b32_e32 v22, 7, v22
	v_cndmask_b32_e64 v12, v12, v19, s[0:1]
	v_lshlrev_b32_e32 v19, 8, v24
	v_lshl_add_u32 v12, v12, 10, v1
	v_cndmask_b32_e64 v7, v7, v22, s[0:1]
	v_and_or_b32 v12, v19, s25, v12
	v_lshl_or_b32 v7, v7, 7, v12
	v_cvt_f32_f16_e32 v40, v7
.LBB269_1096:                           ;   in Loop: Header=BB269_815 Depth=1
	s_or_b64 exec, exec, s[20:21]
	v_lshrrev_b32_e32 v24, 16, v52
	v_cmp_gt_i16_sdwa s[12:13], v24, s17 src0_sel:BYTE_0 src1_sel:DWORD
	s_mov_b64 s[0:1], 0
                                        ; implicit-def: $sgpr22
	s_and_saveexec_b64 s[20:21], s[12:13]
	s_xor_b64 s[12:13], exec, s[20:21]
	s_cbranch_execnz .LBB269_1488
; %bb.1097:                             ;   in Loop: Header=BB269_815 Depth=1
	s_or_saveexec_b64 s[12:13], s[12:13]
	v_mov_b32_e32 v55, s22
	s_xor_b64 exec, exec, s[12:13]
	s_cbranch_execnz .LBB269_1491
.LBB269_1098:                           ;   in Loop: Header=BB269_815 Depth=1
	s_or_b64 exec, exec, s[12:13]
	s_and_saveexec_b64 s[12:13], s[0:1]
	s_cbranch_execz .LBB269_1100
.LBB269_1099:                           ;   in Loop: Header=BB269_815 Depth=1
	v_bfe_u32 v7, v52, 16, 3
	v_ffbh_u32_e32 v19, v7
	v_bfe_u32 v12, v52, 19, 4
	v_min_u32_e32 v19, 32, v19
	v_subrev_u32_e32 v22, 28, v19
	v_sub_u32_e32 v19, 29, v19
	v_cmp_eq_u32_e64 s[0:1], 0, v12
	v_lshlrev_b64 v[22:23], v22, v[24:25]
	v_and_b32_e32 v22, 7, v22
	v_cndmask_b32_e64 v12, v12, v19, s[0:1]
	v_lshlrev_b32_e32 v19, 8, v24
	v_lshl_add_u32 v12, v12, 10, v1
	v_cndmask_b32_e64 v7, v7, v22, s[0:1]
	v_and_or_b32 v12, v19, s25, v12
	v_lshl_or_b32 v7, v7, 7, v12
	v_cvt_f32_f16_e32 v55, v7
.LBB269_1100:                           ;   in Loop: Header=BB269_815 Depth=1
	s_or_b64 exec, exec, s[12:13]
	v_lshrrev_b32_e32 v24, 24, v52
	v_cmp_lt_i16_e64 s[0:1], s17, v24
	s_mov_b64 s[12:13], 0
                                        ; implicit-def: $sgpr30
	s_and_saveexec_b64 s[20:21], s[0:1]
	s_xor_b64 s[20:21], exec, s[20:21]
	s_cbranch_execnz .LBB269_1492
; %bb.1101:                             ;   in Loop: Header=BB269_815 Depth=1
	s_or_saveexec_b64 s[20:21], s[20:21]
	v_mov_b32_e32 v41, s30
	s_xor_b64 exec, exec, s[20:21]
	s_cbranch_execnz .LBB269_1495
.LBB269_1102:                           ;   in Loop: Header=BB269_815 Depth=1
	s_or_b64 exec, exec, s[20:21]
	s_and_saveexec_b64 s[20:21], s[12:13]
	s_cbranch_execz .LBB269_1104
.LBB269_1103:                           ;   in Loop: Header=BB269_815 Depth=1
	v_bfe_u32 v7, v52, 24, 3
	v_ffbh_u32_e32 v19, v7
	v_bfe_u32 v12, v52, 27, 4
	v_min_u32_e32 v19, 32, v19
	v_subrev_u32_e32 v22, 28, v19
	v_sub_u32_e32 v19, 29, v19
	v_cmp_eq_u32_e64 s[0:1], 0, v12
	v_lshlrev_b64 v[22:23], v22, v[24:25]
	v_and_b32_e32 v22, 7, v22
	v_cndmask_b32_e64 v12, v12, v19, s[0:1]
	v_lshlrev_b32_e32 v19, 8, v24
	v_lshl_add_u32 v12, v12, 10, v1
	v_cndmask_b32_e64 v7, v7, v22, s[0:1]
	v_and_or_b32 v12, v19, s25, v12
	v_lshl_or_b32 v7, v7, 7, v12
	v_cvt_f32_f16_e32 v41, v7
.LBB269_1104:                           ;   in Loop: Header=BB269_815 Depth=1
	s_or_b64 exec, exec, s[20:21]
	v_cmp_gt_i16_sdwa s[12:13], v53, s17 src0_sel:BYTE_0 src1_sel:DWORD
	s_mov_b64 s[0:1], 0
                                        ; implicit-def: $sgpr22
	s_and_saveexec_b64 s[20:21], s[12:13]
	s_xor_b64 s[12:13], exec, s[20:21]
	s_cbranch_execnz .LBB269_1496
; %bb.1105:                             ;   in Loop: Header=BB269_815 Depth=1
	s_or_saveexec_b64 s[12:13], s[12:13]
	v_mov_b32_e32 v7, s22
	s_xor_b64 exec, exec, s[12:13]
	s_cbranch_execnz .LBB269_1499
.LBB269_1106:                           ;   in Loop: Header=BB269_815 Depth=1
	s_or_b64 exec, exec, s[12:13]
	v_mov_b32_e32 v24, v53
	s_and_saveexec_b64 s[12:13], s[0:1]
	s_cbranch_execz .LBB269_1108
.LBB269_1107:                           ;   in Loop: Header=BB269_815 Depth=1
	v_and_b32_e32 v7, 7, v53
	v_ffbh_u32_e32 v7, v7
	v_bfe_u32 v12, v53, 3, 4
	v_min_u32_e32 v7, 32, v7
	v_subrev_u32_e32 v19, 28, v7
	v_sub_u32_e32 v7, 29, v7
	v_cmp_eq_u32_e64 s[0:1], 0, v12
	s_nop 1
	v_cndmask_b32_e64 v7, v12, v7, s[0:1]
	v_cndmask_b32_e64 v12, 0, v19, s[0:1]
	v_lshlrev_b64 v[22:23], v12, v[24:25]
	v_lshlrev_b32_e32 v19, 8, v53
	v_lshl_add_u32 v7, v7, 10, v1
	v_lshlrev_b32_e32 v12, 7, v22
	v_and_or_b32 v7, v19, s25, v7
	v_and_or_b32 v7, v12, s26, v7
	v_cvt_f32_f16_e32 v7, v7
.LBB269_1108:                           ;   in Loop: Header=BB269_815 Depth=1
	s_or_b64 exec, exec, s[12:13]
	v_lshrrev_b16_e32 v24, 8, v24
	v_cmp_lt_i16_e64 s[0:1], s17, v24
	s_mov_b64 s[12:13], 0
                                        ; implicit-def: $sgpr30
	s_and_saveexec_b64 s[20:21], s[0:1]
	s_xor_b64 s[20:21], exec, s[20:21]
	s_cbranch_execnz .LBB269_1500
; %bb.1109:                             ;   in Loop: Header=BB269_815 Depth=1
	s_or_saveexec_b64 s[20:21], s[20:21]
	v_mov_b32_e32 v12, s30
	s_xor_b64 exec, exec, s[20:21]
	s_cbranch_execnz .LBB269_1503
.LBB269_1110:                           ;   in Loop: Header=BB269_815 Depth=1
	s_or_b64 exec, exec, s[20:21]
	s_and_saveexec_b64 s[20:21], s[12:13]
	s_cbranch_execz .LBB269_1112
.LBB269_1111:                           ;   in Loop: Header=BB269_815 Depth=1
	v_and_b32_e32 v12, 7, v24
	v_ffbh_u32_e32 v22, v12
	v_min_u32_e32 v26, 32, v22
	v_subrev_u32_e32 v22, 28, v26
	v_bfe_u32 v19, v24, 3, 4
	v_lshlrev_b64 v[22:23], v22, v[24:25]
	v_sub_u32_e32 v23, 29, v26
	v_cmp_eq_u32_e64 s[0:1], 0, v19
	v_and_b32_e32 v22, 7, v22
	s_nop 0
	v_cndmask_b32_e64 v19, v19, v23, s[0:1]
	v_cndmask_b32_e64 v12, v12, v22, s[0:1]
	v_lshlrev_b32_e32 v22, 8, v24
	v_lshl_add_u32 v19, v19, 10, v1
	v_and_or_b32 v19, v22, s25, v19
	v_lshl_or_b32 v12, v12, 7, v19
	v_cvt_f32_f16_e32 v12, v12
.LBB269_1112:                           ;   in Loop: Header=BB269_815 Depth=1
	s_or_b64 exec, exec, s[20:21]
	v_lshrrev_b32_e32 v24, 16, v53
	v_cmp_gt_i16_sdwa s[12:13], v24, s17 src0_sel:BYTE_0 src1_sel:DWORD
	s_mov_b64 s[0:1], 0
                                        ; implicit-def: $sgpr22
	s_and_saveexec_b64 s[20:21], s[12:13]
	s_xor_b64 s[12:13], exec, s[20:21]
	s_cbranch_execnz .LBB269_1504
; %bb.1113:                             ;   in Loop: Header=BB269_815 Depth=1
	s_or_saveexec_b64 s[12:13], s[12:13]
	v_mov_b32_e32 v19, s22
	s_xor_b64 exec, exec, s[12:13]
	s_cbranch_execnz .LBB269_1507
.LBB269_1114:                           ;   in Loop: Header=BB269_815 Depth=1
	s_or_b64 exec, exec, s[12:13]
	s_and_saveexec_b64 s[12:13], s[0:1]
	s_cbranch_execz .LBB269_1116
.LBB269_1115:                           ;   in Loop: Header=BB269_815 Depth=1
	v_bfe_u32 v19, v53, 16, 3
	v_ffbh_u32_e32 v22, v19
	v_min_u32_e32 v27, 32, v22
	v_subrev_u32_e32 v22, 28, v27
	v_bfe_u32 v26, v53, 19, 4
	v_lshlrev_b64 v[22:23], v22, v[24:25]
	v_sub_u32_e32 v23, 29, v27
	v_cmp_eq_u32_e64 s[0:1], 0, v26
	v_and_b32_e32 v22, 7, v22
	s_nop 0
	v_cndmask_b32_e64 v23, v26, v23, s[0:1]
	v_cndmask_b32_e64 v19, v19, v22, s[0:1]
	v_lshlrev_b32_e32 v22, 8, v24
	v_lshl_add_u32 v23, v23, 10, v1
	v_and_or_b32 v22, v22, s25, v23
	v_lshl_or_b32 v19, v19, 7, v22
	v_cvt_f32_f16_e32 v19, v19
.LBB269_1116:                           ;   in Loop: Header=BB269_815 Depth=1
	s_or_b64 exec, exec, s[12:13]
	v_lshrrev_b32_e32 v24, 24, v53
	v_cmp_lt_i16_e64 s[0:1], s17, v24
	s_mov_b64 s[12:13], 0
                                        ; implicit-def: $sgpr30
	s_and_saveexec_b64 s[20:21], s[0:1]
	s_xor_b64 s[20:21], exec, s[20:21]
	s_cbranch_execnz .LBB269_1508
; %bb.1117:                             ;   in Loop: Header=BB269_815 Depth=1
	s_or_saveexec_b64 s[20:21], s[20:21]
	v_mov_b32_e32 v32, s30
	s_xor_b64 exec, exec, s[20:21]
	s_cbranch_execnz .LBB269_1511
.LBB269_1118:                           ;   in Loop: Header=BB269_815 Depth=1
	s_or_b64 exec, exec, s[20:21]
	s_and_saveexec_b64 s[20:21], s[12:13]
	s_cbranch_execz .LBB269_1120
.LBB269_1119:                           ;   in Loop: Header=BB269_815 Depth=1
	v_bfe_u32 v26, v53, 24, 3
	v_ffbh_u32_e32 v22, v26
	v_min_u32_e32 v32, 32, v22
	v_subrev_u32_e32 v22, 28, v32
	v_bfe_u32 v27, v53, 27, 4
	v_lshlrev_b64 v[22:23], v22, v[24:25]
	v_sub_u32_e32 v23, 29, v32
	v_cmp_eq_u32_e64 s[0:1], 0, v27
	v_and_b32_e32 v22, 7, v22
	v_lshlrev_b32_e32 v24, 8, v24
	v_cndmask_b32_e64 v23, v27, v23, s[0:1]
	v_lshl_add_u32 v23, v23, 10, v1
	v_cndmask_b32_e64 v22, v26, v22, s[0:1]
	v_and_or_b32 v23, v24, s25, v23
	v_lshl_or_b32 v22, v22, 7, v23
	v_cvt_f32_f16_e32 v32, v22
.LBB269_1120:                           ;   in Loop: Header=BB269_815 Depth=1
	s_or_b64 exec, exec, s[20:21]
	v_pk_mul_f32 v[22:23], v[50:51], v[40:41] op_sel_hi:[0,1]
	v_pk_mul_f32 v[52:53], v[50:51], v[54:55] op_sel_hi:[0,1]
	v_cvt_f16_f32_e32 v23, v23
	v_cvt_f16_f32_e32 v22, v22
	;; [unrolled: 1-line block ×4, first 2 shown]
	v_fma_mixlo_f16 v12, v50, v12, 0
	v_lshlrev_b32_e32 v12, 16, v12
	v_fma_mixlo_f16 v7, v50, v7, 0
	v_or_b32_sdwa v7, v12, v7 dst_sel:DWORD dst_unused:UNUSED_PAD src0_sel:DWORD src1_sel:WORD_0
	v_fma_mixlo_f16 v12, v50, v32, 0
	v_pack_b32_f16 v23, v22, v23
	v_pack_b32_f16 v24, v26, v24
	v_fma_mixlo_f16 v19, v50, v19, 0
	v_lshlrev_b32_e32 v12, 16, v12
	v_perm_b32 v22, v24, v23, s27
	v_perm_b32 v23, v24, v23, s28
	v_or_b32_sdwa v12, v12, v19 dst_sel:DWORD dst_unused:UNUSED_PAD src0_sel:DWORD src1_sel:WORD_0
	s_and_saveexec_b64 s[12:13], vcc
	s_cbranch_execz .LBB269_1122
; %bb.1121:                             ;   in Loop: Header=BB269_815 Depth=1
	v_lshrrev_b32_e32 v24, 16, v23
	v_cmp_lt_i32_e64 s[0:1], v6, v3
	v_accvgpr_read_b32 v26, a8
	v_lshrrev_b32_e32 v12, 16, v12
	v_cndmask_b32_e64 v24, 0, v24, s[0:1]
	v_cmp_lt_i32_e64 s[0:1], v61, v26
	s_nop 1
	v_cndmask_b32_e64 v23, 0, v23, s[0:1]
	v_perm_b32 v23, v24, v23, s29
	v_lshrrev_b32_e32 v24, 16, v22
	v_cmp_lt_i32_e64 s[0:1], v56, v3
	s_nop 1
	v_cndmask_b32_e64 v24, 0, v24, s[0:1]
	v_cmp_lt_i32_e64 s[0:1], v59, v26
	s_nop 1
	v_cndmask_b32_e64 v22, 0, v22, s[0:1]
	v_perm_b32 v22, v24, v22, s29
	v_lshrrev_b32_e32 v24, 16, v7
	v_cmp_lt_i32_e64 s[0:1], v58, v3
	s_nop 1
	v_cndmask_b32_e64 v24, 0, v24, s[0:1]
	v_cmp_lt_i32_e64 s[0:1], v62, v26
	s_nop 1
	v_cndmask_b32_e64 v7, 0, v7, s[0:1]
	v_cmp_lt_i32_e64 s[0:1], v57, v3
	v_perm_b32 v7, v24, v7, s29
	s_nop 0
	v_cndmask_b32_e64 v12, 0, v12, s[0:1]
	v_cmp_lt_i32_e64 s[0:1], v0, v26
	s_nop 1
	v_cndmask_b32_e64 v19, 0, v19, s[0:1]
	v_perm_b32 v12, v12, v19, s29
.LBB269_1122:                           ;   in Loop: Header=BB269_815 Depth=1
	s_or_b64 exec, exec, s[12:13]
	;;#ASMSTART
	v_pk_mul_f16 v19, v18, v23;

	;;#ASMEND
	;;#ASMSTART
	v_pk_mul_f16 v22, v46, v22;

	;;#ASMEND
	;; [unrolled: 4-line block ×4, first 2 shown]
	s_mov_b64 s[0:1], 0
	;;#ASMSTART
	v_pk_add_f16 v19, v19, v22;

	;;#ASMEND
	v_accvgpr_read_b32 v22, a28
	;;#ASMSTART
	v_pk_add_f16 v7, v19, v7;

	;;#ASMEND
	v_accvgpr_read_b32 v23, a29
	;;#ASMSTART
	v_pk_add_f16 v7, v7, v12;

	;;#ASMEND
	v_lshl_add_u64 v[22:23], v[14:15], 0, v[22:23]
	v_lshrrev_b32_e32 v12, 16, v7
	v_and_b32_e32 v7, 0xffff, v7
	;;#ASMSTART
	v_cvt_f32_f16 v7, v7;
	;;#ASMEND
	;;#ASMSTART
	v_cvt_f32_f16 v32, v12;
	;;#ASMEND
	flat_load_dwordx2 v[52:53], v[22:23]
	v_accvgpr_read_b32 v23, a5
	v_accvgpr_read_b32 v22, a4
	flat_load_dword v50, v[22:23]
                                        ; implicit-def: $sgpr22
	s_waitcnt vmcnt(0) lgkmcnt(0)
	v_cmp_gt_i16_sdwa s[12:13], v52, s17 src0_sel:BYTE_0 src1_sel:DWORD
	s_and_saveexec_b64 s[20:21], s[12:13]
	s_xor_b64 s[12:13], exec, s[20:21]
	s_cbranch_execnz .LBB269_1512
; %bb.1123:                             ;   in Loop: Header=BB269_815 Depth=1
	s_or_saveexec_b64 s[12:13], s[12:13]
	v_mov_b32_e32 v54, s22
	s_xor_b64 exec, exec, s[12:13]
	s_cbranch_execnz .LBB269_1515
.LBB269_1124:                           ;   in Loop: Header=BB269_815 Depth=1
	s_or_b64 exec, exec, s[12:13]
	s_and_saveexec_b64 s[12:13], s[0:1]
	s_cbranch_execz .LBB269_1126
.LBB269_1125:                           ;   in Loop: Header=BB269_815 Depth=1
	v_and_b32_e32 v12, 7, v52
	v_ffbh_u32_e32 v12, v12
	v_bfe_u32 v19, v52, 3, 4
	v_min_u32_e32 v12, 32, v12
	v_subrev_u32_e32 v22, 28, v12
	v_sub_u32_e32 v12, 29, v12
	v_cmp_eq_u32_e64 s[0:1], 0, v19
	s_nop 1
	v_cndmask_b32_e64 v12, v19, v12, s[0:1]
	v_cndmask_b32_e64 v19, 0, v22, s[0:1]
	v_lshlrev_b64 v[22:23], v19, v[52:53]
	v_lshlrev_b32_e32 v19, 7, v22
	v_lshlrev_b32_e32 v22, 8, v52
	v_lshl_add_u32 v12, v12, 10, v1
	v_and_or_b32 v12, v22, s25, v12
	v_and_or_b32 v12, v19, s26, v12
	v_cvt_f32_f16_e32 v54, v12
.LBB269_1126:                           ;   in Loop: Header=BB269_815 Depth=1
	s_or_b64 exec, exec, s[12:13]
	v_lshrrev_b16_e32 v24, 8, v52
	v_cmp_lt_i16_e64 s[0:1], s17, v24
	s_mov_b64 s[12:13], 0
                                        ; implicit-def: $sgpr30
	s_and_saveexec_b64 s[20:21], s[0:1]
	s_xor_b64 s[20:21], exec, s[20:21]
	s_cbranch_execnz .LBB269_1516
; %bb.1127:                             ;   in Loop: Header=BB269_815 Depth=1
	s_or_saveexec_b64 s[20:21], s[20:21]
	v_mov_b32_e32 v40, s30
	s_xor_b64 exec, exec, s[20:21]
	s_cbranch_execnz .LBB269_1519
.LBB269_1128:                           ;   in Loop: Header=BB269_815 Depth=1
	s_or_b64 exec, exec, s[20:21]
	s_and_saveexec_b64 s[20:21], s[12:13]
	s_cbranch_execz .LBB269_1130
.LBB269_1129:                           ;   in Loop: Header=BB269_815 Depth=1
	v_and_b32_e32 v12, 7, v24
	v_ffbh_u32_e32 v22, v12
	v_min_u32_e32 v26, 32, v22
	v_subrev_u32_e32 v22, 28, v26
	v_bfe_u32 v19, v24, 3, 4
	v_lshlrev_b64 v[22:23], v22, v[24:25]
	v_sub_u32_e32 v23, 29, v26
	v_cmp_eq_u32_e64 s[0:1], 0, v19
	v_and_b32_e32 v22, 7, v22
	s_nop 0
	v_cndmask_b32_e64 v19, v19, v23, s[0:1]
	v_cndmask_b32_e64 v12, v12, v22, s[0:1]
	v_lshlrev_b32_e32 v22, 8, v24
	v_lshl_add_u32 v19, v19, 10, v1
	v_and_or_b32 v19, v22, s25, v19
	v_lshl_or_b32 v12, v12, 7, v19
	v_cvt_f32_f16_e32 v40, v12
.LBB269_1130:                           ;   in Loop: Header=BB269_815 Depth=1
	s_or_b64 exec, exec, s[20:21]
	v_lshrrev_b32_e32 v24, 16, v52
	v_cmp_gt_i16_sdwa s[12:13], v24, s17 src0_sel:BYTE_0 src1_sel:DWORD
	s_mov_b64 s[0:1], 0
                                        ; implicit-def: $sgpr22
	s_and_saveexec_b64 s[20:21], s[12:13]
	s_xor_b64 s[12:13], exec, s[20:21]
	s_cbranch_execnz .LBB269_1520
; %bb.1131:                             ;   in Loop: Header=BB269_815 Depth=1
	s_or_saveexec_b64 s[12:13], s[12:13]
	v_mov_b32_e32 v55, s22
	s_xor_b64 exec, exec, s[12:13]
	s_cbranch_execnz .LBB269_1523
.LBB269_1132:                           ;   in Loop: Header=BB269_815 Depth=1
	s_or_b64 exec, exec, s[12:13]
	s_and_saveexec_b64 s[12:13], s[0:1]
	s_cbranch_execz .LBB269_1134
.LBB269_1133:                           ;   in Loop: Header=BB269_815 Depth=1
	v_bfe_u32 v12, v52, 16, 3
	v_ffbh_u32_e32 v22, v12
	v_min_u32_e32 v26, 32, v22
	v_subrev_u32_e32 v22, 28, v26
	v_bfe_u32 v19, v52, 19, 4
	v_lshlrev_b64 v[22:23], v22, v[24:25]
	v_sub_u32_e32 v23, 29, v26
	v_cmp_eq_u32_e64 s[0:1], 0, v19
	v_and_b32_e32 v22, 7, v22
	s_nop 0
	v_cndmask_b32_e64 v19, v19, v23, s[0:1]
	v_cndmask_b32_e64 v12, v12, v22, s[0:1]
	v_lshlrev_b32_e32 v22, 8, v24
	v_lshl_add_u32 v19, v19, 10, v1
	v_and_or_b32 v19, v22, s25, v19
	v_lshl_or_b32 v12, v12, 7, v19
	v_cvt_f32_f16_e32 v55, v12
.LBB269_1134:                           ;   in Loop: Header=BB269_815 Depth=1
	s_or_b64 exec, exec, s[12:13]
	v_lshrrev_b32_e32 v24, 24, v52
	v_cmp_lt_i16_e64 s[0:1], s17, v24
	s_mov_b64 s[12:13], 0
                                        ; implicit-def: $sgpr30
	s_and_saveexec_b64 s[20:21], s[0:1]
	s_xor_b64 s[20:21], exec, s[20:21]
	s_cbranch_execnz .LBB269_1524
; %bb.1135:                             ;   in Loop: Header=BB269_815 Depth=1
	s_or_saveexec_b64 s[20:21], s[20:21]
	v_mov_b32_e32 v41, s30
	s_xor_b64 exec, exec, s[20:21]
	s_cbranch_execnz .LBB269_1527
.LBB269_1136:                           ;   in Loop: Header=BB269_815 Depth=1
	s_or_b64 exec, exec, s[20:21]
	s_and_saveexec_b64 s[20:21], s[12:13]
	s_cbranch_execz .LBB269_1138
.LBB269_1137:                           ;   in Loop: Header=BB269_815 Depth=1
	v_bfe_u32 v12, v52, 24, 3
	v_ffbh_u32_e32 v22, v12
	v_min_u32_e32 v26, 32, v22
	v_subrev_u32_e32 v22, 28, v26
	v_bfe_u32 v19, v52, 27, 4
	v_lshlrev_b64 v[22:23], v22, v[24:25]
	v_sub_u32_e32 v23, 29, v26
	v_cmp_eq_u32_e64 s[0:1], 0, v19
	v_and_b32_e32 v22, 7, v22
	s_nop 0
	v_cndmask_b32_e64 v19, v19, v23, s[0:1]
	v_cndmask_b32_e64 v12, v12, v22, s[0:1]
	v_lshlrev_b32_e32 v22, 8, v24
	v_lshl_add_u32 v19, v19, 10, v1
	v_and_or_b32 v19, v22, s25, v19
	v_lshl_or_b32 v12, v12, 7, v19
	v_cvt_f32_f16_e32 v41, v12
.LBB269_1138:                           ;   in Loop: Header=BB269_815 Depth=1
	s_or_b64 exec, exec, s[20:21]
	v_cmp_gt_i16_sdwa s[12:13], v53, s17 src0_sel:BYTE_0 src1_sel:DWORD
	s_mov_b64 s[0:1], 0
                                        ; implicit-def: $sgpr22
	s_and_saveexec_b64 s[20:21], s[12:13]
	s_xor_b64 s[12:13], exec, s[20:21]
	s_cbranch_execnz .LBB269_1528
; %bb.1139:                             ;   in Loop: Header=BB269_815 Depth=1
	s_or_saveexec_b64 s[12:13], s[12:13]
	v_mov_b32_e32 v12, s22
	s_xor_b64 exec, exec, s[12:13]
	s_cbranch_execnz .LBB269_1531
.LBB269_1140:                           ;   in Loop: Header=BB269_815 Depth=1
	s_or_b64 exec, exec, s[12:13]
	v_mov_b32_e32 v24, v53
	s_and_saveexec_b64 s[12:13], s[0:1]
	s_cbranch_execz .LBB269_1142
.LBB269_1141:                           ;   in Loop: Header=BB269_815 Depth=1
	v_and_b32_e32 v12, 7, v53
	v_ffbh_u32_e32 v12, v12
	v_bfe_u32 v19, v53, 3, 4
	v_min_u32_e32 v12, 32, v12
	v_subrev_u32_e32 v22, 28, v12
	v_sub_u32_e32 v12, 29, v12
	v_cmp_eq_u32_e64 s[0:1], 0, v19
	s_nop 1
	v_cndmask_b32_e64 v12, v19, v12, s[0:1]
	v_cndmask_b32_e64 v19, 0, v22, s[0:1]
	v_lshlrev_b64 v[22:23], v19, v[24:25]
	v_lshlrev_b32_e32 v19, 7, v22
	v_lshlrev_b32_e32 v22, 8, v53
	v_lshl_add_u32 v12, v12, 10, v1
	v_and_or_b32 v12, v22, s25, v12
	v_and_or_b32 v12, v19, s26, v12
	v_cvt_f32_f16_e32 v12, v12
.LBB269_1142:                           ;   in Loop: Header=BB269_815 Depth=1
	s_or_b64 exec, exec, s[12:13]
	v_lshrrev_b16_e32 v24, 8, v24
	v_cmp_lt_i16_e64 s[0:1], s17, v24
	s_mov_b64 s[12:13], 0
                                        ; implicit-def: $sgpr30
	s_and_saveexec_b64 s[20:21], s[0:1]
	s_xor_b64 s[20:21], exec, s[20:21]
	s_cbranch_execnz .LBB269_1532
; %bb.1143:                             ;   in Loop: Header=BB269_815 Depth=1
	s_or_saveexec_b64 s[20:21], s[20:21]
	v_mov_b32_e32 v19, s30
	s_xor_b64 exec, exec, s[20:21]
	s_cbranch_execnz .LBB269_1535
.LBB269_1144:                           ;   in Loop: Header=BB269_815 Depth=1
	s_or_b64 exec, exec, s[20:21]
	s_and_saveexec_b64 s[20:21], s[12:13]
	s_cbranch_execz .LBB269_1146
.LBB269_1145:                           ;   in Loop: Header=BB269_815 Depth=1
	v_and_b32_e32 v19, 7, v24
	v_ffbh_u32_e32 v22, v19
	v_min_u32_e32 v27, 32, v22
	v_subrev_u32_e32 v22, 28, v27
	v_bfe_u32 v26, v24, 3, 4
	v_lshlrev_b64 v[22:23], v22, v[24:25]
	v_sub_u32_e32 v23, 29, v27
	v_cmp_eq_u32_e64 s[0:1], 0, v26
	v_and_b32_e32 v22, 7, v22
	s_nop 0
	v_cndmask_b32_e64 v23, v26, v23, s[0:1]
	v_cndmask_b32_e64 v19, v19, v22, s[0:1]
	v_lshlrev_b32_e32 v22, 8, v24
	v_lshl_add_u32 v23, v23, 10, v1
	v_and_or_b32 v22, v22, s25, v23
	v_lshl_or_b32 v19, v19, 7, v22
	v_cvt_f32_f16_e32 v19, v19
.LBB269_1146:                           ;   in Loop: Header=BB269_815 Depth=1
	s_or_b64 exec, exec, s[20:21]
	v_lshrrev_b32_e32 v24, 16, v53
	v_cmp_gt_i16_sdwa s[12:13], v24, s17 src0_sel:BYTE_0 src1_sel:DWORD
	s_mov_b64 s[0:1], 0
                                        ; implicit-def: $sgpr22
	s_and_saveexec_b64 s[20:21], s[12:13]
	s_xor_b64 s[12:13], exec, s[20:21]
	s_cbranch_execnz .LBB269_1536
; %bb.1147:                             ;   in Loop: Header=BB269_815 Depth=1
	s_or_saveexec_b64 s[12:13], s[12:13]
	v_mov_b32_e32 v22, s22
	s_xor_b64 exec, exec, s[12:13]
	s_cbranch_execnz .LBB269_1539
.LBB269_1148:                           ;   in Loop: Header=BB269_815 Depth=1
	s_or_b64 exec, exec, s[12:13]
	s_and_saveexec_b64 s[12:13], s[0:1]
	s_cbranch_execz .LBB269_1150
.LBB269_1149:                           ;   in Loop: Header=BB269_815 Depth=1
	v_bfe_u32 v26, v53, 16, 3
	v_ffbh_u32_e32 v22, v26
	v_min_u32_e32 v51, 32, v22
	v_subrev_u32_e32 v22, 28, v51
	v_bfe_u32 v27, v53, 19, 4
	v_lshlrev_b64 v[22:23], v22, v[24:25]
	v_sub_u32_e32 v23, 29, v51
	v_cmp_eq_u32_e64 s[0:1], 0, v27
	v_and_b32_e32 v22, 7, v22
	v_lshlrev_b32_e32 v24, 8, v24
	v_cndmask_b32_e64 v23, v27, v23, s[0:1]
	v_lshl_add_u32 v23, v23, 10, v1
	v_cndmask_b32_e64 v22, v26, v22, s[0:1]
	v_and_or_b32 v23, v24, s25, v23
	v_lshl_or_b32 v22, v22, 7, v23
	v_cvt_f32_f16_e32 v22, v22
.LBB269_1150:                           ;   in Loop: Header=BB269_815 Depth=1
	s_or_b64 exec, exec, s[12:13]
	v_lshrrev_b32_e32 v24, 24, v53
	v_cmp_lt_i16_e64 s[0:1], s17, v24
	s_mov_b64 s[12:13], 0
                                        ; implicit-def: $sgpr30
	s_and_saveexec_b64 s[20:21], s[0:1]
	s_xor_b64 s[20:21], exec, s[20:21]
	s_cbranch_execnz .LBB269_1540
; %bb.1151:                             ;   in Loop: Header=BB269_815 Depth=1
	s_or_saveexec_b64 s[20:21], s[20:21]
	v_mov_b32_e32 v51, s30
	s_xor_b64 exec, exec, s[20:21]
	s_cbranch_execnz .LBB269_1543
.LBB269_1152:                           ;   in Loop: Header=BB269_815 Depth=1
	s_or_b64 exec, exec, s[20:21]
	s_and_saveexec_b64 s[20:21], s[12:13]
	s_cbranch_execz .LBB269_1154
.LBB269_1153:                           ;   in Loop: Header=BB269_815 Depth=1
	v_bfe_u32 v23, v53, 24, 3
	v_ffbh_u32_e32 v27, v23
	v_bfe_u32 v26, v53, 27, 4
	v_min_u32_e32 v27, 32, v27
	v_subrev_u32_e32 v51, 28, v27
	v_sub_u32_e32 v27, 29, v27
	v_cmp_eq_u32_e64 s[0:1], 0, v26
	v_lshlrev_b64 v[52:53], v51, v[24:25]
	v_and_b32_e32 v51, 7, v52
	v_cndmask_b32_e64 v26, v26, v27, s[0:1]
	v_lshlrev_b32_e32 v24, 8, v24
	v_lshl_add_u32 v26, v26, 10, v1
	v_cndmask_b32_e64 v23, v23, v51, s[0:1]
	v_and_or_b32 v24, v24, s25, v26
	v_lshl_or_b32 v23, v23, 7, v24
	v_cvt_f32_f16_e32 v51, v23
.LBB269_1154:                           ;   in Loop: Header=BB269_815 Depth=1
	s_or_b64 exec, exec, s[20:21]
	v_pk_mul_f32 v[52:53], v[50:51], v[40:41] op_sel_hi:[0,1]
	v_pk_mul_f32 v[54:55], v[50:51], v[54:55] op_sel_hi:[0,1]
	v_cvt_f16_f32_e32 v23, v53
	v_cvt_f16_f32_e32 v24, v52
	;; [unrolled: 1-line block ×4, first 2 shown]
	v_fma_mixlo_f16 v19, v50, v19, 0
	v_lshlrev_b32_e32 v19, 16, v19
	v_fma_mixlo_f16 v12, v50, v12, 0
	v_or_b32_sdwa v12, v19, v12 dst_sel:DWORD dst_unused:UNUSED_PAD src0_sel:DWORD src1_sel:WORD_0
	v_fma_mixlo_f16 v19, v50, v51, 0
	v_pack_b32_f16 v24, v24, v23
	v_pack_b32_f16 v26, v27, v26
	v_fma_mixlo_f16 v22, v50, v22, 0
	v_lshlrev_b32_e32 v19, 16, v19
	v_perm_b32 v23, v26, v24, s27
	v_perm_b32 v24, v26, v24, s28
	v_or_b32_sdwa v19, v19, v22 dst_sel:DWORD dst_unused:UNUSED_PAD src0_sel:DWORD src1_sel:WORD_0
	s_and_saveexec_b64 s[12:13], vcc
	s_cbranch_execz .LBB269_1156
; %bb.1155:                             ;   in Loop: Header=BB269_815 Depth=1
	v_lshrrev_b32_e32 v26, 16, v24
	v_cmp_lt_i32_e64 s[0:1], v6, v3
	v_accvgpr_read_b32 v50, a8
	v_lshrrev_b32_e32 v19, 16, v19
	v_cndmask_b32_e64 v26, 0, v26, s[0:1]
	v_cmp_lt_i32_e64 s[0:1], v61, v50
	s_nop 1
	v_cndmask_b32_e64 v24, 0, v24, s[0:1]
	v_perm_b32 v24, v26, v24, s29
	v_lshrrev_b32_e32 v26, 16, v23
	v_cmp_lt_i32_e64 s[0:1], v56, v3
	s_nop 1
	v_cndmask_b32_e64 v26, 0, v26, s[0:1]
	v_cmp_lt_i32_e64 s[0:1], v59, v50
	s_nop 1
	v_cndmask_b32_e64 v23, 0, v23, s[0:1]
	v_perm_b32 v23, v26, v23, s29
	v_lshrrev_b32_e32 v26, 16, v12
	v_cmp_lt_i32_e64 s[0:1], v58, v3
	s_nop 1
	v_cndmask_b32_e64 v26, 0, v26, s[0:1]
	v_cmp_lt_i32_e64 s[0:1], v62, v50
	s_nop 1
	v_cndmask_b32_e64 v12, 0, v12, s[0:1]
	v_cmp_lt_i32_e64 s[0:1], v57, v3
	v_perm_b32 v12, v26, v12, s29
	s_nop 0
	v_cndmask_b32_e64 v19, 0, v19, s[0:1]
	v_cmp_lt_i32_e64 s[0:1], v0, v50
	s_nop 1
	v_cndmask_b32_e64 v22, 0, v22, s[0:1]
	v_perm_b32 v19, v19, v22, s29
.LBB269_1156:                           ;   in Loop: Header=BB269_815 Depth=1
	s_or_b64 exec, exec, s[12:13]
	;;#ASMSTART
	v_pk_mul_f16 v22, v18, v24;

	;;#ASMEND
	;;#ASMSTART
	v_pk_mul_f16 v23, v46, v23;

	;;#ASMEND
	;; [unrolled: 4-line block ×3, first 2 shown]
	v_accvgpr_read_b32 v26, a30
	;;#ASMSTART
	v_pk_mul_f16 v19, v44, v19;

	;;#ASMEND
	;;#ASMSTART
	v_pk_add_f16 v22, v22, v23;

	;;#ASMEND
	v_accvgpr_read_b32 v27, a31
	;;#ASMSTART
	v_pk_add_f16 v12, v22, v12;

	;;#ASMEND
	v_lshl_add_u64 v[50:51], v[14:15], 0, v[26:27]
	;;#ASMSTART
	v_pk_add_f16 v12, v12, v19;

	;;#ASMEND
	v_accvgpr_read_b32 v27, a5
	v_lshrrev_b32_e32 v19, 16, v12
	v_and_b32_e32 v12, 0xffff, v12
	;;#ASMSTART
	v_cvt_f32_f16 v22, v12;
	;;#ASMEND
	;;#ASMSTART
	v_cvt_f32_f16 v23, v19;
	;;#ASMEND
	flat_load_dwordx2 v[52:53], v[50:51]
	v_accvgpr_read_b32 v26, a4
	flat_load_dword v50, v[26:27]
	s_mov_b64 s[0:1], 0
                                        ; implicit-def: $sgpr22
	s_waitcnt vmcnt(0) lgkmcnt(0)
	v_cmp_gt_i16_sdwa s[12:13], v52, s17 src0_sel:BYTE_0 src1_sel:DWORD
	s_and_saveexec_b64 s[20:21], s[12:13]
	s_xor_b64 s[12:13], exec, s[20:21]
	s_cbranch_execnz .LBB269_1544
; %bb.1157:                             ;   in Loop: Header=BB269_815 Depth=1
	s_or_saveexec_b64 s[12:13], s[12:13]
	v_mov_b32_e32 v54, s22
	s_xor_b64 exec, exec, s[12:13]
	s_cbranch_execnz .LBB269_1547
.LBB269_1158:                           ;   in Loop: Header=BB269_815 Depth=1
	s_or_b64 exec, exec, s[12:13]
	s_and_saveexec_b64 s[12:13], s[0:1]
	s_cbranch_execz .LBB269_1160
.LBB269_1159:                           ;   in Loop: Header=BB269_815 Depth=1
	v_and_b32_e32 v12, 7, v52
	v_ffbh_u32_e32 v12, v12
	v_bfe_u32 v19, v52, 3, 4
	v_min_u32_e32 v12, 32, v12
	v_subrev_u32_e32 v24, 28, v12
	v_sub_u32_e32 v12, 29, v12
	v_cmp_eq_u32_e64 s[0:1], 0, v19
	s_nop 1
	v_cndmask_b32_e64 v12, v19, v12, s[0:1]
	v_cndmask_b32_e64 v19, 0, v24, s[0:1]
	v_lshlrev_b64 v[54:55], v19, v[52:53]
	v_lshlrev_b32_e32 v24, 8, v52
	v_lshl_add_u32 v12, v12, 10, v1
	v_lshlrev_b32_e32 v19, 7, v54
	v_and_or_b32 v12, v24, s25, v12
	v_and_or_b32 v12, v19, s26, v12
	v_cvt_f32_f16_e32 v54, v12
.LBB269_1160:                           ;   in Loop: Header=BB269_815 Depth=1
	s_or_b64 exec, exec, s[12:13]
	v_lshrrev_b16_e32 v24, 8, v52
	v_cmp_lt_i16_e64 s[0:1], s17, v24
	s_mov_b64 s[12:13], 0
                                        ; implicit-def: $sgpr30
	s_and_saveexec_b64 s[20:21], s[0:1]
	s_xor_b64 s[20:21], exec, s[20:21]
	s_cbranch_execnz .LBB269_1548
; %bb.1161:                             ;   in Loop: Header=BB269_815 Depth=1
	s_or_saveexec_b64 s[20:21], s[20:21]
	v_mov_b32_e32 v40, s30
	s_xor_b64 exec, exec, s[20:21]
	s_cbranch_execnz .LBB269_1551
.LBB269_1162:                           ;   in Loop: Header=BB269_815 Depth=1
	s_or_b64 exec, exec, s[20:21]
	s_and_saveexec_b64 s[20:21], s[12:13]
	s_cbranch_execz .LBB269_1164
.LBB269_1163:                           ;   in Loop: Header=BB269_815 Depth=1
	v_and_b32_e32 v12, 7, v24
	v_ffbh_u32_e32 v26, v12
	v_bfe_u32 v19, v24, 3, 4
	v_min_u32_e32 v26, 32, v26
	v_subrev_u32_e32 v27, 28, v26
	v_sub_u32_e32 v26, 29, v26
	v_cmp_eq_u32_e64 s[0:1], 0, v19
	v_lshlrev_b64 v[40:41], v27, v[24:25]
	v_and_b32_e32 v27, 7, v40
	v_cndmask_b32_e64 v19, v19, v26, s[0:1]
	v_lshlrev_b32_e32 v24, 8, v24
	v_lshl_add_u32 v19, v19, 10, v1
	v_cndmask_b32_e64 v12, v12, v27, s[0:1]
	v_and_or_b32 v19, v24, s25, v19
	v_lshl_or_b32 v12, v12, 7, v19
	v_cvt_f32_f16_e32 v40, v12
.LBB269_1164:                           ;   in Loop: Header=BB269_815 Depth=1
	s_or_b64 exec, exec, s[20:21]
	v_lshrrev_b32_e32 v24, 16, v52
	v_cmp_gt_i16_sdwa s[12:13], v24, s17 src0_sel:BYTE_0 src1_sel:DWORD
	s_mov_b64 s[0:1], 0
                                        ; implicit-def: $sgpr22
	s_and_saveexec_b64 s[20:21], s[12:13]
	s_xor_b64 s[12:13], exec, s[20:21]
	s_cbranch_execnz .LBB269_1552
; %bb.1165:                             ;   in Loop: Header=BB269_815 Depth=1
	s_or_saveexec_b64 s[12:13], s[12:13]
	v_mov_b32_e32 v55, s22
	s_xor_b64 exec, exec, s[12:13]
	s_cbranch_execnz .LBB269_1555
.LBB269_1166:                           ;   in Loop: Header=BB269_815 Depth=1
	s_or_b64 exec, exec, s[12:13]
	s_and_saveexec_b64 s[12:13], s[0:1]
	s_cbranch_execz .LBB269_1168
.LBB269_1167:                           ;   in Loop: Header=BB269_815 Depth=1
	v_bfe_u32 v12, v52, 16, 3
	v_ffbh_u32_e32 v26, v12
	v_min_u32_e32 v51, 32, v26
	v_subrev_u32_e32 v26, 28, v51
	v_bfe_u32 v19, v52, 19, 4
	v_lshlrev_b64 v[26:27], v26, v[24:25]
	v_sub_u32_e32 v27, 29, v51
	v_cmp_eq_u32_e64 s[0:1], 0, v19
	v_and_b32_e32 v26, 7, v26
	v_lshlrev_b32_e32 v24, 8, v24
	v_cndmask_b32_e64 v19, v19, v27, s[0:1]
	v_lshl_add_u32 v19, v19, 10, v1
	v_cndmask_b32_e64 v12, v12, v26, s[0:1]
	v_and_or_b32 v19, v24, s25, v19
	v_lshl_or_b32 v12, v12, 7, v19
	v_cvt_f32_f16_e32 v55, v12
.LBB269_1168:                           ;   in Loop: Header=BB269_815 Depth=1
	s_or_b64 exec, exec, s[12:13]
	v_lshrrev_b32_e32 v24, 24, v52
	v_cmp_lt_i16_e64 s[0:1], s17, v24
	s_mov_b64 s[12:13], 0
                                        ; implicit-def: $sgpr30
	s_and_saveexec_b64 s[20:21], s[0:1]
	s_xor_b64 s[20:21], exec, s[20:21]
	s_cbranch_execnz .LBB269_1556
; %bb.1169:                             ;   in Loop: Header=BB269_815 Depth=1
	s_or_saveexec_b64 s[20:21], s[20:21]
	v_mov_b32_e32 v41, s30
	s_xor_b64 exec, exec, s[20:21]
	s_cbranch_execnz .LBB269_1559
.LBB269_1170:                           ;   in Loop: Header=BB269_815 Depth=1
	s_or_b64 exec, exec, s[20:21]
	s_and_saveexec_b64 s[20:21], s[12:13]
	s_cbranch_execz .LBB269_1172
.LBB269_1171:                           ;   in Loop: Header=BB269_815 Depth=1
	v_bfe_u32 v12, v52, 24, 3
	v_ffbh_u32_e32 v26, v12
	v_min_u32_e32 v51, 32, v26
	v_subrev_u32_e32 v26, 28, v51
	v_bfe_u32 v19, v52, 27, 4
	v_lshlrev_b64 v[26:27], v26, v[24:25]
	v_sub_u32_e32 v27, 29, v51
	v_cmp_eq_u32_e64 s[0:1], 0, v19
	v_and_b32_e32 v26, 7, v26
	v_lshlrev_b32_e32 v24, 8, v24
	v_cndmask_b32_e64 v19, v19, v27, s[0:1]
	v_lshl_add_u32 v19, v19, 10, v1
	v_cndmask_b32_e64 v12, v12, v26, s[0:1]
	v_and_or_b32 v19, v24, s25, v19
	v_lshl_or_b32 v12, v12, 7, v19
	v_cvt_f32_f16_e32 v41, v12
.LBB269_1172:                           ;   in Loop: Header=BB269_815 Depth=1
	s_or_b64 exec, exec, s[20:21]
	v_cmp_gt_i16_sdwa s[12:13], v53, s17 src0_sel:BYTE_0 src1_sel:DWORD
	s_mov_b64 s[0:1], 0
                                        ; implicit-def: $sgpr22
	s_and_saveexec_b64 s[20:21], s[12:13]
	s_xor_b64 s[12:13], exec, s[20:21]
	s_cbranch_execnz .LBB269_1560
; %bb.1173:                             ;   in Loop: Header=BB269_815 Depth=1
	s_or_saveexec_b64 s[12:13], s[12:13]
	v_mov_b32_e32 v12, s22
	s_xor_b64 exec, exec, s[12:13]
	s_cbranch_execnz .LBB269_1563
.LBB269_1174:                           ;   in Loop: Header=BB269_815 Depth=1
	s_or_b64 exec, exec, s[12:13]
	v_mov_b32_e32 v24, v53
	s_and_saveexec_b64 s[12:13], s[0:1]
	s_cbranch_execz .LBB269_1176
.LBB269_1175:                           ;   in Loop: Header=BB269_815 Depth=1
	v_and_b32_e32 v12, 7, v53
	v_ffbh_u32_e32 v12, v12
	v_bfe_u32 v19, v53, 3, 4
	v_min_u32_e32 v12, 32, v12
	v_subrev_u32_e32 v26, 28, v12
	v_sub_u32_e32 v12, 29, v12
	v_cmp_eq_u32_e64 s[0:1], 0, v19
	s_nop 1
	v_cndmask_b32_e64 v12, v19, v12, s[0:1]
	v_cndmask_b32_e64 v19, 0, v26, s[0:1]
	v_lshlrev_b64 v[26:27], v19, v[24:25]
	v_lshlrev_b32_e32 v19, 7, v26
	v_lshlrev_b32_e32 v26, 8, v53
	v_lshl_add_u32 v12, v12, 10, v1
	v_and_or_b32 v12, v26, s25, v12
	v_and_or_b32 v12, v19, s26, v12
	v_cvt_f32_f16_e32 v12, v12
.LBB269_1176:                           ;   in Loop: Header=BB269_815 Depth=1
	s_or_b64 exec, exec, s[12:13]
	v_lshrrev_b16_e32 v24, 8, v24
	v_cmp_lt_i16_e64 s[0:1], s17, v24
	s_mov_b64 s[12:13], 0
                                        ; implicit-def: $sgpr30
	s_and_saveexec_b64 s[20:21], s[0:1]
	s_xor_b64 s[20:21], exec, s[20:21]
	s_cbranch_execnz .LBB269_1564
; %bb.1177:                             ;   in Loop: Header=BB269_815 Depth=1
	s_or_saveexec_b64 s[20:21], s[20:21]
	v_mov_b32_e32 v19, s30
	s_xor_b64 exec, exec, s[20:21]
	s_cbranch_execnz .LBB269_1567
.LBB269_1178:                           ;   in Loop: Header=BB269_815 Depth=1
	s_or_b64 exec, exec, s[20:21]
	s_and_saveexec_b64 s[20:21], s[12:13]
	s_cbranch_execz .LBB269_1180
.LBB269_1179:                           ;   in Loop: Header=BB269_815 Depth=1
	v_and_b32_e32 v19, 7, v24
	v_ffbh_u32_e32 v26, v19
	v_min_u32_e32 v52, 32, v26
	v_subrev_u32_e32 v26, 28, v52
	v_bfe_u32 v51, v24, 3, 4
	v_lshlrev_b64 v[26:27], v26, v[24:25]
	v_sub_u32_e32 v27, 29, v52
	v_cmp_eq_u32_e64 s[0:1], 0, v51
	v_and_b32_e32 v26, 7, v26
	v_lshlrev_b32_e32 v24, 8, v24
	v_cndmask_b32_e64 v27, v51, v27, s[0:1]
	v_cndmask_b32_e64 v19, v19, v26, s[0:1]
	v_lshl_add_u32 v26, v27, 10, v1
	v_and_or_b32 v24, v24, s25, v26
	v_lshl_or_b32 v19, v19, 7, v24
	v_cvt_f32_f16_e32 v19, v19
.LBB269_1180:                           ;   in Loop: Header=BB269_815 Depth=1
	s_or_b64 exec, exec, s[20:21]
	v_lshrrev_b32_e32 v24, 16, v53
	v_cmp_gt_i16_sdwa s[12:13], v24, s17 src0_sel:BYTE_0 src1_sel:DWORD
	s_mov_b64 s[0:1], 0
                                        ; implicit-def: $sgpr22
	s_and_saveexec_b64 s[20:21], s[12:13]
	s_xor_b64 s[12:13], exec, s[20:21]
	s_cbranch_execnz .LBB269_1568
; %bb.1181:                             ;   in Loop: Header=BB269_815 Depth=1
	s_or_saveexec_b64 s[12:13], s[12:13]
	v_mov_b32_e32 v51, s22
	s_xor_b64 exec, exec, s[12:13]
	s_cbranch_execnz .LBB269_1571
.LBB269_1182:                           ;   in Loop: Header=BB269_815 Depth=1
	s_or_b64 exec, exec, s[12:13]
	s_and_saveexec_b64 s[12:13], s[0:1]
	s_cbranch_execz .LBB269_1184
.LBB269_1183:                           ;   in Loop: Header=BB269_815 Depth=1
	v_bfe_u32 v51, v53, 16, 3
	v_ffbh_u32_e32 v26, v51
	v_min_u32_e32 v47, 32, v26
	v_subrev_u32_e32 v26, 28, v47
	v_bfe_u32 v52, v53, 19, 4
	v_lshlrev_b64 v[26:27], v26, v[24:25]
	v_sub_u32_e32 v27, 29, v47
	v_cmp_eq_u32_e64 s[0:1], 0, v52
	v_and_b32_e32 v26, 7, v26
	v_lshlrev_b32_e32 v24, 8, v24
	v_cndmask_b32_e64 v27, v52, v27, s[0:1]
	v_lshl_add_u32 v27, v27, 10, v1
	v_cndmask_b32_e64 v26, v51, v26, s[0:1]
	v_and_or_b32 v24, v24, s25, v27
	v_lshl_or_b32 v24, v26, 7, v24
	v_cvt_f32_f16_e32 v51, v24
.LBB269_1184:                           ;   in Loop: Header=BB269_815 Depth=1
	s_or_b64 exec, exec, s[12:13]
	v_lshrrev_b32_e32 v24, 24, v53
	v_cmp_lt_i16_e64 s[0:1], s17, v24
	s_mov_b64 s[12:13], 0
                                        ; implicit-def: $sgpr30
	s_and_saveexec_b64 s[20:21], s[0:1]
	s_xor_b64 s[20:21], exec, s[20:21]
	s_cbranch_execnz .LBB269_1572
; %bb.1185:                             ;   in Loop: Header=BB269_815 Depth=1
	s_or_saveexec_b64 s[20:21], s[20:21]
	v_mov_b32_e32 v47, s30
	s_xor_b64 exec, exec, s[20:21]
	s_cbranch_execnz .LBB269_1575
.LBB269_1186:                           ;   in Loop: Header=BB269_815 Depth=1
	s_or_b64 exec, exec, s[20:21]
	s_and_saveexec_b64 s[20:21], s[12:13]
	s_cbranch_execz .LBB269_1188
.LBB269_1187:                           ;   in Loop: Header=BB269_815 Depth=1
	v_bfe_u32 v52, v53, 24, 3
	v_ffbh_u32_e32 v26, v52
	v_min_u32_e32 v47, 32, v26
	v_subrev_u32_e32 v26, 28, v47
	v_bfe_u32 v53, v53, 27, 4
	v_lshlrev_b64 v[26:27], v26, v[24:25]
	v_sub_u32_e32 v27, 29, v47
	v_cmp_eq_u32_e64 s[0:1], 0, v53
	v_and_b32_e32 v26, 7, v26
	v_lshlrev_b32_e32 v24, 8, v24
	v_cndmask_b32_e64 v27, v53, v27, s[0:1]
	v_lshl_add_u32 v27, v27, 10, v1
	v_cndmask_b32_e64 v26, v52, v26, s[0:1]
	v_and_or_b32 v24, v24, s25, v27
	v_lshl_or_b32 v24, v26, 7, v24
	v_cvt_f32_f16_e32 v47, v24
.LBB269_1188:                           ;   in Loop: Header=BB269_815 Depth=1
	s_or_b64 exec, exec, s[20:21]
	v_pk_mul_f32 v[26:27], v[50:51], v[40:41] op_sel_hi:[0,1]
	v_pk_mul_f32 v[52:53], v[50:51], v[54:55] op_sel_hi:[0,1]
	v_cvt_f16_f32_e32 v24, v27
	v_cvt_f16_f32_e32 v26, v26
	;; [unrolled: 1-line block ×4, first 2 shown]
	v_fma_mixlo_f16 v19, v50, v19, 0
	v_lshlrev_b32_e32 v19, 16, v19
	v_fma_mixlo_f16 v12, v50, v12, 0
	v_or_b32_sdwa v12, v19, v12 dst_sel:DWORD dst_unused:UNUSED_PAD src0_sel:DWORD src1_sel:WORD_0
	v_fma_mixlo_f16 v19, v50, v47, 0
	v_pack_b32_f16 v26, v26, v24
	v_pack_b32_f16 v27, v52, v27
	v_fma_mixlo_f16 v51, v50, v51, 0
	v_lshlrev_b32_e32 v19, 16, v19
	v_perm_b32 v24, v27, v26, s27
	v_perm_b32 v52, v27, v26, s28
	v_or_b32_sdwa v19, v19, v51 dst_sel:DWORD dst_unused:UNUSED_PAD src0_sel:DWORD src1_sel:WORD_0
	s_and_saveexec_b64 s[12:13], vcc
	s_cbranch_execz .LBB269_1190
; %bb.1189:                             ;   in Loop: Header=BB269_815 Depth=1
	v_lshrrev_b32_e32 v26, 16, v52
	v_cmp_lt_i32_e64 s[0:1], v6, v3
	v_accvgpr_read_b32 v50, a8
	v_lshrrev_b32_e32 v19, 16, v19
	v_cndmask_b32_e64 v26, 0, v26, s[0:1]
	v_cmp_lt_i32_e64 s[0:1], v61, v50
	s_nop 1
	v_cndmask_b32_e64 v27, 0, v52, s[0:1]
	v_perm_b32 v52, v26, v27, s29
	v_lshrrev_b32_e32 v26, 16, v24
	v_cmp_lt_i32_e64 s[0:1], v56, v3
	s_nop 1
	v_cndmask_b32_e64 v26, 0, v26, s[0:1]
	v_cmp_lt_i32_e64 s[0:1], v59, v50
	s_nop 1
	v_cndmask_b32_e64 v24, 0, v24, s[0:1]
	v_perm_b32 v24, v26, v24, s29
	v_lshrrev_b32_e32 v26, 16, v12
	v_cmp_lt_i32_e64 s[0:1], v58, v3
	s_nop 1
	v_cndmask_b32_e64 v26, 0, v26, s[0:1]
	v_cmp_lt_i32_e64 s[0:1], v62, v50
	s_nop 1
	v_cndmask_b32_e64 v12, 0, v12, s[0:1]
	v_cmp_lt_i32_e64 s[0:1], v57, v3
	v_perm_b32 v12, v26, v12, s29
	s_nop 0
	v_cndmask_b32_e64 v19, 0, v19, s[0:1]
	v_cmp_lt_i32_e64 s[0:1], v0, v50
	s_nop 1
	v_cndmask_b32_e64 v26, 0, v51, s[0:1]
	v_perm_b32 v19, v19, v26, s29
.LBB269_1190:                           ;   in Loop: Header=BB269_815 Depth=1
	s_or_b64 exec, exec, s[12:13]
	;;#ASMSTART
	v_pk_mul_f16 v26, v18, v52;

	;;#ASMEND
	;;#ASMSTART
	v_pk_mul_f16 v24, v46, v24;

	;;#ASMEND
	;; [unrolled: 4-line block ×4, first 2 shown]
	s_mov_b64 s[0:1], 0
	;;#ASMSTART
	v_pk_add_f16 v24, v26, v24;

	;;#ASMEND
	v_accvgpr_read_b32 v26, a32
	;;#ASMSTART
	v_pk_add_f16 v12, v24, v12;

	;;#ASMEND
	v_accvgpr_read_b32 v27, a33
	;;#ASMSTART
	v_pk_add_f16 v12, v12, v19;

	;;#ASMEND
	v_lshl_add_u64 v[14:15], v[14:15], 0, v[26:27]
	v_lshrrev_b32_e32 v19, 16, v12
	v_and_b32_e32 v12, 0xffff, v12
	;;#ASMSTART
	v_cvt_f32_f16 v12, v12;
	;;#ASMEND
	;;#ASMSTART
	v_cvt_f32_f16 v19, v19;
	;;#ASMEND
	flat_load_dwordx2 v[50:51], v[14:15]
	v_accvgpr_read_b32 v15, a5
	v_accvgpr_read_b32 v14, a4
	flat_load_dword v14, v[14:15]
                                        ; implicit-def: $sgpr22
	s_waitcnt vmcnt(0) lgkmcnt(0)
	v_cmp_gt_i16_sdwa s[12:13], v50, s17 src0_sel:BYTE_0 src1_sel:DWORD
	s_and_saveexec_b64 s[20:21], s[12:13]
	s_xor_b64 s[12:13], exec, s[20:21]
	s_cbranch_execnz .LBB269_1576
; %bb.1191:                             ;   in Loop: Header=BB269_815 Depth=1
	s_or_saveexec_b64 s[12:13], s[12:13]
	v_mov_b32_e32 v52, s22
	s_xor_b64 exec, exec, s[12:13]
	s_cbranch_execnz .LBB269_1579
.LBB269_1192:                           ;   in Loop: Header=BB269_815 Depth=1
	s_or_b64 exec, exec, s[12:13]
	s_and_saveexec_b64 s[12:13], s[0:1]
	s_cbranch_execz .LBB269_1194
.LBB269_1193:                           ;   in Loop: Header=BB269_815 Depth=1
	v_and_b32_e32 v15, 7, v50
	v_ffbh_u32_e32 v15, v15
	v_bfe_u32 v24, v50, 3, 4
	v_min_u32_e32 v15, 32, v15
	v_subrev_u32_e32 v26, 28, v15
	v_sub_u32_e32 v15, 29, v15
	v_cmp_eq_u32_e64 s[0:1], 0, v24
	s_nop 1
	v_cndmask_b32_e64 v15, v24, v15, s[0:1]
	v_cndmask_b32_e64 v24, 0, v26, s[0:1]
	v_lshlrev_b64 v[26:27], v24, v[50:51]
	v_lshlrev_b32_e32 v24, 7, v26
	v_lshlrev_b32_e32 v26, 8, v50
	v_lshl_add_u32 v15, v15, 10, v1
	v_and_or_b32 v15, v26, s25, v15
	v_and_or_b32 v15, v24, s26, v15
	v_cvt_f32_f16_e32 v52, v15
.LBB269_1194:                           ;   in Loop: Header=BB269_815 Depth=1
	s_or_b64 exec, exec, s[12:13]
	v_lshrrev_b16_e32 v24, 8, v50
	v_cmp_lt_i16_e64 s[0:1], s17, v24
	s_mov_b64 s[12:13], 0
                                        ; implicit-def: $sgpr30
	s_and_saveexec_b64 s[20:21], s[0:1]
	s_xor_b64 s[20:21], exec, s[20:21]
	s_cbranch_execnz .LBB269_1580
; %bb.1195:                             ;   in Loop: Header=BB269_815 Depth=1
	s_or_saveexec_b64 s[20:21], s[20:21]
	v_mov_b32_e32 v54, s30
	s_xor_b64 exec, exec, s[20:21]
	s_cbranch_execnz .LBB269_1583
.LBB269_1196:                           ;   in Loop: Header=BB269_815 Depth=1
	s_or_b64 exec, exec, s[20:21]
	s_and_saveexec_b64 s[20:21], s[12:13]
	s_cbranch_execz .LBB269_1198
.LBB269_1197:                           ;   in Loop: Header=BB269_815 Depth=1
	v_and_b32_e32 v15, 7, v24
	v_ffbh_u32_e32 v26, v15
	v_min_u32_e32 v54, 32, v26
	v_subrev_u32_e32 v26, 28, v54
	v_bfe_u32 v53, v24, 3, 4
	v_lshlrev_b64 v[26:27], v26, v[24:25]
	v_sub_u32_e32 v27, 29, v54
	v_cmp_eq_u32_e64 s[0:1], 0, v53
	v_and_b32_e32 v26, 7, v26
	v_lshlrev_b32_e32 v24, 8, v24
	v_cndmask_b32_e64 v27, v53, v27, s[0:1]
	v_cndmask_b32_e64 v15, v15, v26, s[0:1]
	v_lshl_add_u32 v26, v27, 10, v1
	v_and_or_b32 v24, v24, s25, v26
	v_lshl_or_b32 v15, v15, 7, v24
	v_cvt_f32_f16_e32 v54, v15
.LBB269_1198:                           ;   in Loop: Header=BB269_815 Depth=1
	s_or_b64 exec, exec, s[20:21]
	v_lshrrev_b32_e32 v24, 16, v50
	v_cmp_gt_i16_sdwa s[12:13], v24, s17 src0_sel:BYTE_0 src1_sel:DWORD
	s_mov_b64 s[0:1], 0
                                        ; implicit-def: $sgpr22
	s_and_saveexec_b64 s[20:21], s[12:13]
	s_xor_b64 s[12:13], exec, s[20:21]
	s_cbranch_execnz .LBB269_1584
; %bb.1199:                             ;   in Loop: Header=BB269_815 Depth=1
	s_or_saveexec_b64 s[12:13], s[12:13]
	v_mov_b32_e32 v53, s22
	s_xor_b64 exec, exec, s[12:13]
	s_cbranch_execnz .LBB269_1587
.LBB269_1200:                           ;   in Loop: Header=BB269_815 Depth=1
	s_or_b64 exec, exec, s[12:13]
	s_and_saveexec_b64 s[12:13], s[0:1]
	s_cbranch_execz .LBB269_1202
.LBB269_1201:                           ;   in Loop: Header=BB269_815 Depth=1
	v_bfe_u32 v15, v50, 16, 3
	v_ffbh_u32_e32 v26, v15
	v_min_u32_e32 v55, 32, v26
	v_subrev_u32_e32 v26, 28, v55
	v_bfe_u32 v53, v50, 19, 4
	v_lshlrev_b64 v[26:27], v26, v[24:25]
	v_sub_u32_e32 v27, 29, v55
	v_cmp_eq_u32_e64 s[0:1], 0, v53
	v_and_b32_e32 v26, 7, v26
	v_lshlrev_b32_e32 v24, 8, v24
	v_cndmask_b32_e64 v27, v53, v27, s[0:1]
	v_cndmask_b32_e64 v15, v15, v26, s[0:1]
	v_lshl_add_u32 v26, v27, 10, v1
	v_and_or_b32 v24, v24, s25, v26
	v_lshl_or_b32 v15, v15, 7, v24
	v_cvt_f32_f16_e32 v53, v15
.LBB269_1202:                           ;   in Loop: Header=BB269_815 Depth=1
	s_or_b64 exec, exec, s[12:13]
	v_lshrrev_b32_e32 v24, 24, v50
	v_cmp_lt_i16_e64 s[0:1], s17, v24
	s_mov_b64 s[12:13], 0
                                        ; implicit-def: $sgpr30
	s_and_saveexec_b64 s[20:21], s[0:1]
	s_xor_b64 s[20:21], exec, s[20:21]
	s_cbranch_execnz .LBB269_1588
; %bb.1203:                             ;   in Loop: Header=BB269_815 Depth=1
	s_or_saveexec_b64 s[20:21], s[20:21]
	v_mov_b32_e32 v55, s30
	s_xor_b64 exec, exec, s[20:21]
	s_cbranch_execnz .LBB269_1591
.LBB269_1204:                           ;   in Loop: Header=BB269_815 Depth=1
	s_or_b64 exec, exec, s[20:21]
	s_and_saveexec_b64 s[20:21], s[12:13]
	s_cbranch_execz .LBB269_1206
.LBB269_1205:                           ;   in Loop: Header=BB269_815 Depth=1
	v_bfe_u32 v15, v50, 24, 3
	v_ffbh_u32_e32 v26, v15
	v_min_u32_e32 v55, 32, v26
	v_subrev_u32_e32 v26, 28, v55
	v_bfe_u32 v50, v50, 27, 4
	v_lshlrev_b64 v[26:27], v26, v[24:25]
	v_sub_u32_e32 v27, 29, v55
	v_cmp_eq_u32_e64 s[0:1], 0, v50
	v_and_b32_e32 v26, 7, v26
	v_lshlrev_b32_e32 v24, 8, v24
	v_cndmask_b32_e64 v27, v50, v27, s[0:1]
	v_cndmask_b32_e64 v15, v15, v26, s[0:1]
	v_lshl_add_u32 v26, v27, 10, v1
	v_and_or_b32 v24, v24, s25, v26
	v_lshl_or_b32 v15, v15, 7, v24
	v_cvt_f32_f16_e32 v55, v15
.LBB269_1206:                           ;   in Loop: Header=BB269_815 Depth=1
	s_or_b64 exec, exec, s[20:21]
	v_cmp_gt_i16_sdwa s[12:13], v51, s17 src0_sel:BYTE_0 src1_sel:DWORD
	s_mov_b64 s[0:1], 0
                                        ; implicit-def: $sgpr22
	s_and_saveexec_b64 s[20:21], s[12:13]
	s_xor_b64 s[12:13], exec, s[20:21]
	s_cbranch_execnz .LBB269_1592
; %bb.1207:                             ;   in Loop: Header=BB269_815 Depth=1
	s_or_saveexec_b64 s[12:13], s[12:13]
	v_mov_b32_e32 v15, s22
	s_xor_b64 exec, exec, s[12:13]
	s_cbranch_execnz .LBB269_1595
.LBB269_1208:                           ;   in Loop: Header=BB269_815 Depth=1
	s_or_b64 exec, exec, s[12:13]
	v_mov_b32_e32 v24, v51
	s_and_saveexec_b64 s[12:13], s[0:1]
	s_cbranch_execz .LBB269_1210
.LBB269_1209:                           ;   in Loop: Header=BB269_815 Depth=1
	v_and_b32_e32 v15, 7, v51
	v_ffbh_u32_e32 v15, v15
	v_bfe_u32 v26, v51, 3, 4
	v_min_u32_e32 v15, 32, v15
	v_subrev_u32_e32 v27, 28, v15
	v_sub_u32_e32 v15, 29, v15
	v_cmp_eq_u32_e64 s[0:1], 0, v26
	s_nop 1
	v_cndmask_b32_e64 v15, v26, v15, s[0:1]
	v_cndmask_b32_e64 v26, 0, v27, s[0:1]
	v_lshlrev_b64 v[26:27], v26, v[24:25]
	v_lshlrev_b32_e32 v27, 8, v51
	v_lshl_add_u32 v15, v15, 10, v1
	v_lshlrev_b32_e32 v26, 7, v26
	v_and_or_b32 v15, v27, s25, v15
	v_and_or_b32 v15, v26, s26, v15
	v_cvt_f32_f16_e32 v15, v15
.LBB269_1210:                           ;   in Loop: Header=BB269_815 Depth=1
	s_or_b64 exec, exec, s[12:13]
	v_lshrrev_b16_e32 v24, 8, v24
	v_cmp_lt_i16_e64 s[0:1], s17, v24
	s_mov_b64 s[12:13], 0
                                        ; implicit-def: $sgpr30
	s_and_saveexec_b64 s[20:21], s[0:1]
	s_xor_b64 s[20:21], exec, s[20:21]
	s_cbranch_execnz .LBB269_1596
; %bb.1211:                             ;   in Loop: Header=BB269_815 Depth=1
	s_or_saveexec_b64 s[20:21], s[20:21]
	v_mov_b32_e32 v50, s30
	s_xor_b64 exec, exec, s[20:21]
	s_cbranch_execnz .LBB269_1599
.LBB269_1212:                           ;   in Loop: Header=BB269_815 Depth=1
	s_or_b64 exec, exec, s[20:21]
	s_and_saveexec_b64 s[20:21], s[12:13]
	s_cbranch_execz .LBB269_1214
.LBB269_1213:                           ;   in Loop: Header=BB269_815 Depth=1
	v_and_b32_e32 v50, 7, v24
	v_ffbh_u32_e32 v26, v50
	v_min_u32_e32 v41, 32, v26
	v_subrev_u32_e32 v26, 28, v41
	v_bfe_u32 v40, v24, 3, 4
	v_lshlrev_b64 v[26:27], v26, v[24:25]
	v_sub_u32_e32 v27, 29, v41
	v_cmp_eq_u32_e64 s[0:1], 0, v40
	v_and_b32_e32 v26, 7, v26
	v_lshlrev_b32_e32 v24, 8, v24
	v_cndmask_b32_e64 v27, v40, v27, s[0:1]
	v_lshl_add_u32 v27, v27, 10, v1
	v_cndmask_b32_e64 v26, v50, v26, s[0:1]
	v_and_or_b32 v24, v24, s25, v27
	v_lshl_or_b32 v24, v26, 7, v24
	v_cvt_f32_f16_e32 v50, v24
.LBB269_1214:                           ;   in Loop: Header=BB269_815 Depth=1
	s_or_b64 exec, exec, s[20:21]
	v_lshrrev_b32_e32 v24, 16, v51
	v_cmp_gt_i16_sdwa s[12:13], v24, s17 src0_sel:BYTE_0 src1_sel:DWORD
	s_mov_b64 s[0:1], 0
                                        ; implicit-def: $sgpr22
	s_and_saveexec_b64 s[20:21], s[12:13]
	s_xor_b64 s[12:13], exec, s[20:21]
	s_cbranch_execnz .LBB269_1600
; %bb.1215:                             ;   in Loop: Header=BB269_815 Depth=1
	s_or_saveexec_b64 s[12:13], s[12:13]
	v_mov_b32_e32 v40, s22
	s_xor_b64 exec, exec, s[12:13]
	s_cbranch_execnz .LBB269_1603
.LBB269_1216:                           ;   in Loop: Header=BB269_815 Depth=1
	s_or_b64 exec, exec, s[12:13]
	s_and_saveexec_b64 s[12:13], s[0:1]
	s_cbranch_execz .LBB269_1218
.LBB269_1217:                           ;   in Loop: Header=BB269_815 Depth=1
	v_bfe_u32 v40, v51, 16, 3
	v_ffbh_u32_e32 v26, v40
	v_min_u32_e32 v47, 32, v26
	v_subrev_u32_e32 v26, 28, v47
	v_bfe_u32 v41, v51, 19, 4
	v_lshlrev_b64 v[26:27], v26, v[24:25]
	v_sub_u32_e32 v27, 29, v47
	v_cmp_eq_u32_e64 s[0:1], 0, v41
	v_and_b32_e32 v26, 7, v26
	v_lshlrev_b32_e32 v24, 8, v24
	v_cndmask_b32_e64 v27, v41, v27, s[0:1]
	v_lshl_add_u32 v27, v27, 10, v1
	v_cndmask_b32_e64 v26, v40, v26, s[0:1]
	v_and_or_b32 v24, v24, s25, v27
	v_lshl_or_b32 v24, v26, 7, v24
	v_cvt_f32_f16_e32 v40, v24
.LBB269_1218:                           ;   in Loop: Header=BB269_815 Depth=1
	s_or_b64 exec, exec, s[12:13]
	v_lshrrev_b32_e32 v24, 24, v51
	v_cmp_lt_i16_e64 s[0:1], s17, v24
	s_mov_b64 s[12:13], 0
                                        ; implicit-def: $sgpr30
	s_and_saveexec_b64 s[20:21], s[0:1]
	s_xor_b64 s[20:21], exec, s[20:21]
	s_cbranch_execnz .LBB269_1604
; %bb.1219:                             ;   in Loop: Header=BB269_815 Depth=1
	s_or_saveexec_b64 s[20:21], s[20:21]
	v_mov_b32_e32 v41, s30
	s_xor_b64 exec, exec, s[20:21]
	s_cbranch_execnz .LBB269_1607
.LBB269_1220:                           ;   in Loop: Header=BB269_815 Depth=1
	s_or_b64 exec, exec, s[20:21]
	s_and_saveexec_b64 s[20:21], s[12:13]
	s_cbranch_execz .LBB269_1222
.LBB269_1221:                           ;   in Loop: Header=BB269_815 Depth=1
	v_bfe_u32 v41, v51, 24, 3
	v_ffbh_u32_e32 v26, v41
	v_min_u32_e32 v47, 32, v26
	v_subrev_u32_e32 v26, 28, v47
	v_bfe_u32 v51, v51, 27, 4
	v_lshlrev_b64 v[26:27], v26, v[24:25]
	v_sub_u32_e32 v27, 29, v47
	v_cmp_eq_u32_e64 s[0:1], 0, v51
	v_and_b32_e32 v26, 7, v26
	v_lshlrev_b32_e32 v24, 8, v24
	v_cndmask_b32_e64 v27, v51, v27, s[0:1]
	v_lshl_add_u32 v27, v27, 10, v1
	v_cndmask_b32_e64 v26, v41, v26, s[0:1]
	v_and_or_b32 v24, v24, s25, v27
	v_lshl_or_b32 v24, v26, 7, v24
	v_cvt_f32_f16_e32 v41, v24
.LBB269_1222:                           ;   in Loop: Header=BB269_815 Depth=1
	s_or_b64 exec, exec, s[20:21]
	v_pk_mul_f32 v[26:27], v[14:15], v[54:55] op_sel_hi:[0,1]
	v_pk_mul_f32 v[52:53], v[14:15], v[52:53] op_sel_hi:[0,1]
	v_cvt_f16_f32_e32 v24, v27
	v_cvt_f16_f32_e32 v26, v26
	;; [unrolled: 1-line block ×4, first 2 shown]
	v_fma_mixlo_f16 v15, v14, v15, 0
	v_pack_b32_f16 v26, v26, v24
	v_pack_b32_f16 v27, v51, v27
	v_perm_b32 v24, v27, v26, s27
	v_perm_b32 v51, v27, v26, s28
	v_fma_mixlo_f16 v26, v14, v50, 0
	v_fma_mixlo_f16 v50, v14, v40, 0
	;; [unrolled: 1-line block ×3, first 2 shown]
	v_lshlrev_b32_e32 v26, 16, v26
	v_lshlrev_b32_e32 v14, 16, v14
	v_or_b32_sdwa v15, v26, v15 dst_sel:DWORD dst_unused:UNUSED_PAD src0_sel:DWORD src1_sel:WORD_0
	v_or_b32_sdwa v14, v14, v50 dst_sel:DWORD dst_unused:UNUSED_PAD src0_sel:DWORD src1_sel:WORD_0
	s_and_saveexec_b64 s[0:1], vcc
	s_cbranch_execz .LBB269_813
; %bb.1223:                             ;   in Loop: Header=BB269_815 Depth=1
	v_lshrrev_b32_e32 v26, 16, v51
	v_cmp_lt_i32_e32 vcc, v6, v3
	v_accvgpr_read_b32 v52, a8
	s_nop 0
	v_cndmask_b32_e32 v6, 0, v26, vcc
	v_cmp_lt_i32_e32 vcc, v61, v52
	s_nop 1
	v_cndmask_b32_e32 v26, 0, v51, vcc
	v_perm_b32 v51, v6, v26, s29
	v_lshrrev_b32_e32 v6, 16, v24
	v_cmp_lt_i32_e32 vcc, v56, v3
	s_nop 1
	v_cndmask_b32_e32 v6, 0, v6, vcc
	v_cmp_lt_i32_e32 vcc, v59, v52
	s_nop 1
	v_cndmask_b32_e32 v24, 0, v24, vcc
	v_perm_b32 v24, v6, v24, s29
	v_lshrrev_b32_e32 v6, 16, v15
	v_cmp_lt_i32_e32 vcc, v58, v3
	;; [unrolled: 8-line block ×3, first 2 shown]
	s_nop 1
	v_cndmask_b32_e32 v6, 0, v6, vcc
	v_cmp_lt_i32_e32 vcc, v0, v52
	s_nop 1
	v_cndmask_b32_e32 v0, 0, v50, vcc
	v_perm_b32 v14, v6, v0, s29
	s_branch .LBB269_813
.LBB269_1224:                           ;   in Loop: Header=BB269_815 Depth=1
	v_cmp_eq_u16_sdwa vcc, v54, s24 src0_sel:BYTE_0 src1_sel:DWORD
	s_mov_b64 s[0:1], -1
                                        ; implicit-def: $sgpr22
	s_and_saveexec_b64 s[20:21], vcc
; %bb.1225:                             ;   in Loop: Header=BB269_815 Depth=1
	s_mov_b32 s22, 0x7fc02000
	s_xor_b64 s[0:1], exec, -1
; %bb.1226:                             ;   in Loop: Header=BB269_815 Depth=1
	s_or_b64 exec, exec, s[20:21]
	s_and_b64 s[0:1], s[0:1], exec
	s_or_saveexec_b64 s[12:13], s[12:13]
	v_mov_b32_e32 v40, s22
	s_xor_b64 exec, exec, s[12:13]
	s_cbranch_execz .LBB269_818
.LBB269_1227:                           ;   in Loop: Header=BB269_815 Depth=1
	v_cmp_ne_u16_sdwa s[20:21], v54, v25 src0_sel:BYTE_0 src1_sel:DWORD
	s_andn2_b64 s[0:1], s[0:1], exec
	s_and_b64 s[20:21], s[20:21], exec
	v_mov_b32_e32 v40, 0
	s_or_b64 s[0:1], s[0:1], s[20:21]
	s_or_b64 exec, exec, s[12:13]
	s_and_saveexec_b64 s[12:13], s[0:1]
	s_cbranch_execnz .LBB269_819
	s_branch .LBB269_820
.LBB269_1228:                           ;   in Loop: Header=BB269_815 Depth=1
	v_cmp_eq_u16_e32 vcc, s24, v24
	s_mov_b64 s[0:1], -1
                                        ; implicit-def: $sgpr22
	s_and_saveexec_b64 s[20:21], vcc
; %bb.1229:                             ;   in Loop: Header=BB269_815 Depth=1
	s_mov_b32 s22, 0x7fc02000
	s_xor_b64 s[0:1], exec, -1
; %bb.1230:                             ;   in Loop: Header=BB269_815 Depth=1
	s_or_b64 exec, exec, s[20:21]
	s_and_b64 s[0:1], s[0:1], exec
	s_or_saveexec_b64 s[12:13], s[12:13]
	v_mov_b32_e32 v42, s22
	s_xor_b64 exec, exec, s[12:13]
	s_cbranch_execz .LBB269_822
.LBB269_1231:                           ;   in Loop: Header=BB269_815 Depth=1
	v_cmp_ne_u16_e32 vcc, 0, v24
	s_andn2_b64 s[0:1], s[0:1], exec
	s_and_b64 s[20:21], vcc, exec
	v_mov_b32_e32 v42, 0
	s_or_b64 s[0:1], s[0:1], s[20:21]
	s_or_b64 exec, exec, s[12:13]
	s_and_saveexec_b64 s[12:13], s[0:1]
	s_cbranch_execnz .LBB269_823
	s_branch .LBB269_824
.LBB269_1232:                           ;   in Loop: Header=BB269_815 Depth=1
	v_cmp_eq_u16_sdwa vcc, v24, s24 src0_sel:BYTE_0 src1_sel:DWORD
	s_mov_b64 s[0:1], -1
                                        ; implicit-def: $sgpr22
	s_and_saveexec_b64 s[20:21], vcc
; %bb.1233:                             ;   in Loop: Header=BB269_815 Depth=1
	s_mov_b32 s22, 0x7fc02000
	s_xor_b64 s[0:1], exec, -1
; %bb.1234:                             ;   in Loop: Header=BB269_815 Depth=1
	s_or_b64 exec, exec, s[20:21]
	s_and_b64 s[0:1], s[0:1], exec
	s_or_saveexec_b64 s[12:13], s[12:13]
	v_mov_b32_e32 v41, s22
	s_xor_b64 exec, exec, s[12:13]
	s_cbranch_execz .LBB269_826
.LBB269_1235:                           ;   in Loop: Header=BB269_815 Depth=1
	v_cmp_ne_u16_sdwa s[20:21], v24, v25 src0_sel:BYTE_0 src1_sel:DWORD
	s_andn2_b64 s[0:1], s[0:1], exec
	s_and_b64 s[20:21], s[20:21], exec
	v_mov_b32_e32 v41, 0
	s_or_b64 s[0:1], s[0:1], s[20:21]
	s_or_b64 exec, exec, s[12:13]
	s_and_saveexec_b64 s[12:13], s[0:1]
	s_cbranch_execnz .LBB269_827
	s_branch .LBB269_828
.LBB269_1236:                           ;   in Loop: Header=BB269_815 Depth=1
	v_cmp_eq_u16_e32 vcc, s24, v24
	s_mov_b64 s[0:1], -1
                                        ; implicit-def: $sgpr22
	s_and_saveexec_b64 s[20:21], vcc
; %bb.1237:                             ;   in Loop: Header=BB269_815 Depth=1
	s_mov_b32 s22, 0x7fc02000
	s_xor_b64 s[0:1], exec, -1
; %bb.1238:                             ;   in Loop: Header=BB269_815 Depth=1
	s_or_b64 exec, exec, s[20:21]
	s_and_b64 s[0:1], s[0:1], exec
	s_or_saveexec_b64 s[12:13], s[12:13]
	v_mov_b32_e32 v43, s22
	s_xor_b64 exec, exec, s[12:13]
	s_cbranch_execz .LBB269_830
.LBB269_1239:                           ;   in Loop: Header=BB269_815 Depth=1
	v_cmp_ne_u16_e32 vcc, 0, v24
	s_andn2_b64 s[0:1], s[0:1], exec
	s_and_b64 s[20:21], vcc, exec
	v_mov_b32_e32 v43, 0
	s_or_b64 s[0:1], s[0:1], s[20:21]
	s_or_b64 exec, exec, s[12:13]
	s_and_saveexec_b64 s[12:13], s[0:1]
	s_cbranch_execnz .LBB269_831
	s_branch .LBB269_832
.LBB269_1240:                           ;   in Loop: Header=BB269_815 Depth=1
	v_cmp_eq_u16_sdwa vcc, v55, s24 src0_sel:BYTE_0 src1_sel:DWORD
	s_mov_b64 s[0:1], -1
                                        ; implicit-def: $sgpr22
	s_and_saveexec_b64 s[20:21], vcc
; %bb.1241:                             ;   in Loop: Header=BB269_815 Depth=1
	s_mov_b32 s22, 0x7fc02000
	s_xor_b64 s[0:1], exec, -1
; %bb.1242:                             ;   in Loop: Header=BB269_815 Depth=1
	s_or_b64 exec, exec, s[20:21]
	s_and_b64 s[0:1], s[0:1], exec
	s_or_saveexec_b64 s[12:13], s[12:13]
	v_mov_b32_e32 v0, s22
	s_xor_b64 exec, exec, s[12:13]
	s_cbranch_execz .LBB269_834
.LBB269_1243:                           ;   in Loop: Header=BB269_815 Depth=1
	v_cmp_ne_u16_sdwa s[20:21], v55, v25 src0_sel:BYTE_0 src1_sel:DWORD
	s_andn2_b64 s[0:1], s[0:1], exec
	s_and_b64 s[20:21], s[20:21], exec
	v_mov_b32_e32 v0, 0
	s_or_b64 s[0:1], s[0:1], s[20:21]
	s_or_b64 exec, exec, s[12:13]
	v_mov_b32_e32 v24, v55
	s_and_saveexec_b64 s[12:13], s[0:1]
	s_cbranch_execnz .LBB269_835
	s_branch .LBB269_836
.LBB269_1244:                           ;   in Loop: Header=BB269_815 Depth=1
	v_cmp_eq_u16_e32 vcc, s24, v24
	s_mov_b64 s[0:1], -1
                                        ; implicit-def: $sgpr22
	s_and_saveexec_b64 s[20:21], vcc
; %bb.1245:                             ;   in Loop: Header=BB269_815 Depth=1
	s_mov_b32 s22, 0x7fc02000
	s_xor_b64 s[0:1], exec, -1
; %bb.1246:                             ;   in Loop: Header=BB269_815 Depth=1
	s_or_b64 exec, exec, s[20:21]
	s_and_b64 s[0:1], s[0:1], exec
	s_or_saveexec_b64 s[12:13], s[12:13]
	v_mov_b32_e32 v6, s22
	s_xor_b64 exec, exec, s[12:13]
	s_cbranch_execz .LBB269_838
.LBB269_1247:                           ;   in Loop: Header=BB269_815 Depth=1
	v_cmp_ne_u16_e32 vcc, 0, v24
	s_andn2_b64 s[0:1], s[0:1], exec
	s_and_b64 s[20:21], vcc, exec
	v_mov_b32_e32 v6, 0
	s_or_b64 s[0:1], s[0:1], s[20:21]
	s_or_b64 exec, exec, s[12:13]
	s_and_saveexec_b64 s[12:13], s[0:1]
	s_cbranch_execnz .LBB269_839
	s_branch .LBB269_840
.LBB269_1248:                           ;   in Loop: Header=BB269_815 Depth=1
	v_cmp_eq_u16_sdwa vcc, v24, s24 src0_sel:BYTE_0 src1_sel:DWORD
	s_mov_b64 s[0:1], -1
                                        ; implicit-def: $sgpr22
	s_and_saveexec_b64 s[20:21], vcc
; %bb.1249:                             ;   in Loop: Header=BB269_815 Depth=1
	s_mov_b32 s22, 0x7fc02000
	s_xor_b64 s[0:1], exec, -1
; %bb.1250:                             ;   in Loop: Header=BB269_815 Depth=1
	s_or_b64 exec, exec, s[20:21]
	s_and_b64 s[0:1], s[0:1], exec
	s_or_saveexec_b64 s[12:13], s[12:13]
	v_mov_b32_e32 v18, s22
	s_xor_b64 exec, exec, s[12:13]
	s_cbranch_execz .LBB269_842
.LBB269_1251:                           ;   in Loop: Header=BB269_815 Depth=1
	v_cmp_ne_u16_sdwa s[20:21], v24, v25 src0_sel:BYTE_0 src1_sel:DWORD
	s_andn2_b64 s[0:1], s[0:1], exec
	s_and_b64 s[20:21], s[20:21], exec
	v_mov_b32_e32 v18, 0
	s_or_b64 s[0:1], s[0:1], s[20:21]
	s_or_b64 exec, exec, s[12:13]
	s_and_saveexec_b64 s[12:13], s[0:1]
	s_cbranch_execnz .LBB269_843
	s_branch .LBB269_844
.LBB269_1252:                           ;   in Loop: Header=BB269_815 Depth=1
	v_cmp_eq_u16_e32 vcc, s24, v24
	s_mov_b64 s[0:1], -1
                                        ; implicit-def: $sgpr22
	s_and_saveexec_b64 s[20:21], vcc
; %bb.1253:                             ;   in Loop: Header=BB269_815 Depth=1
	s_mov_b32 s22, 0x7fc02000
	s_xor_b64 s[0:1], exec, -1
; %bb.1254:                             ;   in Loop: Header=BB269_815 Depth=1
	s_or_b64 exec, exec, s[20:21]
	s_and_b64 s[0:1], s[0:1], exec
	s_or_saveexec_b64 s[12:13], s[12:13]
	v_mov_b32_e32 v27, s22
	s_xor_b64 exec, exec, s[12:13]
	s_cbranch_execz .LBB269_846
.LBB269_1255:                           ;   in Loop: Header=BB269_815 Depth=1
	v_cmp_ne_u16_e32 vcc, 0, v24
	s_andn2_b64 s[0:1], s[0:1], exec
	s_and_b64 s[20:21], vcc, exec
	v_mov_b32_e32 v27, 0
	s_or_b64 s[0:1], s[0:1], s[20:21]
	s_or_b64 exec, exec, s[12:13]
	s_and_saveexec_b64 s[12:13], s[0:1]
	s_cbranch_execnz .LBB269_847
	s_branch .LBB269_848
.LBB269_1256:                           ;   in Loop: Header=BB269_815 Depth=1
	v_cmp_eq_u16_sdwa s[30:31], v54, s24 src0_sel:BYTE_0 src1_sel:DWORD
	s_mov_b64 s[0:1], -1
                                        ; implicit-def: $sgpr22
	s_and_saveexec_b64 s[20:21], s[30:31]
; %bb.1257:                             ;   in Loop: Header=BB269_815 Depth=1
	s_mov_b32 s22, 0x7fc02000
	s_xor_b64 s[0:1], exec, -1
; %bb.1258:                             ;   in Loop: Header=BB269_815 Depth=1
	s_or_b64 exec, exec, s[20:21]
	s_and_b64 s[0:1], s[0:1], exec
	s_or_saveexec_b64 s[12:13], s[12:13]
	v_mov_b32_e32 v40, s22
	s_xor_b64 exec, exec, s[12:13]
	s_cbranch_execz .LBB269_852
.LBB269_1259:                           ;   in Loop: Header=BB269_815 Depth=1
	v_cmp_ne_u16_sdwa s[20:21], v54, v25 src0_sel:BYTE_0 src1_sel:DWORD
	s_andn2_b64 s[0:1], s[0:1], exec
	s_and_b64 s[20:21], s[20:21], exec
	v_mov_b32_e32 v40, 0
	s_or_b64 s[0:1], s[0:1], s[20:21]
	s_or_b64 exec, exec, s[12:13]
	s_and_saveexec_b64 s[12:13], s[0:1]
	s_cbranch_execnz .LBB269_853
	s_branch .LBB269_854
.LBB269_1260:                           ;   in Loop: Header=BB269_815 Depth=1
	v_cmp_eq_u16_e64 s[0:1], s24, v24
	s_mov_b64 s[12:13], -1
                                        ; implicit-def: $sgpr30
	s_and_saveexec_b64 s[22:23], s[0:1]
; %bb.1261:                             ;   in Loop: Header=BB269_815 Depth=1
	s_mov_b32 s30, 0x7fc02000
	s_xor_b64 s[12:13], exec, -1
; %bb.1262:                             ;   in Loop: Header=BB269_815 Depth=1
	s_or_b64 exec, exec, s[22:23]
	s_and_b64 s[12:13], s[12:13], exec
	s_or_saveexec_b64 s[20:21], s[20:21]
	v_mov_b32_e32 v42, s30
	s_xor_b64 exec, exec, s[20:21]
	s_cbranch_execz .LBB269_856
.LBB269_1263:                           ;   in Loop: Header=BB269_815 Depth=1
	v_cmp_ne_u16_e64 s[0:1], 0, v24
	s_andn2_b64 s[12:13], s[12:13], exec
	s_and_b64 s[0:1], s[0:1], exec
	v_mov_b32_e32 v42, 0
	s_or_b64 s[12:13], s[12:13], s[0:1]
	s_or_b64 exec, exec, s[20:21]
	s_and_saveexec_b64 s[20:21], s[12:13]
	s_cbranch_execnz .LBB269_857
	s_branch .LBB269_858
.LBB269_1264:                           ;   in Loop: Header=BB269_815 Depth=1
	v_cmp_eq_u16_sdwa s[30:31], v24, s24 src0_sel:BYTE_0 src1_sel:DWORD
	s_mov_b64 s[0:1], -1
                                        ; implicit-def: $sgpr22
	s_and_saveexec_b64 s[20:21], s[30:31]
; %bb.1265:                             ;   in Loop: Header=BB269_815 Depth=1
	s_mov_b32 s22, 0x7fc02000
	s_xor_b64 s[0:1], exec, -1
; %bb.1266:                             ;   in Loop: Header=BB269_815 Depth=1
	s_or_b64 exec, exec, s[20:21]
	s_and_b64 s[0:1], s[0:1], exec
	s_or_saveexec_b64 s[12:13], s[12:13]
	v_mov_b32_e32 v41, s22
	s_xor_b64 exec, exec, s[12:13]
	s_cbranch_execz .LBB269_860
.LBB269_1267:                           ;   in Loop: Header=BB269_815 Depth=1
	v_cmp_ne_u16_sdwa s[20:21], v24, v25 src0_sel:BYTE_0 src1_sel:DWORD
	s_andn2_b64 s[0:1], s[0:1], exec
	s_and_b64 s[20:21], s[20:21], exec
	v_mov_b32_e32 v41, 0
	s_or_b64 s[0:1], s[0:1], s[20:21]
	s_or_b64 exec, exec, s[12:13]
	s_and_saveexec_b64 s[12:13], s[0:1]
	s_cbranch_execnz .LBB269_861
	s_branch .LBB269_862
.LBB269_1268:                           ;   in Loop: Header=BB269_815 Depth=1
	v_cmp_eq_u16_e64 s[0:1], s24, v24
	s_mov_b64 s[12:13], -1
                                        ; implicit-def: $sgpr30
	s_and_saveexec_b64 s[22:23], s[0:1]
; %bb.1269:                             ;   in Loop: Header=BB269_815 Depth=1
	s_mov_b32 s30, 0x7fc02000
	s_xor_b64 s[12:13], exec, -1
; %bb.1270:                             ;   in Loop: Header=BB269_815 Depth=1
	s_or_b64 exec, exec, s[22:23]
	s_and_b64 s[12:13], s[12:13], exec
	s_or_saveexec_b64 s[20:21], s[20:21]
	v_mov_b32_e32 v43, s30
	s_xor_b64 exec, exec, s[20:21]
	s_cbranch_execz .LBB269_864
.LBB269_1271:                           ;   in Loop: Header=BB269_815 Depth=1
	v_cmp_ne_u16_e64 s[0:1], 0, v24
	s_andn2_b64 s[12:13], s[12:13], exec
	s_and_b64 s[0:1], s[0:1], exec
	v_mov_b32_e32 v43, 0
	s_or_b64 s[12:13], s[12:13], s[0:1]
	s_or_b64 exec, exec, s[20:21]
	s_and_saveexec_b64 s[20:21], s[12:13]
	s_cbranch_execnz .LBB269_865
	s_branch .LBB269_866
.LBB269_1272:                           ;   in Loop: Header=BB269_815 Depth=1
	v_cmp_eq_u16_sdwa s[30:31], v55, s24 src0_sel:BYTE_0 src1_sel:DWORD
	s_mov_b64 s[0:1], -1
                                        ; implicit-def: $sgpr22
	s_and_saveexec_b64 s[20:21], s[30:31]
; %bb.1273:                             ;   in Loop: Header=BB269_815 Depth=1
	s_mov_b32 s22, 0x7fc02000
	s_xor_b64 s[0:1], exec, -1
; %bb.1274:                             ;   in Loop: Header=BB269_815 Depth=1
	s_or_b64 exec, exec, s[20:21]
	s_and_b64 s[0:1], s[0:1], exec
	s_or_saveexec_b64 s[12:13], s[12:13]
	v_mov_b32_e32 v2, s22
	s_xor_b64 exec, exec, s[12:13]
	s_cbranch_execz .LBB269_868
.LBB269_1275:                           ;   in Loop: Header=BB269_815 Depth=1
	v_cmp_ne_u16_sdwa s[20:21], v55, v25 src0_sel:BYTE_0 src1_sel:DWORD
	s_andn2_b64 s[0:1], s[0:1], exec
	s_and_b64 s[20:21], s[20:21], exec
	v_mov_b32_e32 v2, 0
	s_or_b64 s[0:1], s[0:1], s[20:21]
	s_or_b64 exec, exec, s[12:13]
	v_mov_b32_e32 v24, v55
	s_and_saveexec_b64 s[12:13], s[0:1]
	s_cbranch_execnz .LBB269_869
	s_branch .LBB269_870
.LBB269_1276:                           ;   in Loop: Header=BB269_815 Depth=1
	v_cmp_eq_u16_e64 s[0:1], s24, v24
	s_mov_b64 s[12:13], -1
                                        ; implicit-def: $sgpr30
	s_and_saveexec_b64 s[22:23], s[0:1]
; %bb.1277:                             ;   in Loop: Header=BB269_815 Depth=1
	s_mov_b32 s30, 0x7fc02000
	s_xor_b64 s[12:13], exec, -1
; %bb.1278:                             ;   in Loop: Header=BB269_815 Depth=1
	s_or_b64 exec, exec, s[22:23]
	s_and_b64 s[12:13], s[12:13], exec
	s_or_saveexec_b64 s[20:21], s[20:21]
	v_mov_b32_e32 v7, s30
	s_xor_b64 exec, exec, s[20:21]
	s_cbranch_execz .LBB269_872
.LBB269_1279:                           ;   in Loop: Header=BB269_815 Depth=1
	v_cmp_ne_u16_e64 s[0:1], 0, v24
	s_andn2_b64 s[12:13], s[12:13], exec
	s_and_b64 s[0:1], s[0:1], exec
	v_mov_b32_e32 v7, 0
	s_or_b64 s[12:13], s[12:13], s[0:1]
	s_or_b64 exec, exec, s[20:21]
	s_and_saveexec_b64 s[20:21], s[12:13]
	s_cbranch_execnz .LBB269_873
	s_branch .LBB269_874
.LBB269_1280:                           ;   in Loop: Header=BB269_815 Depth=1
	v_cmp_eq_u16_sdwa s[30:31], v24, s24 src0_sel:BYTE_0 src1_sel:DWORD
	s_mov_b64 s[0:1], -1
                                        ; implicit-def: $sgpr22
	s_and_saveexec_b64 s[20:21], s[30:31]
; %bb.1281:                             ;   in Loop: Header=BB269_815 Depth=1
	s_mov_b32 s22, 0x7fc02000
	s_xor_b64 s[0:1], exec, -1
; %bb.1282:                             ;   in Loop: Header=BB269_815 Depth=1
	s_or_b64 exec, exec, s[20:21]
	s_and_b64 s[0:1], s[0:1], exec
	s_or_saveexec_b64 s[12:13], s[12:13]
	v_mov_b32_e32 v12, s22
	s_xor_b64 exec, exec, s[12:13]
	s_cbranch_execz .LBB269_876
.LBB269_1283:                           ;   in Loop: Header=BB269_815 Depth=1
	v_cmp_ne_u16_sdwa s[20:21], v24, v25 src0_sel:BYTE_0 src1_sel:DWORD
	s_andn2_b64 s[0:1], s[0:1], exec
	s_and_b64 s[20:21], s[20:21], exec
	v_mov_b32_e32 v12, 0
	s_or_b64 s[0:1], s[0:1], s[20:21]
	s_or_b64 exec, exec, s[12:13]
	s_and_saveexec_b64 s[12:13], s[0:1]
	s_cbranch_execnz .LBB269_877
	s_branch .LBB269_878
.LBB269_1284:                           ;   in Loop: Header=BB269_815 Depth=1
	v_cmp_eq_u16_e64 s[0:1], s24, v24
	s_mov_b64 s[12:13], -1
                                        ; implicit-def: $sgpr30
	s_and_saveexec_b64 s[22:23], s[0:1]
; %bb.1285:                             ;   in Loop: Header=BB269_815 Depth=1
	s_mov_b32 s30, 0x7fc02000
	s_xor_b64 s[12:13], exec, -1
; %bb.1286:                             ;   in Loop: Header=BB269_815 Depth=1
	s_or_b64 exec, exec, s[22:23]
	s_and_b64 s[12:13], s[12:13], exec
	s_or_saveexec_b64 s[20:21], s[20:21]
	v_mov_b32_e32 v17, s30
	s_xor_b64 exec, exec, s[20:21]
	s_cbranch_execz .LBB269_880
.LBB269_1287:                           ;   in Loop: Header=BB269_815 Depth=1
	v_cmp_ne_u16_e64 s[0:1], 0, v24
	s_andn2_b64 s[12:13], s[12:13], exec
	s_and_b64 s[0:1], s[0:1], exec
	v_mov_b32_e32 v17, 0
	s_or_b64 s[12:13], s[12:13], s[0:1]
	s_or_b64 exec, exec, s[20:21]
	s_and_saveexec_b64 s[20:21], s[12:13]
	s_cbranch_execnz .LBB269_881
	s_branch .LBB269_882
.LBB269_1288:                           ;   in Loop: Header=BB269_815 Depth=1
	v_cmp_eq_u16_sdwa s[30:31], v54, s24 src0_sel:BYTE_0 src1_sel:DWORD
	s_mov_b64 s[0:1], -1
                                        ; implicit-def: $sgpr22
	s_and_saveexec_b64 s[20:21], s[30:31]
; %bb.1289:                             ;   in Loop: Header=BB269_815 Depth=1
	s_mov_b32 s22, 0x7fc02000
	s_xor_b64 s[0:1], exec, -1
; %bb.1290:                             ;   in Loop: Header=BB269_815 Depth=1
	s_or_b64 exec, exec, s[20:21]
	s_and_b64 s[0:1], s[0:1], exec
	s_or_saveexec_b64 s[12:13], s[12:13]
	v_mov_b32_e32 v40, s22
	s_xor_b64 exec, exec, s[12:13]
	s_cbranch_execz .LBB269_886
.LBB269_1291:                           ;   in Loop: Header=BB269_815 Depth=1
	v_cmp_ne_u16_sdwa s[20:21], v54, v25 src0_sel:BYTE_0 src1_sel:DWORD
	s_andn2_b64 s[0:1], s[0:1], exec
	s_and_b64 s[20:21], s[20:21], exec
	v_mov_b32_e32 v40, 0
	s_or_b64 s[0:1], s[0:1], s[20:21]
	s_or_b64 exec, exec, s[12:13]
	s_and_saveexec_b64 s[12:13], s[0:1]
	s_cbranch_execnz .LBB269_887
	s_branch .LBB269_888
.LBB269_1292:                           ;   in Loop: Header=BB269_815 Depth=1
	v_cmp_eq_u16_e64 s[0:1], s24, v24
	s_mov_b64 s[12:13], -1
                                        ; implicit-def: $sgpr30
	s_and_saveexec_b64 s[22:23], s[0:1]
; %bb.1293:                             ;   in Loop: Header=BB269_815 Depth=1
	s_mov_b32 s30, 0x7fc02000
	s_xor_b64 s[12:13], exec, -1
; %bb.1294:                             ;   in Loop: Header=BB269_815 Depth=1
	s_or_b64 exec, exec, s[22:23]
	s_and_b64 s[12:13], s[12:13], exec
	s_or_saveexec_b64 s[20:21], s[20:21]
	v_mov_b32_e32 v42, s30
	s_xor_b64 exec, exec, s[20:21]
	s_cbranch_execz .LBB269_890
.LBB269_1295:                           ;   in Loop: Header=BB269_815 Depth=1
	v_cmp_ne_u16_e64 s[0:1], 0, v24
	s_andn2_b64 s[12:13], s[12:13], exec
	s_and_b64 s[0:1], s[0:1], exec
	v_mov_b32_e32 v42, 0
	s_or_b64 s[12:13], s[12:13], s[0:1]
	s_or_b64 exec, exec, s[20:21]
	s_and_saveexec_b64 s[20:21], s[12:13]
	s_cbranch_execnz .LBB269_891
	s_branch .LBB269_892
.LBB269_1296:                           ;   in Loop: Header=BB269_815 Depth=1
	v_cmp_eq_u16_sdwa s[30:31], v24, s24 src0_sel:BYTE_0 src1_sel:DWORD
	s_mov_b64 s[0:1], -1
                                        ; implicit-def: $sgpr22
	s_and_saveexec_b64 s[20:21], s[30:31]
; %bb.1297:                             ;   in Loop: Header=BB269_815 Depth=1
	s_mov_b32 s22, 0x7fc02000
	s_xor_b64 s[0:1], exec, -1
; %bb.1298:                             ;   in Loop: Header=BB269_815 Depth=1
	s_or_b64 exec, exec, s[20:21]
	s_and_b64 s[0:1], s[0:1], exec
	s_or_saveexec_b64 s[12:13], s[12:13]
	v_mov_b32_e32 v41, s22
	s_xor_b64 exec, exec, s[12:13]
	s_cbranch_execz .LBB269_894
.LBB269_1299:                           ;   in Loop: Header=BB269_815 Depth=1
	v_cmp_ne_u16_sdwa s[20:21], v24, v25 src0_sel:BYTE_0 src1_sel:DWORD
	s_andn2_b64 s[0:1], s[0:1], exec
	s_and_b64 s[20:21], s[20:21], exec
	v_mov_b32_e32 v41, 0
	s_or_b64 s[0:1], s[0:1], s[20:21]
	s_or_b64 exec, exec, s[12:13]
	s_and_saveexec_b64 s[12:13], s[0:1]
	s_cbranch_execnz .LBB269_895
	s_branch .LBB269_896
.LBB269_1300:                           ;   in Loop: Header=BB269_815 Depth=1
	v_cmp_eq_u16_e64 s[0:1], s24, v24
	s_mov_b64 s[12:13], -1
                                        ; implicit-def: $sgpr30
	s_and_saveexec_b64 s[22:23], s[0:1]
; %bb.1301:                             ;   in Loop: Header=BB269_815 Depth=1
	s_mov_b32 s30, 0x7fc02000
	s_xor_b64 s[12:13], exec, -1
; %bb.1302:                             ;   in Loop: Header=BB269_815 Depth=1
	s_or_b64 exec, exec, s[22:23]
	s_and_b64 s[12:13], s[12:13], exec
	s_or_saveexec_b64 s[20:21], s[20:21]
	v_mov_b32_e32 v43, s30
	s_xor_b64 exec, exec, s[20:21]
	s_cbranch_execz .LBB269_898
.LBB269_1303:                           ;   in Loop: Header=BB269_815 Depth=1
	v_cmp_ne_u16_e64 s[0:1], 0, v24
	s_andn2_b64 s[12:13], s[12:13], exec
	s_and_b64 s[0:1], s[0:1], exec
	v_mov_b32_e32 v43, 0
	s_or_b64 s[12:13], s[12:13], s[0:1]
	s_or_b64 exec, exec, s[20:21]
	s_and_saveexec_b64 s[20:21], s[12:13]
	s_cbranch_execnz .LBB269_899
	s_branch .LBB269_900
.LBB269_1304:                           ;   in Loop: Header=BB269_815 Depth=1
	v_cmp_eq_u16_sdwa s[30:31], v55, s24 src0_sel:BYTE_0 src1_sel:DWORD
	s_mov_b64 s[0:1], -1
                                        ; implicit-def: $sgpr22
	s_and_saveexec_b64 s[20:21], s[30:31]
; %bb.1305:                             ;   in Loop: Header=BB269_815 Depth=1
	s_mov_b32 s22, 0x7fc02000
	s_xor_b64 s[0:1], exec, -1
; %bb.1306:                             ;   in Loop: Header=BB269_815 Depth=1
	s_or_b64 exec, exec, s[20:21]
	s_and_b64 s[0:1], s[0:1], exec
	s_or_saveexec_b64 s[12:13], s[12:13]
	v_mov_b32_e32 v2, s22
	s_xor_b64 exec, exec, s[12:13]
	s_cbranch_execz .LBB269_902
.LBB269_1307:                           ;   in Loop: Header=BB269_815 Depth=1
	v_cmp_ne_u16_sdwa s[20:21], v55, v25 src0_sel:BYTE_0 src1_sel:DWORD
	s_andn2_b64 s[0:1], s[0:1], exec
	s_and_b64 s[20:21], s[20:21], exec
	v_mov_b32_e32 v2, 0
	s_or_b64 s[0:1], s[0:1], s[20:21]
	s_or_b64 exec, exec, s[12:13]
	v_mov_b32_e32 v24, v55
	s_and_saveexec_b64 s[12:13], s[0:1]
	s_cbranch_execnz .LBB269_903
	s_branch .LBB269_904
.LBB269_1308:                           ;   in Loop: Header=BB269_815 Depth=1
	v_cmp_eq_u16_e64 s[0:1], s24, v24
	s_mov_b64 s[12:13], -1
                                        ; implicit-def: $sgpr30
	s_and_saveexec_b64 s[22:23], s[0:1]
; %bb.1309:                             ;   in Loop: Header=BB269_815 Depth=1
	s_mov_b32 s30, 0x7fc02000
	s_xor_b64 s[12:13], exec, -1
; %bb.1310:                             ;   in Loop: Header=BB269_815 Depth=1
	s_or_b64 exec, exec, s[22:23]
	s_and_b64 s[12:13], s[12:13], exec
	s_or_saveexec_b64 s[20:21], s[20:21]
	v_mov_b32_e32 v7, s30
	s_xor_b64 exec, exec, s[20:21]
	s_cbranch_execz .LBB269_906
.LBB269_1311:                           ;   in Loop: Header=BB269_815 Depth=1
	v_cmp_ne_u16_e64 s[0:1], 0, v24
	s_andn2_b64 s[12:13], s[12:13], exec
	s_and_b64 s[0:1], s[0:1], exec
	v_mov_b32_e32 v7, 0
	s_or_b64 s[12:13], s[12:13], s[0:1]
	s_or_b64 exec, exec, s[20:21]
	s_and_saveexec_b64 s[20:21], s[12:13]
	s_cbranch_execnz .LBB269_907
	s_branch .LBB269_908
.LBB269_1312:                           ;   in Loop: Header=BB269_815 Depth=1
	v_cmp_eq_u16_sdwa s[30:31], v24, s24 src0_sel:BYTE_0 src1_sel:DWORD
	s_mov_b64 s[0:1], -1
                                        ; implicit-def: $sgpr22
	s_and_saveexec_b64 s[20:21], s[30:31]
; %bb.1313:                             ;   in Loop: Header=BB269_815 Depth=1
	s_mov_b32 s22, 0x7fc02000
	s_xor_b64 s[0:1], exec, -1
; %bb.1314:                             ;   in Loop: Header=BB269_815 Depth=1
	s_or_b64 exec, exec, s[20:21]
	s_and_b64 s[0:1], s[0:1], exec
	s_or_saveexec_b64 s[12:13], s[12:13]
	v_mov_b32_e32 v12, s22
	s_xor_b64 exec, exec, s[12:13]
	s_cbranch_execz .LBB269_910
.LBB269_1315:                           ;   in Loop: Header=BB269_815 Depth=1
	v_cmp_ne_u16_sdwa s[20:21], v24, v25 src0_sel:BYTE_0 src1_sel:DWORD
	s_andn2_b64 s[0:1], s[0:1], exec
	s_and_b64 s[20:21], s[20:21], exec
	v_mov_b32_e32 v12, 0
	s_or_b64 s[0:1], s[0:1], s[20:21]
	s_or_b64 exec, exec, s[12:13]
	s_and_saveexec_b64 s[12:13], s[0:1]
	s_cbranch_execnz .LBB269_911
	s_branch .LBB269_912
.LBB269_1316:                           ;   in Loop: Header=BB269_815 Depth=1
	v_cmp_eq_u16_e64 s[0:1], s24, v24
	s_mov_b64 s[12:13], -1
                                        ; implicit-def: $sgpr30
	s_and_saveexec_b64 s[22:23], s[0:1]
; %bb.1317:                             ;   in Loop: Header=BB269_815 Depth=1
	s_mov_b32 s30, 0x7fc02000
	s_xor_b64 s[12:13], exec, -1
; %bb.1318:                             ;   in Loop: Header=BB269_815 Depth=1
	s_or_b64 exec, exec, s[22:23]
	s_and_b64 s[12:13], s[12:13], exec
	s_or_saveexec_b64 s[20:21], s[20:21]
	v_mov_b32_e32 v17, s30
	s_xor_b64 exec, exec, s[20:21]
	s_cbranch_execz .LBB269_914
.LBB269_1319:                           ;   in Loop: Header=BB269_815 Depth=1
	v_cmp_ne_u16_e64 s[0:1], 0, v24
	s_andn2_b64 s[12:13], s[12:13], exec
	s_and_b64 s[0:1], s[0:1], exec
	v_mov_b32_e32 v17, 0
	s_or_b64 s[12:13], s[12:13], s[0:1]
	s_or_b64 exec, exec, s[20:21]
	s_and_saveexec_b64 s[20:21], s[12:13]
	s_cbranch_execnz .LBB269_915
	s_branch .LBB269_916
.LBB269_1320:                           ;   in Loop: Header=BB269_815 Depth=1
	v_cmp_eq_u16_sdwa s[30:31], v54, s24 src0_sel:BYTE_0 src1_sel:DWORD
	s_mov_b64 s[0:1], -1
                                        ; implicit-def: $sgpr22
	s_and_saveexec_b64 s[20:21], s[30:31]
; %bb.1321:                             ;   in Loop: Header=BB269_815 Depth=1
	s_mov_b32 s22, 0x7fc02000
	s_xor_b64 s[0:1], exec, -1
; %bb.1322:                             ;   in Loop: Header=BB269_815 Depth=1
	s_or_b64 exec, exec, s[20:21]
	s_and_b64 s[0:1], s[0:1], exec
	s_or_saveexec_b64 s[12:13], s[12:13]
	v_mov_b32_e32 v40, s22
	s_xor_b64 exec, exec, s[12:13]
	s_cbranch_execz .LBB269_920
.LBB269_1323:                           ;   in Loop: Header=BB269_815 Depth=1
	v_cmp_ne_u16_sdwa s[20:21], v54, v25 src0_sel:BYTE_0 src1_sel:DWORD
	s_andn2_b64 s[0:1], s[0:1], exec
	s_and_b64 s[20:21], s[20:21], exec
	v_mov_b32_e32 v40, 0
	s_or_b64 s[0:1], s[0:1], s[20:21]
	s_or_b64 exec, exec, s[12:13]
	s_and_saveexec_b64 s[12:13], s[0:1]
	s_cbranch_execnz .LBB269_921
	s_branch .LBB269_922
.LBB269_1324:                           ;   in Loop: Header=BB269_815 Depth=1
	v_cmp_eq_u16_e64 s[0:1], s24, v24
	s_mov_b64 s[12:13], -1
                                        ; implicit-def: $sgpr30
	s_and_saveexec_b64 s[22:23], s[0:1]
; %bb.1325:                             ;   in Loop: Header=BB269_815 Depth=1
	s_mov_b32 s30, 0x7fc02000
	s_xor_b64 s[12:13], exec, -1
; %bb.1326:                             ;   in Loop: Header=BB269_815 Depth=1
	s_or_b64 exec, exec, s[22:23]
	s_and_b64 s[12:13], s[12:13], exec
	s_or_saveexec_b64 s[20:21], s[20:21]
	v_mov_b32_e32 v42, s30
	s_xor_b64 exec, exec, s[20:21]
	s_cbranch_execz .LBB269_924
.LBB269_1327:                           ;   in Loop: Header=BB269_815 Depth=1
	v_cmp_ne_u16_e64 s[0:1], 0, v24
	s_andn2_b64 s[12:13], s[12:13], exec
	s_and_b64 s[0:1], s[0:1], exec
	v_mov_b32_e32 v42, 0
	s_or_b64 s[12:13], s[12:13], s[0:1]
	s_or_b64 exec, exec, s[20:21]
	s_and_saveexec_b64 s[20:21], s[12:13]
	s_cbranch_execnz .LBB269_925
	s_branch .LBB269_926
.LBB269_1328:                           ;   in Loop: Header=BB269_815 Depth=1
	v_cmp_eq_u16_sdwa s[30:31], v24, s24 src0_sel:BYTE_0 src1_sel:DWORD
	s_mov_b64 s[0:1], -1
                                        ; implicit-def: $sgpr22
	s_and_saveexec_b64 s[20:21], s[30:31]
; %bb.1329:                             ;   in Loop: Header=BB269_815 Depth=1
	s_mov_b32 s22, 0x7fc02000
	s_xor_b64 s[0:1], exec, -1
; %bb.1330:                             ;   in Loop: Header=BB269_815 Depth=1
	s_or_b64 exec, exec, s[20:21]
	s_and_b64 s[0:1], s[0:1], exec
	s_or_saveexec_b64 s[12:13], s[12:13]
	v_mov_b32_e32 v41, s22
	s_xor_b64 exec, exec, s[12:13]
	s_cbranch_execz .LBB269_928
.LBB269_1331:                           ;   in Loop: Header=BB269_815 Depth=1
	v_cmp_ne_u16_sdwa s[20:21], v24, v25 src0_sel:BYTE_0 src1_sel:DWORD
	s_andn2_b64 s[0:1], s[0:1], exec
	s_and_b64 s[20:21], s[20:21], exec
	v_mov_b32_e32 v41, 0
	s_or_b64 s[0:1], s[0:1], s[20:21]
	s_or_b64 exec, exec, s[12:13]
	s_and_saveexec_b64 s[12:13], s[0:1]
	s_cbranch_execnz .LBB269_929
	s_branch .LBB269_930
.LBB269_1332:                           ;   in Loop: Header=BB269_815 Depth=1
	v_cmp_eq_u16_e64 s[0:1], s24, v24
	s_mov_b64 s[12:13], -1
                                        ; implicit-def: $sgpr30
	s_and_saveexec_b64 s[22:23], s[0:1]
; %bb.1333:                             ;   in Loop: Header=BB269_815 Depth=1
	s_mov_b32 s30, 0x7fc02000
	s_xor_b64 s[12:13], exec, -1
; %bb.1334:                             ;   in Loop: Header=BB269_815 Depth=1
	s_or_b64 exec, exec, s[22:23]
	s_and_b64 s[12:13], s[12:13], exec
	s_or_saveexec_b64 s[20:21], s[20:21]
	v_mov_b32_e32 v43, s30
	s_xor_b64 exec, exec, s[20:21]
	s_cbranch_execz .LBB269_932
.LBB269_1335:                           ;   in Loop: Header=BB269_815 Depth=1
	v_cmp_ne_u16_e64 s[0:1], 0, v24
	s_andn2_b64 s[12:13], s[12:13], exec
	s_and_b64 s[0:1], s[0:1], exec
	v_mov_b32_e32 v43, 0
	s_or_b64 s[12:13], s[12:13], s[0:1]
	s_or_b64 exec, exec, s[20:21]
	s_and_saveexec_b64 s[20:21], s[12:13]
	s_cbranch_execnz .LBB269_933
	s_branch .LBB269_934
.LBB269_1336:                           ;   in Loop: Header=BB269_815 Depth=1
	v_cmp_eq_u16_sdwa s[30:31], v55, s24 src0_sel:BYTE_0 src1_sel:DWORD
	s_mov_b64 s[0:1], -1
                                        ; implicit-def: $sgpr22
	s_and_saveexec_b64 s[20:21], s[30:31]
; %bb.1337:                             ;   in Loop: Header=BB269_815 Depth=1
	s_mov_b32 s22, 0x7fc02000
	s_xor_b64 s[0:1], exec, -1
; %bb.1338:                             ;   in Loop: Header=BB269_815 Depth=1
	s_or_b64 exec, exec, s[20:21]
	s_and_b64 s[0:1], s[0:1], exec
	s_or_saveexec_b64 s[12:13], s[12:13]
	v_mov_b32_e32 v2, s22
	s_xor_b64 exec, exec, s[12:13]
	s_cbranch_execz .LBB269_936
.LBB269_1339:                           ;   in Loop: Header=BB269_815 Depth=1
	v_cmp_ne_u16_sdwa s[20:21], v55, v25 src0_sel:BYTE_0 src1_sel:DWORD
	s_andn2_b64 s[0:1], s[0:1], exec
	s_and_b64 s[20:21], s[20:21], exec
	v_mov_b32_e32 v2, 0
	s_or_b64 s[0:1], s[0:1], s[20:21]
	s_or_b64 exec, exec, s[12:13]
	v_mov_b32_e32 v24, v55
	s_and_saveexec_b64 s[12:13], s[0:1]
	s_cbranch_execnz .LBB269_937
	s_branch .LBB269_938
.LBB269_1340:                           ;   in Loop: Header=BB269_815 Depth=1
	v_cmp_eq_u16_e64 s[0:1], s24, v24
	s_mov_b64 s[12:13], -1
                                        ; implicit-def: $sgpr30
	s_and_saveexec_b64 s[22:23], s[0:1]
; %bb.1341:                             ;   in Loop: Header=BB269_815 Depth=1
	s_mov_b32 s30, 0x7fc02000
	s_xor_b64 s[12:13], exec, -1
; %bb.1342:                             ;   in Loop: Header=BB269_815 Depth=1
	s_or_b64 exec, exec, s[22:23]
	s_and_b64 s[12:13], s[12:13], exec
	s_or_saveexec_b64 s[20:21], s[20:21]
	v_mov_b32_e32 v7, s30
	s_xor_b64 exec, exec, s[20:21]
	s_cbranch_execz .LBB269_940
.LBB269_1343:                           ;   in Loop: Header=BB269_815 Depth=1
	v_cmp_ne_u16_e64 s[0:1], 0, v24
	s_andn2_b64 s[12:13], s[12:13], exec
	s_and_b64 s[0:1], s[0:1], exec
	v_mov_b32_e32 v7, 0
	s_or_b64 s[12:13], s[12:13], s[0:1]
	s_or_b64 exec, exec, s[20:21]
	s_and_saveexec_b64 s[20:21], s[12:13]
	s_cbranch_execnz .LBB269_941
	s_branch .LBB269_942
.LBB269_1344:                           ;   in Loop: Header=BB269_815 Depth=1
	v_cmp_eq_u16_sdwa s[30:31], v24, s24 src0_sel:BYTE_0 src1_sel:DWORD
	s_mov_b64 s[0:1], -1
                                        ; implicit-def: $sgpr22
	s_and_saveexec_b64 s[20:21], s[30:31]
; %bb.1345:                             ;   in Loop: Header=BB269_815 Depth=1
	s_mov_b32 s22, 0x7fc02000
	s_xor_b64 s[0:1], exec, -1
; %bb.1346:                             ;   in Loop: Header=BB269_815 Depth=1
	s_or_b64 exec, exec, s[20:21]
	s_and_b64 s[0:1], s[0:1], exec
	s_or_saveexec_b64 s[12:13], s[12:13]
	v_mov_b32_e32 v12, s22
	s_xor_b64 exec, exec, s[12:13]
	s_cbranch_execz .LBB269_944
.LBB269_1347:                           ;   in Loop: Header=BB269_815 Depth=1
	v_cmp_ne_u16_sdwa s[20:21], v24, v25 src0_sel:BYTE_0 src1_sel:DWORD
	s_andn2_b64 s[0:1], s[0:1], exec
	s_and_b64 s[20:21], s[20:21], exec
	v_mov_b32_e32 v12, 0
	s_or_b64 s[0:1], s[0:1], s[20:21]
	s_or_b64 exec, exec, s[12:13]
	s_and_saveexec_b64 s[12:13], s[0:1]
	s_cbranch_execnz .LBB269_945
	s_branch .LBB269_946
.LBB269_1348:                           ;   in Loop: Header=BB269_815 Depth=1
	v_cmp_eq_u16_e64 s[0:1], s24, v24
	s_mov_b64 s[12:13], -1
                                        ; implicit-def: $sgpr30
	s_and_saveexec_b64 s[22:23], s[0:1]
; %bb.1349:                             ;   in Loop: Header=BB269_815 Depth=1
	s_mov_b32 s30, 0x7fc02000
	s_xor_b64 s[12:13], exec, -1
; %bb.1350:                             ;   in Loop: Header=BB269_815 Depth=1
	s_or_b64 exec, exec, s[22:23]
	s_and_b64 s[12:13], s[12:13], exec
	s_or_saveexec_b64 s[20:21], s[20:21]
	v_mov_b32_e32 v17, s30
	s_xor_b64 exec, exec, s[20:21]
	s_cbranch_execz .LBB269_948
.LBB269_1351:                           ;   in Loop: Header=BB269_815 Depth=1
	v_cmp_ne_u16_e64 s[0:1], 0, v24
	s_andn2_b64 s[12:13], s[12:13], exec
	s_and_b64 s[0:1], s[0:1], exec
	v_mov_b32_e32 v17, 0
	s_or_b64 s[12:13], s[12:13], s[0:1]
	s_or_b64 exec, exec, s[20:21]
	s_and_saveexec_b64 s[20:21], s[12:13]
	s_cbranch_execnz .LBB269_949
	s_branch .LBB269_950
.LBB269_1352:                           ;   in Loop: Header=BB269_815 Depth=1
	v_cmp_eq_u16_sdwa s[30:31], v54, s24 src0_sel:BYTE_0 src1_sel:DWORD
	s_mov_b64 s[0:1], -1
                                        ; implicit-def: $sgpr22
	s_and_saveexec_b64 s[20:21], s[30:31]
; %bb.1353:                             ;   in Loop: Header=BB269_815 Depth=1
	s_mov_b32 s22, 0x7fc02000
	s_xor_b64 s[0:1], exec, -1
; %bb.1354:                             ;   in Loop: Header=BB269_815 Depth=1
	s_or_b64 exec, exec, s[20:21]
	s_and_b64 s[0:1], s[0:1], exec
	s_or_saveexec_b64 s[12:13], s[12:13]
	v_mov_b32_e32 v40, s22
	s_xor_b64 exec, exec, s[12:13]
	s_cbranch_execz .LBB269_954
.LBB269_1355:                           ;   in Loop: Header=BB269_815 Depth=1
	v_cmp_ne_u16_sdwa s[20:21], v54, v25 src0_sel:BYTE_0 src1_sel:DWORD
	s_andn2_b64 s[0:1], s[0:1], exec
	s_and_b64 s[20:21], s[20:21], exec
	v_mov_b32_e32 v40, 0
	s_or_b64 s[0:1], s[0:1], s[20:21]
	s_or_b64 exec, exec, s[12:13]
	s_and_saveexec_b64 s[12:13], s[0:1]
	s_cbranch_execnz .LBB269_955
	s_branch .LBB269_956
.LBB269_1356:                           ;   in Loop: Header=BB269_815 Depth=1
	v_cmp_eq_u16_e64 s[0:1], s24, v24
	s_mov_b64 s[12:13], -1
                                        ; implicit-def: $sgpr30
	s_and_saveexec_b64 s[22:23], s[0:1]
; %bb.1357:                             ;   in Loop: Header=BB269_815 Depth=1
	s_mov_b32 s30, 0x7fc02000
	s_xor_b64 s[12:13], exec, -1
; %bb.1358:                             ;   in Loop: Header=BB269_815 Depth=1
	s_or_b64 exec, exec, s[22:23]
	s_and_b64 s[12:13], s[12:13], exec
	s_or_saveexec_b64 s[20:21], s[20:21]
	v_mov_b32_e32 v42, s30
	s_xor_b64 exec, exec, s[20:21]
	s_cbranch_execz .LBB269_958
.LBB269_1359:                           ;   in Loop: Header=BB269_815 Depth=1
	v_cmp_ne_u16_e64 s[0:1], 0, v24
	s_andn2_b64 s[12:13], s[12:13], exec
	s_and_b64 s[0:1], s[0:1], exec
	v_mov_b32_e32 v42, 0
	s_or_b64 s[12:13], s[12:13], s[0:1]
	s_or_b64 exec, exec, s[20:21]
	s_and_saveexec_b64 s[20:21], s[12:13]
	s_cbranch_execnz .LBB269_959
	s_branch .LBB269_960
.LBB269_1360:                           ;   in Loop: Header=BB269_815 Depth=1
	v_cmp_eq_u16_sdwa s[30:31], v24, s24 src0_sel:BYTE_0 src1_sel:DWORD
	s_mov_b64 s[0:1], -1
                                        ; implicit-def: $sgpr22
	s_and_saveexec_b64 s[20:21], s[30:31]
; %bb.1361:                             ;   in Loop: Header=BB269_815 Depth=1
	s_mov_b32 s22, 0x7fc02000
	s_xor_b64 s[0:1], exec, -1
; %bb.1362:                             ;   in Loop: Header=BB269_815 Depth=1
	s_or_b64 exec, exec, s[20:21]
	s_and_b64 s[0:1], s[0:1], exec
	s_or_saveexec_b64 s[12:13], s[12:13]
	v_mov_b32_e32 v41, s22
	s_xor_b64 exec, exec, s[12:13]
	s_cbranch_execz .LBB269_962
.LBB269_1363:                           ;   in Loop: Header=BB269_815 Depth=1
	v_cmp_ne_u16_sdwa s[20:21], v24, v25 src0_sel:BYTE_0 src1_sel:DWORD
	s_andn2_b64 s[0:1], s[0:1], exec
	s_and_b64 s[20:21], s[20:21], exec
	v_mov_b32_e32 v41, 0
	s_or_b64 s[0:1], s[0:1], s[20:21]
	s_or_b64 exec, exec, s[12:13]
	s_and_saveexec_b64 s[12:13], s[0:1]
	s_cbranch_execnz .LBB269_963
	s_branch .LBB269_964
.LBB269_1364:                           ;   in Loop: Header=BB269_815 Depth=1
	v_cmp_eq_u16_e64 s[0:1], s24, v24
	s_mov_b64 s[12:13], -1
                                        ; implicit-def: $sgpr30
	s_and_saveexec_b64 s[22:23], s[0:1]
; %bb.1365:                             ;   in Loop: Header=BB269_815 Depth=1
	s_mov_b32 s30, 0x7fc02000
	s_xor_b64 s[12:13], exec, -1
; %bb.1366:                             ;   in Loop: Header=BB269_815 Depth=1
	s_or_b64 exec, exec, s[22:23]
	s_and_b64 s[12:13], s[12:13], exec
	s_or_saveexec_b64 s[20:21], s[20:21]
	v_mov_b32_e32 v43, s30
	s_xor_b64 exec, exec, s[20:21]
	s_cbranch_execz .LBB269_966
.LBB269_1367:                           ;   in Loop: Header=BB269_815 Depth=1
	v_cmp_ne_u16_e64 s[0:1], 0, v24
	s_andn2_b64 s[12:13], s[12:13], exec
	s_and_b64 s[0:1], s[0:1], exec
	v_mov_b32_e32 v43, 0
	s_or_b64 s[12:13], s[12:13], s[0:1]
	s_or_b64 exec, exec, s[20:21]
	s_and_saveexec_b64 s[20:21], s[12:13]
	s_cbranch_execnz .LBB269_967
	s_branch .LBB269_968
.LBB269_1368:                           ;   in Loop: Header=BB269_815 Depth=1
	v_cmp_eq_u16_sdwa s[30:31], v55, s24 src0_sel:BYTE_0 src1_sel:DWORD
	s_mov_b64 s[0:1], -1
                                        ; implicit-def: $sgpr22
	s_and_saveexec_b64 s[20:21], s[30:31]
; %bb.1369:                             ;   in Loop: Header=BB269_815 Depth=1
	s_mov_b32 s22, 0x7fc02000
	s_xor_b64 s[0:1], exec, -1
; %bb.1370:                             ;   in Loop: Header=BB269_815 Depth=1
	s_or_b64 exec, exec, s[20:21]
	s_and_b64 s[0:1], s[0:1], exec
	s_or_saveexec_b64 s[12:13], s[12:13]
	v_mov_b32_e32 v2, s22
	s_xor_b64 exec, exec, s[12:13]
	s_cbranch_execz .LBB269_970
.LBB269_1371:                           ;   in Loop: Header=BB269_815 Depth=1
	v_cmp_ne_u16_sdwa s[20:21], v55, v25 src0_sel:BYTE_0 src1_sel:DWORD
	s_andn2_b64 s[0:1], s[0:1], exec
	s_and_b64 s[20:21], s[20:21], exec
	v_mov_b32_e32 v2, 0
	s_or_b64 s[0:1], s[0:1], s[20:21]
	s_or_b64 exec, exec, s[12:13]
	v_mov_b32_e32 v24, v55
	s_and_saveexec_b64 s[12:13], s[0:1]
	s_cbranch_execnz .LBB269_971
	s_branch .LBB269_972
.LBB269_1372:                           ;   in Loop: Header=BB269_815 Depth=1
	v_cmp_eq_u16_e64 s[0:1], s24, v24
	s_mov_b64 s[12:13], -1
                                        ; implicit-def: $sgpr30
	s_and_saveexec_b64 s[22:23], s[0:1]
; %bb.1373:                             ;   in Loop: Header=BB269_815 Depth=1
	s_mov_b32 s30, 0x7fc02000
	s_xor_b64 s[12:13], exec, -1
; %bb.1374:                             ;   in Loop: Header=BB269_815 Depth=1
	s_or_b64 exec, exec, s[22:23]
	s_and_b64 s[12:13], s[12:13], exec
	s_or_saveexec_b64 s[20:21], s[20:21]
	v_mov_b32_e32 v7, s30
	s_xor_b64 exec, exec, s[20:21]
	s_cbranch_execz .LBB269_974
.LBB269_1375:                           ;   in Loop: Header=BB269_815 Depth=1
	v_cmp_ne_u16_e64 s[0:1], 0, v24
	s_andn2_b64 s[12:13], s[12:13], exec
	s_and_b64 s[0:1], s[0:1], exec
	v_mov_b32_e32 v7, 0
	s_or_b64 s[12:13], s[12:13], s[0:1]
	s_or_b64 exec, exec, s[20:21]
	s_and_saveexec_b64 s[20:21], s[12:13]
	s_cbranch_execnz .LBB269_975
	s_branch .LBB269_976
.LBB269_1376:                           ;   in Loop: Header=BB269_815 Depth=1
	v_cmp_eq_u16_sdwa s[30:31], v24, s24 src0_sel:BYTE_0 src1_sel:DWORD
	s_mov_b64 s[0:1], -1
                                        ; implicit-def: $sgpr22
	s_and_saveexec_b64 s[20:21], s[30:31]
; %bb.1377:                             ;   in Loop: Header=BB269_815 Depth=1
	s_mov_b32 s22, 0x7fc02000
	s_xor_b64 s[0:1], exec, -1
; %bb.1378:                             ;   in Loop: Header=BB269_815 Depth=1
	s_or_b64 exec, exec, s[20:21]
	s_and_b64 s[0:1], s[0:1], exec
	s_or_saveexec_b64 s[12:13], s[12:13]
	v_mov_b32_e32 v12, s22
	s_xor_b64 exec, exec, s[12:13]
	s_cbranch_execz .LBB269_978
.LBB269_1379:                           ;   in Loop: Header=BB269_815 Depth=1
	v_cmp_ne_u16_sdwa s[20:21], v24, v25 src0_sel:BYTE_0 src1_sel:DWORD
	s_andn2_b64 s[0:1], s[0:1], exec
	s_and_b64 s[20:21], s[20:21], exec
	v_mov_b32_e32 v12, 0
	s_or_b64 s[0:1], s[0:1], s[20:21]
	s_or_b64 exec, exec, s[12:13]
	s_and_saveexec_b64 s[12:13], s[0:1]
	s_cbranch_execnz .LBB269_979
	s_branch .LBB269_980
.LBB269_1380:                           ;   in Loop: Header=BB269_815 Depth=1
	v_cmp_eq_u16_e64 s[0:1], s24, v24
	s_mov_b64 s[12:13], -1
                                        ; implicit-def: $sgpr30
	s_and_saveexec_b64 s[22:23], s[0:1]
; %bb.1381:                             ;   in Loop: Header=BB269_815 Depth=1
	s_mov_b32 s30, 0x7fc02000
	s_xor_b64 s[12:13], exec, -1
; %bb.1382:                             ;   in Loop: Header=BB269_815 Depth=1
	s_or_b64 exec, exec, s[22:23]
	s_and_b64 s[12:13], s[12:13], exec
	s_or_saveexec_b64 s[20:21], s[20:21]
	v_mov_b32_e32 v17, s30
	s_xor_b64 exec, exec, s[20:21]
	s_cbranch_execz .LBB269_982
.LBB269_1383:                           ;   in Loop: Header=BB269_815 Depth=1
	v_cmp_ne_u16_e64 s[0:1], 0, v24
	s_andn2_b64 s[12:13], s[12:13], exec
	s_and_b64 s[0:1], s[0:1], exec
	v_mov_b32_e32 v17, 0
	s_or_b64 s[12:13], s[12:13], s[0:1]
	s_or_b64 exec, exec, s[20:21]
	s_and_saveexec_b64 s[20:21], s[12:13]
	s_cbranch_execnz .LBB269_983
	s_branch .LBB269_984
.LBB269_1384:                           ;   in Loop: Header=BB269_815 Depth=1
	v_cmp_eq_u16_sdwa s[30:31], v54, s24 src0_sel:BYTE_0 src1_sel:DWORD
	s_mov_b64 s[0:1], -1
                                        ; implicit-def: $sgpr22
	s_and_saveexec_b64 s[20:21], s[30:31]
; %bb.1385:                             ;   in Loop: Header=BB269_815 Depth=1
	s_mov_b32 s22, 0x7fc02000
	s_xor_b64 s[0:1], exec, -1
; %bb.1386:                             ;   in Loop: Header=BB269_815 Depth=1
	s_or_b64 exec, exec, s[20:21]
	s_and_b64 s[0:1], s[0:1], exec
	s_or_saveexec_b64 s[12:13], s[12:13]
	v_mov_b32_e32 v40, s22
	s_xor_b64 exec, exec, s[12:13]
	s_cbranch_execz .LBB269_988
.LBB269_1387:                           ;   in Loop: Header=BB269_815 Depth=1
	v_cmp_ne_u16_sdwa s[20:21], v54, v25 src0_sel:BYTE_0 src1_sel:DWORD
	s_andn2_b64 s[0:1], s[0:1], exec
	s_and_b64 s[20:21], s[20:21], exec
	v_mov_b32_e32 v40, 0
	s_or_b64 s[0:1], s[0:1], s[20:21]
	s_or_b64 exec, exec, s[12:13]
	s_and_saveexec_b64 s[12:13], s[0:1]
	s_cbranch_execnz .LBB269_989
	s_branch .LBB269_990
.LBB269_1388:                           ;   in Loop: Header=BB269_815 Depth=1
	v_cmp_eq_u16_e64 s[0:1], s24, v24
	s_mov_b64 s[12:13], -1
                                        ; implicit-def: $sgpr30
	s_and_saveexec_b64 s[22:23], s[0:1]
; %bb.1389:                             ;   in Loop: Header=BB269_815 Depth=1
	s_mov_b32 s30, 0x7fc02000
	s_xor_b64 s[12:13], exec, -1
; %bb.1390:                             ;   in Loop: Header=BB269_815 Depth=1
	s_or_b64 exec, exec, s[22:23]
	s_and_b64 s[12:13], s[12:13], exec
	s_or_saveexec_b64 s[20:21], s[20:21]
	v_mov_b32_e32 v42, s30
	s_xor_b64 exec, exec, s[20:21]
	s_cbranch_execz .LBB269_992
.LBB269_1391:                           ;   in Loop: Header=BB269_815 Depth=1
	v_cmp_ne_u16_e64 s[0:1], 0, v24
	s_andn2_b64 s[12:13], s[12:13], exec
	s_and_b64 s[0:1], s[0:1], exec
	v_mov_b32_e32 v42, 0
	s_or_b64 s[12:13], s[12:13], s[0:1]
	s_or_b64 exec, exec, s[20:21]
	s_and_saveexec_b64 s[20:21], s[12:13]
	s_cbranch_execnz .LBB269_993
	s_branch .LBB269_994
.LBB269_1392:                           ;   in Loop: Header=BB269_815 Depth=1
	v_cmp_eq_u16_sdwa s[30:31], v24, s24 src0_sel:BYTE_0 src1_sel:DWORD
	s_mov_b64 s[0:1], -1
                                        ; implicit-def: $sgpr22
	s_and_saveexec_b64 s[20:21], s[30:31]
; %bb.1393:                             ;   in Loop: Header=BB269_815 Depth=1
	s_mov_b32 s22, 0x7fc02000
	s_xor_b64 s[0:1], exec, -1
; %bb.1394:                             ;   in Loop: Header=BB269_815 Depth=1
	s_or_b64 exec, exec, s[20:21]
	s_and_b64 s[0:1], s[0:1], exec
	s_or_saveexec_b64 s[12:13], s[12:13]
	v_mov_b32_e32 v41, s22
	s_xor_b64 exec, exec, s[12:13]
	s_cbranch_execz .LBB269_996
.LBB269_1395:                           ;   in Loop: Header=BB269_815 Depth=1
	v_cmp_ne_u16_sdwa s[20:21], v24, v25 src0_sel:BYTE_0 src1_sel:DWORD
	s_andn2_b64 s[0:1], s[0:1], exec
	s_and_b64 s[20:21], s[20:21], exec
	v_mov_b32_e32 v41, 0
	s_or_b64 s[0:1], s[0:1], s[20:21]
	s_or_b64 exec, exec, s[12:13]
	s_and_saveexec_b64 s[12:13], s[0:1]
	s_cbranch_execnz .LBB269_997
	s_branch .LBB269_998
.LBB269_1396:                           ;   in Loop: Header=BB269_815 Depth=1
	v_cmp_eq_u16_e64 s[0:1], s24, v24
	s_mov_b64 s[12:13], -1
                                        ; implicit-def: $sgpr30
	s_and_saveexec_b64 s[22:23], s[0:1]
; %bb.1397:                             ;   in Loop: Header=BB269_815 Depth=1
	s_mov_b32 s30, 0x7fc02000
	s_xor_b64 s[12:13], exec, -1
; %bb.1398:                             ;   in Loop: Header=BB269_815 Depth=1
	s_or_b64 exec, exec, s[22:23]
	s_and_b64 s[12:13], s[12:13], exec
	s_or_saveexec_b64 s[20:21], s[20:21]
	v_mov_b32_e32 v43, s30
	s_xor_b64 exec, exec, s[20:21]
	s_cbranch_execz .LBB269_1000
.LBB269_1399:                           ;   in Loop: Header=BB269_815 Depth=1
	v_cmp_ne_u16_e64 s[0:1], 0, v24
	s_andn2_b64 s[12:13], s[12:13], exec
	s_and_b64 s[0:1], s[0:1], exec
	v_mov_b32_e32 v43, 0
	s_or_b64 s[12:13], s[12:13], s[0:1]
	s_or_b64 exec, exec, s[20:21]
	s_and_saveexec_b64 s[20:21], s[12:13]
	s_cbranch_execnz .LBB269_1001
	s_branch .LBB269_1002
.LBB269_1400:                           ;   in Loop: Header=BB269_815 Depth=1
	v_cmp_eq_u16_sdwa s[30:31], v55, s24 src0_sel:BYTE_0 src1_sel:DWORD
	s_mov_b64 s[0:1], -1
                                        ; implicit-def: $sgpr22
	s_and_saveexec_b64 s[20:21], s[30:31]
; %bb.1401:                             ;   in Loop: Header=BB269_815 Depth=1
	s_mov_b32 s22, 0x7fc02000
	s_xor_b64 s[0:1], exec, -1
; %bb.1402:                             ;   in Loop: Header=BB269_815 Depth=1
	s_or_b64 exec, exec, s[20:21]
	s_and_b64 s[0:1], s[0:1], exec
	s_or_saveexec_b64 s[12:13], s[12:13]
	v_mov_b32_e32 v2, s22
	s_xor_b64 exec, exec, s[12:13]
	s_cbranch_execz .LBB269_1004
.LBB269_1403:                           ;   in Loop: Header=BB269_815 Depth=1
	v_cmp_ne_u16_sdwa s[20:21], v55, v25 src0_sel:BYTE_0 src1_sel:DWORD
	s_andn2_b64 s[0:1], s[0:1], exec
	s_and_b64 s[20:21], s[20:21], exec
	v_mov_b32_e32 v2, 0
	s_or_b64 s[0:1], s[0:1], s[20:21]
	s_or_b64 exec, exec, s[12:13]
	v_mov_b32_e32 v24, v55
	s_and_saveexec_b64 s[12:13], s[0:1]
	s_cbranch_execnz .LBB269_1005
	s_branch .LBB269_1006
.LBB269_1404:                           ;   in Loop: Header=BB269_815 Depth=1
	v_cmp_eq_u16_e64 s[0:1], s24, v24
	s_mov_b64 s[12:13], -1
                                        ; implicit-def: $sgpr30
	s_and_saveexec_b64 s[22:23], s[0:1]
; %bb.1405:                             ;   in Loop: Header=BB269_815 Depth=1
	s_mov_b32 s30, 0x7fc02000
	s_xor_b64 s[12:13], exec, -1
; %bb.1406:                             ;   in Loop: Header=BB269_815 Depth=1
	s_or_b64 exec, exec, s[22:23]
	s_and_b64 s[12:13], s[12:13], exec
	s_or_saveexec_b64 s[20:21], s[20:21]
	v_mov_b32_e32 v7, s30
	s_xor_b64 exec, exec, s[20:21]
	s_cbranch_execz .LBB269_1008
.LBB269_1407:                           ;   in Loop: Header=BB269_815 Depth=1
	v_cmp_ne_u16_e64 s[0:1], 0, v24
	s_andn2_b64 s[12:13], s[12:13], exec
	s_and_b64 s[0:1], s[0:1], exec
	v_mov_b32_e32 v7, 0
	s_or_b64 s[12:13], s[12:13], s[0:1]
	s_or_b64 exec, exec, s[20:21]
	s_and_saveexec_b64 s[20:21], s[12:13]
	s_cbranch_execnz .LBB269_1009
	s_branch .LBB269_1010
.LBB269_1408:                           ;   in Loop: Header=BB269_815 Depth=1
	v_cmp_eq_u16_sdwa s[30:31], v24, s24 src0_sel:BYTE_0 src1_sel:DWORD
	s_mov_b64 s[0:1], -1
                                        ; implicit-def: $sgpr22
	s_and_saveexec_b64 s[20:21], s[30:31]
; %bb.1409:                             ;   in Loop: Header=BB269_815 Depth=1
	s_mov_b32 s22, 0x7fc02000
	s_xor_b64 s[0:1], exec, -1
; %bb.1410:                             ;   in Loop: Header=BB269_815 Depth=1
	s_or_b64 exec, exec, s[20:21]
	s_and_b64 s[0:1], s[0:1], exec
	s_or_saveexec_b64 s[12:13], s[12:13]
	v_mov_b32_e32 v12, s22
	s_xor_b64 exec, exec, s[12:13]
	s_cbranch_execz .LBB269_1012
.LBB269_1411:                           ;   in Loop: Header=BB269_815 Depth=1
	v_cmp_ne_u16_sdwa s[20:21], v24, v25 src0_sel:BYTE_0 src1_sel:DWORD
	s_andn2_b64 s[0:1], s[0:1], exec
	s_and_b64 s[20:21], s[20:21], exec
	v_mov_b32_e32 v12, 0
	s_or_b64 s[0:1], s[0:1], s[20:21]
	s_or_b64 exec, exec, s[12:13]
	s_and_saveexec_b64 s[12:13], s[0:1]
	s_cbranch_execnz .LBB269_1013
	s_branch .LBB269_1014
.LBB269_1412:                           ;   in Loop: Header=BB269_815 Depth=1
	v_cmp_eq_u16_e64 s[0:1], s24, v24
	s_mov_b64 s[12:13], -1
                                        ; implicit-def: $sgpr30
	s_and_saveexec_b64 s[22:23], s[0:1]
; %bb.1413:                             ;   in Loop: Header=BB269_815 Depth=1
	s_mov_b32 s30, 0x7fc02000
	s_xor_b64 s[12:13], exec, -1
; %bb.1414:                             ;   in Loop: Header=BB269_815 Depth=1
	s_or_b64 exec, exec, s[22:23]
	s_and_b64 s[12:13], s[12:13], exec
	s_or_saveexec_b64 s[20:21], s[20:21]
	v_mov_b32_e32 v19, s30
	s_xor_b64 exec, exec, s[20:21]
	s_cbranch_execz .LBB269_1016
.LBB269_1415:                           ;   in Loop: Header=BB269_815 Depth=1
	v_cmp_ne_u16_e64 s[0:1], 0, v24
	s_andn2_b64 s[12:13], s[12:13], exec
	s_and_b64 s[0:1], s[0:1], exec
	v_mov_b32_e32 v19, 0
	s_or_b64 s[12:13], s[12:13], s[0:1]
	s_or_b64 exec, exec, s[20:21]
	s_and_saveexec_b64 s[20:21], s[12:13]
	s_cbranch_execnz .LBB269_1017
	s_branch .LBB269_1018
.LBB269_1416:                           ;   in Loop: Header=BB269_815 Depth=1
	v_cmp_eq_u16_sdwa s[30:31], v54, s24 src0_sel:BYTE_0 src1_sel:DWORD
	s_mov_b64 s[0:1], -1
                                        ; implicit-def: $sgpr22
	s_and_saveexec_b64 s[20:21], s[30:31]
; %bb.1417:                             ;   in Loop: Header=BB269_815 Depth=1
	s_mov_b32 s22, 0x7fc02000
	s_xor_b64 s[0:1], exec, -1
; %bb.1418:                             ;   in Loop: Header=BB269_815 Depth=1
	s_or_b64 exec, exec, s[20:21]
	s_and_b64 s[0:1], s[0:1], exec
	s_or_saveexec_b64 s[12:13], s[12:13]
	v_mov_b32_e32 v40, s22
	s_xor_b64 exec, exec, s[12:13]
	s_cbranch_execz .LBB269_1022
.LBB269_1419:                           ;   in Loop: Header=BB269_815 Depth=1
	v_cmp_ne_u16_sdwa s[20:21], v54, v25 src0_sel:BYTE_0 src1_sel:DWORD
	s_andn2_b64 s[0:1], s[0:1], exec
	s_and_b64 s[20:21], s[20:21], exec
	v_mov_b32_e32 v40, 0
	s_or_b64 s[0:1], s[0:1], s[20:21]
	s_or_b64 exec, exec, s[12:13]
	s_and_saveexec_b64 s[12:13], s[0:1]
	s_cbranch_execnz .LBB269_1023
	s_branch .LBB269_1024
.LBB269_1420:                           ;   in Loop: Header=BB269_815 Depth=1
	v_cmp_eq_u16_e64 s[0:1], s24, v24
	s_mov_b64 s[12:13], -1
                                        ; implicit-def: $sgpr30
	s_and_saveexec_b64 s[22:23], s[0:1]
; %bb.1421:                             ;   in Loop: Header=BB269_815 Depth=1
	s_mov_b32 s30, 0x7fc02000
	s_xor_b64 s[12:13], exec, -1
; %bb.1422:                             ;   in Loop: Header=BB269_815 Depth=1
	s_or_b64 exec, exec, s[22:23]
	s_and_b64 s[12:13], s[12:13], exec
	s_or_saveexec_b64 s[20:21], s[20:21]
	v_mov_b32_e32 v42, s30
	s_xor_b64 exec, exec, s[20:21]
	s_cbranch_execz .LBB269_1026
.LBB269_1423:                           ;   in Loop: Header=BB269_815 Depth=1
	v_cmp_ne_u16_e64 s[0:1], 0, v24
	s_andn2_b64 s[12:13], s[12:13], exec
	s_and_b64 s[0:1], s[0:1], exec
	v_mov_b32_e32 v42, 0
	s_or_b64 s[12:13], s[12:13], s[0:1]
	s_or_b64 exec, exec, s[20:21]
	s_and_saveexec_b64 s[20:21], s[12:13]
	s_cbranch_execnz .LBB269_1027
	s_branch .LBB269_1028
.LBB269_1424:                           ;   in Loop: Header=BB269_815 Depth=1
	v_cmp_eq_u16_sdwa s[30:31], v24, s24 src0_sel:BYTE_0 src1_sel:DWORD
	s_mov_b64 s[0:1], -1
                                        ; implicit-def: $sgpr22
	s_and_saveexec_b64 s[20:21], s[30:31]
; %bb.1425:                             ;   in Loop: Header=BB269_815 Depth=1
	s_mov_b32 s22, 0x7fc02000
	s_xor_b64 s[0:1], exec, -1
; %bb.1426:                             ;   in Loop: Header=BB269_815 Depth=1
	s_or_b64 exec, exec, s[20:21]
	s_and_b64 s[0:1], s[0:1], exec
	s_or_saveexec_b64 s[12:13], s[12:13]
	v_mov_b32_e32 v41, s22
	s_xor_b64 exec, exec, s[12:13]
	s_cbranch_execz .LBB269_1030
.LBB269_1427:                           ;   in Loop: Header=BB269_815 Depth=1
	v_cmp_ne_u16_sdwa s[20:21], v24, v25 src0_sel:BYTE_0 src1_sel:DWORD
	s_andn2_b64 s[0:1], s[0:1], exec
	s_and_b64 s[20:21], s[20:21], exec
	v_mov_b32_e32 v41, 0
	s_or_b64 s[0:1], s[0:1], s[20:21]
	s_or_b64 exec, exec, s[12:13]
	s_and_saveexec_b64 s[12:13], s[0:1]
	s_cbranch_execnz .LBB269_1031
	s_branch .LBB269_1032
.LBB269_1428:                           ;   in Loop: Header=BB269_815 Depth=1
	v_cmp_eq_u16_e64 s[0:1], s24, v24
	s_mov_b64 s[12:13], -1
                                        ; implicit-def: $sgpr30
	s_and_saveexec_b64 s[22:23], s[0:1]
; %bb.1429:                             ;   in Loop: Header=BB269_815 Depth=1
	s_mov_b32 s30, 0x7fc02000
	s_xor_b64 s[12:13], exec, -1
; %bb.1430:                             ;   in Loop: Header=BB269_815 Depth=1
	s_or_b64 exec, exec, s[22:23]
	s_and_b64 s[12:13], s[12:13], exec
	s_or_saveexec_b64 s[20:21], s[20:21]
	v_mov_b32_e32 v43, s30
	s_xor_b64 exec, exec, s[20:21]
	s_cbranch_execz .LBB269_1034
.LBB269_1431:                           ;   in Loop: Header=BB269_815 Depth=1
	v_cmp_ne_u16_e64 s[0:1], 0, v24
	s_andn2_b64 s[12:13], s[12:13], exec
	s_and_b64 s[0:1], s[0:1], exec
	v_mov_b32_e32 v43, 0
	s_or_b64 s[12:13], s[12:13], s[0:1]
	s_or_b64 exec, exec, s[20:21]
	s_and_saveexec_b64 s[20:21], s[12:13]
	s_cbranch_execnz .LBB269_1035
	s_branch .LBB269_1036
.LBB269_1432:                           ;   in Loop: Header=BB269_815 Depth=1
	v_cmp_eq_u16_sdwa s[30:31], v55, s24 src0_sel:BYTE_0 src1_sel:DWORD
	s_mov_b64 s[0:1], -1
                                        ; implicit-def: $sgpr22
	s_and_saveexec_b64 s[20:21], s[30:31]
; %bb.1433:                             ;   in Loop: Header=BB269_815 Depth=1
	s_mov_b32 s22, 0x7fc02000
	s_xor_b64 s[0:1], exec, -1
; %bb.1434:                             ;   in Loop: Header=BB269_815 Depth=1
	s_or_b64 exec, exec, s[20:21]
	s_and_b64 s[0:1], s[0:1], exec
	s_or_saveexec_b64 s[12:13], s[12:13]
	v_mov_b32_e32 v7, s22
	s_xor_b64 exec, exec, s[12:13]
	s_cbranch_execz .LBB269_1038
.LBB269_1435:                           ;   in Loop: Header=BB269_815 Depth=1
	v_cmp_ne_u16_sdwa s[20:21], v55, v25 src0_sel:BYTE_0 src1_sel:DWORD
	s_andn2_b64 s[0:1], s[0:1], exec
	s_and_b64 s[20:21], s[20:21], exec
	v_mov_b32_e32 v7, 0
	s_or_b64 s[0:1], s[0:1], s[20:21]
	s_or_b64 exec, exec, s[12:13]
	v_mov_b32_e32 v24, v55
	s_and_saveexec_b64 s[12:13], s[0:1]
	s_cbranch_execnz .LBB269_1039
	s_branch .LBB269_1040
.LBB269_1436:                           ;   in Loop: Header=BB269_815 Depth=1
	v_cmp_eq_u16_e64 s[0:1], s24, v24
	s_mov_b64 s[12:13], -1
                                        ; implicit-def: $sgpr30
	s_and_saveexec_b64 s[22:23], s[0:1]
; %bb.1437:                             ;   in Loop: Header=BB269_815 Depth=1
	s_mov_b32 s30, 0x7fc02000
	s_xor_b64 s[12:13], exec, -1
; %bb.1438:                             ;   in Loop: Header=BB269_815 Depth=1
	s_or_b64 exec, exec, s[22:23]
	s_and_b64 s[12:13], s[12:13], exec
	s_or_saveexec_b64 s[20:21], s[20:21]
	v_mov_b32_e32 v12, s30
	s_xor_b64 exec, exec, s[20:21]
	s_cbranch_execz .LBB269_1042
.LBB269_1439:                           ;   in Loop: Header=BB269_815 Depth=1
	v_cmp_ne_u16_e64 s[0:1], 0, v24
	s_andn2_b64 s[12:13], s[12:13], exec
	s_and_b64 s[0:1], s[0:1], exec
	v_mov_b32_e32 v12, 0
	s_or_b64 s[12:13], s[12:13], s[0:1]
	s_or_b64 exec, exec, s[20:21]
	s_and_saveexec_b64 s[20:21], s[12:13]
	s_cbranch_execnz .LBB269_1043
	s_branch .LBB269_1044
.LBB269_1440:                           ;   in Loop: Header=BB269_815 Depth=1
	v_cmp_eq_u16_sdwa s[30:31], v24, s24 src0_sel:BYTE_0 src1_sel:DWORD
	s_mov_b64 s[0:1], -1
                                        ; implicit-def: $sgpr22
	s_and_saveexec_b64 s[20:21], s[30:31]
; %bb.1441:                             ;   in Loop: Header=BB269_815 Depth=1
	s_mov_b32 s22, 0x7fc02000
	s_xor_b64 s[0:1], exec, -1
; %bb.1442:                             ;   in Loop: Header=BB269_815 Depth=1
	s_or_b64 exec, exec, s[20:21]
	s_and_b64 s[0:1], s[0:1], exec
	s_or_saveexec_b64 s[12:13], s[12:13]
	v_mov_b32_e32 v13, s22
	s_xor_b64 exec, exec, s[12:13]
	s_cbranch_execz .LBB269_1046
.LBB269_1443:                           ;   in Loop: Header=BB269_815 Depth=1
	v_cmp_ne_u16_sdwa s[20:21], v24, v25 src0_sel:BYTE_0 src1_sel:DWORD
	s_andn2_b64 s[0:1], s[0:1], exec
	s_and_b64 s[20:21], s[20:21], exec
	v_mov_b32_e32 v13, 0
	s_or_b64 s[0:1], s[0:1], s[20:21]
	s_or_b64 exec, exec, s[12:13]
	s_and_saveexec_b64 s[12:13], s[0:1]
	s_cbranch_execnz .LBB269_1047
	s_branch .LBB269_1048
.LBB269_1444:                           ;   in Loop: Header=BB269_815 Depth=1
	v_cmp_eq_u16_e64 s[0:1], s24, v24
	s_mov_b64 s[12:13], -1
                                        ; implicit-def: $sgpr30
	s_and_saveexec_b64 s[22:23], s[0:1]
; %bb.1445:                             ;   in Loop: Header=BB269_815 Depth=1
	s_mov_b32 s30, 0x7fc02000
	s_xor_b64 s[12:13], exec, -1
; %bb.1446:                             ;   in Loop: Header=BB269_815 Depth=1
	s_or_b64 exec, exec, s[22:23]
	s_and_b64 s[12:13], s[12:13], exec
	s_or_saveexec_b64 s[20:21], s[20:21]
	v_mov_b32_e32 v23, s30
	s_xor_b64 exec, exec, s[20:21]
	s_cbranch_execz .LBB269_1050
.LBB269_1447:                           ;   in Loop: Header=BB269_815 Depth=1
	v_cmp_ne_u16_e64 s[0:1], 0, v24
	s_andn2_b64 s[12:13], s[12:13], exec
	s_and_b64 s[0:1], s[0:1], exec
	v_mov_b32_e32 v23, 0
	s_or_b64 s[12:13], s[12:13], s[0:1]
	s_or_b64 exec, exec, s[20:21]
	s_and_saveexec_b64 s[20:21], s[12:13]
	s_cbranch_execnz .LBB269_1051
	s_branch .LBB269_1052
.LBB269_1448:                           ;   in Loop: Header=BB269_815 Depth=1
	v_cmp_eq_u16_sdwa s[30:31], v52, s24 src0_sel:BYTE_0 src1_sel:DWORD
	s_mov_b64 s[0:1], -1
                                        ; implicit-def: $sgpr22
	s_and_saveexec_b64 s[20:21], s[30:31]
; %bb.1449:                             ;   in Loop: Header=BB269_815 Depth=1
	s_mov_b32 s22, 0x7fc02000
	s_xor_b64 s[0:1], exec, -1
; %bb.1450:                             ;   in Loop: Header=BB269_815 Depth=1
	s_or_b64 exec, exec, s[20:21]
	s_and_b64 s[0:1], s[0:1], exec
	s_or_saveexec_b64 s[12:13], s[12:13]
	v_mov_b32_e32 v54, s22
	s_xor_b64 exec, exec, s[12:13]
	s_cbranch_execz .LBB269_1056
.LBB269_1451:                           ;   in Loop: Header=BB269_815 Depth=1
	v_cmp_ne_u16_sdwa s[20:21], v52, v25 src0_sel:BYTE_0 src1_sel:DWORD
	s_andn2_b64 s[0:1], s[0:1], exec
	s_and_b64 s[20:21], s[20:21], exec
	v_mov_b32_e32 v54, 0
	s_or_b64 s[0:1], s[0:1], s[20:21]
	s_or_b64 exec, exec, s[12:13]
	s_and_saveexec_b64 s[12:13], s[0:1]
	s_cbranch_execnz .LBB269_1057
	s_branch .LBB269_1058
.LBB269_1452:                           ;   in Loop: Header=BB269_815 Depth=1
	v_cmp_eq_u16_e64 s[0:1], s24, v24
	s_mov_b64 s[12:13], -1
                                        ; implicit-def: $sgpr30
	s_and_saveexec_b64 s[22:23], s[0:1]
; %bb.1453:                             ;   in Loop: Header=BB269_815 Depth=1
	s_mov_b32 s30, 0x7fc02000
	s_xor_b64 s[12:13], exec, -1
; %bb.1454:                             ;   in Loop: Header=BB269_815 Depth=1
	s_or_b64 exec, exec, s[22:23]
	s_and_b64 s[12:13], s[12:13], exec
	s_or_saveexec_b64 s[20:21], s[20:21]
	v_mov_b32_e32 v40, s30
	s_xor_b64 exec, exec, s[20:21]
	s_cbranch_execz .LBB269_1060
.LBB269_1455:                           ;   in Loop: Header=BB269_815 Depth=1
	v_cmp_ne_u16_e64 s[0:1], 0, v24
	s_andn2_b64 s[12:13], s[12:13], exec
	s_and_b64 s[0:1], s[0:1], exec
	v_mov_b32_e32 v40, 0
	s_or_b64 s[12:13], s[12:13], s[0:1]
	s_or_b64 exec, exec, s[20:21]
	s_and_saveexec_b64 s[20:21], s[12:13]
	s_cbranch_execnz .LBB269_1061
	s_branch .LBB269_1062
.LBB269_1456:                           ;   in Loop: Header=BB269_815 Depth=1
	v_cmp_eq_u16_sdwa s[30:31], v24, s24 src0_sel:BYTE_0 src1_sel:DWORD
	s_mov_b64 s[0:1], -1
                                        ; implicit-def: $sgpr22
	s_and_saveexec_b64 s[20:21], s[30:31]
; %bb.1457:                             ;   in Loop: Header=BB269_815 Depth=1
	s_mov_b32 s22, 0x7fc02000
	s_xor_b64 s[0:1], exec, -1
; %bb.1458:                             ;   in Loop: Header=BB269_815 Depth=1
	s_or_b64 exec, exec, s[20:21]
	s_and_b64 s[0:1], s[0:1], exec
	s_or_saveexec_b64 s[12:13], s[12:13]
	v_mov_b32_e32 v55, s22
	s_xor_b64 exec, exec, s[12:13]
	s_cbranch_execz .LBB269_1064
.LBB269_1459:                           ;   in Loop: Header=BB269_815 Depth=1
	v_cmp_ne_u16_sdwa s[20:21], v24, v25 src0_sel:BYTE_0 src1_sel:DWORD
	s_andn2_b64 s[0:1], s[0:1], exec
	s_and_b64 s[20:21], s[20:21], exec
	v_mov_b32_e32 v55, 0
	s_or_b64 s[0:1], s[0:1], s[20:21]
	s_or_b64 exec, exec, s[12:13]
	s_and_saveexec_b64 s[12:13], s[0:1]
	s_cbranch_execnz .LBB269_1065
	s_branch .LBB269_1066
.LBB269_1460:                           ;   in Loop: Header=BB269_815 Depth=1
	v_cmp_eq_u16_e64 s[0:1], s24, v24
	s_mov_b64 s[12:13], -1
                                        ; implicit-def: $sgpr30
	s_and_saveexec_b64 s[22:23], s[0:1]
; %bb.1461:                             ;   in Loop: Header=BB269_815 Depth=1
	s_mov_b32 s30, 0x7fc02000
	s_xor_b64 s[12:13], exec, -1
; %bb.1462:                             ;   in Loop: Header=BB269_815 Depth=1
	s_or_b64 exec, exec, s[22:23]
	s_and_b64 s[12:13], s[12:13], exec
	s_or_saveexec_b64 s[20:21], s[20:21]
	v_mov_b32_e32 v41, s30
	s_xor_b64 exec, exec, s[20:21]
	s_cbranch_execz .LBB269_1068
.LBB269_1463:                           ;   in Loop: Header=BB269_815 Depth=1
	v_cmp_ne_u16_e64 s[0:1], 0, v24
	s_andn2_b64 s[12:13], s[12:13], exec
	s_and_b64 s[0:1], s[0:1], exec
	v_mov_b32_e32 v41, 0
	s_or_b64 s[12:13], s[12:13], s[0:1]
	s_or_b64 exec, exec, s[20:21]
	s_and_saveexec_b64 s[20:21], s[12:13]
	s_cbranch_execnz .LBB269_1069
	s_branch .LBB269_1070
.LBB269_1464:                           ;   in Loop: Header=BB269_815 Depth=1
	v_cmp_eq_u16_sdwa s[30:31], v53, s24 src0_sel:BYTE_0 src1_sel:DWORD
	s_mov_b64 s[0:1], -1
                                        ; implicit-def: $sgpr22
	s_and_saveexec_b64 s[20:21], s[30:31]
; %bb.1465:                             ;   in Loop: Header=BB269_815 Depth=1
	s_mov_b32 s22, 0x7fc02000
	s_xor_b64 s[0:1], exec, -1
; %bb.1466:                             ;   in Loop: Header=BB269_815 Depth=1
	s_or_b64 exec, exec, s[20:21]
	s_and_b64 s[0:1], s[0:1], exec
	s_or_saveexec_b64 s[12:13], s[12:13]
	v_mov_b32_e32 v7, s22
	s_xor_b64 exec, exec, s[12:13]
	s_cbranch_execz .LBB269_1072
.LBB269_1467:                           ;   in Loop: Header=BB269_815 Depth=1
	v_cmp_ne_u16_sdwa s[20:21], v53, v25 src0_sel:BYTE_0 src1_sel:DWORD
	s_andn2_b64 s[0:1], s[0:1], exec
	s_and_b64 s[20:21], s[20:21], exec
	v_mov_b32_e32 v7, 0
	s_or_b64 s[0:1], s[0:1], s[20:21]
	s_or_b64 exec, exec, s[12:13]
	v_mov_b32_e32 v24, v53
	s_and_saveexec_b64 s[12:13], s[0:1]
	s_cbranch_execnz .LBB269_1073
	s_branch .LBB269_1074
.LBB269_1468:                           ;   in Loop: Header=BB269_815 Depth=1
	v_cmp_eq_u16_e64 s[0:1], s24, v24
	s_mov_b64 s[12:13], -1
                                        ; implicit-def: $sgpr30
	s_and_saveexec_b64 s[22:23], s[0:1]
; %bb.1469:                             ;   in Loop: Header=BB269_815 Depth=1
	s_mov_b32 s30, 0x7fc02000
	s_xor_b64 s[12:13], exec, -1
; %bb.1470:                             ;   in Loop: Header=BB269_815 Depth=1
	s_or_b64 exec, exec, s[22:23]
	s_and_b64 s[12:13], s[12:13], exec
	s_or_saveexec_b64 s[20:21], s[20:21]
	v_mov_b32_e32 v12, s30
	s_xor_b64 exec, exec, s[20:21]
	s_cbranch_execz .LBB269_1076
.LBB269_1471:                           ;   in Loop: Header=BB269_815 Depth=1
	v_cmp_ne_u16_e64 s[0:1], 0, v24
	s_andn2_b64 s[12:13], s[12:13], exec
	s_and_b64 s[0:1], s[0:1], exec
	v_mov_b32_e32 v12, 0
	s_or_b64 s[12:13], s[12:13], s[0:1]
	s_or_b64 exec, exec, s[20:21]
	s_and_saveexec_b64 s[20:21], s[12:13]
	s_cbranch_execnz .LBB269_1077
	s_branch .LBB269_1078
.LBB269_1472:                           ;   in Loop: Header=BB269_815 Depth=1
	v_cmp_eq_u16_sdwa s[30:31], v24, s24 src0_sel:BYTE_0 src1_sel:DWORD
	s_mov_b64 s[0:1], -1
                                        ; implicit-def: $sgpr22
	s_and_saveexec_b64 s[20:21], s[30:31]
; %bb.1473:                             ;   in Loop: Header=BB269_815 Depth=1
	s_mov_b32 s22, 0x7fc02000
	s_xor_b64 s[0:1], exec, -1
; %bb.1474:                             ;   in Loop: Header=BB269_815 Depth=1
	s_or_b64 exec, exec, s[20:21]
	s_and_b64 s[0:1], s[0:1], exec
	s_or_saveexec_b64 s[12:13], s[12:13]
	v_mov_b32_e32 v13, s22
	s_xor_b64 exec, exec, s[12:13]
	s_cbranch_execz .LBB269_1080
.LBB269_1475:                           ;   in Loop: Header=BB269_815 Depth=1
	v_cmp_ne_u16_sdwa s[20:21], v24, v25 src0_sel:BYTE_0 src1_sel:DWORD
	s_andn2_b64 s[0:1], s[0:1], exec
	s_and_b64 s[20:21], s[20:21], exec
	v_mov_b32_e32 v13, 0
	s_or_b64 s[0:1], s[0:1], s[20:21]
	s_or_b64 exec, exec, s[12:13]
	s_and_saveexec_b64 s[12:13], s[0:1]
	s_cbranch_execnz .LBB269_1081
	s_branch .LBB269_1082
.LBB269_1476:                           ;   in Loop: Header=BB269_815 Depth=1
	v_cmp_eq_u16_e64 s[0:1], s24, v24
	s_mov_b64 s[12:13], -1
                                        ; implicit-def: $sgpr30
	s_and_saveexec_b64 s[22:23], s[0:1]
; %bb.1477:                             ;   in Loop: Header=BB269_815 Depth=1
	s_mov_b32 s30, 0x7fc02000
	s_xor_b64 s[12:13], exec, -1
; %bb.1478:                             ;   in Loop: Header=BB269_815 Depth=1
	s_or_b64 exec, exec, s[22:23]
	s_and_b64 s[12:13], s[12:13], exec
	s_or_saveexec_b64 s[20:21], s[20:21]
	v_mov_b32_e32 v23, s30
	s_xor_b64 exec, exec, s[20:21]
	s_cbranch_execz .LBB269_1084
.LBB269_1479:                           ;   in Loop: Header=BB269_815 Depth=1
	v_cmp_ne_u16_e64 s[0:1], 0, v24
	s_andn2_b64 s[12:13], s[12:13], exec
	s_and_b64 s[0:1], s[0:1], exec
	v_mov_b32_e32 v23, 0
	s_or_b64 s[12:13], s[12:13], s[0:1]
	s_or_b64 exec, exec, s[20:21]
	s_and_saveexec_b64 s[20:21], s[12:13]
	s_cbranch_execnz .LBB269_1085
	s_branch .LBB269_1086
.LBB269_1480:                           ;   in Loop: Header=BB269_815 Depth=1
	v_cmp_eq_u16_sdwa s[30:31], v52, s24 src0_sel:BYTE_0 src1_sel:DWORD
	s_mov_b64 s[0:1], -1
                                        ; implicit-def: $sgpr22
	s_and_saveexec_b64 s[20:21], s[30:31]
; %bb.1481:                             ;   in Loop: Header=BB269_815 Depth=1
	s_mov_b32 s22, 0x7fc02000
	s_xor_b64 s[0:1], exec, -1
; %bb.1482:                             ;   in Loop: Header=BB269_815 Depth=1
	s_or_b64 exec, exec, s[20:21]
	s_and_b64 s[0:1], s[0:1], exec
	s_or_saveexec_b64 s[12:13], s[12:13]
	v_mov_b32_e32 v54, s22
	s_xor_b64 exec, exec, s[12:13]
	s_cbranch_execz .LBB269_1090
.LBB269_1483:                           ;   in Loop: Header=BB269_815 Depth=1
	v_cmp_ne_u16_sdwa s[20:21], v52, v25 src0_sel:BYTE_0 src1_sel:DWORD
	s_andn2_b64 s[0:1], s[0:1], exec
	s_and_b64 s[20:21], s[20:21], exec
	v_mov_b32_e32 v54, 0
	s_or_b64 s[0:1], s[0:1], s[20:21]
	s_or_b64 exec, exec, s[12:13]
	s_and_saveexec_b64 s[12:13], s[0:1]
	s_cbranch_execnz .LBB269_1091
	s_branch .LBB269_1092
.LBB269_1484:                           ;   in Loop: Header=BB269_815 Depth=1
	v_cmp_eq_u16_e64 s[0:1], s24, v24
	s_mov_b64 s[12:13], -1
                                        ; implicit-def: $sgpr30
	s_and_saveexec_b64 s[22:23], s[0:1]
; %bb.1485:                             ;   in Loop: Header=BB269_815 Depth=1
	s_mov_b32 s30, 0x7fc02000
	s_xor_b64 s[12:13], exec, -1
; %bb.1486:                             ;   in Loop: Header=BB269_815 Depth=1
	s_or_b64 exec, exec, s[22:23]
	s_and_b64 s[12:13], s[12:13], exec
	s_or_saveexec_b64 s[20:21], s[20:21]
	v_mov_b32_e32 v40, s30
	s_xor_b64 exec, exec, s[20:21]
	s_cbranch_execz .LBB269_1094
.LBB269_1487:                           ;   in Loop: Header=BB269_815 Depth=1
	v_cmp_ne_u16_e64 s[0:1], 0, v24
	s_andn2_b64 s[12:13], s[12:13], exec
	s_and_b64 s[0:1], s[0:1], exec
	v_mov_b32_e32 v40, 0
	s_or_b64 s[12:13], s[12:13], s[0:1]
	s_or_b64 exec, exec, s[20:21]
	s_and_saveexec_b64 s[20:21], s[12:13]
	s_cbranch_execnz .LBB269_1095
	s_branch .LBB269_1096
.LBB269_1488:                           ;   in Loop: Header=BB269_815 Depth=1
	v_cmp_eq_u16_sdwa s[30:31], v24, s24 src0_sel:BYTE_0 src1_sel:DWORD
	s_mov_b64 s[0:1], -1
                                        ; implicit-def: $sgpr22
	s_and_saveexec_b64 s[20:21], s[30:31]
; %bb.1489:                             ;   in Loop: Header=BB269_815 Depth=1
	s_mov_b32 s22, 0x7fc02000
	s_xor_b64 s[0:1], exec, -1
; %bb.1490:                             ;   in Loop: Header=BB269_815 Depth=1
	s_or_b64 exec, exec, s[20:21]
	s_and_b64 s[0:1], s[0:1], exec
	s_or_saveexec_b64 s[12:13], s[12:13]
	v_mov_b32_e32 v55, s22
	s_xor_b64 exec, exec, s[12:13]
	s_cbranch_execz .LBB269_1098
.LBB269_1491:                           ;   in Loop: Header=BB269_815 Depth=1
	v_cmp_ne_u16_sdwa s[20:21], v24, v25 src0_sel:BYTE_0 src1_sel:DWORD
	s_andn2_b64 s[0:1], s[0:1], exec
	s_and_b64 s[20:21], s[20:21], exec
	v_mov_b32_e32 v55, 0
	s_or_b64 s[0:1], s[0:1], s[20:21]
	s_or_b64 exec, exec, s[12:13]
	s_and_saveexec_b64 s[12:13], s[0:1]
	s_cbranch_execnz .LBB269_1099
	s_branch .LBB269_1100
.LBB269_1492:                           ;   in Loop: Header=BB269_815 Depth=1
	v_cmp_eq_u16_e64 s[0:1], s24, v24
	s_mov_b64 s[12:13], -1
                                        ; implicit-def: $sgpr30
	s_and_saveexec_b64 s[22:23], s[0:1]
; %bb.1493:                             ;   in Loop: Header=BB269_815 Depth=1
	s_mov_b32 s30, 0x7fc02000
	s_xor_b64 s[12:13], exec, -1
; %bb.1494:                             ;   in Loop: Header=BB269_815 Depth=1
	s_or_b64 exec, exec, s[22:23]
	s_and_b64 s[12:13], s[12:13], exec
	s_or_saveexec_b64 s[20:21], s[20:21]
	v_mov_b32_e32 v41, s30
	s_xor_b64 exec, exec, s[20:21]
	s_cbranch_execz .LBB269_1102
.LBB269_1495:                           ;   in Loop: Header=BB269_815 Depth=1
	v_cmp_ne_u16_e64 s[0:1], 0, v24
	s_andn2_b64 s[12:13], s[12:13], exec
	s_and_b64 s[0:1], s[0:1], exec
	v_mov_b32_e32 v41, 0
	s_or_b64 s[12:13], s[12:13], s[0:1]
	s_or_b64 exec, exec, s[20:21]
	s_and_saveexec_b64 s[20:21], s[12:13]
	s_cbranch_execnz .LBB269_1103
	s_branch .LBB269_1104
.LBB269_1496:                           ;   in Loop: Header=BB269_815 Depth=1
	v_cmp_eq_u16_sdwa s[30:31], v53, s24 src0_sel:BYTE_0 src1_sel:DWORD
	s_mov_b64 s[0:1], -1
                                        ; implicit-def: $sgpr22
	s_and_saveexec_b64 s[20:21], s[30:31]
; %bb.1497:                             ;   in Loop: Header=BB269_815 Depth=1
	s_mov_b32 s22, 0x7fc02000
	s_xor_b64 s[0:1], exec, -1
; %bb.1498:                             ;   in Loop: Header=BB269_815 Depth=1
	s_or_b64 exec, exec, s[20:21]
	s_and_b64 s[0:1], s[0:1], exec
	s_or_saveexec_b64 s[12:13], s[12:13]
	v_mov_b32_e32 v7, s22
	s_xor_b64 exec, exec, s[12:13]
	s_cbranch_execz .LBB269_1106
.LBB269_1499:                           ;   in Loop: Header=BB269_815 Depth=1
	v_cmp_ne_u16_sdwa s[20:21], v53, v25 src0_sel:BYTE_0 src1_sel:DWORD
	s_andn2_b64 s[0:1], s[0:1], exec
	s_and_b64 s[20:21], s[20:21], exec
	v_mov_b32_e32 v7, 0
	s_or_b64 s[0:1], s[0:1], s[20:21]
	s_or_b64 exec, exec, s[12:13]
	v_mov_b32_e32 v24, v53
	s_and_saveexec_b64 s[12:13], s[0:1]
	s_cbranch_execnz .LBB269_1107
	s_branch .LBB269_1108
.LBB269_1500:                           ;   in Loop: Header=BB269_815 Depth=1
	v_cmp_eq_u16_e64 s[0:1], s24, v24
	s_mov_b64 s[12:13], -1
                                        ; implicit-def: $sgpr30
	s_and_saveexec_b64 s[22:23], s[0:1]
; %bb.1501:                             ;   in Loop: Header=BB269_815 Depth=1
	s_mov_b32 s30, 0x7fc02000
	s_xor_b64 s[12:13], exec, -1
; %bb.1502:                             ;   in Loop: Header=BB269_815 Depth=1
	s_or_b64 exec, exec, s[22:23]
	s_and_b64 s[12:13], s[12:13], exec
	s_or_saveexec_b64 s[20:21], s[20:21]
	v_mov_b32_e32 v12, s30
	s_xor_b64 exec, exec, s[20:21]
	s_cbranch_execz .LBB269_1110
.LBB269_1503:                           ;   in Loop: Header=BB269_815 Depth=1
	v_cmp_ne_u16_e64 s[0:1], 0, v24
	s_andn2_b64 s[12:13], s[12:13], exec
	s_and_b64 s[0:1], s[0:1], exec
	v_mov_b32_e32 v12, 0
	s_or_b64 s[12:13], s[12:13], s[0:1]
	s_or_b64 exec, exec, s[20:21]
	s_and_saveexec_b64 s[20:21], s[12:13]
	s_cbranch_execnz .LBB269_1111
	s_branch .LBB269_1112
.LBB269_1504:                           ;   in Loop: Header=BB269_815 Depth=1
	v_cmp_eq_u16_sdwa s[30:31], v24, s24 src0_sel:BYTE_0 src1_sel:DWORD
	s_mov_b64 s[0:1], -1
                                        ; implicit-def: $sgpr22
	s_and_saveexec_b64 s[20:21], s[30:31]
; %bb.1505:                             ;   in Loop: Header=BB269_815 Depth=1
	s_mov_b32 s22, 0x7fc02000
	s_xor_b64 s[0:1], exec, -1
; %bb.1506:                             ;   in Loop: Header=BB269_815 Depth=1
	s_or_b64 exec, exec, s[20:21]
	s_and_b64 s[0:1], s[0:1], exec
	s_or_saveexec_b64 s[12:13], s[12:13]
	v_mov_b32_e32 v19, s22
	s_xor_b64 exec, exec, s[12:13]
	s_cbranch_execz .LBB269_1114
.LBB269_1507:                           ;   in Loop: Header=BB269_815 Depth=1
	v_cmp_ne_u16_sdwa s[20:21], v24, v25 src0_sel:BYTE_0 src1_sel:DWORD
	s_andn2_b64 s[0:1], s[0:1], exec
	s_and_b64 s[20:21], s[20:21], exec
	v_mov_b32_e32 v19, 0
	s_or_b64 s[0:1], s[0:1], s[20:21]
	s_or_b64 exec, exec, s[12:13]
	s_and_saveexec_b64 s[12:13], s[0:1]
	s_cbranch_execnz .LBB269_1115
	s_branch .LBB269_1116
.LBB269_1508:                           ;   in Loop: Header=BB269_815 Depth=1
	v_cmp_eq_u16_e64 s[0:1], s24, v24
	s_mov_b64 s[12:13], -1
                                        ; implicit-def: $sgpr30
	s_and_saveexec_b64 s[22:23], s[0:1]
; %bb.1509:                             ;   in Loop: Header=BB269_815 Depth=1
	s_mov_b32 s30, 0x7fc02000
	s_xor_b64 s[12:13], exec, -1
; %bb.1510:                             ;   in Loop: Header=BB269_815 Depth=1
	s_or_b64 exec, exec, s[22:23]
	s_and_b64 s[12:13], s[12:13], exec
	s_or_saveexec_b64 s[20:21], s[20:21]
	v_mov_b32_e32 v32, s30
	s_xor_b64 exec, exec, s[20:21]
	s_cbranch_execz .LBB269_1118
.LBB269_1511:                           ;   in Loop: Header=BB269_815 Depth=1
	v_cmp_ne_u16_e64 s[0:1], 0, v24
	s_andn2_b64 s[12:13], s[12:13], exec
	s_and_b64 s[0:1], s[0:1], exec
	v_mov_b32_e32 v32, 0
	s_or_b64 s[12:13], s[12:13], s[0:1]
	s_or_b64 exec, exec, s[20:21]
	s_and_saveexec_b64 s[20:21], s[12:13]
	s_cbranch_execnz .LBB269_1119
	s_branch .LBB269_1120
.LBB269_1512:                           ;   in Loop: Header=BB269_815 Depth=1
	v_cmp_eq_u16_sdwa s[30:31], v52, s24 src0_sel:BYTE_0 src1_sel:DWORD
	s_mov_b64 s[0:1], -1
                                        ; implicit-def: $sgpr22
	s_and_saveexec_b64 s[20:21], s[30:31]
; %bb.1513:                             ;   in Loop: Header=BB269_815 Depth=1
	s_mov_b32 s22, 0x7fc02000
	s_xor_b64 s[0:1], exec, -1
; %bb.1514:                             ;   in Loop: Header=BB269_815 Depth=1
	s_or_b64 exec, exec, s[20:21]
	s_and_b64 s[0:1], s[0:1], exec
	s_or_saveexec_b64 s[12:13], s[12:13]
	v_mov_b32_e32 v54, s22
	s_xor_b64 exec, exec, s[12:13]
	s_cbranch_execz .LBB269_1124
.LBB269_1515:                           ;   in Loop: Header=BB269_815 Depth=1
	v_cmp_ne_u16_sdwa s[20:21], v52, v25 src0_sel:BYTE_0 src1_sel:DWORD
	s_andn2_b64 s[0:1], s[0:1], exec
	s_and_b64 s[20:21], s[20:21], exec
	v_mov_b32_e32 v54, 0
	s_or_b64 s[0:1], s[0:1], s[20:21]
	s_or_b64 exec, exec, s[12:13]
	s_and_saveexec_b64 s[12:13], s[0:1]
	s_cbranch_execnz .LBB269_1125
	s_branch .LBB269_1126
.LBB269_1516:                           ;   in Loop: Header=BB269_815 Depth=1
	v_cmp_eq_u16_e64 s[0:1], s24, v24
	s_mov_b64 s[12:13], -1
                                        ; implicit-def: $sgpr30
	s_and_saveexec_b64 s[22:23], s[0:1]
; %bb.1517:                             ;   in Loop: Header=BB269_815 Depth=1
	s_mov_b32 s30, 0x7fc02000
	s_xor_b64 s[12:13], exec, -1
; %bb.1518:                             ;   in Loop: Header=BB269_815 Depth=1
	s_or_b64 exec, exec, s[22:23]
	s_and_b64 s[12:13], s[12:13], exec
	s_or_saveexec_b64 s[20:21], s[20:21]
	v_mov_b32_e32 v40, s30
	s_xor_b64 exec, exec, s[20:21]
	s_cbranch_execz .LBB269_1128
.LBB269_1519:                           ;   in Loop: Header=BB269_815 Depth=1
	v_cmp_ne_u16_e64 s[0:1], 0, v24
	s_andn2_b64 s[12:13], s[12:13], exec
	s_and_b64 s[0:1], s[0:1], exec
	v_mov_b32_e32 v40, 0
	s_or_b64 s[12:13], s[12:13], s[0:1]
	s_or_b64 exec, exec, s[20:21]
	s_and_saveexec_b64 s[20:21], s[12:13]
	s_cbranch_execnz .LBB269_1129
	s_branch .LBB269_1130
.LBB269_1520:                           ;   in Loop: Header=BB269_815 Depth=1
	v_cmp_eq_u16_sdwa s[30:31], v24, s24 src0_sel:BYTE_0 src1_sel:DWORD
	s_mov_b64 s[0:1], -1
                                        ; implicit-def: $sgpr22
	s_and_saveexec_b64 s[20:21], s[30:31]
; %bb.1521:                             ;   in Loop: Header=BB269_815 Depth=1
	s_mov_b32 s22, 0x7fc02000
	s_xor_b64 s[0:1], exec, -1
; %bb.1522:                             ;   in Loop: Header=BB269_815 Depth=1
	s_or_b64 exec, exec, s[20:21]
	s_and_b64 s[0:1], s[0:1], exec
	s_or_saveexec_b64 s[12:13], s[12:13]
	v_mov_b32_e32 v55, s22
	s_xor_b64 exec, exec, s[12:13]
	s_cbranch_execz .LBB269_1132
.LBB269_1523:                           ;   in Loop: Header=BB269_815 Depth=1
	v_cmp_ne_u16_sdwa s[20:21], v24, v25 src0_sel:BYTE_0 src1_sel:DWORD
	s_andn2_b64 s[0:1], s[0:1], exec
	s_and_b64 s[20:21], s[20:21], exec
	v_mov_b32_e32 v55, 0
	s_or_b64 s[0:1], s[0:1], s[20:21]
	s_or_b64 exec, exec, s[12:13]
	s_and_saveexec_b64 s[12:13], s[0:1]
	s_cbranch_execnz .LBB269_1133
	s_branch .LBB269_1134
.LBB269_1524:                           ;   in Loop: Header=BB269_815 Depth=1
	v_cmp_eq_u16_e64 s[0:1], s24, v24
	s_mov_b64 s[12:13], -1
                                        ; implicit-def: $sgpr30
	s_and_saveexec_b64 s[22:23], s[0:1]
; %bb.1525:                             ;   in Loop: Header=BB269_815 Depth=1
	s_mov_b32 s30, 0x7fc02000
	s_xor_b64 s[12:13], exec, -1
; %bb.1526:                             ;   in Loop: Header=BB269_815 Depth=1
	s_or_b64 exec, exec, s[22:23]
	s_and_b64 s[12:13], s[12:13], exec
	s_or_saveexec_b64 s[20:21], s[20:21]
	v_mov_b32_e32 v41, s30
	s_xor_b64 exec, exec, s[20:21]
	s_cbranch_execz .LBB269_1136
.LBB269_1527:                           ;   in Loop: Header=BB269_815 Depth=1
	v_cmp_ne_u16_e64 s[0:1], 0, v24
	s_andn2_b64 s[12:13], s[12:13], exec
	s_and_b64 s[0:1], s[0:1], exec
	v_mov_b32_e32 v41, 0
	s_or_b64 s[12:13], s[12:13], s[0:1]
	s_or_b64 exec, exec, s[20:21]
	s_and_saveexec_b64 s[20:21], s[12:13]
	s_cbranch_execnz .LBB269_1137
	s_branch .LBB269_1138
.LBB269_1528:                           ;   in Loop: Header=BB269_815 Depth=1
	v_cmp_eq_u16_sdwa s[30:31], v53, s24 src0_sel:BYTE_0 src1_sel:DWORD
	s_mov_b64 s[0:1], -1
                                        ; implicit-def: $sgpr22
	s_and_saveexec_b64 s[20:21], s[30:31]
; %bb.1529:                             ;   in Loop: Header=BB269_815 Depth=1
	s_mov_b32 s22, 0x7fc02000
	s_xor_b64 s[0:1], exec, -1
; %bb.1530:                             ;   in Loop: Header=BB269_815 Depth=1
	s_or_b64 exec, exec, s[20:21]
	s_and_b64 s[0:1], s[0:1], exec
	s_or_saveexec_b64 s[12:13], s[12:13]
	v_mov_b32_e32 v12, s22
	s_xor_b64 exec, exec, s[12:13]
	s_cbranch_execz .LBB269_1140
.LBB269_1531:                           ;   in Loop: Header=BB269_815 Depth=1
	v_cmp_ne_u16_sdwa s[20:21], v53, v25 src0_sel:BYTE_0 src1_sel:DWORD
	s_andn2_b64 s[0:1], s[0:1], exec
	s_and_b64 s[20:21], s[20:21], exec
	v_mov_b32_e32 v12, 0
	s_or_b64 s[0:1], s[0:1], s[20:21]
	s_or_b64 exec, exec, s[12:13]
	v_mov_b32_e32 v24, v53
	s_and_saveexec_b64 s[12:13], s[0:1]
	s_cbranch_execnz .LBB269_1141
	s_branch .LBB269_1142
.LBB269_1532:                           ;   in Loop: Header=BB269_815 Depth=1
	v_cmp_eq_u16_e64 s[0:1], s24, v24
	s_mov_b64 s[12:13], -1
                                        ; implicit-def: $sgpr30
	s_and_saveexec_b64 s[22:23], s[0:1]
; %bb.1533:                             ;   in Loop: Header=BB269_815 Depth=1
	s_mov_b32 s30, 0x7fc02000
	s_xor_b64 s[12:13], exec, -1
; %bb.1534:                             ;   in Loop: Header=BB269_815 Depth=1
	s_or_b64 exec, exec, s[22:23]
	s_and_b64 s[12:13], s[12:13], exec
	s_or_saveexec_b64 s[20:21], s[20:21]
	v_mov_b32_e32 v19, s30
	s_xor_b64 exec, exec, s[20:21]
	s_cbranch_execz .LBB269_1144
.LBB269_1535:                           ;   in Loop: Header=BB269_815 Depth=1
	v_cmp_ne_u16_e64 s[0:1], 0, v24
	s_andn2_b64 s[12:13], s[12:13], exec
	s_and_b64 s[0:1], s[0:1], exec
	v_mov_b32_e32 v19, 0
	s_or_b64 s[12:13], s[12:13], s[0:1]
	s_or_b64 exec, exec, s[20:21]
	s_and_saveexec_b64 s[20:21], s[12:13]
	s_cbranch_execnz .LBB269_1145
	s_branch .LBB269_1146
.LBB269_1536:                           ;   in Loop: Header=BB269_815 Depth=1
	v_cmp_eq_u16_sdwa s[30:31], v24, s24 src0_sel:BYTE_0 src1_sel:DWORD
	s_mov_b64 s[0:1], -1
                                        ; implicit-def: $sgpr22
	s_and_saveexec_b64 s[20:21], s[30:31]
; %bb.1537:                             ;   in Loop: Header=BB269_815 Depth=1
	s_mov_b32 s22, 0x7fc02000
	s_xor_b64 s[0:1], exec, -1
; %bb.1538:                             ;   in Loop: Header=BB269_815 Depth=1
	s_or_b64 exec, exec, s[20:21]
	s_and_b64 s[0:1], s[0:1], exec
	s_or_saveexec_b64 s[12:13], s[12:13]
	v_mov_b32_e32 v22, s22
	s_xor_b64 exec, exec, s[12:13]
	s_cbranch_execz .LBB269_1148
.LBB269_1539:                           ;   in Loop: Header=BB269_815 Depth=1
	v_cmp_ne_u16_sdwa s[20:21], v24, v25 src0_sel:BYTE_0 src1_sel:DWORD
	s_andn2_b64 s[0:1], s[0:1], exec
	s_and_b64 s[20:21], s[20:21], exec
	v_mov_b32_e32 v22, 0
	s_or_b64 s[0:1], s[0:1], s[20:21]
	s_or_b64 exec, exec, s[12:13]
	s_and_saveexec_b64 s[12:13], s[0:1]
	s_cbranch_execnz .LBB269_1149
	s_branch .LBB269_1150
.LBB269_1540:                           ;   in Loop: Header=BB269_815 Depth=1
	v_cmp_eq_u16_e64 s[0:1], s24, v24
	s_mov_b64 s[12:13], -1
                                        ; implicit-def: $sgpr30
	s_and_saveexec_b64 s[22:23], s[0:1]
; %bb.1541:                             ;   in Loop: Header=BB269_815 Depth=1
	s_mov_b32 s30, 0x7fc02000
	s_xor_b64 s[12:13], exec, -1
; %bb.1542:                             ;   in Loop: Header=BB269_815 Depth=1
	s_or_b64 exec, exec, s[22:23]
	s_and_b64 s[12:13], s[12:13], exec
	s_or_saveexec_b64 s[20:21], s[20:21]
	v_mov_b32_e32 v51, s30
	s_xor_b64 exec, exec, s[20:21]
	s_cbranch_execz .LBB269_1152
.LBB269_1543:                           ;   in Loop: Header=BB269_815 Depth=1
	v_cmp_ne_u16_e64 s[0:1], 0, v24
	s_andn2_b64 s[12:13], s[12:13], exec
	s_and_b64 s[0:1], s[0:1], exec
	v_mov_b32_e32 v51, 0
	s_or_b64 s[12:13], s[12:13], s[0:1]
	s_or_b64 exec, exec, s[20:21]
	s_and_saveexec_b64 s[20:21], s[12:13]
	s_cbranch_execnz .LBB269_1153
	s_branch .LBB269_1154
.LBB269_1544:                           ;   in Loop: Header=BB269_815 Depth=1
	v_cmp_eq_u16_sdwa s[30:31], v52, s24 src0_sel:BYTE_0 src1_sel:DWORD
	s_mov_b64 s[0:1], -1
                                        ; implicit-def: $sgpr22
	s_and_saveexec_b64 s[20:21], s[30:31]
; %bb.1545:                             ;   in Loop: Header=BB269_815 Depth=1
	s_mov_b32 s22, 0x7fc02000
	s_xor_b64 s[0:1], exec, -1
; %bb.1546:                             ;   in Loop: Header=BB269_815 Depth=1
	s_or_b64 exec, exec, s[20:21]
	s_and_b64 s[0:1], s[0:1], exec
	s_or_saveexec_b64 s[12:13], s[12:13]
	v_mov_b32_e32 v54, s22
	s_xor_b64 exec, exec, s[12:13]
	s_cbranch_execz .LBB269_1158
.LBB269_1547:                           ;   in Loop: Header=BB269_815 Depth=1
	v_cmp_ne_u16_sdwa s[20:21], v52, v25 src0_sel:BYTE_0 src1_sel:DWORD
	s_andn2_b64 s[0:1], s[0:1], exec
	s_and_b64 s[20:21], s[20:21], exec
	v_mov_b32_e32 v54, 0
	s_or_b64 s[0:1], s[0:1], s[20:21]
	s_or_b64 exec, exec, s[12:13]
	s_and_saveexec_b64 s[12:13], s[0:1]
	s_cbranch_execnz .LBB269_1159
	s_branch .LBB269_1160
.LBB269_1548:                           ;   in Loop: Header=BB269_815 Depth=1
	v_cmp_eq_u16_e64 s[0:1], s24, v24
	s_mov_b64 s[12:13], -1
                                        ; implicit-def: $sgpr30
	s_and_saveexec_b64 s[22:23], s[0:1]
; %bb.1549:                             ;   in Loop: Header=BB269_815 Depth=1
	s_mov_b32 s30, 0x7fc02000
	s_xor_b64 s[12:13], exec, -1
; %bb.1550:                             ;   in Loop: Header=BB269_815 Depth=1
	s_or_b64 exec, exec, s[22:23]
	s_and_b64 s[12:13], s[12:13], exec
	s_or_saveexec_b64 s[20:21], s[20:21]
	v_mov_b32_e32 v40, s30
	s_xor_b64 exec, exec, s[20:21]
	s_cbranch_execz .LBB269_1162
.LBB269_1551:                           ;   in Loop: Header=BB269_815 Depth=1
	v_cmp_ne_u16_e64 s[0:1], 0, v24
	s_andn2_b64 s[12:13], s[12:13], exec
	s_and_b64 s[0:1], s[0:1], exec
	v_mov_b32_e32 v40, 0
	s_or_b64 s[12:13], s[12:13], s[0:1]
	s_or_b64 exec, exec, s[20:21]
	s_and_saveexec_b64 s[20:21], s[12:13]
	s_cbranch_execnz .LBB269_1163
	s_branch .LBB269_1164
.LBB269_1552:                           ;   in Loop: Header=BB269_815 Depth=1
	v_cmp_eq_u16_sdwa s[30:31], v24, s24 src0_sel:BYTE_0 src1_sel:DWORD
	s_mov_b64 s[0:1], -1
                                        ; implicit-def: $sgpr22
	s_and_saveexec_b64 s[20:21], s[30:31]
; %bb.1553:                             ;   in Loop: Header=BB269_815 Depth=1
	s_mov_b32 s22, 0x7fc02000
	s_xor_b64 s[0:1], exec, -1
; %bb.1554:                             ;   in Loop: Header=BB269_815 Depth=1
	s_or_b64 exec, exec, s[20:21]
	s_and_b64 s[0:1], s[0:1], exec
	s_or_saveexec_b64 s[12:13], s[12:13]
	v_mov_b32_e32 v55, s22
	s_xor_b64 exec, exec, s[12:13]
	s_cbranch_execz .LBB269_1166
.LBB269_1555:                           ;   in Loop: Header=BB269_815 Depth=1
	v_cmp_ne_u16_sdwa s[20:21], v24, v25 src0_sel:BYTE_0 src1_sel:DWORD
	s_andn2_b64 s[0:1], s[0:1], exec
	s_and_b64 s[20:21], s[20:21], exec
	v_mov_b32_e32 v55, 0
	s_or_b64 s[0:1], s[0:1], s[20:21]
	s_or_b64 exec, exec, s[12:13]
	s_and_saveexec_b64 s[12:13], s[0:1]
	s_cbranch_execnz .LBB269_1167
	s_branch .LBB269_1168
.LBB269_1556:                           ;   in Loop: Header=BB269_815 Depth=1
	v_cmp_eq_u16_e64 s[0:1], s24, v24
	s_mov_b64 s[12:13], -1
                                        ; implicit-def: $sgpr30
	s_and_saveexec_b64 s[22:23], s[0:1]
; %bb.1557:                             ;   in Loop: Header=BB269_815 Depth=1
	s_mov_b32 s30, 0x7fc02000
	s_xor_b64 s[12:13], exec, -1
; %bb.1558:                             ;   in Loop: Header=BB269_815 Depth=1
	s_or_b64 exec, exec, s[22:23]
	s_and_b64 s[12:13], s[12:13], exec
	s_or_saveexec_b64 s[20:21], s[20:21]
	v_mov_b32_e32 v41, s30
	s_xor_b64 exec, exec, s[20:21]
	s_cbranch_execz .LBB269_1170
.LBB269_1559:                           ;   in Loop: Header=BB269_815 Depth=1
	v_cmp_ne_u16_e64 s[0:1], 0, v24
	s_andn2_b64 s[12:13], s[12:13], exec
	s_and_b64 s[0:1], s[0:1], exec
	v_mov_b32_e32 v41, 0
	s_or_b64 s[12:13], s[12:13], s[0:1]
	s_or_b64 exec, exec, s[20:21]
	s_and_saveexec_b64 s[20:21], s[12:13]
	s_cbranch_execnz .LBB269_1171
	s_branch .LBB269_1172
.LBB269_1560:                           ;   in Loop: Header=BB269_815 Depth=1
	v_cmp_eq_u16_sdwa s[30:31], v53, s24 src0_sel:BYTE_0 src1_sel:DWORD
	s_mov_b64 s[0:1], -1
                                        ; implicit-def: $sgpr22
	s_and_saveexec_b64 s[20:21], s[30:31]
; %bb.1561:                             ;   in Loop: Header=BB269_815 Depth=1
	s_mov_b32 s22, 0x7fc02000
	s_xor_b64 s[0:1], exec, -1
; %bb.1562:                             ;   in Loop: Header=BB269_815 Depth=1
	s_or_b64 exec, exec, s[20:21]
	s_and_b64 s[0:1], s[0:1], exec
	s_or_saveexec_b64 s[12:13], s[12:13]
	v_mov_b32_e32 v12, s22
	s_xor_b64 exec, exec, s[12:13]
	s_cbranch_execz .LBB269_1174
.LBB269_1563:                           ;   in Loop: Header=BB269_815 Depth=1
	v_cmp_ne_u16_sdwa s[20:21], v53, v25 src0_sel:BYTE_0 src1_sel:DWORD
	s_andn2_b64 s[0:1], s[0:1], exec
	s_and_b64 s[20:21], s[20:21], exec
	v_mov_b32_e32 v12, 0
	s_or_b64 s[0:1], s[0:1], s[20:21]
	s_or_b64 exec, exec, s[12:13]
	v_mov_b32_e32 v24, v53
	s_and_saveexec_b64 s[12:13], s[0:1]
	s_cbranch_execnz .LBB269_1175
	s_branch .LBB269_1176
.LBB269_1564:                           ;   in Loop: Header=BB269_815 Depth=1
	v_cmp_eq_u16_e64 s[0:1], s24, v24
	s_mov_b64 s[12:13], -1
                                        ; implicit-def: $sgpr30
	s_and_saveexec_b64 s[22:23], s[0:1]
; %bb.1565:                             ;   in Loop: Header=BB269_815 Depth=1
	s_mov_b32 s30, 0x7fc02000
	s_xor_b64 s[12:13], exec, -1
; %bb.1566:                             ;   in Loop: Header=BB269_815 Depth=1
	s_or_b64 exec, exec, s[22:23]
	s_and_b64 s[12:13], s[12:13], exec
	s_or_saveexec_b64 s[20:21], s[20:21]
	v_mov_b32_e32 v19, s30
	s_xor_b64 exec, exec, s[20:21]
	s_cbranch_execz .LBB269_1178
.LBB269_1567:                           ;   in Loop: Header=BB269_815 Depth=1
	v_cmp_ne_u16_e64 s[0:1], 0, v24
	s_andn2_b64 s[12:13], s[12:13], exec
	s_and_b64 s[0:1], s[0:1], exec
	v_mov_b32_e32 v19, 0
	s_or_b64 s[12:13], s[12:13], s[0:1]
	s_or_b64 exec, exec, s[20:21]
	s_and_saveexec_b64 s[20:21], s[12:13]
	s_cbranch_execnz .LBB269_1179
	s_branch .LBB269_1180
.LBB269_1568:                           ;   in Loop: Header=BB269_815 Depth=1
	v_cmp_eq_u16_sdwa s[30:31], v24, s24 src0_sel:BYTE_0 src1_sel:DWORD
	s_mov_b64 s[0:1], -1
                                        ; implicit-def: $sgpr22
	s_and_saveexec_b64 s[20:21], s[30:31]
; %bb.1569:                             ;   in Loop: Header=BB269_815 Depth=1
	s_mov_b32 s22, 0x7fc02000
	s_xor_b64 s[0:1], exec, -1
; %bb.1570:                             ;   in Loop: Header=BB269_815 Depth=1
	s_or_b64 exec, exec, s[20:21]
	s_and_b64 s[0:1], s[0:1], exec
	s_or_saveexec_b64 s[12:13], s[12:13]
	v_mov_b32_e32 v51, s22
	s_xor_b64 exec, exec, s[12:13]
	s_cbranch_execz .LBB269_1182
.LBB269_1571:                           ;   in Loop: Header=BB269_815 Depth=1
	v_cmp_ne_u16_sdwa s[20:21], v24, v25 src0_sel:BYTE_0 src1_sel:DWORD
	s_andn2_b64 s[0:1], s[0:1], exec
	s_and_b64 s[20:21], s[20:21], exec
	v_mov_b32_e32 v51, 0
	s_or_b64 s[0:1], s[0:1], s[20:21]
	s_or_b64 exec, exec, s[12:13]
	s_and_saveexec_b64 s[12:13], s[0:1]
	s_cbranch_execnz .LBB269_1183
	s_branch .LBB269_1184
.LBB269_1572:                           ;   in Loop: Header=BB269_815 Depth=1
	v_cmp_eq_u16_e64 s[0:1], s24, v24
	s_mov_b64 s[12:13], -1
                                        ; implicit-def: $sgpr30
	s_and_saveexec_b64 s[22:23], s[0:1]
; %bb.1573:                             ;   in Loop: Header=BB269_815 Depth=1
	s_mov_b32 s30, 0x7fc02000
	s_xor_b64 s[12:13], exec, -1
; %bb.1574:                             ;   in Loop: Header=BB269_815 Depth=1
	s_or_b64 exec, exec, s[22:23]
	s_and_b64 s[12:13], s[12:13], exec
	s_or_saveexec_b64 s[20:21], s[20:21]
	v_mov_b32_e32 v47, s30
	s_xor_b64 exec, exec, s[20:21]
	s_cbranch_execz .LBB269_1186
.LBB269_1575:                           ;   in Loop: Header=BB269_815 Depth=1
	v_cmp_ne_u16_e64 s[0:1], 0, v24
	s_andn2_b64 s[12:13], s[12:13], exec
	s_and_b64 s[0:1], s[0:1], exec
	v_mov_b32_e32 v47, 0
	s_or_b64 s[12:13], s[12:13], s[0:1]
	s_or_b64 exec, exec, s[20:21]
	s_and_saveexec_b64 s[20:21], s[12:13]
	s_cbranch_execnz .LBB269_1187
	s_branch .LBB269_1188
.LBB269_1576:                           ;   in Loop: Header=BB269_815 Depth=1
	v_cmp_eq_u16_sdwa s[30:31], v50, s24 src0_sel:BYTE_0 src1_sel:DWORD
	s_mov_b64 s[0:1], -1
                                        ; implicit-def: $sgpr22
	s_and_saveexec_b64 s[20:21], s[30:31]
; %bb.1577:                             ;   in Loop: Header=BB269_815 Depth=1
	s_mov_b32 s22, 0x7fc02000
	s_xor_b64 s[0:1], exec, -1
; %bb.1578:                             ;   in Loop: Header=BB269_815 Depth=1
	s_or_b64 exec, exec, s[20:21]
	s_and_b64 s[0:1], s[0:1], exec
	s_or_saveexec_b64 s[12:13], s[12:13]
	v_mov_b32_e32 v52, s22
	s_xor_b64 exec, exec, s[12:13]
	s_cbranch_execz .LBB269_1192
.LBB269_1579:                           ;   in Loop: Header=BB269_815 Depth=1
	v_cmp_ne_u16_sdwa s[20:21], v50, v25 src0_sel:BYTE_0 src1_sel:DWORD
	s_andn2_b64 s[0:1], s[0:1], exec
	s_and_b64 s[20:21], s[20:21], exec
	v_mov_b32_e32 v52, 0
	s_or_b64 s[0:1], s[0:1], s[20:21]
	s_or_b64 exec, exec, s[12:13]
	s_and_saveexec_b64 s[12:13], s[0:1]
	s_cbranch_execnz .LBB269_1193
	s_branch .LBB269_1194
.LBB269_1580:                           ;   in Loop: Header=BB269_815 Depth=1
	v_cmp_eq_u16_e64 s[0:1], s24, v24
	s_mov_b64 s[12:13], -1
                                        ; implicit-def: $sgpr30
	s_and_saveexec_b64 s[22:23], s[0:1]
; %bb.1581:                             ;   in Loop: Header=BB269_815 Depth=1
	s_mov_b32 s30, 0x7fc02000
	s_xor_b64 s[12:13], exec, -1
; %bb.1582:                             ;   in Loop: Header=BB269_815 Depth=1
	s_or_b64 exec, exec, s[22:23]
	s_and_b64 s[12:13], s[12:13], exec
	s_or_saveexec_b64 s[20:21], s[20:21]
	v_mov_b32_e32 v54, s30
	s_xor_b64 exec, exec, s[20:21]
	s_cbranch_execz .LBB269_1196
.LBB269_1583:                           ;   in Loop: Header=BB269_815 Depth=1
	v_cmp_ne_u16_e64 s[0:1], 0, v24
	s_andn2_b64 s[12:13], s[12:13], exec
	s_and_b64 s[0:1], s[0:1], exec
	v_mov_b32_e32 v54, 0
	s_or_b64 s[12:13], s[12:13], s[0:1]
	s_or_b64 exec, exec, s[20:21]
	s_and_saveexec_b64 s[20:21], s[12:13]
	s_cbranch_execnz .LBB269_1197
	s_branch .LBB269_1198
.LBB269_1584:                           ;   in Loop: Header=BB269_815 Depth=1
	v_cmp_eq_u16_sdwa s[30:31], v24, s24 src0_sel:BYTE_0 src1_sel:DWORD
	s_mov_b64 s[0:1], -1
                                        ; implicit-def: $sgpr22
	s_and_saveexec_b64 s[20:21], s[30:31]
; %bb.1585:                             ;   in Loop: Header=BB269_815 Depth=1
	s_mov_b32 s22, 0x7fc02000
	s_xor_b64 s[0:1], exec, -1
; %bb.1586:                             ;   in Loop: Header=BB269_815 Depth=1
	s_or_b64 exec, exec, s[20:21]
	s_and_b64 s[0:1], s[0:1], exec
	s_or_saveexec_b64 s[12:13], s[12:13]
	v_mov_b32_e32 v53, s22
	s_xor_b64 exec, exec, s[12:13]
	s_cbranch_execz .LBB269_1200
.LBB269_1587:                           ;   in Loop: Header=BB269_815 Depth=1
	v_cmp_ne_u16_sdwa s[20:21], v24, v25 src0_sel:BYTE_0 src1_sel:DWORD
	s_andn2_b64 s[0:1], s[0:1], exec
	s_and_b64 s[20:21], s[20:21], exec
	v_mov_b32_e32 v53, 0
	s_or_b64 s[0:1], s[0:1], s[20:21]
	s_or_b64 exec, exec, s[12:13]
	s_and_saveexec_b64 s[12:13], s[0:1]
	s_cbranch_execnz .LBB269_1201
	s_branch .LBB269_1202
.LBB269_1588:                           ;   in Loop: Header=BB269_815 Depth=1
	v_cmp_eq_u16_e64 s[0:1], s24, v24
	s_mov_b64 s[12:13], -1
                                        ; implicit-def: $sgpr30
	s_and_saveexec_b64 s[22:23], s[0:1]
; %bb.1589:                             ;   in Loop: Header=BB269_815 Depth=1
	s_mov_b32 s30, 0x7fc02000
	s_xor_b64 s[12:13], exec, -1
; %bb.1590:                             ;   in Loop: Header=BB269_815 Depth=1
	s_or_b64 exec, exec, s[22:23]
	s_and_b64 s[12:13], s[12:13], exec
	s_or_saveexec_b64 s[20:21], s[20:21]
	v_mov_b32_e32 v55, s30
	s_xor_b64 exec, exec, s[20:21]
	s_cbranch_execz .LBB269_1204
.LBB269_1591:                           ;   in Loop: Header=BB269_815 Depth=1
	v_cmp_ne_u16_e64 s[0:1], 0, v24
	s_andn2_b64 s[12:13], s[12:13], exec
	s_and_b64 s[0:1], s[0:1], exec
	v_mov_b32_e32 v55, 0
	s_or_b64 s[12:13], s[12:13], s[0:1]
	s_or_b64 exec, exec, s[20:21]
	s_and_saveexec_b64 s[20:21], s[12:13]
	s_cbranch_execnz .LBB269_1205
	s_branch .LBB269_1206
.LBB269_1592:                           ;   in Loop: Header=BB269_815 Depth=1
	v_cmp_eq_u16_sdwa s[30:31], v51, s24 src0_sel:BYTE_0 src1_sel:DWORD
	s_mov_b64 s[0:1], -1
                                        ; implicit-def: $sgpr22
	s_and_saveexec_b64 s[20:21], s[30:31]
; %bb.1593:                             ;   in Loop: Header=BB269_815 Depth=1
	s_mov_b32 s22, 0x7fc02000
	s_xor_b64 s[0:1], exec, -1
; %bb.1594:                             ;   in Loop: Header=BB269_815 Depth=1
	s_or_b64 exec, exec, s[20:21]
	s_and_b64 s[0:1], s[0:1], exec
	s_or_saveexec_b64 s[12:13], s[12:13]
	v_mov_b32_e32 v15, s22
	s_xor_b64 exec, exec, s[12:13]
	s_cbranch_execz .LBB269_1208
.LBB269_1595:                           ;   in Loop: Header=BB269_815 Depth=1
	v_cmp_ne_u16_sdwa s[20:21], v51, v25 src0_sel:BYTE_0 src1_sel:DWORD
	s_andn2_b64 s[0:1], s[0:1], exec
	s_and_b64 s[20:21], s[20:21], exec
	v_mov_b32_e32 v15, 0
	s_or_b64 s[0:1], s[0:1], s[20:21]
	s_or_b64 exec, exec, s[12:13]
	v_mov_b32_e32 v24, v51
	s_and_saveexec_b64 s[12:13], s[0:1]
	s_cbranch_execnz .LBB269_1209
	s_branch .LBB269_1210
.LBB269_1596:                           ;   in Loop: Header=BB269_815 Depth=1
	v_cmp_eq_u16_e64 s[0:1], s24, v24
	s_mov_b64 s[12:13], -1
                                        ; implicit-def: $sgpr30
	s_and_saveexec_b64 s[22:23], s[0:1]
; %bb.1597:                             ;   in Loop: Header=BB269_815 Depth=1
	s_mov_b32 s30, 0x7fc02000
	s_xor_b64 s[12:13], exec, -1
; %bb.1598:                             ;   in Loop: Header=BB269_815 Depth=1
	s_or_b64 exec, exec, s[22:23]
	s_and_b64 s[12:13], s[12:13], exec
	s_or_saveexec_b64 s[20:21], s[20:21]
	v_mov_b32_e32 v50, s30
	s_xor_b64 exec, exec, s[20:21]
	s_cbranch_execz .LBB269_1212
.LBB269_1599:                           ;   in Loop: Header=BB269_815 Depth=1
	v_cmp_ne_u16_e64 s[0:1], 0, v24
	s_andn2_b64 s[12:13], s[12:13], exec
	s_and_b64 s[0:1], s[0:1], exec
	v_mov_b32_e32 v50, 0
	s_or_b64 s[12:13], s[12:13], s[0:1]
	s_or_b64 exec, exec, s[20:21]
	s_and_saveexec_b64 s[20:21], s[12:13]
	s_cbranch_execnz .LBB269_1213
	s_branch .LBB269_1214
.LBB269_1600:                           ;   in Loop: Header=BB269_815 Depth=1
	v_cmp_eq_u16_sdwa s[30:31], v24, s24 src0_sel:BYTE_0 src1_sel:DWORD
	s_mov_b64 s[0:1], -1
                                        ; implicit-def: $sgpr22
	s_and_saveexec_b64 s[20:21], s[30:31]
; %bb.1601:                             ;   in Loop: Header=BB269_815 Depth=1
	s_mov_b32 s22, 0x7fc02000
	s_xor_b64 s[0:1], exec, -1
; %bb.1602:                             ;   in Loop: Header=BB269_815 Depth=1
	s_or_b64 exec, exec, s[20:21]
	s_and_b64 s[0:1], s[0:1], exec
	s_or_saveexec_b64 s[12:13], s[12:13]
	v_mov_b32_e32 v40, s22
	s_xor_b64 exec, exec, s[12:13]
	s_cbranch_execz .LBB269_1216
.LBB269_1603:                           ;   in Loop: Header=BB269_815 Depth=1
	v_cmp_ne_u16_sdwa s[20:21], v24, v25 src0_sel:BYTE_0 src1_sel:DWORD
	s_andn2_b64 s[0:1], s[0:1], exec
	s_and_b64 s[20:21], s[20:21], exec
	v_mov_b32_e32 v40, 0
	s_or_b64 s[0:1], s[0:1], s[20:21]
	s_or_b64 exec, exec, s[12:13]
	s_and_saveexec_b64 s[12:13], s[0:1]
	s_cbranch_execnz .LBB269_1217
	s_branch .LBB269_1218
.LBB269_1604:                           ;   in Loop: Header=BB269_815 Depth=1
	v_cmp_eq_u16_e64 s[0:1], s24, v24
	s_mov_b64 s[12:13], -1
                                        ; implicit-def: $sgpr30
	s_and_saveexec_b64 s[22:23], s[0:1]
; %bb.1605:                             ;   in Loop: Header=BB269_815 Depth=1
	s_mov_b32 s30, 0x7fc02000
	s_xor_b64 s[12:13], exec, -1
; %bb.1606:                             ;   in Loop: Header=BB269_815 Depth=1
	s_or_b64 exec, exec, s[22:23]
	s_and_b64 s[12:13], s[12:13], exec
	s_or_saveexec_b64 s[20:21], s[20:21]
	v_mov_b32_e32 v41, s30
	s_xor_b64 exec, exec, s[20:21]
	s_cbranch_execz .LBB269_1220
.LBB269_1607:                           ;   in Loop: Header=BB269_815 Depth=1
	v_cmp_ne_u16_e64 s[0:1], 0, v24
	s_andn2_b64 s[12:13], s[12:13], exec
	s_and_b64 s[0:1], s[0:1], exec
	v_mov_b32_e32 v41, 0
	s_or_b64 s[12:13], s[12:13], s[0:1]
	s_or_b64 exec, exec, s[20:21]
	s_and_saveexec_b64 s[20:21], s[12:13]
	s_cbranch_execnz .LBB269_1221
	s_branch .LBB269_1222
.LBB269_1608:
	s_or_b64 exec, exec, s[6:7]
	v_accvgpr_read_b32 v27, a15
	v_accvgpr_read_b32 v32, a16
	v_accvgpr_read_b32 v33, a17
	v_accvgpr_read_b32 v48, a18
.LBB269_1609:
	s_or_b64 exec, exec, s[2:3]
	ds_bpermute_b32 v0, v32, v34
	ds_bpermute_b32 v1, v32, v35
	;; [unrolled: 1-line block ×6, first 2 shown]
	s_waitcnt lgkmcnt(4)
	v_pk_add_f32 v[0:1], v[34:35], v[0:1]
	ds_bpermute_b32 v6, v33, v0
	ds_bpermute_b32 v7, v33, v1
	s_waitcnt lgkmcnt(4)
	v_pk_add_f32 v[12:13], v[30:31], v[2:3]
	s_waitcnt lgkmcnt(0)
	s_barrier
	v_pk_add_f32 v[2:3], v[0:1], v[6:7]
	v_pk_add_f32 v[0:1], v[28:29], v[10:11]
	ds_bpermute_b32 v10, v33, v0
	ds_bpermute_b32 v11, v33, v1
	;; [unrolled: 1-line block ×6, first 2 shown]
	s_waitcnt lgkmcnt(4)
	v_pk_add_f32 v[10:11], v[0:1], v[10:11]
	scratch_load_dword v0, off, s32 offset:352 ; 4-byte Folded Reload
	ds_bpermute_b32 v22, v32, v4
	ds_bpermute_b32 v23, v32, v5
	;; [unrolled: 1-line block ×4, first 2 shown]
	s_waitcnt lgkmcnt(6)
	v_pk_add_f32 v[6:7], v[20:21], v[6:7]
	s_waitcnt lgkmcnt(4)
	v_pk_add_f32 v[16:17], v[8:9], v[16:17]
	ds_bpermute_b32 v18, v33, v6
	ds_bpermute_b32 v19, v33, v7
	;; [unrolled: 1-line block ×4, first 2 shown]
	s_waitcnt lgkmcnt(6)
	v_pk_add_f32 v[4:5], v[4:5], v[22:23]
	s_waitcnt lgkmcnt(4)
	v_pk_add_f32 v[12:13], v[12:13], v[14:15]
	ds_bpermute_b32 v14, v33, v4
	ds_bpermute_b32 v15, v33, v5
	s_waitcnt lgkmcnt(4)
	v_pk_add_f32 v[8:9], v[6:7], v[18:19]
	s_waitcnt lgkmcnt(2)
	v_pk_add_f32 v[6:7], v[16:17], v[20:21]
	s_waitcnt vmcnt(0)
	v_and_b32_e32 v0, 0x3c3, v0
	v_cmp_ne_u32_e32 vcc, 64, v0
	s_and_saveexec_b64 s[0:1], vcc
	s_xor_b64 s[0:1], exec, s[0:1]
; %bb.1610:
                                        ; implicit-def: $vgpr27
; %bb.1611:
	s_or_saveexec_b64 s[0:1], s[0:1]
	s_waitcnt lgkmcnt(0)
	v_pk_add_f32 v[4:5], v[4:5], v[14:15]
	s_xor_b64 exec, exec, s[0:1]
	s_cbranch_execz .LBB269_1613
; %bb.1612:
	s_ashr_i32 s17, s16, 31
	s_lshl_b64 s[2:3], s[16:17], 2
	s_getpc_b64 s[4:5]
	s_add_u32 s4, s4, llvm.amdgcn.dynlds.offset.table@rel32@lo+4
	s_addc_u32 s5, s5, llvm.amdgcn.dynlds.offset.table@rel32@hi+12
	s_add_u32 s2, s2, s4
	s_addc_u32 s3, s3, s5
	s_load_dword s2, s[2:3], 0x0
	s_waitcnt lgkmcnt(0)
	v_add_u32_e32 v1, s2, v27
	ds_write2_b32 v1, v2, v3 offset1:16
	ds_write2_b32 v1, v12, v13 offset0:32 offset1:48
	ds_write2_b32 v1, v10, v11 offset0:64 offset1:80
	;; [unrolled: 1-line block ×5, first 2 shown]
.LBB269_1613:
	s_or_b64 exec, exec, s[0:1]
	s_waitcnt lgkmcnt(0)
	s_barrier
	scratch_load_dword v1, off, s32 offset:352 ; 4-byte Folded Reload
	s_waitcnt vmcnt(0)
	v_cmp_gt_u32_e32 vcc, 64, v1
	s_and_saveexec_b64 s[0:1], vcc
	s_cbranch_execz .LBB269_1628
; %bb.1614:
	scratch_load_dword v1, off, s32 offset:352 ; 4-byte Folded Reload
	v_cmp_eq_u32_e32 vcc, 0, v48
	s_waitcnt vmcnt(0)
	v_lshrrev_b32_e32 v1, 2, v1
	s_and_saveexec_b64 s[2:3], vcc
	s_cbranch_execnz .LBB269_1631
; %bb.1615:
	s_or_b64 exec, exec, s[2:3]
	s_and_saveexec_b64 s[2:3], vcc
	s_cbranch_execnz .LBB269_1632
.LBB269_1616:
	s_or_b64 exec, exec, s[2:3]
	s_and_saveexec_b64 s[2:3], vcc
	s_cbranch_execnz .LBB269_1633
.LBB269_1617:
	s_or_b64 exec, exec, s[2:3]
	s_and_saveexec_b64 s[2:3], vcc
	s_cbranch_execnz .LBB269_1634
.LBB269_1618:
	s_or_b64 exec, exec, s[2:3]
	s_and_saveexec_b64 s[2:3], vcc
	s_cbranch_execnz .LBB269_1635
.LBB269_1619:
	s_or_b64 exec, exec, s[2:3]
	s_and_saveexec_b64 s[2:3], vcc
	s_cbranch_execnz .LBB269_1636
.LBB269_1620:
	s_or_b64 exec, exec, s[2:3]
	s_and_saveexec_b64 s[2:3], vcc
	s_cbranch_execnz .LBB269_1637
.LBB269_1621:
	s_or_b64 exec, exec, s[2:3]
	s_and_saveexec_b64 s[2:3], vcc
	s_cbranch_execnz .LBB269_1638
.LBB269_1622:
	s_or_b64 exec, exec, s[2:3]
	s_and_saveexec_b64 s[2:3], vcc
	s_cbranch_execnz .LBB269_1639
.LBB269_1623:
	s_or_b64 exec, exec, s[2:3]
	s_and_saveexec_b64 s[2:3], vcc
	s_cbranch_execnz .LBB269_1640
.LBB269_1624:
	s_or_b64 exec, exec, s[2:3]
	s_and_saveexec_b64 s[2:3], vcc
	s_cbranch_execnz .LBB269_1641
.LBB269_1625:
	s_or_b64 exec, exec, s[2:3]
	s_and_saveexec_b64 s[2:3], vcc
	s_cbranch_execz .LBB269_1627
.LBB269_1626:
	s_ashr_i32 s17, s16, 31
	s_lshl_b64 s[4:5], s[16:17], 2
	s_getpc_b64 s[6:7]
	s_add_u32 s6, s6, llvm.amdgcn.dynlds.offset.table@rel32@lo+4
	s_addc_u32 s7, s7, llvm.amdgcn.dynlds.offset.table@rel32@hi+12
	s_add_u32 s4, s4, s6
	s_addc_u32 s5, s5, s7
	s_load_dword s4, s[4:5], 0x0
	s_waitcnt lgkmcnt(0)
	v_lshl_add_u32 v1, v1, 2, s4
	ds_read_b32 v1, v1 offset:704
	s_waitcnt lgkmcnt(0)
	v_add_f32_e32 v5, v1, v5
.LBB269_1627:
	s_or_b64 exec, exec, s[2:3]
.LBB269_1628:
	s_or_b64 exec, exec, s[0:1]
	v_cmp_eq_u32_e32 vcc, 0, v0
	s_barrier
	s_and_saveexec_b64 s[0:1], vcc
	s_cbranch_execz .LBB269_1630
; %bb.1629:
	scratch_load_dwordx2 v[0:1], off, s32 offset:412 ; 8-byte Folded Reload
	scratch_load_dword v14, off, s32 offset:352 ; 4-byte Folded Reload
	v_cmp_ne_u16_e64 s[2:3], s19, 0
	s_cmp_lg_u64 s[2:3], 0
	s_addc_u32 s4, s15, 0
	s_mul_i32 s2, s4, s10
	s_mul_i32 s2, s2, s11
	s_mulk_i32 s2, 0xc0
	s_mul_i32 s4, s18, s4
	s_mul_i32 s6, s14, 0xc0
	s_ashr_i32 s3, s2, 31
	s_ashr_i32 s5, s4, 31
	;; [unrolled: 1-line block ×3, first 2 shown]
	s_lshl_b64 s[2:3], s[2:3], 1
	s_lshl_b64 s[4:5], s[4:5], 1
	;; [unrolled: 1-line block ×3, first 2 shown]
	s_add_u32 s4, s6, s4
	s_addc_u32 s5, s7, s5
	s_add_u32 s2, s4, s2
	s_addc_u32 s3, s5, s3
	v_mov_b32_e32 v15, 0
	;;#ASMSTART
	v_cvt_f16_f32 v2, v2;

	;;#ASMEND
	s_waitcnt vmcnt(1)
	v_lshl_add_u64 v[0:1], s[2:3], 0, v[0:1]
	s_waitcnt vmcnt(0)
	v_lshrrev_b32_e32 v14, 1, v14
	v_lshl_add_u64 v[0:1], v[0:1], 0, v[14:15]
	flat_store_short v[0:1], v2
	;;#ASMSTART
	v_cvt_f16_f32 v2, v3;

	;;#ASMEND
	flat_store_short v[0:1], v2 offset:32
	;;#ASMSTART
	v_cvt_f16_f32 v2, v12;

	;;#ASMEND
	flat_store_short v[0:1], v2 offset:64
	;; [unrolled: 5-line block ×11, first 2 shown]
.LBB269_1630:
	s_or_b64 exec, exec, s[0:1]
	scratch_load_dword a63, off, s32        ; 4-byte Folded Reload
	scratch_load_dword a62, off, s32 offset:4 ; 4-byte Folded Reload
	scratch_load_dword a61, off, s32 offset:8 ; 4-byte Folded Reload
	;; [unrolled: 1-line block ×46, first 2 shown]
	v_readlane_b32 s30, v63, 8
	v_readlane_b32 s31, v63, 9
	v_readlane_b32 s41, v63, 7
	v_readlane_b32 s40, v63, 6
	v_readlane_b32 s39, v63, 5
	v_readlane_b32 s38, v63, 4
	v_readlane_b32 s37, v63, 3
	v_readlane_b32 s36, v63, 2
	v_readlane_b32 s35, v63, 1
	v_readlane_b32 s34, v63, 0
	s_or_saveexec_b64 s[0:1], -1
	scratch_load_dword v63, off, s32 offset:472 ; 4-byte Folded Reload
	s_mov_b64 exec, s[0:1]
	s_waitcnt vmcnt(0) lgkmcnt(0)
	s_setpc_b64 s[30:31]
.LBB269_1631:
	s_ashr_i32 s17, s16, 31
	s_lshl_b64 s[4:5], s[16:17], 2
	s_getpc_b64 s[6:7]
	s_add_u32 s6, s6, llvm.amdgcn.dynlds.offset.table@rel32@lo+4
	s_addc_u32 s7, s7, llvm.amdgcn.dynlds.offset.table@rel32@hi+12
	s_add_u32 s4, s4, s6
	s_addc_u32 s5, s5, s7
	s_load_dword s4, s[4:5], 0x0
	s_waitcnt lgkmcnt(0)
	v_lshl_add_u32 v14, v1, 2, s4
	ds_read_b32 v14, v14
	s_waitcnt lgkmcnt(0)
	v_add_f32_e32 v2, v14, v2
	s_or_b64 exec, exec, s[2:3]
	s_and_saveexec_b64 s[2:3], vcc
	s_cbranch_execz .LBB269_1616
.LBB269_1632:
	s_ashr_i32 s17, s16, 31
	s_lshl_b64 s[4:5], s[16:17], 2
	s_getpc_b64 s[6:7]
	s_add_u32 s6, s6, llvm.amdgcn.dynlds.offset.table@rel32@lo+4
	s_addc_u32 s7, s7, llvm.amdgcn.dynlds.offset.table@rel32@hi+12
	s_add_u32 s4, s4, s6
	s_addc_u32 s5, s5, s7
	s_load_dword s4, s[4:5], 0x0
	s_waitcnt lgkmcnt(0)
	v_lshl_add_u32 v14, v1, 2, s4
	ds_read_b32 v14, v14 offset:64
	s_waitcnt lgkmcnt(0)
	v_add_f32_e32 v3, v14, v3
	s_or_b64 exec, exec, s[2:3]
	s_and_saveexec_b64 s[2:3], vcc
	s_cbranch_execz .LBB269_1617
.LBB269_1633:
	s_ashr_i32 s17, s16, 31
	s_lshl_b64 s[4:5], s[16:17], 2
	s_getpc_b64 s[6:7]
	s_add_u32 s6, s6, llvm.amdgcn.dynlds.offset.table@rel32@lo+4
	s_addc_u32 s7, s7, llvm.amdgcn.dynlds.offset.table@rel32@hi+12
	s_add_u32 s4, s4, s6
	s_addc_u32 s5, s5, s7
	s_load_dword s4, s[4:5], 0x0
	s_waitcnt lgkmcnt(0)
	v_lshl_add_u32 v14, v1, 2, s4
	ds_read_b32 v14, v14 offset:128
	s_waitcnt lgkmcnt(0)
	v_add_f32_e32 v12, v14, v12
	s_or_b64 exec, exec, s[2:3]
	s_and_saveexec_b64 s[2:3], vcc
	s_cbranch_execz .LBB269_1618
.LBB269_1634:
	s_ashr_i32 s17, s16, 31
	s_lshl_b64 s[4:5], s[16:17], 2
	s_getpc_b64 s[6:7]
	s_add_u32 s6, s6, llvm.amdgcn.dynlds.offset.table@rel32@lo+4
	s_addc_u32 s7, s7, llvm.amdgcn.dynlds.offset.table@rel32@hi+12
	s_add_u32 s4, s4, s6
	s_addc_u32 s5, s5, s7
	s_load_dword s4, s[4:5], 0x0
	s_waitcnt lgkmcnt(0)
	v_lshl_add_u32 v14, v1, 2, s4
	ds_read_b32 v14, v14 offset:192
	s_waitcnt lgkmcnt(0)
	v_add_f32_e32 v13, v14, v13
	s_or_b64 exec, exec, s[2:3]
	s_and_saveexec_b64 s[2:3], vcc
	s_cbranch_execz .LBB269_1619
.LBB269_1635:
	s_ashr_i32 s17, s16, 31
	s_lshl_b64 s[4:5], s[16:17], 2
	s_getpc_b64 s[6:7]
	s_add_u32 s6, s6, llvm.amdgcn.dynlds.offset.table@rel32@lo+4
	s_addc_u32 s7, s7, llvm.amdgcn.dynlds.offset.table@rel32@hi+12
	s_add_u32 s4, s4, s6
	s_addc_u32 s5, s5, s7
	s_load_dword s4, s[4:5], 0x0
	s_waitcnt lgkmcnt(0)
	v_lshl_add_u32 v14, v1, 2, s4
	ds_read_b32 v14, v14 offset:256
	s_waitcnt lgkmcnt(0)
	v_add_f32_e32 v10, v14, v10
	s_or_b64 exec, exec, s[2:3]
	s_and_saveexec_b64 s[2:3], vcc
	s_cbranch_execz .LBB269_1620
.LBB269_1636:
	s_ashr_i32 s17, s16, 31
	s_lshl_b64 s[4:5], s[16:17], 2
	s_getpc_b64 s[6:7]
	s_add_u32 s6, s6, llvm.amdgcn.dynlds.offset.table@rel32@lo+4
	s_addc_u32 s7, s7, llvm.amdgcn.dynlds.offset.table@rel32@hi+12
	s_add_u32 s4, s4, s6
	s_addc_u32 s5, s5, s7
	s_load_dword s4, s[4:5], 0x0
	s_waitcnt lgkmcnt(0)
	v_lshl_add_u32 v14, v1, 2, s4
	ds_read_b32 v14, v14 offset:320
	s_waitcnt lgkmcnt(0)
	v_add_f32_e32 v11, v14, v11
	s_or_b64 exec, exec, s[2:3]
	s_and_saveexec_b64 s[2:3], vcc
	s_cbranch_execz .LBB269_1621
.LBB269_1637:
	s_ashr_i32 s17, s16, 31
	s_lshl_b64 s[4:5], s[16:17], 2
	s_getpc_b64 s[6:7]
	s_add_u32 s6, s6, llvm.amdgcn.dynlds.offset.table@rel32@lo+4
	s_addc_u32 s7, s7, llvm.amdgcn.dynlds.offset.table@rel32@hi+12
	s_add_u32 s4, s4, s6
	s_addc_u32 s5, s5, s7
	s_load_dword s4, s[4:5], 0x0
	s_waitcnt lgkmcnt(0)
	v_lshl_add_u32 v14, v1, 2, s4
	ds_read_b32 v14, v14 offset:384
	s_waitcnt lgkmcnt(0)
	v_add_f32_e32 v8, v14, v8
	s_or_b64 exec, exec, s[2:3]
	s_and_saveexec_b64 s[2:3], vcc
	s_cbranch_execz .LBB269_1622
.LBB269_1638:
	s_ashr_i32 s17, s16, 31
	s_lshl_b64 s[4:5], s[16:17], 2
	s_getpc_b64 s[6:7]
	s_add_u32 s6, s6, llvm.amdgcn.dynlds.offset.table@rel32@lo+4
	s_addc_u32 s7, s7, llvm.amdgcn.dynlds.offset.table@rel32@hi+12
	s_add_u32 s4, s4, s6
	s_addc_u32 s5, s5, s7
	s_load_dword s4, s[4:5], 0x0
	s_waitcnt lgkmcnt(0)
	v_lshl_add_u32 v14, v1, 2, s4
	ds_read_b32 v14, v14 offset:448
	s_waitcnt lgkmcnt(0)
	v_add_f32_e32 v9, v14, v9
	s_or_b64 exec, exec, s[2:3]
	s_and_saveexec_b64 s[2:3], vcc
	s_cbranch_execz .LBB269_1623
.LBB269_1639:
	s_ashr_i32 s17, s16, 31
	s_lshl_b64 s[4:5], s[16:17], 2
	s_getpc_b64 s[6:7]
	s_add_u32 s6, s6, llvm.amdgcn.dynlds.offset.table@rel32@lo+4
	s_addc_u32 s7, s7, llvm.amdgcn.dynlds.offset.table@rel32@hi+12
	s_add_u32 s4, s4, s6
	s_addc_u32 s5, s5, s7
	s_load_dword s4, s[4:5], 0x0
	s_waitcnt lgkmcnt(0)
	v_lshl_add_u32 v14, v1, 2, s4
	ds_read_b32 v14, v14 offset:512
	s_waitcnt lgkmcnt(0)
	v_add_f32_e32 v6, v14, v6
	s_or_b64 exec, exec, s[2:3]
	s_and_saveexec_b64 s[2:3], vcc
	s_cbranch_execz .LBB269_1624
.LBB269_1640:
	s_ashr_i32 s17, s16, 31
	s_lshl_b64 s[4:5], s[16:17], 2
	s_getpc_b64 s[6:7]
	s_add_u32 s6, s6, llvm.amdgcn.dynlds.offset.table@rel32@lo+4
	s_addc_u32 s7, s7, llvm.amdgcn.dynlds.offset.table@rel32@hi+12
	s_add_u32 s4, s4, s6
	s_addc_u32 s5, s5, s7
	s_load_dword s4, s[4:5], 0x0
	s_waitcnt lgkmcnt(0)
	v_lshl_add_u32 v14, v1, 2, s4
	ds_read_b32 v14, v14 offset:576
	s_waitcnt lgkmcnt(0)
	v_add_f32_e32 v7, v14, v7
	s_or_b64 exec, exec, s[2:3]
	s_and_saveexec_b64 s[2:3], vcc
	s_cbranch_execz .LBB269_1625
.LBB269_1641:
	s_ashr_i32 s17, s16, 31
	s_lshl_b64 s[4:5], s[16:17], 2
	s_getpc_b64 s[6:7]
	s_add_u32 s6, s6, llvm.amdgcn.dynlds.offset.table@rel32@lo+4
	s_addc_u32 s7, s7, llvm.amdgcn.dynlds.offset.table@rel32@hi+12
	s_add_u32 s4, s4, s6
	s_addc_u32 s5, s5, s7
	s_load_dword s4, s[4:5], 0x0
	s_waitcnt lgkmcnt(0)
	v_lshl_add_u32 v14, v1, 2, s4
	ds_read_b32 v14, v14 offset:640
	s_waitcnt lgkmcnt(0)
	v_add_f32_e32 v4, v14, v4
	s_or_b64 exec, exec, s[2:3]
	s_and_saveexec_b64 s[2:3], vcc
	s_cbranch_execnz .LBB269_1626
	s_branch .LBB269_1627
.Lfunc_end269:
	.size	_ZN4vllm22paged_attention_kernelIthLi192ELi32ELi128ELNS_18Fp8KVCacheDataTypeE1ELb1ELi0EEEvPfS2_PT_PKS3_PKT0_S9_ifPKiSB_iPKfiiiSD_SD_iiiii, .Lfunc_end269-_ZN4vllm22paged_attention_kernelIthLi192ELi32ELi128ELNS_18Fp8KVCacheDataTypeE1ELb1ELi0EEEvPfS2_PT_PKS3_PKT0_S9_ifPKiSB_iPKfiiiSD_SD_iiiii
                                        ; -- End function
	.section	.AMDGPU.csdata,"",@progbits
; Function info:
; codeLenInByte = 66660
; NumSgprs: 48
; NumVgprs: 64
; NumAgprs: 64
; TotalNumVgprs: 128
; ScratchSize: 480
; MemoryBound: 0
	.section	.text._ZN4vllm25paged_attention_v1_kernelIthLi192ELi32ELi128ELNS_18Fp8KVCacheDataTypeE1ELb1EEEvPT_PKS2_PKT0_S8_ifPKiSA_iPKfiiiSC_SC_iiiii,"axG",@progbits,_ZN4vllm25paged_attention_v1_kernelIthLi192ELi32ELi128ELNS_18Fp8KVCacheDataTypeE1ELb1EEEvPT_PKS2_PKT0_S8_ifPKiSA_iPKfiiiSC_SC_iiiii,comdat
	.protected	_ZN4vllm25paged_attention_v1_kernelIthLi192ELi32ELi128ELNS_18Fp8KVCacheDataTypeE1ELb1EEEvPT_PKS2_PKT0_S8_ifPKiSA_iPKfiiiSC_SC_iiiii ; -- Begin function _ZN4vllm25paged_attention_v1_kernelIthLi192ELi32ELi128ELNS_18Fp8KVCacheDataTypeE1ELb1EEEvPT_PKS2_PKT0_S8_ifPKiSA_iPKfiiiSC_SC_iiiii
	.globl	_ZN4vllm25paged_attention_v1_kernelIthLi192ELi32ELi128ELNS_18Fp8KVCacheDataTypeE1ELb1EEEvPT_PKS2_PKT0_S8_ifPKiSA_iPKfiiiSC_SC_iiiii
	.p2align	8
	.type	_ZN4vllm25paged_attention_v1_kernelIthLi192ELi32ELi128ELNS_18Fp8KVCacheDataTypeE1ELb1EEEvPT_PKS2_PKT0_S8_ifPKiSA_iPKfiiiSC_SC_iiiii,@function
_ZN4vllm25paged_attention_v1_kernelIthLi192ELi32ELi128ELNS_18Fp8KVCacheDataTypeE1ELb1EEEvPT_PKS2_PKT0_S8_ifPKiSA_iPKfiiiSC_SC_iiiii: ; @_ZN4vllm25paged_attention_v1_kernelIthLi192ELi32ELi128ELNS_18Fp8KVCacheDataTypeE1ELb1EEEvPT_PKS2_PKT0_S8_ifPKiSA_iPKfiiiSC_SC_iiiii
; %bb.0:
	s_load_dwordx8 s[16:23], s[0:1], 0x0
	s_load_dwordx4 s[36:39], s[0:1], 0x20
	s_load_dwordx2 s[6:7], s[0:1], 0x30
	s_load_dword s5, s[0:1], 0x38
	s_load_dwordx2 s[10:11], s[0:1], 0x40
	s_load_dwordx8 s[24:31], s[0:1], 0x48
	s_waitcnt lgkmcnt(0)
	s_load_dword s27, s[0:1], 0x78
	s_load_dwordx4 s[40:43], s[0:1], 0x68
	s_add_u32 s8, s0, 0x80
	s_addc_u32 s9, s1, 0
	s_mov_b32 s12, s2
	s_mov_b32 s13, s3
	;; [unrolled: 1-line block ×4, first 2 shown]
	v_mov_b32_e32 v31, v0
	v_mov_b32_e32 v0, s16
	v_mov_b32_e32 v1, s17
	v_mov_b32_e32 v2, s18
	v_mov_b32_e32 v3, s19
	v_mov_b32_e32 v4, s20
	v_mov_b32_e32 v5, s21
	v_mov_b32_e32 v6, s22
	v_mov_b32_e32 v7, s23
	v_mov_b32_e32 v8, s36
	v_mov_b32_e32 v9, s37
	v_mov_b32_e32 v10, s38
	v_mov_b32_e32 v11, s39
	v_mov_b32_e32 v12, s6
	v_mov_b32_e32 v13, s7
	v_mov_b32_e32 v14, s5
	v_mov_b32_e32 v15, s10
	v_mov_b32_e32 v16, s11
	v_mov_b32_e32 v17, s24
	v_mov_b32_e32 v18, s25
	v_mov_b32_e32 v19, s26
	v_mov_b32_e32 v20, s28
	v_mov_b32_e32 v21, s29
	v_mov_b32_e32 v22, s30
	v_mov_b32_e32 v23, s31
	s_waitcnt lgkmcnt(0)
	v_mov_b32_e32 v24, s40
	v_mov_b32_e32 v25, s41
	;; [unrolled: 1-line block ×5, first 2 shown]
	s_mov_b32 s32, 0
	s_getpc_b64 s[0:1]
	s_add_u32 s0, s0, _ZN4vllm22paged_attention_kernelIthLi192ELi32ELi128ELNS_18Fp8KVCacheDataTypeE1ELb1ELi0EEEvPfS2_PT_PKS3_PKT0_S9_ifPKiSB_iPKfiiiSD_SD_iiiii@rel32@lo+4
	s_addc_u32 s1, s1, _ZN4vllm22paged_attention_kernelIthLi192ELi32ELi128ELNS_18Fp8KVCacheDataTypeE1ELb1ELi0EEEvPfS2_PT_PKS3_PKT0_S9_ifPKiSB_iPKfiiiSD_SD_iiiii@rel32@hi+12
	s_swappc_b64 s[30:31], s[0:1]
	s_endpgm
	.section	.rodata,"a",@progbits
	.p2align	6, 0x0
	.amdhsa_kernel _ZN4vllm25paged_attention_v1_kernelIthLi192ELi32ELi128ELNS_18Fp8KVCacheDataTypeE1ELb1EEEvPT_PKS2_PKT0_S8_ifPKiSA_iPKfiiiSC_SC_iiiii
		.amdhsa_group_segment_fixed_size 400
		.amdhsa_private_segment_fixed_size 480
		.amdhsa_kernarg_size 384
		.amdhsa_user_sgpr_count 2
		.amdhsa_user_sgpr_dispatch_ptr 0
		.amdhsa_user_sgpr_queue_ptr 0
		.amdhsa_user_sgpr_kernarg_segment_ptr 1
		.amdhsa_user_sgpr_dispatch_id 0
		.amdhsa_user_sgpr_kernarg_preload_length 0
		.amdhsa_user_sgpr_kernarg_preload_offset 0
		.amdhsa_user_sgpr_private_segment_size 0
		.amdhsa_uses_dynamic_stack 0
		.amdhsa_enable_private_segment 1
		.amdhsa_system_sgpr_workgroup_id_x 1
		.amdhsa_system_sgpr_workgroup_id_y 1
		.amdhsa_system_sgpr_workgroup_id_z 1
		.amdhsa_system_sgpr_workgroup_info 0
		.amdhsa_system_vgpr_workitem_id 0
		.amdhsa_next_free_vgpr 128
		.amdhsa_next_free_sgpr 44
		.amdhsa_accum_offset 64
		.amdhsa_reserve_vcc 1
		.amdhsa_float_round_mode_32 0
		.amdhsa_float_round_mode_16_64 0
		.amdhsa_float_denorm_mode_32 3
		.amdhsa_float_denorm_mode_16_64 3
		.amdhsa_dx10_clamp 1
		.amdhsa_ieee_mode 1
		.amdhsa_fp16_overflow 0
		.amdhsa_tg_split 0
		.amdhsa_exception_fp_ieee_invalid_op 0
		.amdhsa_exception_fp_denorm_src 0
		.amdhsa_exception_fp_ieee_div_zero 0
		.amdhsa_exception_fp_ieee_overflow 0
		.amdhsa_exception_fp_ieee_underflow 0
		.amdhsa_exception_fp_ieee_inexact 0
		.amdhsa_exception_int_div_zero 0
	.end_amdhsa_kernel
	.section	.text._ZN4vllm25paged_attention_v1_kernelIthLi192ELi32ELi128ELNS_18Fp8KVCacheDataTypeE1ELb1EEEvPT_PKS2_PKT0_S8_ifPKiSA_iPKfiiiSC_SC_iiiii,"axG",@progbits,_ZN4vllm25paged_attention_v1_kernelIthLi192ELi32ELi128ELNS_18Fp8KVCacheDataTypeE1ELb1EEEvPT_PKS2_PKT0_S8_ifPKiSA_iPKfiiiSC_SC_iiiii,comdat
.Lfunc_end270:
	.size	_ZN4vllm25paged_attention_v1_kernelIthLi192ELi32ELi128ELNS_18Fp8KVCacheDataTypeE1ELb1EEEvPT_PKS2_PKT0_S8_ifPKiSA_iPKfiiiSC_SC_iiiii, .Lfunc_end270-_ZN4vllm25paged_attention_v1_kernelIthLi192ELi32ELi128ELNS_18Fp8KVCacheDataTypeE1ELb1EEEvPT_PKS2_PKT0_S8_ifPKiSA_iPKfiiiSC_SC_iiiii
                                        ; -- End function
	.section	.AMDGPU.csdata,"",@progbits
; Kernel info:
; codeLenInByte = 252
; NumSgprs: 50
; NumVgprs: 64
; NumAgprs: 64
; TotalNumVgprs: 128
; ScratchSize: 480
; MemoryBound: 0
; FloatMode: 240
; IeeeMode: 1
; LDSByteSize: 400 bytes/workgroup (compile time only)
; SGPRBlocks: 6
; VGPRBlocks: 15
; NumSGPRsForWavesPerEU: 50
; NumVGPRsForWavesPerEU: 128
; AccumOffset: 64
; Occupancy: 4
; WaveLimiterHint : 1
; COMPUTE_PGM_RSRC2:SCRATCH_EN: 1
; COMPUTE_PGM_RSRC2:USER_SGPR: 2
; COMPUTE_PGM_RSRC2:TRAP_HANDLER: 0
; COMPUTE_PGM_RSRC2:TGID_X_EN: 1
; COMPUTE_PGM_RSRC2:TGID_Y_EN: 1
; COMPUTE_PGM_RSRC2:TGID_Z_EN: 1
; COMPUTE_PGM_RSRC2:TIDIG_COMP_CNT: 0
; COMPUTE_PGM_RSRC3_GFX90A:ACCUM_OFFSET: 15
; COMPUTE_PGM_RSRC3_GFX90A:TG_SPLIT: 0
	.text
	.p2align	2                               ; -- Begin function _ZN4vllm22paged_attention_kernelIthLi256ELi32ELi128ELNS_18Fp8KVCacheDataTypeE1ELb1ELi0EEEvPfS2_PT_PKS3_PKT0_S9_ifPKiSB_iPKfiiiSD_SD_iiiii
	.type	_ZN4vllm22paged_attention_kernelIthLi256ELi32ELi128ELNS_18Fp8KVCacheDataTypeE1ELb1ELi0EEEvPfS2_PT_PKS3_PKT0_S9_ifPKiSB_iPKfiiiSD_SD_iiiii,@function
_ZN4vllm22paged_attention_kernelIthLi256ELi32ELi128ELNS_18Fp8KVCacheDataTypeE1ELb1ELi0EEEvPfS2_PT_PKS3_PKT0_S9_ifPKiSB_iPKfiiiSD_SD_iiiii: ; @_ZN4vllm22paged_attention_kernelIthLi256ELi32ELi128ELNS_18Fp8KVCacheDataTypeE1ELb1ELi0EEEvPfS2_PT_PKS3_PKT0_S9_ifPKiSB_iPKfiiiSD_SD_iiiii
; %bb.0:
	s_waitcnt vmcnt(0) expcnt(0) lgkmcnt(0)
	s_or_saveexec_b64 s[0:1], -1
	scratch_store_dword off, v63, s32 offset:720 ; 4-byte Folded Spill
	s_mov_b64 exec, s[0:1]
	scratch_store_dword off, v40, s32 offset:184 ; 4-byte Folded Spill
	scratch_store_dword off, v41, s32 offset:180 ; 4-byte Folded Spill
	;; [unrolled: 1-line block ×46, first 2 shown]
	scratch_store_dword off, a63, s32       ; 4-byte Folded Spill
	v_writelane_b32 v63, s34, 0
	v_writelane_b32 v63, s35, 1
	;; [unrolled: 1-line block ×19, first 2 shown]
	s_nop 1
	v_writelane_b32 v63, s31, 19
	s_mov_b32 s10, s13
	s_ashr_i32 s11, s13, 31
	scratch_store_dwordx2 off, v[22:23], s32 offset:188 ; 8-byte Folded Spill
	scratch_store_dwordx2 off, v[20:21], s32 offset:608 ; 8-byte Folded Spill
	;; [unrolled: 1-line block ×4, first 2 shown]
	v_lshl_add_u64 v[0:1], s[10:11], 2, v[12:13]
	flat_load_dword v0, v[0:1]
	v_mov_b32_e32 v37, v7
	scratch_store_dword off, v9, s32 offset:644 ; 4-byte Folded Spill
	v_mov_b32_e32 v36, v6
	v_mov_b32_e32 v33, v16
	;; [unrolled: 1-line block ×5, first 2 shown]
	s_mov_b32 s16, s15
	s_waitcnt vmcnt(0) lgkmcnt(0)
	scratch_store_dwordx2 off, v[0:1], s32 offset:196 ; 8-byte Folded Spill
	v_sub_u32_e32 v0, 0, v8
	v_max_i32_e32 v0, v8, v0
	v_cvt_f32_u32_e32 v1, v0
	s_load_dword s0, s[8:9], 0x10
	s_load_dword s2, s[8:9], 0x0
	v_sub_u32_e32 v7, 0, v0
	v_rcp_iflag_f32_e32 v1, v1
	s_waitcnt lgkmcnt(0)
	s_lshr_b32 s0, s0, 16
	s_cmp_lg_u32 s0, 0
	s_cselect_b64 s[0:1], -1, 0
	v_mul_f32_e32 v1, 0x4f7ffffe, v1
	v_cvt_u32_f32_e32 v1, v1
	s_cmp_lg_u64 s[0:1], 0
	s_addc_u32 s11, s2, 0
	s_abs_i32 s0, s11
	v_mul_lo_u32 v7, v7, v1
	v_mul_hi_u32 v7, v1, v7
	v_add_u32_e32 v1, v1, v7
	v_mul_hi_u32 v1, s0, v1
	v_mul_lo_u32 v7, v1, v0
	v_sub_u32_e32 v7, s0, v7
	v_add_u32_e32 v9, 1, v1
	v_cmp_ge_u32_e32 vcc, v7, v0
	v_xor_b32_e32 v6, s11, v8
	v_ashrrev_i32_e32 v6, 31, v6
	v_cndmask_b32_e32 v1, v1, v9, vcc
	v_sub_u32_e32 v9, v7, v0
	v_cndmask_b32_e32 v7, v7, v9, vcc
	v_add_u32_e32 v9, 1, v1
	v_cmp_ge_u32_e32 vcc, v7, v0
	s_abs_i32 s4, s12
	s_nop 0
	v_cndmask_b32_e32 v0, v1, v9, vcc
	v_xor_b32_e32 v0, v0, v6
	v_sub_u32_e32 v0, v0, v6
	v_sub_u32_e32 v1, 0, v0
	v_max_i32_e32 v1, v0, v1
	v_cvt_f32_u32_e32 v6, v1
	v_sub_u32_e32 v7, 0, v1
	v_cmp_ne_u64_e32 vcc, 0, v[32:33]
	v_rcp_iflag_f32_e32 v6, v6
	s_nop 0
	v_mul_f32_e32 v6, 0x4f7ffffe, v6
	v_cvt_u32_f32_e32 v6, v6
	v_mul_lo_u32 v7, v7, v6
	v_mul_hi_u32 v7, v6, v7
	v_add_u32_e32 v6, v6, v7
	v_mad_u64_u32 v[34:35], s[0:1], s4, v6, 0
	v_mov_b32_e32 v6, 0
	scratch_store_dword off, v6, s32 offset:640 ; 4-byte Folded Spill
	s_and_saveexec_b64 s[0:1], vcc
	s_cbranch_execz .LBB271_2
; %bb.1:
	s_ashr_i32 s13, s12, 31
	v_lshl_add_u64 v[6:7], s[12:13], 2, v[32:33]
	flat_load_dword v6, v[6:7]
	s_waitcnt vmcnt(0) lgkmcnt(0)
	scratch_store_dword off, v6, s32 offset:640 ; 4-byte Folded Spill
.LBB271_2:
	s_or_b64 exec, exec, s[0:1]
	v_and_b32_e32 v7, 0x3ff, v31
	s_ashr_i32 s5, s12, 31
	v_ashrrev_i32_e32 v6, 31, v0
	v_and_b32_e32 v0, 1, v7
	s_lshl_b32 s18, s12, 8
	v_cmp_gt_u32_e64 s[0:1], 64, v7
	v_lshlrev_b32_e32 v16, 3, v7
	scratch_store_dword off, v7, s32 offset:600 ; 4-byte Folded Spill
	s_and_saveexec_b64 s[2:3], s[0:1]
	s_cbranch_execz .LBB271_4
; %bb.3:
	v_mul_lo_u32 v10, s10, v17
	v_ashrrev_i32_e32 v11, 31, v10
	v_lshl_add_u64 v[2:3], v[10:11], 1, v[2:3]
	s_ashr_i32 s19, s18, 31
	v_lshl_add_u64 v[2:3], s[18:19], 1, v[2:3]
	v_mov_b32_e32 v17, 0
	v_lshl_add_u64 v[2:3], v[2:3], 0, v[16:17]
	flat_load_dwordx2 v[2:3], v[2:3]
	s_nop 0
	scratch_load_dword v7, off, s32 offset:600 ; 4-byte Folded Reload
	s_waitcnt vmcnt(0)
	v_lshlrev_b32_e32 v7, 2, v7
	v_and_b32_e32 v7, 0xff8, v7
	v_lshl_add_u32 v7, v0, 8, v7
	s_waitcnt lgkmcnt(0)
	ds_write_b64 v7, v[2:3]
.LBB271_4:
	s_or_b64 exec, exec, s[2:3]
	v_mul_lo_u32 v3, v35, v1
	v_sub_u32_e32 v3, s4, v3
	v_xor_b32_e32 v2, s5, v6
	v_add_u32_e32 v6, 1, v35
	v_cmp_ge_u32_e32 vcc, v3, v1
	v_sub_u32_e32 v7, v3, v1
	s_waitcnt lgkmcnt(0)
	v_cndmask_b32_e32 v6, v35, v6, vcc
	v_cndmask_b32_e32 v3, v3, v7, vcc
	v_add_u32_e32 v7, 1, v6
	v_cmp_ge_u32_e32 vcc, v3, v1
	v_sub_u32_e32 v3, 0, v27
	s_barrier
	v_cndmask_b32_e32 v1, v6, v7, vcc
	v_max_i32_e32 v6, v27, v3
	v_cvt_f32_u32_e32 v3, v6
	v_xor_b32_e32 v1, v1, v2
	v_sub_u32_e32 v18, v1, v2
	v_rcp_iflag_f32_e32 v1, v3
	scratch_load_dwordx2 v[2:3], off, s32 offset:196 ; 8-byte Folded Reload
	v_cmp_gt_i32_e32 vcc, 0, v28
	scratch_store_dword off, v6, s32 offset:228 ; 4-byte Folded Spill
	v_mul_f32_e32 v1, 0x4f7ffffe, v1
	s_waitcnt vmcnt(1)
	v_cvt_u32_f32_e32 v3, v1
	v_sub_u32_e32 v6, 0, v6
	v_mul_lo_u32 v6, v6, v3
	v_mul_hi_u32 v6, v3, v6
	v_add_u32_e32 v3, v3, v6
	scratch_store_dword off, v3, s32 offset:244 ; 4-byte Folded Spill
                                        ; implicit-def: $vgpr6
	scratch_store_dwordx2 off, v[6:7], s32 offset:236 ; 8-byte Folded Spill
	v_add_u32_e32 v2, -1, v2
	v_sub_u32_e32 v1, 0, v2
	v_max_i32_e32 v1, v2, v1
	v_mad_u64_u32 v[30:31], s[2:3], v1, v3, 0
	s_and_saveexec_b64 s[2:3], vcc
	s_xor_b64 s[2:3], exec, s[2:3]
	s_cbranch_execz .LBB271_6
; %bb.5:
	v_mad_u64_u32 v[6:7], s[4:5], v24, v8, v[18:19]
	v_mul_lo_u32 v3, v6, v28
	v_sub_u32_e32 v6, 1, v3
	scratch_store_dwordx2 off, v[6:7], s32 offset:236 ; 8-byte Folded Spill
                                        ; implicit-def: $vgpr24
                                        ; implicit-def: $vgpr28
.LBB271_6:
	s_or_saveexec_b64 s[2:3], s[2:3]
	v_ashrrev_i32_e32 v2, 31, v2
	v_ashrrev_i32_e32 v3, 31, v27
	scratch_store_dword off, v3, s32 offset:232 ; 4-byte Folded Spill
	s_xor_b64 exec, exec, s[2:3]
	s_cbranch_execz .LBB271_8
; %bb.7:
	v_mul_lo_u32 v3, s11, v24
	v_add_u32_e32 v3, s12, v3
	v_mad_u64_u32 v[6:7], s[4:5], v3, v28, 1
	scratch_store_dwordx2 off, v[6:7], s32 offset:236 ; 8-byte Folded Spill
.LBB271_8:
	s_or_b64 exec, exec, s[2:3]
	s_load_dword s19, s[8:9], 0x14
	s_load_dword s15, s[8:9], 0x8
	scratch_load_dword v3, off, s32 offset:232 ; 4-byte Folded Reload
	scratch_load_dword v7, off, s32 offset:228 ; 4-byte Folded Reload
	v_mul_lo_u32 v38, s10, v14
	v_mul_lo_u32 v24, v18, v19
	v_ashrrev_i32_e32 v39, 31, v38
	v_sub_u32_e32 v19, 0, v26
	s_waitcnt vmcnt(1)
	v_xor_b32_e32 v2, v2, v3
	s_waitcnt vmcnt(0)
	v_mul_lo_u32 v3, v31, v7
	v_sub_u32_e32 v1, v1, v3
	v_add_u32_e32 v3, 1, v31
	v_cmp_ge_u32_e32 vcc, v1, v7
	v_sub_u32_e32 v6, v1, v7
	s_nop 0
	v_cndmask_b32_e32 v3, v31, v3, vcc
	v_cndmask_b32_e32 v1, v1, v6, vcc
	v_add_u32_e32 v6, 1, v3
	v_cmp_ge_u32_e32 vcc, v1, v7
	s_nop 1
	v_cndmask_b32_e32 v1, v3, v6, vcc
	v_xor_b32_e32 v1, v1, v2
	v_sub_u32_e32 v1, v1, v2
	scratch_load_dwordx2 v[2:3], off, s32 offset:196 ; 8-byte Folded Reload
	v_sub_u32_e32 v1, v1, v25
	scratch_store_dword off, v1, s32 offset:248 ; 4-byte Folded Spill
	v_ashrrev_i32_e32 v25, 31, v24
	s_waitcnt vmcnt(1)
	v_add_u32_e32 v2, 31, v2
	v_ashrrev_i32_e32 v3, 31, v2
	v_lshrrev_b32_e32 v3, 27, v3
	v_add_u32_e32 v2, v2, v3
	v_ashrrev_i32_e32 v3, 5, v2
	scratch_load_dword v2, off, s32 offset:600 ; 4-byte Folded Reload
	s_waitcnt vmcnt(0)
	v_lshrrev_b32_e32 v6, 6, v2
	scratch_store_dword off, v3, s32 offset:224 ; 4-byte Folded Spill
	v_cmp_lt_i32_e64 s[2:3], v6, v3
	v_mov_b32_e32 v3, 0xff7fffff
	v_lshlrev_b32_e32 v1, 5, v6
	v_lshrrev_b32_e32 v18, 4, v2
	scratch_store_dword off, v6, s32 offset:208 ; 4-byte Folded Spill
	scratch_store_dword off, v1, s32 offset:656 ; 4-byte Folded Spill
	s_and_saveexec_b64 s[12:13], s[2:3]
	s_cbranch_execz .LBB271_1042
; %bb.9:
	scratch_store_dwordx2 off, v[16:17], s32 offset:692 ; 8-byte Folded Spill
	scratch_store_dwordx2 off, v[36:37], s32 offset:700 ; 8-byte Folded Spill
	scratch_load_dword v1, off, s32 offset:600 ; 4-byte Folded Reload
	v_max_i32_e32 v7, v26, v19
	v_lshl_add_u64 v[2:3], v[4:5], 0, v[24:25]
	v_mov_b32_e32 v5, 0
	v_cmp_eq_u32_e64 s[4:5], 0, v0
	scratch_store_dword off, v26, s32 offset:708 ; 4-byte Folded Spill
	scratch_store_dword off, v19, s32 offset:668 ; 4-byte Folded Spill
	scratch_store_dwordx2 off, v[24:25], s32 offset:672 ; 8-byte Folded Spill
	s_ashr_i32 s17, s16, 31
	s_lshl_b64 s[8:9], s[16:17], 2
	s_getpc_b64 s[20:21]
	s_add_u32 s20, s20, llvm.amdgcn.dynlds.offset.table@rel32@lo+4
	s_addc_u32 s21, s21, llvm.amdgcn.dynlds.offset.table@rel32@hi+12
	s_add_u32 s20, s8, s20
	s_addc_u32 s21, s9, s21
	s_mov_b64 s[22:23], 0
	s_movk_i32 s17, 0x7f
	s_movk_i32 s48, 0x80
	s_mov_b32 s49, 0x8000
	s_mov_b64 s[24:25], 0x1000
	s_mov_b64 s[26:27], 0x1200
	;; [unrolled: 1-line block ×8, first 2 shown]
	v_mov_b32_e32 v54, 0x1c00
	s_waitcnt vmcnt(3)
	v_bfe_u32 v6, v1, 1, 5
	v_cvt_f32_u32_e32 v1, v7
	v_lshlrev_b32_e32 v4, 4, v6
	v_lshl_add_u64 v[2:3], v[2:3], 0, v[4:5]
	scratch_store_dwordx2 off, v[2:3], s32 offset:624 ; 8-byte Folded Spill
	v_rcp_iflag_f32_e32 v1, v1
	v_lshlrev_b32_e32 v2, 2, v0
	v_lshlrev_b32_e32 v0, 8, v0
	scratch_store_dword off, v0, s32 offset:616 ; 4-byte Folded Spill
	v_mul_f32_e32 v0, 0x4f7ffffe, v1
	scratch_load_dword v1, off, s32 offset:640 ; 4-byte Folded Reload
	v_cvt_u32_f32_e32 v0, v0
	v_mov_b32_e32 v3, v5
	scratch_store_dwordx2 off, v[2:3], s32 offset:632 ; 8-byte Folded Spill
	scratch_store_dword off, v7, s32 offset:508 ; 4-byte Folded Spill
	scratch_load_dword v2, off, s32 offset:208 ; 4-byte Folded Reload
	v_and_b32_e32 v4, 60, v18
	s_waitcnt vmcnt(3)
	v_cmp_neq_f32_e64 s[6:7], 0, v1
	v_sub_u32_e32 v1, 0, v7
	v_mul_lo_u32 v1, v1, v0
	v_mul_hi_u32 v1, v0, v1
	v_add_u32_e32 v0, v0, v1
	scratch_store_dwordx2 off, v[0:1], s32 offset:512 ; 8-byte Folded Spill
	scratch_load_dwordx2 v[0:1], off, s32 offset:196 ; 8-byte Folded Reload
	s_waitcnt vmcnt(2)
	v_lshlrev_b32_e32 v3, 5, v2
	s_waitcnt vmcnt(0)
	v_sub_u32_e32 v0, v6, v0
	v_add_u32_e32 v0, 1, v0
	scratch_store_dword off, v0, s32 offset:648 ; 4-byte Folded Spill
	scratch_store_dword off, v6, s32 offset:652 ; 4-byte Folded Spill
	v_lshlrev_b32_e32 v0, 2, v6
	v_lshl_or_b32 v0, v2, 7, v0
	scratch_store_dword off, v0, s32 offset:204 ; 4-byte Folded Spill
	scratch_store_dword off, v18, s32 offset:680 ; 4-byte Folded Spill
	v_lshl_add_u64 v[0:1], v[38:39], 2, v[4:5]
	v_lshl_add_u64 v[0:1], v[22:23], 0, v[0:1]
	scratch_store_dwordx2 off, v[0:1], s32 offset:212 ; 8-byte Folded Spill
	v_mbcnt_lo_u32_b32 v0, -1, 0
	v_mbcnt_hi_u32_b32 v0, -1, v0
	v_mov_b32_e32 v1, v3
	scratch_store_dword off, v0, s32 offset:620 ; 4-byte Folded Spill
	v_mov_b32_e32 v0, 0xff7fffff
	v_mov_b32_e32 v4, v2
	scratch_store_dwordx2 off, v[38:39], s32 offset:684 ; 8-byte Folded Spill
	scratch_store_dwordx2 off, v[22:23], s32 offset:712 ; 8-byte Folded Spill
	scratch_store_dword off, v0, s32 offset:604 ; 4-byte Folded Spill
	s_branch .LBB271_12
.LBB271_10:                             ;   in Loop: Header=BB271_12 Depth=1
	s_or_b64 exec, exec, s[42:43]
.LBB271_11:                             ;   in Loop: Header=BB271_12 Depth=1
	s_or_b64 exec, exec, s[8:9]
	s_waitcnt lgkmcnt(0)
	scratch_load_dword v1, off, s32 offset:220 ; 4-byte Folded Reload
	scratch_load_dword v4, off, s32 offset:252 ; 4-byte Folded Reload
	;; [unrolled: 1-line block ×3, first 2 shown]
	scratch_load_dwordx2 v[2:3], off, s32 offset:212 ; 8-byte Folded Reload
	s_waitcnt vmcnt(3)
	v_add_u32_e32 v1, 64, v1
	s_waitcnt vmcnt(2)
	v_add_u32_e32 v4, 2, v4
	;; [unrolled: 2-line block ×3, first 2 shown]
	scratch_store_dword off, v0, s32 offset:204 ; 4-byte Folded Spill
	scratch_load_dword v0, off, s32 offset:224 ; 4-byte Folded Reload
	s_waitcnt vmcnt(2)
	v_lshl_add_u64 v[2:3], v[2:3], 0, 8
	scratch_store_dwordx2 off, v[2:3], s32 offset:212 ; 8-byte Folded Spill
	s_waitcnt vmcnt(1)
	v_cmp_ge_i32_e32 vcc, v4, v0
	s_or_b64 s[22:23], vcc, s[22:23]
	s_andn2_b64 exec, exec, s[22:23]
	s_cbranch_execz .LBB271_1041
.LBB271_12:                             ; =>This Inner Loop Header: Depth=1
	scratch_load_dword v0, off, s32 offset:244 ; 4-byte Folded Reload
	scratch_load_dwordx2 v[6:7], off, s32 offset:512 ; 8-byte Folded Reload
	scratch_load_dword v3, off, s32 offset:228 ; 4-byte Folded Reload
	v_mov_b32_e32 v2, v1
	scratch_store_dword off, v2, s32 offset:220 ; 4-byte Folded Spill
	scratch_store_dword off, v4, s32 offset:252 ; 4-byte Folded Spill
	scratch_load_dword v4, off, s32 offset:508 ; 4-byte Folded Reload
	s_waitcnt vmcnt(5)
	v_mul_hi_u32 v0, v1, v0
	s_waitcnt vmcnt(3)
	v_mul_lo_u32 v1, v0, v3
	v_sub_u32_e32 v1, v2, v1
	v_add_u32_e32 v2, 1, v0
	v_cmp_ge_u32_e32 vcc, v1, v3
	s_nop 1
	v_cndmask_b32_e32 v0, v0, v2, vcc
	v_sub_u32_e32 v2, v1, v3
	v_cndmask_b32_e32 v1, v1, v2, vcc
	v_cmp_ge_u32_e32 vcc, v1, v3
	scratch_load_dword v1, off, s32 offset:232 ; 4-byte Folded Reload
	v_add_u32_e32 v2, 1, v0
	v_cndmask_b32_e32 v0, v0, v2, vcc
	scratch_load_dwordx2 v[2:3], off, s32 offset:236 ; 8-byte Folded Reload
	s_waitcnt vmcnt(1)
	v_xor_b32_e32 v0, v0, v1
	v_sub_u32_e32 v0, v0, v1
	s_waitcnt vmcnt(0)
	v_add_u32_e32 v1, v0, v2
	v_sub_u32_e32 v3, 0, v1
	v_ashrrev_i32_e32 v2, 31, v1
	v_max_i32_e32 v1, v1, v3
	v_mul_hi_u32 v3, v1, v6
	v_mul_lo_u32 v3, v3, v4
	v_sub_u32_e32 v1, v1, v3
	v_sub_u32_e32 v3, v1, v4
	v_cmp_ge_u32_e32 vcc, v1, v4
	s_nop 1
	v_cndmask_b32_e32 v1, v1, v3, vcc
	v_sub_u32_e32 v3, v1, v4
	v_cmp_ge_u32_e32 vcc, v1, v4
	s_nop 1
	v_cndmask_b32_e32 v1, v1, v3, vcc
	v_xor_b32_e32 v1, v1, v2
	v_sub_u32_e32 v1, v1, v2
	v_cmp_ne_u32_e32 vcc, 0, v1
	scratch_load_dword v1, off, s32 offset:248 ; 4-byte Folded Reload
	s_waitcnt vmcnt(0)
	v_cmp_le_i32_e64 s[8:9], v0, v1
	s_and_b64 s[8:9], vcc, s[8:9]
	s_and_b64 s[42:43], s[4:5], s[8:9]
	s_and_saveexec_b64 vcc, s[42:43]
	s_cbranch_execz .LBB271_14
; %bb.13:                               ;   in Loop: Header=BB271_12 Depth=1
	scratch_load_dword v0, off, s32 offset:204 ; 4-byte Folded Reload
	s_load_dword s42, s[20:21], 0x0
	v_mov_b32_e32 v1, 0xff7fffff
	s_waitcnt vmcnt(0) lgkmcnt(0)
	v_add_u32_e32 v0, s42, v0
	ds_write_b32 v0, v1
.LBB271_14:                             ;   in Loop: Header=BB271_12 Depth=1
	s_or_b64 exec, exec, vcc
	s_xor_b64 vcc, s[8:9], -1
	s_and_saveexec_b64 s[8:9], vcc
	s_cbranch_execz .LBB271_11
; %bb.15:                               ;   in Loop: Header=BB271_12 Depth=1
	scratch_load_dwordx2 v[0:1], off, s32 offset:212 ; 8-byte Folded Reload
                                        ; implicit-def: $sgpr46
	s_waitcnt vmcnt(0)
	flat_load_dword v0, v[0:1]
	s_nop 0
	scratch_load_dwordx2 v[6:7], off, s32 offset:624 ; 8-byte Folded Reload
	scratch_load_dwordx2 v[2:3], off, s32 offset:500 ; 8-byte Folded Reload
	s_waitcnt vmcnt(0) lgkmcnt(0)
	v_mad_i64_i32 v[0:1], vcc, v0, v2, v[6:7]
	scratch_load_dwordx2 v[2:3], off, s32 offset:632 ; 8-byte Folded Reload
	s_mov_b64 vcc, 0
	s_waitcnt vmcnt(0)
	v_lshl_add_u64 v[34:35], v[0:1], 0, v[2:3]
	flat_load_dword v18, v[34:35]
	scratch_load_dwordx2 v[0:1], off, s32 offset:608 ; 8-byte Folded Reload
	s_waitcnt vmcnt(0) lgkmcnt(0)
	v_cmp_gt_i16_sdwa s[42:43], v18, s17 src0_sel:BYTE_0 src1_sel:DWORD
	flat_load_dword v19, v[0:1]
	s_and_saveexec_b64 s[44:45], s[42:43]
	s_xor_b64 s[42:43], exec, s[44:45]
	s_cbranch_execnz .LBB271_777
; %bb.16:                               ;   in Loop: Header=BB271_12 Depth=1
	s_or_saveexec_b64 s[42:43], s[42:43]
	v_mov_b32_e32 v0, s46
	s_xor_b64 exec, exec, s[42:43]
	s_cbranch_execnz .LBB271_780
.LBB271_17:                             ;   in Loop: Header=BB271_12 Depth=1
	s_or_b64 exec, exec, s[42:43]
	s_and_saveexec_b64 s[42:43], vcc
	s_cbranch_execz .LBB271_19
.LBB271_18:                             ;   in Loop: Header=BB271_12 Depth=1
	v_and_b32_e32 v2, 7, v18
	v_ffbh_u32_e32 v0, v2
	v_min_u32_e32 v4, 32, v0
	v_subrev_u32_e32 v0, 28, v4
	v_bfe_u32 v3, v18, 3, 4
	s_waitcnt vmcnt(0) lgkmcnt(0)
	v_lshlrev_b64 v[0:1], v0, v[18:19]
	v_sub_u32_e32 v1, 29, v4
	v_cmp_eq_u32_e32 vcc, 0, v3
	v_and_b32_e32 v0, 7, v0
	s_nop 0
	v_cndmask_b32_e32 v1, v3, v1, vcc
	v_cndmask_b32_e32 v0, v2, v0, vcc
	v_lshlrev_b32_e32 v2, 8, v18
	v_lshl_add_u32 v1, v1, 10, v54
	v_and_or_b32 v1, v2, s49, v1
	v_lshl_or_b32 v0, v0, 7, v1
	v_cvt_f32_f16_e32 v0, v0
.LBB271_19:                             ;   in Loop: Header=BB271_12 Depth=1
	s_or_b64 exec, exec, s[42:43]
	v_lshrrev_b16_e32 v4, 8, v18
	v_cmp_lt_i16_e32 vcc, s17, v4
	s_mov_b64 s[42:43], 0
	scratch_store_dword off, v0, s32 offset:520 ; 4-byte Folded Spill
                                        ; implicit-def: $sgpr50
	s_and_saveexec_b64 s[44:45], vcc
	s_xor_b64 s[44:45], exec, s[44:45]
	s_cbranch_execz .LBB271_23
; %bb.20:                               ;   in Loop: Header=BB271_12 Depth=1
	v_cmp_eq_u16_e32 vcc, s48, v4
	s_mov_b64 s[42:43], -1
                                        ; implicit-def: $sgpr50
	s_and_saveexec_b64 s[46:47], vcc
; %bb.21:                               ;   in Loop: Header=BB271_12 Depth=1
	s_mov_b32 s50, 0x7fc02000
	s_xor_b64 s[42:43], exec, -1
; %bb.22:                               ;   in Loop: Header=BB271_12 Depth=1
	s_or_b64 exec, exec, s[46:47]
	s_and_b64 s[42:43], s[42:43], exec
.LBB271_23:                             ;   in Loop: Header=BB271_12 Depth=1
	s_or_saveexec_b64 s[44:45], s[44:45]
	v_mov_b32_e32 v0, s50
	scratch_store_dword off, v0, s32 offset:256 ; 4-byte Folded Spill
	s_xor_b64 exec, exec, s[44:45]
	s_cbranch_execz .LBB271_25
; %bb.24:                               ;   in Loop: Header=BB271_12 Depth=1
	v_cmp_ne_u16_e32 vcc, 0, v4
	s_andn2_b64 s[42:43], s[42:43], exec
	s_and_b64 vcc, vcc, exec
	v_mov_b32_e32 v0, 0
	s_or_b64 s[42:43], s[42:43], vcc
	scratch_store_dword off, v0, s32 offset:256 ; 4-byte Folded Spill
.LBB271_25:                             ;   in Loop: Header=BB271_12 Depth=1
	s_or_b64 exec, exec, s[44:45]
	s_and_saveexec_b64 s[44:45], s[42:43]
	s_cbranch_execz .LBB271_27
; %bb.26:                               ;   in Loop: Header=BB271_12 Depth=1
	v_and_b32_e32 v2, 7, v4
	v_ffbh_u32_e32 v0, v2
	v_min_u32_e32 v6, 32, v0
	v_subrev_u32_e32 v0, 28, v6
	v_bfe_u32 v3, v4, 3, 4
	v_lshlrev_b64 v[0:1], v0, v[4:5]
	v_sub_u32_e32 v1, 29, v6
	v_cmp_eq_u32_e32 vcc, 0, v3
	v_and_b32_e32 v0, 7, v0
	s_nop 0
	v_cndmask_b32_e32 v1, v3, v1, vcc
	v_cndmask_b32_e32 v0, v2, v0, vcc
	v_lshlrev_b32_e32 v2, 8, v4
	v_lshl_add_u32 v1, v1, 10, v54
	v_and_or_b32 v1, v2, s49, v1
	v_lshl_or_b32 v0, v0, 7, v1
	v_cvt_f32_f16_e32 v0, v0
	scratch_store_dword off, v0, s32 offset:256 ; 4-byte Folded Spill
.LBB271_27:                             ;   in Loop: Header=BB271_12 Depth=1
	s_or_b64 exec, exec, s[44:45]
	v_lshrrev_b32_e32 v4, 16, v18
	v_cmp_gt_i16_sdwa s[42:43], v4, s17 src0_sel:BYTE_0 src1_sel:DWORD
	s_mov_b64 vcc, 0
                                        ; implicit-def: $sgpr46
	s_and_saveexec_b64 s[44:45], s[42:43]
	s_xor_b64 s[42:43], exec, s[44:45]
	s_cbranch_execnz .LBB271_781
; %bb.28:                               ;   in Loop: Header=BB271_12 Depth=1
	s_or_saveexec_b64 s[42:43], s[42:43]
	v_mov_b32_e32 v58, s46
	s_xor_b64 exec, exec, s[42:43]
	s_cbranch_execnz .LBB271_784
.LBB271_29:                             ;   in Loop: Header=BB271_12 Depth=1
	s_or_b64 exec, exec, s[42:43]
	s_and_saveexec_b64 s[42:43], vcc
	s_cbranch_execz .LBB271_31
.LBB271_30:                             ;   in Loop: Header=BB271_12 Depth=1
	v_bfe_u32 v2, v18, 16, 3
	v_ffbh_u32_e32 v0, v2
	v_min_u32_e32 v6, 32, v0
	v_subrev_u32_e32 v0, 28, v6
	v_bfe_u32 v3, v18, 19, 4
	v_lshlrev_b64 v[0:1], v0, v[4:5]
	v_sub_u32_e32 v1, 29, v6
	v_cmp_eq_u32_e32 vcc, 0, v3
	v_and_b32_e32 v0, 7, v0
	s_nop 0
	v_cndmask_b32_e32 v1, v3, v1, vcc
	v_cndmask_b32_e32 v0, v2, v0, vcc
	v_lshlrev_b32_e32 v2, 8, v4
	v_lshl_add_u32 v1, v1, 10, v54
	v_and_or_b32 v1, v2, s49, v1
	v_lshl_or_b32 v0, v0, 7, v1
	v_cvt_f32_f16_e32 v58, v0
.LBB271_31:                             ;   in Loop: Header=BB271_12 Depth=1
	s_or_b64 exec, exec, s[42:43]
	v_lshrrev_b32_e32 v4, 24, v18
	v_cmp_lt_i16_e32 vcc, s17, v4
	s_mov_b64 s[42:43], 0
                                        ; implicit-def: $sgpr50
	s_and_saveexec_b64 s[44:45], vcc
	s_xor_b64 s[44:45], exec, s[44:45]
	s_cbranch_execz .LBB271_35
; %bb.32:                               ;   in Loop: Header=BB271_12 Depth=1
	v_cmp_eq_u16_e32 vcc, s48, v4
	s_mov_b64 s[42:43], -1
                                        ; implicit-def: $sgpr50
	s_and_saveexec_b64 s[46:47], vcc
; %bb.33:                               ;   in Loop: Header=BB271_12 Depth=1
	s_mov_b32 s50, 0x7fc02000
	s_xor_b64 s[42:43], exec, -1
; %bb.34:                               ;   in Loop: Header=BB271_12 Depth=1
	s_or_b64 exec, exec, s[46:47]
	s_and_b64 s[42:43], s[42:43], exec
.LBB271_35:                             ;   in Loop: Header=BB271_12 Depth=1
	s_or_saveexec_b64 s[44:45], s[44:45]
	v_mov_b32_e32 v0, s50
	scratch_store_dword off, v0, s32 offset:272 ; 4-byte Folded Spill
	s_xor_b64 exec, exec, s[44:45]
	s_cbranch_execz .LBB271_37
; %bb.36:                               ;   in Loop: Header=BB271_12 Depth=1
	v_cmp_ne_u16_e32 vcc, 0, v4
	s_andn2_b64 s[42:43], s[42:43], exec
	s_and_b64 vcc, vcc, exec
	v_mov_b32_e32 v0, 0
	s_or_b64 s[42:43], s[42:43], vcc
	scratch_store_dword off, v0, s32 offset:272 ; 4-byte Folded Spill
.LBB271_37:                             ;   in Loop: Header=BB271_12 Depth=1
	s_or_b64 exec, exec, s[44:45]
	s_and_saveexec_b64 s[44:45], s[42:43]
	s_cbranch_execz .LBB271_39
; %bb.38:                               ;   in Loop: Header=BB271_12 Depth=1
	v_bfe_u32 v2, v18, 24, 3
	v_ffbh_u32_e32 v0, v2
	v_min_u32_e32 v6, 32, v0
	v_subrev_u32_e32 v0, 28, v6
	v_bfe_u32 v3, v18, 27, 4
	v_lshlrev_b64 v[0:1], v0, v[4:5]
	v_sub_u32_e32 v1, 29, v6
	v_cmp_eq_u32_e32 vcc, 0, v3
	v_and_b32_e32 v0, 7, v0
	s_nop 0
	v_cndmask_b32_e32 v1, v3, v1, vcc
	v_cndmask_b32_e32 v0, v2, v0, vcc
	v_lshlrev_b32_e32 v2, 8, v4
	v_lshl_add_u32 v1, v1, 10, v54
	v_and_or_b32 v1, v2, s49, v1
	v_lshl_or_b32 v0, v0, 7, v1
	v_cvt_f32_f16_e32 v0, v0
	scratch_store_dword off, v0, s32 offset:272 ; 4-byte Folded Spill
.LBB271_39:                             ;   in Loop: Header=BB271_12 Depth=1
	s_or_b64 exec, exec, s[44:45]
	flat_load_dword v18, v[34:35] offset:8
	s_mov_b64 vcc, 0
                                        ; implicit-def: $sgpr46
	s_waitcnt vmcnt(0) lgkmcnt(0)
	v_cmp_gt_i16_sdwa s[42:43], v18, s17 src0_sel:BYTE_0 src1_sel:DWORD
	s_and_saveexec_b64 s[44:45], s[42:43]
	s_xor_b64 s[42:43], exec, s[44:45]
	s_cbranch_execnz .LBB271_785
; %bb.40:                               ;   in Loop: Header=BB271_12 Depth=1
	s_or_saveexec_b64 s[42:43], s[42:43]
	v_mov_b32_e32 v0, s46
	s_xor_b64 exec, exec, s[42:43]
	s_cbranch_execnz .LBB271_788
.LBB271_41:                             ;   in Loop: Header=BB271_12 Depth=1
	s_or_b64 exec, exec, s[42:43]
	s_and_saveexec_b64 s[42:43], vcc
	s_cbranch_execz .LBB271_43
.LBB271_42:                             ;   in Loop: Header=BB271_12 Depth=1
	v_and_b32_e32 v2, 7, v18
	v_ffbh_u32_e32 v0, v2
	v_min_u32_e32 v4, 32, v0
	v_subrev_u32_e32 v0, 28, v4
	v_bfe_u32 v3, v18, 3, 4
	v_lshlrev_b64 v[0:1], v0, v[18:19]
	v_sub_u32_e32 v1, 29, v4
	v_cmp_eq_u32_e32 vcc, 0, v3
	v_and_b32_e32 v0, 7, v0
	s_nop 0
	v_cndmask_b32_e32 v1, v3, v1, vcc
	v_cndmask_b32_e32 v0, v2, v0, vcc
	v_lshlrev_b32_e32 v2, 8, v18
	v_lshl_add_u32 v1, v1, 10, v54
	v_and_or_b32 v1, v2, s49, v1
	v_lshl_or_b32 v0, v0, 7, v1
	v_cvt_f32_f16_e32 v0, v0
.LBB271_43:                             ;   in Loop: Header=BB271_12 Depth=1
	s_or_b64 exec, exec, s[42:43]
	v_lshrrev_b16_e32 v4, 8, v18
	v_cmp_lt_i16_e32 vcc, s17, v4
	s_mov_b64 s[42:43], 0
	scratch_store_dword off, v0, s32 offset:524 ; 4-byte Folded Spill
                                        ; implicit-def: $sgpr50
	s_and_saveexec_b64 s[44:45], vcc
	s_xor_b64 s[44:45], exec, s[44:45]
	s_cbranch_execz .LBB271_47
; %bb.44:                               ;   in Loop: Header=BB271_12 Depth=1
	v_cmp_eq_u16_e32 vcc, s48, v4
	s_mov_b64 s[42:43], -1
                                        ; implicit-def: $sgpr50
	s_and_saveexec_b64 s[46:47], vcc
; %bb.45:                               ;   in Loop: Header=BB271_12 Depth=1
	s_mov_b32 s50, 0x7fc02000
	s_xor_b64 s[42:43], exec, -1
; %bb.46:                               ;   in Loop: Header=BB271_12 Depth=1
	s_or_b64 exec, exec, s[46:47]
	s_and_b64 s[42:43], s[42:43], exec
.LBB271_47:                             ;   in Loop: Header=BB271_12 Depth=1
	s_or_saveexec_b64 s[44:45], s[44:45]
	v_mov_b32_e32 v0, s50
	scratch_store_dword off, v0, s32 offset:284 ; 4-byte Folded Spill
	s_xor_b64 exec, exec, s[44:45]
	s_cbranch_execz .LBB271_49
; %bb.48:                               ;   in Loop: Header=BB271_12 Depth=1
	v_cmp_ne_u16_e32 vcc, 0, v4
	s_andn2_b64 s[42:43], s[42:43], exec
	s_and_b64 vcc, vcc, exec
	v_mov_b32_e32 v0, 0
	s_or_b64 s[42:43], s[42:43], vcc
	scratch_store_dword off, v0, s32 offset:284 ; 4-byte Folded Spill
.LBB271_49:                             ;   in Loop: Header=BB271_12 Depth=1
	s_or_b64 exec, exec, s[44:45]
	s_and_saveexec_b64 s[44:45], s[42:43]
	s_cbranch_execz .LBB271_51
; %bb.50:                               ;   in Loop: Header=BB271_12 Depth=1
	v_and_b32_e32 v2, 7, v4
	v_ffbh_u32_e32 v0, v2
	v_min_u32_e32 v6, 32, v0
	v_subrev_u32_e32 v0, 28, v6
	v_bfe_u32 v3, v4, 3, 4
	v_lshlrev_b64 v[0:1], v0, v[4:5]
	v_sub_u32_e32 v1, 29, v6
	v_cmp_eq_u32_e32 vcc, 0, v3
	v_and_b32_e32 v0, 7, v0
	s_nop 0
	v_cndmask_b32_e32 v1, v3, v1, vcc
	v_cndmask_b32_e32 v0, v2, v0, vcc
	v_lshlrev_b32_e32 v2, 8, v4
	v_lshl_add_u32 v1, v1, 10, v54
	v_and_or_b32 v1, v2, s49, v1
	v_lshl_or_b32 v0, v0, 7, v1
	v_cvt_f32_f16_e32 v0, v0
	scratch_store_dword off, v0, s32 offset:284 ; 4-byte Folded Spill
.LBB271_51:                             ;   in Loop: Header=BB271_12 Depth=1
	s_or_b64 exec, exec, s[44:45]
	v_lshrrev_b32_e32 v4, 16, v18
	v_cmp_gt_i16_sdwa s[42:43], v4, s17 src0_sel:BYTE_0 src1_sel:DWORD
	s_mov_b64 vcc, 0
                                        ; implicit-def: $sgpr46
	s_and_saveexec_b64 s[44:45], s[42:43]
	s_xor_b64 s[42:43], exec, s[44:45]
	s_cbranch_execz .LBB271_55
; %bb.52:                               ;   in Loop: Header=BB271_12 Depth=1
	v_cmp_eq_u16_sdwa s[50:51], v4, s48 src0_sel:BYTE_0 src1_sel:DWORD
	s_mov_b64 vcc, -1
                                        ; implicit-def: $sgpr46
	s_and_saveexec_b64 s[44:45], s[50:51]
; %bb.53:                               ;   in Loop: Header=BB271_12 Depth=1
	s_mov_b32 s46, 0x7fc02000
	s_xor_b64 vcc, exec, -1
; %bb.54:                               ;   in Loop: Header=BB271_12 Depth=1
	s_or_b64 exec, exec, s[44:45]
	s_and_b64 vcc, vcc, exec
.LBB271_55:                             ;   in Loop: Header=BB271_12 Depth=1
	s_or_saveexec_b64 s[42:43], s[42:43]
	v_mov_b32_e32 v0, s46
	scratch_store_dword off, v0, s32 offset:264 ; 4-byte Folded Spill
	s_xor_b64 exec, exec, s[42:43]
	s_cbranch_execz .LBB271_57
; %bb.56:                               ;   in Loop: Header=BB271_12 Depth=1
	v_cmp_ne_u16_sdwa s[44:45], v4, v5 src0_sel:BYTE_0 src1_sel:DWORD
	s_andn2_b64 vcc, vcc, exec
	s_and_b64 s[44:45], s[44:45], exec
	v_mov_b32_e32 v0, 0
	s_or_b64 vcc, vcc, s[44:45]
	scratch_store_dword off, v0, s32 offset:264 ; 4-byte Folded Spill
.LBB271_57:                             ;   in Loop: Header=BB271_12 Depth=1
	s_or_b64 exec, exec, s[42:43]
	s_and_saveexec_b64 s[42:43], vcc
	s_cbranch_execz .LBB271_59
; %bb.58:                               ;   in Loop: Header=BB271_12 Depth=1
	v_bfe_u32 v2, v18, 16, 3
	v_ffbh_u32_e32 v0, v2
	v_min_u32_e32 v6, 32, v0
	v_subrev_u32_e32 v0, 28, v6
	v_bfe_u32 v3, v18, 19, 4
	v_lshlrev_b64 v[0:1], v0, v[4:5]
	v_sub_u32_e32 v1, 29, v6
	v_cmp_eq_u32_e32 vcc, 0, v3
	v_and_b32_e32 v0, 7, v0
	s_nop 0
	v_cndmask_b32_e32 v1, v3, v1, vcc
	v_cndmask_b32_e32 v0, v2, v0, vcc
	v_lshlrev_b32_e32 v2, 8, v4
	v_lshl_add_u32 v1, v1, 10, v54
	v_and_or_b32 v1, v2, s49, v1
	v_lshl_or_b32 v0, v0, 7, v1
	v_cvt_f32_f16_e32 v0, v0
	scratch_store_dword off, v0, s32 offset:264 ; 4-byte Folded Spill
.LBB271_59:                             ;   in Loop: Header=BB271_12 Depth=1
	s_or_b64 exec, exec, s[42:43]
	v_lshrrev_b32_e32 v4, 24, v18
	v_cmp_lt_i16_e32 vcc, s17, v4
	s_mov_b64 s[42:43], 0
                                        ; implicit-def: $sgpr50
	s_and_saveexec_b64 s[44:45], vcc
	s_xor_b64 s[44:45], exec, s[44:45]
	s_cbranch_execz .LBB271_63
; %bb.60:                               ;   in Loop: Header=BB271_12 Depth=1
	v_cmp_eq_u16_e32 vcc, s48, v4
	s_mov_b64 s[42:43], -1
                                        ; implicit-def: $sgpr50
	s_and_saveexec_b64 s[46:47], vcc
; %bb.61:                               ;   in Loop: Header=BB271_12 Depth=1
	s_mov_b32 s50, 0x7fc02000
	s_xor_b64 s[42:43], exec, -1
; %bb.62:                               ;   in Loop: Header=BB271_12 Depth=1
	s_or_b64 exec, exec, s[46:47]
	s_and_b64 s[42:43], s[42:43], exec
.LBB271_63:                             ;   in Loop: Header=BB271_12 Depth=1
	s_or_saveexec_b64 s[44:45], s[44:45]
	v_mov_b32_e32 v0, s50
	scratch_store_dword off, v0, s32 offset:260 ; 4-byte Folded Spill
	s_xor_b64 exec, exec, s[44:45]
	s_cbranch_execz .LBB271_65
; %bb.64:                               ;   in Loop: Header=BB271_12 Depth=1
	v_cmp_ne_u16_e32 vcc, 0, v4
	s_andn2_b64 s[42:43], s[42:43], exec
	s_and_b64 vcc, vcc, exec
	v_mov_b32_e32 v0, 0
	s_or_b64 s[42:43], s[42:43], vcc
	scratch_store_dword off, v0, s32 offset:260 ; 4-byte Folded Spill
.LBB271_65:                             ;   in Loop: Header=BB271_12 Depth=1
	s_or_b64 exec, exec, s[44:45]
	s_and_saveexec_b64 s[44:45], s[42:43]
	s_cbranch_execz .LBB271_67
; %bb.66:                               ;   in Loop: Header=BB271_12 Depth=1
	v_bfe_u32 v2, v18, 24, 3
	v_ffbh_u32_e32 v0, v2
	v_min_u32_e32 v6, 32, v0
	v_subrev_u32_e32 v0, 28, v6
	v_bfe_u32 v3, v18, 27, 4
	v_lshlrev_b64 v[0:1], v0, v[4:5]
	v_sub_u32_e32 v1, 29, v6
	v_cmp_eq_u32_e32 vcc, 0, v3
	v_and_b32_e32 v0, 7, v0
	s_nop 0
	v_cndmask_b32_e32 v1, v3, v1, vcc
	v_cndmask_b32_e32 v0, v2, v0, vcc
	v_lshlrev_b32_e32 v2, 8, v4
	v_lshl_add_u32 v1, v1, 10, v54
	v_and_or_b32 v1, v2, s49, v1
	v_lshl_or_b32 v0, v0, 7, v1
	v_cvt_f32_f16_e32 v0, v0
	scratch_store_dword off, v0, s32 offset:260 ; 4-byte Folded Spill
.LBB271_67:                             ;   in Loop: Header=BB271_12 Depth=1
	s_or_b64 exec, exec, s[44:45]
	flat_load_dword v18, v[34:35] offset:512
	s_mov_b64 vcc, 0
                                        ; implicit-def: $sgpr46
	s_waitcnt vmcnt(0) lgkmcnt(0)
	v_cmp_gt_i16_sdwa s[42:43], v18, s17 src0_sel:BYTE_0 src1_sel:DWORD
	s_and_saveexec_b64 s[44:45], s[42:43]
	s_xor_b64 s[42:43], exec, s[44:45]
	s_cbranch_execnz .LBB271_789
; %bb.68:                               ;   in Loop: Header=BB271_12 Depth=1
	s_or_saveexec_b64 s[42:43], s[42:43]
	v_mov_b32_e32 v0, s46
	s_xor_b64 exec, exec, s[42:43]
	s_cbranch_execnz .LBB271_792
.LBB271_69:                             ;   in Loop: Header=BB271_12 Depth=1
	s_or_b64 exec, exec, s[42:43]
	s_and_saveexec_b64 s[42:43], vcc
	s_cbranch_execz .LBB271_71
.LBB271_70:                             ;   in Loop: Header=BB271_12 Depth=1
	v_and_b32_e32 v2, 7, v18
	v_ffbh_u32_e32 v0, v2
	v_min_u32_e32 v4, 32, v0
	v_subrev_u32_e32 v0, 28, v4
	v_bfe_u32 v3, v18, 3, 4
	v_lshlrev_b64 v[0:1], v0, v[18:19]
	v_sub_u32_e32 v1, 29, v4
	v_cmp_eq_u32_e32 vcc, 0, v3
	v_and_b32_e32 v0, 7, v0
	s_nop 0
	v_cndmask_b32_e32 v1, v3, v1, vcc
	v_cndmask_b32_e32 v0, v2, v0, vcc
	v_lshlrev_b32_e32 v2, 8, v18
	v_lshl_add_u32 v1, v1, 10, v54
	v_and_or_b32 v1, v2, s49, v1
	v_lshl_or_b32 v0, v0, 7, v1
	v_cvt_f32_f16_e32 v0, v0
.LBB271_71:                             ;   in Loop: Header=BB271_12 Depth=1
	s_or_b64 exec, exec, s[42:43]
	v_lshrrev_b16_e32 v4, 8, v18
	v_cmp_lt_i16_e32 vcc, s17, v4
	s_mov_b64 s[42:43], 0
	scratch_store_dword off, v0, s32 offset:528 ; 4-byte Folded Spill
                                        ; implicit-def: $sgpr50
	s_and_saveexec_b64 s[44:45], vcc
	s_xor_b64 s[44:45], exec, s[44:45]
	s_cbranch_execz .LBB271_75
; %bb.72:                               ;   in Loop: Header=BB271_12 Depth=1
	v_cmp_eq_u16_e32 vcc, s48, v4
	s_mov_b64 s[42:43], -1
                                        ; implicit-def: $sgpr50
	s_and_saveexec_b64 s[46:47], vcc
; %bb.73:                               ;   in Loop: Header=BB271_12 Depth=1
	s_mov_b32 s50, 0x7fc02000
	s_xor_b64 s[42:43], exec, -1
; %bb.74:                               ;   in Loop: Header=BB271_12 Depth=1
	s_or_b64 exec, exec, s[46:47]
	s_and_b64 s[42:43], s[42:43], exec
.LBB271_75:                             ;   in Loop: Header=BB271_12 Depth=1
	s_or_saveexec_b64 s[44:45], s[44:45]
	v_mov_b32_e32 v0, s50
	scratch_store_dword off, v0, s32 offset:276 ; 4-byte Folded Spill
	s_xor_b64 exec, exec, s[44:45]
	s_cbranch_execz .LBB271_77
; %bb.76:                               ;   in Loop: Header=BB271_12 Depth=1
	v_cmp_ne_u16_e32 vcc, 0, v4
	s_andn2_b64 s[42:43], s[42:43], exec
	s_and_b64 vcc, vcc, exec
	v_mov_b32_e32 v0, 0
	s_or_b64 s[42:43], s[42:43], vcc
	scratch_store_dword off, v0, s32 offset:276 ; 4-byte Folded Spill
.LBB271_77:                             ;   in Loop: Header=BB271_12 Depth=1
	s_or_b64 exec, exec, s[44:45]
	s_and_saveexec_b64 s[44:45], s[42:43]
	s_cbranch_execz .LBB271_79
; %bb.78:                               ;   in Loop: Header=BB271_12 Depth=1
	v_and_b32_e32 v2, 7, v4
	v_ffbh_u32_e32 v0, v2
	v_min_u32_e32 v6, 32, v0
	v_subrev_u32_e32 v0, 28, v6
	v_bfe_u32 v3, v4, 3, 4
	v_lshlrev_b64 v[0:1], v0, v[4:5]
	v_sub_u32_e32 v1, 29, v6
	v_cmp_eq_u32_e32 vcc, 0, v3
	v_and_b32_e32 v0, 7, v0
	s_nop 0
	v_cndmask_b32_e32 v1, v3, v1, vcc
	v_cndmask_b32_e32 v0, v2, v0, vcc
	v_lshlrev_b32_e32 v2, 8, v4
	v_lshl_add_u32 v1, v1, 10, v54
	v_and_or_b32 v1, v2, s49, v1
	v_lshl_or_b32 v0, v0, 7, v1
	v_cvt_f32_f16_e32 v0, v0
	scratch_store_dword off, v0, s32 offset:276 ; 4-byte Folded Spill
.LBB271_79:                             ;   in Loop: Header=BB271_12 Depth=1
	s_or_b64 exec, exec, s[44:45]
	v_lshrrev_b32_e32 v4, 16, v18
	v_cmp_gt_i16_sdwa s[42:43], v4, s17 src0_sel:BYTE_0 src1_sel:DWORD
	s_mov_b64 vcc, 0
                                        ; implicit-def: $sgpr46
	s_and_saveexec_b64 s[44:45], s[42:43]
	s_xor_b64 s[42:43], exec, s[44:45]
	s_cbranch_execz .LBB271_83
; %bb.80:                               ;   in Loop: Header=BB271_12 Depth=1
	v_cmp_eq_u16_sdwa s[50:51], v4, s48 src0_sel:BYTE_0 src1_sel:DWORD
	s_mov_b64 vcc, -1
                                        ; implicit-def: $sgpr46
	s_and_saveexec_b64 s[44:45], s[50:51]
; %bb.81:                               ;   in Loop: Header=BB271_12 Depth=1
	s_mov_b32 s46, 0x7fc02000
	s_xor_b64 vcc, exec, -1
; %bb.82:                               ;   in Loop: Header=BB271_12 Depth=1
	s_or_b64 exec, exec, s[44:45]
	s_and_b64 vcc, vcc, exec
.LBB271_83:                             ;   in Loop: Header=BB271_12 Depth=1
	s_or_saveexec_b64 s[42:43], s[42:43]
	v_mov_b32_e32 v0, s46
	scratch_store_dword off, v0, s32 offset:280 ; 4-byte Folded Spill
	s_xor_b64 exec, exec, s[42:43]
	s_cbranch_execz .LBB271_85
; %bb.84:                               ;   in Loop: Header=BB271_12 Depth=1
	v_cmp_ne_u16_sdwa s[44:45], v4, v5 src0_sel:BYTE_0 src1_sel:DWORD
	s_andn2_b64 vcc, vcc, exec
	s_and_b64 s[44:45], s[44:45], exec
	v_mov_b32_e32 v0, 0
	s_or_b64 vcc, vcc, s[44:45]
	scratch_store_dword off, v0, s32 offset:280 ; 4-byte Folded Spill
.LBB271_85:                             ;   in Loop: Header=BB271_12 Depth=1
	s_or_b64 exec, exec, s[42:43]
	s_and_saveexec_b64 s[42:43], vcc
	s_cbranch_execz .LBB271_87
; %bb.86:                               ;   in Loop: Header=BB271_12 Depth=1
	v_bfe_u32 v2, v18, 16, 3
	v_ffbh_u32_e32 v0, v2
	v_min_u32_e32 v6, 32, v0
	v_subrev_u32_e32 v0, 28, v6
	v_bfe_u32 v3, v18, 19, 4
	v_lshlrev_b64 v[0:1], v0, v[4:5]
	v_sub_u32_e32 v1, 29, v6
	v_cmp_eq_u32_e32 vcc, 0, v3
	v_and_b32_e32 v0, 7, v0
	s_nop 0
	v_cndmask_b32_e32 v1, v3, v1, vcc
	v_cndmask_b32_e32 v0, v2, v0, vcc
	v_lshlrev_b32_e32 v2, 8, v4
	v_lshl_add_u32 v1, v1, 10, v54
	v_and_or_b32 v1, v2, s49, v1
	v_lshl_or_b32 v0, v0, 7, v1
	v_cvt_f32_f16_e32 v0, v0
	scratch_store_dword off, v0, s32 offset:280 ; 4-byte Folded Spill
.LBB271_87:                             ;   in Loop: Header=BB271_12 Depth=1
	s_or_b64 exec, exec, s[42:43]
	v_lshrrev_b32_e32 v4, 24, v18
	v_cmp_lt_i16_e32 vcc, s17, v4
	s_mov_b64 s[42:43], 0
                                        ; implicit-def: $sgpr50
	s_and_saveexec_b64 s[44:45], vcc
	s_xor_b64 s[44:45], exec, s[44:45]
	s_cbranch_execz .LBB271_91
; %bb.88:                               ;   in Loop: Header=BB271_12 Depth=1
	v_cmp_eq_u16_e32 vcc, s48, v4
	s_mov_b64 s[42:43], -1
                                        ; implicit-def: $sgpr50
	s_and_saveexec_b64 s[46:47], vcc
; %bb.89:                               ;   in Loop: Header=BB271_12 Depth=1
	s_mov_b32 s50, 0x7fc02000
	s_xor_b64 s[42:43], exec, -1
; %bb.90:                               ;   in Loop: Header=BB271_12 Depth=1
	s_or_b64 exec, exec, s[46:47]
	s_and_b64 s[42:43], s[42:43], exec
.LBB271_91:                             ;   in Loop: Header=BB271_12 Depth=1
	s_or_saveexec_b64 s[44:45], s[44:45]
	v_mov_b32_e32 v0, s50
	scratch_store_dword off, v0, s32 offset:268 ; 4-byte Folded Spill
	s_xor_b64 exec, exec, s[44:45]
	s_cbranch_execz .LBB271_93
; %bb.92:                               ;   in Loop: Header=BB271_12 Depth=1
	v_cmp_ne_u16_e32 vcc, 0, v4
	s_andn2_b64 s[42:43], s[42:43], exec
	s_and_b64 vcc, vcc, exec
	v_mov_b32_e32 v0, 0
	s_or_b64 s[42:43], s[42:43], vcc
	scratch_store_dword off, v0, s32 offset:268 ; 4-byte Folded Spill
.LBB271_93:                             ;   in Loop: Header=BB271_12 Depth=1
	s_or_b64 exec, exec, s[44:45]
	s_and_saveexec_b64 s[44:45], s[42:43]
	s_cbranch_execz .LBB271_95
; %bb.94:                               ;   in Loop: Header=BB271_12 Depth=1
	v_bfe_u32 v2, v18, 24, 3
	v_ffbh_u32_e32 v0, v2
	v_min_u32_e32 v6, 32, v0
	v_subrev_u32_e32 v0, 28, v6
	v_bfe_u32 v3, v18, 27, 4
	v_lshlrev_b64 v[0:1], v0, v[4:5]
	v_sub_u32_e32 v1, 29, v6
	v_cmp_eq_u32_e32 vcc, 0, v3
	v_and_b32_e32 v0, 7, v0
	s_nop 0
	v_cndmask_b32_e32 v1, v3, v1, vcc
	v_cndmask_b32_e32 v0, v2, v0, vcc
	v_lshlrev_b32_e32 v2, 8, v4
	v_lshl_add_u32 v1, v1, 10, v54
	v_and_or_b32 v1, v2, s49, v1
	v_lshl_or_b32 v0, v0, 7, v1
	v_cvt_f32_f16_e32 v0, v0
	scratch_store_dword off, v0, s32 offset:268 ; 4-byte Folded Spill
.LBB271_95:                             ;   in Loop: Header=BB271_12 Depth=1
	s_or_b64 exec, exec, s[44:45]
	flat_load_dword v18, v[34:35] offset:520
	s_mov_b64 vcc, 0
                                        ; implicit-def: $sgpr46
	s_waitcnt vmcnt(0) lgkmcnt(0)
	v_cmp_gt_i16_sdwa s[42:43], v18, s17 src0_sel:BYTE_0 src1_sel:DWORD
	s_and_saveexec_b64 s[44:45], s[42:43]
	s_xor_b64 s[42:43], exec, s[44:45]
	s_cbranch_execnz .LBB271_793
; %bb.96:                               ;   in Loop: Header=BB271_12 Depth=1
	s_or_saveexec_b64 s[42:43], s[42:43]
	v_mov_b32_e32 v0, s46
	s_xor_b64 exec, exec, s[42:43]
	s_cbranch_execnz .LBB271_796
.LBB271_97:                             ;   in Loop: Header=BB271_12 Depth=1
	s_or_b64 exec, exec, s[42:43]
	s_and_saveexec_b64 s[42:43], vcc
	s_cbranch_execz .LBB271_99
.LBB271_98:                             ;   in Loop: Header=BB271_12 Depth=1
	v_and_b32_e32 v2, 7, v18
	v_ffbh_u32_e32 v0, v2
	v_min_u32_e32 v4, 32, v0
	v_subrev_u32_e32 v0, 28, v4
	v_bfe_u32 v3, v18, 3, 4
	v_lshlrev_b64 v[0:1], v0, v[18:19]
	v_sub_u32_e32 v1, 29, v4
	v_cmp_eq_u32_e32 vcc, 0, v3
	v_and_b32_e32 v0, 7, v0
	s_nop 0
	v_cndmask_b32_e32 v1, v3, v1, vcc
	v_cndmask_b32_e32 v0, v2, v0, vcc
	v_lshlrev_b32_e32 v2, 8, v18
	v_lshl_add_u32 v1, v1, 10, v54
	v_and_or_b32 v1, v2, s49, v1
	v_lshl_or_b32 v0, v0, 7, v1
	v_cvt_f32_f16_e32 v0, v0
.LBB271_99:                             ;   in Loop: Header=BB271_12 Depth=1
	s_or_b64 exec, exec, s[42:43]
	v_lshrrev_b16_e32 v4, 8, v18
	v_cmp_lt_i16_e32 vcc, s17, v4
	s_mov_b64 s[42:43], 0
	scratch_store_dword off, v0, s32 offset:532 ; 4-byte Folded Spill
                                        ; implicit-def: $sgpr50
	s_and_saveexec_b64 s[44:45], vcc
	s_xor_b64 s[44:45], exec, s[44:45]
	s_cbranch_execz .LBB271_103
; %bb.100:                              ;   in Loop: Header=BB271_12 Depth=1
	v_cmp_eq_u16_e32 vcc, s48, v4
	s_mov_b64 s[42:43], -1
                                        ; implicit-def: $sgpr50
	s_and_saveexec_b64 s[46:47], vcc
; %bb.101:                              ;   in Loop: Header=BB271_12 Depth=1
	s_mov_b32 s50, 0x7fc02000
	s_xor_b64 s[42:43], exec, -1
; %bb.102:                              ;   in Loop: Header=BB271_12 Depth=1
	s_or_b64 exec, exec, s[46:47]
	s_and_b64 s[42:43], s[42:43], exec
.LBB271_103:                            ;   in Loop: Header=BB271_12 Depth=1
	s_or_saveexec_b64 s[44:45], s[44:45]
	v_mov_b32_e32 v0, s50
	scratch_store_dword off, v0, s32 offset:288 ; 4-byte Folded Spill
	s_xor_b64 exec, exec, s[44:45]
	s_cbranch_execz .LBB271_105
; %bb.104:                              ;   in Loop: Header=BB271_12 Depth=1
	v_cmp_ne_u16_e32 vcc, 0, v4
	s_andn2_b64 s[42:43], s[42:43], exec
	s_and_b64 vcc, vcc, exec
	v_mov_b32_e32 v0, 0
	s_or_b64 s[42:43], s[42:43], vcc
	scratch_store_dword off, v0, s32 offset:288 ; 4-byte Folded Spill
.LBB271_105:                            ;   in Loop: Header=BB271_12 Depth=1
	s_or_b64 exec, exec, s[44:45]
	s_and_saveexec_b64 s[44:45], s[42:43]
	s_cbranch_execz .LBB271_107
; %bb.106:                              ;   in Loop: Header=BB271_12 Depth=1
	v_and_b32_e32 v2, 7, v4
	v_ffbh_u32_e32 v0, v2
	v_min_u32_e32 v6, 32, v0
	v_subrev_u32_e32 v0, 28, v6
	v_bfe_u32 v3, v4, 3, 4
	v_lshlrev_b64 v[0:1], v0, v[4:5]
	v_sub_u32_e32 v1, 29, v6
	v_cmp_eq_u32_e32 vcc, 0, v3
	v_and_b32_e32 v0, 7, v0
	s_nop 0
	v_cndmask_b32_e32 v1, v3, v1, vcc
	v_cndmask_b32_e32 v0, v2, v0, vcc
	v_lshlrev_b32_e32 v2, 8, v4
	v_lshl_add_u32 v1, v1, 10, v54
	v_and_or_b32 v1, v2, s49, v1
	v_lshl_or_b32 v0, v0, 7, v1
	v_cvt_f32_f16_e32 v0, v0
	scratch_store_dword off, v0, s32 offset:288 ; 4-byte Folded Spill
.LBB271_107:                            ;   in Loop: Header=BB271_12 Depth=1
	s_or_b64 exec, exec, s[44:45]
	v_lshrrev_b32_e32 v4, 16, v18
	v_cmp_gt_i16_sdwa s[42:43], v4, s17 src0_sel:BYTE_0 src1_sel:DWORD
	s_mov_b64 vcc, 0
                                        ; implicit-def: $sgpr46
	s_and_saveexec_b64 s[44:45], s[42:43]
	s_xor_b64 s[42:43], exec, s[44:45]
	s_cbranch_execz .LBB271_111
; %bb.108:                              ;   in Loop: Header=BB271_12 Depth=1
	v_cmp_eq_u16_sdwa s[50:51], v4, s48 src0_sel:BYTE_0 src1_sel:DWORD
	s_mov_b64 vcc, -1
                                        ; implicit-def: $sgpr46
	s_and_saveexec_b64 s[44:45], s[50:51]
; %bb.109:                              ;   in Loop: Header=BB271_12 Depth=1
	s_mov_b32 s46, 0x7fc02000
	s_xor_b64 vcc, exec, -1
; %bb.110:                              ;   in Loop: Header=BB271_12 Depth=1
	s_or_b64 exec, exec, s[44:45]
	s_and_b64 vcc, vcc, exec
.LBB271_111:                            ;   in Loop: Header=BB271_12 Depth=1
	s_or_saveexec_b64 s[42:43], s[42:43]
	v_mov_b32_e32 v0, s46
	scratch_store_dword off, v0, s32 offset:292 ; 4-byte Folded Spill
	s_xor_b64 exec, exec, s[42:43]
	s_cbranch_execz .LBB271_113
; %bb.112:                              ;   in Loop: Header=BB271_12 Depth=1
	v_cmp_ne_u16_sdwa s[44:45], v4, v5 src0_sel:BYTE_0 src1_sel:DWORD
	s_andn2_b64 vcc, vcc, exec
	s_and_b64 s[44:45], s[44:45], exec
	v_mov_b32_e32 v0, 0
	s_or_b64 vcc, vcc, s[44:45]
	scratch_store_dword off, v0, s32 offset:292 ; 4-byte Folded Spill
.LBB271_113:                            ;   in Loop: Header=BB271_12 Depth=1
	s_or_b64 exec, exec, s[42:43]
	s_and_saveexec_b64 s[42:43], vcc
	s_cbranch_execz .LBB271_115
; %bb.114:                              ;   in Loop: Header=BB271_12 Depth=1
	v_bfe_u32 v2, v18, 16, 3
	v_ffbh_u32_e32 v0, v2
	v_min_u32_e32 v6, 32, v0
	v_subrev_u32_e32 v0, 28, v6
	v_bfe_u32 v3, v18, 19, 4
	v_lshlrev_b64 v[0:1], v0, v[4:5]
	v_sub_u32_e32 v1, 29, v6
	v_cmp_eq_u32_e32 vcc, 0, v3
	v_and_b32_e32 v0, 7, v0
	s_nop 0
	v_cndmask_b32_e32 v1, v3, v1, vcc
	v_cndmask_b32_e32 v0, v2, v0, vcc
	v_lshlrev_b32_e32 v2, 8, v4
	v_lshl_add_u32 v1, v1, 10, v54
	v_and_or_b32 v1, v2, s49, v1
	v_lshl_or_b32 v0, v0, 7, v1
	v_cvt_f32_f16_e32 v0, v0
	scratch_store_dword off, v0, s32 offset:292 ; 4-byte Folded Spill
.LBB271_115:                            ;   in Loop: Header=BB271_12 Depth=1
	s_or_b64 exec, exec, s[42:43]
	v_lshrrev_b32_e32 v4, 24, v18
	v_cmp_lt_i16_e32 vcc, s17, v4
	s_mov_b64 s[42:43], 0
                                        ; implicit-def: $sgpr50
	s_and_saveexec_b64 s[44:45], vcc
	s_xor_b64 s[44:45], exec, s[44:45]
	s_cbranch_execz .LBB271_119
; %bb.116:                              ;   in Loop: Header=BB271_12 Depth=1
	v_cmp_eq_u16_e32 vcc, s48, v4
	s_mov_b64 s[42:43], -1
                                        ; implicit-def: $sgpr50
	s_and_saveexec_b64 s[46:47], vcc
; %bb.117:                              ;   in Loop: Header=BB271_12 Depth=1
	s_mov_b32 s50, 0x7fc02000
	s_xor_b64 s[42:43], exec, -1
; %bb.118:                              ;   in Loop: Header=BB271_12 Depth=1
	s_or_b64 exec, exec, s[46:47]
	s_and_b64 s[42:43], s[42:43], exec
.LBB271_119:                            ;   in Loop: Header=BB271_12 Depth=1
	s_or_saveexec_b64 s[44:45], s[44:45]
	v_mov_b32_e32 v0, s50
	scratch_store_dword off, v0, s32 offset:296 ; 4-byte Folded Spill
	s_xor_b64 exec, exec, s[44:45]
	s_cbranch_execz .LBB271_121
; %bb.120:                              ;   in Loop: Header=BB271_12 Depth=1
	v_cmp_ne_u16_e32 vcc, 0, v4
	s_andn2_b64 s[42:43], s[42:43], exec
	s_and_b64 vcc, vcc, exec
	v_mov_b32_e32 v0, 0
	s_or_b64 s[42:43], s[42:43], vcc
	scratch_store_dword off, v0, s32 offset:296 ; 4-byte Folded Spill
.LBB271_121:                            ;   in Loop: Header=BB271_12 Depth=1
	s_or_b64 exec, exec, s[44:45]
	s_and_saveexec_b64 s[44:45], s[42:43]
	s_cbranch_execz .LBB271_123
; %bb.122:                              ;   in Loop: Header=BB271_12 Depth=1
	v_bfe_u32 v2, v18, 24, 3
	v_ffbh_u32_e32 v0, v2
	v_min_u32_e32 v6, 32, v0
	v_subrev_u32_e32 v0, 28, v6
	v_bfe_u32 v3, v18, 27, 4
	v_lshlrev_b64 v[0:1], v0, v[4:5]
	v_sub_u32_e32 v1, 29, v6
	v_cmp_eq_u32_e32 vcc, 0, v3
	v_and_b32_e32 v0, 7, v0
	s_nop 0
	v_cndmask_b32_e32 v1, v3, v1, vcc
	v_cndmask_b32_e32 v0, v2, v0, vcc
	v_lshlrev_b32_e32 v2, 8, v4
	v_lshl_add_u32 v1, v1, 10, v54
	v_and_or_b32 v1, v2, s49, v1
	v_lshl_or_b32 v0, v0, 7, v1
	v_cvt_f32_f16_e32 v0, v0
	scratch_store_dword off, v0, s32 offset:296 ; 4-byte Folded Spill
.LBB271_123:                            ;   in Loop: Header=BB271_12 Depth=1
	s_or_b64 exec, exec, s[44:45]
	flat_load_dword v18, v[34:35] offset:1024
	s_mov_b64 vcc, 0
                                        ; implicit-def: $sgpr46
	s_waitcnt vmcnt(0) lgkmcnt(0)
	v_cmp_gt_i16_sdwa s[42:43], v18, s17 src0_sel:BYTE_0 src1_sel:DWORD
	s_and_saveexec_b64 s[44:45], s[42:43]
	s_xor_b64 s[42:43], exec, s[44:45]
	s_cbranch_execnz .LBB271_797
; %bb.124:                              ;   in Loop: Header=BB271_12 Depth=1
	s_or_saveexec_b64 s[42:43], s[42:43]
	v_mov_b32_e32 v0, s46
	s_xor_b64 exec, exec, s[42:43]
	s_cbranch_execnz .LBB271_800
.LBB271_125:                            ;   in Loop: Header=BB271_12 Depth=1
	s_or_b64 exec, exec, s[42:43]
	s_and_saveexec_b64 s[42:43], vcc
	s_cbranch_execz .LBB271_127
.LBB271_126:                            ;   in Loop: Header=BB271_12 Depth=1
	v_and_b32_e32 v2, 7, v18
	v_ffbh_u32_e32 v0, v2
	v_min_u32_e32 v4, 32, v0
	v_subrev_u32_e32 v0, 28, v4
	v_bfe_u32 v3, v18, 3, 4
	v_lshlrev_b64 v[0:1], v0, v[18:19]
	v_sub_u32_e32 v1, 29, v4
	v_cmp_eq_u32_e32 vcc, 0, v3
	v_and_b32_e32 v0, 7, v0
	s_nop 0
	v_cndmask_b32_e32 v1, v3, v1, vcc
	v_cndmask_b32_e32 v0, v2, v0, vcc
	v_lshlrev_b32_e32 v2, 8, v18
	v_lshl_add_u32 v1, v1, 10, v54
	v_and_or_b32 v1, v2, s49, v1
	v_lshl_or_b32 v0, v0, 7, v1
	v_cvt_f32_f16_e32 v0, v0
.LBB271_127:                            ;   in Loop: Header=BB271_12 Depth=1
	s_or_b64 exec, exec, s[42:43]
	v_lshrrev_b16_e32 v4, 8, v18
	v_cmp_lt_i16_e32 vcc, s17, v4
	s_mov_b64 s[42:43], 0
	scratch_store_dword off, v0, s32 offset:536 ; 4-byte Folded Spill
                                        ; implicit-def: $sgpr50
	s_and_saveexec_b64 s[44:45], vcc
	s_xor_b64 s[44:45], exec, s[44:45]
	s_cbranch_execz .LBB271_131
; %bb.128:                              ;   in Loop: Header=BB271_12 Depth=1
	v_cmp_eq_u16_e32 vcc, s48, v4
	s_mov_b64 s[42:43], -1
                                        ; implicit-def: $sgpr50
	s_and_saveexec_b64 s[46:47], vcc
; %bb.129:                              ;   in Loop: Header=BB271_12 Depth=1
	s_mov_b32 s50, 0x7fc02000
	s_xor_b64 s[42:43], exec, -1
; %bb.130:                              ;   in Loop: Header=BB271_12 Depth=1
	s_or_b64 exec, exec, s[46:47]
	s_and_b64 s[42:43], s[42:43], exec
.LBB271_131:                            ;   in Loop: Header=BB271_12 Depth=1
	s_or_saveexec_b64 s[44:45], s[44:45]
	v_mov_b32_e32 v0, s50
	scratch_store_dword off, v0, s32 offset:300 ; 4-byte Folded Spill
	s_xor_b64 exec, exec, s[44:45]
	s_cbranch_execz .LBB271_133
; %bb.132:                              ;   in Loop: Header=BB271_12 Depth=1
	v_cmp_ne_u16_e32 vcc, 0, v4
	s_andn2_b64 s[42:43], s[42:43], exec
	s_and_b64 vcc, vcc, exec
	v_mov_b32_e32 v0, 0
	s_or_b64 s[42:43], s[42:43], vcc
	scratch_store_dword off, v0, s32 offset:300 ; 4-byte Folded Spill
.LBB271_133:                            ;   in Loop: Header=BB271_12 Depth=1
	s_or_b64 exec, exec, s[44:45]
	s_and_saveexec_b64 s[44:45], s[42:43]
	s_cbranch_execz .LBB271_135
; %bb.134:                              ;   in Loop: Header=BB271_12 Depth=1
	v_and_b32_e32 v2, 7, v4
	v_ffbh_u32_e32 v0, v2
	v_min_u32_e32 v6, 32, v0
	v_subrev_u32_e32 v0, 28, v6
	v_bfe_u32 v3, v4, 3, 4
	v_lshlrev_b64 v[0:1], v0, v[4:5]
	v_sub_u32_e32 v1, 29, v6
	v_cmp_eq_u32_e32 vcc, 0, v3
	v_and_b32_e32 v0, 7, v0
	s_nop 0
	v_cndmask_b32_e32 v1, v3, v1, vcc
	v_cndmask_b32_e32 v0, v2, v0, vcc
	v_lshlrev_b32_e32 v2, 8, v4
	v_lshl_add_u32 v1, v1, 10, v54
	v_and_or_b32 v1, v2, s49, v1
	v_lshl_or_b32 v0, v0, 7, v1
	v_cvt_f32_f16_e32 v0, v0
	scratch_store_dword off, v0, s32 offset:300 ; 4-byte Folded Spill
.LBB271_135:                            ;   in Loop: Header=BB271_12 Depth=1
	s_or_b64 exec, exec, s[44:45]
	v_lshrrev_b32_e32 v4, 16, v18
	v_cmp_gt_i16_sdwa s[42:43], v4, s17 src0_sel:BYTE_0 src1_sel:DWORD
	s_mov_b64 vcc, 0
                                        ; implicit-def: $sgpr46
	s_and_saveexec_b64 s[44:45], s[42:43]
	s_xor_b64 s[42:43], exec, s[44:45]
	s_cbranch_execz .LBB271_139
; %bb.136:                              ;   in Loop: Header=BB271_12 Depth=1
	v_cmp_eq_u16_sdwa s[50:51], v4, s48 src0_sel:BYTE_0 src1_sel:DWORD
	s_mov_b64 vcc, -1
                                        ; implicit-def: $sgpr46
	s_and_saveexec_b64 s[44:45], s[50:51]
; %bb.137:                              ;   in Loop: Header=BB271_12 Depth=1
	s_mov_b32 s46, 0x7fc02000
	s_xor_b64 vcc, exec, -1
; %bb.138:                              ;   in Loop: Header=BB271_12 Depth=1
	s_or_b64 exec, exec, s[44:45]
	s_and_b64 vcc, vcc, exec
.LBB271_139:                            ;   in Loop: Header=BB271_12 Depth=1
	s_or_saveexec_b64 s[42:43], s[42:43]
	v_mov_b32_e32 v0, s46
	scratch_store_dword off, v0, s32 offset:304 ; 4-byte Folded Spill
	s_xor_b64 exec, exec, s[42:43]
	s_cbranch_execz .LBB271_141
; %bb.140:                              ;   in Loop: Header=BB271_12 Depth=1
	v_cmp_ne_u16_sdwa s[44:45], v4, v5 src0_sel:BYTE_0 src1_sel:DWORD
	s_andn2_b64 vcc, vcc, exec
	s_and_b64 s[44:45], s[44:45], exec
	v_mov_b32_e32 v0, 0
	s_or_b64 vcc, vcc, s[44:45]
	scratch_store_dword off, v0, s32 offset:304 ; 4-byte Folded Spill
.LBB271_141:                            ;   in Loop: Header=BB271_12 Depth=1
	s_or_b64 exec, exec, s[42:43]
	s_and_saveexec_b64 s[42:43], vcc
	s_cbranch_execz .LBB271_143
; %bb.142:                              ;   in Loop: Header=BB271_12 Depth=1
	v_bfe_u32 v2, v18, 16, 3
	v_ffbh_u32_e32 v0, v2
	v_min_u32_e32 v6, 32, v0
	v_subrev_u32_e32 v0, 28, v6
	v_bfe_u32 v3, v18, 19, 4
	v_lshlrev_b64 v[0:1], v0, v[4:5]
	v_sub_u32_e32 v1, 29, v6
	v_cmp_eq_u32_e32 vcc, 0, v3
	v_and_b32_e32 v0, 7, v0
	s_nop 0
	v_cndmask_b32_e32 v1, v3, v1, vcc
	v_cndmask_b32_e32 v0, v2, v0, vcc
	v_lshlrev_b32_e32 v2, 8, v4
	v_lshl_add_u32 v1, v1, 10, v54
	v_and_or_b32 v1, v2, s49, v1
	v_lshl_or_b32 v0, v0, 7, v1
	v_cvt_f32_f16_e32 v0, v0
	scratch_store_dword off, v0, s32 offset:304 ; 4-byte Folded Spill
.LBB271_143:                            ;   in Loop: Header=BB271_12 Depth=1
	s_or_b64 exec, exec, s[42:43]
	v_lshrrev_b32_e32 v4, 24, v18
	v_cmp_lt_i16_e32 vcc, s17, v4
	s_mov_b64 s[42:43], 0
                                        ; implicit-def: $sgpr50
	s_and_saveexec_b64 s[44:45], vcc
	s_xor_b64 s[44:45], exec, s[44:45]
	s_cbranch_execz .LBB271_147
; %bb.144:                              ;   in Loop: Header=BB271_12 Depth=1
	v_cmp_eq_u16_e32 vcc, s48, v4
	s_mov_b64 s[42:43], -1
                                        ; implicit-def: $sgpr50
	s_and_saveexec_b64 s[46:47], vcc
; %bb.145:                              ;   in Loop: Header=BB271_12 Depth=1
	s_mov_b32 s50, 0x7fc02000
	s_xor_b64 s[42:43], exec, -1
; %bb.146:                              ;   in Loop: Header=BB271_12 Depth=1
	s_or_b64 exec, exec, s[46:47]
	s_and_b64 s[42:43], s[42:43], exec
.LBB271_147:                            ;   in Loop: Header=BB271_12 Depth=1
	s_or_saveexec_b64 s[44:45], s[44:45]
	v_mov_b32_e32 v0, s50
	scratch_store_dword off, v0, s32 offset:308 ; 4-byte Folded Spill
	s_xor_b64 exec, exec, s[44:45]
	s_cbranch_execz .LBB271_149
; %bb.148:                              ;   in Loop: Header=BB271_12 Depth=1
	v_cmp_ne_u16_e32 vcc, 0, v4
	s_andn2_b64 s[42:43], s[42:43], exec
	s_and_b64 vcc, vcc, exec
	v_mov_b32_e32 v0, 0
	s_or_b64 s[42:43], s[42:43], vcc
	scratch_store_dword off, v0, s32 offset:308 ; 4-byte Folded Spill
.LBB271_149:                            ;   in Loop: Header=BB271_12 Depth=1
	s_or_b64 exec, exec, s[44:45]
	s_and_saveexec_b64 s[44:45], s[42:43]
	s_cbranch_execz .LBB271_151
; %bb.150:                              ;   in Loop: Header=BB271_12 Depth=1
	v_bfe_u32 v2, v18, 24, 3
	v_ffbh_u32_e32 v0, v2
	v_min_u32_e32 v6, 32, v0
	v_subrev_u32_e32 v0, 28, v6
	v_bfe_u32 v3, v18, 27, 4
	v_lshlrev_b64 v[0:1], v0, v[4:5]
	v_sub_u32_e32 v1, 29, v6
	v_cmp_eq_u32_e32 vcc, 0, v3
	v_and_b32_e32 v0, 7, v0
	s_nop 0
	v_cndmask_b32_e32 v1, v3, v1, vcc
	v_cndmask_b32_e32 v0, v2, v0, vcc
	v_lshlrev_b32_e32 v2, 8, v4
	v_lshl_add_u32 v1, v1, 10, v54
	v_and_or_b32 v1, v2, s49, v1
	v_lshl_or_b32 v0, v0, 7, v1
	v_cvt_f32_f16_e32 v0, v0
	scratch_store_dword off, v0, s32 offset:308 ; 4-byte Folded Spill
.LBB271_151:                            ;   in Loop: Header=BB271_12 Depth=1
	s_or_b64 exec, exec, s[44:45]
	flat_load_dword v18, v[34:35] offset:1032
	s_mov_b64 vcc, 0
                                        ; implicit-def: $sgpr46
	s_waitcnt vmcnt(0) lgkmcnt(0)
	v_cmp_gt_i16_sdwa s[42:43], v18, s17 src0_sel:BYTE_0 src1_sel:DWORD
	s_and_saveexec_b64 s[44:45], s[42:43]
	s_xor_b64 s[42:43], exec, s[44:45]
	s_cbranch_execnz .LBB271_801
; %bb.152:                              ;   in Loop: Header=BB271_12 Depth=1
	s_or_saveexec_b64 s[42:43], s[42:43]
	v_mov_b32_e32 v0, s46
	s_xor_b64 exec, exec, s[42:43]
	s_cbranch_execnz .LBB271_804
.LBB271_153:                            ;   in Loop: Header=BB271_12 Depth=1
	s_or_b64 exec, exec, s[42:43]
	s_and_saveexec_b64 s[42:43], vcc
	s_cbranch_execz .LBB271_155
.LBB271_154:                            ;   in Loop: Header=BB271_12 Depth=1
	v_and_b32_e32 v2, 7, v18
	v_ffbh_u32_e32 v0, v2
	v_min_u32_e32 v4, 32, v0
	v_subrev_u32_e32 v0, 28, v4
	v_bfe_u32 v3, v18, 3, 4
	v_lshlrev_b64 v[0:1], v0, v[18:19]
	v_sub_u32_e32 v1, 29, v4
	v_cmp_eq_u32_e32 vcc, 0, v3
	v_and_b32_e32 v0, 7, v0
	s_nop 0
	v_cndmask_b32_e32 v1, v3, v1, vcc
	v_cndmask_b32_e32 v0, v2, v0, vcc
	v_lshlrev_b32_e32 v2, 8, v18
	v_lshl_add_u32 v1, v1, 10, v54
	v_and_or_b32 v1, v2, s49, v1
	v_lshl_or_b32 v0, v0, 7, v1
	v_cvt_f32_f16_e32 v0, v0
.LBB271_155:                            ;   in Loop: Header=BB271_12 Depth=1
	s_or_b64 exec, exec, s[42:43]
	v_lshrrev_b16_e32 v4, 8, v18
	v_cmp_lt_i16_e32 vcc, s17, v4
	s_mov_b64 s[42:43], 0
	scratch_store_dword off, v0, s32 offset:540 ; 4-byte Folded Spill
                                        ; implicit-def: $sgpr50
	s_and_saveexec_b64 s[44:45], vcc
	s_xor_b64 s[44:45], exec, s[44:45]
	s_cbranch_execz .LBB271_159
; %bb.156:                              ;   in Loop: Header=BB271_12 Depth=1
	v_cmp_eq_u16_e32 vcc, s48, v4
	s_mov_b64 s[42:43], -1
                                        ; implicit-def: $sgpr50
	s_and_saveexec_b64 s[46:47], vcc
; %bb.157:                              ;   in Loop: Header=BB271_12 Depth=1
	s_mov_b32 s50, 0x7fc02000
	s_xor_b64 s[42:43], exec, -1
; %bb.158:                              ;   in Loop: Header=BB271_12 Depth=1
	s_or_b64 exec, exec, s[46:47]
	s_and_b64 s[42:43], s[42:43], exec
.LBB271_159:                            ;   in Loop: Header=BB271_12 Depth=1
	s_or_saveexec_b64 s[44:45], s[44:45]
	v_mov_b32_e32 v0, s50
	scratch_store_dword off, v0, s32 offset:312 ; 4-byte Folded Spill
	s_xor_b64 exec, exec, s[44:45]
	s_cbranch_execz .LBB271_161
; %bb.160:                              ;   in Loop: Header=BB271_12 Depth=1
	v_cmp_ne_u16_e32 vcc, 0, v4
	s_andn2_b64 s[42:43], s[42:43], exec
	s_and_b64 vcc, vcc, exec
	v_mov_b32_e32 v0, 0
	s_or_b64 s[42:43], s[42:43], vcc
	scratch_store_dword off, v0, s32 offset:312 ; 4-byte Folded Spill
.LBB271_161:                            ;   in Loop: Header=BB271_12 Depth=1
	s_or_b64 exec, exec, s[44:45]
	s_and_saveexec_b64 s[44:45], s[42:43]
	s_cbranch_execz .LBB271_163
; %bb.162:                              ;   in Loop: Header=BB271_12 Depth=1
	v_and_b32_e32 v2, 7, v4
	v_ffbh_u32_e32 v0, v2
	v_min_u32_e32 v6, 32, v0
	v_subrev_u32_e32 v0, 28, v6
	v_bfe_u32 v3, v4, 3, 4
	v_lshlrev_b64 v[0:1], v0, v[4:5]
	v_sub_u32_e32 v1, 29, v6
	v_cmp_eq_u32_e32 vcc, 0, v3
	v_and_b32_e32 v0, 7, v0
	s_nop 0
	v_cndmask_b32_e32 v1, v3, v1, vcc
	v_cndmask_b32_e32 v0, v2, v0, vcc
	v_lshlrev_b32_e32 v2, 8, v4
	v_lshl_add_u32 v1, v1, 10, v54
	v_and_or_b32 v1, v2, s49, v1
	v_lshl_or_b32 v0, v0, 7, v1
	v_cvt_f32_f16_e32 v0, v0
	scratch_store_dword off, v0, s32 offset:312 ; 4-byte Folded Spill
.LBB271_163:                            ;   in Loop: Header=BB271_12 Depth=1
	s_or_b64 exec, exec, s[44:45]
	v_lshrrev_b32_e32 v4, 16, v18
	v_cmp_gt_i16_sdwa s[42:43], v4, s17 src0_sel:BYTE_0 src1_sel:DWORD
	s_mov_b64 vcc, 0
                                        ; implicit-def: $sgpr46
	s_and_saveexec_b64 s[44:45], s[42:43]
	s_xor_b64 s[42:43], exec, s[44:45]
	s_cbranch_execz .LBB271_167
; %bb.164:                              ;   in Loop: Header=BB271_12 Depth=1
	v_cmp_eq_u16_sdwa s[50:51], v4, s48 src0_sel:BYTE_0 src1_sel:DWORD
	s_mov_b64 vcc, -1
                                        ; implicit-def: $sgpr46
	s_and_saveexec_b64 s[44:45], s[50:51]
; %bb.165:                              ;   in Loop: Header=BB271_12 Depth=1
	s_mov_b32 s46, 0x7fc02000
	s_xor_b64 vcc, exec, -1
; %bb.166:                              ;   in Loop: Header=BB271_12 Depth=1
	s_or_b64 exec, exec, s[44:45]
	s_and_b64 vcc, vcc, exec
.LBB271_167:                            ;   in Loop: Header=BB271_12 Depth=1
	s_or_saveexec_b64 s[42:43], s[42:43]
	v_mov_b32_e32 v0, s46
	scratch_store_dword off, v0, s32 offset:316 ; 4-byte Folded Spill
	s_xor_b64 exec, exec, s[42:43]
	s_cbranch_execz .LBB271_169
; %bb.168:                              ;   in Loop: Header=BB271_12 Depth=1
	v_cmp_ne_u16_sdwa s[44:45], v4, v5 src0_sel:BYTE_0 src1_sel:DWORD
	s_andn2_b64 vcc, vcc, exec
	s_and_b64 s[44:45], s[44:45], exec
	v_mov_b32_e32 v0, 0
	s_or_b64 vcc, vcc, s[44:45]
	scratch_store_dword off, v0, s32 offset:316 ; 4-byte Folded Spill
.LBB271_169:                            ;   in Loop: Header=BB271_12 Depth=1
	s_or_b64 exec, exec, s[42:43]
	s_and_saveexec_b64 s[42:43], vcc
	s_cbranch_execz .LBB271_171
; %bb.170:                              ;   in Loop: Header=BB271_12 Depth=1
	v_bfe_u32 v2, v18, 16, 3
	v_ffbh_u32_e32 v0, v2
	v_min_u32_e32 v6, 32, v0
	v_subrev_u32_e32 v0, 28, v6
	v_bfe_u32 v3, v18, 19, 4
	v_lshlrev_b64 v[0:1], v0, v[4:5]
	v_sub_u32_e32 v1, 29, v6
	v_cmp_eq_u32_e32 vcc, 0, v3
	v_and_b32_e32 v0, 7, v0
	s_nop 0
	v_cndmask_b32_e32 v1, v3, v1, vcc
	v_cndmask_b32_e32 v0, v2, v0, vcc
	v_lshlrev_b32_e32 v2, 8, v4
	v_lshl_add_u32 v1, v1, 10, v54
	v_and_or_b32 v1, v2, s49, v1
	v_lshl_or_b32 v0, v0, 7, v1
	v_cvt_f32_f16_e32 v0, v0
	scratch_store_dword off, v0, s32 offset:316 ; 4-byte Folded Spill
.LBB271_171:                            ;   in Loop: Header=BB271_12 Depth=1
	s_or_b64 exec, exec, s[42:43]
	v_lshrrev_b32_e32 v4, 24, v18
	v_cmp_lt_i16_e32 vcc, s17, v4
	s_mov_b64 s[42:43], 0
                                        ; implicit-def: $sgpr50
	s_and_saveexec_b64 s[44:45], vcc
	s_xor_b64 s[44:45], exec, s[44:45]
	s_cbranch_execz .LBB271_175
; %bb.172:                              ;   in Loop: Header=BB271_12 Depth=1
	v_cmp_eq_u16_e32 vcc, s48, v4
	s_mov_b64 s[42:43], -1
                                        ; implicit-def: $sgpr50
	s_and_saveexec_b64 s[46:47], vcc
; %bb.173:                              ;   in Loop: Header=BB271_12 Depth=1
	s_mov_b32 s50, 0x7fc02000
	s_xor_b64 s[42:43], exec, -1
; %bb.174:                              ;   in Loop: Header=BB271_12 Depth=1
	s_or_b64 exec, exec, s[46:47]
	s_and_b64 s[42:43], s[42:43], exec
.LBB271_175:                            ;   in Loop: Header=BB271_12 Depth=1
	s_or_saveexec_b64 s[44:45], s[44:45]
	v_mov_b32_e32 v0, s50
	scratch_store_dword off, v0, s32 offset:320 ; 4-byte Folded Spill
	s_xor_b64 exec, exec, s[44:45]
	s_cbranch_execz .LBB271_177
; %bb.176:                              ;   in Loop: Header=BB271_12 Depth=1
	v_cmp_ne_u16_e32 vcc, 0, v4
	s_andn2_b64 s[42:43], s[42:43], exec
	s_and_b64 vcc, vcc, exec
	v_mov_b32_e32 v0, 0
	s_or_b64 s[42:43], s[42:43], vcc
	scratch_store_dword off, v0, s32 offset:320 ; 4-byte Folded Spill
.LBB271_177:                            ;   in Loop: Header=BB271_12 Depth=1
	s_or_b64 exec, exec, s[44:45]
	s_and_saveexec_b64 s[44:45], s[42:43]
	s_cbranch_execz .LBB271_179
; %bb.178:                              ;   in Loop: Header=BB271_12 Depth=1
	v_bfe_u32 v2, v18, 24, 3
	v_ffbh_u32_e32 v0, v2
	v_min_u32_e32 v6, 32, v0
	v_subrev_u32_e32 v0, 28, v6
	v_bfe_u32 v3, v18, 27, 4
	v_lshlrev_b64 v[0:1], v0, v[4:5]
	v_sub_u32_e32 v1, 29, v6
	v_cmp_eq_u32_e32 vcc, 0, v3
	v_and_b32_e32 v0, 7, v0
	s_nop 0
	v_cndmask_b32_e32 v1, v3, v1, vcc
	v_cndmask_b32_e32 v0, v2, v0, vcc
	v_lshlrev_b32_e32 v2, 8, v4
	v_lshl_add_u32 v1, v1, 10, v54
	v_and_or_b32 v1, v2, s49, v1
	v_lshl_or_b32 v0, v0, 7, v1
	v_cvt_f32_f16_e32 v0, v0
	scratch_store_dword off, v0, s32 offset:320 ; 4-byte Folded Spill
.LBB271_179:                            ;   in Loop: Header=BB271_12 Depth=1
	s_or_b64 exec, exec, s[44:45]
	flat_load_dword v18, v[34:35] offset:1536
	s_mov_b64 vcc, 0
                                        ; implicit-def: $sgpr46
	s_waitcnt vmcnt(0) lgkmcnt(0)
	v_cmp_gt_i16_sdwa s[42:43], v18, s17 src0_sel:BYTE_0 src1_sel:DWORD
	s_and_saveexec_b64 s[44:45], s[42:43]
	s_xor_b64 s[42:43], exec, s[44:45]
	s_cbranch_execnz .LBB271_805
; %bb.180:                              ;   in Loop: Header=BB271_12 Depth=1
	s_or_saveexec_b64 s[42:43], s[42:43]
	v_mov_b32_e32 v0, s46
	s_xor_b64 exec, exec, s[42:43]
	s_cbranch_execnz .LBB271_808
.LBB271_181:                            ;   in Loop: Header=BB271_12 Depth=1
	s_or_b64 exec, exec, s[42:43]
	s_and_saveexec_b64 s[42:43], vcc
	s_cbranch_execz .LBB271_183
.LBB271_182:                            ;   in Loop: Header=BB271_12 Depth=1
	v_and_b32_e32 v2, 7, v18
	v_ffbh_u32_e32 v0, v2
	v_min_u32_e32 v4, 32, v0
	v_subrev_u32_e32 v0, 28, v4
	v_bfe_u32 v3, v18, 3, 4
	v_lshlrev_b64 v[0:1], v0, v[18:19]
	v_sub_u32_e32 v1, 29, v4
	v_cmp_eq_u32_e32 vcc, 0, v3
	v_and_b32_e32 v0, 7, v0
	s_nop 0
	v_cndmask_b32_e32 v1, v3, v1, vcc
	v_cndmask_b32_e32 v0, v2, v0, vcc
	v_lshlrev_b32_e32 v2, 8, v18
	v_lshl_add_u32 v1, v1, 10, v54
	v_and_or_b32 v1, v2, s49, v1
	v_lshl_or_b32 v0, v0, 7, v1
	v_cvt_f32_f16_e32 v0, v0
.LBB271_183:                            ;   in Loop: Header=BB271_12 Depth=1
	s_or_b64 exec, exec, s[42:43]
	v_lshrrev_b16_e32 v4, 8, v18
	v_cmp_lt_i16_e32 vcc, s17, v4
	s_mov_b64 s[42:43], 0
	scratch_store_dword off, v0, s32 offset:544 ; 4-byte Folded Spill
                                        ; implicit-def: $sgpr50
	s_and_saveexec_b64 s[44:45], vcc
	s_xor_b64 s[44:45], exec, s[44:45]
	s_cbranch_execz .LBB271_187
; %bb.184:                              ;   in Loop: Header=BB271_12 Depth=1
	v_cmp_eq_u16_e32 vcc, s48, v4
	s_mov_b64 s[42:43], -1
                                        ; implicit-def: $sgpr50
	s_and_saveexec_b64 s[46:47], vcc
; %bb.185:                              ;   in Loop: Header=BB271_12 Depth=1
	s_mov_b32 s50, 0x7fc02000
	s_xor_b64 s[42:43], exec, -1
; %bb.186:                              ;   in Loop: Header=BB271_12 Depth=1
	s_or_b64 exec, exec, s[46:47]
	s_and_b64 s[42:43], s[42:43], exec
.LBB271_187:                            ;   in Loop: Header=BB271_12 Depth=1
	s_or_saveexec_b64 s[44:45], s[44:45]
	v_mov_b32_e32 v0, s50
	scratch_store_dword off, v0, s32 offset:324 ; 4-byte Folded Spill
	s_xor_b64 exec, exec, s[44:45]
	s_cbranch_execz .LBB271_189
; %bb.188:                              ;   in Loop: Header=BB271_12 Depth=1
	v_cmp_ne_u16_e32 vcc, 0, v4
	s_andn2_b64 s[42:43], s[42:43], exec
	s_and_b64 vcc, vcc, exec
	v_mov_b32_e32 v0, 0
	s_or_b64 s[42:43], s[42:43], vcc
	scratch_store_dword off, v0, s32 offset:324 ; 4-byte Folded Spill
.LBB271_189:                            ;   in Loop: Header=BB271_12 Depth=1
	s_or_b64 exec, exec, s[44:45]
	s_and_saveexec_b64 s[44:45], s[42:43]
	s_cbranch_execz .LBB271_191
; %bb.190:                              ;   in Loop: Header=BB271_12 Depth=1
	v_and_b32_e32 v2, 7, v4
	v_ffbh_u32_e32 v0, v2
	v_min_u32_e32 v6, 32, v0
	v_subrev_u32_e32 v0, 28, v6
	v_bfe_u32 v3, v4, 3, 4
	v_lshlrev_b64 v[0:1], v0, v[4:5]
	v_sub_u32_e32 v1, 29, v6
	v_cmp_eq_u32_e32 vcc, 0, v3
	v_and_b32_e32 v0, 7, v0
	s_nop 0
	v_cndmask_b32_e32 v1, v3, v1, vcc
	v_cndmask_b32_e32 v0, v2, v0, vcc
	v_lshlrev_b32_e32 v2, 8, v4
	v_lshl_add_u32 v1, v1, 10, v54
	v_and_or_b32 v1, v2, s49, v1
	v_lshl_or_b32 v0, v0, 7, v1
	v_cvt_f32_f16_e32 v0, v0
	scratch_store_dword off, v0, s32 offset:324 ; 4-byte Folded Spill
.LBB271_191:                            ;   in Loop: Header=BB271_12 Depth=1
	s_or_b64 exec, exec, s[44:45]
	v_lshrrev_b32_e32 v4, 16, v18
	v_cmp_gt_i16_sdwa s[42:43], v4, s17 src0_sel:BYTE_0 src1_sel:DWORD
	s_mov_b64 vcc, 0
                                        ; implicit-def: $sgpr46
	s_and_saveexec_b64 s[44:45], s[42:43]
	s_xor_b64 s[42:43], exec, s[44:45]
	s_cbranch_execz .LBB271_195
; %bb.192:                              ;   in Loop: Header=BB271_12 Depth=1
	v_cmp_eq_u16_sdwa s[50:51], v4, s48 src0_sel:BYTE_0 src1_sel:DWORD
	s_mov_b64 vcc, -1
                                        ; implicit-def: $sgpr46
	s_and_saveexec_b64 s[44:45], s[50:51]
; %bb.193:                              ;   in Loop: Header=BB271_12 Depth=1
	s_mov_b32 s46, 0x7fc02000
	s_xor_b64 vcc, exec, -1
; %bb.194:                              ;   in Loop: Header=BB271_12 Depth=1
	s_or_b64 exec, exec, s[44:45]
	s_and_b64 vcc, vcc, exec
.LBB271_195:                            ;   in Loop: Header=BB271_12 Depth=1
	s_or_saveexec_b64 s[42:43], s[42:43]
	v_mov_b32_e32 v0, s46
	scratch_store_dword off, v0, s32 offset:328 ; 4-byte Folded Spill
	s_xor_b64 exec, exec, s[42:43]
	s_cbranch_execz .LBB271_197
; %bb.196:                              ;   in Loop: Header=BB271_12 Depth=1
	v_cmp_ne_u16_sdwa s[44:45], v4, v5 src0_sel:BYTE_0 src1_sel:DWORD
	s_andn2_b64 vcc, vcc, exec
	s_and_b64 s[44:45], s[44:45], exec
	v_mov_b32_e32 v0, 0
	s_or_b64 vcc, vcc, s[44:45]
	scratch_store_dword off, v0, s32 offset:328 ; 4-byte Folded Spill
.LBB271_197:                            ;   in Loop: Header=BB271_12 Depth=1
	s_or_b64 exec, exec, s[42:43]
	s_and_saveexec_b64 s[42:43], vcc
	s_cbranch_execz .LBB271_199
; %bb.198:                              ;   in Loop: Header=BB271_12 Depth=1
	v_bfe_u32 v2, v18, 16, 3
	v_ffbh_u32_e32 v0, v2
	v_min_u32_e32 v6, 32, v0
	v_subrev_u32_e32 v0, 28, v6
	v_bfe_u32 v3, v18, 19, 4
	v_lshlrev_b64 v[0:1], v0, v[4:5]
	v_sub_u32_e32 v1, 29, v6
	v_cmp_eq_u32_e32 vcc, 0, v3
	v_and_b32_e32 v0, 7, v0
	s_nop 0
	v_cndmask_b32_e32 v1, v3, v1, vcc
	v_cndmask_b32_e32 v0, v2, v0, vcc
	v_lshlrev_b32_e32 v2, 8, v4
	v_lshl_add_u32 v1, v1, 10, v54
	v_and_or_b32 v1, v2, s49, v1
	v_lshl_or_b32 v0, v0, 7, v1
	v_cvt_f32_f16_e32 v0, v0
	scratch_store_dword off, v0, s32 offset:328 ; 4-byte Folded Spill
.LBB271_199:                            ;   in Loop: Header=BB271_12 Depth=1
	s_or_b64 exec, exec, s[42:43]
	v_lshrrev_b32_e32 v4, 24, v18
	v_cmp_lt_i16_e32 vcc, s17, v4
	s_mov_b64 s[42:43], 0
                                        ; implicit-def: $sgpr50
	s_and_saveexec_b64 s[44:45], vcc
	s_xor_b64 s[44:45], exec, s[44:45]
	s_cbranch_execz .LBB271_203
; %bb.200:                              ;   in Loop: Header=BB271_12 Depth=1
	v_cmp_eq_u16_e32 vcc, s48, v4
	s_mov_b64 s[42:43], -1
                                        ; implicit-def: $sgpr50
	s_and_saveexec_b64 s[46:47], vcc
; %bb.201:                              ;   in Loop: Header=BB271_12 Depth=1
	s_mov_b32 s50, 0x7fc02000
	s_xor_b64 s[42:43], exec, -1
; %bb.202:                              ;   in Loop: Header=BB271_12 Depth=1
	s_or_b64 exec, exec, s[46:47]
	s_and_b64 s[42:43], s[42:43], exec
.LBB271_203:                            ;   in Loop: Header=BB271_12 Depth=1
	s_or_saveexec_b64 s[44:45], s[44:45]
	v_mov_b32_e32 v0, s50
	scratch_store_dword off, v0, s32 offset:332 ; 4-byte Folded Spill
	s_xor_b64 exec, exec, s[44:45]
	s_cbranch_execz .LBB271_205
; %bb.204:                              ;   in Loop: Header=BB271_12 Depth=1
	v_cmp_ne_u16_e32 vcc, 0, v4
	s_andn2_b64 s[42:43], s[42:43], exec
	s_and_b64 vcc, vcc, exec
	v_mov_b32_e32 v0, 0
	s_or_b64 s[42:43], s[42:43], vcc
	scratch_store_dword off, v0, s32 offset:332 ; 4-byte Folded Spill
.LBB271_205:                            ;   in Loop: Header=BB271_12 Depth=1
	s_or_b64 exec, exec, s[44:45]
	s_and_saveexec_b64 s[44:45], s[42:43]
	s_cbranch_execz .LBB271_207
; %bb.206:                              ;   in Loop: Header=BB271_12 Depth=1
	v_bfe_u32 v2, v18, 24, 3
	v_ffbh_u32_e32 v0, v2
	v_min_u32_e32 v6, 32, v0
	v_subrev_u32_e32 v0, 28, v6
	v_bfe_u32 v3, v18, 27, 4
	v_lshlrev_b64 v[0:1], v0, v[4:5]
	v_sub_u32_e32 v1, 29, v6
	v_cmp_eq_u32_e32 vcc, 0, v3
	v_and_b32_e32 v0, 7, v0
	s_nop 0
	v_cndmask_b32_e32 v1, v3, v1, vcc
	v_cndmask_b32_e32 v0, v2, v0, vcc
	v_lshlrev_b32_e32 v2, 8, v4
	v_lshl_add_u32 v1, v1, 10, v54
	v_and_or_b32 v1, v2, s49, v1
	v_lshl_or_b32 v0, v0, 7, v1
	v_cvt_f32_f16_e32 v0, v0
	scratch_store_dword off, v0, s32 offset:332 ; 4-byte Folded Spill
.LBB271_207:                            ;   in Loop: Header=BB271_12 Depth=1
	s_or_b64 exec, exec, s[44:45]
	flat_load_dword v18, v[34:35] offset:1544
	s_mov_b64 vcc, 0
                                        ; implicit-def: $sgpr46
	s_waitcnt vmcnt(0) lgkmcnt(0)
	v_cmp_gt_i16_sdwa s[42:43], v18, s17 src0_sel:BYTE_0 src1_sel:DWORD
	s_and_saveexec_b64 s[44:45], s[42:43]
	s_xor_b64 s[42:43], exec, s[44:45]
	s_cbranch_execz .LBB271_211
; %bb.208:                              ;   in Loop: Header=BB271_12 Depth=1
	v_cmp_eq_u16_sdwa s[50:51], v18, s48 src0_sel:BYTE_0 src1_sel:DWORD
	s_mov_b64 vcc, -1
                                        ; implicit-def: $sgpr46
	s_and_saveexec_b64 s[44:45], s[50:51]
; %bb.209:                              ;   in Loop: Header=BB271_12 Depth=1
	s_mov_b32 s46, 0x7fc02000
	s_xor_b64 vcc, exec, -1
; %bb.210:                              ;   in Loop: Header=BB271_12 Depth=1
	s_or_b64 exec, exec, s[44:45]
	s_and_b64 vcc, vcc, exec
.LBB271_211:                            ;   in Loop: Header=BB271_12 Depth=1
	s_or_saveexec_b64 s[42:43], s[42:43]
	v_mov_b32_e32 v0, s46
	scratch_store_dword off, v0, s32 offset:336 ; 4-byte Folded Spill
	s_xor_b64 exec, exec, s[42:43]
	s_cbranch_execz .LBB271_213
; %bb.212:                              ;   in Loop: Header=BB271_12 Depth=1
	v_cmp_ne_u16_sdwa s[44:45], v18, v5 src0_sel:BYTE_0 src1_sel:DWORD
	s_andn2_b64 vcc, vcc, exec
	s_and_b64 s[44:45], s[44:45], exec
	v_mov_b32_e32 v0, 0
	s_or_b64 vcc, vcc, s[44:45]
	scratch_store_dword off, v0, s32 offset:336 ; 4-byte Folded Spill
.LBB271_213:                            ;   in Loop: Header=BB271_12 Depth=1
	s_or_b64 exec, exec, s[42:43]
	s_and_saveexec_b64 s[42:43], vcc
	s_cbranch_execz .LBB271_215
; %bb.214:                              ;   in Loop: Header=BB271_12 Depth=1
	v_and_b32_e32 v2, 7, v18
	v_ffbh_u32_e32 v0, v2
	v_min_u32_e32 v4, 32, v0
	v_subrev_u32_e32 v0, 28, v4
	v_bfe_u32 v3, v18, 3, 4
	v_lshlrev_b64 v[0:1], v0, v[18:19]
	v_sub_u32_e32 v1, 29, v4
	v_cmp_eq_u32_e32 vcc, 0, v3
	v_and_b32_e32 v0, 7, v0
	s_nop 0
	v_cndmask_b32_e32 v1, v3, v1, vcc
	v_cndmask_b32_e32 v0, v2, v0, vcc
	v_lshlrev_b32_e32 v2, 8, v18
	v_lshl_add_u32 v1, v1, 10, v54
	v_and_or_b32 v1, v2, s49, v1
	v_lshl_or_b32 v0, v0, 7, v1
	v_cvt_f32_f16_e32 v0, v0
	scratch_store_dword off, v0, s32 offset:336 ; 4-byte Folded Spill
.LBB271_215:                            ;   in Loop: Header=BB271_12 Depth=1
	s_or_b64 exec, exec, s[42:43]
	v_lshrrev_b16_e32 v4, 8, v18
	v_cmp_lt_i16_e32 vcc, s17, v4
	s_mov_b64 s[42:43], 0
                                        ; implicit-def: $sgpr50
	s_and_saveexec_b64 s[44:45], vcc
	s_xor_b64 s[44:45], exec, s[44:45]
	s_cbranch_execz .LBB271_219
; %bb.216:                              ;   in Loop: Header=BB271_12 Depth=1
	v_cmp_eq_u16_e32 vcc, s48, v4
	s_mov_b64 s[42:43], -1
                                        ; implicit-def: $sgpr50
	s_and_saveexec_b64 s[46:47], vcc
; %bb.217:                              ;   in Loop: Header=BB271_12 Depth=1
	s_mov_b32 s50, 0x7fc02000
	s_xor_b64 s[42:43], exec, -1
; %bb.218:                              ;   in Loop: Header=BB271_12 Depth=1
	s_or_b64 exec, exec, s[46:47]
	s_and_b64 s[42:43], s[42:43], exec
.LBB271_219:                            ;   in Loop: Header=BB271_12 Depth=1
	s_or_saveexec_b64 s[44:45], s[44:45]
	v_mov_b32_e32 v0, s50
	scratch_store_dword off, v0, s32 offset:340 ; 4-byte Folded Spill
	s_xor_b64 exec, exec, s[44:45]
	s_cbranch_execz .LBB271_221
; %bb.220:                              ;   in Loop: Header=BB271_12 Depth=1
	v_cmp_ne_u16_e32 vcc, 0, v4
	s_andn2_b64 s[42:43], s[42:43], exec
	s_and_b64 vcc, vcc, exec
	v_mov_b32_e32 v0, 0
	s_or_b64 s[42:43], s[42:43], vcc
	scratch_store_dword off, v0, s32 offset:340 ; 4-byte Folded Spill
.LBB271_221:                            ;   in Loop: Header=BB271_12 Depth=1
	s_or_b64 exec, exec, s[44:45]
	s_and_saveexec_b64 s[44:45], s[42:43]
	s_cbranch_execz .LBB271_223
; %bb.222:                              ;   in Loop: Header=BB271_12 Depth=1
	v_and_b32_e32 v2, 7, v4
	v_ffbh_u32_e32 v0, v2
	v_min_u32_e32 v6, 32, v0
	v_subrev_u32_e32 v0, 28, v6
	v_bfe_u32 v3, v4, 3, 4
	v_lshlrev_b64 v[0:1], v0, v[4:5]
	v_sub_u32_e32 v1, 29, v6
	v_cmp_eq_u32_e32 vcc, 0, v3
	v_and_b32_e32 v0, 7, v0
	s_nop 0
	v_cndmask_b32_e32 v1, v3, v1, vcc
	v_cndmask_b32_e32 v0, v2, v0, vcc
	v_lshlrev_b32_e32 v2, 8, v4
	v_lshl_add_u32 v1, v1, 10, v54
	v_and_or_b32 v1, v2, s49, v1
	v_lshl_or_b32 v0, v0, 7, v1
	v_cvt_f32_f16_e32 v0, v0
	scratch_store_dword off, v0, s32 offset:340 ; 4-byte Folded Spill
.LBB271_223:                            ;   in Loop: Header=BB271_12 Depth=1
	s_or_b64 exec, exec, s[44:45]
	v_lshrrev_b32_e32 v4, 16, v18
	v_cmp_gt_i16_sdwa s[42:43], v4, s17 src0_sel:BYTE_0 src1_sel:DWORD
	s_mov_b64 vcc, 0
                                        ; implicit-def: $sgpr46
	s_and_saveexec_b64 s[44:45], s[42:43]
	s_xor_b64 s[42:43], exec, s[44:45]
	s_cbranch_execz .LBB271_227
; %bb.224:                              ;   in Loop: Header=BB271_12 Depth=1
	v_cmp_eq_u16_sdwa s[50:51], v4, s48 src0_sel:BYTE_0 src1_sel:DWORD
	s_mov_b64 vcc, -1
                                        ; implicit-def: $sgpr46
	s_and_saveexec_b64 s[44:45], s[50:51]
; %bb.225:                              ;   in Loop: Header=BB271_12 Depth=1
	s_mov_b32 s46, 0x7fc02000
	s_xor_b64 vcc, exec, -1
; %bb.226:                              ;   in Loop: Header=BB271_12 Depth=1
	s_or_b64 exec, exec, s[44:45]
	s_and_b64 vcc, vcc, exec
.LBB271_227:                            ;   in Loop: Header=BB271_12 Depth=1
	s_or_saveexec_b64 s[42:43], s[42:43]
	v_mov_b32_e32 v0, s46
	scratch_store_dword off, v0, s32 offset:344 ; 4-byte Folded Spill
	s_xor_b64 exec, exec, s[42:43]
	s_cbranch_execz .LBB271_229
; %bb.228:                              ;   in Loop: Header=BB271_12 Depth=1
	v_cmp_ne_u16_sdwa s[44:45], v4, v5 src0_sel:BYTE_0 src1_sel:DWORD
	s_andn2_b64 vcc, vcc, exec
	s_and_b64 s[44:45], s[44:45], exec
	v_mov_b32_e32 v0, 0
	s_or_b64 vcc, vcc, s[44:45]
	scratch_store_dword off, v0, s32 offset:344 ; 4-byte Folded Spill
.LBB271_229:                            ;   in Loop: Header=BB271_12 Depth=1
	s_or_b64 exec, exec, s[42:43]
	s_and_saveexec_b64 s[42:43], vcc
	s_cbranch_execz .LBB271_231
; %bb.230:                              ;   in Loop: Header=BB271_12 Depth=1
	v_bfe_u32 v2, v18, 16, 3
	v_ffbh_u32_e32 v0, v2
	v_min_u32_e32 v6, 32, v0
	v_subrev_u32_e32 v0, 28, v6
	v_bfe_u32 v3, v18, 19, 4
	v_lshlrev_b64 v[0:1], v0, v[4:5]
	v_sub_u32_e32 v1, 29, v6
	v_cmp_eq_u32_e32 vcc, 0, v3
	v_and_b32_e32 v0, 7, v0
	s_nop 0
	v_cndmask_b32_e32 v1, v3, v1, vcc
	v_cndmask_b32_e32 v0, v2, v0, vcc
	v_lshlrev_b32_e32 v2, 8, v4
	v_lshl_add_u32 v1, v1, 10, v54
	v_and_or_b32 v1, v2, s49, v1
	v_lshl_or_b32 v0, v0, 7, v1
	v_cvt_f32_f16_e32 v0, v0
	scratch_store_dword off, v0, s32 offset:344 ; 4-byte Folded Spill
.LBB271_231:                            ;   in Loop: Header=BB271_12 Depth=1
	s_or_b64 exec, exec, s[42:43]
	v_lshrrev_b32_e32 v4, 24, v18
	v_cmp_lt_i16_e32 vcc, s17, v4
	s_mov_b64 s[42:43], 0
                                        ; implicit-def: $sgpr50
	s_and_saveexec_b64 s[44:45], vcc
	s_xor_b64 s[44:45], exec, s[44:45]
	s_cbranch_execz .LBB271_235
; %bb.232:                              ;   in Loop: Header=BB271_12 Depth=1
	v_cmp_eq_u16_e32 vcc, s48, v4
	s_mov_b64 s[42:43], -1
                                        ; implicit-def: $sgpr50
	s_and_saveexec_b64 s[46:47], vcc
; %bb.233:                              ;   in Loop: Header=BB271_12 Depth=1
	s_mov_b32 s50, 0x7fc02000
	s_xor_b64 s[42:43], exec, -1
; %bb.234:                              ;   in Loop: Header=BB271_12 Depth=1
	s_or_b64 exec, exec, s[46:47]
	s_and_b64 s[42:43], s[42:43], exec
.LBB271_235:                            ;   in Loop: Header=BB271_12 Depth=1
	s_or_saveexec_b64 s[44:45], s[44:45]
	v_mov_b32_e32 v0, s50
	scratch_store_dword off, v0, s32 offset:348 ; 4-byte Folded Spill
	s_xor_b64 exec, exec, s[44:45]
	s_cbranch_execz .LBB271_237
; %bb.236:                              ;   in Loop: Header=BB271_12 Depth=1
	v_cmp_ne_u16_e32 vcc, 0, v4
	s_andn2_b64 s[42:43], s[42:43], exec
	s_and_b64 vcc, vcc, exec
	v_mov_b32_e32 v0, 0
	s_or_b64 s[42:43], s[42:43], vcc
	scratch_store_dword off, v0, s32 offset:348 ; 4-byte Folded Spill
.LBB271_237:                            ;   in Loop: Header=BB271_12 Depth=1
	s_or_b64 exec, exec, s[44:45]
	s_and_saveexec_b64 s[44:45], s[42:43]
	s_cbranch_execz .LBB271_239
; %bb.238:                              ;   in Loop: Header=BB271_12 Depth=1
	v_bfe_u32 v2, v18, 24, 3
	v_ffbh_u32_e32 v0, v2
	v_min_u32_e32 v6, 32, v0
	v_subrev_u32_e32 v0, 28, v6
	v_bfe_u32 v3, v18, 27, 4
	v_lshlrev_b64 v[0:1], v0, v[4:5]
	v_sub_u32_e32 v1, 29, v6
	v_cmp_eq_u32_e32 vcc, 0, v3
	v_and_b32_e32 v0, 7, v0
	s_nop 0
	v_cndmask_b32_e32 v1, v3, v1, vcc
	v_cndmask_b32_e32 v0, v2, v0, vcc
	v_lshlrev_b32_e32 v2, 8, v4
	v_lshl_add_u32 v1, v1, 10, v54
	v_and_or_b32 v1, v2, s49, v1
	v_lshl_or_b32 v0, v0, 7, v1
	v_cvt_f32_f16_e32 v0, v0
	scratch_store_dword off, v0, s32 offset:348 ; 4-byte Folded Spill
.LBB271_239:                            ;   in Loop: Header=BB271_12 Depth=1
	s_or_b64 exec, exec, s[44:45]
	flat_load_dword v18, v[34:35] offset:2048
	s_mov_b64 vcc, 0
                                        ; implicit-def: $sgpr46
	s_waitcnt vmcnt(0) lgkmcnt(0)
	v_cmp_gt_i16_sdwa s[42:43], v18, s17 src0_sel:BYTE_0 src1_sel:DWORD
	s_and_saveexec_b64 s[44:45], s[42:43]
	s_xor_b64 s[42:43], exec, s[44:45]
	s_cbranch_execz .LBB271_243
; %bb.240:                              ;   in Loop: Header=BB271_12 Depth=1
	v_cmp_eq_u16_sdwa s[50:51], v18, s48 src0_sel:BYTE_0 src1_sel:DWORD
	s_mov_b64 vcc, -1
                                        ; implicit-def: $sgpr46
	s_and_saveexec_b64 s[44:45], s[50:51]
; %bb.241:                              ;   in Loop: Header=BB271_12 Depth=1
	s_mov_b32 s46, 0x7fc02000
	s_xor_b64 vcc, exec, -1
; %bb.242:                              ;   in Loop: Header=BB271_12 Depth=1
	s_or_b64 exec, exec, s[44:45]
	s_and_b64 vcc, vcc, exec
.LBB271_243:                            ;   in Loop: Header=BB271_12 Depth=1
	s_or_saveexec_b64 s[42:43], s[42:43]
	v_mov_b32_e32 v0, s46
	scratch_store_dword off, v0, s32 offset:352 ; 4-byte Folded Spill
	s_xor_b64 exec, exec, s[42:43]
	s_cbranch_execz .LBB271_245
; %bb.244:                              ;   in Loop: Header=BB271_12 Depth=1
	v_cmp_ne_u16_sdwa s[44:45], v18, v5 src0_sel:BYTE_0 src1_sel:DWORD
	s_andn2_b64 vcc, vcc, exec
	s_and_b64 s[44:45], s[44:45], exec
	v_mov_b32_e32 v0, 0
	s_or_b64 vcc, vcc, s[44:45]
	scratch_store_dword off, v0, s32 offset:352 ; 4-byte Folded Spill
.LBB271_245:                            ;   in Loop: Header=BB271_12 Depth=1
	s_or_b64 exec, exec, s[42:43]
	s_and_saveexec_b64 s[42:43], vcc
	s_cbranch_execz .LBB271_247
; %bb.246:                              ;   in Loop: Header=BB271_12 Depth=1
	v_and_b32_e32 v2, 7, v18
	v_ffbh_u32_e32 v0, v2
	v_min_u32_e32 v4, 32, v0
	v_subrev_u32_e32 v0, 28, v4
	v_bfe_u32 v3, v18, 3, 4
	v_lshlrev_b64 v[0:1], v0, v[18:19]
	v_sub_u32_e32 v1, 29, v4
	v_cmp_eq_u32_e32 vcc, 0, v3
	v_and_b32_e32 v0, 7, v0
	s_nop 0
	v_cndmask_b32_e32 v1, v3, v1, vcc
	v_cndmask_b32_e32 v0, v2, v0, vcc
	v_lshlrev_b32_e32 v2, 8, v18
	v_lshl_add_u32 v1, v1, 10, v54
	v_and_or_b32 v1, v2, s49, v1
	v_lshl_or_b32 v0, v0, 7, v1
	v_cvt_f32_f16_e32 v0, v0
	scratch_store_dword off, v0, s32 offset:352 ; 4-byte Folded Spill
.LBB271_247:                            ;   in Loop: Header=BB271_12 Depth=1
	s_or_b64 exec, exec, s[42:43]
	v_lshrrev_b16_e32 v4, 8, v18
	v_cmp_lt_i16_e32 vcc, s17, v4
	s_mov_b64 s[42:43], 0
                                        ; implicit-def: $sgpr50
	s_and_saveexec_b64 s[44:45], vcc
	s_xor_b64 s[44:45], exec, s[44:45]
	s_cbranch_execz .LBB271_251
; %bb.248:                              ;   in Loop: Header=BB271_12 Depth=1
	v_cmp_eq_u16_e32 vcc, s48, v4
	s_mov_b64 s[42:43], -1
                                        ; implicit-def: $sgpr50
	s_and_saveexec_b64 s[46:47], vcc
; %bb.249:                              ;   in Loop: Header=BB271_12 Depth=1
	s_mov_b32 s50, 0x7fc02000
	s_xor_b64 s[42:43], exec, -1
; %bb.250:                              ;   in Loop: Header=BB271_12 Depth=1
	s_or_b64 exec, exec, s[46:47]
	s_and_b64 s[42:43], s[42:43], exec
.LBB271_251:                            ;   in Loop: Header=BB271_12 Depth=1
	s_or_saveexec_b64 s[44:45], s[44:45]
	v_mov_b32_e32 v0, s50
	scratch_store_dword off, v0, s32 offset:356 ; 4-byte Folded Spill
	s_xor_b64 exec, exec, s[44:45]
	s_cbranch_execz .LBB271_253
; %bb.252:                              ;   in Loop: Header=BB271_12 Depth=1
	v_cmp_ne_u16_e32 vcc, 0, v4
	s_andn2_b64 s[42:43], s[42:43], exec
	s_and_b64 vcc, vcc, exec
	v_mov_b32_e32 v0, 0
	s_or_b64 s[42:43], s[42:43], vcc
	scratch_store_dword off, v0, s32 offset:356 ; 4-byte Folded Spill
.LBB271_253:                            ;   in Loop: Header=BB271_12 Depth=1
	s_or_b64 exec, exec, s[44:45]
	s_and_saveexec_b64 s[44:45], s[42:43]
	s_cbranch_execz .LBB271_255
; %bb.254:                              ;   in Loop: Header=BB271_12 Depth=1
	v_and_b32_e32 v2, 7, v4
	v_ffbh_u32_e32 v0, v2
	v_min_u32_e32 v6, 32, v0
	v_subrev_u32_e32 v0, 28, v6
	v_bfe_u32 v3, v4, 3, 4
	v_lshlrev_b64 v[0:1], v0, v[4:5]
	v_sub_u32_e32 v1, 29, v6
	v_cmp_eq_u32_e32 vcc, 0, v3
	v_and_b32_e32 v0, 7, v0
	s_nop 0
	v_cndmask_b32_e32 v1, v3, v1, vcc
	v_cndmask_b32_e32 v0, v2, v0, vcc
	v_lshlrev_b32_e32 v2, 8, v4
	v_lshl_add_u32 v1, v1, 10, v54
	v_and_or_b32 v1, v2, s49, v1
	v_lshl_or_b32 v0, v0, 7, v1
	v_cvt_f32_f16_e32 v0, v0
	scratch_store_dword off, v0, s32 offset:356 ; 4-byte Folded Spill
.LBB271_255:                            ;   in Loop: Header=BB271_12 Depth=1
	s_or_b64 exec, exec, s[44:45]
	v_lshrrev_b32_e32 v4, 16, v18
	v_cmp_gt_i16_sdwa s[42:43], v4, s17 src0_sel:BYTE_0 src1_sel:DWORD
	s_mov_b64 vcc, 0
                                        ; implicit-def: $sgpr46
	s_and_saveexec_b64 s[44:45], s[42:43]
	s_xor_b64 s[42:43], exec, s[44:45]
	s_cbranch_execz .LBB271_259
; %bb.256:                              ;   in Loop: Header=BB271_12 Depth=1
	v_cmp_eq_u16_sdwa s[50:51], v4, s48 src0_sel:BYTE_0 src1_sel:DWORD
	s_mov_b64 vcc, -1
                                        ; implicit-def: $sgpr46
	s_and_saveexec_b64 s[44:45], s[50:51]
; %bb.257:                              ;   in Loop: Header=BB271_12 Depth=1
	s_mov_b32 s46, 0x7fc02000
	s_xor_b64 vcc, exec, -1
; %bb.258:                              ;   in Loop: Header=BB271_12 Depth=1
	s_or_b64 exec, exec, s[44:45]
	s_and_b64 vcc, vcc, exec
.LBB271_259:                            ;   in Loop: Header=BB271_12 Depth=1
	s_or_saveexec_b64 s[42:43], s[42:43]
	v_mov_b32_e32 v0, s46
	scratch_store_dword off, v0, s32 offset:360 ; 4-byte Folded Spill
	s_xor_b64 exec, exec, s[42:43]
	s_cbranch_execz .LBB271_261
; %bb.260:                              ;   in Loop: Header=BB271_12 Depth=1
	v_cmp_ne_u16_sdwa s[44:45], v4, v5 src0_sel:BYTE_0 src1_sel:DWORD
	s_andn2_b64 vcc, vcc, exec
	s_and_b64 s[44:45], s[44:45], exec
	v_mov_b32_e32 v0, 0
	s_or_b64 vcc, vcc, s[44:45]
	scratch_store_dword off, v0, s32 offset:360 ; 4-byte Folded Spill
.LBB271_261:                            ;   in Loop: Header=BB271_12 Depth=1
	s_or_b64 exec, exec, s[42:43]
	s_and_saveexec_b64 s[42:43], vcc
	s_cbranch_execz .LBB271_263
; %bb.262:                              ;   in Loop: Header=BB271_12 Depth=1
	v_bfe_u32 v2, v18, 16, 3
	v_ffbh_u32_e32 v0, v2
	v_min_u32_e32 v6, 32, v0
	v_subrev_u32_e32 v0, 28, v6
	v_bfe_u32 v3, v18, 19, 4
	v_lshlrev_b64 v[0:1], v0, v[4:5]
	v_sub_u32_e32 v1, 29, v6
	v_cmp_eq_u32_e32 vcc, 0, v3
	v_and_b32_e32 v0, 7, v0
	s_nop 0
	v_cndmask_b32_e32 v1, v3, v1, vcc
	v_cndmask_b32_e32 v0, v2, v0, vcc
	v_lshlrev_b32_e32 v2, 8, v4
	v_lshl_add_u32 v1, v1, 10, v54
	v_and_or_b32 v1, v2, s49, v1
	v_lshl_or_b32 v0, v0, 7, v1
	v_cvt_f32_f16_e32 v0, v0
	scratch_store_dword off, v0, s32 offset:360 ; 4-byte Folded Spill
.LBB271_263:                            ;   in Loop: Header=BB271_12 Depth=1
	s_or_b64 exec, exec, s[42:43]
	v_lshrrev_b32_e32 v4, 24, v18
	v_cmp_lt_i16_e32 vcc, s17, v4
	s_mov_b64 s[42:43], 0
                                        ; implicit-def: $sgpr50
	s_and_saveexec_b64 s[44:45], vcc
	s_xor_b64 s[44:45], exec, s[44:45]
	s_cbranch_execz .LBB271_267
; %bb.264:                              ;   in Loop: Header=BB271_12 Depth=1
	v_cmp_eq_u16_e32 vcc, s48, v4
	s_mov_b64 s[42:43], -1
                                        ; implicit-def: $sgpr50
	s_and_saveexec_b64 s[46:47], vcc
; %bb.265:                              ;   in Loop: Header=BB271_12 Depth=1
	s_mov_b32 s50, 0x7fc02000
	s_xor_b64 s[42:43], exec, -1
; %bb.266:                              ;   in Loop: Header=BB271_12 Depth=1
	s_or_b64 exec, exec, s[46:47]
	s_and_b64 s[42:43], s[42:43], exec
.LBB271_267:                            ;   in Loop: Header=BB271_12 Depth=1
	s_or_saveexec_b64 s[44:45], s[44:45]
	v_mov_b32_e32 v0, s50
	scratch_store_dword off, v0, s32 offset:364 ; 4-byte Folded Spill
	s_xor_b64 exec, exec, s[44:45]
	s_cbranch_execz .LBB271_269
; %bb.268:                              ;   in Loop: Header=BB271_12 Depth=1
	v_cmp_ne_u16_e32 vcc, 0, v4
	s_andn2_b64 s[42:43], s[42:43], exec
	s_and_b64 vcc, vcc, exec
	v_mov_b32_e32 v0, 0
	s_or_b64 s[42:43], s[42:43], vcc
	scratch_store_dword off, v0, s32 offset:364 ; 4-byte Folded Spill
.LBB271_269:                            ;   in Loop: Header=BB271_12 Depth=1
	s_or_b64 exec, exec, s[44:45]
	s_and_saveexec_b64 s[44:45], s[42:43]
	s_cbranch_execz .LBB271_271
; %bb.270:                              ;   in Loop: Header=BB271_12 Depth=1
	v_bfe_u32 v2, v18, 24, 3
	v_ffbh_u32_e32 v0, v2
	v_min_u32_e32 v6, 32, v0
	v_subrev_u32_e32 v0, 28, v6
	v_bfe_u32 v3, v18, 27, 4
	v_lshlrev_b64 v[0:1], v0, v[4:5]
	v_sub_u32_e32 v1, 29, v6
	v_cmp_eq_u32_e32 vcc, 0, v3
	v_and_b32_e32 v0, 7, v0
	s_nop 0
	v_cndmask_b32_e32 v1, v3, v1, vcc
	v_cndmask_b32_e32 v0, v2, v0, vcc
	v_lshlrev_b32_e32 v2, 8, v4
	v_lshl_add_u32 v1, v1, 10, v54
	v_and_or_b32 v1, v2, s49, v1
	v_lshl_or_b32 v0, v0, 7, v1
	v_cvt_f32_f16_e32 v0, v0
	scratch_store_dword off, v0, s32 offset:364 ; 4-byte Folded Spill
.LBB271_271:                            ;   in Loop: Header=BB271_12 Depth=1
	s_or_b64 exec, exec, s[44:45]
	flat_load_dword v18, v[34:35] offset:2056
	s_mov_b64 vcc, 0
                                        ; implicit-def: $sgpr46
	s_waitcnt vmcnt(0) lgkmcnt(0)
	v_cmp_gt_i16_sdwa s[42:43], v18, s17 src0_sel:BYTE_0 src1_sel:DWORD
	s_and_saveexec_b64 s[44:45], s[42:43]
	s_xor_b64 s[42:43], exec, s[44:45]
	s_cbranch_execz .LBB271_275
; %bb.272:                              ;   in Loop: Header=BB271_12 Depth=1
	v_cmp_eq_u16_sdwa s[50:51], v18, s48 src0_sel:BYTE_0 src1_sel:DWORD
	s_mov_b64 vcc, -1
                                        ; implicit-def: $sgpr46
	s_and_saveexec_b64 s[44:45], s[50:51]
; %bb.273:                              ;   in Loop: Header=BB271_12 Depth=1
	s_mov_b32 s46, 0x7fc02000
	s_xor_b64 vcc, exec, -1
; %bb.274:                              ;   in Loop: Header=BB271_12 Depth=1
	s_or_b64 exec, exec, s[44:45]
	s_and_b64 vcc, vcc, exec
.LBB271_275:                            ;   in Loop: Header=BB271_12 Depth=1
	s_or_saveexec_b64 s[42:43], s[42:43]
	v_mov_b32_e32 v0, s46
	scratch_store_dword off, v0, s32 offset:368 ; 4-byte Folded Spill
	s_xor_b64 exec, exec, s[42:43]
	s_cbranch_execz .LBB271_277
; %bb.276:                              ;   in Loop: Header=BB271_12 Depth=1
	v_cmp_ne_u16_sdwa s[44:45], v18, v5 src0_sel:BYTE_0 src1_sel:DWORD
	s_andn2_b64 vcc, vcc, exec
	s_and_b64 s[44:45], s[44:45], exec
	v_mov_b32_e32 v0, 0
	s_or_b64 vcc, vcc, s[44:45]
	scratch_store_dword off, v0, s32 offset:368 ; 4-byte Folded Spill
.LBB271_277:                            ;   in Loop: Header=BB271_12 Depth=1
	s_or_b64 exec, exec, s[42:43]
	s_and_saveexec_b64 s[42:43], vcc
	s_cbranch_execz .LBB271_279
; %bb.278:                              ;   in Loop: Header=BB271_12 Depth=1
	v_and_b32_e32 v2, 7, v18
	v_ffbh_u32_e32 v0, v2
	v_min_u32_e32 v4, 32, v0
	v_subrev_u32_e32 v0, 28, v4
	v_bfe_u32 v3, v18, 3, 4
	v_lshlrev_b64 v[0:1], v0, v[18:19]
	v_sub_u32_e32 v1, 29, v4
	v_cmp_eq_u32_e32 vcc, 0, v3
	v_and_b32_e32 v0, 7, v0
	s_nop 0
	v_cndmask_b32_e32 v1, v3, v1, vcc
	v_cndmask_b32_e32 v0, v2, v0, vcc
	v_lshlrev_b32_e32 v2, 8, v18
	v_lshl_add_u32 v1, v1, 10, v54
	v_and_or_b32 v1, v2, s49, v1
	v_lshl_or_b32 v0, v0, 7, v1
	v_cvt_f32_f16_e32 v0, v0
	scratch_store_dword off, v0, s32 offset:368 ; 4-byte Folded Spill
.LBB271_279:                            ;   in Loop: Header=BB271_12 Depth=1
	s_or_b64 exec, exec, s[42:43]
	v_lshrrev_b16_e32 v4, 8, v18
	v_cmp_lt_i16_e32 vcc, s17, v4
	s_mov_b64 s[42:43], 0
                                        ; implicit-def: $sgpr50
	s_and_saveexec_b64 s[44:45], vcc
	s_xor_b64 s[44:45], exec, s[44:45]
	s_cbranch_execz .LBB271_283
; %bb.280:                              ;   in Loop: Header=BB271_12 Depth=1
	v_cmp_eq_u16_e32 vcc, s48, v4
	s_mov_b64 s[42:43], -1
                                        ; implicit-def: $sgpr50
	s_and_saveexec_b64 s[46:47], vcc
; %bb.281:                              ;   in Loop: Header=BB271_12 Depth=1
	s_mov_b32 s50, 0x7fc02000
	s_xor_b64 s[42:43], exec, -1
; %bb.282:                              ;   in Loop: Header=BB271_12 Depth=1
	s_or_b64 exec, exec, s[46:47]
	s_and_b64 s[42:43], s[42:43], exec
.LBB271_283:                            ;   in Loop: Header=BB271_12 Depth=1
	s_or_saveexec_b64 s[44:45], s[44:45]
	v_mov_b32_e32 v0, s50
	scratch_store_dword off, v0, s32 offset:372 ; 4-byte Folded Spill
	s_xor_b64 exec, exec, s[44:45]
	s_cbranch_execz .LBB271_285
; %bb.284:                              ;   in Loop: Header=BB271_12 Depth=1
	v_cmp_ne_u16_e32 vcc, 0, v4
	s_andn2_b64 s[42:43], s[42:43], exec
	s_and_b64 vcc, vcc, exec
	v_mov_b32_e32 v0, 0
	s_or_b64 s[42:43], s[42:43], vcc
	scratch_store_dword off, v0, s32 offset:372 ; 4-byte Folded Spill
.LBB271_285:                            ;   in Loop: Header=BB271_12 Depth=1
	s_or_b64 exec, exec, s[44:45]
	s_and_saveexec_b64 s[44:45], s[42:43]
	s_cbranch_execz .LBB271_287
; %bb.286:                              ;   in Loop: Header=BB271_12 Depth=1
	v_and_b32_e32 v2, 7, v4
	v_ffbh_u32_e32 v0, v2
	v_min_u32_e32 v6, 32, v0
	v_subrev_u32_e32 v0, 28, v6
	v_bfe_u32 v3, v4, 3, 4
	v_lshlrev_b64 v[0:1], v0, v[4:5]
	v_sub_u32_e32 v1, 29, v6
	v_cmp_eq_u32_e32 vcc, 0, v3
	v_and_b32_e32 v0, 7, v0
	s_nop 0
	v_cndmask_b32_e32 v1, v3, v1, vcc
	v_cndmask_b32_e32 v0, v2, v0, vcc
	v_lshlrev_b32_e32 v2, 8, v4
	v_lshl_add_u32 v1, v1, 10, v54
	v_and_or_b32 v1, v2, s49, v1
	v_lshl_or_b32 v0, v0, 7, v1
	v_cvt_f32_f16_e32 v0, v0
	scratch_store_dword off, v0, s32 offset:372 ; 4-byte Folded Spill
.LBB271_287:                            ;   in Loop: Header=BB271_12 Depth=1
	s_or_b64 exec, exec, s[44:45]
	v_lshrrev_b32_e32 v4, 16, v18
	v_cmp_gt_i16_sdwa s[42:43], v4, s17 src0_sel:BYTE_0 src1_sel:DWORD
	s_mov_b64 vcc, 0
                                        ; implicit-def: $sgpr46
	s_and_saveexec_b64 s[44:45], s[42:43]
	s_xor_b64 s[42:43], exec, s[44:45]
	s_cbranch_execz .LBB271_291
; %bb.288:                              ;   in Loop: Header=BB271_12 Depth=1
	v_cmp_eq_u16_sdwa s[50:51], v4, s48 src0_sel:BYTE_0 src1_sel:DWORD
	s_mov_b64 vcc, -1
                                        ; implicit-def: $sgpr46
	s_and_saveexec_b64 s[44:45], s[50:51]
; %bb.289:                              ;   in Loop: Header=BB271_12 Depth=1
	s_mov_b32 s46, 0x7fc02000
	s_xor_b64 vcc, exec, -1
; %bb.290:                              ;   in Loop: Header=BB271_12 Depth=1
	s_or_b64 exec, exec, s[44:45]
	s_and_b64 vcc, vcc, exec
.LBB271_291:                            ;   in Loop: Header=BB271_12 Depth=1
	s_or_saveexec_b64 s[42:43], s[42:43]
	v_mov_b32_e32 v0, s46
	scratch_store_dword off, v0, s32 offset:376 ; 4-byte Folded Spill
	s_xor_b64 exec, exec, s[42:43]
	s_cbranch_execz .LBB271_293
; %bb.292:                              ;   in Loop: Header=BB271_12 Depth=1
	v_cmp_ne_u16_sdwa s[44:45], v4, v5 src0_sel:BYTE_0 src1_sel:DWORD
	s_andn2_b64 vcc, vcc, exec
	s_and_b64 s[44:45], s[44:45], exec
	v_mov_b32_e32 v0, 0
	s_or_b64 vcc, vcc, s[44:45]
	scratch_store_dword off, v0, s32 offset:376 ; 4-byte Folded Spill
.LBB271_293:                            ;   in Loop: Header=BB271_12 Depth=1
	s_or_b64 exec, exec, s[42:43]
	s_and_saveexec_b64 s[42:43], vcc
	s_cbranch_execz .LBB271_295
; %bb.294:                              ;   in Loop: Header=BB271_12 Depth=1
	v_bfe_u32 v2, v18, 16, 3
	v_ffbh_u32_e32 v0, v2
	v_min_u32_e32 v6, 32, v0
	v_subrev_u32_e32 v0, 28, v6
	v_bfe_u32 v3, v18, 19, 4
	v_lshlrev_b64 v[0:1], v0, v[4:5]
	v_sub_u32_e32 v1, 29, v6
	v_cmp_eq_u32_e32 vcc, 0, v3
	v_and_b32_e32 v0, 7, v0
	s_nop 0
	v_cndmask_b32_e32 v1, v3, v1, vcc
	v_cndmask_b32_e32 v0, v2, v0, vcc
	v_lshlrev_b32_e32 v2, 8, v4
	v_lshl_add_u32 v1, v1, 10, v54
	v_and_or_b32 v1, v2, s49, v1
	v_lshl_or_b32 v0, v0, 7, v1
	v_cvt_f32_f16_e32 v0, v0
	scratch_store_dword off, v0, s32 offset:376 ; 4-byte Folded Spill
.LBB271_295:                            ;   in Loop: Header=BB271_12 Depth=1
	s_or_b64 exec, exec, s[42:43]
	v_lshrrev_b32_e32 v4, 24, v18
	v_cmp_lt_i16_e32 vcc, s17, v4
	s_mov_b64 s[42:43], 0
                                        ; implicit-def: $sgpr50
	s_and_saveexec_b64 s[44:45], vcc
	s_xor_b64 s[44:45], exec, s[44:45]
	s_cbranch_execz .LBB271_299
; %bb.296:                              ;   in Loop: Header=BB271_12 Depth=1
	v_cmp_eq_u16_e32 vcc, s48, v4
	s_mov_b64 s[42:43], -1
                                        ; implicit-def: $sgpr50
	s_and_saveexec_b64 s[46:47], vcc
; %bb.297:                              ;   in Loop: Header=BB271_12 Depth=1
	s_mov_b32 s50, 0x7fc02000
	s_xor_b64 s[42:43], exec, -1
; %bb.298:                              ;   in Loop: Header=BB271_12 Depth=1
	s_or_b64 exec, exec, s[46:47]
	s_and_b64 s[42:43], s[42:43], exec
.LBB271_299:                            ;   in Loop: Header=BB271_12 Depth=1
	s_or_saveexec_b64 s[44:45], s[44:45]
	v_mov_b32_e32 v0, s50
	scratch_store_dword off, v0, s32 offset:380 ; 4-byte Folded Spill
	s_xor_b64 exec, exec, s[44:45]
	s_cbranch_execz .LBB271_301
; %bb.300:                              ;   in Loop: Header=BB271_12 Depth=1
	v_cmp_ne_u16_e32 vcc, 0, v4
	s_andn2_b64 s[42:43], s[42:43], exec
	s_and_b64 vcc, vcc, exec
	v_mov_b32_e32 v0, 0
	s_or_b64 s[42:43], s[42:43], vcc
	scratch_store_dword off, v0, s32 offset:380 ; 4-byte Folded Spill
.LBB271_301:                            ;   in Loop: Header=BB271_12 Depth=1
	s_or_b64 exec, exec, s[44:45]
	s_and_saveexec_b64 s[44:45], s[42:43]
	s_cbranch_execz .LBB271_303
; %bb.302:                              ;   in Loop: Header=BB271_12 Depth=1
	v_bfe_u32 v2, v18, 24, 3
	v_ffbh_u32_e32 v0, v2
	v_min_u32_e32 v6, 32, v0
	v_subrev_u32_e32 v0, 28, v6
	v_bfe_u32 v3, v18, 27, 4
	v_lshlrev_b64 v[0:1], v0, v[4:5]
	v_sub_u32_e32 v1, 29, v6
	v_cmp_eq_u32_e32 vcc, 0, v3
	v_and_b32_e32 v0, 7, v0
	s_nop 0
	v_cndmask_b32_e32 v1, v3, v1, vcc
	v_cndmask_b32_e32 v0, v2, v0, vcc
	v_lshlrev_b32_e32 v2, 8, v4
	v_lshl_add_u32 v1, v1, 10, v54
	v_and_or_b32 v1, v2, s49, v1
	v_lshl_or_b32 v0, v0, 7, v1
	v_cvt_f32_f16_e32 v0, v0
	scratch_store_dword off, v0, s32 offset:380 ; 4-byte Folded Spill
.LBB271_303:                            ;   in Loop: Header=BB271_12 Depth=1
	s_or_b64 exec, exec, s[44:45]
	flat_load_dword v18, v[34:35] offset:2560
	s_mov_b64 vcc, 0
                                        ; implicit-def: $sgpr46
	s_waitcnt vmcnt(0) lgkmcnt(0)
	v_cmp_gt_i16_sdwa s[42:43], v18, s17 src0_sel:BYTE_0 src1_sel:DWORD
	s_and_saveexec_b64 s[44:45], s[42:43]
	s_xor_b64 s[42:43], exec, s[44:45]
	s_cbranch_execz .LBB271_307
; %bb.304:                              ;   in Loop: Header=BB271_12 Depth=1
	v_cmp_eq_u16_sdwa s[50:51], v18, s48 src0_sel:BYTE_0 src1_sel:DWORD
	s_mov_b64 vcc, -1
                                        ; implicit-def: $sgpr46
	s_and_saveexec_b64 s[44:45], s[50:51]
; %bb.305:                              ;   in Loop: Header=BB271_12 Depth=1
	s_mov_b32 s46, 0x7fc02000
	s_xor_b64 vcc, exec, -1
; %bb.306:                              ;   in Loop: Header=BB271_12 Depth=1
	s_or_b64 exec, exec, s[44:45]
	s_and_b64 vcc, vcc, exec
.LBB271_307:                            ;   in Loop: Header=BB271_12 Depth=1
	s_or_saveexec_b64 s[42:43], s[42:43]
	v_mov_b32_e32 v0, s46
	scratch_store_dword off, v0, s32 offset:384 ; 4-byte Folded Spill
	s_xor_b64 exec, exec, s[42:43]
	s_cbranch_execz .LBB271_309
; %bb.308:                              ;   in Loop: Header=BB271_12 Depth=1
	v_cmp_ne_u16_sdwa s[44:45], v18, v5 src0_sel:BYTE_0 src1_sel:DWORD
	s_andn2_b64 vcc, vcc, exec
	s_and_b64 s[44:45], s[44:45], exec
	v_mov_b32_e32 v0, 0
	s_or_b64 vcc, vcc, s[44:45]
	scratch_store_dword off, v0, s32 offset:384 ; 4-byte Folded Spill
.LBB271_309:                            ;   in Loop: Header=BB271_12 Depth=1
	s_or_b64 exec, exec, s[42:43]
	s_and_saveexec_b64 s[42:43], vcc
	s_cbranch_execz .LBB271_311
; %bb.310:                              ;   in Loop: Header=BB271_12 Depth=1
	v_and_b32_e32 v2, 7, v18
	v_ffbh_u32_e32 v0, v2
	v_min_u32_e32 v4, 32, v0
	v_subrev_u32_e32 v0, 28, v4
	v_bfe_u32 v3, v18, 3, 4
	v_lshlrev_b64 v[0:1], v0, v[18:19]
	v_sub_u32_e32 v1, 29, v4
	v_cmp_eq_u32_e32 vcc, 0, v3
	v_and_b32_e32 v0, 7, v0
	s_nop 0
	v_cndmask_b32_e32 v1, v3, v1, vcc
	v_cndmask_b32_e32 v0, v2, v0, vcc
	v_lshlrev_b32_e32 v2, 8, v18
	v_lshl_add_u32 v1, v1, 10, v54
	v_and_or_b32 v1, v2, s49, v1
	v_lshl_or_b32 v0, v0, 7, v1
	v_cvt_f32_f16_e32 v0, v0
	scratch_store_dword off, v0, s32 offset:384 ; 4-byte Folded Spill
.LBB271_311:                            ;   in Loop: Header=BB271_12 Depth=1
	s_or_b64 exec, exec, s[42:43]
	v_lshrrev_b16_e32 v4, 8, v18
	v_cmp_lt_i16_e32 vcc, s17, v4
	s_mov_b64 s[42:43], 0
                                        ; implicit-def: $sgpr50
	s_and_saveexec_b64 s[44:45], vcc
	s_xor_b64 s[44:45], exec, s[44:45]
	s_cbranch_execz .LBB271_315
; %bb.312:                              ;   in Loop: Header=BB271_12 Depth=1
	v_cmp_eq_u16_e32 vcc, s48, v4
	s_mov_b64 s[42:43], -1
                                        ; implicit-def: $sgpr50
	s_and_saveexec_b64 s[46:47], vcc
; %bb.313:                              ;   in Loop: Header=BB271_12 Depth=1
	s_mov_b32 s50, 0x7fc02000
	s_xor_b64 s[42:43], exec, -1
; %bb.314:                              ;   in Loop: Header=BB271_12 Depth=1
	s_or_b64 exec, exec, s[46:47]
	s_and_b64 s[42:43], s[42:43], exec
.LBB271_315:                            ;   in Loop: Header=BB271_12 Depth=1
	s_or_saveexec_b64 s[44:45], s[44:45]
	v_mov_b32_e32 v0, s50
	scratch_store_dword off, v0, s32 offset:388 ; 4-byte Folded Spill
	s_xor_b64 exec, exec, s[44:45]
	s_cbranch_execz .LBB271_317
; %bb.316:                              ;   in Loop: Header=BB271_12 Depth=1
	v_cmp_ne_u16_e32 vcc, 0, v4
	s_andn2_b64 s[42:43], s[42:43], exec
	s_and_b64 vcc, vcc, exec
	v_mov_b32_e32 v0, 0
	s_or_b64 s[42:43], s[42:43], vcc
	scratch_store_dword off, v0, s32 offset:388 ; 4-byte Folded Spill
.LBB271_317:                            ;   in Loop: Header=BB271_12 Depth=1
	s_or_b64 exec, exec, s[44:45]
	s_and_saveexec_b64 s[44:45], s[42:43]
	s_cbranch_execz .LBB271_319
; %bb.318:                              ;   in Loop: Header=BB271_12 Depth=1
	v_and_b32_e32 v2, 7, v4
	v_ffbh_u32_e32 v0, v2
	v_min_u32_e32 v6, 32, v0
	v_subrev_u32_e32 v0, 28, v6
	v_bfe_u32 v3, v4, 3, 4
	v_lshlrev_b64 v[0:1], v0, v[4:5]
	v_sub_u32_e32 v1, 29, v6
	v_cmp_eq_u32_e32 vcc, 0, v3
	v_and_b32_e32 v0, 7, v0
	s_nop 0
	v_cndmask_b32_e32 v1, v3, v1, vcc
	v_cndmask_b32_e32 v0, v2, v0, vcc
	v_lshlrev_b32_e32 v2, 8, v4
	v_lshl_add_u32 v1, v1, 10, v54
	v_and_or_b32 v1, v2, s49, v1
	v_lshl_or_b32 v0, v0, 7, v1
	v_cvt_f32_f16_e32 v0, v0
	scratch_store_dword off, v0, s32 offset:388 ; 4-byte Folded Spill
.LBB271_319:                            ;   in Loop: Header=BB271_12 Depth=1
	s_or_b64 exec, exec, s[44:45]
	v_lshrrev_b32_e32 v4, 16, v18
	v_cmp_gt_i16_sdwa s[42:43], v4, s17 src0_sel:BYTE_0 src1_sel:DWORD
	s_mov_b64 vcc, 0
                                        ; implicit-def: $sgpr46
	s_and_saveexec_b64 s[44:45], s[42:43]
	s_xor_b64 s[42:43], exec, s[44:45]
	s_cbranch_execz .LBB271_323
; %bb.320:                              ;   in Loop: Header=BB271_12 Depth=1
	v_cmp_eq_u16_sdwa s[50:51], v4, s48 src0_sel:BYTE_0 src1_sel:DWORD
	s_mov_b64 vcc, -1
                                        ; implicit-def: $sgpr46
	s_and_saveexec_b64 s[44:45], s[50:51]
; %bb.321:                              ;   in Loop: Header=BB271_12 Depth=1
	s_mov_b32 s46, 0x7fc02000
	s_xor_b64 vcc, exec, -1
; %bb.322:                              ;   in Loop: Header=BB271_12 Depth=1
	s_or_b64 exec, exec, s[44:45]
	s_and_b64 vcc, vcc, exec
.LBB271_323:                            ;   in Loop: Header=BB271_12 Depth=1
	s_or_saveexec_b64 s[42:43], s[42:43]
	v_mov_b32_e32 v0, s46
	scratch_store_dword off, v0, s32 offset:392 ; 4-byte Folded Spill
	s_xor_b64 exec, exec, s[42:43]
	s_cbranch_execz .LBB271_325
; %bb.324:                              ;   in Loop: Header=BB271_12 Depth=1
	v_cmp_ne_u16_sdwa s[44:45], v4, v5 src0_sel:BYTE_0 src1_sel:DWORD
	s_andn2_b64 vcc, vcc, exec
	s_and_b64 s[44:45], s[44:45], exec
	v_mov_b32_e32 v0, 0
	s_or_b64 vcc, vcc, s[44:45]
	scratch_store_dword off, v0, s32 offset:392 ; 4-byte Folded Spill
.LBB271_325:                            ;   in Loop: Header=BB271_12 Depth=1
	s_or_b64 exec, exec, s[42:43]
	s_and_saveexec_b64 s[42:43], vcc
	s_cbranch_execz .LBB271_327
; %bb.326:                              ;   in Loop: Header=BB271_12 Depth=1
	v_bfe_u32 v2, v18, 16, 3
	v_ffbh_u32_e32 v0, v2
	v_min_u32_e32 v6, 32, v0
	v_subrev_u32_e32 v0, 28, v6
	v_bfe_u32 v3, v18, 19, 4
	v_lshlrev_b64 v[0:1], v0, v[4:5]
	v_sub_u32_e32 v1, 29, v6
	v_cmp_eq_u32_e32 vcc, 0, v3
	v_and_b32_e32 v0, 7, v0
	s_nop 0
	v_cndmask_b32_e32 v1, v3, v1, vcc
	v_cndmask_b32_e32 v0, v2, v0, vcc
	v_lshlrev_b32_e32 v2, 8, v4
	v_lshl_add_u32 v1, v1, 10, v54
	v_and_or_b32 v1, v2, s49, v1
	v_lshl_or_b32 v0, v0, 7, v1
	v_cvt_f32_f16_e32 v0, v0
	scratch_store_dword off, v0, s32 offset:392 ; 4-byte Folded Spill
.LBB271_327:                            ;   in Loop: Header=BB271_12 Depth=1
	s_or_b64 exec, exec, s[42:43]
	v_lshrrev_b32_e32 v4, 24, v18
	v_cmp_lt_i16_e32 vcc, s17, v4
	s_mov_b64 s[42:43], 0
                                        ; implicit-def: $sgpr50
	s_and_saveexec_b64 s[44:45], vcc
	s_xor_b64 s[44:45], exec, s[44:45]
	s_cbranch_execz .LBB271_331
; %bb.328:                              ;   in Loop: Header=BB271_12 Depth=1
	v_cmp_eq_u16_e32 vcc, s48, v4
	s_mov_b64 s[42:43], -1
                                        ; implicit-def: $sgpr50
	s_and_saveexec_b64 s[46:47], vcc
; %bb.329:                              ;   in Loop: Header=BB271_12 Depth=1
	s_mov_b32 s50, 0x7fc02000
	s_xor_b64 s[42:43], exec, -1
; %bb.330:                              ;   in Loop: Header=BB271_12 Depth=1
	s_or_b64 exec, exec, s[46:47]
	s_and_b64 s[42:43], s[42:43], exec
.LBB271_331:                            ;   in Loop: Header=BB271_12 Depth=1
	s_or_saveexec_b64 s[44:45], s[44:45]
	v_mov_b32_e32 v0, s50
	scratch_store_dword off, v0, s32 offset:396 ; 4-byte Folded Spill
	s_xor_b64 exec, exec, s[44:45]
	s_cbranch_execz .LBB271_333
; %bb.332:                              ;   in Loop: Header=BB271_12 Depth=1
	v_cmp_ne_u16_e32 vcc, 0, v4
	s_andn2_b64 s[42:43], s[42:43], exec
	s_and_b64 vcc, vcc, exec
	v_mov_b32_e32 v0, 0
	s_or_b64 s[42:43], s[42:43], vcc
	scratch_store_dword off, v0, s32 offset:396 ; 4-byte Folded Spill
.LBB271_333:                            ;   in Loop: Header=BB271_12 Depth=1
	s_or_b64 exec, exec, s[44:45]
	s_and_saveexec_b64 s[44:45], s[42:43]
	s_cbranch_execz .LBB271_335
; %bb.334:                              ;   in Loop: Header=BB271_12 Depth=1
	v_bfe_u32 v2, v18, 24, 3
	v_ffbh_u32_e32 v0, v2
	v_min_u32_e32 v6, 32, v0
	v_subrev_u32_e32 v0, 28, v6
	v_bfe_u32 v3, v18, 27, 4
	v_lshlrev_b64 v[0:1], v0, v[4:5]
	v_sub_u32_e32 v1, 29, v6
	v_cmp_eq_u32_e32 vcc, 0, v3
	v_and_b32_e32 v0, 7, v0
	s_nop 0
	v_cndmask_b32_e32 v1, v3, v1, vcc
	v_cndmask_b32_e32 v0, v2, v0, vcc
	v_lshlrev_b32_e32 v2, 8, v4
	v_lshl_add_u32 v1, v1, 10, v54
	v_and_or_b32 v1, v2, s49, v1
	v_lshl_or_b32 v0, v0, 7, v1
	v_cvt_f32_f16_e32 v0, v0
	scratch_store_dword off, v0, s32 offset:396 ; 4-byte Folded Spill
.LBB271_335:                            ;   in Loop: Header=BB271_12 Depth=1
	s_or_b64 exec, exec, s[44:45]
	flat_load_dword v18, v[34:35] offset:2568
	s_mov_b64 vcc, 0
                                        ; implicit-def: $sgpr46
	s_waitcnt vmcnt(0) lgkmcnt(0)
	v_cmp_gt_i16_sdwa s[42:43], v18, s17 src0_sel:BYTE_0 src1_sel:DWORD
	s_and_saveexec_b64 s[44:45], s[42:43]
	s_xor_b64 s[42:43], exec, s[44:45]
	s_cbranch_execz .LBB271_339
; %bb.336:                              ;   in Loop: Header=BB271_12 Depth=1
	v_cmp_eq_u16_sdwa s[50:51], v18, s48 src0_sel:BYTE_0 src1_sel:DWORD
	s_mov_b64 vcc, -1
                                        ; implicit-def: $sgpr46
	s_and_saveexec_b64 s[44:45], s[50:51]
; %bb.337:                              ;   in Loop: Header=BB271_12 Depth=1
	s_mov_b32 s46, 0x7fc02000
	s_xor_b64 vcc, exec, -1
; %bb.338:                              ;   in Loop: Header=BB271_12 Depth=1
	s_or_b64 exec, exec, s[44:45]
	s_and_b64 vcc, vcc, exec
.LBB271_339:                            ;   in Loop: Header=BB271_12 Depth=1
	s_or_saveexec_b64 s[42:43], s[42:43]
	v_mov_b32_e32 v0, s46
	scratch_store_dword off, v0, s32 offset:400 ; 4-byte Folded Spill
	s_xor_b64 exec, exec, s[42:43]
	s_cbranch_execz .LBB271_341
; %bb.340:                              ;   in Loop: Header=BB271_12 Depth=1
	v_cmp_ne_u16_sdwa s[44:45], v18, v5 src0_sel:BYTE_0 src1_sel:DWORD
	s_andn2_b64 vcc, vcc, exec
	s_and_b64 s[44:45], s[44:45], exec
	v_mov_b32_e32 v0, 0
	s_or_b64 vcc, vcc, s[44:45]
	scratch_store_dword off, v0, s32 offset:400 ; 4-byte Folded Spill
.LBB271_341:                            ;   in Loop: Header=BB271_12 Depth=1
	s_or_b64 exec, exec, s[42:43]
	s_and_saveexec_b64 s[42:43], vcc
	s_cbranch_execz .LBB271_343
; %bb.342:                              ;   in Loop: Header=BB271_12 Depth=1
	v_and_b32_e32 v2, 7, v18
	v_ffbh_u32_e32 v0, v2
	v_min_u32_e32 v4, 32, v0
	v_subrev_u32_e32 v0, 28, v4
	v_bfe_u32 v3, v18, 3, 4
	v_lshlrev_b64 v[0:1], v0, v[18:19]
	v_sub_u32_e32 v1, 29, v4
	v_cmp_eq_u32_e32 vcc, 0, v3
	v_and_b32_e32 v0, 7, v0
	s_nop 0
	v_cndmask_b32_e32 v1, v3, v1, vcc
	v_cndmask_b32_e32 v0, v2, v0, vcc
	v_lshlrev_b32_e32 v2, 8, v18
	v_lshl_add_u32 v1, v1, 10, v54
	v_and_or_b32 v1, v2, s49, v1
	v_lshl_or_b32 v0, v0, 7, v1
	v_cvt_f32_f16_e32 v0, v0
	scratch_store_dword off, v0, s32 offset:400 ; 4-byte Folded Spill
.LBB271_343:                            ;   in Loop: Header=BB271_12 Depth=1
	s_or_b64 exec, exec, s[42:43]
	v_lshrrev_b16_e32 v4, 8, v18
	v_cmp_lt_i16_e32 vcc, s17, v4
	s_mov_b64 s[42:43], 0
                                        ; implicit-def: $sgpr50
	s_and_saveexec_b64 s[44:45], vcc
	s_xor_b64 s[44:45], exec, s[44:45]
	s_cbranch_execz .LBB271_347
; %bb.344:                              ;   in Loop: Header=BB271_12 Depth=1
	v_cmp_eq_u16_e32 vcc, s48, v4
	s_mov_b64 s[42:43], -1
                                        ; implicit-def: $sgpr50
	s_and_saveexec_b64 s[46:47], vcc
; %bb.345:                              ;   in Loop: Header=BB271_12 Depth=1
	s_mov_b32 s50, 0x7fc02000
	s_xor_b64 s[42:43], exec, -1
; %bb.346:                              ;   in Loop: Header=BB271_12 Depth=1
	s_or_b64 exec, exec, s[46:47]
	s_and_b64 s[42:43], s[42:43], exec
.LBB271_347:                            ;   in Loop: Header=BB271_12 Depth=1
	s_or_saveexec_b64 s[44:45], s[44:45]
	v_mov_b32_e32 v0, s50
	scratch_store_dword off, v0, s32 offset:404 ; 4-byte Folded Spill
	s_xor_b64 exec, exec, s[44:45]
	s_cbranch_execz .LBB271_349
; %bb.348:                              ;   in Loop: Header=BB271_12 Depth=1
	v_cmp_ne_u16_e32 vcc, 0, v4
	s_andn2_b64 s[42:43], s[42:43], exec
	s_and_b64 vcc, vcc, exec
	v_mov_b32_e32 v0, 0
	s_or_b64 s[42:43], s[42:43], vcc
	scratch_store_dword off, v0, s32 offset:404 ; 4-byte Folded Spill
.LBB271_349:                            ;   in Loop: Header=BB271_12 Depth=1
	s_or_b64 exec, exec, s[44:45]
	s_and_saveexec_b64 s[44:45], s[42:43]
	s_cbranch_execz .LBB271_351
; %bb.350:                              ;   in Loop: Header=BB271_12 Depth=1
	v_and_b32_e32 v2, 7, v4
	v_ffbh_u32_e32 v0, v2
	v_min_u32_e32 v6, 32, v0
	v_subrev_u32_e32 v0, 28, v6
	v_bfe_u32 v3, v4, 3, 4
	v_lshlrev_b64 v[0:1], v0, v[4:5]
	v_sub_u32_e32 v1, 29, v6
	v_cmp_eq_u32_e32 vcc, 0, v3
	v_and_b32_e32 v0, 7, v0
	s_nop 0
	v_cndmask_b32_e32 v1, v3, v1, vcc
	v_cndmask_b32_e32 v0, v2, v0, vcc
	v_lshlrev_b32_e32 v2, 8, v4
	v_lshl_add_u32 v1, v1, 10, v54
	v_and_or_b32 v1, v2, s49, v1
	v_lshl_or_b32 v0, v0, 7, v1
	v_cvt_f32_f16_e32 v0, v0
	scratch_store_dword off, v0, s32 offset:404 ; 4-byte Folded Spill
.LBB271_351:                            ;   in Loop: Header=BB271_12 Depth=1
	s_or_b64 exec, exec, s[44:45]
	v_lshrrev_b32_e32 v4, 16, v18
	v_cmp_gt_i16_sdwa s[42:43], v4, s17 src0_sel:BYTE_0 src1_sel:DWORD
	s_mov_b64 vcc, 0
                                        ; implicit-def: $sgpr46
	s_and_saveexec_b64 s[44:45], s[42:43]
	s_xor_b64 s[42:43], exec, s[44:45]
	s_cbranch_execz .LBB271_355
; %bb.352:                              ;   in Loop: Header=BB271_12 Depth=1
	v_cmp_eq_u16_sdwa s[50:51], v4, s48 src0_sel:BYTE_0 src1_sel:DWORD
	s_mov_b64 vcc, -1
                                        ; implicit-def: $sgpr46
	s_and_saveexec_b64 s[44:45], s[50:51]
; %bb.353:                              ;   in Loop: Header=BB271_12 Depth=1
	s_mov_b32 s46, 0x7fc02000
	s_xor_b64 vcc, exec, -1
; %bb.354:                              ;   in Loop: Header=BB271_12 Depth=1
	s_or_b64 exec, exec, s[44:45]
	s_and_b64 vcc, vcc, exec
.LBB271_355:                            ;   in Loop: Header=BB271_12 Depth=1
	s_or_saveexec_b64 s[42:43], s[42:43]
	v_mov_b32_e32 v0, s46
	scratch_store_dword off, v0, s32 offset:408 ; 4-byte Folded Spill
	s_xor_b64 exec, exec, s[42:43]
	s_cbranch_execz .LBB271_357
; %bb.356:                              ;   in Loop: Header=BB271_12 Depth=1
	v_cmp_ne_u16_sdwa s[44:45], v4, v5 src0_sel:BYTE_0 src1_sel:DWORD
	s_andn2_b64 vcc, vcc, exec
	s_and_b64 s[44:45], s[44:45], exec
	v_mov_b32_e32 v0, 0
	s_or_b64 vcc, vcc, s[44:45]
	scratch_store_dword off, v0, s32 offset:408 ; 4-byte Folded Spill
.LBB271_357:                            ;   in Loop: Header=BB271_12 Depth=1
	s_or_b64 exec, exec, s[42:43]
	s_and_saveexec_b64 s[42:43], vcc
	s_cbranch_execz .LBB271_359
; %bb.358:                              ;   in Loop: Header=BB271_12 Depth=1
	v_bfe_u32 v2, v18, 16, 3
	v_ffbh_u32_e32 v0, v2
	v_min_u32_e32 v6, 32, v0
	v_subrev_u32_e32 v0, 28, v6
	v_bfe_u32 v3, v18, 19, 4
	v_lshlrev_b64 v[0:1], v0, v[4:5]
	v_sub_u32_e32 v1, 29, v6
	v_cmp_eq_u32_e32 vcc, 0, v3
	v_and_b32_e32 v0, 7, v0
	s_nop 0
	v_cndmask_b32_e32 v1, v3, v1, vcc
	v_cndmask_b32_e32 v0, v2, v0, vcc
	v_lshlrev_b32_e32 v2, 8, v4
	v_lshl_add_u32 v1, v1, 10, v54
	v_and_or_b32 v1, v2, s49, v1
	v_lshl_or_b32 v0, v0, 7, v1
	v_cvt_f32_f16_e32 v0, v0
	scratch_store_dword off, v0, s32 offset:408 ; 4-byte Folded Spill
.LBB271_359:                            ;   in Loop: Header=BB271_12 Depth=1
	s_or_b64 exec, exec, s[42:43]
	v_lshrrev_b32_e32 v4, 24, v18
	v_cmp_lt_i16_e32 vcc, s17, v4
	s_mov_b64 s[42:43], 0
                                        ; implicit-def: $sgpr50
	s_and_saveexec_b64 s[44:45], vcc
	s_xor_b64 s[44:45], exec, s[44:45]
	s_cbranch_execz .LBB271_363
; %bb.360:                              ;   in Loop: Header=BB271_12 Depth=1
	v_cmp_eq_u16_e32 vcc, s48, v4
	s_mov_b64 s[42:43], -1
                                        ; implicit-def: $sgpr50
	s_and_saveexec_b64 s[46:47], vcc
; %bb.361:                              ;   in Loop: Header=BB271_12 Depth=1
	s_mov_b32 s50, 0x7fc02000
	s_xor_b64 s[42:43], exec, -1
; %bb.362:                              ;   in Loop: Header=BB271_12 Depth=1
	s_or_b64 exec, exec, s[46:47]
	s_and_b64 s[42:43], s[42:43], exec
.LBB271_363:                            ;   in Loop: Header=BB271_12 Depth=1
	s_or_saveexec_b64 s[44:45], s[44:45]
	v_mov_b32_e32 v0, s50
	scratch_store_dword off, v0, s32 offset:412 ; 4-byte Folded Spill
	s_xor_b64 exec, exec, s[44:45]
	s_cbranch_execz .LBB271_365
; %bb.364:                              ;   in Loop: Header=BB271_12 Depth=1
	v_cmp_ne_u16_e32 vcc, 0, v4
	s_andn2_b64 s[42:43], s[42:43], exec
	s_and_b64 vcc, vcc, exec
	v_mov_b32_e32 v0, 0
	s_or_b64 s[42:43], s[42:43], vcc
	scratch_store_dword off, v0, s32 offset:412 ; 4-byte Folded Spill
.LBB271_365:                            ;   in Loop: Header=BB271_12 Depth=1
	s_or_b64 exec, exec, s[44:45]
	s_and_saveexec_b64 s[44:45], s[42:43]
	s_cbranch_execz .LBB271_367
; %bb.366:                              ;   in Loop: Header=BB271_12 Depth=1
	v_bfe_u32 v2, v18, 24, 3
	v_ffbh_u32_e32 v0, v2
	v_min_u32_e32 v6, 32, v0
	v_subrev_u32_e32 v0, 28, v6
	v_bfe_u32 v3, v18, 27, 4
	v_lshlrev_b64 v[0:1], v0, v[4:5]
	v_sub_u32_e32 v1, 29, v6
	v_cmp_eq_u32_e32 vcc, 0, v3
	v_and_b32_e32 v0, 7, v0
	s_nop 0
	v_cndmask_b32_e32 v1, v3, v1, vcc
	v_cndmask_b32_e32 v0, v2, v0, vcc
	v_lshlrev_b32_e32 v2, 8, v4
	v_lshl_add_u32 v1, v1, 10, v54
	v_and_or_b32 v1, v2, s49, v1
	v_lshl_or_b32 v0, v0, 7, v1
	v_cvt_f32_f16_e32 v0, v0
	scratch_store_dword off, v0, s32 offset:412 ; 4-byte Folded Spill
.LBB271_367:                            ;   in Loop: Header=BB271_12 Depth=1
	s_or_b64 exec, exec, s[44:45]
	flat_load_dword v18, v[34:35] offset:3072
	s_mov_b64 vcc, 0
                                        ; implicit-def: $sgpr46
	s_waitcnt vmcnt(0) lgkmcnt(0)
	v_cmp_gt_i16_sdwa s[42:43], v18, s17 src0_sel:BYTE_0 src1_sel:DWORD
	s_and_saveexec_b64 s[44:45], s[42:43]
	s_xor_b64 s[42:43], exec, s[44:45]
	s_cbranch_execz .LBB271_371
; %bb.368:                              ;   in Loop: Header=BB271_12 Depth=1
	v_cmp_eq_u16_sdwa s[50:51], v18, s48 src0_sel:BYTE_0 src1_sel:DWORD
	s_mov_b64 vcc, -1
                                        ; implicit-def: $sgpr46
	s_and_saveexec_b64 s[44:45], s[50:51]
; %bb.369:                              ;   in Loop: Header=BB271_12 Depth=1
	s_mov_b32 s46, 0x7fc02000
	s_xor_b64 vcc, exec, -1
; %bb.370:                              ;   in Loop: Header=BB271_12 Depth=1
	s_or_b64 exec, exec, s[44:45]
	s_and_b64 vcc, vcc, exec
.LBB271_371:                            ;   in Loop: Header=BB271_12 Depth=1
	s_or_saveexec_b64 s[42:43], s[42:43]
	v_mov_b32_e32 v0, s46
	scratch_store_dword off, v0, s32 offset:416 ; 4-byte Folded Spill
	s_xor_b64 exec, exec, s[42:43]
	s_cbranch_execz .LBB271_373
; %bb.372:                              ;   in Loop: Header=BB271_12 Depth=1
	v_cmp_ne_u16_sdwa s[44:45], v18, v5 src0_sel:BYTE_0 src1_sel:DWORD
	s_andn2_b64 vcc, vcc, exec
	s_and_b64 s[44:45], s[44:45], exec
	v_mov_b32_e32 v0, 0
	s_or_b64 vcc, vcc, s[44:45]
	scratch_store_dword off, v0, s32 offset:416 ; 4-byte Folded Spill
.LBB271_373:                            ;   in Loop: Header=BB271_12 Depth=1
	s_or_b64 exec, exec, s[42:43]
	s_and_saveexec_b64 s[42:43], vcc
	s_cbranch_execz .LBB271_375
; %bb.374:                              ;   in Loop: Header=BB271_12 Depth=1
	v_and_b32_e32 v2, 7, v18
	v_ffbh_u32_e32 v0, v2
	v_min_u32_e32 v4, 32, v0
	v_subrev_u32_e32 v0, 28, v4
	v_bfe_u32 v3, v18, 3, 4
	v_lshlrev_b64 v[0:1], v0, v[18:19]
	v_sub_u32_e32 v1, 29, v4
	v_cmp_eq_u32_e32 vcc, 0, v3
	v_and_b32_e32 v0, 7, v0
	s_nop 0
	v_cndmask_b32_e32 v1, v3, v1, vcc
	v_cndmask_b32_e32 v0, v2, v0, vcc
	v_lshlrev_b32_e32 v2, 8, v18
	v_lshl_add_u32 v1, v1, 10, v54
	v_and_or_b32 v1, v2, s49, v1
	v_lshl_or_b32 v0, v0, 7, v1
	v_cvt_f32_f16_e32 v0, v0
	scratch_store_dword off, v0, s32 offset:416 ; 4-byte Folded Spill
.LBB271_375:                            ;   in Loop: Header=BB271_12 Depth=1
	s_or_b64 exec, exec, s[42:43]
	v_lshrrev_b16_e32 v4, 8, v18
	v_cmp_lt_i16_e32 vcc, s17, v4
	s_mov_b64 s[42:43], 0
                                        ; implicit-def: $sgpr50
	s_and_saveexec_b64 s[44:45], vcc
	s_xor_b64 s[44:45], exec, s[44:45]
	s_cbranch_execz .LBB271_379
; %bb.376:                              ;   in Loop: Header=BB271_12 Depth=1
	v_cmp_eq_u16_e32 vcc, s48, v4
	s_mov_b64 s[42:43], -1
                                        ; implicit-def: $sgpr50
	s_and_saveexec_b64 s[46:47], vcc
; %bb.377:                              ;   in Loop: Header=BB271_12 Depth=1
	s_mov_b32 s50, 0x7fc02000
	s_xor_b64 s[42:43], exec, -1
; %bb.378:                              ;   in Loop: Header=BB271_12 Depth=1
	s_or_b64 exec, exec, s[46:47]
	s_and_b64 s[42:43], s[42:43], exec
.LBB271_379:                            ;   in Loop: Header=BB271_12 Depth=1
	s_or_saveexec_b64 s[44:45], s[44:45]
	v_mov_b32_e32 v0, s50
	scratch_store_dword off, v0, s32 offset:420 ; 4-byte Folded Spill
	s_xor_b64 exec, exec, s[44:45]
	s_cbranch_execz .LBB271_381
; %bb.380:                              ;   in Loop: Header=BB271_12 Depth=1
	v_cmp_ne_u16_e32 vcc, 0, v4
	s_andn2_b64 s[42:43], s[42:43], exec
	s_and_b64 vcc, vcc, exec
	v_mov_b32_e32 v0, 0
	s_or_b64 s[42:43], s[42:43], vcc
	scratch_store_dword off, v0, s32 offset:420 ; 4-byte Folded Spill
.LBB271_381:                            ;   in Loop: Header=BB271_12 Depth=1
	s_or_b64 exec, exec, s[44:45]
	s_and_saveexec_b64 s[44:45], s[42:43]
	s_cbranch_execz .LBB271_383
; %bb.382:                              ;   in Loop: Header=BB271_12 Depth=1
	v_and_b32_e32 v2, 7, v4
	v_ffbh_u32_e32 v0, v2
	v_min_u32_e32 v6, 32, v0
	v_subrev_u32_e32 v0, 28, v6
	v_bfe_u32 v3, v4, 3, 4
	v_lshlrev_b64 v[0:1], v0, v[4:5]
	v_sub_u32_e32 v1, 29, v6
	v_cmp_eq_u32_e32 vcc, 0, v3
	v_and_b32_e32 v0, 7, v0
	s_nop 0
	v_cndmask_b32_e32 v1, v3, v1, vcc
	v_cndmask_b32_e32 v0, v2, v0, vcc
	v_lshlrev_b32_e32 v2, 8, v4
	v_lshl_add_u32 v1, v1, 10, v54
	v_and_or_b32 v1, v2, s49, v1
	v_lshl_or_b32 v0, v0, 7, v1
	v_cvt_f32_f16_e32 v0, v0
	scratch_store_dword off, v0, s32 offset:420 ; 4-byte Folded Spill
.LBB271_383:                            ;   in Loop: Header=BB271_12 Depth=1
	s_or_b64 exec, exec, s[44:45]
	v_lshrrev_b32_e32 v4, 16, v18
	v_cmp_gt_i16_sdwa s[42:43], v4, s17 src0_sel:BYTE_0 src1_sel:DWORD
	s_mov_b64 vcc, 0
                                        ; implicit-def: $sgpr46
	s_and_saveexec_b64 s[44:45], s[42:43]
	s_xor_b64 s[42:43], exec, s[44:45]
	s_cbranch_execz .LBB271_387
; %bb.384:                              ;   in Loop: Header=BB271_12 Depth=1
	v_cmp_eq_u16_sdwa s[50:51], v4, s48 src0_sel:BYTE_0 src1_sel:DWORD
	s_mov_b64 vcc, -1
                                        ; implicit-def: $sgpr46
	s_and_saveexec_b64 s[44:45], s[50:51]
; %bb.385:                              ;   in Loop: Header=BB271_12 Depth=1
	s_mov_b32 s46, 0x7fc02000
	s_xor_b64 vcc, exec, -1
; %bb.386:                              ;   in Loop: Header=BB271_12 Depth=1
	s_or_b64 exec, exec, s[44:45]
	s_and_b64 vcc, vcc, exec
.LBB271_387:                            ;   in Loop: Header=BB271_12 Depth=1
	s_or_saveexec_b64 s[42:43], s[42:43]
	v_mov_b32_e32 v0, s46
	scratch_store_dword off, v0, s32 offset:424 ; 4-byte Folded Spill
	s_xor_b64 exec, exec, s[42:43]
	s_cbranch_execz .LBB271_389
; %bb.388:                              ;   in Loop: Header=BB271_12 Depth=1
	v_cmp_ne_u16_sdwa s[44:45], v4, v5 src0_sel:BYTE_0 src1_sel:DWORD
	s_andn2_b64 vcc, vcc, exec
	s_and_b64 s[44:45], s[44:45], exec
	v_mov_b32_e32 v0, 0
	s_or_b64 vcc, vcc, s[44:45]
	scratch_store_dword off, v0, s32 offset:424 ; 4-byte Folded Spill
.LBB271_389:                            ;   in Loop: Header=BB271_12 Depth=1
	s_or_b64 exec, exec, s[42:43]
	s_and_saveexec_b64 s[42:43], vcc
	s_cbranch_execz .LBB271_391
; %bb.390:                              ;   in Loop: Header=BB271_12 Depth=1
	v_bfe_u32 v2, v18, 16, 3
	v_ffbh_u32_e32 v0, v2
	v_min_u32_e32 v6, 32, v0
	v_subrev_u32_e32 v0, 28, v6
	v_bfe_u32 v3, v18, 19, 4
	v_lshlrev_b64 v[0:1], v0, v[4:5]
	v_sub_u32_e32 v1, 29, v6
	v_cmp_eq_u32_e32 vcc, 0, v3
	v_and_b32_e32 v0, 7, v0
	s_nop 0
	v_cndmask_b32_e32 v1, v3, v1, vcc
	v_cndmask_b32_e32 v0, v2, v0, vcc
	v_lshlrev_b32_e32 v2, 8, v4
	v_lshl_add_u32 v1, v1, 10, v54
	v_and_or_b32 v1, v2, s49, v1
	v_lshl_or_b32 v0, v0, 7, v1
	v_cvt_f32_f16_e32 v0, v0
	scratch_store_dword off, v0, s32 offset:424 ; 4-byte Folded Spill
.LBB271_391:                            ;   in Loop: Header=BB271_12 Depth=1
	s_or_b64 exec, exec, s[42:43]
	v_lshrrev_b32_e32 v4, 24, v18
	v_cmp_lt_i16_e32 vcc, s17, v4
	s_mov_b64 s[42:43], 0
                                        ; implicit-def: $sgpr50
	s_and_saveexec_b64 s[44:45], vcc
	s_xor_b64 s[44:45], exec, s[44:45]
	s_cbranch_execz .LBB271_395
; %bb.392:                              ;   in Loop: Header=BB271_12 Depth=1
	v_cmp_eq_u16_e32 vcc, s48, v4
	s_mov_b64 s[42:43], -1
                                        ; implicit-def: $sgpr50
	s_and_saveexec_b64 s[46:47], vcc
; %bb.393:                              ;   in Loop: Header=BB271_12 Depth=1
	s_mov_b32 s50, 0x7fc02000
	s_xor_b64 s[42:43], exec, -1
; %bb.394:                              ;   in Loop: Header=BB271_12 Depth=1
	s_or_b64 exec, exec, s[46:47]
	s_and_b64 s[42:43], s[42:43], exec
.LBB271_395:                            ;   in Loop: Header=BB271_12 Depth=1
	s_or_saveexec_b64 s[44:45], s[44:45]
	v_mov_b32_e32 v0, s50
	scratch_store_dword off, v0, s32 offset:428 ; 4-byte Folded Spill
	s_xor_b64 exec, exec, s[44:45]
	s_cbranch_execz .LBB271_397
; %bb.396:                              ;   in Loop: Header=BB271_12 Depth=1
	v_cmp_ne_u16_e32 vcc, 0, v4
	s_andn2_b64 s[42:43], s[42:43], exec
	s_and_b64 vcc, vcc, exec
	v_mov_b32_e32 v0, 0
	s_or_b64 s[42:43], s[42:43], vcc
	scratch_store_dword off, v0, s32 offset:428 ; 4-byte Folded Spill
.LBB271_397:                            ;   in Loop: Header=BB271_12 Depth=1
	s_or_b64 exec, exec, s[44:45]
	s_and_saveexec_b64 s[44:45], s[42:43]
	s_cbranch_execz .LBB271_399
; %bb.398:                              ;   in Loop: Header=BB271_12 Depth=1
	v_bfe_u32 v2, v18, 24, 3
	v_ffbh_u32_e32 v0, v2
	v_min_u32_e32 v6, 32, v0
	v_subrev_u32_e32 v0, 28, v6
	v_bfe_u32 v3, v18, 27, 4
	v_lshlrev_b64 v[0:1], v0, v[4:5]
	v_sub_u32_e32 v1, 29, v6
	v_cmp_eq_u32_e32 vcc, 0, v3
	v_and_b32_e32 v0, 7, v0
	s_nop 0
	v_cndmask_b32_e32 v1, v3, v1, vcc
	v_cndmask_b32_e32 v0, v2, v0, vcc
	v_lshlrev_b32_e32 v2, 8, v4
	v_lshl_add_u32 v1, v1, 10, v54
	v_and_or_b32 v1, v2, s49, v1
	v_lshl_or_b32 v0, v0, 7, v1
	v_cvt_f32_f16_e32 v0, v0
	scratch_store_dword off, v0, s32 offset:428 ; 4-byte Folded Spill
.LBB271_399:                            ;   in Loop: Header=BB271_12 Depth=1
	s_or_b64 exec, exec, s[44:45]
	flat_load_dword v18, v[34:35] offset:3080
	s_mov_b64 vcc, 0
                                        ; implicit-def: $sgpr46
	s_waitcnt vmcnt(0) lgkmcnt(0)
	v_cmp_gt_i16_sdwa s[42:43], v18, s17 src0_sel:BYTE_0 src1_sel:DWORD
	s_and_saveexec_b64 s[44:45], s[42:43]
	s_xor_b64 s[42:43], exec, s[44:45]
	s_cbranch_execz .LBB271_403
; %bb.400:                              ;   in Loop: Header=BB271_12 Depth=1
	v_cmp_eq_u16_sdwa s[50:51], v18, s48 src0_sel:BYTE_0 src1_sel:DWORD
	s_mov_b64 vcc, -1
                                        ; implicit-def: $sgpr46
	s_and_saveexec_b64 s[44:45], s[50:51]
; %bb.401:                              ;   in Loop: Header=BB271_12 Depth=1
	s_mov_b32 s46, 0x7fc02000
	s_xor_b64 vcc, exec, -1
; %bb.402:                              ;   in Loop: Header=BB271_12 Depth=1
	s_or_b64 exec, exec, s[44:45]
	s_and_b64 vcc, vcc, exec
.LBB271_403:                            ;   in Loop: Header=BB271_12 Depth=1
	s_or_saveexec_b64 s[42:43], s[42:43]
	v_mov_b32_e32 v0, s46
	scratch_store_dword off, v0, s32 offset:432 ; 4-byte Folded Spill
	s_xor_b64 exec, exec, s[42:43]
	s_cbranch_execz .LBB271_405
; %bb.404:                              ;   in Loop: Header=BB271_12 Depth=1
	v_cmp_ne_u16_sdwa s[44:45], v18, v5 src0_sel:BYTE_0 src1_sel:DWORD
	s_andn2_b64 vcc, vcc, exec
	s_and_b64 s[44:45], s[44:45], exec
	v_mov_b32_e32 v0, 0
	s_or_b64 vcc, vcc, s[44:45]
	scratch_store_dword off, v0, s32 offset:432 ; 4-byte Folded Spill
.LBB271_405:                            ;   in Loop: Header=BB271_12 Depth=1
	s_or_b64 exec, exec, s[42:43]
	s_and_saveexec_b64 s[42:43], vcc
	s_cbranch_execz .LBB271_407
; %bb.406:                              ;   in Loop: Header=BB271_12 Depth=1
	v_and_b32_e32 v2, 7, v18
	v_ffbh_u32_e32 v0, v2
	v_min_u32_e32 v4, 32, v0
	v_subrev_u32_e32 v0, 28, v4
	v_bfe_u32 v3, v18, 3, 4
	v_lshlrev_b64 v[0:1], v0, v[18:19]
	v_sub_u32_e32 v1, 29, v4
	v_cmp_eq_u32_e32 vcc, 0, v3
	v_and_b32_e32 v0, 7, v0
	s_nop 0
	v_cndmask_b32_e32 v1, v3, v1, vcc
	v_cndmask_b32_e32 v0, v2, v0, vcc
	v_lshlrev_b32_e32 v2, 8, v18
	v_lshl_add_u32 v1, v1, 10, v54
	v_and_or_b32 v1, v2, s49, v1
	v_lshl_or_b32 v0, v0, 7, v1
	v_cvt_f32_f16_e32 v0, v0
	scratch_store_dword off, v0, s32 offset:432 ; 4-byte Folded Spill
.LBB271_407:                            ;   in Loop: Header=BB271_12 Depth=1
	s_or_b64 exec, exec, s[42:43]
	v_lshrrev_b16_e32 v4, 8, v18
	v_cmp_lt_i16_e32 vcc, s17, v4
	s_mov_b64 s[42:43], 0
                                        ; implicit-def: $sgpr50
	s_and_saveexec_b64 s[44:45], vcc
	s_xor_b64 s[44:45], exec, s[44:45]
	s_cbranch_execz .LBB271_411
; %bb.408:                              ;   in Loop: Header=BB271_12 Depth=1
	v_cmp_eq_u16_e32 vcc, s48, v4
	s_mov_b64 s[42:43], -1
                                        ; implicit-def: $sgpr50
	s_and_saveexec_b64 s[46:47], vcc
; %bb.409:                              ;   in Loop: Header=BB271_12 Depth=1
	s_mov_b32 s50, 0x7fc02000
	s_xor_b64 s[42:43], exec, -1
; %bb.410:                              ;   in Loop: Header=BB271_12 Depth=1
	s_or_b64 exec, exec, s[46:47]
	s_and_b64 s[42:43], s[42:43], exec
.LBB271_411:                            ;   in Loop: Header=BB271_12 Depth=1
	s_or_saveexec_b64 s[44:45], s[44:45]
	v_mov_b32_e32 v0, s50
	scratch_store_dword off, v0, s32 offset:436 ; 4-byte Folded Spill
	s_xor_b64 exec, exec, s[44:45]
	s_cbranch_execz .LBB271_413
; %bb.412:                              ;   in Loop: Header=BB271_12 Depth=1
	v_cmp_ne_u16_e32 vcc, 0, v4
	s_andn2_b64 s[42:43], s[42:43], exec
	s_and_b64 vcc, vcc, exec
	v_mov_b32_e32 v0, 0
	s_or_b64 s[42:43], s[42:43], vcc
	scratch_store_dword off, v0, s32 offset:436 ; 4-byte Folded Spill
.LBB271_413:                            ;   in Loop: Header=BB271_12 Depth=1
	s_or_b64 exec, exec, s[44:45]
	s_and_saveexec_b64 s[44:45], s[42:43]
	s_cbranch_execz .LBB271_415
; %bb.414:                              ;   in Loop: Header=BB271_12 Depth=1
	v_and_b32_e32 v2, 7, v4
	v_ffbh_u32_e32 v0, v2
	v_min_u32_e32 v6, 32, v0
	v_subrev_u32_e32 v0, 28, v6
	v_bfe_u32 v3, v4, 3, 4
	v_lshlrev_b64 v[0:1], v0, v[4:5]
	v_sub_u32_e32 v1, 29, v6
	v_cmp_eq_u32_e32 vcc, 0, v3
	v_and_b32_e32 v0, 7, v0
	s_nop 0
	v_cndmask_b32_e32 v1, v3, v1, vcc
	v_cndmask_b32_e32 v0, v2, v0, vcc
	v_lshlrev_b32_e32 v2, 8, v4
	v_lshl_add_u32 v1, v1, 10, v54
	v_and_or_b32 v1, v2, s49, v1
	v_lshl_or_b32 v0, v0, 7, v1
	v_cvt_f32_f16_e32 v0, v0
	scratch_store_dword off, v0, s32 offset:436 ; 4-byte Folded Spill
.LBB271_415:                            ;   in Loop: Header=BB271_12 Depth=1
	s_or_b64 exec, exec, s[44:45]
	v_lshrrev_b32_e32 v4, 16, v18
	v_cmp_gt_i16_sdwa s[42:43], v4, s17 src0_sel:BYTE_0 src1_sel:DWORD
	s_mov_b64 vcc, 0
                                        ; implicit-def: $sgpr46
	s_and_saveexec_b64 s[44:45], s[42:43]
	s_xor_b64 s[42:43], exec, s[44:45]
	s_cbranch_execz .LBB271_419
; %bb.416:                              ;   in Loop: Header=BB271_12 Depth=1
	v_cmp_eq_u16_sdwa s[50:51], v4, s48 src0_sel:BYTE_0 src1_sel:DWORD
	s_mov_b64 vcc, -1
                                        ; implicit-def: $sgpr46
	s_and_saveexec_b64 s[44:45], s[50:51]
; %bb.417:                              ;   in Loop: Header=BB271_12 Depth=1
	s_mov_b32 s46, 0x7fc02000
	s_xor_b64 vcc, exec, -1
; %bb.418:                              ;   in Loop: Header=BB271_12 Depth=1
	s_or_b64 exec, exec, s[44:45]
	s_and_b64 vcc, vcc, exec
.LBB271_419:                            ;   in Loop: Header=BB271_12 Depth=1
	s_or_saveexec_b64 s[42:43], s[42:43]
	v_mov_b32_e32 v0, s46
	scratch_store_dword off, v0, s32 offset:440 ; 4-byte Folded Spill
	s_xor_b64 exec, exec, s[42:43]
	s_cbranch_execz .LBB271_421
; %bb.420:                              ;   in Loop: Header=BB271_12 Depth=1
	v_cmp_ne_u16_sdwa s[44:45], v4, v5 src0_sel:BYTE_0 src1_sel:DWORD
	s_andn2_b64 vcc, vcc, exec
	s_and_b64 s[44:45], s[44:45], exec
	v_mov_b32_e32 v0, 0
	s_or_b64 vcc, vcc, s[44:45]
	scratch_store_dword off, v0, s32 offset:440 ; 4-byte Folded Spill
.LBB271_421:                            ;   in Loop: Header=BB271_12 Depth=1
	s_or_b64 exec, exec, s[42:43]
	s_and_saveexec_b64 s[42:43], vcc
	s_cbranch_execz .LBB271_423
; %bb.422:                              ;   in Loop: Header=BB271_12 Depth=1
	v_bfe_u32 v2, v18, 16, 3
	v_ffbh_u32_e32 v0, v2
	v_min_u32_e32 v6, 32, v0
	v_subrev_u32_e32 v0, 28, v6
	v_bfe_u32 v3, v18, 19, 4
	v_lshlrev_b64 v[0:1], v0, v[4:5]
	v_sub_u32_e32 v1, 29, v6
	v_cmp_eq_u32_e32 vcc, 0, v3
	v_and_b32_e32 v0, 7, v0
	s_nop 0
	v_cndmask_b32_e32 v1, v3, v1, vcc
	v_cndmask_b32_e32 v0, v2, v0, vcc
	v_lshlrev_b32_e32 v2, 8, v4
	v_lshl_add_u32 v1, v1, 10, v54
	v_and_or_b32 v1, v2, s49, v1
	v_lshl_or_b32 v0, v0, 7, v1
	v_cvt_f32_f16_e32 v0, v0
	scratch_store_dword off, v0, s32 offset:440 ; 4-byte Folded Spill
.LBB271_423:                            ;   in Loop: Header=BB271_12 Depth=1
	s_or_b64 exec, exec, s[42:43]
	v_lshrrev_b32_e32 v4, 24, v18
	v_cmp_lt_i16_e32 vcc, s17, v4
	s_mov_b64 s[42:43], 0
                                        ; implicit-def: $sgpr50
	s_and_saveexec_b64 s[44:45], vcc
	s_xor_b64 s[44:45], exec, s[44:45]
	s_cbranch_execz .LBB271_427
; %bb.424:                              ;   in Loop: Header=BB271_12 Depth=1
	v_cmp_eq_u16_e32 vcc, s48, v4
	s_mov_b64 s[42:43], -1
                                        ; implicit-def: $sgpr50
	s_and_saveexec_b64 s[46:47], vcc
; %bb.425:                              ;   in Loop: Header=BB271_12 Depth=1
	s_mov_b32 s50, 0x7fc02000
	s_xor_b64 s[42:43], exec, -1
; %bb.426:                              ;   in Loop: Header=BB271_12 Depth=1
	s_or_b64 exec, exec, s[46:47]
	s_and_b64 s[42:43], s[42:43], exec
.LBB271_427:                            ;   in Loop: Header=BB271_12 Depth=1
	s_or_saveexec_b64 s[44:45], s[44:45]
	v_mov_b32_e32 v0, s50
	scratch_store_dword off, v0, s32 offset:444 ; 4-byte Folded Spill
	s_xor_b64 exec, exec, s[44:45]
	s_cbranch_execz .LBB271_429
; %bb.428:                              ;   in Loop: Header=BB271_12 Depth=1
	v_cmp_ne_u16_e32 vcc, 0, v4
	s_andn2_b64 s[42:43], s[42:43], exec
	s_and_b64 vcc, vcc, exec
	v_mov_b32_e32 v0, 0
	s_or_b64 s[42:43], s[42:43], vcc
	scratch_store_dword off, v0, s32 offset:444 ; 4-byte Folded Spill
.LBB271_429:                            ;   in Loop: Header=BB271_12 Depth=1
	s_or_b64 exec, exec, s[44:45]
	s_and_saveexec_b64 s[44:45], s[42:43]
	s_cbranch_execz .LBB271_431
; %bb.430:                              ;   in Loop: Header=BB271_12 Depth=1
	v_bfe_u32 v2, v18, 24, 3
	v_ffbh_u32_e32 v0, v2
	v_min_u32_e32 v6, 32, v0
	v_subrev_u32_e32 v0, 28, v6
	v_bfe_u32 v3, v18, 27, 4
	v_lshlrev_b64 v[0:1], v0, v[4:5]
	v_sub_u32_e32 v1, 29, v6
	v_cmp_eq_u32_e32 vcc, 0, v3
	v_and_b32_e32 v0, 7, v0
	s_nop 0
	v_cndmask_b32_e32 v1, v3, v1, vcc
	v_cndmask_b32_e32 v0, v2, v0, vcc
	v_lshlrev_b32_e32 v2, 8, v4
	v_lshl_add_u32 v1, v1, 10, v54
	v_and_or_b32 v1, v2, s49, v1
	v_lshl_or_b32 v0, v0, 7, v1
	v_cvt_f32_f16_e32 v0, v0
	scratch_store_dword off, v0, s32 offset:444 ; 4-byte Folded Spill
.LBB271_431:                            ;   in Loop: Header=BB271_12 Depth=1
	s_or_b64 exec, exec, s[44:45]
	flat_load_dword v18, v[34:35] offset:3584
	s_mov_b64 vcc, 0
                                        ; implicit-def: $sgpr46
	s_waitcnt vmcnt(0) lgkmcnt(0)
	v_cmp_gt_i16_sdwa s[42:43], v18, s17 src0_sel:BYTE_0 src1_sel:DWORD
	s_and_saveexec_b64 s[44:45], s[42:43]
	s_xor_b64 s[42:43], exec, s[44:45]
	s_cbranch_execz .LBB271_435
; %bb.432:                              ;   in Loop: Header=BB271_12 Depth=1
	v_cmp_eq_u16_sdwa s[50:51], v18, s48 src0_sel:BYTE_0 src1_sel:DWORD
	s_mov_b64 vcc, -1
                                        ; implicit-def: $sgpr46
	s_and_saveexec_b64 s[44:45], s[50:51]
; %bb.433:                              ;   in Loop: Header=BB271_12 Depth=1
	s_mov_b32 s46, 0x7fc02000
	s_xor_b64 vcc, exec, -1
; %bb.434:                              ;   in Loop: Header=BB271_12 Depth=1
	s_or_b64 exec, exec, s[44:45]
	s_and_b64 vcc, vcc, exec
.LBB271_435:                            ;   in Loop: Header=BB271_12 Depth=1
	s_or_saveexec_b64 s[42:43], s[42:43]
	v_mov_b32_e32 v0, s46
	scratch_store_dword off, v0, s32 offset:448 ; 4-byte Folded Spill
	s_xor_b64 exec, exec, s[42:43]
	s_cbranch_execz .LBB271_437
; %bb.436:                              ;   in Loop: Header=BB271_12 Depth=1
	v_cmp_ne_u16_sdwa s[44:45], v18, v5 src0_sel:BYTE_0 src1_sel:DWORD
	s_andn2_b64 vcc, vcc, exec
	s_and_b64 s[44:45], s[44:45], exec
	v_mov_b32_e32 v0, 0
	s_or_b64 vcc, vcc, s[44:45]
	scratch_store_dword off, v0, s32 offset:448 ; 4-byte Folded Spill
.LBB271_437:                            ;   in Loop: Header=BB271_12 Depth=1
	s_or_b64 exec, exec, s[42:43]
	s_and_saveexec_b64 s[42:43], vcc
	s_cbranch_execz .LBB271_439
; %bb.438:                              ;   in Loop: Header=BB271_12 Depth=1
	v_and_b32_e32 v2, 7, v18
	v_ffbh_u32_e32 v0, v2
	v_min_u32_e32 v4, 32, v0
	v_subrev_u32_e32 v0, 28, v4
	v_bfe_u32 v3, v18, 3, 4
	v_lshlrev_b64 v[0:1], v0, v[18:19]
	v_sub_u32_e32 v1, 29, v4
	v_cmp_eq_u32_e32 vcc, 0, v3
	v_and_b32_e32 v0, 7, v0
	s_nop 0
	v_cndmask_b32_e32 v1, v3, v1, vcc
	v_cndmask_b32_e32 v0, v2, v0, vcc
	v_lshlrev_b32_e32 v2, 8, v18
	v_lshl_add_u32 v1, v1, 10, v54
	v_and_or_b32 v1, v2, s49, v1
	v_lshl_or_b32 v0, v0, 7, v1
	v_cvt_f32_f16_e32 v0, v0
	scratch_store_dword off, v0, s32 offset:448 ; 4-byte Folded Spill
.LBB271_439:                            ;   in Loop: Header=BB271_12 Depth=1
	s_or_b64 exec, exec, s[42:43]
	v_lshrrev_b16_e32 v4, 8, v18
	v_cmp_lt_i16_e32 vcc, s17, v4
	s_mov_b64 s[42:43], 0
                                        ; implicit-def: $sgpr50
	s_and_saveexec_b64 s[44:45], vcc
	s_xor_b64 s[44:45], exec, s[44:45]
	s_cbranch_execz .LBB271_443
; %bb.440:                              ;   in Loop: Header=BB271_12 Depth=1
	v_cmp_eq_u16_e32 vcc, s48, v4
	s_mov_b64 s[42:43], -1
                                        ; implicit-def: $sgpr50
	s_and_saveexec_b64 s[46:47], vcc
; %bb.441:                              ;   in Loop: Header=BB271_12 Depth=1
	s_mov_b32 s50, 0x7fc02000
	s_xor_b64 s[42:43], exec, -1
; %bb.442:                              ;   in Loop: Header=BB271_12 Depth=1
	s_or_b64 exec, exec, s[46:47]
	s_and_b64 s[42:43], s[42:43], exec
.LBB271_443:                            ;   in Loop: Header=BB271_12 Depth=1
	s_or_saveexec_b64 s[44:45], s[44:45]
	v_mov_b32_e32 v0, s50
	scratch_store_dword off, v0, s32 offset:452 ; 4-byte Folded Spill
	s_xor_b64 exec, exec, s[44:45]
	s_cbranch_execz .LBB271_445
; %bb.444:                              ;   in Loop: Header=BB271_12 Depth=1
	v_cmp_ne_u16_e32 vcc, 0, v4
	s_andn2_b64 s[42:43], s[42:43], exec
	s_and_b64 vcc, vcc, exec
	v_mov_b32_e32 v0, 0
	s_or_b64 s[42:43], s[42:43], vcc
	scratch_store_dword off, v0, s32 offset:452 ; 4-byte Folded Spill
.LBB271_445:                            ;   in Loop: Header=BB271_12 Depth=1
	s_or_b64 exec, exec, s[44:45]
	s_and_saveexec_b64 s[44:45], s[42:43]
	s_cbranch_execz .LBB271_447
; %bb.446:                              ;   in Loop: Header=BB271_12 Depth=1
	v_and_b32_e32 v2, 7, v4
	v_ffbh_u32_e32 v0, v2
	v_min_u32_e32 v6, 32, v0
	v_subrev_u32_e32 v0, 28, v6
	v_bfe_u32 v3, v4, 3, 4
	v_lshlrev_b64 v[0:1], v0, v[4:5]
	v_sub_u32_e32 v1, 29, v6
	v_cmp_eq_u32_e32 vcc, 0, v3
	v_and_b32_e32 v0, 7, v0
	s_nop 0
	v_cndmask_b32_e32 v1, v3, v1, vcc
	v_cndmask_b32_e32 v0, v2, v0, vcc
	v_lshlrev_b32_e32 v2, 8, v4
	v_lshl_add_u32 v1, v1, 10, v54
	v_and_or_b32 v1, v2, s49, v1
	v_lshl_or_b32 v0, v0, 7, v1
	v_cvt_f32_f16_e32 v0, v0
	scratch_store_dword off, v0, s32 offset:452 ; 4-byte Folded Spill
.LBB271_447:                            ;   in Loop: Header=BB271_12 Depth=1
	s_or_b64 exec, exec, s[44:45]
	v_lshrrev_b32_e32 v4, 16, v18
	v_cmp_gt_i16_sdwa s[42:43], v4, s17 src0_sel:BYTE_0 src1_sel:DWORD
	s_mov_b64 vcc, 0
                                        ; implicit-def: $sgpr46
	s_and_saveexec_b64 s[44:45], s[42:43]
	s_xor_b64 s[42:43], exec, s[44:45]
	s_cbranch_execz .LBB271_451
; %bb.448:                              ;   in Loop: Header=BB271_12 Depth=1
	v_cmp_eq_u16_sdwa s[50:51], v4, s48 src0_sel:BYTE_0 src1_sel:DWORD
	s_mov_b64 vcc, -1
                                        ; implicit-def: $sgpr46
	s_and_saveexec_b64 s[44:45], s[50:51]
; %bb.449:                              ;   in Loop: Header=BB271_12 Depth=1
	s_mov_b32 s46, 0x7fc02000
	s_xor_b64 vcc, exec, -1
; %bb.450:                              ;   in Loop: Header=BB271_12 Depth=1
	s_or_b64 exec, exec, s[44:45]
	s_and_b64 vcc, vcc, exec
.LBB271_451:                            ;   in Loop: Header=BB271_12 Depth=1
	s_or_saveexec_b64 s[42:43], s[42:43]
	v_mov_b32_e32 v0, s46
	scratch_store_dword off, v0, s32 offset:456 ; 4-byte Folded Spill
	s_xor_b64 exec, exec, s[42:43]
	s_cbranch_execz .LBB271_453
; %bb.452:                              ;   in Loop: Header=BB271_12 Depth=1
	v_cmp_ne_u16_sdwa s[44:45], v4, v5 src0_sel:BYTE_0 src1_sel:DWORD
	s_andn2_b64 vcc, vcc, exec
	s_and_b64 s[44:45], s[44:45], exec
	v_mov_b32_e32 v0, 0
	s_or_b64 vcc, vcc, s[44:45]
	scratch_store_dword off, v0, s32 offset:456 ; 4-byte Folded Spill
.LBB271_453:                            ;   in Loop: Header=BB271_12 Depth=1
	s_or_b64 exec, exec, s[42:43]
	s_and_saveexec_b64 s[42:43], vcc
	s_cbranch_execz .LBB271_455
; %bb.454:                              ;   in Loop: Header=BB271_12 Depth=1
	v_bfe_u32 v2, v18, 16, 3
	v_ffbh_u32_e32 v0, v2
	v_min_u32_e32 v6, 32, v0
	v_subrev_u32_e32 v0, 28, v6
	v_bfe_u32 v3, v18, 19, 4
	v_lshlrev_b64 v[0:1], v0, v[4:5]
	v_sub_u32_e32 v1, 29, v6
	v_cmp_eq_u32_e32 vcc, 0, v3
	v_and_b32_e32 v0, 7, v0
	s_nop 0
	v_cndmask_b32_e32 v1, v3, v1, vcc
	v_cndmask_b32_e32 v0, v2, v0, vcc
	v_lshlrev_b32_e32 v2, 8, v4
	v_lshl_add_u32 v1, v1, 10, v54
	v_and_or_b32 v1, v2, s49, v1
	v_lshl_or_b32 v0, v0, 7, v1
	v_cvt_f32_f16_e32 v0, v0
	scratch_store_dword off, v0, s32 offset:456 ; 4-byte Folded Spill
.LBB271_455:                            ;   in Loop: Header=BB271_12 Depth=1
	s_or_b64 exec, exec, s[42:43]
	v_lshrrev_b32_e32 v4, 24, v18
	v_cmp_lt_i16_e32 vcc, s17, v4
	s_mov_b64 s[42:43], 0
                                        ; implicit-def: $sgpr50
	s_and_saveexec_b64 s[44:45], vcc
	s_xor_b64 s[44:45], exec, s[44:45]
	s_cbranch_execz .LBB271_459
; %bb.456:                              ;   in Loop: Header=BB271_12 Depth=1
	v_cmp_eq_u16_e32 vcc, s48, v4
	s_mov_b64 s[42:43], -1
                                        ; implicit-def: $sgpr50
	s_and_saveexec_b64 s[46:47], vcc
; %bb.457:                              ;   in Loop: Header=BB271_12 Depth=1
	s_mov_b32 s50, 0x7fc02000
	s_xor_b64 s[42:43], exec, -1
; %bb.458:                              ;   in Loop: Header=BB271_12 Depth=1
	s_or_b64 exec, exec, s[46:47]
	s_and_b64 s[42:43], s[42:43], exec
.LBB271_459:                            ;   in Loop: Header=BB271_12 Depth=1
	s_or_saveexec_b64 s[44:45], s[44:45]
	v_mov_b32_e32 v0, s50
	scratch_store_dword off, v0, s32 offset:460 ; 4-byte Folded Spill
	s_xor_b64 exec, exec, s[44:45]
	s_cbranch_execz .LBB271_461
; %bb.460:                              ;   in Loop: Header=BB271_12 Depth=1
	v_cmp_ne_u16_e32 vcc, 0, v4
	s_andn2_b64 s[42:43], s[42:43], exec
	s_and_b64 vcc, vcc, exec
	v_mov_b32_e32 v0, 0
	s_or_b64 s[42:43], s[42:43], vcc
	scratch_store_dword off, v0, s32 offset:460 ; 4-byte Folded Spill
.LBB271_461:                            ;   in Loop: Header=BB271_12 Depth=1
	s_or_b64 exec, exec, s[44:45]
	s_and_saveexec_b64 s[44:45], s[42:43]
	s_cbranch_execz .LBB271_463
; %bb.462:                              ;   in Loop: Header=BB271_12 Depth=1
	v_bfe_u32 v2, v18, 24, 3
	v_ffbh_u32_e32 v0, v2
	v_min_u32_e32 v6, 32, v0
	v_subrev_u32_e32 v0, 28, v6
	v_bfe_u32 v3, v18, 27, 4
	v_lshlrev_b64 v[0:1], v0, v[4:5]
	v_sub_u32_e32 v1, 29, v6
	v_cmp_eq_u32_e32 vcc, 0, v3
	v_and_b32_e32 v0, 7, v0
	s_nop 0
	v_cndmask_b32_e32 v1, v3, v1, vcc
	v_cndmask_b32_e32 v0, v2, v0, vcc
	v_lshlrev_b32_e32 v2, 8, v4
	v_lshl_add_u32 v1, v1, 10, v54
	v_and_or_b32 v1, v2, s49, v1
	v_lshl_or_b32 v0, v0, 7, v1
	v_cvt_f32_f16_e32 v0, v0
	scratch_store_dword off, v0, s32 offset:460 ; 4-byte Folded Spill
.LBB271_463:                            ;   in Loop: Header=BB271_12 Depth=1
	s_or_b64 exec, exec, s[44:45]
	flat_load_dword v18, v[34:35] offset:3592
	s_mov_b64 vcc, 0
                                        ; implicit-def: $sgpr46
	s_waitcnt vmcnt(0) lgkmcnt(0)
	v_cmp_gt_i16_sdwa s[42:43], v18, s17 src0_sel:BYTE_0 src1_sel:DWORD
	s_and_saveexec_b64 s[44:45], s[42:43]
	s_xor_b64 s[42:43], exec, s[44:45]
	s_cbranch_execz .LBB271_467
; %bb.464:                              ;   in Loop: Header=BB271_12 Depth=1
	v_cmp_eq_u16_sdwa s[50:51], v18, s48 src0_sel:BYTE_0 src1_sel:DWORD
	s_mov_b64 vcc, -1
                                        ; implicit-def: $sgpr46
	s_and_saveexec_b64 s[44:45], s[50:51]
; %bb.465:                              ;   in Loop: Header=BB271_12 Depth=1
	s_mov_b32 s46, 0x7fc02000
	s_xor_b64 vcc, exec, -1
; %bb.466:                              ;   in Loop: Header=BB271_12 Depth=1
	s_or_b64 exec, exec, s[44:45]
	s_and_b64 vcc, vcc, exec
.LBB271_467:                            ;   in Loop: Header=BB271_12 Depth=1
	s_or_saveexec_b64 s[42:43], s[42:43]
	v_mov_b32_e32 v0, s46
	scratch_store_dword off, v0, s32 offset:464 ; 4-byte Folded Spill
	s_xor_b64 exec, exec, s[42:43]
	s_cbranch_execz .LBB271_469
; %bb.468:                              ;   in Loop: Header=BB271_12 Depth=1
	v_cmp_ne_u16_sdwa s[44:45], v18, v5 src0_sel:BYTE_0 src1_sel:DWORD
	s_andn2_b64 vcc, vcc, exec
	s_and_b64 s[44:45], s[44:45], exec
	v_mov_b32_e32 v0, 0
	s_or_b64 vcc, vcc, s[44:45]
	scratch_store_dword off, v0, s32 offset:464 ; 4-byte Folded Spill
.LBB271_469:                            ;   in Loop: Header=BB271_12 Depth=1
	s_or_b64 exec, exec, s[42:43]
	s_and_saveexec_b64 s[42:43], vcc
	s_cbranch_execz .LBB271_471
; %bb.470:                              ;   in Loop: Header=BB271_12 Depth=1
	v_and_b32_e32 v2, 7, v18
	v_ffbh_u32_e32 v0, v2
	v_min_u32_e32 v4, 32, v0
	v_subrev_u32_e32 v0, 28, v4
	v_bfe_u32 v3, v18, 3, 4
	v_lshlrev_b64 v[0:1], v0, v[18:19]
	v_sub_u32_e32 v1, 29, v4
	v_cmp_eq_u32_e32 vcc, 0, v3
	v_and_b32_e32 v0, 7, v0
	s_nop 0
	v_cndmask_b32_e32 v1, v3, v1, vcc
	v_cndmask_b32_e32 v0, v2, v0, vcc
	v_lshlrev_b32_e32 v2, 8, v18
	v_lshl_add_u32 v1, v1, 10, v54
	v_and_or_b32 v1, v2, s49, v1
	v_lshl_or_b32 v0, v0, 7, v1
	v_cvt_f32_f16_e32 v0, v0
	scratch_store_dword off, v0, s32 offset:464 ; 4-byte Folded Spill
.LBB271_471:                            ;   in Loop: Header=BB271_12 Depth=1
	s_or_b64 exec, exec, s[42:43]
	v_lshrrev_b16_e32 v4, 8, v18
	v_cmp_lt_i16_e32 vcc, s17, v4
	s_mov_b64 s[42:43], 0
                                        ; implicit-def: $sgpr50
	s_and_saveexec_b64 s[44:45], vcc
	s_xor_b64 s[44:45], exec, s[44:45]
	s_cbranch_execz .LBB271_475
; %bb.472:                              ;   in Loop: Header=BB271_12 Depth=1
	v_cmp_eq_u16_e32 vcc, s48, v4
	s_mov_b64 s[42:43], -1
                                        ; implicit-def: $sgpr50
	s_and_saveexec_b64 s[46:47], vcc
; %bb.473:                              ;   in Loop: Header=BB271_12 Depth=1
	s_mov_b32 s50, 0x7fc02000
	s_xor_b64 s[42:43], exec, -1
; %bb.474:                              ;   in Loop: Header=BB271_12 Depth=1
	s_or_b64 exec, exec, s[46:47]
	s_and_b64 s[42:43], s[42:43], exec
.LBB271_475:                            ;   in Loop: Header=BB271_12 Depth=1
	s_or_saveexec_b64 s[44:45], s[44:45]
	v_mov_b32_e32 v0, s50
	scratch_store_dword off, v0, s32 offset:468 ; 4-byte Folded Spill
	s_xor_b64 exec, exec, s[44:45]
	s_cbranch_execz .LBB271_477
; %bb.476:                              ;   in Loop: Header=BB271_12 Depth=1
	v_cmp_ne_u16_e32 vcc, 0, v4
	s_andn2_b64 s[42:43], s[42:43], exec
	s_and_b64 vcc, vcc, exec
	v_mov_b32_e32 v0, 0
	s_or_b64 s[42:43], s[42:43], vcc
	scratch_store_dword off, v0, s32 offset:468 ; 4-byte Folded Spill
.LBB271_477:                            ;   in Loop: Header=BB271_12 Depth=1
	s_or_b64 exec, exec, s[44:45]
	s_and_saveexec_b64 s[44:45], s[42:43]
	s_cbranch_execz .LBB271_479
; %bb.478:                              ;   in Loop: Header=BB271_12 Depth=1
	v_and_b32_e32 v2, 7, v4
	v_ffbh_u32_e32 v0, v2
	v_min_u32_e32 v6, 32, v0
	v_subrev_u32_e32 v0, 28, v6
	v_bfe_u32 v3, v4, 3, 4
	v_lshlrev_b64 v[0:1], v0, v[4:5]
	v_sub_u32_e32 v1, 29, v6
	v_cmp_eq_u32_e32 vcc, 0, v3
	v_and_b32_e32 v0, 7, v0
	s_nop 0
	v_cndmask_b32_e32 v1, v3, v1, vcc
	v_cndmask_b32_e32 v0, v2, v0, vcc
	v_lshlrev_b32_e32 v2, 8, v4
	v_lshl_add_u32 v1, v1, 10, v54
	v_and_or_b32 v1, v2, s49, v1
	v_lshl_or_b32 v0, v0, 7, v1
	v_cvt_f32_f16_e32 v0, v0
	scratch_store_dword off, v0, s32 offset:468 ; 4-byte Folded Spill
.LBB271_479:                            ;   in Loop: Header=BB271_12 Depth=1
	s_or_b64 exec, exec, s[44:45]
	v_lshrrev_b32_e32 v4, 16, v18
	v_cmp_gt_i16_sdwa s[42:43], v4, s17 src0_sel:BYTE_0 src1_sel:DWORD
	s_mov_b64 vcc, 0
                                        ; implicit-def: $sgpr46
	s_and_saveexec_b64 s[44:45], s[42:43]
	s_xor_b64 s[42:43], exec, s[44:45]
	s_cbranch_execnz .LBB271_809
; %bb.480:                              ;   in Loop: Header=BB271_12 Depth=1
	s_or_saveexec_b64 s[42:43], s[42:43]
	v_mov_b32_e32 v0, s46
	s_xor_b64 exec, exec, s[42:43]
	s_cbranch_execnz .LBB271_812
.LBB271_481:                            ;   in Loop: Header=BB271_12 Depth=1
	s_or_b64 exec, exec, s[42:43]
	s_and_saveexec_b64 s[42:43], vcc
	s_cbranch_execz .LBB271_483
.LBB271_482:                            ;   in Loop: Header=BB271_12 Depth=1
	v_bfe_u32 v2, v18, 16, 3
	v_ffbh_u32_e32 v0, v2
	v_min_u32_e32 v6, 32, v0
	v_subrev_u32_e32 v0, 28, v6
	v_bfe_u32 v3, v18, 19, 4
	v_lshlrev_b64 v[0:1], v0, v[4:5]
	v_sub_u32_e32 v1, 29, v6
	v_cmp_eq_u32_e32 vcc, 0, v3
	v_and_b32_e32 v0, 7, v0
	s_nop 0
	v_cndmask_b32_e32 v1, v3, v1, vcc
	v_cndmask_b32_e32 v0, v2, v0, vcc
	v_lshlrev_b32_e32 v2, 8, v4
	v_lshl_add_u32 v1, v1, 10, v54
	v_and_or_b32 v1, v2, s49, v1
	v_lshl_or_b32 v0, v0, 7, v1
	v_cvt_f32_f16_e32 v0, v0
.LBB271_483:                            ;   in Loop: Header=BB271_12 Depth=1
	s_or_b64 exec, exec, s[42:43]
	v_lshrrev_b32_e32 v4, 24, v18
	v_cmp_lt_i16_e32 vcc, s17, v4
	s_mov_b64 s[42:43], 0
                                        ; implicit-def: $sgpr50
	s_and_saveexec_b64 s[44:45], vcc
	s_xor_b64 s[44:45], exec, s[44:45]
	s_cbranch_execnz .LBB271_813
; %bb.484:                              ;   in Loop: Header=BB271_12 Depth=1
	s_or_saveexec_b64 s[44:45], s[44:45]
	v_mov_b32_e32 v1, s50
	s_xor_b64 exec, exec, s[44:45]
	s_cbranch_execnz .LBB271_816
.LBB271_485:                            ;   in Loop: Header=BB271_12 Depth=1
	s_or_b64 exec, exec, s[44:45]
	scratch_store_dword off, v0, s32 offset:548 ; 4-byte Folded Spill
	s_and_saveexec_b64 s[44:45], s[42:43]
	s_cbranch_execz .LBB271_487
.LBB271_486:                            ;   in Loop: Header=BB271_12 Depth=1
	v_bfe_u32 v2, v18, 24, 3
	v_ffbh_u32_e32 v0, v2
	v_min_u32_e32 v6, 32, v0
	v_subrev_u32_e32 v0, 28, v6
	v_bfe_u32 v3, v18, 27, 4
	v_lshlrev_b64 v[0:1], v0, v[4:5]
	v_sub_u32_e32 v1, 29, v6
	v_cmp_eq_u32_e32 vcc, 0, v3
	v_and_b32_e32 v0, 7, v0
	s_nop 0
	v_cndmask_b32_e32 v1, v3, v1, vcc
	v_cndmask_b32_e32 v0, v2, v0, vcc
	v_lshlrev_b32_e32 v2, 8, v4
	v_lshl_add_u32 v1, v1, 10, v54
	v_and_or_b32 v1, v2, s49, v1
	v_lshl_or_b32 v0, v0, 7, v1
	v_cvt_f32_f16_e32 v1, v0
.LBB271_487:                            ;   in Loop: Header=BB271_12 Depth=1
	s_or_b64 exec, exec, s[44:45]
	v_add_co_u32_e32 v0, vcc, 0x1000, v34
	scratch_store_dword off, v1, s32 offset:552 ; 4-byte Folded Spill
	s_nop 0
	v_addc_co_u32_e32 v1, vcc, 0, v35, vcc
	flat_load_dword v18, v[0:1]
	s_mov_b64 vcc, 0
                                        ; implicit-def: $sgpr46
	s_waitcnt vmcnt(0) lgkmcnt(0)
	v_cmp_gt_i16_sdwa s[42:43], v18, s17 src0_sel:BYTE_0 src1_sel:DWORD
	s_and_saveexec_b64 s[44:45], s[42:43]
	s_xor_b64 s[42:43], exec, s[44:45]
	s_cbranch_execz .LBB271_491
; %bb.488:                              ;   in Loop: Header=BB271_12 Depth=1
	v_cmp_eq_u16_sdwa s[50:51], v18, s48 src0_sel:BYTE_0 src1_sel:DWORD
	s_mov_b64 vcc, -1
                                        ; implicit-def: $sgpr46
	s_and_saveexec_b64 s[44:45], s[50:51]
; %bb.489:                              ;   in Loop: Header=BB271_12 Depth=1
	s_mov_b32 s46, 0x7fc02000
	s_xor_b64 vcc, exec, -1
; %bb.490:                              ;   in Loop: Header=BB271_12 Depth=1
	s_or_b64 exec, exec, s[44:45]
	s_and_b64 vcc, vcc, exec
.LBB271_491:                            ;   in Loop: Header=BB271_12 Depth=1
	s_or_saveexec_b64 s[42:43], s[42:43]
	v_mov_b32_e32 v0, s46
	scratch_store_dword off, v0, s32 offset:472 ; 4-byte Folded Spill
	s_xor_b64 exec, exec, s[42:43]
	s_cbranch_execz .LBB271_493
; %bb.492:                              ;   in Loop: Header=BB271_12 Depth=1
	v_cmp_ne_u16_sdwa s[44:45], v18, v5 src0_sel:BYTE_0 src1_sel:DWORD
	s_andn2_b64 vcc, vcc, exec
	s_and_b64 s[44:45], s[44:45], exec
	v_mov_b32_e32 v0, 0
	s_or_b64 vcc, vcc, s[44:45]
	scratch_store_dword off, v0, s32 offset:472 ; 4-byte Folded Spill
.LBB271_493:                            ;   in Loop: Header=BB271_12 Depth=1
	s_or_b64 exec, exec, s[42:43]
	s_and_saveexec_b64 s[42:43], vcc
	s_cbranch_execz .LBB271_495
; %bb.494:                              ;   in Loop: Header=BB271_12 Depth=1
	v_and_b32_e32 v2, 7, v18
	v_ffbh_u32_e32 v0, v2
	v_min_u32_e32 v4, 32, v0
	v_subrev_u32_e32 v0, 28, v4
	v_bfe_u32 v3, v18, 3, 4
	v_lshlrev_b64 v[0:1], v0, v[18:19]
	v_sub_u32_e32 v1, 29, v4
	v_cmp_eq_u32_e32 vcc, 0, v3
	v_and_b32_e32 v0, 7, v0
	s_nop 0
	v_cndmask_b32_e32 v1, v3, v1, vcc
	v_cndmask_b32_e32 v0, v2, v0, vcc
	v_lshlrev_b32_e32 v2, 8, v18
	v_lshl_add_u32 v1, v1, 10, v54
	v_and_or_b32 v1, v2, s49, v1
	v_lshl_or_b32 v0, v0, 7, v1
	v_cvt_f32_f16_e32 v0, v0
	scratch_store_dword off, v0, s32 offset:472 ; 4-byte Folded Spill
.LBB271_495:                            ;   in Loop: Header=BB271_12 Depth=1
	s_or_b64 exec, exec, s[42:43]
	v_lshrrev_b16_e32 v4, 8, v18
	v_lshl_add_u64 v[36:37], v[34:35], 0, s[24:25]
	v_cmp_lt_i16_e32 vcc, s17, v4
	s_mov_b64 s[42:43], 0
                                        ; implicit-def: $sgpr50
	s_and_saveexec_b64 s[44:45], vcc
	s_xor_b64 s[44:45], exec, s[44:45]
	s_cbranch_execz .LBB271_499
; %bb.496:                              ;   in Loop: Header=BB271_12 Depth=1
	v_cmp_eq_u16_e32 vcc, s48, v4
	s_mov_b64 s[42:43], -1
                                        ; implicit-def: $sgpr50
	s_and_saveexec_b64 s[46:47], vcc
; %bb.497:                              ;   in Loop: Header=BB271_12 Depth=1
	s_mov_b32 s50, 0x7fc02000
	s_xor_b64 s[42:43], exec, -1
; %bb.498:                              ;   in Loop: Header=BB271_12 Depth=1
	s_or_b64 exec, exec, s[46:47]
	s_and_b64 s[42:43], s[42:43], exec
.LBB271_499:                            ;   in Loop: Header=BB271_12 Depth=1
	s_or_saveexec_b64 s[44:45], s[44:45]
	v_mov_b32_e32 v0, s50
	scratch_store_dword off, v0, s32 offset:476 ; 4-byte Folded Spill
	s_xor_b64 exec, exec, s[44:45]
	s_cbranch_execz .LBB271_501
; %bb.500:                              ;   in Loop: Header=BB271_12 Depth=1
	v_cmp_ne_u16_e32 vcc, 0, v4
	s_andn2_b64 s[42:43], s[42:43], exec
	s_and_b64 vcc, vcc, exec
	v_mov_b32_e32 v0, 0
	s_or_b64 s[42:43], s[42:43], vcc
	scratch_store_dword off, v0, s32 offset:476 ; 4-byte Folded Spill
.LBB271_501:                            ;   in Loop: Header=BB271_12 Depth=1
	s_or_b64 exec, exec, s[44:45]
	s_and_saveexec_b64 s[44:45], s[42:43]
	s_cbranch_execz .LBB271_503
; %bb.502:                              ;   in Loop: Header=BB271_12 Depth=1
	v_and_b32_e32 v2, 7, v4
	v_ffbh_u32_e32 v0, v2
	v_min_u32_e32 v6, 32, v0
	v_subrev_u32_e32 v0, 28, v6
	v_bfe_u32 v3, v4, 3, 4
	v_lshlrev_b64 v[0:1], v0, v[4:5]
	v_sub_u32_e32 v1, 29, v6
	v_cmp_eq_u32_e32 vcc, 0, v3
	v_and_b32_e32 v0, 7, v0
	s_nop 0
	v_cndmask_b32_e32 v1, v3, v1, vcc
	v_cndmask_b32_e32 v0, v2, v0, vcc
	v_lshlrev_b32_e32 v2, 8, v4
	v_lshl_add_u32 v1, v1, 10, v54
	v_and_or_b32 v1, v2, s49, v1
	v_lshl_or_b32 v0, v0, 7, v1
	v_cvt_f32_f16_e32 v0, v0
	scratch_store_dword off, v0, s32 offset:476 ; 4-byte Folded Spill
.LBB271_503:                            ;   in Loop: Header=BB271_12 Depth=1
	s_or_b64 exec, exec, s[44:45]
	v_lshrrev_b32_e32 v4, 16, v18
	v_cmp_gt_i16_sdwa s[42:43], v4, s17 src0_sel:BYTE_0 src1_sel:DWORD
	s_mov_b64 vcc, 0
                                        ; implicit-def: $sgpr46
	s_and_saveexec_b64 s[44:45], s[42:43]
	s_xor_b64 s[42:43], exec, s[44:45]
	s_cbranch_execz .LBB271_507
; %bb.504:                              ;   in Loop: Header=BB271_12 Depth=1
	v_cmp_eq_u16_sdwa s[50:51], v4, s48 src0_sel:BYTE_0 src1_sel:DWORD
	s_mov_b64 vcc, -1
                                        ; implicit-def: $sgpr46
	s_and_saveexec_b64 s[44:45], s[50:51]
; %bb.505:                              ;   in Loop: Header=BB271_12 Depth=1
	s_mov_b32 s46, 0x7fc02000
	s_xor_b64 vcc, exec, -1
; %bb.506:                              ;   in Loop: Header=BB271_12 Depth=1
	s_or_b64 exec, exec, s[44:45]
	s_and_b64 vcc, vcc, exec
.LBB271_507:                            ;   in Loop: Header=BB271_12 Depth=1
	s_or_saveexec_b64 s[42:43], s[42:43]
	v_mov_b32_e32 v0, s46
	scratch_store_dword off, v0, s32 offset:480 ; 4-byte Folded Spill
	s_xor_b64 exec, exec, s[42:43]
	s_cbranch_execz .LBB271_509
; %bb.508:                              ;   in Loop: Header=BB271_12 Depth=1
	v_cmp_ne_u16_sdwa s[44:45], v4, v5 src0_sel:BYTE_0 src1_sel:DWORD
	s_andn2_b64 vcc, vcc, exec
	s_and_b64 s[44:45], s[44:45], exec
	v_mov_b32_e32 v0, 0
	s_or_b64 vcc, vcc, s[44:45]
	scratch_store_dword off, v0, s32 offset:480 ; 4-byte Folded Spill
.LBB271_509:                            ;   in Loop: Header=BB271_12 Depth=1
	s_or_b64 exec, exec, s[42:43]
	s_and_saveexec_b64 s[42:43], vcc
	s_cbranch_execz .LBB271_511
; %bb.510:                              ;   in Loop: Header=BB271_12 Depth=1
	v_bfe_u32 v2, v18, 16, 3
	v_ffbh_u32_e32 v0, v2
	v_min_u32_e32 v6, 32, v0
	v_subrev_u32_e32 v0, 28, v6
	v_bfe_u32 v3, v18, 19, 4
	v_lshlrev_b64 v[0:1], v0, v[4:5]
	v_sub_u32_e32 v1, 29, v6
	v_cmp_eq_u32_e32 vcc, 0, v3
	v_and_b32_e32 v0, 7, v0
	s_nop 0
	v_cndmask_b32_e32 v1, v3, v1, vcc
	v_cndmask_b32_e32 v0, v2, v0, vcc
	v_lshlrev_b32_e32 v2, 8, v4
	v_lshl_add_u32 v1, v1, 10, v54
	v_and_or_b32 v1, v2, s49, v1
	v_lshl_or_b32 v0, v0, 7, v1
	v_cvt_f32_f16_e32 v0, v0
	scratch_store_dword off, v0, s32 offset:480 ; 4-byte Folded Spill
.LBB271_511:                            ;   in Loop: Header=BB271_12 Depth=1
	s_or_b64 exec, exec, s[42:43]
	v_lshrrev_b32_e32 v4, 24, v18
	v_cmp_lt_i16_e32 vcc, s17, v4
	s_mov_b64 s[42:43], 0
                                        ; implicit-def: $sgpr50
	s_and_saveexec_b64 s[44:45], vcc
	s_xor_b64 s[44:45], exec, s[44:45]
	s_cbranch_execz .LBB271_515
; %bb.512:                              ;   in Loop: Header=BB271_12 Depth=1
	v_cmp_eq_u16_e32 vcc, s48, v4
	s_mov_b64 s[42:43], -1
                                        ; implicit-def: $sgpr50
	s_and_saveexec_b64 s[46:47], vcc
; %bb.513:                              ;   in Loop: Header=BB271_12 Depth=1
	s_mov_b32 s50, 0x7fc02000
	s_xor_b64 s[42:43], exec, -1
; %bb.514:                              ;   in Loop: Header=BB271_12 Depth=1
	s_or_b64 exec, exec, s[46:47]
	s_and_b64 s[42:43], s[42:43], exec
.LBB271_515:                            ;   in Loop: Header=BB271_12 Depth=1
	s_or_saveexec_b64 s[44:45], s[44:45]
	v_mov_b32_e32 v0, s50
	scratch_store_dword off, v0, s32 offset:484 ; 4-byte Folded Spill
	s_xor_b64 exec, exec, s[44:45]
	s_cbranch_execz .LBB271_517
; %bb.516:                              ;   in Loop: Header=BB271_12 Depth=1
	v_cmp_ne_u16_e32 vcc, 0, v4
	s_andn2_b64 s[42:43], s[42:43], exec
	s_and_b64 vcc, vcc, exec
	v_mov_b32_e32 v0, 0
	s_or_b64 s[42:43], s[42:43], vcc
	scratch_store_dword off, v0, s32 offset:484 ; 4-byte Folded Spill
.LBB271_517:                            ;   in Loop: Header=BB271_12 Depth=1
	s_or_b64 exec, exec, s[44:45]
	s_and_saveexec_b64 s[44:45], s[42:43]
	s_cbranch_execz .LBB271_519
; %bb.518:                              ;   in Loop: Header=BB271_12 Depth=1
	v_bfe_u32 v2, v18, 24, 3
	v_ffbh_u32_e32 v0, v2
	v_min_u32_e32 v6, 32, v0
	v_subrev_u32_e32 v0, 28, v6
	v_bfe_u32 v3, v18, 27, 4
	v_lshlrev_b64 v[0:1], v0, v[4:5]
	v_sub_u32_e32 v1, 29, v6
	v_cmp_eq_u32_e32 vcc, 0, v3
	v_and_b32_e32 v0, 7, v0
	s_nop 0
	v_cndmask_b32_e32 v1, v3, v1, vcc
	v_cndmask_b32_e32 v0, v2, v0, vcc
	v_lshlrev_b32_e32 v2, 8, v4
	v_lshl_add_u32 v1, v1, 10, v54
	v_and_or_b32 v1, v2, s49, v1
	v_lshl_or_b32 v0, v0, 7, v1
	v_cvt_f32_f16_e32 v0, v0
	scratch_store_dword off, v0, s32 offset:484 ; 4-byte Folded Spill
.LBB271_519:                            ;   in Loop: Header=BB271_12 Depth=1
	s_or_b64 exec, exec, s[44:45]
	flat_load_dword v18, v[36:37] offset:8
	s_mov_b64 vcc, 0
                                        ; implicit-def: $sgpr46
	s_waitcnt vmcnt(0) lgkmcnt(0)
	v_cmp_gt_i16_sdwa s[42:43], v18, s17 src0_sel:BYTE_0 src1_sel:DWORD
	s_and_saveexec_b64 s[44:45], s[42:43]
	s_xor_b64 s[42:43], exec, s[44:45]
	s_cbranch_execz .LBB271_523
; %bb.520:                              ;   in Loop: Header=BB271_12 Depth=1
	v_cmp_eq_u16_sdwa s[50:51], v18, s48 src0_sel:BYTE_0 src1_sel:DWORD
	s_mov_b64 vcc, -1
                                        ; implicit-def: $sgpr46
	s_and_saveexec_b64 s[44:45], s[50:51]
; %bb.521:                              ;   in Loop: Header=BB271_12 Depth=1
	s_mov_b32 s46, 0x7fc02000
	s_xor_b64 vcc, exec, -1
; %bb.522:                              ;   in Loop: Header=BB271_12 Depth=1
	s_or_b64 exec, exec, s[44:45]
	s_and_b64 vcc, vcc, exec
.LBB271_523:                            ;   in Loop: Header=BB271_12 Depth=1
	s_or_saveexec_b64 s[42:43], s[42:43]
	v_mov_b32_e32 v0, s46
	scratch_store_dword off, v0, s32 offset:488 ; 4-byte Folded Spill
	s_xor_b64 exec, exec, s[42:43]
	s_cbranch_execz .LBB271_525
; %bb.524:                              ;   in Loop: Header=BB271_12 Depth=1
	v_cmp_ne_u16_sdwa s[44:45], v18, v5 src0_sel:BYTE_0 src1_sel:DWORD
	s_andn2_b64 vcc, vcc, exec
	s_and_b64 s[44:45], s[44:45], exec
	v_mov_b32_e32 v0, 0
	s_or_b64 vcc, vcc, s[44:45]
	scratch_store_dword off, v0, s32 offset:488 ; 4-byte Folded Spill
.LBB271_525:                            ;   in Loop: Header=BB271_12 Depth=1
	s_or_b64 exec, exec, s[42:43]
	s_and_saveexec_b64 s[42:43], vcc
	s_cbranch_execz .LBB271_527
; %bb.526:                              ;   in Loop: Header=BB271_12 Depth=1
	v_and_b32_e32 v2, 7, v18
	v_ffbh_u32_e32 v0, v2
	v_min_u32_e32 v4, 32, v0
	v_subrev_u32_e32 v0, 28, v4
	v_bfe_u32 v3, v18, 3, 4
	v_lshlrev_b64 v[0:1], v0, v[18:19]
	v_sub_u32_e32 v1, 29, v4
	v_cmp_eq_u32_e32 vcc, 0, v3
	v_and_b32_e32 v0, 7, v0
	s_nop 0
	v_cndmask_b32_e32 v1, v3, v1, vcc
	v_cndmask_b32_e32 v0, v2, v0, vcc
	v_lshlrev_b32_e32 v2, 8, v18
	v_lshl_add_u32 v1, v1, 10, v54
	v_and_or_b32 v1, v2, s49, v1
	v_lshl_or_b32 v0, v0, 7, v1
	v_cvt_f32_f16_e32 v0, v0
	scratch_store_dword off, v0, s32 offset:488 ; 4-byte Folded Spill
.LBB271_527:                            ;   in Loop: Header=BB271_12 Depth=1
	s_or_b64 exec, exec, s[42:43]
	v_lshrrev_b16_e32 v4, 8, v18
	v_cmp_lt_i16_e32 vcc, s17, v4
	s_mov_b64 s[42:43], 0
                                        ; implicit-def: $sgpr50
	s_and_saveexec_b64 s[44:45], vcc
	s_xor_b64 s[44:45], exec, s[44:45]
	s_cbranch_execz .LBB271_531
; %bb.528:                              ;   in Loop: Header=BB271_12 Depth=1
	v_cmp_eq_u16_e32 vcc, s48, v4
	s_mov_b64 s[42:43], -1
                                        ; implicit-def: $sgpr50
	s_and_saveexec_b64 s[46:47], vcc
; %bb.529:                              ;   in Loop: Header=BB271_12 Depth=1
	s_mov_b32 s50, 0x7fc02000
	s_xor_b64 s[42:43], exec, -1
; %bb.530:                              ;   in Loop: Header=BB271_12 Depth=1
	s_or_b64 exec, exec, s[46:47]
	s_and_b64 s[42:43], s[42:43], exec
.LBB271_531:                            ;   in Loop: Header=BB271_12 Depth=1
	s_or_saveexec_b64 s[44:45], s[44:45]
	v_mov_b32_e32 v0, s50
	scratch_store_dword off, v0, s32 offset:492 ; 4-byte Folded Spill
	s_xor_b64 exec, exec, s[44:45]
	s_cbranch_execz .LBB271_533
; %bb.532:                              ;   in Loop: Header=BB271_12 Depth=1
	v_cmp_ne_u16_e32 vcc, 0, v4
	s_andn2_b64 s[42:43], s[42:43], exec
	s_and_b64 vcc, vcc, exec
	v_mov_b32_e32 v0, 0
	s_or_b64 s[42:43], s[42:43], vcc
	scratch_store_dword off, v0, s32 offset:492 ; 4-byte Folded Spill
.LBB271_533:                            ;   in Loop: Header=BB271_12 Depth=1
	s_or_b64 exec, exec, s[44:45]
	s_and_saveexec_b64 s[44:45], s[42:43]
	s_cbranch_execz .LBB271_535
; %bb.534:                              ;   in Loop: Header=BB271_12 Depth=1
	v_and_b32_e32 v2, 7, v4
	v_ffbh_u32_e32 v0, v2
	v_min_u32_e32 v6, 32, v0
	v_subrev_u32_e32 v0, 28, v6
	v_bfe_u32 v3, v4, 3, 4
	v_lshlrev_b64 v[0:1], v0, v[4:5]
	v_sub_u32_e32 v1, 29, v6
	v_cmp_eq_u32_e32 vcc, 0, v3
	v_and_b32_e32 v0, 7, v0
	s_nop 0
	v_cndmask_b32_e32 v1, v3, v1, vcc
	v_cndmask_b32_e32 v0, v2, v0, vcc
	v_lshlrev_b32_e32 v2, 8, v4
	v_lshl_add_u32 v1, v1, 10, v54
	v_and_or_b32 v1, v2, s49, v1
	v_lshl_or_b32 v0, v0, 7, v1
	v_cvt_f32_f16_e32 v0, v0
	scratch_store_dword off, v0, s32 offset:492 ; 4-byte Folded Spill
.LBB271_535:                            ;   in Loop: Header=BB271_12 Depth=1
	s_or_b64 exec, exec, s[44:45]
	v_lshrrev_b32_e32 v4, 16, v18
	v_cmp_gt_i16_sdwa s[42:43], v4, s17 src0_sel:BYTE_0 src1_sel:DWORD
	s_mov_b64 vcc, 0
                                        ; implicit-def: $sgpr46
	s_and_saveexec_b64 s[44:45], s[42:43]
	s_xor_b64 s[42:43], exec, s[44:45]
	s_cbranch_execnz .LBB271_817
; %bb.536:                              ;   in Loop: Header=BB271_12 Depth=1
	s_or_saveexec_b64 s[42:43], s[42:43]
	v_mov_b32_e32 v0, s46
	s_xor_b64 exec, exec, s[42:43]
	s_cbranch_execnz .LBB271_820
.LBB271_537:                            ;   in Loop: Header=BB271_12 Depth=1
	s_or_b64 exec, exec, s[42:43]
	s_and_saveexec_b64 s[42:43], vcc
	s_cbranch_execz .LBB271_539
.LBB271_538:                            ;   in Loop: Header=BB271_12 Depth=1
	v_bfe_u32 v2, v18, 16, 3
	v_ffbh_u32_e32 v0, v2
	v_min_u32_e32 v6, 32, v0
	v_subrev_u32_e32 v0, 28, v6
	v_bfe_u32 v3, v18, 19, 4
	v_lshlrev_b64 v[0:1], v0, v[4:5]
	v_sub_u32_e32 v1, 29, v6
	v_cmp_eq_u32_e32 vcc, 0, v3
	v_and_b32_e32 v0, 7, v0
	s_nop 0
	v_cndmask_b32_e32 v1, v3, v1, vcc
	v_cndmask_b32_e32 v0, v2, v0, vcc
	v_lshlrev_b32_e32 v2, 8, v4
	v_lshl_add_u32 v1, v1, 10, v54
	v_and_or_b32 v1, v2, s49, v1
	v_lshl_or_b32 v0, v0, 7, v1
	v_cvt_f32_f16_e32 v0, v0
.LBB271_539:                            ;   in Loop: Header=BB271_12 Depth=1
	s_or_b64 exec, exec, s[42:43]
	v_lshrrev_b32_e32 v4, 24, v18
	v_cmp_lt_i16_e32 vcc, s17, v4
	s_mov_b64 s[42:43], 0
                                        ; implicit-def: $sgpr50
	s_and_saveexec_b64 s[44:45], vcc
	s_xor_b64 s[44:45], exec, s[44:45]
	s_cbranch_execnz .LBB271_821
; %bb.540:                              ;   in Loop: Header=BB271_12 Depth=1
	s_or_saveexec_b64 s[44:45], s[44:45]
	v_mov_b32_e32 v1, s50
	s_xor_b64 exec, exec, s[44:45]
	s_cbranch_execnz .LBB271_824
.LBB271_541:                            ;   in Loop: Header=BB271_12 Depth=1
	s_or_b64 exec, exec, s[44:45]
	v_accvgpr_write_b32 a57, v0
	s_and_saveexec_b64 s[44:45], s[42:43]
	s_cbranch_execz .LBB271_543
.LBB271_542:                            ;   in Loop: Header=BB271_12 Depth=1
	v_bfe_u32 v2, v18, 24, 3
	v_ffbh_u32_e32 v0, v2
	v_min_u32_e32 v6, 32, v0
	v_subrev_u32_e32 v0, 28, v6
	v_bfe_u32 v3, v18, 27, 4
	v_lshlrev_b64 v[0:1], v0, v[4:5]
	v_sub_u32_e32 v1, 29, v6
	v_cmp_eq_u32_e32 vcc, 0, v3
	v_and_b32_e32 v0, 7, v0
	s_nop 0
	v_cndmask_b32_e32 v1, v3, v1, vcc
	v_cndmask_b32_e32 v0, v2, v0, vcc
	v_lshlrev_b32_e32 v2, 8, v4
	v_lshl_add_u32 v1, v1, 10, v54
	v_and_or_b32 v1, v2, s49, v1
	v_lshl_or_b32 v0, v0, 7, v1
	v_cvt_f32_f16_e32 v1, v0
.LBB271_543:                            ;   in Loop: Header=BB271_12 Depth=1
	s_or_b64 exec, exec, s[44:45]
	v_add_co_u32_e32 v0, vcc, 0x1000, v34
	v_accvgpr_write_b32 a0, v1
	s_nop 0
	v_addc_co_u32_e32 v1, vcc, 0, v35, vcc
	flat_load_dword v18, v[0:1] offset:512
	s_mov_b64 vcc, 0
                                        ; implicit-def: $sgpr46
	s_waitcnt vmcnt(0) lgkmcnt(0)
	v_cmp_gt_i16_sdwa s[42:43], v18, s17 src0_sel:BYTE_0 src1_sel:DWORD
	s_and_saveexec_b64 s[44:45], s[42:43]
	s_xor_b64 s[42:43], exec, s[44:45]
	s_cbranch_execz .LBB271_547
; %bb.544:                              ;   in Loop: Header=BB271_12 Depth=1
	v_cmp_eq_u16_sdwa s[50:51], v18, s48 src0_sel:BYTE_0 src1_sel:DWORD
	s_mov_b64 vcc, -1
                                        ; implicit-def: $sgpr46
	s_and_saveexec_b64 s[44:45], s[50:51]
; %bb.545:                              ;   in Loop: Header=BB271_12 Depth=1
	s_mov_b32 s46, 0x7fc02000
	s_xor_b64 vcc, exec, -1
; %bb.546:                              ;   in Loop: Header=BB271_12 Depth=1
	s_or_b64 exec, exec, s[44:45]
	s_and_b64 vcc, vcc, exec
.LBB271_547:                            ;   in Loop: Header=BB271_12 Depth=1
	s_or_saveexec_b64 s[42:43], s[42:43]
	v_mov_b32_e32 v0, s46
	scratch_store_dword off, v0, s32 offset:496 ; 4-byte Folded Spill
	s_xor_b64 exec, exec, s[42:43]
	s_cbranch_execz .LBB271_549
; %bb.548:                              ;   in Loop: Header=BB271_12 Depth=1
	v_cmp_ne_u16_sdwa s[44:45], v18, v5 src0_sel:BYTE_0 src1_sel:DWORD
	s_andn2_b64 vcc, vcc, exec
	s_and_b64 s[44:45], s[44:45], exec
	v_mov_b32_e32 v0, 0
	s_or_b64 vcc, vcc, s[44:45]
	scratch_store_dword off, v0, s32 offset:496 ; 4-byte Folded Spill
.LBB271_549:                            ;   in Loop: Header=BB271_12 Depth=1
	s_or_b64 exec, exec, s[42:43]
	s_and_saveexec_b64 s[42:43], vcc
	s_cbranch_execz .LBB271_551
; %bb.550:                              ;   in Loop: Header=BB271_12 Depth=1
	v_and_b32_e32 v2, 7, v18
	v_ffbh_u32_e32 v0, v2
	v_min_u32_e32 v4, 32, v0
	v_subrev_u32_e32 v0, 28, v4
	v_bfe_u32 v3, v18, 3, 4
	v_lshlrev_b64 v[0:1], v0, v[18:19]
	v_sub_u32_e32 v1, 29, v4
	v_cmp_eq_u32_e32 vcc, 0, v3
	v_and_b32_e32 v0, 7, v0
	s_nop 0
	v_cndmask_b32_e32 v1, v3, v1, vcc
	v_cndmask_b32_e32 v0, v2, v0, vcc
	v_lshlrev_b32_e32 v2, 8, v18
	v_lshl_add_u32 v1, v1, 10, v54
	v_and_or_b32 v1, v2, s49, v1
	v_lshl_or_b32 v0, v0, 7, v1
	v_cvt_f32_f16_e32 v0, v0
	scratch_store_dword off, v0, s32 offset:496 ; 4-byte Folded Spill
.LBB271_551:                            ;   in Loop: Header=BB271_12 Depth=1
	s_or_b64 exec, exec, s[42:43]
	v_lshrrev_b16_e32 v4, 8, v18
	v_lshl_add_u64 v[36:37], v[34:35], 0, s[26:27]
	v_cmp_lt_i16_e32 vcc, s17, v4
	s_mov_b64 s[42:43], 0
                                        ; implicit-def: $sgpr50
	s_and_saveexec_b64 s[44:45], vcc
	s_xor_b64 s[44:45], exec, s[44:45]
	s_cbranch_execnz .LBB271_825
; %bb.552:                              ;   in Loop: Header=BB271_12 Depth=1
	s_or_saveexec_b64 s[44:45], s[44:45]
	v_mov_b32_e32 v59, s50
	s_xor_b64 exec, exec, s[44:45]
	s_cbranch_execnz .LBB271_828
.LBB271_553:                            ;   in Loop: Header=BB271_12 Depth=1
	s_or_b64 exec, exec, s[44:45]
	s_and_saveexec_b64 s[44:45], s[42:43]
	s_cbranch_execz .LBB271_555
.LBB271_554:                            ;   in Loop: Header=BB271_12 Depth=1
	v_and_b32_e32 v2, 7, v4
	v_ffbh_u32_e32 v0, v2
	v_min_u32_e32 v6, 32, v0
	v_subrev_u32_e32 v0, 28, v6
	v_bfe_u32 v3, v4, 3, 4
	v_lshlrev_b64 v[0:1], v0, v[4:5]
	v_sub_u32_e32 v1, 29, v6
	v_cmp_eq_u32_e32 vcc, 0, v3
	v_and_b32_e32 v0, 7, v0
	s_nop 0
	v_cndmask_b32_e32 v1, v3, v1, vcc
	v_cndmask_b32_e32 v0, v2, v0, vcc
	v_lshlrev_b32_e32 v2, 8, v4
	v_lshl_add_u32 v1, v1, 10, v54
	v_and_or_b32 v1, v2, s49, v1
	v_lshl_or_b32 v0, v0, 7, v1
	v_cvt_f32_f16_e32 v59, v0
.LBB271_555:                            ;   in Loop: Header=BB271_12 Depth=1
	s_or_b64 exec, exec, s[44:45]
	v_lshrrev_b32_e32 v4, 16, v18
	v_cmp_gt_i16_sdwa s[42:43], v4, s17 src0_sel:BYTE_0 src1_sel:DWORD
	s_mov_b64 vcc, 0
                                        ; implicit-def: $sgpr46
	s_and_saveexec_b64 s[44:45], s[42:43]
	s_xor_b64 s[42:43], exec, s[44:45]
	s_cbranch_execnz .LBB271_829
; %bb.556:                              ;   in Loop: Header=BB271_12 Depth=1
	s_or_saveexec_b64 s[42:43], s[42:43]
	v_mov_b32_e32 v61, s46
	s_xor_b64 exec, exec, s[42:43]
	s_cbranch_execnz .LBB271_832
.LBB271_557:                            ;   in Loop: Header=BB271_12 Depth=1
	s_or_b64 exec, exec, s[42:43]
	s_and_saveexec_b64 s[42:43], vcc
	s_cbranch_execz .LBB271_559
.LBB271_558:                            ;   in Loop: Header=BB271_12 Depth=1
	v_bfe_u32 v2, v18, 16, 3
	v_ffbh_u32_e32 v0, v2
	v_min_u32_e32 v6, 32, v0
	v_subrev_u32_e32 v0, 28, v6
	v_bfe_u32 v3, v18, 19, 4
	v_lshlrev_b64 v[0:1], v0, v[4:5]
	v_sub_u32_e32 v1, 29, v6
	v_cmp_eq_u32_e32 vcc, 0, v3
	v_and_b32_e32 v0, 7, v0
	s_nop 0
	v_cndmask_b32_e32 v1, v3, v1, vcc
	v_cndmask_b32_e32 v0, v2, v0, vcc
	v_lshlrev_b32_e32 v2, 8, v4
	v_lshl_add_u32 v1, v1, 10, v54
	v_and_or_b32 v1, v2, s49, v1
	v_lshl_or_b32 v0, v0, 7, v1
	v_cvt_f32_f16_e32 v61, v0
.LBB271_559:                            ;   in Loop: Header=BB271_12 Depth=1
	s_or_b64 exec, exec, s[42:43]
	v_lshrrev_b32_e32 v4, 24, v18
	v_cmp_lt_i16_e32 vcc, s17, v4
	s_mov_b64 s[42:43], 0
                                        ; implicit-def: $sgpr50
	s_and_saveexec_b64 s[44:45], vcc
	s_xor_b64 s[44:45], exec, s[44:45]
	s_cbranch_execnz .LBB271_833
; %bb.560:                              ;   in Loop: Header=BB271_12 Depth=1
	s_or_saveexec_b64 s[44:45], s[44:45]
	v_mov_b32_e32 v62, s50
	s_xor_b64 exec, exec, s[44:45]
	s_cbranch_execnz .LBB271_836
.LBB271_561:                            ;   in Loop: Header=BB271_12 Depth=1
	s_or_b64 exec, exec, s[44:45]
	s_and_saveexec_b64 s[44:45], s[42:43]
	s_cbranch_execz .LBB271_563
.LBB271_562:                            ;   in Loop: Header=BB271_12 Depth=1
	v_bfe_u32 v2, v18, 24, 3
	v_ffbh_u32_e32 v0, v2
	v_min_u32_e32 v6, 32, v0
	v_subrev_u32_e32 v0, 28, v6
	v_bfe_u32 v3, v18, 27, 4
	v_lshlrev_b64 v[0:1], v0, v[4:5]
	v_sub_u32_e32 v1, 29, v6
	v_cmp_eq_u32_e32 vcc, 0, v3
	v_and_b32_e32 v0, 7, v0
	s_nop 0
	v_cndmask_b32_e32 v1, v3, v1, vcc
	v_cndmask_b32_e32 v0, v2, v0, vcc
	v_lshlrev_b32_e32 v2, 8, v4
	v_lshl_add_u32 v1, v1, 10, v54
	v_and_or_b32 v1, v2, s49, v1
	v_lshl_or_b32 v0, v0, 7, v1
	v_cvt_f32_f16_e32 v62, v0
.LBB271_563:                            ;   in Loop: Header=BB271_12 Depth=1
	s_or_b64 exec, exec, s[44:45]
	flat_load_dword v18, v[36:37] offset:8
	s_mov_b64 vcc, 0
                                        ; implicit-def: $sgpr46
	s_waitcnt vmcnt(0) lgkmcnt(0)
	v_cmp_gt_i16_sdwa s[42:43], v18, s17 src0_sel:BYTE_0 src1_sel:DWORD
	s_and_saveexec_b64 s[44:45], s[42:43]
	s_xor_b64 s[42:43], exec, s[44:45]
	s_cbranch_execnz .LBB271_837
; %bb.564:                              ;   in Loop: Header=BB271_12 Depth=1
	s_or_saveexec_b64 s[42:43], s[42:43]
	v_mov_b32_e32 v60, s46
	s_xor_b64 exec, exec, s[42:43]
	s_cbranch_execnz .LBB271_840
.LBB271_565:                            ;   in Loop: Header=BB271_12 Depth=1
	s_or_b64 exec, exec, s[42:43]
	s_and_saveexec_b64 s[42:43], vcc
	s_cbranch_execz .LBB271_567
.LBB271_566:                            ;   in Loop: Header=BB271_12 Depth=1
	v_and_b32_e32 v2, 7, v18
	v_ffbh_u32_e32 v0, v2
	v_min_u32_e32 v4, 32, v0
	v_subrev_u32_e32 v0, 28, v4
	v_bfe_u32 v3, v18, 3, 4
	v_lshlrev_b64 v[0:1], v0, v[18:19]
	v_sub_u32_e32 v1, 29, v4
	v_cmp_eq_u32_e32 vcc, 0, v3
	v_and_b32_e32 v0, 7, v0
	s_nop 0
	v_cndmask_b32_e32 v1, v3, v1, vcc
	v_cndmask_b32_e32 v0, v2, v0, vcc
	v_lshlrev_b32_e32 v2, 8, v18
	v_lshl_add_u32 v1, v1, 10, v54
	v_and_or_b32 v1, v2, s49, v1
	v_lshl_or_b32 v0, v0, 7, v1
	v_cvt_f32_f16_e32 v60, v0
.LBB271_567:                            ;   in Loop: Header=BB271_12 Depth=1
	s_or_b64 exec, exec, s[42:43]
	v_lshrrev_b16_e32 v4, 8, v18
	v_cmp_lt_i16_e32 vcc, s17, v4
	s_mov_b64 s[42:43], 0
                                        ; implicit-def: $sgpr50
	s_and_saveexec_b64 s[44:45], vcc
	s_xor_b64 s[44:45], exec, s[44:45]
	s_cbranch_execnz .LBB271_841
; %bb.568:                              ;   in Loop: Header=BB271_12 Depth=1
	s_or_saveexec_b64 s[44:45], s[44:45]
	v_mov_b32_e32 v24, s50
	s_xor_b64 exec, exec, s[44:45]
	s_cbranch_execnz .LBB271_844
.LBB271_569:                            ;   in Loop: Header=BB271_12 Depth=1
	s_or_b64 exec, exec, s[44:45]
	s_and_saveexec_b64 s[44:45], s[42:43]
	s_cbranch_execz .LBB271_571
.LBB271_570:                            ;   in Loop: Header=BB271_12 Depth=1
	v_and_b32_e32 v2, 7, v4
	v_ffbh_u32_e32 v0, v2
	v_min_u32_e32 v6, 32, v0
	v_subrev_u32_e32 v0, 28, v6
	v_bfe_u32 v3, v4, 3, 4
	v_lshlrev_b64 v[0:1], v0, v[4:5]
	v_sub_u32_e32 v1, 29, v6
	v_cmp_eq_u32_e32 vcc, 0, v3
	v_and_b32_e32 v0, 7, v0
	s_nop 0
	v_cndmask_b32_e32 v1, v3, v1, vcc
	v_cndmask_b32_e32 v0, v2, v0, vcc
	v_lshlrev_b32_e32 v2, 8, v4
	v_lshl_add_u32 v1, v1, 10, v54
	v_and_or_b32 v1, v2, s49, v1
	v_lshl_or_b32 v0, v0, 7, v1
	v_cvt_f32_f16_e32 v24, v0
.LBB271_571:                            ;   in Loop: Header=BB271_12 Depth=1
	s_or_b64 exec, exec, s[44:45]
	v_lshrrev_b32_e32 v4, 16, v18
	v_cmp_gt_i16_sdwa s[42:43], v4, s17 src0_sel:BYTE_0 src1_sel:DWORD
	s_mov_b64 vcc, 0
                                        ; implicit-def: $sgpr46
	s_and_saveexec_b64 s[44:45], s[42:43]
	s_xor_b64 s[42:43], exec, s[44:45]
	s_cbranch_execnz .LBB271_845
; %bb.572:                              ;   in Loop: Header=BB271_12 Depth=1
	s_or_saveexec_b64 s[42:43], s[42:43]
	v_mov_b32_e32 v31, s46
	s_xor_b64 exec, exec, s[42:43]
	s_cbranch_execnz .LBB271_848
.LBB271_573:                            ;   in Loop: Header=BB271_12 Depth=1
	s_or_b64 exec, exec, s[42:43]
	s_and_saveexec_b64 s[42:43], vcc
	s_cbranch_execz .LBB271_575
.LBB271_574:                            ;   in Loop: Header=BB271_12 Depth=1
	v_bfe_u32 v2, v18, 16, 3
	v_ffbh_u32_e32 v0, v2
	v_min_u32_e32 v6, 32, v0
	v_subrev_u32_e32 v0, 28, v6
	v_bfe_u32 v3, v18, 19, 4
	v_lshlrev_b64 v[0:1], v0, v[4:5]
	v_sub_u32_e32 v1, 29, v6
	v_cmp_eq_u32_e32 vcc, 0, v3
	v_and_b32_e32 v0, 7, v0
	s_nop 0
	v_cndmask_b32_e32 v1, v3, v1, vcc
	v_cndmask_b32_e32 v0, v2, v0, vcc
	v_lshlrev_b32_e32 v2, 8, v4
	v_lshl_add_u32 v1, v1, 10, v54
	v_and_or_b32 v1, v2, s49, v1
	v_lshl_or_b32 v0, v0, 7, v1
	v_cvt_f32_f16_e32 v31, v0
.LBB271_575:                            ;   in Loop: Header=BB271_12 Depth=1
	s_or_b64 exec, exec, s[42:43]
	v_lshrrev_b32_e32 v4, 24, v18
	v_cmp_lt_i16_e32 vcc, s17, v4
	s_mov_b64 s[42:43], 0
                                        ; implicit-def: $sgpr50
	s_and_saveexec_b64 s[44:45], vcc
	s_xor_b64 s[44:45], exec, s[44:45]
	s_cbranch_execnz .LBB271_849
; %bb.576:                              ;   in Loop: Header=BB271_12 Depth=1
	s_or_saveexec_b64 s[44:45], s[44:45]
	v_mov_b32_e32 v27, s50
	s_xor_b64 exec, exec, s[44:45]
	s_cbranch_execnz .LBB271_852
.LBB271_577:                            ;   in Loop: Header=BB271_12 Depth=1
	s_or_b64 exec, exec, s[44:45]
	s_and_saveexec_b64 s[44:45], s[42:43]
	s_cbranch_execz .LBB271_579
.LBB271_578:                            ;   in Loop: Header=BB271_12 Depth=1
	v_bfe_u32 v2, v18, 24, 3
	v_ffbh_u32_e32 v0, v2
	v_min_u32_e32 v6, 32, v0
	v_subrev_u32_e32 v0, 28, v6
	v_bfe_u32 v3, v18, 27, 4
	v_lshlrev_b64 v[0:1], v0, v[4:5]
	v_sub_u32_e32 v1, 29, v6
	v_cmp_eq_u32_e32 vcc, 0, v3
	v_and_b32_e32 v0, 7, v0
	s_nop 0
	v_cndmask_b32_e32 v1, v3, v1, vcc
	v_cndmask_b32_e32 v0, v2, v0, vcc
	v_lshlrev_b32_e32 v2, 8, v4
	v_lshl_add_u32 v1, v1, 10, v54
	v_and_or_b32 v1, v2, s49, v1
	v_lshl_or_b32 v0, v0, 7, v1
	v_cvt_f32_f16_e32 v27, v0
.LBB271_579:                            ;   in Loop: Header=BB271_12 Depth=1
	s_or_b64 exec, exec, s[44:45]
	v_add_co_u32_e32 v0, vcc, 0x1000, v34
                                        ; implicit-def: $sgpr46
	s_nop 1
	v_addc_co_u32_e32 v1, vcc, 0, v35, vcc
	flat_load_dword v18, v[0:1] offset:1024
	s_mov_b64 vcc, 0
	s_waitcnt vmcnt(0) lgkmcnt(0)
	v_cmp_gt_i16_sdwa s[42:43], v18, s17 src0_sel:BYTE_0 src1_sel:DWORD
	s_and_saveexec_b64 s[44:45], s[42:43]
	s_xor_b64 s[42:43], exec, s[44:45]
	s_cbranch_execnz .LBB271_853
; %bb.580:                              ;   in Loop: Header=BB271_12 Depth=1
	s_or_saveexec_b64 s[42:43], s[42:43]
	v_mov_b32_e32 v47, s46
	s_xor_b64 exec, exec, s[42:43]
	s_cbranch_execnz .LBB271_856
.LBB271_581:                            ;   in Loop: Header=BB271_12 Depth=1
	s_or_b64 exec, exec, s[42:43]
	s_and_saveexec_b64 s[42:43], vcc
	s_cbranch_execz .LBB271_583
.LBB271_582:                            ;   in Loop: Header=BB271_12 Depth=1
	v_and_b32_e32 v2, 7, v18
	v_ffbh_u32_e32 v0, v2
	v_min_u32_e32 v4, 32, v0
	v_subrev_u32_e32 v0, 28, v4
	v_bfe_u32 v3, v18, 3, 4
	v_lshlrev_b64 v[0:1], v0, v[18:19]
	v_sub_u32_e32 v1, 29, v4
	v_cmp_eq_u32_e32 vcc, 0, v3
	v_and_b32_e32 v0, 7, v0
	s_nop 0
	v_cndmask_b32_e32 v1, v3, v1, vcc
	v_cndmask_b32_e32 v0, v2, v0, vcc
	v_lshlrev_b32_e32 v2, 8, v18
	v_lshl_add_u32 v1, v1, 10, v54
	v_and_or_b32 v1, v2, s49, v1
	v_lshl_or_b32 v0, v0, 7, v1
	v_cvt_f32_f16_e32 v47, v0
.LBB271_583:                            ;   in Loop: Header=BB271_12 Depth=1
	s_or_b64 exec, exec, s[42:43]
	v_lshrrev_b16_e32 v4, 8, v18
	v_lshl_add_u64 v[36:37], v[34:35], 0, s[28:29]
	v_cmp_lt_i16_e32 vcc, s17, v4
	s_mov_b64 s[42:43], 0
                                        ; implicit-def: $sgpr50
	s_and_saveexec_b64 s[44:45], vcc
	s_xor_b64 s[44:45], exec, s[44:45]
	s_cbranch_execnz .LBB271_857
; %bb.584:                              ;   in Loop: Header=BB271_12 Depth=1
	s_or_saveexec_b64 s[44:45], s[44:45]
	v_mov_b32_e32 v21, s50
	s_xor_b64 exec, exec, s[44:45]
	s_cbranch_execnz .LBB271_860
.LBB271_585:                            ;   in Loop: Header=BB271_12 Depth=1
	s_or_b64 exec, exec, s[44:45]
	s_and_saveexec_b64 s[44:45], s[42:43]
	s_cbranch_execz .LBB271_587
.LBB271_586:                            ;   in Loop: Header=BB271_12 Depth=1
	v_and_b32_e32 v2, 7, v4
	v_ffbh_u32_e32 v0, v2
	v_min_u32_e32 v6, 32, v0
	v_subrev_u32_e32 v0, 28, v6
	v_bfe_u32 v3, v4, 3, 4
	v_lshlrev_b64 v[0:1], v0, v[4:5]
	v_sub_u32_e32 v1, 29, v6
	v_cmp_eq_u32_e32 vcc, 0, v3
	v_and_b32_e32 v0, 7, v0
	s_nop 0
	v_cndmask_b32_e32 v1, v3, v1, vcc
	v_cndmask_b32_e32 v0, v2, v0, vcc
	v_lshlrev_b32_e32 v2, 8, v4
	v_lshl_add_u32 v1, v1, 10, v54
	v_and_or_b32 v1, v2, s49, v1
	v_lshl_or_b32 v0, v0, 7, v1
	v_cvt_f32_f16_e32 v21, v0
.LBB271_587:                            ;   in Loop: Header=BB271_12 Depth=1
	s_or_b64 exec, exec, s[44:45]
	v_lshrrev_b32_e32 v4, 16, v18
	v_cmp_gt_i16_sdwa s[42:43], v4, s17 src0_sel:BYTE_0 src1_sel:DWORD
	s_mov_b64 vcc, 0
                                        ; implicit-def: $sgpr46
	s_and_saveexec_b64 s[44:45], s[42:43]
	s_xor_b64 s[42:43], exec, s[44:45]
	s_cbranch_execnz .LBB271_861
; %bb.588:                              ;   in Loop: Header=BB271_12 Depth=1
	s_or_saveexec_b64 s[42:43], s[42:43]
	v_mov_b32_e32 v20, s46
	s_xor_b64 exec, exec, s[42:43]
	s_cbranch_execnz .LBB271_864
.LBB271_589:                            ;   in Loop: Header=BB271_12 Depth=1
	s_or_b64 exec, exec, s[42:43]
	s_and_saveexec_b64 s[42:43], vcc
	s_cbranch_execz .LBB271_591
.LBB271_590:                            ;   in Loop: Header=BB271_12 Depth=1
	v_bfe_u32 v2, v18, 16, 3
	v_ffbh_u32_e32 v0, v2
	v_min_u32_e32 v6, 32, v0
	v_subrev_u32_e32 v0, 28, v6
	v_bfe_u32 v3, v18, 19, 4
	v_lshlrev_b64 v[0:1], v0, v[4:5]
	v_sub_u32_e32 v1, 29, v6
	v_cmp_eq_u32_e32 vcc, 0, v3
	v_and_b32_e32 v0, 7, v0
	s_nop 0
	v_cndmask_b32_e32 v1, v3, v1, vcc
	v_cndmask_b32_e32 v0, v2, v0, vcc
	v_lshlrev_b32_e32 v2, 8, v4
	v_lshl_add_u32 v1, v1, 10, v54
	v_and_or_b32 v1, v2, s49, v1
	v_lshl_or_b32 v0, v0, 7, v1
	v_cvt_f32_f16_e32 v20, v0
.LBB271_591:                            ;   in Loop: Header=BB271_12 Depth=1
	s_or_b64 exec, exec, s[42:43]
	v_lshrrev_b32_e32 v4, 24, v18
	v_cmp_lt_i16_e32 vcc, s17, v4
	s_mov_b64 s[42:43], 0
                                        ; implicit-def: $sgpr50
	s_and_saveexec_b64 s[44:45], vcc
	s_xor_b64 s[44:45], exec, s[44:45]
	s_cbranch_execnz .LBB271_865
; %bb.592:                              ;   in Loop: Header=BB271_12 Depth=1
	s_or_saveexec_b64 s[44:45], s[44:45]
	v_mov_b32_e32 v39, s50
	s_xor_b64 exec, exec, s[44:45]
	s_cbranch_execnz .LBB271_868
.LBB271_593:                            ;   in Loop: Header=BB271_12 Depth=1
	s_or_b64 exec, exec, s[44:45]
	s_and_saveexec_b64 s[44:45], s[42:43]
	s_cbranch_execz .LBB271_595
.LBB271_594:                            ;   in Loop: Header=BB271_12 Depth=1
	v_bfe_u32 v2, v18, 24, 3
	v_ffbh_u32_e32 v0, v2
	v_min_u32_e32 v6, 32, v0
	v_subrev_u32_e32 v0, 28, v6
	v_bfe_u32 v3, v18, 27, 4
	v_lshlrev_b64 v[0:1], v0, v[4:5]
	v_sub_u32_e32 v1, 29, v6
	v_cmp_eq_u32_e32 vcc, 0, v3
	v_and_b32_e32 v0, 7, v0
	s_nop 0
	v_cndmask_b32_e32 v1, v3, v1, vcc
	v_cndmask_b32_e32 v0, v2, v0, vcc
	v_lshlrev_b32_e32 v2, 8, v4
	v_lshl_add_u32 v1, v1, 10, v54
	v_and_or_b32 v1, v2, s49, v1
	v_lshl_or_b32 v0, v0, 7, v1
	v_cvt_f32_f16_e32 v39, v0
.LBB271_595:                            ;   in Loop: Header=BB271_12 Depth=1
	s_or_b64 exec, exec, s[44:45]
	flat_load_dword v18, v[36:37] offset:8
	s_mov_b64 vcc, 0
                                        ; implicit-def: $sgpr46
	s_waitcnt vmcnt(0) lgkmcnt(0)
	v_cmp_gt_i16_sdwa s[42:43], v18, s17 src0_sel:BYTE_0 src1_sel:DWORD
	s_and_saveexec_b64 s[44:45], s[42:43]
	s_xor_b64 s[42:43], exec, s[44:45]
	s_cbranch_execnz .LBB271_869
; %bb.596:                              ;   in Loop: Header=BB271_12 Depth=1
	s_or_saveexec_b64 s[42:43], s[42:43]
	v_mov_b32_e32 v25, s46
	s_xor_b64 exec, exec, s[42:43]
	s_cbranch_execnz .LBB271_872
.LBB271_597:                            ;   in Loop: Header=BB271_12 Depth=1
	s_or_b64 exec, exec, s[42:43]
	s_and_saveexec_b64 s[42:43], vcc
	s_cbranch_execz .LBB271_599
.LBB271_598:                            ;   in Loop: Header=BB271_12 Depth=1
	v_and_b32_e32 v2, 7, v18
	v_ffbh_u32_e32 v0, v2
	v_min_u32_e32 v4, 32, v0
	v_subrev_u32_e32 v0, 28, v4
	v_bfe_u32 v3, v18, 3, 4
	v_lshlrev_b64 v[0:1], v0, v[18:19]
	v_sub_u32_e32 v1, 29, v4
	v_cmp_eq_u32_e32 vcc, 0, v3
	v_and_b32_e32 v0, 7, v0
	s_nop 0
	v_cndmask_b32_e32 v1, v3, v1, vcc
	v_cndmask_b32_e32 v0, v2, v0, vcc
	v_lshlrev_b32_e32 v2, 8, v18
	v_lshl_add_u32 v1, v1, 10, v54
	v_and_or_b32 v1, v2, s49, v1
	v_lshl_or_b32 v0, v0, 7, v1
	v_cvt_f32_f16_e32 v25, v0
.LBB271_599:                            ;   in Loop: Header=BB271_12 Depth=1
	s_or_b64 exec, exec, s[42:43]
	v_lshrrev_b16_e32 v4, 8, v18
	v_cmp_lt_i16_e32 vcc, s17, v4
	s_mov_b64 s[42:43], 0
                                        ; implicit-def: $sgpr50
	s_and_saveexec_b64 s[44:45], vcc
	s_xor_b64 s[44:45], exec, s[44:45]
	s_cbranch_execnz .LBB271_873
; %bb.600:                              ;   in Loop: Header=BB271_12 Depth=1
	s_or_saveexec_b64 s[44:45], s[44:45]
	v_mov_b32_e32 v52, s50
	s_xor_b64 exec, exec, s[44:45]
	s_cbranch_execnz .LBB271_876
.LBB271_601:                            ;   in Loop: Header=BB271_12 Depth=1
	s_or_b64 exec, exec, s[44:45]
	s_and_saveexec_b64 s[44:45], s[42:43]
	s_cbranch_execz .LBB271_603
.LBB271_602:                            ;   in Loop: Header=BB271_12 Depth=1
	v_and_b32_e32 v2, 7, v4
	v_ffbh_u32_e32 v0, v2
	v_min_u32_e32 v6, 32, v0
	v_subrev_u32_e32 v0, 28, v6
	v_bfe_u32 v3, v4, 3, 4
	v_lshlrev_b64 v[0:1], v0, v[4:5]
	v_sub_u32_e32 v1, 29, v6
	v_cmp_eq_u32_e32 vcc, 0, v3
	v_and_b32_e32 v0, 7, v0
	s_nop 0
	v_cndmask_b32_e32 v1, v3, v1, vcc
	v_cndmask_b32_e32 v0, v2, v0, vcc
	v_lshlrev_b32_e32 v2, 8, v4
	v_lshl_add_u32 v1, v1, 10, v54
	v_and_or_b32 v1, v2, s49, v1
	v_lshl_or_b32 v0, v0, 7, v1
	v_cvt_f32_f16_e32 v52, v0
.LBB271_603:                            ;   in Loop: Header=BB271_12 Depth=1
	s_or_b64 exec, exec, s[44:45]
	v_lshrrev_b32_e32 v4, 16, v18
	v_cmp_gt_i16_sdwa s[42:43], v4, s17 src0_sel:BYTE_0 src1_sel:DWORD
	s_mov_b64 vcc, 0
                                        ; implicit-def: $sgpr46
	s_and_saveexec_b64 s[44:45], s[42:43]
	s_xor_b64 s[42:43], exec, s[44:45]
	s_cbranch_execnz .LBB271_877
; %bb.604:                              ;   in Loop: Header=BB271_12 Depth=1
	s_or_saveexec_b64 s[42:43], s[42:43]
	v_mov_b32_e32 v48, s46
	s_xor_b64 exec, exec, s[42:43]
	s_cbranch_execnz .LBB271_880
.LBB271_605:                            ;   in Loop: Header=BB271_12 Depth=1
	s_or_b64 exec, exec, s[42:43]
	s_and_saveexec_b64 s[42:43], vcc
	s_cbranch_execz .LBB271_607
.LBB271_606:                            ;   in Loop: Header=BB271_12 Depth=1
	v_bfe_u32 v2, v18, 16, 3
	v_ffbh_u32_e32 v0, v2
	v_min_u32_e32 v6, 32, v0
	v_subrev_u32_e32 v0, 28, v6
	v_bfe_u32 v3, v18, 19, 4
	v_lshlrev_b64 v[0:1], v0, v[4:5]
	v_sub_u32_e32 v1, 29, v6
	v_cmp_eq_u32_e32 vcc, 0, v3
	v_and_b32_e32 v0, 7, v0
	s_nop 0
	v_cndmask_b32_e32 v1, v3, v1, vcc
	v_cndmask_b32_e32 v0, v2, v0, vcc
	v_lshlrev_b32_e32 v2, 8, v4
	v_lshl_add_u32 v1, v1, 10, v54
	v_and_or_b32 v1, v2, s49, v1
	v_lshl_or_b32 v0, v0, 7, v1
	v_cvt_f32_f16_e32 v48, v0
.LBB271_607:                            ;   in Loop: Header=BB271_12 Depth=1
	s_or_b64 exec, exec, s[42:43]
	v_lshrrev_b32_e32 v4, 24, v18
	v_cmp_lt_i16_e32 vcc, s17, v4
	s_mov_b64 s[42:43], 0
                                        ; implicit-def: $sgpr50
	s_and_saveexec_b64 s[44:45], vcc
	s_xor_b64 s[44:45], exec, s[44:45]
	s_cbranch_execnz .LBB271_881
; %bb.608:                              ;   in Loop: Header=BB271_12 Depth=1
	s_or_saveexec_b64 s[44:45], s[44:45]
	v_mov_b32_e32 v46, s50
	s_xor_b64 exec, exec, s[44:45]
	s_cbranch_execnz .LBB271_884
.LBB271_609:                            ;   in Loop: Header=BB271_12 Depth=1
	s_or_b64 exec, exec, s[44:45]
	s_and_saveexec_b64 s[44:45], s[42:43]
	s_cbranch_execz .LBB271_611
.LBB271_610:                            ;   in Loop: Header=BB271_12 Depth=1
	v_bfe_u32 v2, v18, 24, 3
	v_ffbh_u32_e32 v0, v2
	v_min_u32_e32 v6, 32, v0
	v_subrev_u32_e32 v0, 28, v6
	v_bfe_u32 v3, v18, 27, 4
	v_lshlrev_b64 v[0:1], v0, v[4:5]
	v_sub_u32_e32 v1, 29, v6
	v_cmp_eq_u32_e32 vcc, 0, v3
	v_and_b32_e32 v0, 7, v0
	s_nop 0
	v_cndmask_b32_e32 v1, v3, v1, vcc
	v_cndmask_b32_e32 v0, v2, v0, vcc
	v_lshlrev_b32_e32 v2, 8, v4
	v_lshl_add_u32 v1, v1, 10, v54
	v_and_or_b32 v1, v2, s49, v1
	v_lshl_or_b32 v0, v0, 7, v1
	v_cvt_f32_f16_e32 v46, v0
.LBB271_611:                            ;   in Loop: Header=BB271_12 Depth=1
	s_or_b64 exec, exec, s[44:45]
	v_add_co_u32_e32 v0, vcc, 0x1000, v34
                                        ; implicit-def: $sgpr46
	s_nop 1
	v_addc_co_u32_e32 v1, vcc, 0, v35, vcc
	flat_load_dword v18, v[0:1] offset:1536
	s_mov_b64 vcc, 0
	s_waitcnt vmcnt(0) lgkmcnt(0)
	v_cmp_gt_i16_sdwa s[42:43], v18, s17 src0_sel:BYTE_0 src1_sel:DWORD
	s_and_saveexec_b64 s[44:45], s[42:43]
	s_xor_b64 s[42:43], exec, s[44:45]
	s_cbranch_execnz .LBB271_885
; %bb.612:                              ;   in Loop: Header=BB271_12 Depth=1
	s_or_saveexec_b64 s[42:43], s[42:43]
	v_mov_b32_e32 v15, s46
	s_xor_b64 exec, exec, s[42:43]
	s_cbranch_execnz .LBB271_888
.LBB271_613:                            ;   in Loop: Header=BB271_12 Depth=1
	s_or_b64 exec, exec, s[42:43]
	s_and_saveexec_b64 s[42:43], vcc
	s_cbranch_execz .LBB271_615
.LBB271_614:                            ;   in Loop: Header=BB271_12 Depth=1
	v_and_b32_e32 v2, 7, v18
	v_ffbh_u32_e32 v0, v2
	v_min_u32_e32 v4, 32, v0
	v_subrev_u32_e32 v0, 28, v4
	v_bfe_u32 v3, v18, 3, 4
	v_lshlrev_b64 v[0:1], v0, v[18:19]
	v_sub_u32_e32 v1, 29, v4
	v_cmp_eq_u32_e32 vcc, 0, v3
	v_and_b32_e32 v0, 7, v0
	s_nop 0
	v_cndmask_b32_e32 v1, v3, v1, vcc
	v_cndmask_b32_e32 v0, v2, v0, vcc
	v_lshlrev_b32_e32 v2, 8, v18
	v_lshl_add_u32 v1, v1, 10, v54
	v_and_or_b32 v1, v2, s49, v1
	v_lshl_or_b32 v0, v0, 7, v1
	v_cvt_f32_f16_e32 v15, v0
.LBB271_615:                            ;   in Loop: Header=BB271_12 Depth=1
	s_or_b64 exec, exec, s[42:43]
	v_lshrrev_b16_e32 v4, 8, v18
	v_lshl_add_u64 v[36:37], v[34:35], 0, s[30:31]
	v_cmp_lt_i16_e32 vcc, s17, v4
	s_mov_b64 s[42:43], 0
                                        ; implicit-def: $sgpr50
	s_and_saveexec_b64 s[44:45], vcc
	s_xor_b64 s[44:45], exec, s[44:45]
	s_cbranch_execnz .LBB271_889
; %bb.616:                              ;   in Loop: Header=BB271_12 Depth=1
	s_or_saveexec_b64 s[44:45], s[44:45]
	v_mov_b32_e32 v17, s50
	s_xor_b64 exec, exec, s[44:45]
	s_cbranch_execnz .LBB271_892
.LBB271_617:                            ;   in Loop: Header=BB271_12 Depth=1
	s_or_b64 exec, exec, s[44:45]
	s_and_saveexec_b64 s[44:45], s[42:43]
	s_cbranch_execz .LBB271_619
.LBB271_618:                            ;   in Loop: Header=BB271_12 Depth=1
	v_and_b32_e32 v2, 7, v4
	v_ffbh_u32_e32 v0, v2
	v_min_u32_e32 v6, 32, v0
	v_subrev_u32_e32 v0, 28, v6
	v_bfe_u32 v3, v4, 3, 4
	v_lshlrev_b64 v[0:1], v0, v[4:5]
	v_sub_u32_e32 v1, 29, v6
	v_cmp_eq_u32_e32 vcc, 0, v3
	v_and_b32_e32 v0, 7, v0
	s_nop 0
	v_cndmask_b32_e32 v1, v3, v1, vcc
	v_cndmask_b32_e32 v0, v2, v0, vcc
	v_lshlrev_b32_e32 v2, 8, v4
	v_lshl_add_u32 v1, v1, 10, v54
	v_and_or_b32 v1, v2, s49, v1
	v_lshl_or_b32 v0, v0, 7, v1
	v_cvt_f32_f16_e32 v17, v0
.LBB271_619:                            ;   in Loop: Header=BB271_12 Depth=1
	s_or_b64 exec, exec, s[44:45]
	v_lshrrev_b32_e32 v4, 16, v18
	v_cmp_gt_i16_sdwa s[42:43], v4, s17 src0_sel:BYTE_0 src1_sel:DWORD
	s_mov_b64 vcc, 0
                                        ; implicit-def: $sgpr46
	s_and_saveexec_b64 s[44:45], s[42:43]
	s_xor_b64 s[42:43], exec, s[44:45]
	s_cbranch_execnz .LBB271_893
; %bb.620:                              ;   in Loop: Header=BB271_12 Depth=1
	s_or_saveexec_b64 s[42:43], s[42:43]
	v_mov_b32_e32 v22, s46
	s_xor_b64 exec, exec, s[42:43]
	s_cbranch_execnz .LBB271_896
.LBB271_621:                            ;   in Loop: Header=BB271_12 Depth=1
	s_or_b64 exec, exec, s[42:43]
	s_and_saveexec_b64 s[42:43], vcc
	s_cbranch_execz .LBB271_623
.LBB271_622:                            ;   in Loop: Header=BB271_12 Depth=1
	v_bfe_u32 v2, v18, 16, 3
	v_ffbh_u32_e32 v0, v2
	v_min_u32_e32 v6, 32, v0
	v_subrev_u32_e32 v0, 28, v6
	v_bfe_u32 v3, v18, 19, 4
	v_lshlrev_b64 v[0:1], v0, v[4:5]
	v_sub_u32_e32 v1, 29, v6
	v_cmp_eq_u32_e32 vcc, 0, v3
	v_and_b32_e32 v0, 7, v0
	s_nop 0
	v_cndmask_b32_e32 v1, v3, v1, vcc
	v_cndmask_b32_e32 v0, v2, v0, vcc
	v_lshlrev_b32_e32 v2, 8, v4
	v_lshl_add_u32 v1, v1, 10, v54
	v_and_or_b32 v1, v2, s49, v1
	v_lshl_or_b32 v0, v0, 7, v1
	v_cvt_f32_f16_e32 v22, v0
.LBB271_623:                            ;   in Loop: Header=BB271_12 Depth=1
	s_or_b64 exec, exec, s[42:43]
	v_lshrrev_b32_e32 v4, 24, v18
	v_cmp_lt_i16_e32 vcc, s17, v4
	s_mov_b64 s[42:43], 0
                                        ; implicit-def: $sgpr50
	s_and_saveexec_b64 s[44:45], vcc
	s_xor_b64 s[44:45], exec, s[44:45]
	s_cbranch_execnz .LBB271_897
; %bb.624:                              ;   in Loop: Header=BB271_12 Depth=1
	s_or_saveexec_b64 s[44:45], s[44:45]
	v_mov_b32_e32 v49, s50
	s_xor_b64 exec, exec, s[44:45]
	s_cbranch_execnz .LBB271_900
.LBB271_625:                            ;   in Loop: Header=BB271_12 Depth=1
	s_or_b64 exec, exec, s[44:45]
	s_and_saveexec_b64 s[44:45], s[42:43]
	s_cbranch_execz .LBB271_627
.LBB271_626:                            ;   in Loop: Header=BB271_12 Depth=1
	v_bfe_u32 v2, v18, 24, 3
	v_ffbh_u32_e32 v0, v2
	v_min_u32_e32 v6, 32, v0
	v_subrev_u32_e32 v0, 28, v6
	v_bfe_u32 v3, v18, 27, 4
	v_lshlrev_b64 v[0:1], v0, v[4:5]
	v_sub_u32_e32 v1, 29, v6
	v_cmp_eq_u32_e32 vcc, 0, v3
	v_and_b32_e32 v0, 7, v0
	s_nop 0
	v_cndmask_b32_e32 v1, v3, v1, vcc
	v_cndmask_b32_e32 v0, v2, v0, vcc
	v_lshlrev_b32_e32 v2, 8, v4
	v_lshl_add_u32 v1, v1, 10, v54
	v_and_or_b32 v1, v2, s49, v1
	v_lshl_or_b32 v0, v0, 7, v1
	v_cvt_f32_f16_e32 v49, v0
.LBB271_627:                            ;   in Loop: Header=BB271_12 Depth=1
	s_or_b64 exec, exec, s[44:45]
	flat_load_dword v18, v[36:37] offset:8
	s_mov_b64 vcc, 0
                                        ; implicit-def: $sgpr46
	s_waitcnt vmcnt(0) lgkmcnt(0)
	v_cmp_gt_i16_sdwa s[42:43], v18, s17 src0_sel:BYTE_0 src1_sel:DWORD
	s_and_saveexec_b64 s[44:45], s[42:43]
	s_xor_b64 s[42:43], exec, s[44:45]
	s_cbranch_execnz .LBB271_901
; %bb.628:                              ;   in Loop: Header=BB271_12 Depth=1
	s_or_saveexec_b64 s[42:43], s[42:43]
	v_mov_b32_e32 v33, s46
	s_xor_b64 exec, exec, s[42:43]
	s_cbranch_execnz .LBB271_904
.LBB271_629:                            ;   in Loop: Header=BB271_12 Depth=1
	s_or_b64 exec, exec, s[42:43]
	s_and_saveexec_b64 s[42:43], vcc
	s_cbranch_execz .LBB271_631
.LBB271_630:                            ;   in Loop: Header=BB271_12 Depth=1
	v_and_b32_e32 v2, 7, v18
	v_ffbh_u32_e32 v0, v2
	v_min_u32_e32 v4, 32, v0
	v_subrev_u32_e32 v0, 28, v4
	v_bfe_u32 v3, v18, 3, 4
	v_lshlrev_b64 v[0:1], v0, v[18:19]
	v_sub_u32_e32 v1, 29, v4
	v_cmp_eq_u32_e32 vcc, 0, v3
	v_and_b32_e32 v0, 7, v0
	s_nop 0
	v_cndmask_b32_e32 v1, v3, v1, vcc
	v_cndmask_b32_e32 v0, v2, v0, vcc
	v_lshlrev_b32_e32 v2, 8, v18
	v_lshl_add_u32 v1, v1, 10, v54
	v_and_or_b32 v1, v2, s49, v1
	v_lshl_or_b32 v0, v0, 7, v1
	v_cvt_f32_f16_e32 v33, v0
.LBB271_631:                            ;   in Loop: Header=BB271_12 Depth=1
	s_or_b64 exec, exec, s[42:43]
	v_lshrrev_b16_e32 v4, 8, v18
	v_cmp_lt_i16_e32 vcc, s17, v4
	s_mov_b64 s[42:43], 0
                                        ; implicit-def: $sgpr50
	s_and_saveexec_b64 s[44:45], vcc
	s_xor_b64 s[44:45], exec, s[44:45]
	s_cbranch_execnz .LBB271_905
; %bb.632:                              ;   in Loop: Header=BB271_12 Depth=1
	s_or_saveexec_b64 s[44:45], s[44:45]
	v_mov_b32_e32 v28, s50
	s_xor_b64 exec, exec, s[44:45]
	s_cbranch_execnz .LBB271_908
.LBB271_633:                            ;   in Loop: Header=BB271_12 Depth=1
	s_or_b64 exec, exec, s[44:45]
	s_and_saveexec_b64 s[44:45], s[42:43]
	s_cbranch_execz .LBB271_635
.LBB271_634:                            ;   in Loop: Header=BB271_12 Depth=1
	v_and_b32_e32 v2, 7, v4
	v_ffbh_u32_e32 v0, v2
	v_min_u32_e32 v6, 32, v0
	v_subrev_u32_e32 v0, 28, v6
	v_bfe_u32 v3, v4, 3, 4
	v_lshlrev_b64 v[0:1], v0, v[4:5]
	v_sub_u32_e32 v1, 29, v6
	v_cmp_eq_u32_e32 vcc, 0, v3
	v_and_b32_e32 v0, 7, v0
	s_nop 0
	v_cndmask_b32_e32 v1, v3, v1, vcc
	v_cndmask_b32_e32 v0, v2, v0, vcc
	v_lshlrev_b32_e32 v2, 8, v4
	v_lshl_add_u32 v1, v1, 10, v54
	v_and_or_b32 v1, v2, s49, v1
	v_lshl_or_b32 v0, v0, 7, v1
	v_cvt_f32_f16_e32 v28, v0
.LBB271_635:                            ;   in Loop: Header=BB271_12 Depth=1
	s_or_b64 exec, exec, s[44:45]
	v_lshrrev_b32_e32 v4, 16, v18
	v_cmp_gt_i16_sdwa s[42:43], v4, s17 src0_sel:BYTE_0 src1_sel:DWORD
	s_mov_b64 vcc, 0
                                        ; implicit-def: $sgpr46
	s_and_saveexec_b64 s[44:45], s[42:43]
	s_xor_b64 s[42:43], exec, s[44:45]
	s_cbranch_execnz .LBB271_909
; %bb.636:                              ;   in Loop: Header=BB271_12 Depth=1
	s_or_saveexec_b64 s[42:43], s[42:43]
	v_mov_b32_e32 v38, s46
	s_xor_b64 exec, exec, s[42:43]
	s_cbranch_execnz .LBB271_912
.LBB271_637:                            ;   in Loop: Header=BB271_12 Depth=1
	s_or_b64 exec, exec, s[42:43]
	s_and_saveexec_b64 s[42:43], vcc
	s_cbranch_execz .LBB271_639
.LBB271_638:                            ;   in Loop: Header=BB271_12 Depth=1
	v_bfe_u32 v2, v18, 16, 3
	v_ffbh_u32_e32 v0, v2
	v_min_u32_e32 v6, 32, v0
	v_subrev_u32_e32 v0, 28, v6
	v_bfe_u32 v3, v18, 19, 4
	v_lshlrev_b64 v[0:1], v0, v[4:5]
	v_sub_u32_e32 v1, 29, v6
	v_cmp_eq_u32_e32 vcc, 0, v3
	v_and_b32_e32 v0, 7, v0
	s_nop 0
	v_cndmask_b32_e32 v1, v3, v1, vcc
	v_cndmask_b32_e32 v0, v2, v0, vcc
	v_lshlrev_b32_e32 v2, 8, v4
	v_lshl_add_u32 v1, v1, 10, v54
	v_and_or_b32 v1, v2, s49, v1
	v_lshl_or_b32 v0, v0, 7, v1
	v_cvt_f32_f16_e32 v38, v0
.LBB271_639:                            ;   in Loop: Header=BB271_12 Depth=1
	s_or_b64 exec, exec, s[42:43]
	v_lshrrev_b32_e32 v4, 24, v18
	v_cmp_lt_i16_e32 vcc, s17, v4
	s_mov_b64 s[42:43], 0
                                        ; implicit-def: $sgpr50
	s_and_saveexec_b64 s[44:45], vcc
	s_xor_b64 s[44:45], exec, s[44:45]
	s_cbranch_execnz .LBB271_913
; %bb.640:                              ;   in Loop: Header=BB271_12 Depth=1
	s_or_saveexec_b64 s[44:45], s[44:45]
	v_mov_b32_e32 v23, s50
	s_xor_b64 exec, exec, s[44:45]
	s_cbranch_execnz .LBB271_916
.LBB271_641:                            ;   in Loop: Header=BB271_12 Depth=1
	s_or_b64 exec, exec, s[44:45]
	s_and_saveexec_b64 s[44:45], s[42:43]
	s_cbranch_execz .LBB271_643
.LBB271_642:                            ;   in Loop: Header=BB271_12 Depth=1
	v_bfe_u32 v2, v18, 24, 3
	v_ffbh_u32_e32 v0, v2
	v_min_u32_e32 v6, 32, v0
	v_subrev_u32_e32 v0, 28, v6
	v_bfe_u32 v3, v18, 27, 4
	v_lshlrev_b64 v[0:1], v0, v[4:5]
	v_sub_u32_e32 v1, 29, v6
	v_cmp_eq_u32_e32 vcc, 0, v3
	v_and_b32_e32 v0, 7, v0
	s_nop 0
	v_cndmask_b32_e32 v1, v3, v1, vcc
	v_cndmask_b32_e32 v0, v2, v0, vcc
	v_lshlrev_b32_e32 v2, 8, v4
	v_lshl_add_u32 v1, v1, 10, v54
	v_and_or_b32 v1, v2, s49, v1
	v_lshl_or_b32 v0, v0, 7, v1
	v_cvt_f32_f16_e32 v23, v0
.LBB271_643:                            ;   in Loop: Header=BB271_12 Depth=1
	s_or_b64 exec, exec, s[44:45]
	v_add_co_u32_e32 v0, vcc, 0x1000, v34
                                        ; implicit-def: $sgpr46
	s_nop 1
	v_addc_co_u32_e32 v1, vcc, 0, v35, vcc
	flat_load_dword v18, v[0:1] offset:2048
	s_mov_b64 vcc, 0
	s_waitcnt vmcnt(0) lgkmcnt(0)
	v_cmp_gt_i16_sdwa s[42:43], v18, s17 src0_sel:BYTE_0 src1_sel:DWORD
	s_and_saveexec_b64 s[44:45], s[42:43]
	s_xor_b64 s[42:43], exec, s[44:45]
	s_cbranch_execnz .LBB271_917
; %bb.644:                              ;   in Loop: Header=BB271_12 Depth=1
	s_or_saveexec_b64 s[42:43], s[42:43]
	v_mov_b32_e32 v3, s46
	s_xor_b64 exec, exec, s[42:43]
	s_cbranch_execnz .LBB271_920
.LBB271_645:                            ;   in Loop: Header=BB271_12 Depth=1
	s_or_b64 exec, exec, s[42:43]
	s_and_saveexec_b64 s[42:43], vcc
	s_cbranch_execz .LBB271_647
.LBB271_646:                            ;   in Loop: Header=BB271_12 Depth=1
	v_and_b32_e32 v2, 7, v18
	v_ffbh_u32_e32 v0, v2
	v_min_u32_e32 v4, 32, v0
	v_subrev_u32_e32 v0, 28, v4
	v_bfe_u32 v3, v18, 3, 4
	v_lshlrev_b64 v[0:1], v0, v[18:19]
	v_sub_u32_e32 v1, 29, v4
	v_cmp_eq_u32_e32 vcc, 0, v3
	v_and_b32_e32 v0, 7, v0
	s_nop 0
	v_cndmask_b32_e32 v1, v3, v1, vcc
	v_cndmask_b32_e32 v0, v2, v0, vcc
	v_lshlrev_b32_e32 v2, 8, v18
	v_lshl_add_u32 v1, v1, 10, v54
	v_and_or_b32 v1, v2, s49, v1
	v_lshl_or_b32 v0, v0, 7, v1
	v_cvt_f32_f16_e32 v3, v0
.LBB271_647:                            ;   in Loop: Header=BB271_12 Depth=1
	s_or_b64 exec, exec, s[42:43]
	v_lshrrev_b16_e32 v4, 8, v18
	v_lshl_add_u64 v[36:37], v[34:35], 0, s[34:35]
	v_cmp_lt_i16_e32 vcc, s17, v4
	s_mov_b64 s[42:43], 0
                                        ; implicit-def: $sgpr50
	s_and_saveexec_b64 s[44:45], vcc
	s_xor_b64 s[44:45], exec, s[44:45]
	s_cbranch_execnz .LBB271_921
; %bb.648:                              ;   in Loop: Header=BB271_12 Depth=1
	s_or_saveexec_b64 s[44:45], s[44:45]
	v_mov_b32_e32 v16, s50
	s_xor_b64 exec, exec, s[44:45]
	s_cbranch_execnz .LBB271_924
.LBB271_649:                            ;   in Loop: Header=BB271_12 Depth=1
	s_or_b64 exec, exec, s[44:45]
	s_and_saveexec_b64 s[44:45], s[42:43]
	s_cbranch_execz .LBB271_651
.LBB271_650:                            ;   in Loop: Header=BB271_12 Depth=1
	v_and_b32_e32 v2, 7, v4
	v_ffbh_u32_e32 v0, v2
	v_min_u32_e32 v7, 32, v0
	v_subrev_u32_e32 v0, 28, v7
	v_bfe_u32 v6, v4, 3, 4
	v_lshlrev_b64 v[0:1], v0, v[4:5]
	v_sub_u32_e32 v1, 29, v7
	v_cmp_eq_u32_e32 vcc, 0, v6
	v_and_b32_e32 v0, 7, v0
	s_nop 0
	v_cndmask_b32_e32 v1, v6, v1, vcc
	v_cndmask_b32_e32 v0, v2, v0, vcc
	v_lshlrev_b32_e32 v2, 8, v4
	v_lshl_add_u32 v1, v1, 10, v54
	v_and_or_b32 v1, v2, s49, v1
	v_lshl_or_b32 v0, v0, 7, v1
	v_cvt_f32_f16_e32 v16, v0
.LBB271_651:                            ;   in Loop: Header=BB271_12 Depth=1
	s_or_b64 exec, exec, s[44:45]
	v_lshrrev_b32_e32 v4, 16, v18
	v_cmp_gt_i16_sdwa s[42:43], v4, s17 src0_sel:BYTE_0 src1_sel:DWORD
	s_mov_b64 vcc, 0
                                        ; implicit-def: $sgpr46
	s_and_saveexec_b64 s[44:45], s[42:43]
	s_xor_b64 s[42:43], exec, s[44:45]
	s_cbranch_execnz .LBB271_925
; %bb.652:                              ;   in Loop: Header=BB271_12 Depth=1
	s_or_saveexec_b64 s[42:43], s[42:43]
	v_mov_b32_e32 v42, s46
	s_xor_b64 exec, exec, s[42:43]
	s_cbranch_execnz .LBB271_928
.LBB271_653:                            ;   in Loop: Header=BB271_12 Depth=1
	s_or_b64 exec, exec, s[42:43]
	s_and_saveexec_b64 s[42:43], vcc
	s_cbranch_execz .LBB271_655
.LBB271_654:                            ;   in Loop: Header=BB271_12 Depth=1
	v_bfe_u32 v2, v18, 16, 3
	v_ffbh_u32_e32 v0, v2
	v_min_u32_e32 v7, 32, v0
	v_subrev_u32_e32 v0, 28, v7
	v_bfe_u32 v6, v18, 19, 4
	v_lshlrev_b64 v[0:1], v0, v[4:5]
	v_sub_u32_e32 v1, 29, v7
	v_cmp_eq_u32_e32 vcc, 0, v6
	v_and_b32_e32 v0, 7, v0
	s_nop 0
	v_cndmask_b32_e32 v1, v6, v1, vcc
	v_cndmask_b32_e32 v0, v2, v0, vcc
	v_lshlrev_b32_e32 v2, 8, v4
	v_lshl_add_u32 v1, v1, 10, v54
	v_and_or_b32 v1, v2, s49, v1
	v_lshl_or_b32 v0, v0, 7, v1
	v_cvt_f32_f16_e32 v42, v0
.LBB271_655:                            ;   in Loop: Header=BB271_12 Depth=1
	s_or_b64 exec, exec, s[42:43]
	v_lshrrev_b32_e32 v4, 24, v18
	v_cmp_lt_i16_e32 vcc, s17, v4
	s_mov_b64 s[42:43], 0
                                        ; implicit-def: $sgpr50
	s_and_saveexec_b64 s[44:45], vcc
	s_xor_b64 s[44:45], exec, s[44:45]
	s_cbranch_execnz .LBB271_929
; %bb.656:                              ;   in Loop: Header=BB271_12 Depth=1
	s_or_saveexec_b64 s[44:45], s[44:45]
	v_mov_b32_e32 v32, s50
	s_xor_b64 exec, exec, s[44:45]
	s_cbranch_execnz .LBB271_932
.LBB271_657:                            ;   in Loop: Header=BB271_12 Depth=1
	s_or_b64 exec, exec, s[44:45]
	s_and_saveexec_b64 s[44:45], s[42:43]
	s_cbranch_execz .LBB271_659
.LBB271_658:                            ;   in Loop: Header=BB271_12 Depth=1
	v_bfe_u32 v2, v18, 24, 3
	v_ffbh_u32_e32 v0, v2
	v_min_u32_e32 v7, 32, v0
	v_subrev_u32_e32 v0, 28, v7
	v_bfe_u32 v6, v18, 27, 4
	v_lshlrev_b64 v[0:1], v0, v[4:5]
	v_sub_u32_e32 v1, 29, v7
	v_cmp_eq_u32_e32 vcc, 0, v6
	v_and_b32_e32 v0, 7, v0
	s_nop 0
	v_cndmask_b32_e32 v1, v6, v1, vcc
	v_cndmask_b32_e32 v0, v2, v0, vcc
	v_lshlrev_b32_e32 v2, 8, v4
	v_lshl_add_u32 v1, v1, 10, v54
	v_and_or_b32 v1, v2, s49, v1
	v_lshl_or_b32 v0, v0, 7, v1
	v_cvt_f32_f16_e32 v32, v0
.LBB271_659:                            ;   in Loop: Header=BB271_12 Depth=1
	s_or_b64 exec, exec, s[44:45]
	flat_load_dword v18, v[36:37] offset:8
	s_mov_b64 vcc, 0
                                        ; implicit-def: $sgpr46
	s_waitcnt vmcnt(0) lgkmcnt(0)
	v_cmp_gt_i16_sdwa s[42:43], v18, s17 src0_sel:BYTE_0 src1_sel:DWORD
	s_and_saveexec_b64 s[44:45], s[42:43]
	s_xor_b64 s[42:43], exec, s[44:45]
	s_cbranch_execnz .LBB271_933
; %bb.660:                              ;   in Loop: Header=BB271_12 Depth=1
	s_or_saveexec_b64 s[42:43], s[42:43]
	v_mov_b32_e32 v12, s46
	s_xor_b64 exec, exec, s[42:43]
	s_cbranch_execnz .LBB271_936
.LBB271_661:                            ;   in Loop: Header=BB271_12 Depth=1
	s_or_b64 exec, exec, s[42:43]
	s_and_saveexec_b64 s[42:43], vcc
	s_cbranch_execz .LBB271_663
.LBB271_662:                            ;   in Loop: Header=BB271_12 Depth=1
	v_and_b32_e32 v2, 7, v18
	v_ffbh_u32_e32 v0, v2
	v_min_u32_e32 v6, 32, v0
	v_subrev_u32_e32 v0, 28, v6
	v_bfe_u32 v4, v18, 3, 4
	v_lshlrev_b64 v[0:1], v0, v[18:19]
	v_sub_u32_e32 v1, 29, v6
	v_cmp_eq_u32_e32 vcc, 0, v4
	v_and_b32_e32 v0, 7, v0
	s_nop 0
	v_cndmask_b32_e32 v1, v4, v1, vcc
	v_cndmask_b32_e32 v0, v2, v0, vcc
	v_lshlrev_b32_e32 v2, 8, v18
	v_lshl_add_u32 v1, v1, 10, v54
	v_and_or_b32 v1, v2, s49, v1
	v_lshl_or_b32 v0, v0, 7, v1
	v_cvt_f32_f16_e32 v12, v0
.LBB271_663:                            ;   in Loop: Header=BB271_12 Depth=1
	s_or_b64 exec, exec, s[42:43]
	v_lshrrev_b16_e32 v4, 8, v18
	v_cmp_lt_i16_e32 vcc, s17, v4
	s_mov_b64 s[42:43], 0
                                        ; implicit-def: $sgpr50
	s_and_saveexec_b64 s[44:45], vcc
	s_xor_b64 s[44:45], exec, s[44:45]
	s_cbranch_execnz .LBB271_937
; %bb.664:                              ;   in Loop: Header=BB271_12 Depth=1
	s_or_saveexec_b64 s[44:45], s[44:45]
	v_mov_b32_e32 v7, s50
	s_xor_b64 exec, exec, s[44:45]
	s_cbranch_execnz .LBB271_940
.LBB271_665:                            ;   in Loop: Header=BB271_12 Depth=1
	s_or_b64 exec, exec, s[44:45]
	s_and_saveexec_b64 s[44:45], s[42:43]
	s_cbranch_execz .LBB271_667
.LBB271_666:                            ;   in Loop: Header=BB271_12 Depth=1
	v_and_b32_e32 v2, 7, v4
	v_ffbh_u32_e32 v0, v2
	v_min_u32_e32 v7, 32, v0
	v_subrev_u32_e32 v0, 28, v7
	v_bfe_u32 v6, v4, 3, 4
	v_lshlrev_b64 v[0:1], v0, v[4:5]
	v_sub_u32_e32 v1, 29, v7
	v_cmp_eq_u32_e32 vcc, 0, v6
	v_and_b32_e32 v0, 7, v0
	s_nop 0
	v_cndmask_b32_e32 v1, v6, v1, vcc
	v_cndmask_b32_e32 v0, v2, v0, vcc
	v_lshlrev_b32_e32 v2, 8, v4
	v_lshl_add_u32 v1, v1, 10, v54
	v_and_or_b32 v1, v2, s49, v1
	v_lshl_or_b32 v0, v0, 7, v1
	v_cvt_f32_f16_e32 v7, v0
.LBB271_667:                            ;   in Loop: Header=BB271_12 Depth=1
	s_or_b64 exec, exec, s[44:45]
	v_lshrrev_b32_e32 v4, 16, v18
	v_cmp_gt_i16_sdwa s[42:43], v4, s17 src0_sel:BYTE_0 src1_sel:DWORD
	s_mov_b64 vcc, 0
                                        ; implicit-def: $sgpr46
	s_and_saveexec_b64 s[44:45], s[42:43]
	s_xor_b64 s[42:43], exec, s[44:45]
	s_cbranch_execnz .LBB271_941
; %bb.668:                              ;   in Loop: Header=BB271_12 Depth=1
	s_or_saveexec_b64 s[42:43], s[42:43]
	v_mov_b32_e32 v50, s46
	s_xor_b64 exec, exec, s[42:43]
	s_cbranch_execnz .LBB271_944
.LBB271_669:                            ;   in Loop: Header=BB271_12 Depth=1
	s_or_b64 exec, exec, s[42:43]
	s_and_saveexec_b64 s[42:43], vcc
	s_cbranch_execz .LBB271_671
.LBB271_670:                            ;   in Loop: Header=BB271_12 Depth=1
	v_bfe_u32 v2, v18, 16, 3
	v_ffbh_u32_e32 v0, v2
	v_min_u32_e32 v8, 32, v0
	v_subrev_u32_e32 v0, 28, v8
	v_bfe_u32 v6, v18, 19, 4
	v_lshlrev_b64 v[0:1], v0, v[4:5]
	v_sub_u32_e32 v1, 29, v8
	v_cmp_eq_u32_e32 vcc, 0, v6
	v_and_b32_e32 v0, 7, v0
	s_nop 0
	v_cndmask_b32_e32 v1, v6, v1, vcc
	v_cndmask_b32_e32 v0, v2, v0, vcc
	v_lshlrev_b32_e32 v2, 8, v4
	v_lshl_add_u32 v1, v1, 10, v54
	v_and_or_b32 v1, v2, s49, v1
	v_lshl_or_b32 v0, v0, 7, v1
	v_cvt_f32_f16_e32 v50, v0
.LBB271_671:                            ;   in Loop: Header=BB271_12 Depth=1
	s_or_b64 exec, exec, s[42:43]
	v_lshrrev_b32_e32 v4, 24, v18
	v_cmp_lt_i16_e32 vcc, s17, v4
	s_mov_b64 s[42:43], 0
                                        ; implicit-def: $sgpr50
	s_and_saveexec_b64 s[44:45], vcc
	s_xor_b64 s[44:45], exec, s[44:45]
	s_cbranch_execnz .LBB271_945
; %bb.672:                              ;   in Loop: Header=BB271_12 Depth=1
	s_or_saveexec_b64 s[44:45], s[44:45]
	v_mov_b32_e32 v2, s50
	s_xor_b64 exec, exec, s[44:45]
	s_cbranch_execnz .LBB271_948
.LBB271_673:                            ;   in Loop: Header=BB271_12 Depth=1
	s_or_b64 exec, exec, s[44:45]
	s_and_saveexec_b64 s[44:45], s[42:43]
	s_cbranch_execz .LBB271_675
.LBB271_674:                            ;   in Loop: Header=BB271_12 Depth=1
	v_bfe_u32 v2, v18, 24, 3
	v_ffbh_u32_e32 v0, v2
	v_min_u32_e32 v8, 32, v0
	v_subrev_u32_e32 v0, 28, v8
	v_bfe_u32 v6, v18, 27, 4
	v_lshlrev_b64 v[0:1], v0, v[4:5]
	v_sub_u32_e32 v1, 29, v8
	v_cmp_eq_u32_e32 vcc, 0, v6
	v_and_b32_e32 v0, 7, v0
	s_nop 0
	v_cndmask_b32_e32 v1, v6, v1, vcc
	v_cndmask_b32_e32 v0, v2, v0, vcc
	v_lshlrev_b32_e32 v2, 8, v4
	v_lshl_add_u32 v1, v1, 10, v54
	v_and_or_b32 v1, v2, s49, v1
	v_lshl_or_b32 v0, v0, 7, v1
	v_cvt_f32_f16_e32 v2, v0
.LBB271_675:                            ;   in Loop: Header=BB271_12 Depth=1
	s_or_b64 exec, exec, s[44:45]
	v_add_co_u32_e32 v0, vcc, 0x1000, v34
                                        ; implicit-def: $sgpr46
	s_nop 1
	v_addc_co_u32_e32 v1, vcc, 0, v35, vcc
	flat_load_dword v18, v[0:1] offset:2560
	s_mov_b64 vcc, 0
	s_waitcnt vmcnt(0) lgkmcnt(0)
	v_cmp_gt_i16_sdwa s[42:43], v18, s17 src0_sel:BYTE_0 src1_sel:DWORD
	s_and_saveexec_b64 s[44:45], s[42:43]
	s_xor_b64 s[42:43], exec, s[44:45]
	s_cbranch_execnz .LBB271_949
; %bb.676:                              ;   in Loop: Header=BB271_12 Depth=1
	s_or_saveexec_b64 s[42:43], s[42:43]
	v_mov_b32_e32 v9, s46
	s_xor_b64 exec, exec, s[42:43]
	s_cbranch_execnz .LBB271_952
.LBB271_677:                            ;   in Loop: Header=BB271_12 Depth=1
	s_or_b64 exec, exec, s[42:43]
	s_and_saveexec_b64 s[42:43], vcc
	s_cbranch_execz .LBB271_679
.LBB271_678:                            ;   in Loop: Header=BB271_12 Depth=1
	v_and_b32_e32 v4, 7, v18
	v_ffbh_u32_e32 v0, v4
	v_min_u32_e32 v8, 32, v0
	v_subrev_u32_e32 v0, 28, v8
	v_bfe_u32 v6, v18, 3, 4
	v_lshlrev_b64 v[0:1], v0, v[18:19]
	v_sub_u32_e32 v1, 29, v8
	v_cmp_eq_u32_e32 vcc, 0, v6
	v_and_b32_e32 v0, 7, v0
	s_nop 0
	v_cndmask_b32_e32 v1, v6, v1, vcc
	v_cndmask_b32_e32 v0, v4, v0, vcc
	v_lshlrev_b32_e32 v4, 8, v18
	v_lshl_add_u32 v1, v1, 10, v54
	v_and_or_b32 v1, v4, s49, v1
	v_lshl_or_b32 v0, v0, 7, v1
	v_cvt_f32_f16_e32 v9, v0
.LBB271_679:                            ;   in Loop: Header=BB271_12 Depth=1
	s_or_b64 exec, exec, s[42:43]
	v_lshrrev_b16_e32 v4, 8, v18
	v_lshl_add_u64 v[36:37], v[34:35], 0, s[36:37]
	v_cmp_lt_i16_e32 vcc, s17, v4
	s_mov_b64 s[42:43], 0
                                        ; implicit-def: $sgpr50
	s_and_saveexec_b64 s[44:45], vcc
	s_xor_b64 s[44:45], exec, s[44:45]
	s_cbranch_execnz .LBB271_953
; %bb.680:                              ;   in Loop: Header=BB271_12 Depth=1
	s_or_saveexec_b64 s[44:45], s[44:45]
	v_mov_b32_e32 v0, s50
	s_xor_b64 exec, exec, s[44:45]
	s_cbranch_execnz .LBB271_956
.LBB271_681:                            ;   in Loop: Header=BB271_12 Depth=1
	s_or_b64 exec, exec, s[44:45]
	s_and_saveexec_b64 s[44:45], s[42:43]
	s_cbranch_execz .LBB271_683
.LBB271_682:                            ;   in Loop: Header=BB271_12 Depth=1
	v_and_b32_e32 v6, 7, v4
	v_ffbh_u32_e32 v0, v6
	v_min_u32_e32 v10, 32, v0
	v_subrev_u32_e32 v0, 28, v10
	v_bfe_u32 v8, v4, 3, 4
	v_lshlrev_b64 v[0:1], v0, v[4:5]
	v_sub_u32_e32 v1, 29, v10
	v_cmp_eq_u32_e32 vcc, 0, v8
	v_and_b32_e32 v0, 7, v0
	v_lshlrev_b32_e32 v4, 8, v4
	v_cndmask_b32_e32 v1, v8, v1, vcc
	v_lshl_add_u32 v1, v1, 10, v54
	v_cndmask_b32_e32 v0, v6, v0, vcc
	v_and_or_b32 v1, v4, s49, v1
	v_lshl_or_b32 v0, v0, 7, v1
	v_cvt_f32_f16_e32 v0, v0
.LBB271_683:                            ;   in Loop: Header=BB271_12 Depth=1
	s_or_b64 exec, exec, s[44:45]
	v_lshrrev_b32_e32 v4, 16, v18
	v_cmp_gt_i16_sdwa s[42:43], v4, s17 src0_sel:BYTE_0 src1_sel:DWORD
	s_mov_b64 vcc, 0
                                        ; implicit-def: $sgpr46
	s_and_saveexec_b64 s[44:45], s[42:43]
	s_xor_b64 s[42:43], exec, s[44:45]
	s_cbranch_execnz .LBB271_957
; %bb.684:                              ;   in Loop: Header=BB271_12 Depth=1
	s_or_saveexec_b64 s[42:43], s[42:43]
	v_mov_b32_e32 v29, s46
	s_xor_b64 exec, exec, s[42:43]
	s_cbranch_execnz .LBB271_960
.LBB271_685:                            ;   in Loop: Header=BB271_12 Depth=1
	s_or_b64 exec, exec, s[42:43]
	s_and_saveexec_b64 s[42:43], vcc
	s_cbranch_execz .LBB271_687
.LBB271_686:                            ;   in Loop: Header=BB271_12 Depth=1
	v_bfe_u32 v1, v18, 16, 3
	v_ffbh_u32_e32 v8, v1
	v_bfe_u32 v6, v18, 19, 4
	v_min_u32_e32 v8, 32, v8
	v_subrev_u32_e32 v10, 28, v8
	v_sub_u32_e32 v8, 29, v8
	v_cmp_eq_u32_e32 vcc, 0, v6
	v_lshlrev_b64 v[10:11], v10, v[4:5]
	v_and_b32_e32 v10, 7, v10
	v_cndmask_b32_e32 v6, v6, v8, vcc
	v_lshlrev_b32_e32 v4, 8, v4
	v_lshl_add_u32 v6, v6, 10, v54
	v_cndmask_b32_e32 v1, v1, v10, vcc
	v_and_or_b32 v4, v4, s49, v6
	v_lshl_or_b32 v1, v1, 7, v4
	v_cvt_f32_f16_e32 v29, v1
.LBB271_687:                            ;   in Loop: Header=BB271_12 Depth=1
	s_or_b64 exec, exec, s[42:43]
	v_lshrrev_b32_e32 v4, 24, v18
	v_cmp_lt_i16_e32 vcc, s17, v4
	s_mov_b64 s[42:43], 0
                                        ; implicit-def: $sgpr50
	s_and_saveexec_b64 s[44:45], vcc
	s_xor_b64 s[44:45], exec, s[44:45]
	s_cbranch_execnz .LBB271_961
; %bb.688:                              ;   in Loop: Header=BB271_12 Depth=1
	s_or_saveexec_b64 s[44:45], s[44:45]
	v_mov_b32_e32 v8, s50
	s_xor_b64 exec, exec, s[44:45]
	s_cbranch_execnz .LBB271_964
.LBB271_689:                            ;   in Loop: Header=BB271_12 Depth=1
	s_or_b64 exec, exec, s[44:45]
	s_and_saveexec_b64 s[44:45], s[42:43]
	s_cbranch_execz .LBB271_691
.LBB271_690:                            ;   in Loop: Header=BB271_12 Depth=1
	v_bfe_u32 v1, v18, 24, 3
	v_ffbh_u32_e32 v8, v1
	v_bfe_u32 v6, v18, 27, 4
	v_min_u32_e32 v8, 32, v8
	v_subrev_u32_e32 v10, 28, v8
	v_sub_u32_e32 v8, 29, v8
	v_cmp_eq_u32_e32 vcc, 0, v6
	v_lshlrev_b64 v[10:11], v10, v[4:5]
	v_and_b32_e32 v10, 7, v10
	v_cndmask_b32_e32 v6, v6, v8, vcc
	v_lshlrev_b32_e32 v4, 8, v4
	v_lshl_add_u32 v6, v6, 10, v54
	v_cndmask_b32_e32 v1, v1, v10, vcc
	v_and_or_b32 v4, v4, s49, v6
	v_lshl_or_b32 v1, v1, 7, v4
	v_cvt_f32_f16_e32 v8, v1
.LBB271_691:                            ;   in Loop: Header=BB271_12 Depth=1
	s_or_b64 exec, exec, s[44:45]
	flat_load_dword v18, v[36:37] offset:8
	s_mov_b64 vcc, 0
                                        ; implicit-def: $sgpr46
	s_waitcnt vmcnt(0) lgkmcnt(0)
	v_cmp_gt_i16_sdwa s[42:43], v18, s17 src0_sel:BYTE_0 src1_sel:DWORD
	s_and_saveexec_b64 s[44:45], s[42:43]
	s_xor_b64 s[42:43], exec, s[44:45]
	s_cbranch_execnz .LBB271_965
; %bb.692:                              ;   in Loop: Header=BB271_12 Depth=1
	s_or_saveexec_b64 s[42:43], s[42:43]
	v_mov_b32_e32 v40, s46
	s_xor_b64 exec, exec, s[42:43]
	s_cbranch_execnz .LBB271_968
.LBB271_693:                            ;   in Loop: Header=BB271_12 Depth=1
	s_or_b64 exec, exec, s[42:43]
	s_and_saveexec_b64 s[42:43], vcc
	s_cbranch_execz .LBB271_695
.LBB271_694:                            ;   in Loop: Header=BB271_12 Depth=1
	v_and_b32_e32 v1, 7, v18
	v_ffbh_u32_e32 v6, v1
	v_bfe_u32 v4, v18, 3, 4
	v_min_u32_e32 v6, 32, v6
	v_subrev_u32_e32 v10, 28, v6
	v_sub_u32_e32 v6, 29, v6
	v_cmp_eq_u32_e32 vcc, 0, v4
	v_lshlrev_b64 v[10:11], v10, v[18:19]
	v_and_b32_e32 v10, 7, v10
	v_cndmask_b32_e32 v4, v4, v6, vcc
	v_lshlrev_b32_e32 v6, 8, v18
	v_lshl_add_u32 v4, v4, 10, v54
	v_cndmask_b32_e32 v1, v1, v10, vcc
	v_and_or_b32 v4, v6, s49, v4
	v_lshl_or_b32 v1, v1, 7, v4
	v_cvt_f32_f16_e32 v40, v1
.LBB271_695:                            ;   in Loop: Header=BB271_12 Depth=1
	s_or_b64 exec, exec, s[42:43]
	v_lshrrev_b16_e32 v4, 8, v18
	v_cmp_lt_i16_e32 vcc, s17, v4
	s_mov_b64 s[42:43], 0
                                        ; implicit-def: $sgpr50
	s_and_saveexec_b64 s[44:45], vcc
	s_xor_b64 s[44:45], exec, s[44:45]
	s_cbranch_execnz .LBB271_969
; %bb.696:                              ;   in Loop: Header=BB271_12 Depth=1
	s_or_saveexec_b64 s[44:45], s[44:45]
	v_mov_b32_e32 v1, s50
	s_xor_b64 exec, exec, s[44:45]
	s_cbranch_execnz .LBB271_972
.LBB271_697:                            ;   in Loop: Header=BB271_12 Depth=1
	s_or_b64 exec, exec, s[44:45]
	s_and_saveexec_b64 s[44:45], s[42:43]
	s_cbranch_execz .LBB271_699
.LBB271_698:                            ;   in Loop: Header=BB271_12 Depth=1
	v_and_b32_e32 v1, 7, v4
	v_ffbh_u32_e32 v10, v1
	v_min_u32_e32 v13, 32, v10
	v_subrev_u32_e32 v10, 28, v13
	v_bfe_u32 v6, v4, 3, 4
	v_lshlrev_b64 v[10:11], v10, v[4:5]
	v_sub_u32_e32 v11, 29, v13
	v_cmp_eq_u32_e32 vcc, 0, v6
	v_and_b32_e32 v10, 7, v10
	v_lshlrev_b32_e32 v4, 8, v4
	v_cndmask_b32_e32 v6, v6, v11, vcc
	v_lshl_add_u32 v6, v6, 10, v54
	v_cndmask_b32_e32 v1, v1, v10, vcc
	v_and_or_b32 v4, v4, s49, v6
	v_lshl_or_b32 v1, v1, 7, v4
	v_cvt_f32_f16_e32 v1, v1
.LBB271_699:                            ;   in Loop: Header=BB271_12 Depth=1
	s_or_b64 exec, exec, s[44:45]
	v_lshrrev_b32_e32 v4, 16, v18
	v_cmp_gt_i16_sdwa s[42:43], v4, s17 src0_sel:BYTE_0 src1_sel:DWORD
	s_mov_b64 vcc, 0
                                        ; implicit-def: $sgpr46
	s_and_saveexec_b64 s[44:45], s[42:43]
	s_xor_b64 s[42:43], exec, s[44:45]
	s_cbranch_execnz .LBB271_973
; %bb.700:                              ;   in Loop: Header=BB271_12 Depth=1
	s_or_saveexec_b64 s[42:43], s[42:43]
	v_mov_b32_e32 v6, s46
	s_xor_b64 exec, exec, s[42:43]
	s_cbranch_execnz .LBB271_976
.LBB271_701:                            ;   in Loop: Header=BB271_12 Depth=1
	s_or_b64 exec, exec, s[42:43]
	s_and_saveexec_b64 s[42:43], vcc
	s_cbranch_execz .LBB271_703
.LBB271_702:                            ;   in Loop: Header=BB271_12 Depth=1
	v_bfe_u32 v6, v18, 16, 3
	v_ffbh_u32_e32 v10, v6
	v_min_u32_e32 v14, 32, v10
	v_subrev_u32_e32 v10, 28, v14
	v_bfe_u32 v13, v18, 19, 4
	v_lshlrev_b64 v[10:11], v10, v[4:5]
	v_sub_u32_e32 v11, 29, v14
	v_cmp_eq_u32_e32 vcc, 0, v13
	v_and_b32_e32 v10, 7, v10
	v_lshlrev_b32_e32 v4, 8, v4
	v_cndmask_b32_e32 v11, v13, v11, vcc
	v_cndmask_b32_e32 v6, v6, v10, vcc
	v_lshl_add_u32 v10, v11, 10, v54
	v_and_or_b32 v4, v4, s49, v10
	v_lshl_or_b32 v4, v6, 7, v4
	v_cvt_f32_f16_e32 v6, v4
.LBB271_703:                            ;   in Loop: Header=BB271_12 Depth=1
	s_or_b64 exec, exec, s[42:43]
	v_lshrrev_b32_e32 v4, 24, v18
	v_cmp_lt_i16_e32 vcc, s17, v4
	s_mov_b64 s[42:43], 0
                                        ; implicit-def: $sgpr50
	s_and_saveexec_b64 s[44:45], vcc
	s_xor_b64 s[44:45], exec, s[44:45]
	s_cbranch_execnz .LBB271_977
; %bb.704:                              ;   in Loop: Header=BB271_12 Depth=1
	s_or_saveexec_b64 s[44:45], s[44:45]
	v_mov_b32_e32 v13, s50
	s_xor_b64 exec, exec, s[44:45]
	s_cbranch_execnz .LBB271_980
.LBB271_705:                            ;   in Loop: Header=BB271_12 Depth=1
	s_or_b64 exec, exec, s[44:45]
	s_and_saveexec_b64 s[44:45], s[42:43]
	s_cbranch_execz .LBB271_707
.LBB271_706:                            ;   in Loop: Header=BB271_12 Depth=1
	v_bfe_u32 v13, v18, 24, 3
	v_ffbh_u32_e32 v10, v13
	v_bfe_u32 v14, v18, 27, 4
	v_min_u32_e32 v18, 32, v10
	v_subrev_u32_e32 v10, 28, v18
	v_lshlrev_b64 v[10:11], v10, v[4:5]
	v_sub_u32_e32 v11, 29, v18
	v_cmp_eq_u32_e32 vcc, 0, v14
	v_and_b32_e32 v10, 7, v10
	v_lshlrev_b32_e32 v4, 8, v4
	v_cndmask_b32_e32 v11, v14, v11, vcc
	v_lshl_add_u32 v11, v11, 10, v54
	v_cndmask_b32_e32 v10, v13, v10, vcc
	v_and_or_b32 v4, v4, s49, v11
	v_lshl_or_b32 v4, v10, 7, v4
	v_cvt_f32_f16_e32 v13, v4
.LBB271_707:                            ;   in Loop: Header=BB271_12 Depth=1
	s_or_b64 exec, exec, s[44:45]
	v_add_co_u32_e32 v10, vcc, 0x1000, v34
                                        ; implicit-def: $sgpr46
	s_nop 1
	v_addc_co_u32_e32 v11, vcc, 0, v35, vcc
	flat_load_dword v18, v[10:11] offset:3072
	s_mov_b64 vcc, 0
	s_waitcnt vmcnt(0) lgkmcnt(0)
	v_cmp_gt_i16_sdwa s[42:43], v18, s17 src0_sel:BYTE_0 src1_sel:DWORD
	s_and_saveexec_b64 s[44:45], s[42:43]
	s_xor_b64 s[42:43], exec, s[44:45]
	s_cbranch_execnz .LBB271_981
; %bb.708:                              ;   in Loop: Header=BB271_12 Depth=1
	s_or_saveexec_b64 s[42:43], s[42:43]
	v_mov_b32_e32 v10, s46
	s_xor_b64 exec, exec, s[42:43]
	s_cbranch_execnz .LBB271_984
.LBB271_709:                            ;   in Loop: Header=BB271_12 Depth=1
	s_or_b64 exec, exec, s[42:43]
	s_and_saveexec_b64 s[42:43], vcc
	s_cbranch_execz .LBB271_711
.LBB271_710:                            ;   in Loop: Header=BB271_12 Depth=1
	v_and_b32_e32 v4, 7, v18
	v_ffbh_u32_e32 v10, v4
	v_min_u32_e32 v26, 32, v10
	v_subrev_u32_e32 v10, 28, v26
	v_bfe_u32 v14, v18, 3, 4
	v_lshlrev_b64 v[10:11], v10, v[18:19]
	v_sub_u32_e32 v11, 29, v26
	v_cmp_eq_u32_e32 vcc, 0, v14
	v_and_b32_e32 v10, 7, v10
	s_nop 0
	v_cndmask_b32_e32 v11, v14, v11, vcc
	v_cndmask_b32_e32 v4, v4, v10, vcc
	v_lshlrev_b32_e32 v10, 8, v18
	v_lshl_add_u32 v11, v11, 10, v54
	v_and_or_b32 v10, v10, s49, v11
	v_lshl_or_b32 v4, v4, 7, v10
	v_cvt_f32_f16_e32 v10, v4
.LBB271_711:                            ;   in Loop: Header=BB271_12 Depth=1
	s_or_b64 exec, exec, s[42:43]
	v_lshrrev_b16_e32 v4, 8, v18
	v_lshl_add_u64 v[36:37], v[34:35], 0, s[38:39]
	v_cmp_lt_i16_e32 vcc, s17, v4
	s_mov_b64 s[42:43], 0
                                        ; implicit-def: $sgpr50
	s_and_saveexec_b64 s[44:45], vcc
	s_xor_b64 s[44:45], exec, s[44:45]
	s_cbranch_execnz .LBB271_985
; %bb.712:                              ;   in Loop: Header=BB271_12 Depth=1
	s_or_saveexec_b64 s[44:45], s[44:45]
	v_mov_b32_e32 v26, s50
	s_xor_b64 exec, exec, s[44:45]
	s_cbranch_execnz .LBB271_988
.LBB271_713:                            ;   in Loop: Header=BB271_12 Depth=1
	s_or_b64 exec, exec, s[44:45]
	s_and_saveexec_b64 s[44:45], s[42:43]
	s_cbranch_execz .LBB271_715
.LBB271_714:                            ;   in Loop: Header=BB271_12 Depth=1
	v_and_b32_e32 v11, 7, v4
	v_ffbh_u32_e32 v26, v11
	v_bfe_u32 v14, v4, 3, 4
	v_min_u32_e32 v26, 32, v26
	v_subrev_u32_e32 v30, 28, v26
	v_sub_u32_e32 v26, 29, v26
	v_cmp_eq_u32_e32 vcc, 0, v14
	v_lshlrev_b64 v[44:45], v30, v[4:5]
	v_and_b32_e32 v30, 7, v44
	v_cndmask_b32_e32 v14, v14, v26, vcc
	v_lshlrev_b32_e32 v4, 8, v4
	v_lshl_add_u32 v14, v14, 10, v54
	v_cndmask_b32_e32 v11, v11, v30, vcc
	v_and_or_b32 v4, v4, s49, v14
	v_lshl_or_b32 v4, v11, 7, v4
	v_cvt_f32_f16_e32 v26, v4
.LBB271_715:                            ;   in Loop: Header=BB271_12 Depth=1
	s_or_b64 exec, exec, s[44:45]
	v_lshrrev_b32_e32 v4, 16, v18
	v_cmp_gt_i16_sdwa s[42:43], v4, s17 src0_sel:BYTE_0 src1_sel:DWORD
	s_mov_b64 vcc, 0
                                        ; implicit-def: $sgpr46
	s_and_saveexec_b64 s[44:45], s[42:43]
	s_xor_b64 s[42:43], exec, s[44:45]
	s_cbranch_execnz .LBB271_989
; %bb.716:                              ;   in Loop: Header=BB271_12 Depth=1
	s_or_saveexec_b64 s[42:43], s[42:43]
	v_mov_b32_e32 v30, s46
	s_xor_b64 exec, exec, s[42:43]
	s_cbranch_execnz .LBB271_992
.LBB271_717:                            ;   in Loop: Header=BB271_12 Depth=1
	s_or_b64 exec, exec, s[42:43]
	s_and_saveexec_b64 s[42:43], vcc
	s_cbranch_execz .LBB271_719
.LBB271_718:                            ;   in Loop: Header=BB271_12 Depth=1
	v_bfe_u32 v11, v18, 16, 3
	v_ffbh_u32_e32 v30, v11
	v_bfe_u32 v14, v18, 19, 4
	v_min_u32_e32 v30, 32, v30
	v_subrev_u32_e32 v51, 28, v30
	v_sub_u32_e32 v30, 29, v30
	v_cmp_eq_u32_e32 vcc, 0, v14
	v_lshlrev_b64 v[44:45], v51, v[4:5]
	v_and_b32_e32 v51, 7, v44
	v_cndmask_b32_e32 v14, v14, v30, vcc
	v_lshlrev_b32_e32 v4, 8, v4
	v_lshl_add_u32 v14, v14, 10, v54
	v_cndmask_b32_e32 v11, v11, v51, vcc
	v_and_or_b32 v4, v4, s49, v14
	v_lshl_or_b32 v4, v11, 7, v4
	v_cvt_f32_f16_e32 v30, v4
.LBB271_719:                            ;   in Loop: Header=BB271_12 Depth=1
	s_or_b64 exec, exec, s[42:43]
	v_lshrrev_b32_e32 v4, 24, v18
	v_cmp_lt_i16_e32 vcc, s17, v4
	s_mov_b64 s[42:43], 0
                                        ; implicit-def: $sgpr50
	s_and_saveexec_b64 s[44:45], vcc
	s_xor_b64 s[44:45], exec, s[44:45]
	s_cbranch_execnz .LBB271_993
; %bb.720:                              ;   in Loop: Header=BB271_12 Depth=1
	s_or_saveexec_b64 s[44:45], s[44:45]
	v_mov_b32_e32 v55, s50
	s_xor_b64 exec, exec, s[44:45]
	s_cbranch_execnz .LBB271_996
.LBB271_721:                            ;   in Loop: Header=BB271_12 Depth=1
	s_or_b64 exec, exec, s[44:45]
	s_and_saveexec_b64 s[44:45], s[42:43]
	s_cbranch_execz .LBB271_723
.LBB271_722:                            ;   in Loop: Header=BB271_12 Depth=1
	v_bfe_u32 v11, v18, 24, 3
	v_bfe_u32 v14, v18, 27, 4
	v_ffbh_u32_e32 v18, v11
	v_min_u32_e32 v18, 32, v18
	v_subrev_u32_e32 v51, 28, v18
	v_sub_u32_e32 v18, 29, v18
	v_cmp_eq_u32_e32 vcc, 0, v14
	v_lshlrev_b64 v[44:45], v51, v[4:5]
	v_and_b32_e32 v51, 7, v44
	v_cndmask_b32_e32 v14, v14, v18, vcc
	v_lshlrev_b32_e32 v4, 8, v4
	v_lshl_add_u32 v14, v14, 10, v54
	v_cndmask_b32_e32 v11, v11, v51, vcc
	v_and_or_b32 v4, v4, s49, v14
	v_lshl_or_b32 v4, v11, 7, v4
	v_cvt_f32_f16_e32 v55, v4
.LBB271_723:                            ;   in Loop: Header=BB271_12 Depth=1
	s_or_b64 exec, exec, s[44:45]
	flat_load_dword v18, v[36:37] offset:8
	s_mov_b64 vcc, 0
                                        ; implicit-def: $sgpr46
	s_waitcnt vmcnt(0) lgkmcnt(0)
	v_cmp_gt_i16_sdwa s[42:43], v18, s17 src0_sel:BYTE_0 src1_sel:DWORD
	s_and_saveexec_b64 s[44:45], s[42:43]
	s_xor_b64 s[42:43], exec, s[44:45]
	s_cbranch_execnz .LBB271_997
; %bb.724:                              ;   in Loop: Header=BB271_12 Depth=1
	s_or_saveexec_b64 s[42:43], s[42:43]
	v_mov_b32_e32 v36, s46
	s_xor_b64 exec, exec, s[42:43]
	s_cbranch_execnz .LBB271_1000
.LBB271_725:                            ;   in Loop: Header=BB271_12 Depth=1
	s_or_b64 exec, exec, s[42:43]
	s_and_saveexec_b64 s[42:43], vcc
	s_cbranch_execz .LBB271_727
.LBB271_726:                            ;   in Loop: Header=BB271_12 Depth=1
	v_and_b32_e32 v4, 7, v18
	v_ffbh_u32_e32 v14, v4
	v_bfe_u32 v11, v18, 3, 4
	v_min_u32_e32 v14, 32, v14
	v_subrev_u32_e32 v36, 28, v14
	v_sub_u32_e32 v14, 29, v14
	v_cmp_eq_u32_e32 vcc, 0, v11
	v_lshlrev_b64 v[36:37], v36, v[18:19]
	v_and_b32_e32 v36, 7, v36
	v_cndmask_b32_e32 v11, v11, v14, vcc
	v_lshlrev_b32_e32 v14, 8, v18
	v_lshl_add_u32 v11, v11, 10, v54
	v_cndmask_b32_e32 v4, v4, v36, vcc
	v_and_or_b32 v11, v14, s49, v11
	v_lshl_or_b32 v4, v4, 7, v11
	v_cvt_f32_f16_e32 v36, v4
.LBB271_727:                            ;   in Loop: Header=BB271_12 Depth=1
	s_or_b64 exec, exec, s[42:43]
	v_lshrrev_b16_e32 v4, 8, v18
	v_cmp_lt_i16_e32 vcc, s17, v4
	s_mov_b64 s[42:43], 0
                                        ; implicit-def: $sgpr50
	s_and_saveexec_b64 s[44:45], vcc
	s_xor_b64 s[44:45], exec, s[44:45]
	s_cbranch_execnz .LBB271_1001
; %bb.728:                              ;   in Loop: Header=BB271_12 Depth=1
	s_or_saveexec_b64 s[44:45], s[44:45]
	v_mov_b32_e32 v14, s50
	s_xor_b64 exec, exec, s[44:45]
	s_cbranch_execnz .LBB271_1004
.LBB271_729:                            ;   in Loop: Header=BB271_12 Depth=1
	s_or_b64 exec, exec, s[44:45]
	s_and_saveexec_b64 s[44:45], s[42:43]
	s_cbranch_execz .LBB271_731
.LBB271_730:                            ;   in Loop: Header=BB271_12 Depth=1
	v_and_b32_e32 v11, 7, v4
	v_ffbh_u32_e32 v37, v11
	v_bfe_u32 v14, v4, 3, 4
	v_min_u32_e32 v37, 32, v37
	v_subrev_u32_e32 v51, 28, v37
	v_sub_u32_e32 v37, 29, v37
	v_cmp_eq_u32_e32 vcc, 0, v14
	v_lshlrev_b64 v[44:45], v51, v[4:5]
	v_and_b32_e32 v51, 7, v44
	v_cndmask_b32_e32 v14, v14, v37, vcc
	v_lshlrev_b32_e32 v4, 8, v4
	v_lshl_add_u32 v14, v14, 10, v54
	v_cndmask_b32_e32 v11, v11, v51, vcc
	v_and_or_b32 v4, v4, s49, v14
	v_lshl_or_b32 v4, v11, 7, v4
	v_cvt_f32_f16_e32 v14, v4
.LBB271_731:                            ;   in Loop: Header=BB271_12 Depth=1
	s_or_b64 exec, exec, s[44:45]
	v_lshrrev_b32_e32 v4, 16, v18
	v_cmp_gt_i16_sdwa s[42:43], v4, s17 src0_sel:BYTE_0 src1_sel:DWORD
	s_mov_b64 vcc, 0
                                        ; implicit-def: $sgpr46
	s_and_saveexec_b64 s[44:45], s[42:43]
	s_xor_b64 s[42:43], exec, s[44:45]
	s_cbranch_execnz .LBB271_1005
; %bb.732:                              ;   in Loop: Header=BB271_12 Depth=1
	s_or_saveexec_b64 s[42:43], s[42:43]
	v_mov_b32_e32 v37, s46
	s_xor_b64 exec, exec, s[42:43]
	s_cbranch_execnz .LBB271_1008
.LBB271_733:                            ;   in Loop: Header=BB271_12 Depth=1
	s_or_b64 exec, exec, s[42:43]
	s_and_saveexec_b64 s[42:43], vcc
	s_cbranch_execz .LBB271_735
.LBB271_734:                            ;   in Loop: Header=BB271_12 Depth=1
	v_bfe_u32 v11, v18, 16, 3
	v_ffbh_u32_e32 v51, v11
	v_bfe_u32 v37, v18, 19, 4
	v_min_u32_e32 v51, 32, v51
	v_subrev_u32_e32 v53, 28, v51
	v_sub_u32_e32 v51, 29, v51
	v_cmp_eq_u32_e32 vcc, 0, v37
	v_lshlrev_b64 v[44:45], v53, v[4:5]
	v_and_b32_e32 v53, 7, v44
	v_cndmask_b32_e32 v37, v37, v51, vcc
	v_lshlrev_b32_e32 v4, 8, v4
	v_lshl_add_u32 v37, v37, 10, v54
	v_cndmask_b32_e32 v11, v11, v53, vcc
	v_and_or_b32 v4, v4, s49, v37
	v_lshl_or_b32 v4, v11, 7, v4
	v_cvt_f32_f16_e32 v37, v4
.LBB271_735:                            ;   in Loop: Header=BB271_12 Depth=1
	s_or_b64 exec, exec, s[42:43]
	v_lshrrev_b32_e32 v4, 24, v18
	v_cmp_lt_i16_e32 vcc, s17, v4
	s_mov_b64 s[42:43], 0
                                        ; implicit-def: $sgpr50
	s_and_saveexec_b64 s[44:45], vcc
	s_xor_b64 s[44:45], exec, s[44:45]
	s_cbranch_execnz .LBB271_1009
; %bb.736:                              ;   in Loop: Header=BB271_12 Depth=1
	s_or_saveexec_b64 s[44:45], s[44:45]
	v_mov_b32_e32 v51, s50
	s_xor_b64 exec, exec, s[44:45]
	s_cbranch_execnz .LBB271_1012
.LBB271_737:                            ;   in Loop: Header=BB271_12 Depth=1
	s_or_b64 exec, exec, s[44:45]
	s_and_saveexec_b64 s[44:45], s[42:43]
	s_cbranch_execz .LBB271_739
.LBB271_738:                            ;   in Loop: Header=BB271_12 Depth=1
	v_bfe_u32 v11, v18, 24, 3
	v_ffbh_u32_e32 v51, v11
	v_bfe_u32 v18, v18, 27, 4
	v_min_u32_e32 v51, 32, v51
	v_subrev_u32_e32 v53, 28, v51
	v_sub_u32_e32 v51, 29, v51
	v_cmp_eq_u32_e32 vcc, 0, v18
	v_lshlrev_b64 v[44:45], v53, v[4:5]
	v_and_b32_e32 v53, 7, v44
	v_cndmask_b32_e32 v18, v18, v51, vcc
	v_lshlrev_b32_e32 v4, 8, v4
	v_lshl_add_u32 v18, v18, 10, v54
	v_cndmask_b32_e32 v11, v11, v53, vcc
	v_and_or_b32 v4, v4, s49, v18
	v_lshl_or_b32 v4, v11, 7, v4
	v_cvt_f32_f16_e32 v51, v4
.LBB271_739:                            ;   in Loop: Header=BB271_12 Depth=1
	s_or_b64 exec, exec, s[44:45]
	v_add_co_u32_e32 v44, vcc, 0x1000, v34
                                        ; implicit-def: $sgpr46
	s_nop 1
	v_addc_co_u32_e32 v45, vcc, 0, v35, vcc
	flat_load_dword v18, v[44:45] offset:3584
	s_mov_b64 vcc, 0
	s_waitcnt vmcnt(0) lgkmcnt(0)
	v_cmp_gt_i16_sdwa s[42:43], v18, s17 src0_sel:BYTE_0 src1_sel:DWORD
	s_and_saveexec_b64 s[44:45], s[42:43]
	s_xor_b64 s[42:43], exec, s[44:45]
	s_cbranch_execnz .LBB271_1013
; %bb.740:                              ;   in Loop: Header=BB271_12 Depth=1
	s_or_saveexec_b64 s[42:43], s[42:43]
	v_mov_b32_e32 v53, s46
	s_xor_b64 exec, exec, s[42:43]
	s_cbranch_execnz .LBB271_1016
.LBB271_741:                            ;   in Loop: Header=BB271_12 Depth=1
	s_or_b64 exec, exec, s[42:43]
	s_and_saveexec_b64 s[42:43], vcc
	s_cbranch_execz .LBB271_743
.LBB271_742:                            ;   in Loop: Header=BB271_12 Depth=1
	v_and_b32_e32 v4, 7, v18
	v_ffbh_u32_e32 v53, v4
	v_bfe_u32 v11, v18, 3, 4
	v_min_u32_e32 v53, 32, v53
	v_subrev_u32_e32 v41, 28, v53
	v_sub_u32_e32 v53, 29, v53
	v_cmp_eq_u32_e32 vcc, 0, v11
	v_lshlrev_b64 v[44:45], v41, v[18:19]
	v_and_b32_e32 v41, 7, v44
	v_cndmask_b32_e32 v11, v11, v53, vcc
	v_lshlrev_b32_e32 v53, 8, v18
	v_lshl_add_u32 v11, v11, 10, v54
	v_cndmask_b32_e32 v4, v4, v41, vcc
	v_and_or_b32 v11, v53, s49, v11
	v_lshl_or_b32 v4, v4, 7, v11
	v_cvt_f32_f16_e32 v53, v4
.LBB271_743:                            ;   in Loop: Header=BB271_12 Depth=1
	s_or_b64 exec, exec, s[42:43]
	v_lshrrev_b16_e32 v4, 8, v18
	v_lshl_add_u64 v[34:35], v[34:35], 0, s[40:41]
	v_cmp_lt_i16_e32 vcc, s17, v4
	s_mov_b64 s[42:43], 0
                                        ; implicit-def: $sgpr50
	s_and_saveexec_b64 s[44:45], vcc
	s_xor_b64 s[44:45], exec, s[44:45]
	s_cbranch_execnz .LBB271_1017
; %bb.744:                              ;   in Loop: Header=BB271_12 Depth=1
	s_or_saveexec_b64 s[44:45], s[44:45]
	v_mov_b32_e32 v43, s50
	s_xor_b64 exec, exec, s[44:45]
	s_cbranch_execnz .LBB271_1020
.LBB271_745:                            ;   in Loop: Header=BB271_12 Depth=1
	s_or_b64 exec, exec, s[44:45]
	s_and_saveexec_b64 s[44:45], s[42:43]
	s_cbranch_execz .LBB271_747
.LBB271_746:                            ;   in Loop: Header=BB271_12 Depth=1
	v_and_b32_e32 v11, 7, v4
	v_ffbh_u32_e32 v43, v11
	v_bfe_u32 v41, v4, 3, 4
	v_min_u32_e32 v43, 32, v43
	v_subrev_u32_e32 v44, 28, v43
	v_sub_u32_e32 v43, 29, v43
	v_cmp_eq_u32_e32 vcc, 0, v41
	v_lshlrev_b64 v[44:45], v44, v[4:5]
	v_and_b32_e32 v44, 7, v44
	v_cndmask_b32_e32 v41, v41, v43, vcc
	v_lshlrev_b32_e32 v4, 8, v4
	v_lshl_add_u32 v41, v41, 10, v54
	v_cndmask_b32_e32 v11, v11, v44, vcc
	v_and_or_b32 v4, v4, s49, v41
	v_lshl_or_b32 v4, v11, 7, v4
	v_cvt_f32_f16_e32 v43, v4
.LBB271_747:                            ;   in Loop: Header=BB271_12 Depth=1
	s_or_b64 exec, exec, s[44:45]
	v_lshrrev_b32_e32 v4, 16, v18
	v_cmp_gt_i16_sdwa s[42:43], v4, s17 src0_sel:BYTE_0 src1_sel:DWORD
	s_mov_b64 vcc, 0
                                        ; implicit-def: $sgpr46
	s_and_saveexec_b64 s[44:45], s[42:43]
	s_xor_b64 s[42:43], exec, s[44:45]
	s_cbranch_execnz .LBB271_1021
; %bb.748:                              ;   in Loop: Header=BB271_12 Depth=1
	s_or_saveexec_b64 s[42:43], s[42:43]
	v_mov_b32_e32 v44, s46
	s_xor_b64 exec, exec, s[42:43]
	s_cbranch_execnz .LBB271_1024
.LBB271_749:                            ;   in Loop: Header=BB271_12 Depth=1
	s_or_b64 exec, exec, s[42:43]
	s_and_saveexec_b64 s[42:43], vcc
	s_cbranch_execz .LBB271_751
.LBB271_750:                            ;   in Loop: Header=BB271_12 Depth=1
	v_bfe_u32 v11, v18, 16, 3
	v_ffbh_u32_e32 v44, v11
	v_min_u32_e32 v56, 32, v44
	v_subrev_u32_e32 v44, 28, v56
	v_bfe_u32 v41, v18, 19, 4
	v_lshlrev_b64 v[44:45], v44, v[4:5]
	v_sub_u32_e32 v45, 29, v56
	v_cmp_eq_u32_e32 vcc, 0, v41
	v_and_b32_e32 v44, 7, v44
	v_lshlrev_b32_e32 v4, 8, v4
	v_cndmask_b32_e32 v41, v41, v45, vcc
	v_lshl_add_u32 v41, v41, 10, v54
	v_cndmask_b32_e32 v11, v11, v44, vcc
	v_and_or_b32 v4, v4, s49, v41
	v_lshl_or_b32 v4, v11, 7, v4
	v_cvt_f32_f16_e32 v44, v4
.LBB271_751:                            ;   in Loop: Header=BB271_12 Depth=1
	s_or_b64 exec, exec, s[42:43]
	v_lshrrev_b32_e32 v4, 24, v18
	v_cmp_lt_i16_e32 vcc, s17, v4
	s_mov_b64 s[42:43], 0
                                        ; implicit-def: $sgpr50
	s_and_saveexec_b64 s[44:45], vcc
	s_xor_b64 s[44:45], exec, s[44:45]
	s_cbranch_execnz .LBB271_1025
; %bb.752:                              ;   in Loop: Header=BB271_12 Depth=1
	s_or_saveexec_b64 s[44:45], s[44:45]
	v_mov_b32_e32 v45, s50
	s_xor_b64 exec, exec, s[44:45]
	s_cbranch_execnz .LBB271_1028
.LBB271_753:                            ;   in Loop: Header=BB271_12 Depth=1
	s_or_b64 exec, exec, s[44:45]
	s_and_saveexec_b64 s[44:45], s[42:43]
	s_cbranch_execz .LBB271_755
.LBB271_754:                            ;   in Loop: Header=BB271_12 Depth=1
	v_bfe_u32 v11, v18, 24, 3
	v_ffbh_u32_e32 v41, v11
	v_bfe_u32 v18, v18, 27, 4
	v_min_u32_e32 v41, 32, v41
	v_subrev_u32_e32 v45, 28, v41
	v_sub_u32_e32 v41, 29, v41
	v_cmp_eq_u32_e32 vcc, 0, v18
	v_lshlrev_b64 v[56:57], v45, v[4:5]
	v_and_b32_e32 v45, 7, v56
	v_cndmask_b32_e32 v18, v18, v41, vcc
	v_lshlrev_b32_e32 v4, 8, v4
	v_lshl_add_u32 v18, v18, 10, v54
	v_cndmask_b32_e32 v11, v11, v45, vcc
	v_and_or_b32 v4, v4, s49, v18
	v_lshl_or_b32 v4, v11, 7, v4
	v_cvt_f32_f16_e32 v45, v4
.LBB271_755:                            ;   in Loop: Header=BB271_12 Depth=1
	s_or_b64 exec, exec, s[44:45]
	flat_load_dword v18, v[34:35] offset:8
	s_mov_b64 vcc, 0
                                        ; implicit-def: $sgpr46
	s_waitcnt vmcnt(0) lgkmcnt(0)
	v_cmp_gt_i16_sdwa s[42:43], v18, s17 src0_sel:BYTE_0 src1_sel:DWORD
	s_and_saveexec_b64 s[44:45], s[42:43]
	s_xor_b64 s[42:43], exec, s[44:45]
	s_cbranch_execnz .LBB271_1029
; %bb.756:                              ;   in Loop: Header=BB271_12 Depth=1
	s_or_saveexec_b64 s[42:43], s[42:43]
	v_mov_b32_e32 v35, s46
	s_xor_b64 exec, exec, s[42:43]
	s_cbranch_execnz .LBB271_1032
.LBB271_757:                            ;   in Loop: Header=BB271_12 Depth=1
	s_or_b64 exec, exec, s[42:43]
	s_and_saveexec_b64 s[42:43], vcc
	s_cbranch_execz .LBB271_759
.LBB271_758:                            ;   in Loop: Header=BB271_12 Depth=1
	v_and_b32_e32 v4, 7, v18
	v_ffbh_u32_e32 v34, v4
	v_min_u32_e32 v41, 32, v34
	v_subrev_u32_e32 v34, 28, v41
	v_bfe_u32 v11, v18, 3, 4
	v_lshlrev_b64 v[34:35], v34, v[18:19]
	v_sub_u32_e32 v35, 29, v41
	v_cmp_eq_u32_e32 vcc, 0, v11
	v_and_b32_e32 v34, 7, v34
	s_nop 0
	v_cndmask_b32_e32 v11, v11, v35, vcc
	v_cndmask_b32_e32 v4, v4, v34, vcc
	v_lshlrev_b32_e32 v34, 8, v18
	v_lshl_add_u32 v11, v11, 10, v54
	v_and_or_b32 v11, v34, s49, v11
	v_lshl_or_b32 v4, v4, 7, v11
	v_cvt_f32_f16_e32 v35, v4
.LBB271_759:                            ;   in Loop: Header=BB271_12 Depth=1
	s_or_b64 exec, exec, s[42:43]
	v_lshrrev_b16_e32 v4, 8, v18
	v_cmp_lt_i16_e32 vcc, s17, v4
	s_mov_b64 s[42:43], 0
                                        ; implicit-def: $sgpr50
	s_and_saveexec_b64 s[44:45], vcc
	s_xor_b64 s[44:45], exec, s[44:45]
	s_cbranch_execnz .LBB271_1033
; %bb.760:                              ;   in Loop: Header=BB271_12 Depth=1
	s_or_saveexec_b64 s[44:45], s[44:45]
	v_mov_b32_e32 v34, s50
	s_xor_b64 exec, exec, s[44:45]
	s_cbranch_execnz .LBB271_1036
.LBB271_761:                            ;   in Loop: Header=BB271_12 Depth=1
	s_or_b64 exec, exec, s[44:45]
	s_and_saveexec_b64 s[44:45], s[42:43]
	s_cbranch_execz .LBB271_763
.LBB271_762:                            ;   in Loop: Header=BB271_12 Depth=1
	v_and_b32_e32 v11, 7, v4
	v_ffbh_u32_e32 v41, v11
	v_bfe_u32 v34, v4, 3, 4
	v_min_u32_e32 v41, 32, v41
	v_subrev_u32_e32 v56, 28, v41
	v_sub_u32_e32 v41, 29, v41
	v_cmp_eq_u32_e32 vcc, 0, v34
	v_lshlrev_b64 v[56:57], v56, v[4:5]
	v_and_b32_e32 v56, 7, v56
	v_cndmask_b32_e32 v34, v34, v41, vcc
	v_lshlrev_b32_e32 v4, 8, v4
	v_lshl_add_u32 v34, v34, 10, v54
	v_cndmask_b32_e32 v11, v11, v56, vcc
	v_and_or_b32 v4, v4, s49, v34
	v_lshl_or_b32 v4, v11, 7, v4
	v_cvt_f32_f16_e32 v34, v4
.LBB271_763:                            ;   in Loop: Header=BB271_12 Depth=1
	s_or_b64 exec, exec, s[44:45]
	v_lshrrev_b32_e32 v4, 16, v18
	v_cmp_gt_i16_sdwa s[42:43], v4, s17 src0_sel:BYTE_0 src1_sel:DWORD
	s_mov_b64 vcc, 0
                                        ; implicit-def: $sgpr46
	s_and_saveexec_b64 s[44:45], s[42:43]
	s_xor_b64 s[42:43], exec, s[44:45]
	s_cbranch_execnz .LBB271_1037
; %bb.764:                              ;   in Loop: Header=BB271_12 Depth=1
	s_or_saveexec_b64 s[42:43], s[42:43]
	v_mov_b32_e32 v41, s46
	s_xor_b64 exec, exec, s[42:43]
	s_cbranch_execnz .LBB271_1040
.LBB271_765:                            ;   in Loop: Header=BB271_12 Depth=1
	s_or_b64 exec, exec, s[42:43]
	s_and_saveexec_b64 s[42:43], vcc
	s_cbranch_execz .LBB271_767
.LBB271_766:                            ;   in Loop: Header=BB271_12 Depth=1
	v_bfe_u32 v11, v18, 16, 3
	v_ffbh_u32_e32 v56, v11
	v_accvgpr_write_b32 a45, v58
	v_min_u32_e32 v58, 32, v56
	v_subrev_u32_e32 v56, 28, v58
	v_bfe_u32 v41, v18, 19, 4
	v_lshlrev_b64 v[56:57], v56, v[4:5]
	v_sub_u32_e32 v57, 29, v58
	v_cmp_eq_u32_e32 vcc, 0, v41
	v_and_b32_e32 v56, 7, v56
	v_lshlrev_b32_e32 v4, 8, v4
	v_cndmask_b32_e32 v41, v41, v57, vcc
	v_lshl_add_u32 v41, v41, 10, v54
	v_cndmask_b32_e32 v11, v11, v56, vcc
	v_and_or_b32 v4, v4, s49, v41
	v_lshl_or_b32 v4, v11, 7, v4
	v_cvt_f32_f16_e32 v41, v4
	v_accvgpr_read_b32 v58, a45
.LBB271_767:                            ;   in Loop: Header=BB271_12 Depth=1
	s_or_b64 exec, exec, s[42:43]
	v_lshrrev_b32_e32 v4, 24, v18
	v_cmp_lt_i16_e32 vcc, s17, v4
	s_mov_b64 s[42:43], 0
                                        ; implicit-def: $sgpr50
	s_and_saveexec_b64 s[44:45], vcc
	s_xor_b64 s[44:45], exec, s[44:45]
	s_cbranch_execz .LBB271_771
; %bb.768:                              ;   in Loop: Header=BB271_12 Depth=1
	v_cmp_eq_u16_e32 vcc, s48, v4
	s_mov_b64 s[42:43], -1
                                        ; implicit-def: $sgpr50
	s_and_saveexec_b64 s[46:47], vcc
; %bb.769:                              ;   in Loop: Header=BB271_12 Depth=1
	s_mov_b32 s50, 0x7fc02000
	s_xor_b64 s[42:43], exec, -1
; %bb.770:                              ;   in Loop: Header=BB271_12 Depth=1
	s_or_b64 exec, exec, s[46:47]
	s_and_b64 s[42:43], s[42:43], exec
.LBB271_771:                            ;   in Loop: Header=BB271_12 Depth=1
	s_or_saveexec_b64 s[44:45], s[44:45]
	v_mov_b32_e32 v11, s50
	s_xor_b64 exec, exec, s[44:45]
; %bb.772:                              ;   in Loop: Header=BB271_12 Depth=1
	v_cmp_ne_u16_e32 vcc, 0, v4
	s_andn2_b64 s[42:43], s[42:43], exec
	s_and_b64 vcc, vcc, exec
	v_mov_b32_e32 v11, 0
	s_or_b64 s[42:43], s[42:43], vcc
; %bb.773:                              ;   in Loop: Header=BB271_12 Depth=1
	s_or_b64 exec, exec, s[44:45]
	scratch_load_dword v56, off, s32 offset:284 ; 4-byte Folded Reload
	v_accvgpr_write_b32 a45, v58
	s_waitcnt vmcnt(0)
	v_accvgpr_write_b32 a48, v56
	scratch_load_dword v56, off, s32 offset:272 ; 4-byte Folded Reload
	s_waitcnt vmcnt(0)
	v_accvgpr_write_b32 a46, v56
	s_and_saveexec_b64 s[44:45], s[42:43]
	s_cbranch_execz .LBB271_775
; %bb.774:                              ;   in Loop: Header=BB271_12 Depth=1
	v_bfe_u32 v11, v18, 24, 3
	v_ffbh_u32_e32 v56, v11
	v_min_u32_e32 v58, 32, v56
	v_subrev_u32_e32 v56, 28, v58
	v_bfe_u32 v18, v18, 27, 4
	v_lshlrev_b64 v[56:57], v56, v[4:5]
	v_sub_u32_e32 v57, 29, v58
	v_cmp_eq_u32_e32 vcc, 0, v18
	v_and_b32_e32 v56, 7, v56
	v_lshlrev_b32_e32 v4, 8, v4
	v_cndmask_b32_e32 v18, v18, v57, vcc
	v_lshl_add_u32 v18, v18, 10, v54
	v_cndmask_b32_e32 v11, v11, v56, vcc
	v_and_or_b32 v4, v4, s49, v18
	v_lshl_or_b32 v4, v11, 7, v4
	v_cvt_f32_f16_e32 v11, v4
.LBB271_775:                            ;   in Loop: Header=BB271_12 Depth=1
	s_or_b64 exec, exec, s[44:45]
	v_fma_mixlo_f16 v0, v19, v0, 0
	v_accvgpr_write_b32 a26, v0
	v_fma_mixlo_f16 v0, v19, v9, 0
	v_accvgpr_write_b32 a24, v0
	;; [unrolled: 2-line block ×33, first 2 shown]
	scratch_load_dword v0, off, s32 offset:496 ; 4-byte Folded Reload
	v_fma_mixlo_f16 v4, v19, v43, 0
	scratch_store_dword off, v4, s32 offset:564 ; 4-byte Folded Spill
	v_fma_mixlo_f16 v4, v19, v53, 0
	scratch_store_dword off, v4, s32 offset:568 ; 4-byte Folded Spill
	;; [unrolled: 2-line block ×9, first 2 shown]
	v_fma_mixlo_f16 v4, v19, v10, 0
	v_accvgpr_write_b32 a63, v4
	v_fma_mixlo_f16 v4, v19, v30, 0
	scratch_store_dword off, v4, s32 offset:592 ; 4-byte Folded Spill
	v_fma_mixlo_f16 v4, v19, v55, 0
	v_fma_mixlo_f16 v1, v19, v1, 0
	v_accvgpr_write_b32 a60, v1
	v_fma_mixlo_f16 v1, v19, v40, 0
	v_accvgpr_write_b32 a59, v1
	;; [unrolled: 2-line block ×4, first 2 shown]
	scratch_store_dword off, v4, s32 offset:588 ; 4-byte Folded Spill
	scratch_load_dword v6, off, s32 offset:312 ; 4-byte Folded Reload
	scratch_load_dword v8, off, s32 offset:256 ; 4-byte Folded Reload
	s_waitcnt vmcnt(13)
	v_fma_mixlo_f16 v0, v19, v0, 0
	v_accvgpr_write_b32 a56, v0
	v_fma_mixlo_f16 v0, v19, v61, 0
	v_accvgpr_write_b32 a15, v0
	;; [unrolled: 2-line block ×3, first 2 shown]
	scratch_load_dword v0, off, s32 offset:492 ; 4-byte Folded Reload
	s_waitcnt vmcnt(2)
	v_fma_mixlo_f16 v16, v19, v6, 0
	scratch_load_dword v6, off, s32 offset:540 ; 4-byte Folded Reload
	v_and_b32_e32 v16, 0xffff, v16
	s_waitcnt vmcnt(2)
	v_fma_mixlo_f16 v39, v19, v8, 0
	s_waitcnt vmcnt(1)
	v_fma_mixlo_f16 v0, v19, v0, 0
	v_accvgpr_write_b32 a58, v0
	scratch_load_dword v0, off, s32 offset:488 ; 4-byte Folded Reload
	s_waitcnt vmcnt(1)
	v_fma_mixlo_f16 v52, v19, v6, 0
	scratch_load_dword v6, off, s32 offset:316 ; 4-byte Folded Reload
	s_waitcnt vmcnt(1)
	v_fma_mixlo_f16 v0, v19, v0, 0
	v_accvgpr_write_b32 a13, v0
	v_accvgpr_read_b32 v0, a57
	v_fma_mixlo_f16 v0, v19, v0, 0
	v_accvgpr_write_b32 a14, v0
	v_accvgpr_read_b32 v0, a0
	v_fma_mixlo_f16 v0, v19, v0, 0
	v_accvgpr_write_b32 a57, v0
	scratch_load_dword v0, off, s32 offset:476 ; 4-byte Folded Reload
	s_waitcnt vmcnt(1)
	v_fma_mixlo_f16 v33, v19, v6, 0
	scratch_load_dword v6, off, s32 offset:320 ; 4-byte Folded Reload
	s_waitcnt vmcnt(1)
	v_fma_mixlo_f16 v0, v19, v0, 0
	v_accvgpr_write_b32 a43, v0
	scratch_load_dword v0, off, s32 offset:472 ; 4-byte Folded Reload
	s_waitcnt vmcnt(1)
	v_fma_mixlo_f16 v25, v19, v6, 0
	scratch_load_dword v6, off, s32 offset:300 ; 4-byte Folded Reload
	s_waitcnt vmcnt(1)
	;; [unrolled: 7-line block ×13, first 2 shown]
	v_fma_mixlo_f16 v0, v19, v0, 0
	v_accvgpr_write_b32 a1, v0
	scratch_load_dword v0, off, s32 offset:432 ; 4-byte Folded Reload
	s_waitcnt vmcnt(1)
	v_fma_mixlo_f16 v9, v19, v6, 0
	v_accvgpr_read_b32 v6, a48
	v_fma_mixlo_f16 v20, v19, v6, 0
	scratch_load_dword v6, off, s32 offset:524 ; 4-byte Folded Reload
	v_and_b32_e32 v20, 0xffff, v20
	v_and_b32_e32 v9, 0xffff, v9
	s_waitcnt vmcnt(1)
	v_fma_mixlo_f16 v0, v19, v0, 0
	v_accvgpr_write_b32 a0, v0
	scratch_load_dword v0, off, s32 offset:440 ; 4-byte Folded Reload
	s_waitcnt vmcnt(1)
	v_fma_mixlo_f16 v21, v19, v6, 0
	scratch_load_dword v6, off, s32 offset:264 ; 4-byte Folded Reload
	v_and_b32_e32 v21, 0xffff, v21
	s_waitcnt vmcnt(1)
	v_fma_mixlo_f16 v0, v19, v0, 0
	v_accvgpr_write_b32 a2, v0
	scratch_load_dword v0, off, s32 offset:444 ; 4-byte Folded Reload
	s_waitcnt vmcnt(1)
	v_fma_mixlo_f16 v31, v19, v6, 0
	scratch_load_dword v6, off, s32 offset:260 ; 4-byte Folded Reload
	v_and_b32_e32 v31, 0xffff, v31
	s_waitcnt vmcnt(1)
	v_fma_mixlo_f16 v0, v19, v0, 0
	v_accvgpr_write_b32 a3, v0
	scratch_load_dword v0, off, s32 offset:420 ; 4-byte Folded Reload
	s_waitcnt vmcnt(1)
	v_fma_mixlo_f16 v27, v19, v6, 0
	v_and_b32_e32 v27, 0xffff, v27
	scratch_load_dword v6, off, s32 offset:520 ; 4-byte Folded Reload
	s_waitcnt vmcnt(1)
	v_fma_mixlo_f16 v36, v19, v0, 0
	scratch_load_dword v0, off, s32 offset:416 ; 4-byte Folded Reload
	s_waitcnt vmcnt(1)
	v_fma_mixlo_f16 v61, v19, v6, 0
	v_accvgpr_read_b32 v6, a45
	v_fma_mixlo_f16 v22, v19, v6, 0
	v_accvgpr_read_b32 v6, a46
	v_fma_mixlo_f16 v8, v19, v6, 0
	v_fma_mixlo_f16 v6, v19, v34, 0
	v_and_b32_e32 v22, 0xffff, v22
	v_accvgpr_write_b32 a45, v6
	v_fma_mixlo_f16 v6, v19, v35, 0
	v_and_b32_e32 v8, 0xffff, v8
	v_accvgpr_write_b32 a48, v6
	v_fma_mixlo_f16 v6, v19, v41, 0
	v_accvgpr_write_b32 a46, v6
	v_fma_mixlo_f16 v6, v19, v11, 0
	scratch_store_dword off, v6, s32 offset:256 ; 4-byte Folded Spill
	scratch_load_dword v6, off, s32 offset:616 ; 4-byte Folded Reload
	s_waitcnt vmcnt(2)
	v_fma_mixlo_f16 v30, v19, v0, 0
	scratch_load_dword v0, off, s32 offset:424 ; 4-byte Folded Reload
	s_waitcnt vmcnt(1)
	ds_read_b64 v[34:35], v6
	s_waitcnt lgkmcnt(0)
	v_lshrrev_b32_e32 v11, 16, v34
	s_waitcnt vmcnt(0)
	v_fma_mixlo_f16 v37, v19, v0, 0
	scratch_load_dword v0, off, s32 offset:428 ; 4-byte Folded Reload
	s_waitcnt vmcnt(0)
	v_fma_mixlo_f16 v55, v19, v0, 0
	scratch_load_dword v0, off, s32 offset:404 ; 4-byte Folded Reload
	;; [unrolled: 3-line block ×19, first 2 shown]
	v_and_b32_e32 v2, 0xffff, v2
	s_waitcnt vmcnt(0)
	v_fma_mixlo_f16 v1, v19, v0, 0
	scratch_load_dword v0, off, s32 offset:344 ; 4-byte Folded Reload
	v_and_b32_e32 v1, 0xffff, v1
	s_waitcnt vmcnt(0)
	v_fma_mixlo_f16 v3, v19, v0, 0
	scratch_load_dword v0, off, s32 offset:348 ; 4-byte Folded Reload
	s_waitcnt vmcnt(0)
	v_fma_mixlo_f16 v4, v19, v0, 0
	scratch_load_dword v0, off, s32 offset:324 ; 4-byte Folded Reload
	;; [unrolled: 3-line block ×5, first 2 shown]
	s_waitcnt vmcnt(0)
	v_fma_mixlo_f16 v0, v19, v0, 0
	v_and_b32_e32 v19, 0xffff, v34
	v_and_b32_e32 v34, 0xffff, v61
	;; [unrolled: 1-line block ×3, first 2 shown]
	;;#ASMSTART
	v_cvt_f32_f16 v19, v19;
	;;#ASMEND
	;;#ASMSTART
	v_cvt_f32_f16 v11, v11;
	;;#ASMEND
	;; [unrolled: 3-line block ×3, first 2 shown]
	v_and_b32_e32 v34, 0xffff, v39
	;;#ASMSTART
	v_cvt_f32_f16 v39, v34;
	;;#ASMEND
	v_lshrrev_b32_e32 v34, 16, v35
	v_and_b32_e32 v35, 0xffff, v35
	;;#ASMSTART
	v_cvt_f32_f16 v61, v35;
	;;#ASMEND
	;;#ASMSTART
	v_cvt_f32_f16 v40, v34;
	;;#ASMEND
	;; [unrolled: 3-line block ×4, first 2 shown]
	ds_read_b64 v[34:35], v6 offset:8
	s_waitcnt lgkmcnt(0)
	v_lshrrev_b32_e32 v47, 16, v34
	v_and_b32_e32 v34, 0xffff, v34
	;;#ASMSTART
	v_cvt_f32_f16 v34, v34;
	;;#ASMEND
	;;#ASMSTART
	v_cvt_f32_f16 v47, v47;
	;;#ASMEND
	;;#ASMSTART
	v_cvt_f32_f16 v21, v21;
	;;#ASMEND
	;;#ASMSTART
	v_cvt_f32_f16 v48, v20;
	;;#ASMEND
	s_nop 0
	v_mul_f32_e32 v20, v34, v21
	v_mul_f32_e32 v21, v47, v48
	v_fmac_f32_e32 v20, v19, v41
	v_and_b32_e32 v19, 0xffff, v35
	v_fmac_f32_e32 v21, v11, v39
	v_lshrrev_b32_e32 v11, 16, v35
	;;#ASMSTART
	v_cvt_f32_f16 v19, v19;
	;;#ASMEND
	;;#ASMSTART
	v_cvt_f32_f16 v11, v11;
	;;#ASMEND
	;; [unrolled: 3-line block ×4, first 2 shown]
	s_nop 0
	v_mul_f32_e32 v27, v19, v31
	v_and_b32_e32 v19, 0xffff, v60
	v_mul_f32_e32 v31, v11, v34
	ds_read_b64 v[34:35], v6 offset:16
	v_fmac_f32_e32 v27, v61, v22
	v_and_b32_e32 v22, 0xffff, v59
	v_fmac_f32_e32 v31, v40, v8
	s_waitcnt lgkmcnt(0)
	v_lshrrev_b32_e32 v8, 16, v34
	v_and_b32_e32 v11, 0xffff, v34
	;;#ASMSTART
	v_cvt_f32_f16 v11, v11;
	;;#ASMEND
	;;#ASMSTART
	v_cvt_f32_f16 v8, v8;
	;;#ASMEND
	;; [unrolled: 3-line block ×4, first 2 shown]
	s_nop 0
	v_fmac_f32_e32 v20, v11, v19
	v_fmac_f32_e32 v21, v8, v22
	v_lshrrev_b32_e32 v8, 16, v35
	v_and_b32_e32 v11, 0xffff, v35
	v_and_b32_e32 v19, 0xffff, v46
	;; [unrolled: 1-line block ×3, first 2 shown]
	;;#ASMSTART
	v_cvt_f32_f16 v11, v11;
	;;#ASMEND
	;;#ASMSTART
	v_cvt_f32_f16 v8, v8;
	;;#ASMEND
	;; [unrolled: 3-line block ×4, first 2 shown]
	s_nop 0
	v_fmac_f32_e32 v31, v8, v9
	v_fmac_f32_e32 v27, v11, v19
	ds_read_b64 v[8:9], v6 offset:24
	v_and_b32_e32 v19, 0xffff, v45
	s_waitcnt lgkmcnt(0)
	v_lshrrev_b32_e32 v11, 16, v8
	v_and_b32_e32 v8, 0xffff, v8
	;;#ASMSTART
	v_cvt_f32_f16 v8, v8;
	;;#ASMEND
	;;#ASMSTART
	v_cvt_f32_f16 v11, v11;
	;;#ASMEND
	;;#ASMSTART
	v_cvt_f32_f16 v19, v19;
	;;#ASMEND
	;;#ASMSTART
	v_cvt_f32_f16 v22, v22;
	;;#ASMEND
	s_nop 0
	v_fmac_f32_e32 v20, v8, v19
	v_fmac_f32_e32 v21, v11, v22
	v_lshrrev_b32_e32 v8, 16, v9
	v_and_b32_e32 v9, 0xffff, v9
	v_and_b32_e32 v11, 0xffff, v58
	;; [unrolled: 1-line block ×4, first 2 shown]
	;;#ASMSTART
	v_cvt_f32_f16 v9, v9;
	;;#ASMEND
	;;#ASMSTART
	v_cvt_f32_f16 v8, v8;
	;;#ASMEND
	;; [unrolled: 3-line block ×4, first 2 shown]
	s_nop 0
	v_fmac_f32_e32 v27, v9, v11
	v_fmac_f32_e32 v31, v8, v19
	ds_read_b64 v[8:9], v6 offset:32
	v_and_b32_e32 v19, 0xffff, v23
	s_waitcnt lgkmcnt(0)
	v_lshrrev_b32_e32 v11, 16, v8
	v_and_b32_e32 v8, 0xffff, v8
	;;#ASMSTART
	v_cvt_f32_f16 v8, v8;
	;;#ASMEND
	;;#ASMSTART
	v_cvt_f32_f16 v11, v11;
	;;#ASMEND
	;; [unrolled: 3-line block ×4, first 2 shown]
	s_nop 0
	v_fmac_f32_e32 v20, v8, v19
	v_fmac_f32_e32 v21, v11, v22
	v_lshrrev_b32_e32 v8, 16, v9
	v_and_b32_e32 v9, 0xffff, v9
	v_and_b32_e32 v11, 0xffff, v62
	;; [unrolled: 1-line block ×3, first 2 shown]
	;;#ASMSTART
	v_cvt_f32_f16 v9, v9;
	;;#ASMEND
	;;#ASMSTART
	v_cvt_f32_f16 v8, v8;
	;;#ASMEND
	;; [unrolled: 3-line block ×4, first 2 shown]
	s_nop 0
	v_fmac_f32_e32 v27, v9, v11
	v_fmac_f32_e32 v31, v8, v19
	ds_read_b64 v[8:9], v6 offset:40
	v_and_b32_e32 v19, 0xffff, v52
	s_waitcnt lgkmcnt(0)
	v_lshrrev_b32_e32 v11, 16, v8
	v_and_b32_e32 v8, 0xffff, v8
	;;#ASMSTART
	v_cvt_f32_f16 v8, v8;
	;;#ASMEND
	;;#ASMSTART
	v_cvt_f32_f16 v11, v11;
	;;#ASMEND
	;; [unrolled: 3-line block ×4, first 2 shown]
	s_nop 0
	v_fmac_f32_e32 v20, v8, v19
	v_fmac_f32_e32 v21, v11, v16
	v_lshrrev_b32_e32 v8, 16, v9
	v_and_b32_e32 v9, 0xffff, v9
	v_and_b32_e32 v11, 0xffff, v33
	;; [unrolled: 1-line block ×3, first 2 shown]
	;;#ASMSTART
	v_cvt_f32_f16 v9, v9;
	;;#ASMEND
	;;#ASMSTART
	v_cvt_f32_f16 v8, v8;
	;;#ASMEND
	;; [unrolled: 3-line block ×4, first 2 shown]
	s_nop 0
	v_fmac_f32_e32 v27, v9, v11
	v_fmac_f32_e32 v31, v8, v16
	ds_read_b64 v[8:9], v6 offset:48
	v_and_b32_e32 v16, 0xffff, v17
	v_and_b32_e32 v17, 0xffff, v51
	s_waitcnt lgkmcnt(0)
	v_lshrrev_b32_e32 v11, 16, v8
	v_and_b32_e32 v8, 0xffff, v8
	;;#ASMSTART
	v_cvt_f32_f16 v8, v8;
	;;#ASMEND
	;;#ASMSTART
	v_cvt_f32_f16 v11, v11;
	;;#ASMEND
	;; [unrolled: 3-line block ×4, first 2 shown]
	s_nop 0
	v_fmac_f32_e32 v20, v8, v16
	v_fmac_f32_e32 v21, v11, v17
	v_lshrrev_b32_e32 v8, 16, v9
	v_and_b32_e32 v9, 0xffff, v9
	v_and_b32_e32 v11, 0xffff, v53
	;;#ASMSTART
	v_cvt_f32_f16 v9, v9;
	;;#ASMEND
	;;#ASMSTART
	v_cvt_f32_f16 v8, v8;
	;;#ASMEND
	;;#ASMSTART
	v_cvt_f32_f16 v11, v11;
	;;#ASMEND
	;;#ASMSTART
	v_cvt_f32_f16 v0, v0;
	;;#ASMEND
	s_nop 0
	v_fmac_f32_e32 v27, v9, v11
	v_fmac_f32_e32 v31, v8, v0
	ds_read_b64 v[8:9], v6 offset:56
	s_waitcnt lgkmcnt(0)
	v_lshrrev_b32_e32 v0, 16, v8
	v_and_b32_e32 v8, 0xffff, v8
	;;#ASMSTART
	v_cvt_f32_f16 v8, v8;
	;;#ASMEND
	;;#ASMSTART
	v_cvt_f32_f16 v0, v0;
	;;#ASMEND
	;;#ASMSTART
	v_cvt_f32_f16 v1, v1;
	;;#ASMEND
	;;#ASMSTART
	v_cvt_f32_f16 v2, v2;
	;;#ASMEND
	s_nop 0
	v_fmac_f32_e32 v20, v8, v1
	v_fmac_f32_e32 v21, v0, v2
	v_lshrrev_b32_e32 v0, 16, v9
	v_and_b32_e32 v1, 0xffff, v9
	v_and_b32_e32 v2, 0xffff, v3
	v_and_b32_e32 v3, 0xffff, v4
	v_and_b32_e32 v4, 0xffff, v7
	;;#ASMSTART
	v_cvt_f32_f16 v1, v1;
	;;#ASMEND
	;;#ASMSTART
	v_cvt_f32_f16 v0, v0;
	;;#ASMEND
	;;#ASMSTART
	v_cvt_f32_f16 v2, v2;
	;;#ASMEND
	;;#ASMSTART
	v_cvt_f32_f16 v3, v3;
	;;#ASMEND
	s_nop 0
	v_fmac_f32_e32 v27, v1, v2
	v_fmac_f32_e32 v31, v0, v3
	ds_read_b64 v[0:1], v6 offset:64
	v_and_b32_e32 v3, 0xffff, v50
	s_waitcnt lgkmcnt(0)
	v_lshrrev_b32_e32 v2, 16, v0
	v_and_b32_e32 v0, 0xffff, v0
	;;#ASMSTART
	v_cvt_f32_f16 v0, v0;
	;;#ASMEND
	;;#ASMSTART
	v_cvt_f32_f16 v2, v2;
	;;#ASMEND
	;;#ASMSTART
	v_cvt_f32_f16 v3, v3;
	;;#ASMEND
	;;#ASMSTART
	v_cvt_f32_f16 v4, v4;
	;;#ASMEND
	s_nop 0
	v_fmac_f32_e32 v20, v0, v3
	v_fmac_f32_e32 v21, v2, v4
	v_lshrrev_b32_e32 v0, 16, v1
	v_and_b32_e32 v1, 0xffff, v1
	v_and_b32_e32 v2, 0xffff, v24
	v_and_b32_e32 v3, 0xffff, v15
	v_and_b32_e32 v4, 0xffff, v12
	;;#ASMSTART
	v_cvt_f32_f16 v1, v1;
	;;#ASMEND
	;;#ASMSTART
	v_cvt_f32_f16 v0, v0;
	;;#ASMEND
	;;#ASMSTART
	v_cvt_f32_f16 v2, v2;
	;;#ASMEND
	;;#ASMSTART
	v_cvt_f32_f16 v3, v3;
	;;#ASMEND
	s_nop 0
	v_fmac_f32_e32 v27, v1, v2
	v_fmac_f32_e32 v31, v0, v3
	ds_read_b64 v[0:1], v6 offset:72
	v_and_b32_e32 v3, 0xffff, v49
	;; [unrolled: 40-line block ×5, first 2 shown]
	s_waitcnt lgkmcnt(0)
	v_lshrrev_b32_e32 v2, 16, v0
	v_and_b32_e32 v0, 0xffff, v0
	;;#ASMSTART
	v_cvt_f32_f16 v0, v0;
	;;#ASMEND
	;;#ASMSTART
	v_cvt_f32_f16 v2, v2;
	;;#ASMEND
	;; [unrolled: 3-line block ×4, first 2 shown]
	s_nop 0
	v_fmac_f32_e32 v20, v0, v3
	v_fmac_f32_e32 v21, v2, v4
	v_lshrrev_b32_e32 v0, 16, v1
	v_and_b32_e32 v1, 0xffff, v1
	v_and_b32_e32 v2, 0xffff, v37
	;; [unrolled: 1-line block ×3, first 2 shown]
	v_accvgpr_read_b32 v4, a1
	;;#ASMSTART
	v_cvt_f32_f16 v1, v1;
	;;#ASMEND
	;;#ASMSTART
	v_cvt_f32_f16 v0, v0;
	;;#ASMEND
	;; [unrolled: 3-line block ×4, first 2 shown]
	v_and_b32_e32 v4, 0xffff, v4
	v_fmac_f32_e32 v27, v1, v2
	v_fmac_f32_e32 v31, v0, v3
	ds_read_b64 v[0:1], v6 offset:104
	v_accvgpr_read_b32 v3, a0
	v_and_b32_e32 v3, 0xffff, v3
	s_waitcnt lgkmcnt(0)
	v_lshrrev_b32_e32 v2, 16, v0
	v_and_b32_e32 v0, 0xffff, v0
	;;#ASMSTART
	v_cvt_f32_f16 v0, v0;
	;;#ASMEND
	;;#ASMSTART
	v_cvt_f32_f16 v2, v2;
	;;#ASMEND
	;;#ASMSTART
	v_cvt_f32_f16 v3, v3;
	;;#ASMEND
	;;#ASMSTART
	v_cvt_f32_f16 v4, v4;
	;;#ASMEND
	s_nop 0
	v_fmac_f32_e32 v20, v0, v3
	v_fmac_f32_e32 v21, v2, v4
	v_lshrrev_b32_e32 v0, 16, v1
	v_and_b32_e32 v1, 0xffff, v1
	v_accvgpr_read_b32 v2, a2
	v_accvgpr_read_b32 v3, a3
	v_accvgpr_read_b32 v4, a5
	;;#ASMSTART
	v_cvt_f32_f16 v1, v1;
	;;#ASMEND
	;;#ASMSTART
	v_cvt_f32_f16 v0, v0;
	;;#ASMEND
	v_and_b32_e32 v2, 0xffff, v2
	v_and_b32_e32 v3, 0xffff, v3
	v_and_b32_e32 v4, 0xffff, v4
	;;#ASMSTART
	v_cvt_f32_f16 v2, v2;
	;;#ASMEND
	;;#ASMSTART
	v_cvt_f32_f16 v3, v3;
	;;#ASMEND
	s_nop 0
	v_fmac_f32_e32 v27, v1, v2
	v_fmac_f32_e32 v31, v0, v3
	ds_read_b64 v[0:1], v6 offset:112
	v_accvgpr_read_b32 v3, a4
	v_and_b32_e32 v3, 0xffff, v3
	s_waitcnt lgkmcnt(0)
	v_lshrrev_b32_e32 v2, 16, v0
	v_and_b32_e32 v0, 0xffff, v0
	;;#ASMSTART
	v_cvt_f32_f16 v0, v0;
	;;#ASMEND
	;;#ASMSTART
	v_cvt_f32_f16 v2, v2;
	;;#ASMEND
	;;#ASMSTART
	v_cvt_f32_f16 v3, v3;
	;;#ASMEND
	;;#ASMSTART
	v_cvt_f32_f16 v4, v4;
	;;#ASMEND
	s_nop 0
	v_fmac_f32_e32 v20, v0, v3
	v_fmac_f32_e32 v21, v2, v4
	v_lshrrev_b32_e32 v0, 16, v1
	v_and_b32_e32 v1, 0xffff, v1
	v_accvgpr_read_b32 v2, a6
	v_accvgpr_read_b32 v3, a7
	v_accvgpr_read_b32 v4, a9
	;;#ASMSTART
	v_cvt_f32_f16 v1, v1;
	;;#ASMEND
	;;#ASMSTART
	v_cvt_f32_f16 v0, v0;
	;;#ASMEND
	v_and_b32_e32 v2, 0xffff, v2
	v_and_b32_e32 v3, 0xffff, v3
	v_and_b32_e32 v4, 0xffff, v4
	;;#ASMSTART
	v_cvt_f32_f16 v2, v2;
	;;#ASMEND
	;;#ASMSTART
	v_cvt_f32_f16 v3, v3;
	;;#ASMEND
	s_nop 0
	;; [unrolled: 44-line block ×5, first 2 shown]
	v_fmac_f32_e32 v27, v1, v2
	v_fmac_f32_e32 v31, v0, v3
	ds_read_b64 v[0:1], v6 offset:144
	v_accvgpr_read_b32 v3, a56
	v_and_b32_e32 v3, 0xffff, v3
	s_waitcnt lgkmcnt(0)
	v_lshrrev_b32_e32 v2, 16, v0
	v_and_b32_e32 v0, 0xffff, v0
	;;#ASMSTART
	v_cvt_f32_f16 v0, v0;
	;;#ASMEND
	;;#ASMSTART
	v_cvt_f32_f16 v2, v2;
	;;#ASMEND
	;;#ASMSTART
	v_cvt_f32_f16 v3, v3;
	;;#ASMEND
	;;#ASMSTART
	v_cvt_f32_f16 v4, v4;
	;;#ASMEND
	s_nop 0
	v_fmac_f32_e32 v20, v0, v3
	v_fmac_f32_e32 v21, v2, v4
	v_accvgpr_read_b32 v2, a15
	v_accvgpr_read_b32 v3, a37
	v_lshrrev_b32_e32 v0, 16, v1
	v_and_b32_e32 v1, 0xffff, v1
	v_accvgpr_read_b32 v4, a50
	v_and_b32_e32 v2, 0xffff, v2
	v_and_b32_e32 v3, 0xffff, v3
	;;#ASMSTART
	v_cvt_f32_f16 v1, v1;
	;;#ASMEND
	;;#ASMSTART
	v_cvt_f32_f16 v0, v0;
	;;#ASMEND
	v_and_b32_e32 v4, 0xffff, v4
	;;#ASMSTART
	v_cvt_f32_f16 v2, v2;
	;;#ASMEND
	;;#ASMSTART
	v_cvt_f32_f16 v3, v3;
	;;#ASMEND
	ds_read_b64 v[18:19], v6 offset:152
	v_fmac_f32_e32 v27, v1, v2
	v_fmac_f32_e32 v31, v0, v3
	v_accvgpr_read_b32 v2, a44
	v_accvgpr_read_b32 v3, a54
	v_and_b32_e32 v2, 0xffff, v2
	v_and_b32_e32 v3, 0xffff, v3
	s_waitcnt lgkmcnt(0)
	v_lshrrev_b32_e32 v0, 16, v18
	v_and_b32_e32 v1, 0xffff, v18
	;;#ASMSTART
	v_cvt_f32_f16 v1, v1;
	;;#ASMEND
	;;#ASMSTART
	v_cvt_f32_f16 v0, v0;
	;;#ASMEND
	;; [unrolled: 3-line block ×4, first 2 shown]
	s_nop 0
	v_fmac_f32_e32 v20, v1, v2
	v_fmac_f32_e32 v21, v0, v3
	v_lshrrev_b32_e32 v0, 16, v19
	v_and_b32_e32 v1, 0xffff, v19
	v_accvgpr_read_b32 v2, a53
	v_accvgpr_read_b32 v3, a52
	;;#ASMSTART
	v_cvt_f32_f16 v1, v1;
	;;#ASMEND
	;;#ASMSTART
	v_cvt_f32_f16 v0, v0;
	;;#ASMEND
	v_and_b32_e32 v2, 0xffff, v2
	v_and_b32_e32 v3, 0xffff, v3
	;;#ASMSTART
	v_cvt_f32_f16 v2, v2;
	;;#ASMEND
	;;#ASMSTART
	v_cvt_f32_f16 v3, v3;
	;;#ASMEND
	s_nop 0
	v_fmac_f32_e32 v27, v1, v2
	v_fmac_f32_e32 v31, v0, v3
	ds_read_b64 v[0:1], v6 offset:160
	v_accvgpr_read_b32 v3, a51
	v_and_b32_e32 v3, 0xffff, v3
	s_waitcnt lgkmcnt(0)
	v_lshrrev_b32_e32 v2, 16, v0
	v_and_b32_e32 v0, 0xffff, v0
	;;#ASMSTART
	v_cvt_f32_f16 v0, v0;
	;;#ASMEND
	;;#ASMSTART
	v_cvt_f32_f16 v2, v2;
	;;#ASMEND
	;; [unrolled: 3-line block ×4, first 2 shown]
	s_nop 0
	v_fmac_f32_e32 v20, v0, v3
	v_fmac_f32_e32 v21, v2, v4
	v_accvgpr_read_b32 v2, a49
	v_accvgpr_read_b32 v3, a16
	v_lshrrev_b32_e32 v0, 16, v1
	v_and_b32_e32 v1, 0xffff, v1
	v_accvgpr_read_b32 v4, a19
	v_and_b32_e32 v2, 0xffff, v2
	v_and_b32_e32 v3, 0xffff, v3
	;;#ASMSTART
	v_cvt_f32_f16 v1, v1;
	;;#ASMEND
	;;#ASMSTART
	v_cvt_f32_f16 v0, v0;
	;;#ASMEND
	v_and_b32_e32 v4, 0xffff, v4
	;;#ASMSTART
	v_cvt_f32_f16 v2, v2;
	;;#ASMEND
	;;#ASMSTART
	v_cvt_f32_f16 v3, v3;
	;;#ASMEND
	ds_read_b64 v[18:19], v6 offset:168
	v_fmac_f32_e32 v27, v1, v2
	v_fmac_f32_e32 v31, v0, v3
	v_accvgpr_read_b32 v2, a38
	v_accvgpr_read_b32 v3, a29
	v_and_b32_e32 v2, 0xffff, v2
	v_and_b32_e32 v3, 0xffff, v3
	s_waitcnt lgkmcnt(0)
	v_lshrrev_b32_e32 v0, 16, v18
	v_and_b32_e32 v1, 0xffff, v18
	;;#ASMSTART
	v_cvt_f32_f16 v1, v1;
	;;#ASMEND
	;;#ASMSTART
	v_cvt_f32_f16 v0, v0;
	;;#ASMEND
	;; [unrolled: 3-line block ×4, first 2 shown]
	s_nop 0
	v_fmac_f32_e32 v20, v1, v2
	v_fmac_f32_e32 v21, v0, v3
	v_lshrrev_b32_e32 v0, 16, v19
	v_and_b32_e32 v1, 0xffff, v19
	v_accvgpr_read_b32 v2, a28
	v_accvgpr_read_b32 v3, a17
	;;#ASMSTART
	v_cvt_f32_f16 v1, v1;
	;;#ASMEND
	;;#ASMSTART
	v_cvt_f32_f16 v0, v0;
	;;#ASMEND
	v_and_b32_e32 v2, 0xffff, v2
	v_and_b32_e32 v3, 0xffff, v3
	;;#ASMSTART
	v_cvt_f32_f16 v2, v2;
	;;#ASMEND
	;;#ASMSTART
	v_cvt_f32_f16 v3, v3;
	;;#ASMEND
	s_nop 0
	v_fmac_f32_e32 v27, v1, v2
	v_fmac_f32_e32 v31, v0, v3
	ds_read_b64 v[0:1], v6 offset:176
	v_accvgpr_read_b32 v3, a18
	v_and_b32_e32 v3, 0xffff, v3
	s_waitcnt lgkmcnt(0)
	v_lshrrev_b32_e32 v2, 16, v0
	v_and_b32_e32 v0, 0xffff, v0
	;;#ASMSTART
	v_cvt_f32_f16 v0, v0;
	;;#ASMEND
	;;#ASMSTART
	v_cvt_f32_f16 v2, v2;
	;;#ASMEND
	;;#ASMSTART
	v_cvt_f32_f16 v3, v3;
	;;#ASMEND
	;;#ASMSTART
	v_cvt_f32_f16 v4, v4;
	;;#ASMEND
	s_nop 0
	v_fmac_f32_e32 v20, v0, v3
	v_fmac_f32_e32 v21, v2, v4
	v_lshrrev_b32_e32 v0, 16, v1
	v_and_b32_e32 v1, 0xffff, v1
	v_accvgpr_read_b32 v2, a20
	v_accvgpr_read_b32 v3, a35
	v_accvgpr_read_b32 v4, a33
	;;#ASMSTART
	v_cvt_f32_f16 v1, v1;
	;;#ASMEND
	;;#ASMSTART
	v_cvt_f32_f16 v0, v0;
	;;#ASMEND
	v_and_b32_e32 v2, 0xffff, v2
	v_and_b32_e32 v3, 0xffff, v3
	v_and_b32_e32 v4, 0xffff, v4
	;;#ASMSTART
	v_cvt_f32_f16 v2, v2;
	;;#ASMEND
	;;#ASMSTART
	v_cvt_f32_f16 v3, v3;
	;;#ASMEND
	s_nop 0
	v_fmac_f32_e32 v27, v1, v2
	v_fmac_f32_e32 v31, v0, v3
	ds_read_b64 v[0:1], v6 offset:184
	v_accvgpr_read_b32 v3, a34
	v_and_b32_e32 v3, 0xffff, v3
	s_waitcnt lgkmcnt(0)
	v_lshrrev_b32_e32 v2, 16, v0
	v_and_b32_e32 v0, 0xffff, v0
	;;#ASMSTART
	v_cvt_f32_f16 v0, v0;
	;;#ASMEND
	;;#ASMSTART
	v_cvt_f32_f16 v2, v2;
	;;#ASMEND
	;;#ASMSTART
	v_cvt_f32_f16 v3, v3;
	;;#ASMEND
	;;#ASMSTART
	v_cvt_f32_f16 v4, v4;
	;;#ASMEND
	s_nop 0
	v_fmac_f32_e32 v20, v0, v3
	v_fmac_f32_e32 v21, v2, v4
	v_lshrrev_b32_e32 v0, 16, v1
	v_and_b32_e32 v1, 0xffff, v1
	v_accvgpr_read_b32 v2, a32
	v_accvgpr_read_b32 v3, a21
	v_accvgpr_read_b32 v4, a31
	;;#ASMSTART
	v_cvt_f32_f16 v1, v1;
	;;#ASMEND
	;;#ASMSTART
	v_cvt_f32_f16 v0, v0;
	;;#ASMEND
	v_and_b32_e32 v2, 0xffff, v2
	;; [unrolled: 44-line block ×5, first 2 shown]
	v_and_b32_e32 v3, 0xffff, v3
	v_and_b32_e32 v4, 0xffff, v4
	;;#ASMSTART
	v_cvt_f32_f16 v2, v2;
	;;#ASMEND
	;;#ASMSTART
	v_cvt_f32_f16 v3, v3;
	;;#ASMEND
	s_nop 0
	v_fmac_f32_e32 v27, v1, v2
	v_fmac_f32_e32 v31, v0, v3
	ds_read_b64 v[0:1], v6 offset:216
	v_accvgpr_read_b32 v3, a59
	v_and_b32_e32 v3, 0xffff, v3
	s_waitcnt lgkmcnt(0)
	v_lshrrev_b32_e32 v2, 16, v0
	v_and_b32_e32 v0, 0xffff, v0
	;;#ASMSTART
	v_cvt_f32_f16 v0, v0;
	;;#ASMEND
	;;#ASMSTART
	v_cvt_f32_f16 v2, v2;
	;;#ASMEND
	;; [unrolled: 3-line block ×4, first 2 shown]
	s_nop 0
	v_fmac_f32_e32 v20, v0, v3
	v_fmac_f32_e32 v21, v2, v4
	v_lshrrev_b32_e32 v0, 16, v1
	v_and_b32_e32 v1, 0xffff, v1
	v_accvgpr_read_b32 v2, a61
	v_accvgpr_read_b32 v3, a62
	;;#ASMSTART
	v_cvt_f32_f16 v1, v1;
	;;#ASMEND
	;;#ASMSTART
	v_cvt_f32_f16 v0, v0;
	;;#ASMEND
	v_and_b32_e32 v2, 0xffff, v2
	v_and_b32_e32 v3, 0xffff, v3
	;;#ASMSTART
	v_cvt_f32_f16 v2, v2;
	;;#ASMEND
	;;#ASMSTART
	v_cvt_f32_f16 v3, v3;
	;;#ASMEND
	s_nop 0
	v_fmac_f32_e32 v27, v1, v2
	v_fmac_f32_e32 v31, v0, v3
	ds_read_b64 v[0:1], v6 offset:224
	v_accvgpr_read_b32 v3, a63
	v_and_b32_e32 v3, 0xffff, v3
	s_waitcnt lgkmcnt(0)
	v_lshrrev_b32_e32 v2, 16, v0
	v_and_b32_e32 v0, 0xffff, v0
	;;#ASMSTART
	v_cvt_f32_f16 v0, v0;
	;;#ASMEND
	;;#ASMSTART
	v_cvt_f32_f16 v2, v2;
	;;#ASMEND
	;; [unrolled: 3-line block ×3, first 2 shown]
	scratch_load_dword v4, off, s32 offset:596 ; 4-byte Folded Reload
	v_fmac_f32_e32 v20, v0, v3
	v_lshrrev_b32_e32 v0, 16, v1
	v_and_b32_e32 v1, 0xffff, v1
	s_waitcnt vmcnt(0)
	v_and_b32_e32 v4, 0xffff, v4
	;;#ASMSTART
	v_cvt_f32_f16 v4, v4;
	;;#ASMEND
	;;#ASMSTART
	v_cvt_f32_f16 v1, v1;
	;;#ASMEND
	;; [unrolled: 3-line block ×3, first 2 shown]
	s_nop 0
	v_fmac_f32_e32 v21, v2, v4
	scratch_load_dword v2, off, s32 offset:592 ; 4-byte Folded Reload
	s_waitcnt vmcnt(0)
	v_and_b32_e32 v2, 0xffff, v2
	;;#ASMSTART
	v_cvt_f32_f16 v2, v2;
	;;#ASMEND
	scratch_load_dword v3, off, s32 offset:588 ; 4-byte Folded Reload
	v_fmac_f32_e32 v27, v1, v2
	s_waitcnt vmcnt(0)
	v_and_b32_e32 v3, 0xffff, v3
	;;#ASMSTART
	v_cvt_f32_f16 v3, v3;
	;;#ASMEND
	s_nop 0
	v_fmac_f32_e32 v31, v0, v3
	ds_read_b64 v[0:1], v6 offset:232
	s_waitcnt lgkmcnt(0)
	v_lshrrev_b32_e32 v2, 16, v0
	v_and_b32_e32 v0, 0xffff, v0
	;;#ASMSTART
	v_cvt_f32_f16 v0, v0;
	;;#ASMEND
	;;#ASMSTART
	v_cvt_f32_f16 v2, v2;
	;;#ASMEND
	scratch_load_dword v3, off, s32 offset:584 ; 4-byte Folded Reload
	s_waitcnt vmcnt(0)
	v_and_b32_e32 v3, 0xffff, v3
	;;#ASMSTART
	v_cvt_f32_f16 v3, v3;
	;;#ASMEND
	scratch_load_dword v4, off, s32 offset:580 ; 4-byte Folded Reload
	v_fmac_f32_e32 v20, v0, v3
	v_lshrrev_b32_e32 v0, 16, v1
	v_and_b32_e32 v1, 0xffff, v1
	s_waitcnt vmcnt(0)
	v_and_b32_e32 v4, 0xffff, v4
	;;#ASMSTART
	v_cvt_f32_f16 v4, v4;
	;;#ASMEND
	;;#ASMSTART
	v_cvt_f32_f16 v1, v1;
	;;#ASMEND
	;; [unrolled: 3-line block ×3, first 2 shown]
	s_nop 0
	v_fmac_f32_e32 v21, v2, v4
	scratch_load_dword v2, off, s32 offset:576 ; 4-byte Folded Reload
	s_waitcnt vmcnt(0)
	v_and_b32_e32 v2, 0xffff, v2
	;;#ASMSTART
	v_cvt_f32_f16 v2, v2;
	;;#ASMEND
	scratch_load_dword v3, off, s32 offset:572 ; 4-byte Folded Reload
	v_fmac_f32_e32 v27, v1, v2
	s_waitcnt vmcnt(0)
	v_and_b32_e32 v3, 0xffff, v3
	;;#ASMSTART
	v_cvt_f32_f16 v3, v3;
	;;#ASMEND
	s_nop 0
	v_fmac_f32_e32 v31, v0, v3
	ds_read_b64 v[0:1], v6 offset:240
	s_waitcnt lgkmcnt(0)
	v_lshrrev_b32_e32 v2, 16, v0
	v_and_b32_e32 v0, 0xffff, v0
	;;#ASMSTART
	v_cvt_f32_f16 v0, v0;
	;;#ASMEND
	;;#ASMSTART
	v_cvt_f32_f16 v2, v2;
	;;#ASMEND
	scratch_load_dword v3, off, s32 offset:568 ; 4-byte Folded Reload
	s_waitcnt vmcnt(0)
	v_and_b32_e32 v3, 0xffff, v3
	;;#ASMSTART
	v_cvt_f32_f16 v3, v3;
	;;#ASMEND
	scratch_load_dword v4, off, s32 offset:564 ; 4-byte Folded Reload
	v_fmac_f32_e32 v20, v0, v3
	v_lshrrev_b32_e32 v0, 16, v1
	v_and_b32_e32 v1, 0xffff, v1
	s_waitcnt vmcnt(0)
	v_and_b32_e32 v4, 0xffff, v4
	;;#ASMSTART
	v_cvt_f32_f16 v4, v4;
	;;#ASMEND
	;;#ASMSTART
	v_cvt_f32_f16 v1, v1;
	;;#ASMEND
	;; [unrolled: 3-line block ×3, first 2 shown]
	s_nop 0
	v_fmac_f32_e32 v21, v2, v4
	scratch_load_dword v2, off, s32 offset:560 ; 4-byte Folded Reload
	v_accvgpr_read_b32 v4, a45
	v_and_b32_e32 v4, 0xffff, v4
	s_waitcnt vmcnt(0)
	v_and_b32_e32 v2, 0xffff, v2
	;;#ASMSTART
	v_cvt_f32_f16 v2, v2;
	;;#ASMEND
	scratch_load_dword v3, off, s32 offset:556 ; 4-byte Folded Reload
	v_fmac_f32_e32 v27, v1, v2
	s_waitcnt vmcnt(0)
	v_and_b32_e32 v3, 0xffff, v3
	;;#ASMSTART
	v_cvt_f32_f16 v3, v3;
	;;#ASMEND
	s_nop 0
	v_fmac_f32_e32 v31, v0, v3
	ds_read_b64 v[0:1], v6 offset:248
	v_accvgpr_read_b32 v3, a48
	v_and_b32_e32 v3, 0xffff, v3
	s_waitcnt lgkmcnt(0)
	v_lshrrev_b32_e32 v2, 16, v0
	v_and_b32_e32 v0, 0xffff, v0
	;;#ASMSTART
	v_cvt_f32_f16 v0, v0;
	;;#ASMEND
	;;#ASMSTART
	v_cvt_f32_f16 v2, v2;
	;;#ASMEND
	;; [unrolled: 3-line block ×4, first 2 shown]
	s_nop 0
	v_fmac_f32_e32 v21, v2, v4
	v_accvgpr_read_b32 v2, a46
	v_fmac_f32_e32 v20, v0, v3
	v_lshrrev_b32_e32 v0, 16, v1
	v_and_b32_e32 v1, 0xffff, v1
	v_and_b32_e32 v2, 0xffff, v2
	;;#ASMSTART
	v_cvt_f32_f16 v1, v1;
	;;#ASMEND
	;;#ASMSTART
	v_cvt_f32_f16 v0, v0;
	;;#ASMEND
	;; [unrolled: 3-line block ×3, first 2 shown]
	scratch_load_dword v3, off, s32 offset:256 ; 4-byte Folded Reload
	v_fmac_f32_e32 v27, v1, v2
	s_waitcnt vmcnt(0)
	v_and_b32_e32 v3, 0xffff, v3
	;;#ASMSTART
	v_cvt_f32_f16 v3, v3;
	;;#ASMEND
	s_nop 0
	v_fmac_f32_e32 v31, v0, v3
	scratch_load_dword v3, off, s32 offset:620 ; 4-byte Folded Reload
	v_add_f32_e32 v0, v20, v21
	v_add_f32_e32 v0, v0, v27
	;; [unrolled: 1-line block ×3, first 2 shown]
	s_waitcnt vmcnt(0)
	v_and_b32_e32 v2, 64, v3
	v_xor_b32_e32 v1, 1, v3
	v_add_u32_e32 v2, 64, v2
	v_cmp_lt_i32_e32 vcc, v1, v2
	s_nop 1
	v_cndmask_b32_e32 v1, v3, v1, vcc
	v_lshlrev_b32_e32 v1, 2, v1
	ds_bpermute_b32 v1, v1, v0
	s_and_saveexec_b64 s[42:43], s[4:5]
	s_cbranch_execz .LBB271_10
; %bb.776:                              ;   in Loop: Header=BB271_12 Depth=1
	scratch_load_dword v4, off, s32 offset:220 ; 4-byte Folded Reload
	scratch_load_dword v2, off, s32 offset:648 ; 4-byte Folded Reload
	;; [unrolled: 1-line block ×3, first 2 shown]
	s_waitcnt lgkmcnt(0)
	v_add_f32_e32 v0, v0, v1
	s_load_dword vcc_lo, s[20:21], 0x0
	scratch_load_dword v1, off, s32 offset:644 ; 4-byte Folded Reload
	s_waitcnt vmcnt(2)
	v_add_u32_e32 v2, v2, v4
	s_waitcnt vmcnt(1)
	v_add_u32_e32 v3, v3, v4
	scratch_load_dword v4, off, s32 offset:640 ; 4-byte Folded Reload
	v_cvt_f32_i32_e32 v2, v2
	s_waitcnt vmcnt(0)
	v_mul_f32_e32 v2, v4, v2
	scratch_load_dword v4, off, s32 offset:204 ; 4-byte Folded Reload
	v_cndmask_b32_e64 v2, 0, v2, s[6:7]
	v_fmac_f32_e32 v2, v0, v1
	scratch_load_dwordx2 v[0:1], off, s32 offset:196 ; 8-byte Folded Reload
	scratch_load_dword v1, off, s32 offset:604 ; 4-byte Folded Reload
	s_waitcnt vmcnt(2) lgkmcnt(0)
	v_add_u32_e32 v4, vcc_lo, v4
	s_waitcnt vmcnt(1)
	v_cmp_lt_i32_e32 vcc, v3, v0
	s_nop 1
	v_cndmask_b32_e32 v0, 0, v2, vcc
	ds_write_b32 v4, v0
	s_waitcnt vmcnt(0)
	v_max_f32_e32 v0, v1, v1
	v_max_f32_e32 v0, v0, v2
	v_cndmask_b32_e32 v1, v1, v0, vcc
	scratch_store_dword off, v1, s32 offset:604 ; 4-byte Folded Spill
	s_branch .LBB271_10
.LBB271_777:                            ;   in Loop: Header=BB271_12 Depth=1
	v_cmp_eq_u16_sdwa s[50:51], v18, s48 src0_sel:BYTE_0 src1_sel:DWORD
	s_mov_b64 vcc, -1
                                        ; implicit-def: $sgpr46
	s_and_saveexec_b64 s[44:45], s[50:51]
; %bb.778:                              ;   in Loop: Header=BB271_12 Depth=1
	s_mov_b32 s46, 0x7fc02000
	s_xor_b64 vcc, exec, -1
; %bb.779:                              ;   in Loop: Header=BB271_12 Depth=1
	s_or_b64 exec, exec, s[44:45]
	s_and_b64 vcc, vcc, exec
	s_or_saveexec_b64 s[42:43], s[42:43]
	v_mov_b32_e32 v0, s46
	s_xor_b64 exec, exec, s[42:43]
	s_cbranch_execz .LBB271_17
.LBB271_780:                            ;   in Loop: Header=BB271_12 Depth=1
	v_cmp_ne_u16_sdwa s[44:45], v18, v5 src0_sel:BYTE_0 src1_sel:DWORD
	s_andn2_b64 vcc, vcc, exec
	s_and_b64 s[44:45], s[44:45], exec
	v_mov_b32_e32 v0, 0
	s_or_b64 vcc, vcc, s[44:45]
	s_or_b64 exec, exec, s[42:43]
	s_and_saveexec_b64 s[42:43], vcc
	s_cbranch_execnz .LBB271_18
	s_branch .LBB271_19
.LBB271_781:                            ;   in Loop: Header=BB271_12 Depth=1
	v_cmp_eq_u16_sdwa s[50:51], v4, s48 src0_sel:BYTE_0 src1_sel:DWORD
	s_mov_b64 vcc, -1
                                        ; implicit-def: $sgpr46
	s_and_saveexec_b64 s[44:45], s[50:51]
; %bb.782:                              ;   in Loop: Header=BB271_12 Depth=1
	s_mov_b32 s46, 0x7fc02000
	s_xor_b64 vcc, exec, -1
; %bb.783:                              ;   in Loop: Header=BB271_12 Depth=1
	s_or_b64 exec, exec, s[44:45]
	s_and_b64 vcc, vcc, exec
	s_or_saveexec_b64 s[42:43], s[42:43]
	v_mov_b32_e32 v58, s46
	s_xor_b64 exec, exec, s[42:43]
	s_cbranch_execz .LBB271_29
.LBB271_784:                            ;   in Loop: Header=BB271_12 Depth=1
	v_cmp_ne_u16_sdwa s[44:45], v4, v5 src0_sel:BYTE_0 src1_sel:DWORD
	s_andn2_b64 vcc, vcc, exec
	s_and_b64 s[44:45], s[44:45], exec
	v_mov_b32_e32 v58, 0
	s_or_b64 vcc, vcc, s[44:45]
	s_or_b64 exec, exec, s[42:43]
	s_and_saveexec_b64 s[42:43], vcc
	s_cbranch_execnz .LBB271_30
	s_branch .LBB271_31
.LBB271_785:                            ;   in Loop: Header=BB271_12 Depth=1
	v_cmp_eq_u16_sdwa s[50:51], v18, s48 src0_sel:BYTE_0 src1_sel:DWORD
	s_mov_b64 vcc, -1
                                        ; implicit-def: $sgpr46
	s_and_saveexec_b64 s[44:45], s[50:51]
; %bb.786:                              ;   in Loop: Header=BB271_12 Depth=1
	s_mov_b32 s46, 0x7fc02000
	s_xor_b64 vcc, exec, -1
; %bb.787:                              ;   in Loop: Header=BB271_12 Depth=1
	s_or_b64 exec, exec, s[44:45]
	s_and_b64 vcc, vcc, exec
	s_or_saveexec_b64 s[42:43], s[42:43]
	v_mov_b32_e32 v0, s46
	s_xor_b64 exec, exec, s[42:43]
	s_cbranch_execz .LBB271_41
.LBB271_788:                            ;   in Loop: Header=BB271_12 Depth=1
	v_cmp_ne_u16_sdwa s[44:45], v18, v5 src0_sel:BYTE_0 src1_sel:DWORD
	s_andn2_b64 vcc, vcc, exec
	s_and_b64 s[44:45], s[44:45], exec
	v_mov_b32_e32 v0, 0
	s_or_b64 vcc, vcc, s[44:45]
	s_or_b64 exec, exec, s[42:43]
	s_and_saveexec_b64 s[42:43], vcc
	s_cbranch_execnz .LBB271_42
	s_branch .LBB271_43
.LBB271_789:                            ;   in Loop: Header=BB271_12 Depth=1
	v_cmp_eq_u16_sdwa s[50:51], v18, s48 src0_sel:BYTE_0 src1_sel:DWORD
	s_mov_b64 vcc, -1
                                        ; implicit-def: $sgpr46
	s_and_saveexec_b64 s[44:45], s[50:51]
; %bb.790:                              ;   in Loop: Header=BB271_12 Depth=1
	s_mov_b32 s46, 0x7fc02000
	s_xor_b64 vcc, exec, -1
; %bb.791:                              ;   in Loop: Header=BB271_12 Depth=1
	s_or_b64 exec, exec, s[44:45]
	s_and_b64 vcc, vcc, exec
	s_or_saveexec_b64 s[42:43], s[42:43]
	v_mov_b32_e32 v0, s46
	s_xor_b64 exec, exec, s[42:43]
	s_cbranch_execz .LBB271_69
.LBB271_792:                            ;   in Loop: Header=BB271_12 Depth=1
	v_cmp_ne_u16_sdwa s[44:45], v18, v5 src0_sel:BYTE_0 src1_sel:DWORD
	s_andn2_b64 vcc, vcc, exec
	s_and_b64 s[44:45], s[44:45], exec
	v_mov_b32_e32 v0, 0
	s_or_b64 vcc, vcc, s[44:45]
	s_or_b64 exec, exec, s[42:43]
	s_and_saveexec_b64 s[42:43], vcc
	s_cbranch_execnz .LBB271_70
	s_branch .LBB271_71
.LBB271_793:                            ;   in Loop: Header=BB271_12 Depth=1
	v_cmp_eq_u16_sdwa s[50:51], v18, s48 src0_sel:BYTE_0 src1_sel:DWORD
	s_mov_b64 vcc, -1
                                        ; implicit-def: $sgpr46
	s_and_saveexec_b64 s[44:45], s[50:51]
; %bb.794:                              ;   in Loop: Header=BB271_12 Depth=1
	s_mov_b32 s46, 0x7fc02000
	s_xor_b64 vcc, exec, -1
; %bb.795:                              ;   in Loop: Header=BB271_12 Depth=1
	s_or_b64 exec, exec, s[44:45]
	s_and_b64 vcc, vcc, exec
	s_or_saveexec_b64 s[42:43], s[42:43]
	v_mov_b32_e32 v0, s46
	s_xor_b64 exec, exec, s[42:43]
	s_cbranch_execz .LBB271_97
.LBB271_796:                            ;   in Loop: Header=BB271_12 Depth=1
	v_cmp_ne_u16_sdwa s[44:45], v18, v5 src0_sel:BYTE_0 src1_sel:DWORD
	s_andn2_b64 vcc, vcc, exec
	s_and_b64 s[44:45], s[44:45], exec
	v_mov_b32_e32 v0, 0
	s_or_b64 vcc, vcc, s[44:45]
	s_or_b64 exec, exec, s[42:43]
	s_and_saveexec_b64 s[42:43], vcc
	s_cbranch_execnz .LBB271_98
	s_branch .LBB271_99
.LBB271_797:                            ;   in Loop: Header=BB271_12 Depth=1
	v_cmp_eq_u16_sdwa s[50:51], v18, s48 src0_sel:BYTE_0 src1_sel:DWORD
	s_mov_b64 vcc, -1
                                        ; implicit-def: $sgpr46
	s_and_saveexec_b64 s[44:45], s[50:51]
; %bb.798:                              ;   in Loop: Header=BB271_12 Depth=1
	s_mov_b32 s46, 0x7fc02000
	s_xor_b64 vcc, exec, -1
; %bb.799:                              ;   in Loop: Header=BB271_12 Depth=1
	s_or_b64 exec, exec, s[44:45]
	s_and_b64 vcc, vcc, exec
	s_or_saveexec_b64 s[42:43], s[42:43]
	v_mov_b32_e32 v0, s46
	s_xor_b64 exec, exec, s[42:43]
	s_cbranch_execz .LBB271_125
.LBB271_800:                            ;   in Loop: Header=BB271_12 Depth=1
	v_cmp_ne_u16_sdwa s[44:45], v18, v5 src0_sel:BYTE_0 src1_sel:DWORD
	s_andn2_b64 vcc, vcc, exec
	s_and_b64 s[44:45], s[44:45], exec
	v_mov_b32_e32 v0, 0
	s_or_b64 vcc, vcc, s[44:45]
	s_or_b64 exec, exec, s[42:43]
	s_and_saveexec_b64 s[42:43], vcc
	s_cbranch_execnz .LBB271_126
	s_branch .LBB271_127
.LBB271_801:                            ;   in Loop: Header=BB271_12 Depth=1
	v_cmp_eq_u16_sdwa s[50:51], v18, s48 src0_sel:BYTE_0 src1_sel:DWORD
	s_mov_b64 vcc, -1
                                        ; implicit-def: $sgpr46
	s_and_saveexec_b64 s[44:45], s[50:51]
; %bb.802:                              ;   in Loop: Header=BB271_12 Depth=1
	s_mov_b32 s46, 0x7fc02000
	s_xor_b64 vcc, exec, -1
; %bb.803:                              ;   in Loop: Header=BB271_12 Depth=1
	s_or_b64 exec, exec, s[44:45]
	s_and_b64 vcc, vcc, exec
	s_or_saveexec_b64 s[42:43], s[42:43]
	v_mov_b32_e32 v0, s46
	s_xor_b64 exec, exec, s[42:43]
	s_cbranch_execz .LBB271_153
.LBB271_804:                            ;   in Loop: Header=BB271_12 Depth=1
	v_cmp_ne_u16_sdwa s[44:45], v18, v5 src0_sel:BYTE_0 src1_sel:DWORD
	s_andn2_b64 vcc, vcc, exec
	s_and_b64 s[44:45], s[44:45], exec
	v_mov_b32_e32 v0, 0
	s_or_b64 vcc, vcc, s[44:45]
	s_or_b64 exec, exec, s[42:43]
	s_and_saveexec_b64 s[42:43], vcc
	s_cbranch_execnz .LBB271_154
	s_branch .LBB271_155
.LBB271_805:                            ;   in Loop: Header=BB271_12 Depth=1
	v_cmp_eq_u16_sdwa s[50:51], v18, s48 src0_sel:BYTE_0 src1_sel:DWORD
	s_mov_b64 vcc, -1
                                        ; implicit-def: $sgpr46
	s_and_saveexec_b64 s[44:45], s[50:51]
; %bb.806:                              ;   in Loop: Header=BB271_12 Depth=1
	s_mov_b32 s46, 0x7fc02000
	s_xor_b64 vcc, exec, -1
; %bb.807:                              ;   in Loop: Header=BB271_12 Depth=1
	s_or_b64 exec, exec, s[44:45]
	s_and_b64 vcc, vcc, exec
	s_or_saveexec_b64 s[42:43], s[42:43]
	v_mov_b32_e32 v0, s46
	s_xor_b64 exec, exec, s[42:43]
	s_cbranch_execz .LBB271_181
.LBB271_808:                            ;   in Loop: Header=BB271_12 Depth=1
	v_cmp_ne_u16_sdwa s[44:45], v18, v5 src0_sel:BYTE_0 src1_sel:DWORD
	s_andn2_b64 vcc, vcc, exec
	s_and_b64 s[44:45], s[44:45], exec
	v_mov_b32_e32 v0, 0
	s_or_b64 vcc, vcc, s[44:45]
	s_or_b64 exec, exec, s[42:43]
	s_and_saveexec_b64 s[42:43], vcc
	s_cbranch_execnz .LBB271_182
	s_branch .LBB271_183
.LBB271_809:                            ;   in Loop: Header=BB271_12 Depth=1
	v_cmp_eq_u16_sdwa s[50:51], v4, s48 src0_sel:BYTE_0 src1_sel:DWORD
	s_mov_b64 vcc, -1
                                        ; implicit-def: $sgpr46
	s_and_saveexec_b64 s[44:45], s[50:51]
; %bb.810:                              ;   in Loop: Header=BB271_12 Depth=1
	s_mov_b32 s46, 0x7fc02000
	s_xor_b64 vcc, exec, -1
; %bb.811:                              ;   in Loop: Header=BB271_12 Depth=1
	s_or_b64 exec, exec, s[44:45]
	s_and_b64 vcc, vcc, exec
	s_or_saveexec_b64 s[42:43], s[42:43]
	v_mov_b32_e32 v0, s46
	s_xor_b64 exec, exec, s[42:43]
	s_cbranch_execz .LBB271_481
.LBB271_812:                            ;   in Loop: Header=BB271_12 Depth=1
	v_cmp_ne_u16_sdwa s[44:45], v4, v5 src0_sel:BYTE_0 src1_sel:DWORD
	s_andn2_b64 vcc, vcc, exec
	s_and_b64 s[44:45], s[44:45], exec
	v_mov_b32_e32 v0, 0
	s_or_b64 vcc, vcc, s[44:45]
	s_or_b64 exec, exec, s[42:43]
	s_and_saveexec_b64 s[42:43], vcc
	s_cbranch_execnz .LBB271_482
	s_branch .LBB271_483
.LBB271_813:                            ;   in Loop: Header=BB271_12 Depth=1
	v_cmp_eq_u16_e32 vcc, s48, v4
	s_mov_b64 s[42:43], -1
                                        ; implicit-def: $sgpr50
	s_and_saveexec_b64 s[46:47], vcc
; %bb.814:                              ;   in Loop: Header=BB271_12 Depth=1
	s_mov_b32 s50, 0x7fc02000
	s_xor_b64 s[42:43], exec, -1
; %bb.815:                              ;   in Loop: Header=BB271_12 Depth=1
	s_or_b64 exec, exec, s[46:47]
	s_and_b64 s[42:43], s[42:43], exec
	s_or_saveexec_b64 s[44:45], s[44:45]
	v_mov_b32_e32 v1, s50
	s_xor_b64 exec, exec, s[44:45]
	s_cbranch_execz .LBB271_485
.LBB271_816:                            ;   in Loop: Header=BB271_12 Depth=1
	v_cmp_ne_u16_e32 vcc, 0, v4
	s_andn2_b64 s[42:43], s[42:43], exec
	s_and_b64 vcc, vcc, exec
	v_mov_b32_e32 v1, 0
	s_or_b64 s[42:43], s[42:43], vcc
	s_or_b64 exec, exec, s[44:45]
	scratch_store_dword off, v0, s32 offset:548 ; 4-byte Folded Spill
	s_and_saveexec_b64 s[44:45], s[42:43]
	s_cbranch_execnz .LBB271_486
	s_branch .LBB271_487
.LBB271_817:                            ;   in Loop: Header=BB271_12 Depth=1
	v_cmp_eq_u16_sdwa s[50:51], v4, s48 src0_sel:BYTE_0 src1_sel:DWORD
	s_mov_b64 vcc, -1
                                        ; implicit-def: $sgpr46
	s_and_saveexec_b64 s[44:45], s[50:51]
; %bb.818:                              ;   in Loop: Header=BB271_12 Depth=1
	s_mov_b32 s46, 0x7fc02000
	s_xor_b64 vcc, exec, -1
; %bb.819:                              ;   in Loop: Header=BB271_12 Depth=1
	s_or_b64 exec, exec, s[44:45]
	s_and_b64 vcc, vcc, exec
	s_or_saveexec_b64 s[42:43], s[42:43]
	v_mov_b32_e32 v0, s46
	s_xor_b64 exec, exec, s[42:43]
	s_cbranch_execz .LBB271_537
.LBB271_820:                            ;   in Loop: Header=BB271_12 Depth=1
	v_cmp_ne_u16_sdwa s[44:45], v4, v5 src0_sel:BYTE_0 src1_sel:DWORD
	s_andn2_b64 vcc, vcc, exec
	s_and_b64 s[44:45], s[44:45], exec
	v_mov_b32_e32 v0, 0
	s_or_b64 vcc, vcc, s[44:45]
	s_or_b64 exec, exec, s[42:43]
	s_and_saveexec_b64 s[42:43], vcc
	s_cbranch_execnz .LBB271_538
	s_branch .LBB271_539
.LBB271_821:                            ;   in Loop: Header=BB271_12 Depth=1
	v_cmp_eq_u16_e32 vcc, s48, v4
	s_mov_b64 s[42:43], -1
                                        ; implicit-def: $sgpr50
	s_and_saveexec_b64 s[46:47], vcc
; %bb.822:                              ;   in Loop: Header=BB271_12 Depth=1
	s_mov_b32 s50, 0x7fc02000
	s_xor_b64 s[42:43], exec, -1
; %bb.823:                              ;   in Loop: Header=BB271_12 Depth=1
	s_or_b64 exec, exec, s[46:47]
	s_and_b64 s[42:43], s[42:43], exec
	s_or_saveexec_b64 s[44:45], s[44:45]
	v_mov_b32_e32 v1, s50
	s_xor_b64 exec, exec, s[44:45]
	s_cbranch_execz .LBB271_541
.LBB271_824:                            ;   in Loop: Header=BB271_12 Depth=1
	v_cmp_ne_u16_e32 vcc, 0, v4
	s_andn2_b64 s[42:43], s[42:43], exec
	s_and_b64 vcc, vcc, exec
	v_mov_b32_e32 v1, 0
	s_or_b64 s[42:43], s[42:43], vcc
	s_or_b64 exec, exec, s[44:45]
	v_accvgpr_write_b32 a57, v0
	s_and_saveexec_b64 s[44:45], s[42:43]
	s_cbranch_execnz .LBB271_542
	s_branch .LBB271_543
.LBB271_825:                            ;   in Loop: Header=BB271_12 Depth=1
	v_cmp_eq_u16_e32 vcc, s48, v4
	s_mov_b64 s[42:43], -1
                                        ; implicit-def: $sgpr50
	s_and_saveexec_b64 s[46:47], vcc
; %bb.826:                              ;   in Loop: Header=BB271_12 Depth=1
	s_mov_b32 s50, 0x7fc02000
	s_xor_b64 s[42:43], exec, -1
; %bb.827:                              ;   in Loop: Header=BB271_12 Depth=1
	s_or_b64 exec, exec, s[46:47]
	s_and_b64 s[42:43], s[42:43], exec
	s_or_saveexec_b64 s[44:45], s[44:45]
	v_mov_b32_e32 v59, s50
	s_xor_b64 exec, exec, s[44:45]
	s_cbranch_execz .LBB271_553
.LBB271_828:                            ;   in Loop: Header=BB271_12 Depth=1
	v_cmp_ne_u16_e32 vcc, 0, v4
	s_andn2_b64 s[42:43], s[42:43], exec
	s_and_b64 vcc, vcc, exec
	v_mov_b32_e32 v59, 0
	s_or_b64 s[42:43], s[42:43], vcc
	s_or_b64 exec, exec, s[44:45]
	s_and_saveexec_b64 s[44:45], s[42:43]
	s_cbranch_execnz .LBB271_554
	s_branch .LBB271_555
.LBB271_829:                            ;   in Loop: Header=BB271_12 Depth=1
	v_cmp_eq_u16_sdwa s[50:51], v4, s48 src0_sel:BYTE_0 src1_sel:DWORD
	s_mov_b64 vcc, -1
                                        ; implicit-def: $sgpr46
	s_and_saveexec_b64 s[44:45], s[50:51]
; %bb.830:                              ;   in Loop: Header=BB271_12 Depth=1
	s_mov_b32 s46, 0x7fc02000
	s_xor_b64 vcc, exec, -1
; %bb.831:                              ;   in Loop: Header=BB271_12 Depth=1
	s_or_b64 exec, exec, s[44:45]
	s_and_b64 vcc, vcc, exec
	s_or_saveexec_b64 s[42:43], s[42:43]
	v_mov_b32_e32 v61, s46
	s_xor_b64 exec, exec, s[42:43]
	s_cbranch_execz .LBB271_557
.LBB271_832:                            ;   in Loop: Header=BB271_12 Depth=1
	v_cmp_ne_u16_sdwa s[44:45], v4, v5 src0_sel:BYTE_0 src1_sel:DWORD
	s_andn2_b64 vcc, vcc, exec
	s_and_b64 s[44:45], s[44:45], exec
	v_mov_b32_e32 v61, 0
	s_or_b64 vcc, vcc, s[44:45]
	s_or_b64 exec, exec, s[42:43]
	s_and_saveexec_b64 s[42:43], vcc
	s_cbranch_execnz .LBB271_558
	s_branch .LBB271_559
.LBB271_833:                            ;   in Loop: Header=BB271_12 Depth=1
	v_cmp_eq_u16_e32 vcc, s48, v4
	s_mov_b64 s[42:43], -1
                                        ; implicit-def: $sgpr50
	s_and_saveexec_b64 s[46:47], vcc
; %bb.834:                              ;   in Loop: Header=BB271_12 Depth=1
	s_mov_b32 s50, 0x7fc02000
	s_xor_b64 s[42:43], exec, -1
; %bb.835:                              ;   in Loop: Header=BB271_12 Depth=1
	s_or_b64 exec, exec, s[46:47]
	s_and_b64 s[42:43], s[42:43], exec
	s_or_saveexec_b64 s[44:45], s[44:45]
	v_mov_b32_e32 v62, s50
	s_xor_b64 exec, exec, s[44:45]
	s_cbranch_execz .LBB271_561
.LBB271_836:                            ;   in Loop: Header=BB271_12 Depth=1
	v_cmp_ne_u16_e32 vcc, 0, v4
	s_andn2_b64 s[42:43], s[42:43], exec
	s_and_b64 vcc, vcc, exec
	v_mov_b32_e32 v62, 0
	s_or_b64 s[42:43], s[42:43], vcc
	s_or_b64 exec, exec, s[44:45]
	s_and_saveexec_b64 s[44:45], s[42:43]
	s_cbranch_execnz .LBB271_562
	s_branch .LBB271_563
.LBB271_837:                            ;   in Loop: Header=BB271_12 Depth=1
	v_cmp_eq_u16_sdwa s[50:51], v18, s48 src0_sel:BYTE_0 src1_sel:DWORD
	s_mov_b64 vcc, -1
                                        ; implicit-def: $sgpr46
	s_and_saveexec_b64 s[44:45], s[50:51]
; %bb.838:                              ;   in Loop: Header=BB271_12 Depth=1
	s_mov_b32 s46, 0x7fc02000
	s_xor_b64 vcc, exec, -1
; %bb.839:                              ;   in Loop: Header=BB271_12 Depth=1
	s_or_b64 exec, exec, s[44:45]
	s_and_b64 vcc, vcc, exec
	s_or_saveexec_b64 s[42:43], s[42:43]
	v_mov_b32_e32 v60, s46
	s_xor_b64 exec, exec, s[42:43]
	s_cbranch_execz .LBB271_565
.LBB271_840:                            ;   in Loop: Header=BB271_12 Depth=1
	v_cmp_ne_u16_sdwa s[44:45], v18, v5 src0_sel:BYTE_0 src1_sel:DWORD
	s_andn2_b64 vcc, vcc, exec
	s_and_b64 s[44:45], s[44:45], exec
	v_mov_b32_e32 v60, 0
	s_or_b64 vcc, vcc, s[44:45]
	s_or_b64 exec, exec, s[42:43]
	s_and_saveexec_b64 s[42:43], vcc
	s_cbranch_execnz .LBB271_566
	s_branch .LBB271_567
.LBB271_841:                            ;   in Loop: Header=BB271_12 Depth=1
	v_cmp_eq_u16_e32 vcc, s48, v4
	s_mov_b64 s[42:43], -1
                                        ; implicit-def: $sgpr50
	s_and_saveexec_b64 s[46:47], vcc
; %bb.842:                              ;   in Loop: Header=BB271_12 Depth=1
	s_mov_b32 s50, 0x7fc02000
	s_xor_b64 s[42:43], exec, -1
; %bb.843:                              ;   in Loop: Header=BB271_12 Depth=1
	s_or_b64 exec, exec, s[46:47]
	s_and_b64 s[42:43], s[42:43], exec
	s_or_saveexec_b64 s[44:45], s[44:45]
	v_mov_b32_e32 v24, s50
	s_xor_b64 exec, exec, s[44:45]
	s_cbranch_execz .LBB271_569
.LBB271_844:                            ;   in Loop: Header=BB271_12 Depth=1
	v_cmp_ne_u16_e32 vcc, 0, v4
	s_andn2_b64 s[42:43], s[42:43], exec
	s_and_b64 vcc, vcc, exec
	v_mov_b32_e32 v24, 0
	s_or_b64 s[42:43], s[42:43], vcc
	s_or_b64 exec, exec, s[44:45]
	s_and_saveexec_b64 s[44:45], s[42:43]
	s_cbranch_execnz .LBB271_570
	s_branch .LBB271_571
.LBB271_845:                            ;   in Loop: Header=BB271_12 Depth=1
	v_cmp_eq_u16_sdwa s[50:51], v4, s48 src0_sel:BYTE_0 src1_sel:DWORD
	s_mov_b64 vcc, -1
                                        ; implicit-def: $sgpr46
	s_and_saveexec_b64 s[44:45], s[50:51]
; %bb.846:                              ;   in Loop: Header=BB271_12 Depth=1
	s_mov_b32 s46, 0x7fc02000
	s_xor_b64 vcc, exec, -1
; %bb.847:                              ;   in Loop: Header=BB271_12 Depth=1
	s_or_b64 exec, exec, s[44:45]
	s_and_b64 vcc, vcc, exec
	s_or_saveexec_b64 s[42:43], s[42:43]
	v_mov_b32_e32 v31, s46
	s_xor_b64 exec, exec, s[42:43]
	s_cbranch_execz .LBB271_573
.LBB271_848:                            ;   in Loop: Header=BB271_12 Depth=1
	v_cmp_ne_u16_sdwa s[44:45], v4, v5 src0_sel:BYTE_0 src1_sel:DWORD
	s_andn2_b64 vcc, vcc, exec
	s_and_b64 s[44:45], s[44:45], exec
	v_mov_b32_e32 v31, 0
	s_or_b64 vcc, vcc, s[44:45]
	s_or_b64 exec, exec, s[42:43]
	s_and_saveexec_b64 s[42:43], vcc
	s_cbranch_execnz .LBB271_574
	s_branch .LBB271_575
.LBB271_849:                            ;   in Loop: Header=BB271_12 Depth=1
	v_cmp_eq_u16_e32 vcc, s48, v4
	s_mov_b64 s[42:43], -1
                                        ; implicit-def: $sgpr50
	s_and_saveexec_b64 s[46:47], vcc
; %bb.850:                              ;   in Loop: Header=BB271_12 Depth=1
	s_mov_b32 s50, 0x7fc02000
	s_xor_b64 s[42:43], exec, -1
; %bb.851:                              ;   in Loop: Header=BB271_12 Depth=1
	s_or_b64 exec, exec, s[46:47]
	s_and_b64 s[42:43], s[42:43], exec
	s_or_saveexec_b64 s[44:45], s[44:45]
	v_mov_b32_e32 v27, s50
	s_xor_b64 exec, exec, s[44:45]
	s_cbranch_execz .LBB271_577
.LBB271_852:                            ;   in Loop: Header=BB271_12 Depth=1
	v_cmp_ne_u16_e32 vcc, 0, v4
	s_andn2_b64 s[42:43], s[42:43], exec
	s_and_b64 vcc, vcc, exec
	v_mov_b32_e32 v27, 0
	s_or_b64 s[42:43], s[42:43], vcc
	s_or_b64 exec, exec, s[44:45]
	s_and_saveexec_b64 s[44:45], s[42:43]
	s_cbranch_execnz .LBB271_578
	s_branch .LBB271_579
.LBB271_853:                            ;   in Loop: Header=BB271_12 Depth=1
	v_cmp_eq_u16_sdwa s[50:51], v18, s48 src0_sel:BYTE_0 src1_sel:DWORD
	s_mov_b64 vcc, -1
                                        ; implicit-def: $sgpr46
	s_and_saveexec_b64 s[44:45], s[50:51]
; %bb.854:                              ;   in Loop: Header=BB271_12 Depth=1
	s_mov_b32 s46, 0x7fc02000
	s_xor_b64 vcc, exec, -1
; %bb.855:                              ;   in Loop: Header=BB271_12 Depth=1
	s_or_b64 exec, exec, s[44:45]
	s_and_b64 vcc, vcc, exec
	s_or_saveexec_b64 s[42:43], s[42:43]
	v_mov_b32_e32 v47, s46
	s_xor_b64 exec, exec, s[42:43]
	s_cbranch_execz .LBB271_581
.LBB271_856:                            ;   in Loop: Header=BB271_12 Depth=1
	v_cmp_ne_u16_sdwa s[44:45], v18, v5 src0_sel:BYTE_0 src1_sel:DWORD
	s_andn2_b64 vcc, vcc, exec
	s_and_b64 s[44:45], s[44:45], exec
	v_mov_b32_e32 v47, 0
	s_or_b64 vcc, vcc, s[44:45]
	s_or_b64 exec, exec, s[42:43]
	s_and_saveexec_b64 s[42:43], vcc
	s_cbranch_execnz .LBB271_582
	s_branch .LBB271_583
.LBB271_857:                            ;   in Loop: Header=BB271_12 Depth=1
	v_cmp_eq_u16_e32 vcc, s48, v4
	s_mov_b64 s[42:43], -1
                                        ; implicit-def: $sgpr50
	s_and_saveexec_b64 s[46:47], vcc
; %bb.858:                              ;   in Loop: Header=BB271_12 Depth=1
	s_mov_b32 s50, 0x7fc02000
	s_xor_b64 s[42:43], exec, -1
; %bb.859:                              ;   in Loop: Header=BB271_12 Depth=1
	s_or_b64 exec, exec, s[46:47]
	s_and_b64 s[42:43], s[42:43], exec
	s_or_saveexec_b64 s[44:45], s[44:45]
	v_mov_b32_e32 v21, s50
	s_xor_b64 exec, exec, s[44:45]
	s_cbranch_execz .LBB271_585
.LBB271_860:                            ;   in Loop: Header=BB271_12 Depth=1
	v_cmp_ne_u16_e32 vcc, 0, v4
	s_andn2_b64 s[42:43], s[42:43], exec
	s_and_b64 vcc, vcc, exec
	v_mov_b32_e32 v21, 0
	s_or_b64 s[42:43], s[42:43], vcc
	s_or_b64 exec, exec, s[44:45]
	s_and_saveexec_b64 s[44:45], s[42:43]
	s_cbranch_execnz .LBB271_586
	s_branch .LBB271_587
.LBB271_861:                            ;   in Loop: Header=BB271_12 Depth=1
	v_cmp_eq_u16_sdwa s[50:51], v4, s48 src0_sel:BYTE_0 src1_sel:DWORD
	s_mov_b64 vcc, -1
                                        ; implicit-def: $sgpr46
	s_and_saveexec_b64 s[44:45], s[50:51]
; %bb.862:                              ;   in Loop: Header=BB271_12 Depth=1
	s_mov_b32 s46, 0x7fc02000
	s_xor_b64 vcc, exec, -1
; %bb.863:                              ;   in Loop: Header=BB271_12 Depth=1
	s_or_b64 exec, exec, s[44:45]
	s_and_b64 vcc, vcc, exec
	s_or_saveexec_b64 s[42:43], s[42:43]
	v_mov_b32_e32 v20, s46
	s_xor_b64 exec, exec, s[42:43]
	s_cbranch_execz .LBB271_589
.LBB271_864:                            ;   in Loop: Header=BB271_12 Depth=1
	v_cmp_ne_u16_sdwa s[44:45], v4, v5 src0_sel:BYTE_0 src1_sel:DWORD
	s_andn2_b64 vcc, vcc, exec
	s_and_b64 s[44:45], s[44:45], exec
	v_mov_b32_e32 v20, 0
	s_or_b64 vcc, vcc, s[44:45]
	s_or_b64 exec, exec, s[42:43]
	s_and_saveexec_b64 s[42:43], vcc
	s_cbranch_execnz .LBB271_590
	s_branch .LBB271_591
.LBB271_865:                            ;   in Loop: Header=BB271_12 Depth=1
	v_cmp_eq_u16_e32 vcc, s48, v4
	s_mov_b64 s[42:43], -1
                                        ; implicit-def: $sgpr50
	s_and_saveexec_b64 s[46:47], vcc
; %bb.866:                              ;   in Loop: Header=BB271_12 Depth=1
	s_mov_b32 s50, 0x7fc02000
	s_xor_b64 s[42:43], exec, -1
; %bb.867:                              ;   in Loop: Header=BB271_12 Depth=1
	s_or_b64 exec, exec, s[46:47]
	s_and_b64 s[42:43], s[42:43], exec
	s_or_saveexec_b64 s[44:45], s[44:45]
	v_mov_b32_e32 v39, s50
	s_xor_b64 exec, exec, s[44:45]
	s_cbranch_execz .LBB271_593
.LBB271_868:                            ;   in Loop: Header=BB271_12 Depth=1
	v_cmp_ne_u16_e32 vcc, 0, v4
	s_andn2_b64 s[42:43], s[42:43], exec
	s_and_b64 vcc, vcc, exec
	v_mov_b32_e32 v39, 0
	s_or_b64 s[42:43], s[42:43], vcc
	s_or_b64 exec, exec, s[44:45]
	s_and_saveexec_b64 s[44:45], s[42:43]
	s_cbranch_execnz .LBB271_594
	s_branch .LBB271_595
.LBB271_869:                            ;   in Loop: Header=BB271_12 Depth=1
	v_cmp_eq_u16_sdwa s[50:51], v18, s48 src0_sel:BYTE_0 src1_sel:DWORD
	s_mov_b64 vcc, -1
                                        ; implicit-def: $sgpr46
	s_and_saveexec_b64 s[44:45], s[50:51]
; %bb.870:                              ;   in Loop: Header=BB271_12 Depth=1
	s_mov_b32 s46, 0x7fc02000
	s_xor_b64 vcc, exec, -1
; %bb.871:                              ;   in Loop: Header=BB271_12 Depth=1
	s_or_b64 exec, exec, s[44:45]
	s_and_b64 vcc, vcc, exec
	s_or_saveexec_b64 s[42:43], s[42:43]
	v_mov_b32_e32 v25, s46
	s_xor_b64 exec, exec, s[42:43]
	s_cbranch_execz .LBB271_597
.LBB271_872:                            ;   in Loop: Header=BB271_12 Depth=1
	v_cmp_ne_u16_sdwa s[44:45], v18, v5 src0_sel:BYTE_0 src1_sel:DWORD
	s_andn2_b64 vcc, vcc, exec
	s_and_b64 s[44:45], s[44:45], exec
	v_mov_b32_e32 v25, 0
	s_or_b64 vcc, vcc, s[44:45]
	s_or_b64 exec, exec, s[42:43]
	s_and_saveexec_b64 s[42:43], vcc
	s_cbranch_execnz .LBB271_598
	s_branch .LBB271_599
.LBB271_873:                            ;   in Loop: Header=BB271_12 Depth=1
	v_cmp_eq_u16_e32 vcc, s48, v4
	s_mov_b64 s[42:43], -1
                                        ; implicit-def: $sgpr50
	s_and_saveexec_b64 s[46:47], vcc
; %bb.874:                              ;   in Loop: Header=BB271_12 Depth=1
	s_mov_b32 s50, 0x7fc02000
	s_xor_b64 s[42:43], exec, -1
; %bb.875:                              ;   in Loop: Header=BB271_12 Depth=1
	s_or_b64 exec, exec, s[46:47]
	s_and_b64 s[42:43], s[42:43], exec
	s_or_saveexec_b64 s[44:45], s[44:45]
	v_mov_b32_e32 v52, s50
	s_xor_b64 exec, exec, s[44:45]
	s_cbranch_execz .LBB271_601
.LBB271_876:                            ;   in Loop: Header=BB271_12 Depth=1
	v_cmp_ne_u16_e32 vcc, 0, v4
	s_andn2_b64 s[42:43], s[42:43], exec
	s_and_b64 vcc, vcc, exec
	v_mov_b32_e32 v52, 0
	s_or_b64 s[42:43], s[42:43], vcc
	s_or_b64 exec, exec, s[44:45]
	s_and_saveexec_b64 s[44:45], s[42:43]
	s_cbranch_execnz .LBB271_602
	s_branch .LBB271_603
.LBB271_877:                            ;   in Loop: Header=BB271_12 Depth=1
	v_cmp_eq_u16_sdwa s[50:51], v4, s48 src0_sel:BYTE_0 src1_sel:DWORD
	s_mov_b64 vcc, -1
                                        ; implicit-def: $sgpr46
	s_and_saveexec_b64 s[44:45], s[50:51]
; %bb.878:                              ;   in Loop: Header=BB271_12 Depth=1
	s_mov_b32 s46, 0x7fc02000
	s_xor_b64 vcc, exec, -1
; %bb.879:                              ;   in Loop: Header=BB271_12 Depth=1
	s_or_b64 exec, exec, s[44:45]
	s_and_b64 vcc, vcc, exec
	s_or_saveexec_b64 s[42:43], s[42:43]
	v_mov_b32_e32 v48, s46
	s_xor_b64 exec, exec, s[42:43]
	s_cbranch_execz .LBB271_605
.LBB271_880:                            ;   in Loop: Header=BB271_12 Depth=1
	v_cmp_ne_u16_sdwa s[44:45], v4, v5 src0_sel:BYTE_0 src1_sel:DWORD
	s_andn2_b64 vcc, vcc, exec
	s_and_b64 s[44:45], s[44:45], exec
	v_mov_b32_e32 v48, 0
	s_or_b64 vcc, vcc, s[44:45]
	s_or_b64 exec, exec, s[42:43]
	s_and_saveexec_b64 s[42:43], vcc
	s_cbranch_execnz .LBB271_606
	s_branch .LBB271_607
.LBB271_881:                            ;   in Loop: Header=BB271_12 Depth=1
	v_cmp_eq_u16_e32 vcc, s48, v4
	s_mov_b64 s[42:43], -1
                                        ; implicit-def: $sgpr50
	s_and_saveexec_b64 s[46:47], vcc
; %bb.882:                              ;   in Loop: Header=BB271_12 Depth=1
	s_mov_b32 s50, 0x7fc02000
	s_xor_b64 s[42:43], exec, -1
; %bb.883:                              ;   in Loop: Header=BB271_12 Depth=1
	s_or_b64 exec, exec, s[46:47]
	s_and_b64 s[42:43], s[42:43], exec
	s_or_saveexec_b64 s[44:45], s[44:45]
	v_mov_b32_e32 v46, s50
	s_xor_b64 exec, exec, s[44:45]
	s_cbranch_execz .LBB271_609
.LBB271_884:                            ;   in Loop: Header=BB271_12 Depth=1
	v_cmp_ne_u16_e32 vcc, 0, v4
	s_andn2_b64 s[42:43], s[42:43], exec
	s_and_b64 vcc, vcc, exec
	v_mov_b32_e32 v46, 0
	s_or_b64 s[42:43], s[42:43], vcc
	s_or_b64 exec, exec, s[44:45]
	s_and_saveexec_b64 s[44:45], s[42:43]
	s_cbranch_execnz .LBB271_610
	s_branch .LBB271_611
.LBB271_885:                            ;   in Loop: Header=BB271_12 Depth=1
	v_cmp_eq_u16_sdwa s[50:51], v18, s48 src0_sel:BYTE_0 src1_sel:DWORD
	s_mov_b64 vcc, -1
                                        ; implicit-def: $sgpr46
	s_and_saveexec_b64 s[44:45], s[50:51]
; %bb.886:                              ;   in Loop: Header=BB271_12 Depth=1
	s_mov_b32 s46, 0x7fc02000
	s_xor_b64 vcc, exec, -1
; %bb.887:                              ;   in Loop: Header=BB271_12 Depth=1
	s_or_b64 exec, exec, s[44:45]
	s_and_b64 vcc, vcc, exec
	s_or_saveexec_b64 s[42:43], s[42:43]
	v_mov_b32_e32 v15, s46
	s_xor_b64 exec, exec, s[42:43]
	s_cbranch_execz .LBB271_613
.LBB271_888:                            ;   in Loop: Header=BB271_12 Depth=1
	v_cmp_ne_u16_sdwa s[44:45], v18, v5 src0_sel:BYTE_0 src1_sel:DWORD
	s_andn2_b64 vcc, vcc, exec
	s_and_b64 s[44:45], s[44:45], exec
	v_mov_b32_e32 v15, 0
	s_or_b64 vcc, vcc, s[44:45]
	s_or_b64 exec, exec, s[42:43]
	s_and_saveexec_b64 s[42:43], vcc
	s_cbranch_execnz .LBB271_614
	s_branch .LBB271_615
.LBB271_889:                            ;   in Loop: Header=BB271_12 Depth=1
	v_cmp_eq_u16_e32 vcc, s48, v4
	s_mov_b64 s[42:43], -1
                                        ; implicit-def: $sgpr50
	s_and_saveexec_b64 s[46:47], vcc
; %bb.890:                              ;   in Loop: Header=BB271_12 Depth=1
	s_mov_b32 s50, 0x7fc02000
	s_xor_b64 s[42:43], exec, -1
; %bb.891:                              ;   in Loop: Header=BB271_12 Depth=1
	s_or_b64 exec, exec, s[46:47]
	s_and_b64 s[42:43], s[42:43], exec
	s_or_saveexec_b64 s[44:45], s[44:45]
	v_mov_b32_e32 v17, s50
	s_xor_b64 exec, exec, s[44:45]
	s_cbranch_execz .LBB271_617
.LBB271_892:                            ;   in Loop: Header=BB271_12 Depth=1
	v_cmp_ne_u16_e32 vcc, 0, v4
	s_andn2_b64 s[42:43], s[42:43], exec
	s_and_b64 vcc, vcc, exec
	v_mov_b32_e32 v17, 0
	s_or_b64 s[42:43], s[42:43], vcc
	s_or_b64 exec, exec, s[44:45]
	s_and_saveexec_b64 s[44:45], s[42:43]
	s_cbranch_execnz .LBB271_618
	s_branch .LBB271_619
.LBB271_893:                            ;   in Loop: Header=BB271_12 Depth=1
	v_cmp_eq_u16_sdwa s[50:51], v4, s48 src0_sel:BYTE_0 src1_sel:DWORD
	s_mov_b64 vcc, -1
                                        ; implicit-def: $sgpr46
	s_and_saveexec_b64 s[44:45], s[50:51]
; %bb.894:                              ;   in Loop: Header=BB271_12 Depth=1
	s_mov_b32 s46, 0x7fc02000
	s_xor_b64 vcc, exec, -1
; %bb.895:                              ;   in Loop: Header=BB271_12 Depth=1
	s_or_b64 exec, exec, s[44:45]
	s_and_b64 vcc, vcc, exec
	s_or_saveexec_b64 s[42:43], s[42:43]
	v_mov_b32_e32 v22, s46
	s_xor_b64 exec, exec, s[42:43]
	s_cbranch_execz .LBB271_621
.LBB271_896:                            ;   in Loop: Header=BB271_12 Depth=1
	v_cmp_ne_u16_sdwa s[44:45], v4, v5 src0_sel:BYTE_0 src1_sel:DWORD
	s_andn2_b64 vcc, vcc, exec
	s_and_b64 s[44:45], s[44:45], exec
	v_mov_b32_e32 v22, 0
	s_or_b64 vcc, vcc, s[44:45]
	s_or_b64 exec, exec, s[42:43]
	s_and_saveexec_b64 s[42:43], vcc
	s_cbranch_execnz .LBB271_622
	s_branch .LBB271_623
.LBB271_897:                            ;   in Loop: Header=BB271_12 Depth=1
	v_cmp_eq_u16_e32 vcc, s48, v4
	s_mov_b64 s[42:43], -1
                                        ; implicit-def: $sgpr50
	s_and_saveexec_b64 s[46:47], vcc
; %bb.898:                              ;   in Loop: Header=BB271_12 Depth=1
	s_mov_b32 s50, 0x7fc02000
	s_xor_b64 s[42:43], exec, -1
; %bb.899:                              ;   in Loop: Header=BB271_12 Depth=1
	s_or_b64 exec, exec, s[46:47]
	s_and_b64 s[42:43], s[42:43], exec
	s_or_saveexec_b64 s[44:45], s[44:45]
	v_mov_b32_e32 v49, s50
	s_xor_b64 exec, exec, s[44:45]
	s_cbranch_execz .LBB271_625
.LBB271_900:                            ;   in Loop: Header=BB271_12 Depth=1
	v_cmp_ne_u16_e32 vcc, 0, v4
	s_andn2_b64 s[42:43], s[42:43], exec
	s_and_b64 vcc, vcc, exec
	v_mov_b32_e32 v49, 0
	s_or_b64 s[42:43], s[42:43], vcc
	s_or_b64 exec, exec, s[44:45]
	s_and_saveexec_b64 s[44:45], s[42:43]
	s_cbranch_execnz .LBB271_626
	s_branch .LBB271_627
.LBB271_901:                            ;   in Loop: Header=BB271_12 Depth=1
	v_cmp_eq_u16_sdwa s[50:51], v18, s48 src0_sel:BYTE_0 src1_sel:DWORD
	s_mov_b64 vcc, -1
                                        ; implicit-def: $sgpr46
	s_and_saveexec_b64 s[44:45], s[50:51]
; %bb.902:                              ;   in Loop: Header=BB271_12 Depth=1
	s_mov_b32 s46, 0x7fc02000
	s_xor_b64 vcc, exec, -1
; %bb.903:                              ;   in Loop: Header=BB271_12 Depth=1
	s_or_b64 exec, exec, s[44:45]
	s_and_b64 vcc, vcc, exec
	s_or_saveexec_b64 s[42:43], s[42:43]
	v_mov_b32_e32 v33, s46
	s_xor_b64 exec, exec, s[42:43]
	s_cbranch_execz .LBB271_629
.LBB271_904:                            ;   in Loop: Header=BB271_12 Depth=1
	v_cmp_ne_u16_sdwa s[44:45], v18, v5 src0_sel:BYTE_0 src1_sel:DWORD
	s_andn2_b64 vcc, vcc, exec
	s_and_b64 s[44:45], s[44:45], exec
	v_mov_b32_e32 v33, 0
	s_or_b64 vcc, vcc, s[44:45]
	s_or_b64 exec, exec, s[42:43]
	s_and_saveexec_b64 s[42:43], vcc
	s_cbranch_execnz .LBB271_630
	s_branch .LBB271_631
.LBB271_905:                            ;   in Loop: Header=BB271_12 Depth=1
	v_cmp_eq_u16_e32 vcc, s48, v4
	s_mov_b64 s[42:43], -1
                                        ; implicit-def: $sgpr50
	s_and_saveexec_b64 s[46:47], vcc
; %bb.906:                              ;   in Loop: Header=BB271_12 Depth=1
	s_mov_b32 s50, 0x7fc02000
	s_xor_b64 s[42:43], exec, -1
; %bb.907:                              ;   in Loop: Header=BB271_12 Depth=1
	s_or_b64 exec, exec, s[46:47]
	s_and_b64 s[42:43], s[42:43], exec
	s_or_saveexec_b64 s[44:45], s[44:45]
	v_mov_b32_e32 v28, s50
	s_xor_b64 exec, exec, s[44:45]
	s_cbranch_execz .LBB271_633
.LBB271_908:                            ;   in Loop: Header=BB271_12 Depth=1
	v_cmp_ne_u16_e32 vcc, 0, v4
	s_andn2_b64 s[42:43], s[42:43], exec
	s_and_b64 vcc, vcc, exec
	v_mov_b32_e32 v28, 0
	s_or_b64 s[42:43], s[42:43], vcc
	s_or_b64 exec, exec, s[44:45]
	s_and_saveexec_b64 s[44:45], s[42:43]
	s_cbranch_execnz .LBB271_634
	s_branch .LBB271_635
.LBB271_909:                            ;   in Loop: Header=BB271_12 Depth=1
	v_cmp_eq_u16_sdwa s[50:51], v4, s48 src0_sel:BYTE_0 src1_sel:DWORD
	s_mov_b64 vcc, -1
                                        ; implicit-def: $sgpr46
	s_and_saveexec_b64 s[44:45], s[50:51]
; %bb.910:                              ;   in Loop: Header=BB271_12 Depth=1
	s_mov_b32 s46, 0x7fc02000
	s_xor_b64 vcc, exec, -1
; %bb.911:                              ;   in Loop: Header=BB271_12 Depth=1
	s_or_b64 exec, exec, s[44:45]
	s_and_b64 vcc, vcc, exec
	s_or_saveexec_b64 s[42:43], s[42:43]
	v_mov_b32_e32 v38, s46
	s_xor_b64 exec, exec, s[42:43]
	s_cbranch_execz .LBB271_637
.LBB271_912:                            ;   in Loop: Header=BB271_12 Depth=1
	v_cmp_ne_u16_sdwa s[44:45], v4, v5 src0_sel:BYTE_0 src1_sel:DWORD
	s_andn2_b64 vcc, vcc, exec
	s_and_b64 s[44:45], s[44:45], exec
	v_mov_b32_e32 v38, 0
	s_or_b64 vcc, vcc, s[44:45]
	s_or_b64 exec, exec, s[42:43]
	s_and_saveexec_b64 s[42:43], vcc
	s_cbranch_execnz .LBB271_638
	s_branch .LBB271_639
.LBB271_913:                            ;   in Loop: Header=BB271_12 Depth=1
	v_cmp_eq_u16_e32 vcc, s48, v4
	s_mov_b64 s[42:43], -1
                                        ; implicit-def: $sgpr50
	s_and_saveexec_b64 s[46:47], vcc
; %bb.914:                              ;   in Loop: Header=BB271_12 Depth=1
	s_mov_b32 s50, 0x7fc02000
	s_xor_b64 s[42:43], exec, -1
; %bb.915:                              ;   in Loop: Header=BB271_12 Depth=1
	s_or_b64 exec, exec, s[46:47]
	s_and_b64 s[42:43], s[42:43], exec
	s_or_saveexec_b64 s[44:45], s[44:45]
	v_mov_b32_e32 v23, s50
	s_xor_b64 exec, exec, s[44:45]
	s_cbranch_execz .LBB271_641
.LBB271_916:                            ;   in Loop: Header=BB271_12 Depth=1
	v_cmp_ne_u16_e32 vcc, 0, v4
	s_andn2_b64 s[42:43], s[42:43], exec
	s_and_b64 vcc, vcc, exec
	v_mov_b32_e32 v23, 0
	s_or_b64 s[42:43], s[42:43], vcc
	s_or_b64 exec, exec, s[44:45]
	s_and_saveexec_b64 s[44:45], s[42:43]
	s_cbranch_execnz .LBB271_642
	s_branch .LBB271_643
.LBB271_917:                            ;   in Loop: Header=BB271_12 Depth=1
	v_cmp_eq_u16_sdwa s[50:51], v18, s48 src0_sel:BYTE_0 src1_sel:DWORD
	s_mov_b64 vcc, -1
                                        ; implicit-def: $sgpr46
	s_and_saveexec_b64 s[44:45], s[50:51]
; %bb.918:                              ;   in Loop: Header=BB271_12 Depth=1
	s_mov_b32 s46, 0x7fc02000
	s_xor_b64 vcc, exec, -1
; %bb.919:                              ;   in Loop: Header=BB271_12 Depth=1
	s_or_b64 exec, exec, s[44:45]
	s_and_b64 vcc, vcc, exec
	s_or_saveexec_b64 s[42:43], s[42:43]
	v_mov_b32_e32 v3, s46
	s_xor_b64 exec, exec, s[42:43]
	s_cbranch_execz .LBB271_645
.LBB271_920:                            ;   in Loop: Header=BB271_12 Depth=1
	v_cmp_ne_u16_sdwa s[44:45], v18, v5 src0_sel:BYTE_0 src1_sel:DWORD
	s_andn2_b64 vcc, vcc, exec
	s_and_b64 s[44:45], s[44:45], exec
	v_mov_b32_e32 v3, 0
	s_or_b64 vcc, vcc, s[44:45]
	s_or_b64 exec, exec, s[42:43]
	s_and_saveexec_b64 s[42:43], vcc
	s_cbranch_execnz .LBB271_646
	s_branch .LBB271_647
.LBB271_921:                            ;   in Loop: Header=BB271_12 Depth=1
	v_cmp_eq_u16_e32 vcc, s48, v4
	s_mov_b64 s[42:43], -1
                                        ; implicit-def: $sgpr50
	s_and_saveexec_b64 s[46:47], vcc
; %bb.922:                              ;   in Loop: Header=BB271_12 Depth=1
	s_mov_b32 s50, 0x7fc02000
	s_xor_b64 s[42:43], exec, -1
; %bb.923:                              ;   in Loop: Header=BB271_12 Depth=1
	s_or_b64 exec, exec, s[46:47]
	s_and_b64 s[42:43], s[42:43], exec
	s_or_saveexec_b64 s[44:45], s[44:45]
	v_mov_b32_e32 v16, s50
	s_xor_b64 exec, exec, s[44:45]
	s_cbranch_execz .LBB271_649
.LBB271_924:                            ;   in Loop: Header=BB271_12 Depth=1
	v_cmp_ne_u16_e32 vcc, 0, v4
	s_andn2_b64 s[42:43], s[42:43], exec
	s_and_b64 vcc, vcc, exec
	v_mov_b32_e32 v16, 0
	s_or_b64 s[42:43], s[42:43], vcc
	s_or_b64 exec, exec, s[44:45]
	s_and_saveexec_b64 s[44:45], s[42:43]
	s_cbranch_execnz .LBB271_650
	s_branch .LBB271_651
.LBB271_925:                            ;   in Loop: Header=BB271_12 Depth=1
	v_cmp_eq_u16_sdwa s[50:51], v4, s48 src0_sel:BYTE_0 src1_sel:DWORD
	s_mov_b64 vcc, -1
                                        ; implicit-def: $sgpr46
	s_and_saveexec_b64 s[44:45], s[50:51]
; %bb.926:                              ;   in Loop: Header=BB271_12 Depth=1
	s_mov_b32 s46, 0x7fc02000
	s_xor_b64 vcc, exec, -1
; %bb.927:                              ;   in Loop: Header=BB271_12 Depth=1
	s_or_b64 exec, exec, s[44:45]
	s_and_b64 vcc, vcc, exec
	s_or_saveexec_b64 s[42:43], s[42:43]
	v_mov_b32_e32 v42, s46
	s_xor_b64 exec, exec, s[42:43]
	s_cbranch_execz .LBB271_653
.LBB271_928:                            ;   in Loop: Header=BB271_12 Depth=1
	v_cmp_ne_u16_sdwa s[44:45], v4, v5 src0_sel:BYTE_0 src1_sel:DWORD
	s_andn2_b64 vcc, vcc, exec
	s_and_b64 s[44:45], s[44:45], exec
	v_mov_b32_e32 v42, 0
	s_or_b64 vcc, vcc, s[44:45]
	s_or_b64 exec, exec, s[42:43]
	s_and_saveexec_b64 s[42:43], vcc
	s_cbranch_execnz .LBB271_654
	s_branch .LBB271_655
.LBB271_929:                            ;   in Loop: Header=BB271_12 Depth=1
	v_cmp_eq_u16_e32 vcc, s48, v4
	s_mov_b64 s[42:43], -1
                                        ; implicit-def: $sgpr50
	s_and_saveexec_b64 s[46:47], vcc
; %bb.930:                              ;   in Loop: Header=BB271_12 Depth=1
	s_mov_b32 s50, 0x7fc02000
	s_xor_b64 s[42:43], exec, -1
; %bb.931:                              ;   in Loop: Header=BB271_12 Depth=1
	s_or_b64 exec, exec, s[46:47]
	s_and_b64 s[42:43], s[42:43], exec
	s_or_saveexec_b64 s[44:45], s[44:45]
	v_mov_b32_e32 v32, s50
	s_xor_b64 exec, exec, s[44:45]
	s_cbranch_execz .LBB271_657
.LBB271_932:                            ;   in Loop: Header=BB271_12 Depth=1
	v_cmp_ne_u16_e32 vcc, 0, v4
	s_andn2_b64 s[42:43], s[42:43], exec
	s_and_b64 vcc, vcc, exec
	v_mov_b32_e32 v32, 0
	s_or_b64 s[42:43], s[42:43], vcc
	s_or_b64 exec, exec, s[44:45]
	s_and_saveexec_b64 s[44:45], s[42:43]
	s_cbranch_execnz .LBB271_658
	s_branch .LBB271_659
.LBB271_933:                            ;   in Loop: Header=BB271_12 Depth=1
	v_cmp_eq_u16_sdwa s[50:51], v18, s48 src0_sel:BYTE_0 src1_sel:DWORD
	s_mov_b64 vcc, -1
                                        ; implicit-def: $sgpr46
	s_and_saveexec_b64 s[44:45], s[50:51]
; %bb.934:                              ;   in Loop: Header=BB271_12 Depth=1
	s_mov_b32 s46, 0x7fc02000
	s_xor_b64 vcc, exec, -1
; %bb.935:                              ;   in Loop: Header=BB271_12 Depth=1
	s_or_b64 exec, exec, s[44:45]
	s_and_b64 vcc, vcc, exec
	s_or_saveexec_b64 s[42:43], s[42:43]
	v_mov_b32_e32 v12, s46
	s_xor_b64 exec, exec, s[42:43]
	s_cbranch_execz .LBB271_661
.LBB271_936:                            ;   in Loop: Header=BB271_12 Depth=1
	v_cmp_ne_u16_sdwa s[44:45], v18, v5 src0_sel:BYTE_0 src1_sel:DWORD
	s_andn2_b64 vcc, vcc, exec
	s_and_b64 s[44:45], s[44:45], exec
	v_mov_b32_e32 v12, 0
	s_or_b64 vcc, vcc, s[44:45]
	s_or_b64 exec, exec, s[42:43]
	s_and_saveexec_b64 s[42:43], vcc
	s_cbranch_execnz .LBB271_662
	s_branch .LBB271_663
.LBB271_937:                            ;   in Loop: Header=BB271_12 Depth=1
	v_cmp_eq_u16_e32 vcc, s48, v4
	s_mov_b64 s[42:43], -1
                                        ; implicit-def: $sgpr50
	s_and_saveexec_b64 s[46:47], vcc
; %bb.938:                              ;   in Loop: Header=BB271_12 Depth=1
	s_mov_b32 s50, 0x7fc02000
	s_xor_b64 s[42:43], exec, -1
; %bb.939:                              ;   in Loop: Header=BB271_12 Depth=1
	s_or_b64 exec, exec, s[46:47]
	s_and_b64 s[42:43], s[42:43], exec
	s_or_saveexec_b64 s[44:45], s[44:45]
	v_mov_b32_e32 v7, s50
	s_xor_b64 exec, exec, s[44:45]
	s_cbranch_execz .LBB271_665
.LBB271_940:                            ;   in Loop: Header=BB271_12 Depth=1
	v_cmp_ne_u16_e32 vcc, 0, v4
	s_andn2_b64 s[42:43], s[42:43], exec
	s_and_b64 vcc, vcc, exec
	v_mov_b32_e32 v7, 0
	s_or_b64 s[42:43], s[42:43], vcc
	s_or_b64 exec, exec, s[44:45]
	s_and_saveexec_b64 s[44:45], s[42:43]
	s_cbranch_execnz .LBB271_666
	s_branch .LBB271_667
.LBB271_941:                            ;   in Loop: Header=BB271_12 Depth=1
	v_cmp_eq_u16_sdwa s[50:51], v4, s48 src0_sel:BYTE_0 src1_sel:DWORD
	s_mov_b64 vcc, -1
                                        ; implicit-def: $sgpr46
	s_and_saveexec_b64 s[44:45], s[50:51]
; %bb.942:                              ;   in Loop: Header=BB271_12 Depth=1
	s_mov_b32 s46, 0x7fc02000
	s_xor_b64 vcc, exec, -1
; %bb.943:                              ;   in Loop: Header=BB271_12 Depth=1
	s_or_b64 exec, exec, s[44:45]
	s_and_b64 vcc, vcc, exec
	s_or_saveexec_b64 s[42:43], s[42:43]
	v_mov_b32_e32 v50, s46
	s_xor_b64 exec, exec, s[42:43]
	s_cbranch_execz .LBB271_669
.LBB271_944:                            ;   in Loop: Header=BB271_12 Depth=1
	v_cmp_ne_u16_sdwa s[44:45], v4, v5 src0_sel:BYTE_0 src1_sel:DWORD
	s_andn2_b64 vcc, vcc, exec
	s_and_b64 s[44:45], s[44:45], exec
	v_mov_b32_e32 v50, 0
	s_or_b64 vcc, vcc, s[44:45]
	s_or_b64 exec, exec, s[42:43]
	s_and_saveexec_b64 s[42:43], vcc
	s_cbranch_execnz .LBB271_670
	s_branch .LBB271_671
.LBB271_945:                            ;   in Loop: Header=BB271_12 Depth=1
	v_cmp_eq_u16_e32 vcc, s48, v4
	s_mov_b64 s[42:43], -1
                                        ; implicit-def: $sgpr50
	s_and_saveexec_b64 s[46:47], vcc
; %bb.946:                              ;   in Loop: Header=BB271_12 Depth=1
	s_mov_b32 s50, 0x7fc02000
	s_xor_b64 s[42:43], exec, -1
; %bb.947:                              ;   in Loop: Header=BB271_12 Depth=1
	s_or_b64 exec, exec, s[46:47]
	s_and_b64 s[42:43], s[42:43], exec
	s_or_saveexec_b64 s[44:45], s[44:45]
	v_mov_b32_e32 v2, s50
	s_xor_b64 exec, exec, s[44:45]
	s_cbranch_execz .LBB271_673
.LBB271_948:                            ;   in Loop: Header=BB271_12 Depth=1
	v_cmp_ne_u16_e32 vcc, 0, v4
	s_andn2_b64 s[42:43], s[42:43], exec
	s_and_b64 vcc, vcc, exec
	v_mov_b32_e32 v2, 0
	s_or_b64 s[42:43], s[42:43], vcc
	s_or_b64 exec, exec, s[44:45]
	s_and_saveexec_b64 s[44:45], s[42:43]
	s_cbranch_execnz .LBB271_674
	s_branch .LBB271_675
.LBB271_949:                            ;   in Loop: Header=BB271_12 Depth=1
	v_cmp_eq_u16_sdwa s[50:51], v18, s48 src0_sel:BYTE_0 src1_sel:DWORD
	s_mov_b64 vcc, -1
                                        ; implicit-def: $sgpr46
	s_and_saveexec_b64 s[44:45], s[50:51]
; %bb.950:                              ;   in Loop: Header=BB271_12 Depth=1
	s_mov_b32 s46, 0x7fc02000
	s_xor_b64 vcc, exec, -1
; %bb.951:                              ;   in Loop: Header=BB271_12 Depth=1
	s_or_b64 exec, exec, s[44:45]
	s_and_b64 vcc, vcc, exec
	s_or_saveexec_b64 s[42:43], s[42:43]
	v_mov_b32_e32 v9, s46
	s_xor_b64 exec, exec, s[42:43]
	s_cbranch_execz .LBB271_677
.LBB271_952:                            ;   in Loop: Header=BB271_12 Depth=1
	v_cmp_ne_u16_sdwa s[44:45], v18, v5 src0_sel:BYTE_0 src1_sel:DWORD
	s_andn2_b64 vcc, vcc, exec
	s_and_b64 s[44:45], s[44:45], exec
	v_mov_b32_e32 v9, 0
	s_or_b64 vcc, vcc, s[44:45]
	s_or_b64 exec, exec, s[42:43]
	s_and_saveexec_b64 s[42:43], vcc
	s_cbranch_execnz .LBB271_678
	s_branch .LBB271_679
.LBB271_953:                            ;   in Loop: Header=BB271_12 Depth=1
	v_cmp_eq_u16_e32 vcc, s48, v4
	s_mov_b64 s[42:43], -1
                                        ; implicit-def: $sgpr50
	s_and_saveexec_b64 s[46:47], vcc
; %bb.954:                              ;   in Loop: Header=BB271_12 Depth=1
	s_mov_b32 s50, 0x7fc02000
	s_xor_b64 s[42:43], exec, -1
; %bb.955:                              ;   in Loop: Header=BB271_12 Depth=1
	s_or_b64 exec, exec, s[46:47]
	s_and_b64 s[42:43], s[42:43], exec
	s_or_saveexec_b64 s[44:45], s[44:45]
	v_mov_b32_e32 v0, s50
	s_xor_b64 exec, exec, s[44:45]
	s_cbranch_execz .LBB271_681
.LBB271_956:                            ;   in Loop: Header=BB271_12 Depth=1
	v_cmp_ne_u16_e32 vcc, 0, v4
	s_andn2_b64 s[42:43], s[42:43], exec
	s_and_b64 vcc, vcc, exec
	v_mov_b32_e32 v0, 0
	s_or_b64 s[42:43], s[42:43], vcc
	s_or_b64 exec, exec, s[44:45]
	s_and_saveexec_b64 s[44:45], s[42:43]
	s_cbranch_execnz .LBB271_682
	s_branch .LBB271_683
.LBB271_957:                            ;   in Loop: Header=BB271_12 Depth=1
	v_cmp_eq_u16_sdwa s[50:51], v4, s48 src0_sel:BYTE_0 src1_sel:DWORD
	s_mov_b64 vcc, -1
                                        ; implicit-def: $sgpr46
	s_and_saveexec_b64 s[44:45], s[50:51]
; %bb.958:                              ;   in Loop: Header=BB271_12 Depth=1
	s_mov_b32 s46, 0x7fc02000
	s_xor_b64 vcc, exec, -1
; %bb.959:                              ;   in Loop: Header=BB271_12 Depth=1
	s_or_b64 exec, exec, s[44:45]
	s_and_b64 vcc, vcc, exec
	s_or_saveexec_b64 s[42:43], s[42:43]
	v_mov_b32_e32 v29, s46
	s_xor_b64 exec, exec, s[42:43]
	s_cbranch_execz .LBB271_685
.LBB271_960:                            ;   in Loop: Header=BB271_12 Depth=1
	v_cmp_ne_u16_sdwa s[44:45], v4, v5 src0_sel:BYTE_0 src1_sel:DWORD
	s_andn2_b64 vcc, vcc, exec
	s_and_b64 s[44:45], s[44:45], exec
	v_mov_b32_e32 v29, 0
	s_or_b64 vcc, vcc, s[44:45]
	s_or_b64 exec, exec, s[42:43]
	s_and_saveexec_b64 s[42:43], vcc
	s_cbranch_execnz .LBB271_686
	s_branch .LBB271_687
.LBB271_961:                            ;   in Loop: Header=BB271_12 Depth=1
	v_cmp_eq_u16_e32 vcc, s48, v4
	s_mov_b64 s[42:43], -1
                                        ; implicit-def: $sgpr50
	s_and_saveexec_b64 s[46:47], vcc
; %bb.962:                              ;   in Loop: Header=BB271_12 Depth=1
	s_mov_b32 s50, 0x7fc02000
	s_xor_b64 s[42:43], exec, -1
; %bb.963:                              ;   in Loop: Header=BB271_12 Depth=1
	s_or_b64 exec, exec, s[46:47]
	s_and_b64 s[42:43], s[42:43], exec
	s_or_saveexec_b64 s[44:45], s[44:45]
	v_mov_b32_e32 v8, s50
	s_xor_b64 exec, exec, s[44:45]
	s_cbranch_execz .LBB271_689
.LBB271_964:                            ;   in Loop: Header=BB271_12 Depth=1
	v_cmp_ne_u16_e32 vcc, 0, v4
	s_andn2_b64 s[42:43], s[42:43], exec
	s_and_b64 vcc, vcc, exec
	v_mov_b32_e32 v8, 0
	s_or_b64 s[42:43], s[42:43], vcc
	s_or_b64 exec, exec, s[44:45]
	s_and_saveexec_b64 s[44:45], s[42:43]
	s_cbranch_execnz .LBB271_690
	s_branch .LBB271_691
.LBB271_965:                            ;   in Loop: Header=BB271_12 Depth=1
	v_cmp_eq_u16_sdwa s[50:51], v18, s48 src0_sel:BYTE_0 src1_sel:DWORD
	s_mov_b64 vcc, -1
                                        ; implicit-def: $sgpr46
	s_and_saveexec_b64 s[44:45], s[50:51]
; %bb.966:                              ;   in Loop: Header=BB271_12 Depth=1
	s_mov_b32 s46, 0x7fc02000
	s_xor_b64 vcc, exec, -1
; %bb.967:                              ;   in Loop: Header=BB271_12 Depth=1
	s_or_b64 exec, exec, s[44:45]
	s_and_b64 vcc, vcc, exec
	s_or_saveexec_b64 s[42:43], s[42:43]
	v_mov_b32_e32 v40, s46
	s_xor_b64 exec, exec, s[42:43]
	s_cbranch_execz .LBB271_693
.LBB271_968:                            ;   in Loop: Header=BB271_12 Depth=1
	v_cmp_ne_u16_sdwa s[44:45], v18, v5 src0_sel:BYTE_0 src1_sel:DWORD
	s_andn2_b64 vcc, vcc, exec
	s_and_b64 s[44:45], s[44:45], exec
	v_mov_b32_e32 v40, 0
	s_or_b64 vcc, vcc, s[44:45]
	s_or_b64 exec, exec, s[42:43]
	s_and_saveexec_b64 s[42:43], vcc
	s_cbranch_execnz .LBB271_694
	s_branch .LBB271_695
.LBB271_969:                            ;   in Loop: Header=BB271_12 Depth=1
	v_cmp_eq_u16_e32 vcc, s48, v4
	s_mov_b64 s[42:43], -1
                                        ; implicit-def: $sgpr50
	s_and_saveexec_b64 s[46:47], vcc
; %bb.970:                              ;   in Loop: Header=BB271_12 Depth=1
	s_mov_b32 s50, 0x7fc02000
	s_xor_b64 s[42:43], exec, -1
; %bb.971:                              ;   in Loop: Header=BB271_12 Depth=1
	s_or_b64 exec, exec, s[46:47]
	s_and_b64 s[42:43], s[42:43], exec
	s_or_saveexec_b64 s[44:45], s[44:45]
	v_mov_b32_e32 v1, s50
	s_xor_b64 exec, exec, s[44:45]
	s_cbranch_execz .LBB271_697
.LBB271_972:                            ;   in Loop: Header=BB271_12 Depth=1
	v_cmp_ne_u16_e32 vcc, 0, v4
	s_andn2_b64 s[42:43], s[42:43], exec
	s_and_b64 vcc, vcc, exec
	v_mov_b32_e32 v1, 0
	s_or_b64 s[42:43], s[42:43], vcc
	s_or_b64 exec, exec, s[44:45]
	s_and_saveexec_b64 s[44:45], s[42:43]
	s_cbranch_execnz .LBB271_698
	s_branch .LBB271_699
.LBB271_973:                            ;   in Loop: Header=BB271_12 Depth=1
	v_cmp_eq_u16_sdwa s[50:51], v4, s48 src0_sel:BYTE_0 src1_sel:DWORD
	s_mov_b64 vcc, -1
                                        ; implicit-def: $sgpr46
	s_and_saveexec_b64 s[44:45], s[50:51]
; %bb.974:                              ;   in Loop: Header=BB271_12 Depth=1
	s_mov_b32 s46, 0x7fc02000
	s_xor_b64 vcc, exec, -1
; %bb.975:                              ;   in Loop: Header=BB271_12 Depth=1
	s_or_b64 exec, exec, s[44:45]
	s_and_b64 vcc, vcc, exec
	s_or_saveexec_b64 s[42:43], s[42:43]
	v_mov_b32_e32 v6, s46
	s_xor_b64 exec, exec, s[42:43]
	s_cbranch_execz .LBB271_701
.LBB271_976:                            ;   in Loop: Header=BB271_12 Depth=1
	v_cmp_ne_u16_sdwa s[44:45], v4, v5 src0_sel:BYTE_0 src1_sel:DWORD
	s_andn2_b64 vcc, vcc, exec
	s_and_b64 s[44:45], s[44:45], exec
	v_mov_b32_e32 v6, 0
	s_or_b64 vcc, vcc, s[44:45]
	s_or_b64 exec, exec, s[42:43]
	s_and_saveexec_b64 s[42:43], vcc
	s_cbranch_execnz .LBB271_702
	s_branch .LBB271_703
.LBB271_977:                            ;   in Loop: Header=BB271_12 Depth=1
	v_cmp_eq_u16_e32 vcc, s48, v4
	s_mov_b64 s[42:43], -1
                                        ; implicit-def: $sgpr50
	s_and_saveexec_b64 s[46:47], vcc
; %bb.978:                              ;   in Loop: Header=BB271_12 Depth=1
	s_mov_b32 s50, 0x7fc02000
	s_xor_b64 s[42:43], exec, -1
; %bb.979:                              ;   in Loop: Header=BB271_12 Depth=1
	s_or_b64 exec, exec, s[46:47]
	s_and_b64 s[42:43], s[42:43], exec
	s_or_saveexec_b64 s[44:45], s[44:45]
	v_mov_b32_e32 v13, s50
	s_xor_b64 exec, exec, s[44:45]
	s_cbranch_execz .LBB271_705
.LBB271_980:                            ;   in Loop: Header=BB271_12 Depth=1
	v_cmp_ne_u16_e32 vcc, 0, v4
	s_andn2_b64 s[42:43], s[42:43], exec
	s_and_b64 vcc, vcc, exec
	v_mov_b32_e32 v13, 0
	s_or_b64 s[42:43], s[42:43], vcc
	s_or_b64 exec, exec, s[44:45]
	s_and_saveexec_b64 s[44:45], s[42:43]
	s_cbranch_execnz .LBB271_706
	s_branch .LBB271_707
.LBB271_981:                            ;   in Loop: Header=BB271_12 Depth=1
	v_cmp_eq_u16_sdwa s[50:51], v18, s48 src0_sel:BYTE_0 src1_sel:DWORD
	s_mov_b64 vcc, -1
                                        ; implicit-def: $sgpr46
	s_and_saveexec_b64 s[44:45], s[50:51]
; %bb.982:                              ;   in Loop: Header=BB271_12 Depth=1
	s_mov_b32 s46, 0x7fc02000
	s_xor_b64 vcc, exec, -1
; %bb.983:                              ;   in Loop: Header=BB271_12 Depth=1
	s_or_b64 exec, exec, s[44:45]
	s_and_b64 vcc, vcc, exec
	s_or_saveexec_b64 s[42:43], s[42:43]
	v_mov_b32_e32 v10, s46
	s_xor_b64 exec, exec, s[42:43]
	s_cbranch_execz .LBB271_709
.LBB271_984:                            ;   in Loop: Header=BB271_12 Depth=1
	v_cmp_ne_u16_sdwa s[44:45], v18, v5 src0_sel:BYTE_0 src1_sel:DWORD
	s_andn2_b64 vcc, vcc, exec
	s_and_b64 s[44:45], s[44:45], exec
	v_mov_b32_e32 v10, 0
	s_or_b64 vcc, vcc, s[44:45]
	s_or_b64 exec, exec, s[42:43]
	s_and_saveexec_b64 s[42:43], vcc
	s_cbranch_execnz .LBB271_710
	s_branch .LBB271_711
.LBB271_985:                            ;   in Loop: Header=BB271_12 Depth=1
	v_cmp_eq_u16_e32 vcc, s48, v4
	s_mov_b64 s[42:43], -1
                                        ; implicit-def: $sgpr50
	s_and_saveexec_b64 s[46:47], vcc
; %bb.986:                              ;   in Loop: Header=BB271_12 Depth=1
	s_mov_b32 s50, 0x7fc02000
	s_xor_b64 s[42:43], exec, -1
; %bb.987:                              ;   in Loop: Header=BB271_12 Depth=1
	s_or_b64 exec, exec, s[46:47]
	s_and_b64 s[42:43], s[42:43], exec
	s_or_saveexec_b64 s[44:45], s[44:45]
	v_mov_b32_e32 v26, s50
	s_xor_b64 exec, exec, s[44:45]
	s_cbranch_execz .LBB271_713
.LBB271_988:                            ;   in Loop: Header=BB271_12 Depth=1
	v_cmp_ne_u16_e32 vcc, 0, v4
	s_andn2_b64 s[42:43], s[42:43], exec
	s_and_b64 vcc, vcc, exec
	v_mov_b32_e32 v26, 0
	s_or_b64 s[42:43], s[42:43], vcc
	s_or_b64 exec, exec, s[44:45]
	s_and_saveexec_b64 s[44:45], s[42:43]
	s_cbranch_execnz .LBB271_714
	s_branch .LBB271_715
.LBB271_989:                            ;   in Loop: Header=BB271_12 Depth=1
	v_cmp_eq_u16_sdwa s[50:51], v4, s48 src0_sel:BYTE_0 src1_sel:DWORD
	s_mov_b64 vcc, -1
                                        ; implicit-def: $sgpr46
	s_and_saveexec_b64 s[44:45], s[50:51]
; %bb.990:                              ;   in Loop: Header=BB271_12 Depth=1
	s_mov_b32 s46, 0x7fc02000
	s_xor_b64 vcc, exec, -1
; %bb.991:                              ;   in Loop: Header=BB271_12 Depth=1
	s_or_b64 exec, exec, s[44:45]
	s_and_b64 vcc, vcc, exec
	s_or_saveexec_b64 s[42:43], s[42:43]
	v_mov_b32_e32 v30, s46
	s_xor_b64 exec, exec, s[42:43]
	s_cbranch_execz .LBB271_717
.LBB271_992:                            ;   in Loop: Header=BB271_12 Depth=1
	v_cmp_ne_u16_sdwa s[44:45], v4, v5 src0_sel:BYTE_0 src1_sel:DWORD
	s_andn2_b64 vcc, vcc, exec
	s_and_b64 s[44:45], s[44:45], exec
	v_mov_b32_e32 v30, 0
	s_or_b64 vcc, vcc, s[44:45]
	s_or_b64 exec, exec, s[42:43]
	s_and_saveexec_b64 s[42:43], vcc
	s_cbranch_execnz .LBB271_718
	s_branch .LBB271_719
.LBB271_993:                            ;   in Loop: Header=BB271_12 Depth=1
	v_cmp_eq_u16_e32 vcc, s48, v4
	s_mov_b64 s[42:43], -1
                                        ; implicit-def: $sgpr50
	s_and_saveexec_b64 s[46:47], vcc
; %bb.994:                              ;   in Loop: Header=BB271_12 Depth=1
	s_mov_b32 s50, 0x7fc02000
	s_xor_b64 s[42:43], exec, -1
; %bb.995:                              ;   in Loop: Header=BB271_12 Depth=1
	s_or_b64 exec, exec, s[46:47]
	s_and_b64 s[42:43], s[42:43], exec
	s_or_saveexec_b64 s[44:45], s[44:45]
	v_mov_b32_e32 v55, s50
	s_xor_b64 exec, exec, s[44:45]
	s_cbranch_execz .LBB271_721
.LBB271_996:                            ;   in Loop: Header=BB271_12 Depth=1
	v_cmp_ne_u16_e32 vcc, 0, v4
	s_andn2_b64 s[42:43], s[42:43], exec
	s_and_b64 vcc, vcc, exec
	v_mov_b32_e32 v55, 0
	s_or_b64 s[42:43], s[42:43], vcc
	s_or_b64 exec, exec, s[44:45]
	s_and_saveexec_b64 s[44:45], s[42:43]
	s_cbranch_execnz .LBB271_722
	s_branch .LBB271_723
.LBB271_997:                            ;   in Loop: Header=BB271_12 Depth=1
	v_cmp_eq_u16_sdwa s[50:51], v18, s48 src0_sel:BYTE_0 src1_sel:DWORD
	s_mov_b64 vcc, -1
                                        ; implicit-def: $sgpr46
	s_and_saveexec_b64 s[44:45], s[50:51]
; %bb.998:                              ;   in Loop: Header=BB271_12 Depth=1
	s_mov_b32 s46, 0x7fc02000
	s_xor_b64 vcc, exec, -1
; %bb.999:                              ;   in Loop: Header=BB271_12 Depth=1
	s_or_b64 exec, exec, s[44:45]
	s_and_b64 vcc, vcc, exec
	s_or_saveexec_b64 s[42:43], s[42:43]
	v_mov_b32_e32 v36, s46
	s_xor_b64 exec, exec, s[42:43]
	s_cbranch_execz .LBB271_725
.LBB271_1000:                           ;   in Loop: Header=BB271_12 Depth=1
	v_cmp_ne_u16_sdwa s[44:45], v18, v5 src0_sel:BYTE_0 src1_sel:DWORD
	s_andn2_b64 vcc, vcc, exec
	s_and_b64 s[44:45], s[44:45], exec
	v_mov_b32_e32 v36, 0
	s_or_b64 vcc, vcc, s[44:45]
	s_or_b64 exec, exec, s[42:43]
	s_and_saveexec_b64 s[42:43], vcc
	s_cbranch_execnz .LBB271_726
	s_branch .LBB271_727
.LBB271_1001:                           ;   in Loop: Header=BB271_12 Depth=1
	v_cmp_eq_u16_e32 vcc, s48, v4
	s_mov_b64 s[42:43], -1
                                        ; implicit-def: $sgpr50
	s_and_saveexec_b64 s[46:47], vcc
; %bb.1002:                             ;   in Loop: Header=BB271_12 Depth=1
	s_mov_b32 s50, 0x7fc02000
	s_xor_b64 s[42:43], exec, -1
; %bb.1003:                             ;   in Loop: Header=BB271_12 Depth=1
	s_or_b64 exec, exec, s[46:47]
	s_and_b64 s[42:43], s[42:43], exec
	s_or_saveexec_b64 s[44:45], s[44:45]
	v_mov_b32_e32 v14, s50
	s_xor_b64 exec, exec, s[44:45]
	s_cbranch_execz .LBB271_729
.LBB271_1004:                           ;   in Loop: Header=BB271_12 Depth=1
	v_cmp_ne_u16_e32 vcc, 0, v4
	s_andn2_b64 s[42:43], s[42:43], exec
	s_and_b64 vcc, vcc, exec
	v_mov_b32_e32 v14, 0
	s_or_b64 s[42:43], s[42:43], vcc
	s_or_b64 exec, exec, s[44:45]
	s_and_saveexec_b64 s[44:45], s[42:43]
	s_cbranch_execnz .LBB271_730
	s_branch .LBB271_731
.LBB271_1005:                           ;   in Loop: Header=BB271_12 Depth=1
	v_cmp_eq_u16_sdwa s[50:51], v4, s48 src0_sel:BYTE_0 src1_sel:DWORD
	s_mov_b64 vcc, -1
                                        ; implicit-def: $sgpr46
	s_and_saveexec_b64 s[44:45], s[50:51]
; %bb.1006:                             ;   in Loop: Header=BB271_12 Depth=1
	s_mov_b32 s46, 0x7fc02000
	s_xor_b64 vcc, exec, -1
; %bb.1007:                             ;   in Loop: Header=BB271_12 Depth=1
	s_or_b64 exec, exec, s[44:45]
	s_and_b64 vcc, vcc, exec
	s_or_saveexec_b64 s[42:43], s[42:43]
	v_mov_b32_e32 v37, s46
	s_xor_b64 exec, exec, s[42:43]
	s_cbranch_execz .LBB271_733
.LBB271_1008:                           ;   in Loop: Header=BB271_12 Depth=1
	v_cmp_ne_u16_sdwa s[44:45], v4, v5 src0_sel:BYTE_0 src1_sel:DWORD
	s_andn2_b64 vcc, vcc, exec
	s_and_b64 s[44:45], s[44:45], exec
	v_mov_b32_e32 v37, 0
	s_or_b64 vcc, vcc, s[44:45]
	s_or_b64 exec, exec, s[42:43]
	s_and_saveexec_b64 s[42:43], vcc
	s_cbranch_execnz .LBB271_734
	s_branch .LBB271_735
.LBB271_1009:                           ;   in Loop: Header=BB271_12 Depth=1
	v_cmp_eq_u16_e32 vcc, s48, v4
	s_mov_b64 s[42:43], -1
                                        ; implicit-def: $sgpr50
	s_and_saveexec_b64 s[46:47], vcc
; %bb.1010:                             ;   in Loop: Header=BB271_12 Depth=1
	s_mov_b32 s50, 0x7fc02000
	s_xor_b64 s[42:43], exec, -1
; %bb.1011:                             ;   in Loop: Header=BB271_12 Depth=1
	s_or_b64 exec, exec, s[46:47]
	s_and_b64 s[42:43], s[42:43], exec
	s_or_saveexec_b64 s[44:45], s[44:45]
	v_mov_b32_e32 v51, s50
	s_xor_b64 exec, exec, s[44:45]
	s_cbranch_execz .LBB271_737
.LBB271_1012:                           ;   in Loop: Header=BB271_12 Depth=1
	v_cmp_ne_u16_e32 vcc, 0, v4
	s_andn2_b64 s[42:43], s[42:43], exec
	s_and_b64 vcc, vcc, exec
	v_mov_b32_e32 v51, 0
	s_or_b64 s[42:43], s[42:43], vcc
	s_or_b64 exec, exec, s[44:45]
	s_and_saveexec_b64 s[44:45], s[42:43]
	s_cbranch_execnz .LBB271_738
	s_branch .LBB271_739
.LBB271_1013:                           ;   in Loop: Header=BB271_12 Depth=1
	v_cmp_eq_u16_sdwa s[50:51], v18, s48 src0_sel:BYTE_0 src1_sel:DWORD
	s_mov_b64 vcc, -1
                                        ; implicit-def: $sgpr46
	s_and_saveexec_b64 s[44:45], s[50:51]
; %bb.1014:                             ;   in Loop: Header=BB271_12 Depth=1
	s_mov_b32 s46, 0x7fc02000
	s_xor_b64 vcc, exec, -1
; %bb.1015:                             ;   in Loop: Header=BB271_12 Depth=1
	s_or_b64 exec, exec, s[44:45]
	s_and_b64 vcc, vcc, exec
	s_or_saveexec_b64 s[42:43], s[42:43]
	v_mov_b32_e32 v53, s46
	s_xor_b64 exec, exec, s[42:43]
	s_cbranch_execz .LBB271_741
.LBB271_1016:                           ;   in Loop: Header=BB271_12 Depth=1
	v_cmp_ne_u16_sdwa s[44:45], v18, v5 src0_sel:BYTE_0 src1_sel:DWORD
	s_andn2_b64 vcc, vcc, exec
	s_and_b64 s[44:45], s[44:45], exec
	v_mov_b32_e32 v53, 0
	s_or_b64 vcc, vcc, s[44:45]
	s_or_b64 exec, exec, s[42:43]
	s_and_saveexec_b64 s[42:43], vcc
	s_cbranch_execnz .LBB271_742
	s_branch .LBB271_743
.LBB271_1017:                           ;   in Loop: Header=BB271_12 Depth=1
	v_cmp_eq_u16_e32 vcc, s48, v4
	s_mov_b64 s[42:43], -1
                                        ; implicit-def: $sgpr50
	s_and_saveexec_b64 s[46:47], vcc
; %bb.1018:                             ;   in Loop: Header=BB271_12 Depth=1
	s_mov_b32 s50, 0x7fc02000
	s_xor_b64 s[42:43], exec, -1
; %bb.1019:                             ;   in Loop: Header=BB271_12 Depth=1
	s_or_b64 exec, exec, s[46:47]
	s_and_b64 s[42:43], s[42:43], exec
	s_or_saveexec_b64 s[44:45], s[44:45]
	v_mov_b32_e32 v43, s50
	s_xor_b64 exec, exec, s[44:45]
	s_cbranch_execz .LBB271_745
.LBB271_1020:                           ;   in Loop: Header=BB271_12 Depth=1
	v_cmp_ne_u16_e32 vcc, 0, v4
	s_andn2_b64 s[42:43], s[42:43], exec
	s_and_b64 vcc, vcc, exec
	v_mov_b32_e32 v43, 0
	s_or_b64 s[42:43], s[42:43], vcc
	s_or_b64 exec, exec, s[44:45]
	s_and_saveexec_b64 s[44:45], s[42:43]
	s_cbranch_execnz .LBB271_746
	s_branch .LBB271_747
.LBB271_1021:                           ;   in Loop: Header=BB271_12 Depth=1
	v_cmp_eq_u16_sdwa s[50:51], v4, s48 src0_sel:BYTE_0 src1_sel:DWORD
	s_mov_b64 vcc, -1
                                        ; implicit-def: $sgpr46
	s_and_saveexec_b64 s[44:45], s[50:51]
; %bb.1022:                             ;   in Loop: Header=BB271_12 Depth=1
	s_mov_b32 s46, 0x7fc02000
	s_xor_b64 vcc, exec, -1
; %bb.1023:                             ;   in Loop: Header=BB271_12 Depth=1
	s_or_b64 exec, exec, s[44:45]
	s_and_b64 vcc, vcc, exec
	s_or_saveexec_b64 s[42:43], s[42:43]
	v_mov_b32_e32 v44, s46
	s_xor_b64 exec, exec, s[42:43]
	s_cbranch_execz .LBB271_749
.LBB271_1024:                           ;   in Loop: Header=BB271_12 Depth=1
	v_cmp_ne_u16_sdwa s[44:45], v4, v5 src0_sel:BYTE_0 src1_sel:DWORD
	s_andn2_b64 vcc, vcc, exec
	s_and_b64 s[44:45], s[44:45], exec
	v_mov_b32_e32 v44, 0
	s_or_b64 vcc, vcc, s[44:45]
	s_or_b64 exec, exec, s[42:43]
	s_and_saveexec_b64 s[42:43], vcc
	s_cbranch_execnz .LBB271_750
	s_branch .LBB271_751
.LBB271_1025:                           ;   in Loop: Header=BB271_12 Depth=1
	v_cmp_eq_u16_e32 vcc, s48, v4
	s_mov_b64 s[42:43], -1
                                        ; implicit-def: $sgpr50
	s_and_saveexec_b64 s[46:47], vcc
; %bb.1026:                             ;   in Loop: Header=BB271_12 Depth=1
	s_mov_b32 s50, 0x7fc02000
	s_xor_b64 s[42:43], exec, -1
; %bb.1027:                             ;   in Loop: Header=BB271_12 Depth=1
	s_or_b64 exec, exec, s[46:47]
	s_and_b64 s[42:43], s[42:43], exec
	s_or_saveexec_b64 s[44:45], s[44:45]
	v_mov_b32_e32 v45, s50
	s_xor_b64 exec, exec, s[44:45]
	s_cbranch_execz .LBB271_753
.LBB271_1028:                           ;   in Loop: Header=BB271_12 Depth=1
	v_cmp_ne_u16_e32 vcc, 0, v4
	s_andn2_b64 s[42:43], s[42:43], exec
	s_and_b64 vcc, vcc, exec
	v_mov_b32_e32 v45, 0
	s_or_b64 s[42:43], s[42:43], vcc
	s_or_b64 exec, exec, s[44:45]
	s_and_saveexec_b64 s[44:45], s[42:43]
	s_cbranch_execnz .LBB271_754
	s_branch .LBB271_755
.LBB271_1029:                           ;   in Loop: Header=BB271_12 Depth=1
	v_cmp_eq_u16_sdwa s[50:51], v18, s48 src0_sel:BYTE_0 src1_sel:DWORD
	s_mov_b64 vcc, -1
                                        ; implicit-def: $sgpr46
	s_and_saveexec_b64 s[44:45], s[50:51]
; %bb.1030:                             ;   in Loop: Header=BB271_12 Depth=1
	s_mov_b32 s46, 0x7fc02000
	s_xor_b64 vcc, exec, -1
; %bb.1031:                             ;   in Loop: Header=BB271_12 Depth=1
	s_or_b64 exec, exec, s[44:45]
	s_and_b64 vcc, vcc, exec
	s_or_saveexec_b64 s[42:43], s[42:43]
	v_mov_b32_e32 v35, s46
	s_xor_b64 exec, exec, s[42:43]
	s_cbranch_execz .LBB271_757
.LBB271_1032:                           ;   in Loop: Header=BB271_12 Depth=1
	v_cmp_ne_u16_sdwa s[44:45], v18, v5 src0_sel:BYTE_0 src1_sel:DWORD
	s_andn2_b64 vcc, vcc, exec
	s_and_b64 s[44:45], s[44:45], exec
	v_mov_b32_e32 v35, 0
	s_or_b64 vcc, vcc, s[44:45]
	s_or_b64 exec, exec, s[42:43]
	s_and_saveexec_b64 s[42:43], vcc
	s_cbranch_execnz .LBB271_758
	s_branch .LBB271_759
.LBB271_1033:                           ;   in Loop: Header=BB271_12 Depth=1
	v_cmp_eq_u16_e32 vcc, s48, v4
	s_mov_b64 s[42:43], -1
                                        ; implicit-def: $sgpr50
	s_and_saveexec_b64 s[46:47], vcc
; %bb.1034:                             ;   in Loop: Header=BB271_12 Depth=1
	s_mov_b32 s50, 0x7fc02000
	s_xor_b64 s[42:43], exec, -1
; %bb.1035:                             ;   in Loop: Header=BB271_12 Depth=1
	s_or_b64 exec, exec, s[46:47]
	s_and_b64 s[42:43], s[42:43], exec
	s_or_saveexec_b64 s[44:45], s[44:45]
	v_mov_b32_e32 v34, s50
	s_xor_b64 exec, exec, s[44:45]
	s_cbranch_execz .LBB271_761
.LBB271_1036:                           ;   in Loop: Header=BB271_12 Depth=1
	v_cmp_ne_u16_e32 vcc, 0, v4
	s_andn2_b64 s[42:43], s[42:43], exec
	s_and_b64 vcc, vcc, exec
	v_mov_b32_e32 v34, 0
	s_or_b64 s[42:43], s[42:43], vcc
	s_or_b64 exec, exec, s[44:45]
	s_and_saveexec_b64 s[44:45], s[42:43]
	s_cbranch_execnz .LBB271_762
	s_branch .LBB271_763
.LBB271_1037:                           ;   in Loop: Header=BB271_12 Depth=1
	v_cmp_eq_u16_sdwa s[50:51], v4, s48 src0_sel:BYTE_0 src1_sel:DWORD
	s_mov_b64 vcc, -1
                                        ; implicit-def: $sgpr46
	s_and_saveexec_b64 s[44:45], s[50:51]
; %bb.1038:                             ;   in Loop: Header=BB271_12 Depth=1
	s_mov_b32 s46, 0x7fc02000
	s_xor_b64 vcc, exec, -1
; %bb.1039:                             ;   in Loop: Header=BB271_12 Depth=1
	s_or_b64 exec, exec, s[44:45]
	s_and_b64 vcc, vcc, exec
	s_or_saveexec_b64 s[42:43], s[42:43]
	v_mov_b32_e32 v41, s46
	s_xor_b64 exec, exec, s[42:43]
	s_cbranch_execz .LBB271_765
.LBB271_1040:                           ;   in Loop: Header=BB271_12 Depth=1
	v_cmp_ne_u16_sdwa s[44:45], v4, v5 src0_sel:BYTE_0 src1_sel:DWORD
	s_andn2_b64 vcc, vcc, exec
	s_and_b64 s[44:45], s[44:45], exec
	v_mov_b32_e32 v41, 0
	s_or_b64 vcc, vcc, s[44:45]
	s_or_b64 exec, exec, s[42:43]
	s_and_saveexec_b64 s[42:43], vcc
	s_cbranch_execnz .LBB271_766
	s_branch .LBB271_767
.LBB271_1041:
	s_or_b64 exec, exec, s[22:23]
	scratch_load_dwordx2 v[22:23], off, s32 offset:712 ; 8-byte Folded Reload
	scratch_load_dword v26, off, s32 offset:708 ; 4-byte Folded Reload
	scratch_load_dwordx2 v[36:37], off, s32 offset:700 ; 8-byte Folded Reload
	scratch_load_dwordx2 v[16:17], off, s32 offset:692 ; 8-byte Folded Reload
	;; [unrolled: 1-line block ×3, first 2 shown]
	scratch_load_dword v18, off, s32 offset:680 ; 4-byte Folded Reload
	scratch_load_dword v19, off, s32 offset:668 ; 4-byte Folded Reload
	scratch_load_dwordx2 v[24:25], off, s32 offset:672 ; 8-byte Folded Reload
	scratch_load_dword v3, off, s32 offset:604 ; 4-byte Folded Reload
.LBB271_1042:
	s_or_b64 exec, exec, s[12:13]
	v_mbcnt_lo_u32_b32 v0, -1, 0
	v_mbcnt_hi_u32_b32 v0, -1, v0
	v_and_b32_e32 v1, 64, v0
	v_add_u32_e32 v7, 64, v1
	v_xor_b32_e32 v1, 32, v0
	v_cmp_lt_i32_e32 vcc, v1, v7
	v_xor_b32_e32 v4, 16, v0
	v_xor_b32_e32 v5, 8, v0
	v_cndmask_b32_e32 v1, v0, v1, vcc
	v_lshlrev_b32_e32 v1, 2, v1
	s_waitcnt vmcnt(0)
	ds_bpermute_b32 v2, v1, v3
	v_max_f32_e32 v3, v3, v3
	v_cmp_lt_i32_e32 vcc, v4, v7
	v_xor_b32_e32 v6, 4, v0
	v_xor_b32_e32 v8, 2, v0
	s_waitcnt lgkmcnt(0)
	v_max_f32_e32 v2, v2, v2
	v_max_f32_e32 v3, v3, v2
	v_cndmask_b32_e32 v2, v0, v4, vcc
	v_lshlrev_b32_e32 v2, 2, v2
	ds_bpermute_b32 v4, v2, v3
	v_cmp_lt_i32_e32 vcc, v5, v7
	s_lshr_b32 s19, s19, 16
	s_waitcnt lgkmcnt(0)
	v_max_f32_e32 v4, v4, v4
	v_max_f32_e32 v4, v3, v4
	v_cndmask_b32_e32 v3, v0, v5, vcc
	v_lshlrev_b32_e32 v3, 2, v3
	ds_bpermute_b32 v5, v3, v4
	v_cmp_lt_i32_e32 vcc, v6, v7
	s_waitcnt lgkmcnt(0)
	v_max_f32_e32 v5, v5, v5
	v_max_f32_e32 v5, v4, v5
	v_cndmask_b32_e32 v4, v0, v6, vcc
	v_lshlrev_b32_e32 v4, 2, v4
	ds_bpermute_b32 v6, v4, v5
	v_cmp_lt_i32_e32 vcc, v8, v7
	s_waitcnt lgkmcnt(0)
	v_max_f32_e32 v6, v6, v6
	v_max_f32_e32 v6, v5, v6
	v_cndmask_b32_e32 v5, v0, v8, vcc
	v_lshlrev_b32_e32 v5, 2, v5
	v_accvgpr_write_b32 a16, v5
	ds_bpermute_b32 v8, v5, v6
	scratch_load_dword v5, off, s32 offset:600 ; 4-byte Folded Reload
	s_waitcnt vmcnt(0)
	v_and_b32_e32 v17, 63, v5
	scratch_load_dword v5, off, s32 offset:208 ; 4-byte Folded Reload
	v_cmp_eq_u32_e32 vcc, 0, v17
	s_waitcnt vmcnt(0)
	v_lshlrev_b32_e32 v5, 2, v5
	s_and_saveexec_b64 s[4:5], vcc
	s_cbranch_execz .LBB271_1044
; %bb.1043:
	s_waitcnt lgkmcnt(0)
	v_max_f32_e32 v8, v8, v8
	v_max_f32_e32 v6, v6, v6
	;; [unrolled: 1-line block ×3, first 2 shown]
	ds_write_b32 v5, v6 offset:512
.LBB271_1044:
	s_or_b64 exec, exec, s[4:5]
	v_cmp_gt_u32_e64 s[4:5], 2, v17
	s_waitcnt lgkmcnt(0)
	v_mov_b32_e32 v8, 0xff7fffff
	v_lshlrev_b32_e32 v6, 2, v17
	s_barrier
	s_and_saveexec_b64 s[6:7], s[4:5]
	s_cbranch_execz .LBB271_1046
; %bb.1045:
	ds_read_b32 v8, v6 offset:512
.LBB271_1046:
	s_or_b64 exec, exec, s[6:7]
	v_xor_b32_e32 v9, 1, v0
	v_cmp_lt_i32_e64 s[6:7], v9, v7
	s_nop 1
	v_cndmask_b32_e64 v7, v0, v9, s[6:7]
	v_lshlrev_b32_e32 v11, 2, v7
	s_waitcnt lgkmcnt(0)
	ds_bpermute_b32 v7, v11, v8
	v_max_f32_e32 v8, v8, v8
	v_lshlrev_b32_e32 v0, 2, v0
	scratch_load_dword v9, off, s32 offset:600 ; 4-byte Folded Reload
	scratch_load_dwordx2 v[12:13], off, s32 offset:196 ; 8-byte Folded Reload
	s_waitcnt lgkmcnt(0)
	v_max_f32_e32 v7, v7, v7
	v_max_f32_e32 v8, v8, v7
	v_and_b32_e32 v7, 0x100, v0
	scratch_load_dword v0, off, s32 offset:224 ; 4-byte Folded Reload
	ds_bpermute_b32 v8, v7, v8
	s_waitcnt vmcnt(0)
	v_lshlrev_b32_e32 v0, 5, v0
	v_min_i32_e32 v0, v0, v12
	v_cmp_lt_i32_e64 s[6:7], v9, v0
	v_mov_b32_e32 v9, 0
	s_and_saveexec_b64 s[12:13], s[6:7]
	s_cbranch_execz .LBB271_1050
; %bb.1047:
	v_mov_b32_e32 v13, v11
	scratch_load_dword v11, off, s32 offset:600 ; 4-byte Folded Reload
	s_ashr_i32 s17, s16, 31
	s_lshl_b64 s[8:9], s[16:17], 2
	s_getpc_b64 s[20:21]
	s_add_u32 s20, s20, llvm.amdgcn.dynlds.offset.table@rel32@lo+4
	s_addc_u32 s21, s21, llvm.amdgcn.dynlds.offset.table@rel32@hi+12
	s_add_u32 s8, s8, s20
	s_addc_u32 s9, s9, s21
	s_load_dword s8, s[8:9], 0x0
	s_mov_b64 s[20:21], 0
	v_mov_b32_e32 v9, 0
	s_waitcnt vmcnt(0) lgkmcnt(0)
	v_lshl_add_u32 v10, v11, 2, s8
.LBB271_1048:                           ; =>This Inner Loop Header: Depth=1
	ds_read_b32 v12, v10
	v_add_u32_e32 v11, 0x80, v11
	v_cmp_ge_i32_e64 s[8:9], v11, v0
	s_or_b64 s[20:21], s[8:9], s[20:21]
	s_waitcnt lgkmcnt(0)
	v_sub_f32_e32 v12, v12, v8
	v_mul_f32_e32 v12, 0x3fb8aa3b, v12
	v_exp_f32_e32 v12, v12
	ds_write_b32 v10, v12
	v_add_f32_e32 v9, v9, v12
	v_add_u32_e32 v10, 0x200, v10
	s_andn2_b64 exec, exec, s[20:21]
	s_cbranch_execnz .LBB271_1048
; %bb.1049:
	s_or_b64 exec, exec, s[20:21]
	v_mov_b32_e32 v11, v13
.LBB271_1050:
	s_or_b64 exec, exec, s[12:13]
	ds_bpermute_b32 v1, v1, v9
	s_waitcnt lgkmcnt(0)
	v_add_f32_e32 v1, v9, v1
	ds_bpermute_b32 v2, v2, v1
	s_waitcnt lgkmcnt(0)
	v_add_f32_e32 v1, v1, v2
	;; [unrolled: 3-line block ×4, first 2 shown]
	v_accvgpr_read_b32 v2, a16
	ds_bpermute_b32 v2, v2, v1
	s_waitcnt lgkmcnt(0)
	v_add_f32_e32 v1, v1, v2
	ds_bpermute_b32 v2, v11, v1
	s_waitcnt lgkmcnt(0)
	v_add_f32_e32 v1, v1, v2
	s_and_saveexec_b64 s[8:9], vcc
	s_cbranch_execz .LBB271_1052
; %bb.1051:
	ds_write_b32 v5, v1 offset:520
.LBB271_1052:
	s_or_b64 exec, exec, s[8:9]
	s_waitcnt lgkmcnt(0)
	s_barrier
	s_and_saveexec_b64 s[8:9], s[4:5]
	s_cbranch_execz .LBB271_1054
; %bb.1053:
	ds_read_b32 v1, v6 offset:520
.LBB271_1054:
	s_or_b64 exec, exec, s[8:9]
	s_waitcnt lgkmcnt(0)
	ds_bpermute_b32 v2, v11, v1
	s_waitcnt lgkmcnt(0)
	v_add_f32_e32 v1, v1, v2
	ds_bpermute_b32 v1, v7, v1
	s_and_saveexec_b64 s[4:5], s[6:7]
	s_cbranch_execz .LBB271_1067
; %bb.1055:
	s_waitcnt lgkmcnt(0)
	v_add_f32_e32 v1, 0x358637bd, v1
	v_div_scale_f32 v2, s[6:7], v1, v1, 1.0
	v_rcp_f32_e32 v3, v2
	v_div_scale_f32 v4, vcc, 1.0, v1, 1.0
	s_movk_i32 s6, 0x7f
	v_fma_f32 v5, -v2, v3, 1.0
	v_fmac_f32_e32 v3, v5, v3
	v_mul_f32_e32 v5, v4, v3
	v_fma_f32 v6, -v2, v5, v4
	v_fmac_f32_e32 v5, v6, v3
	v_fma_f32 v2, -v2, v5, v4
	v_div_fmas_f32 v2, v2, v3, v5
	v_div_fixup_f32 v4, v2, v1, 1.0
	scratch_load_dword v1, off, s32 offset:600 ; 4-byte Folded Reload
	s_mov_b64 s[8:9], -1
	s_waitcnt vmcnt(0)
	v_xad_u32 v2, v1, -1, v0
	v_cmp_lt_u32_e32 vcc, s6, v2
	s_and_saveexec_b64 s[6:7], vcc
	s_cbranch_execz .LBB271_1064
; %bb.1056:
	v_lshrrev_b32_e32 v1, 7, v2
	v_add_u32_e32 v3, -1, v1
	v_lshrrev_b32_e32 v2, 1, v3
	v_mov_b32_e32 v5, v4
	v_add_u32_e32 v2, 1, v2
	v_cmp_lt_u32_e32 vcc, 13, v3
	v_mov_b32_e32 v7, 0
	s_and_saveexec_b64 s[8:9], vcc
	s_cbranch_execz .LBB271_1060
; %bb.1057:
	scratch_load_dword v6, off, s32 offset:600 ; 4-byte Folded Reload
	s_ashr_i32 s17, s16, 31
	s_lshl_b64 s[12:13], s[16:17], 2
	s_getpc_b64 s[20:21]
	s_add_u32 s20, s20, llvm.amdgcn.dynlds.offset.table@rel32@lo+4
	s_addc_u32 s21, s21, llvm.amdgcn.dynlds.offset.table@rel32@hi+12
	s_add_u32 s12, s12, s20
	s_addc_u32 s13, s13, s21
	s_load_dword s12, s[12:13], 0x0
	v_mov_b32_e32 v20, v11
	v_and_b32_e32 v3, -8, v2
	s_mov_b32 s17, 0
	s_waitcnt vmcnt(0) lgkmcnt(0)
	v_lshl_add_u32 v6, v6, 2, s12
	s_mov_b64 s[12:13], 0
.LBB271_1058:                           ; =>This Inner Loop Header: Depth=1
	ds_read2st64_b32 v[8:9], v6 offset1:2
	ds_read2st64_b32 v[10:11], v6 offset0:4 offset1:6
	ds_read2st64_b32 v[12:13], v6 offset0:8 offset1:10
	;; [unrolled: 1-line block ×3, first 2 shown]
	v_add_u32_e32 v3, -8, v3
	s_waitcnt lgkmcnt(3)
	v_pk_mul_f32 v[8:9], v[4:5], v[8:9]
	s_waitcnt lgkmcnt(2)
	v_pk_mul_f32 v[10:11], v[4:5], v[10:11]
	ds_write2st64_b32 v6, v8, v9 offset1:2
	ds_write2st64_b32 v6, v10, v11 offset0:4 offset1:6
	ds_read2st64_b32 v[10:11], v6 offset0:16 offset1:18
	s_waitcnt lgkmcnt(4)
	v_pk_mul_f32 v[8:9], v[4:5], v[12:13]
	ds_write2st64_b32 v6, v8, v9 offset0:8 offset1:10
	s_waitcnt lgkmcnt(4)
	v_pk_mul_f32 v[8:9], v[4:5], v[14:15]
	ds_write2st64_b32 v6, v8, v9 offset0:12 offset1:14
	ds_read2st64_b32 v[8:9], v6 offset0:20 offset1:22
	s_waitcnt lgkmcnt(3)
	v_pk_mul_f32 v[10:11], v[4:5], v[10:11]
	ds_read2st64_b32 v[12:13], v6 offset0:24 offset1:26
	ds_write2st64_b32 v6, v10, v11 offset0:16 offset1:18
	ds_read2st64_b32 v[10:11], v6 offset0:28 offset1:30
	s_waitcnt lgkmcnt(3)
	v_pk_mul_f32 v[8:9], v[4:5], v[8:9]
	ds_write2st64_b32 v6, v8, v9 offset0:20 offset1:22
	s_waitcnt lgkmcnt(3)
	v_pk_mul_f32 v[8:9], v[4:5], v[12:13]
	ds_write2st64_b32 v6, v8, v9 offset0:24 offset1:26
	s_waitcnt lgkmcnt(2)
	v_pk_mul_f32 v[8:9], v[4:5], v[10:11]
	s_add_i32 s17, s17, 16
	v_cmp_eq_u32_e32 vcc, 0, v3
	ds_write2st64_b32 v6, v8, v9 offset0:28 offset1:30
	v_add_u32_e32 v6, 0x2000, v6
	s_or_b64 s[12:13], vcc, s[12:13]
	v_mov_b32_e32 v7, s17
	s_andn2_b64 exec, exec, s[12:13]
	s_cbranch_execnz .LBB271_1058
; %bb.1059:
	s_or_b64 exec, exec, s[12:13]
	v_mov_b32_e32 v11, v20
.LBB271_1060:
	s_or_b64 exec, exec, s[8:9]
	v_and_b32_e32 v2, 7, v2
	v_cmp_ne_u32_e32 vcc, 0, v2
	s_and_saveexec_b64 s[8:9], vcc
	s_cbranch_execz .LBB271_1063
; %bb.1061:
	scratch_load_dword v6, off, s32 offset:600 ; 4-byte Folded Reload
	s_ashr_i32 s17, s16, 31
	s_lshl_b64 s[12:13], s[16:17], 2
	s_getpc_b64 s[20:21]
	s_add_u32 s20, s20, llvm.amdgcn.dynlds.offset.table@rel32@lo+4
	s_addc_u32 s21, s21, llvm.amdgcn.dynlds.offset.table@rel32@hi+12
	s_add_u32 s12, s12, s20
	s_addc_u32 s13, s13, s21
	s_load_dword s12, s[12:13], 0x0
	v_lshlrev_b32_e32 v3, 9, v7
	s_waitcnt vmcnt(0)
	v_lshlrev_b32_e32 v6, 2, v6
	s_waitcnt lgkmcnt(0)
	v_add3_u32 v3, v3, v6, s12
	s_mov_b64 s[12:13], 0
.LBB271_1062:                           ; =>This Inner Loop Header: Depth=1
	ds_read2st64_b32 v[6:7], v3 offset1:2
	v_add_u32_e32 v2, -1, v2
	v_cmp_eq_u32_e32 vcc, 0, v2
	s_or_b64 s[12:13], vcc, s[12:13]
	s_waitcnt lgkmcnt(0)
	v_pk_mul_f32 v[6:7], v[4:5], v[6:7]
	ds_write2st64_b32 v3, v6, v7 offset1:2
	v_add_u32_e32 v3, 0x400, v3
	s_andn2_b64 exec, exec, s[12:13]
	s_cbranch_execnz .LBB271_1062
.LBB271_1063:
	s_or_b64 exec, exec, s[8:9]
	v_add_u32_e32 v2, 1, v1
	scratch_load_dword v1, off, s32 offset:600 ; 4-byte Folded Reload
	v_and_b32_e32 v3, 0x3fffffe, v2
	v_cmp_ne_u32_e32 vcc, v2, v3
	s_orn2_b64 s[8:9], vcc, exec
	s_waitcnt vmcnt(0)
	v_lshl_add_u32 v1, v3, 7, v1
.LBB271_1064:
	s_or_b64 exec, exec, s[6:7]
	s_and_b64 exec, exec, s[8:9]
	s_cbranch_execz .LBB271_1067
; %bb.1065:
	s_ashr_i32 s17, s16, 31
	s_lshl_b64 s[6:7], s[16:17], 2
	s_getpc_b64 s[8:9]
	s_add_u32 s8, s8, llvm.amdgcn.dynlds.offset.table@rel32@lo+4
	s_addc_u32 s9, s9, llvm.amdgcn.dynlds.offset.table@rel32@hi+12
	s_add_u32 s6, s6, s8
	s_addc_u32 s7, s7, s9
	s_load_dword s6, s[6:7], 0x0
	s_waitcnt lgkmcnt(0)
	v_lshl_add_u32 v2, v1, 2, s6
	s_mov_b64 s[6:7], 0
.LBB271_1066:                           ; =>This Inner Loop Header: Depth=1
	ds_read_b32 v3, v2
	v_add_u32_e32 v1, 0x80, v1
	v_cmp_ge_i32_e32 vcc, v1, v0
	s_or_b64 s[6:7], vcc, s[6:7]
	s_waitcnt lgkmcnt(0)
	v_mul_f32_e32 v3, v4, v3
	ds_write_b32 v2, v3
	v_add_u32_e32 v2, 0x200, v2
	s_andn2_b64 exec, exec, s[6:7]
	s_cbranch_execnz .LBB271_1066
.LBB271_1067:
	s_or_b64 exec, exec, s[4:5]
	s_waitcnt lgkmcnt(0)
	s_barrier
	scratch_load_dword v0, off, s32 offset:600 ; 4-byte Folded Reload
	v_accvgpr_write_b32 a15, v17
	v_mov_b32_e32 v52, 0
	v_mov_b32_e32 v53, 0
	;; [unrolled: 1-line block ×16, first 2 shown]
	s_waitcnt vmcnt(0)
	v_and_b32_e32 v0, 3, v0
	v_accvgpr_write_b32 a18, v0
	s_and_saveexec_b64 s[4:5], s[2:3]
	s_cbranch_execz .LBB271_2129
; %bb.1068:
	v_and_b32_e32 v0, 24, v16
	v_accvgpr_write_b32 a19, v0
	v_lshl_add_u64 v[0:1], v[36:37], 0, v[24:25]
	v_accvgpr_write_b32 a21, v1
	v_accvgpr_write_b32 a20, v0
	scratch_load_dword v0, off, s32 offset:224 ; 4-byte Folded Reload
	v_mov_b32_e32 v17, 0
	v_and_b32_e32 v2, 0x1f8, v16
	v_mov_b32_e32 v1, v17
	v_mov_b32_e32 v3, v17
	;; [unrolled: 1-line block ×3, first 2 shown]
	v_or_b32_e32 v4, 0x1800, v2
	v_accvgpr_write_b32 a35, v5
	v_accvgpr_write_b32 a25, v3
	;; [unrolled: 1-line block ×3, first 2 shown]
	v_or_b32_e32 v4, 0x1a00, v2
	v_accvgpr_write_b32 a24, v2
	v_max_i32_e32 v6, v26, v19
	s_ashr_i32 s17, s16, 31
	s_lshl_b64 s[2:3], s[16:17], 2
	s_getpc_b64 s[6:7]
	s_add_u32 s6, s6, llvm.amdgcn.dynlds.offset.table@rel32@lo+4
	s_addc_u32 s7, s7, llvm.amdgcn.dynlds.offset.table@rel32@hi+12
	v_accvgpr_write_b32 a37, v5
	s_add_u32 s6, s2, s6
	v_accvgpr_write_b32 a17, v11
	v_accvgpr_write_b32 a36, v4
	s_addc_u32 s7, s3, s7
	s_mov_b64 s[8:9], 0
	s_movk_i32 s17, 0x7f
	s_movk_i32 s26, 0x80
	s_mov_b32 s27, 0x8000
	s_movk_i32 s28, 0x380
	s_mov_b32 s29, 0x3020706
	s_mov_b32 s30, 0x1000504
	;; [unrolled: 1-line block ×3, first 2 shown]
	v_mov_b32_e32 v5, 0
	v_mov_b32_e32 v4, 0
	;; [unrolled: 1-line block ×16, first 2 shown]
	s_waitcnt vmcnt(0)
	v_add_u32_e32 v0, -1, v0
	v_accvgpr_write_b32 a22, v0
	v_or_b32_e32 v0, 0x1000, v2
	v_accvgpr_write_b32 a27, v1
	v_accvgpr_write_b32 a26, v0
	v_or_b32_e32 v0, 0x1200, v2
	v_accvgpr_write_b32 a29, v1
	v_accvgpr_write_b32 a28, v0
	v_or_b32_e32 v0, 0x1400, v2
	v_accvgpr_write_b32 a31, v1
	v_accvgpr_write_b32 a30, v0
	v_or_b32_e32 v0, 0x1600, v2
	v_or_b32_e32 v2, 0x1c00, v2
	v_accvgpr_write_b32 a39, v3
	v_accvgpr_write_b32 a38, v2
	v_or_b32_e32 v2, 0x1e00, v16
	v_accvgpr_write_b32 a41, v3
	v_accvgpr_write_b32 a40, v2
	scratch_load_dwordx2 v[2:3], off, s32 offset:196 ; 8-byte Folded Reload
	v_accvgpr_write_b32 a33, v1
	v_accvgpr_write_b32 a32, v0
	v_cvt_f32_u32_e32 v0, v6
	v_sub_u32_e32 v1, 0, v6
	v_and_b32_e32 v16, 60, v18
	v_mov_b32_e32 v18, 0x1c00
	v_rcp_iflag_f32_e32 v0, v0
	s_nop 0
	v_mul_f32_e32 v0, 0x4f7ffffe, v0
	v_cvt_u32_f32_e32 v0, v0
	v_mul_lo_u32 v1, v1, v0
	v_mul_hi_u32 v1, v0, v1
	v_add_u32_e32 v0, v0, v1
	scratch_load_dword v1, off, s32 offset:208 ; 4-byte Folded Reload
	v_accvgpr_write_b32 a42, v0
	v_accvgpr_read_b32 v0, a18
	v_lshlrev_b32_e32 v0, 5, v0
	s_waitcnt vmcnt(1)
	v_mov_b32_e32 v3, v2
	scratch_load_dword v2, off, s32 offset:656 ; 4-byte Folded Reload
	s_waitcnt vmcnt(1)
	v_lshl_or_b32 v7, v1, 7, v0
	v_lshl_add_u64 v[0:1], v[38:39], 2, v[16:17]
	v_lshl_add_u64 v[10:11], v[22:23], 0, v[0:1]
	s_branch .LBB271_1071
.LBB271_1069:                           ;   in Loop: Header=BB271_1071 Depth=1
	s_or_b64 exec, exec, s[2:3]
	v_add_f32_e32 v0, v0, v22
	v_add_f32_e32 v9, v9, v0
	;; [unrolled: 1-line block ×12, first 2 shown]
	v_accvgpr_read_b32 v0, a56
	v_accvgpr_read_b32 v1, a57
	v_add_f32_e32 v0, v0, v1
	v_add_f32_e32 v31, v31, v0
	v_accvgpr_read_b32 v0, a54
	v_accvgpr_read_b32 v1, a55
	v_add_f32_e32 v0, v0, v1
	v_add_f32_e32 v30, v30, v0
	;; [unrolled: 4-line block ×8, first 2 shown]
	v_add_f32_e32 v52, v52, v0
	;;#ASMSTART
	v_pk_mul_f16 v0, v51, v44;

	;;#ASMEND
	v_add_f32_e32 v4, v4, v12
	;;#ASMSTART
	v_pk_mul_f16 v1, v50, v16;

	;;#ASMEND
	;;#ASMSTART
	v_pk_mul_f16 v2, v48, v15;

	;;#ASMEND
	;; [unrolled: 4-line block ×3, first 2 shown]
	s_nop 0
	;;#ASMSTART
	v_pk_add_f16 v0, v0, v1;

	;;#ASMEND
	s_nop 0
	;;#ASMSTART
	v_pk_add_f16 v0, v0, v2;

	;;#ASMEND
	;; [unrolled: 5-line block ×3, first 2 shown]
	s_nop 0
	v_lshrrev_b32_e32 v1, 16, v0
	v_and_b32_e32 v0, 0xffff, v0
	;;#ASMSTART
	v_cvt_f32_f16 v0, v0;
	;;#ASMEND
	;;#ASMSTART
	v_cvt_f32_f16 v1, v1;
	;;#ASMEND
	s_nop 0
	v_add_f32_e32 v0, v0, v1
	v_add_f32_e32 v5, v5, v0
.LBB271_1070:                           ;   in Loop: Header=BB271_1071 Depth=1
	s_or_b64 exec, exec, s[12:13]
	scratch_load_dword v1, off, s32 offset:208 ; 4-byte Folded Reload
	scratch_load_dword v0, off, s32 offset:224 ; 4-byte Folded Reload
	v_accvgpr_read_b32 v2, a14
	v_add_u32_e32 v2, 64, v2
	v_add_u32_e32 v7, 0x100, v7
	v_lshl_add_u64 v[10:11], v[10:11], 0, 8
	s_waitcnt vmcnt(1)
	v_add_u32_e32 v1, 2, v1
	s_waitcnt vmcnt(0)
	v_cmp_ge_i32_e32 vcc, v1, v0
	s_or_b64 s[8:9], vcc, s[8:9]
	scratch_store_dword off, v1, s32 offset:208 ; 4-byte Folded Spill
	s_andn2_b64 exec, exec, s[8:9]
	s_cbranch_execz .LBB271_2128
.LBB271_1071:                           ; =>This Inner Loop Header: Depth=1
	scratch_load_dword v0, off, s32 offset:244 ; 4-byte Folded Reload
	scratch_load_dword v12, off, s32 offset:228 ; 4-byte Folded Reload
	s_waitcnt vmcnt(2)
	v_accvgpr_write_b32 a14, v2
	s_waitcnt vmcnt(1)
	v_mul_hi_u32 v0, v2, v0
	s_waitcnt vmcnt(0)
	v_mul_lo_u32 v1, v0, v12
	v_sub_u32_e32 v1, v2, v1
	v_add_u32_e32 v2, 1, v0
	v_cmp_ge_u32_e32 vcc, v1, v12
	s_nop 1
	v_cndmask_b32_e32 v0, v0, v2, vcc
	v_sub_u32_e32 v2, v1, v12
	v_cndmask_b32_e32 v1, v1, v2, vcc
	v_cmp_ge_u32_e32 vcc, v1, v12
	scratch_load_dword v1, off, s32 offset:232 ; 4-byte Folded Reload
	scratch_load_dwordx2 v[12:13], off, s32 offset:236 ; 8-byte Folded Reload
	v_add_u32_e32 v2, 1, v0
	v_cndmask_b32_e32 v0, v0, v2, vcc
	s_waitcnt vmcnt(1)
	v_xor_b32_e32 v0, v0, v1
	v_sub_u32_e32 v0, v0, v1
	s_waitcnt vmcnt(0)
	v_add_u32_e32 v1, v0, v12
	v_sub_u32_e32 v12, 0, v1
	v_ashrrev_i32_e32 v2, 31, v1
	v_max_i32_e32 v1, v1, v12
	v_accvgpr_read_b32 v12, a42
	v_mul_hi_u32 v12, v1, v12
	v_mul_lo_u32 v12, v12, v6
	v_sub_u32_e32 v1, v1, v12
	v_sub_u32_e32 v12, v1, v6
	v_cmp_ge_u32_e32 vcc, v1, v6
	s_nop 1
	v_cndmask_b32_e32 v1, v1, v12, vcc
	v_sub_u32_e32 v12, v1, v6
	v_cmp_ge_u32_e32 vcc, v1, v6
	s_nop 1
	v_cndmask_b32_e32 v1, v1, v12, vcc
	v_xor_b32_e32 v1, v1, v2
	v_sub_u32_e32 v1, v1, v2
	v_cmp_eq_u32_e32 vcc, 0, v1
	scratch_load_dword v1, off, s32 offset:248 ; 4-byte Folded Reload
	s_waitcnt vmcnt(0)
	v_cmp_gt_i32_e64 s[2:3], v0, v1
	s_or_b64 s[2:3], vcc, s[2:3]
	s_and_saveexec_b64 s[12:13], s[2:3]
	s_cbranch_execz .LBB271_1070
; %bb.1072:                             ;   in Loop: Header=BB271_1071 Depth=1
	s_load_dword s2, s[6:7], 0x0
	v_accvgpr_read_b32 v27, a21
	v_accvgpr_read_b32 v26, a20
                                        ; implicit-def: $sgpr24
	s_waitcnt lgkmcnt(0)
	v_add_u32_e32 v0, s2, v7
	ds_read2_b64 v[12:15], v0 offset1:1
	ds_read2_b64 v[22:25], v0 offset0:2 offset1:3
	s_waitcnt lgkmcnt(1)
	;;#ASMSTART
	v_cvt_f16_f32 v0, v12;

	;;#ASMEND
	;;#ASMSTART
	v_cvt_f16_f32 v1, v13;

	;;#ASMEND
	;;#ASMSTART
	v_cvt_f16_f32 v2, v14;

	;;#ASMEND
	;;#ASMSTART
	v_cvt_f16_f32 v12, v15;

	;;#ASMEND
	s_waitcnt lgkmcnt(0)
	;;#ASMSTART
	v_cvt_f16_f32 v13, v22;

	;;#ASMEND
	;;#ASMSTART
	v_cvt_f16_f32 v22, v23;

	;;#ASMEND
	;; [unrolled: 4-line block ×4, first 2 shown]
	flat_load_dword v14, v[10:11]
	scratch_load_dwordx2 v[36:37], off, s32 offset:500 ; 8-byte Folded Reload
	s_waitcnt vmcnt(0) lgkmcnt(0)
	v_mad_i64_i32 v[14:15], s[2:3], v14, v36, v[26:27]
	v_accvgpr_read_b32 v27, a25
	v_accvgpr_read_b32 v26, a24
	v_lshl_add_u64 v[46:47], v[14:15], 0, v[26:27]
	flat_load_dwordx2 v[58:59], v[46:47]
	scratch_load_dwordx2 v[26:27], off, s32 offset:188 ; 8-byte Folded Reload
	s_mov_b64 s[2:3], 0
	s_waitcnt vmcnt(0) lgkmcnt(0)
	v_cmp_gt_i16_sdwa s[20:21], v58, s17 src0_sel:BYTE_0 src1_sel:DWORD
	flat_load_dword v56, v[26:27]
	s_and_saveexec_b64 s[22:23], s[20:21]
	s_xor_b64 s[20:21], exec, s[22:23]
	s_cbranch_execnz .LBB271_1616
; %bb.1073:                             ;   in Loop: Header=BB271_1071 Depth=1
	s_or_saveexec_b64 s[20:21], s[20:21]
	v_mov_b32_e32 v60, s24
	s_xor_b64 exec, exec, s[20:21]
	s_cbranch_execnz .LBB271_1619
.LBB271_1074:                           ;   in Loop: Header=BB271_1071 Depth=1
	s_or_b64 exec, exec, s[20:21]
	s_and_saveexec_b64 s[20:21], s[2:3]
	s_cbranch_execz .LBB271_1076
.LBB271_1075:                           ;   in Loop: Header=BB271_1071 Depth=1
	v_and_b32_e32 v16, 7, v58
	v_ffbh_u32_e32 v16, v16
	v_bfe_u32 v19, v58, 3, 4
	v_min_u32_e32 v16, 32, v16
	v_subrev_u32_e32 v25, 28, v16
	v_sub_u32_e32 v16, 29, v16
	v_cmp_eq_u32_e32 vcc, 0, v19
	s_nop 1
	v_cndmask_b32_e32 v16, v19, v16, vcc
	v_cndmask_b32_e32 v19, 0, v25, vcc
	v_lshlrev_b64 v[26:27], v19, v[58:59]
	v_lshlrev_b32_e32 v25, 8, v58
	v_lshl_add_u32 v16, v16, 10, v18
	v_lshlrev_b32_e32 v19, 7, v26
	v_and_or_b32 v16, v25, s27, v16
	v_and_or_b32 v16, v19, s28, v16
	v_cvt_f32_f16_e32 v60, v16
.LBB271_1076:                           ;   in Loop: Header=BB271_1071 Depth=1
	s_or_b64 exec, exec, s[20:21]
	v_lshrrev_b16_e32 v16, 8, v58
	v_cmp_lt_i16_e32 vcc, s17, v16
	s_mov_b64 s[2:3], 0
                                        ; implicit-def: $sgpr24
	s_and_saveexec_b64 s[20:21], vcc
	s_xor_b64 s[20:21], exec, s[20:21]
	s_cbranch_execnz .LBB271_1620
; %bb.1077:                             ;   in Loop: Header=BB271_1071 Depth=1
	s_or_saveexec_b64 s[20:21], s[20:21]
	v_mov_b32_e32 v44, s24
	s_xor_b64 exec, exec, s[20:21]
	s_cbranch_execnz .LBB271_1623
.LBB271_1078:                           ;   in Loop: Header=BB271_1071 Depth=1
	s_or_b64 exec, exec, s[20:21]
	s_and_saveexec_b64 s[20:21], s[2:3]
	s_cbranch_execz .LBB271_1080
.LBB271_1079:                           ;   in Loop: Header=BB271_1071 Depth=1
	v_and_b32_e32 v19, 7, v16
	v_ffbh_u32_e32 v26, v19
	v_min_u32_e32 v36, 32, v26
	v_subrev_u32_e32 v26, 28, v36
	v_bfe_u32 v25, v16, 3, 4
	v_lshlrev_b64 v[26:27], v26, v[16:17]
	v_sub_u32_e32 v27, 29, v36
	v_cmp_eq_u32_e32 vcc, 0, v25
	v_and_b32_e32 v26, 7, v26
	v_lshlrev_b32_e32 v16, 8, v16
	v_cndmask_b32_e32 v25, v25, v27, vcc
	v_lshl_add_u32 v25, v25, 10, v18
	v_cndmask_b32_e32 v19, v19, v26, vcc
	v_and_or_b32 v16, v16, s27, v25
	v_lshl_or_b32 v16, v19, 7, v16
	v_cvt_f32_f16_e32 v44, v16
.LBB271_1080:                           ;   in Loop: Header=BB271_1071 Depth=1
	s_or_b64 exec, exec, s[20:21]
	v_lshrrev_b32_e32 v16, 16, v58
	v_cmp_gt_i16_sdwa s[20:21], v16, s17 src0_sel:BYTE_0 src1_sel:DWORD
	s_mov_b64 s[2:3], 0
                                        ; implicit-def: $sgpr24
	s_and_saveexec_b64 s[22:23], s[20:21]
	s_xor_b64 s[20:21], exec, s[22:23]
	s_cbranch_execnz .LBB271_1624
; %bb.1081:                             ;   in Loop: Header=BB271_1071 Depth=1
	s_or_saveexec_b64 s[20:21], s[20:21]
	v_mov_b32_e32 v61, s24
	s_xor_b64 exec, exec, s[20:21]
	s_cbranch_execnz .LBB271_1627
.LBB271_1082:                           ;   in Loop: Header=BB271_1071 Depth=1
	s_or_b64 exec, exec, s[20:21]
	s_and_saveexec_b64 s[20:21], s[2:3]
	s_cbranch_execz .LBB271_1084
.LBB271_1083:                           ;   in Loop: Header=BB271_1071 Depth=1
	v_bfe_u32 v19, v58, 16, 3
	v_ffbh_u32_e32 v26, v19
	v_min_u32_e32 v36, 32, v26
	v_subrev_u32_e32 v26, 28, v36
	v_bfe_u32 v25, v58, 19, 4
	v_lshlrev_b64 v[26:27], v26, v[16:17]
	v_sub_u32_e32 v27, 29, v36
	v_cmp_eq_u32_e32 vcc, 0, v25
	v_and_b32_e32 v26, 7, v26
	v_lshlrev_b32_e32 v16, 8, v16
	v_cndmask_b32_e32 v25, v25, v27, vcc
	v_lshl_add_u32 v25, v25, 10, v18
	v_cndmask_b32_e32 v19, v19, v26, vcc
	v_and_or_b32 v16, v16, s27, v25
	v_lshl_or_b32 v16, v19, 7, v16
	v_cvt_f32_f16_e32 v61, v16
.LBB271_1084:                           ;   in Loop: Header=BB271_1071 Depth=1
	s_or_b64 exec, exec, s[20:21]
	v_lshrrev_b32_e32 v16, 24, v58
	v_cmp_lt_i16_e32 vcc, s17, v16
	s_mov_b64 s[2:3], 0
                                        ; implicit-def: $sgpr24
	s_and_saveexec_b64 s[20:21], vcc
	s_xor_b64 s[20:21], exec, s[20:21]
	s_cbranch_execnz .LBB271_1628
; %bb.1085:                             ;   in Loop: Header=BB271_1071 Depth=1
	s_or_saveexec_b64 s[20:21], s[20:21]
	v_mov_b32_e32 v45, s24
	s_xor_b64 exec, exec, s[20:21]
	s_cbranch_execnz .LBB271_1631
.LBB271_1086:                           ;   in Loop: Header=BB271_1071 Depth=1
	s_or_b64 exec, exec, s[20:21]
	s_and_saveexec_b64 s[20:21], s[2:3]
	s_cbranch_execz .LBB271_1088
.LBB271_1087:                           ;   in Loop: Header=BB271_1071 Depth=1
	v_bfe_u32 v19, v58, 24, 3
	v_ffbh_u32_e32 v26, v19
	v_min_u32_e32 v36, 32, v26
	v_subrev_u32_e32 v26, 28, v36
	v_bfe_u32 v25, v58, 27, 4
	v_lshlrev_b64 v[26:27], v26, v[16:17]
	v_sub_u32_e32 v27, 29, v36
	v_cmp_eq_u32_e32 vcc, 0, v25
	v_and_b32_e32 v26, 7, v26
	v_lshlrev_b32_e32 v16, 8, v16
	v_cndmask_b32_e32 v25, v25, v27, vcc
	v_lshl_add_u32 v25, v25, 10, v18
	v_cndmask_b32_e32 v19, v19, v26, vcc
	v_and_or_b32 v16, v16, s27, v25
	v_lshl_or_b32 v16, v19, 7, v16
	v_cvt_f32_f16_e32 v45, v16
.LBB271_1088:                           ;   in Loop: Header=BB271_1071 Depth=1
	s_or_b64 exec, exec, s[20:21]
	v_cmp_gt_i16_sdwa s[20:21], v59, s17 src0_sel:BYTE_0 src1_sel:DWORD
	s_mov_b64 s[2:3], 0
                                        ; implicit-def: $sgpr24
	s_and_saveexec_b64 s[22:23], s[20:21]
	s_xor_b64 s[20:21], exec, s[22:23]
	s_cbranch_execnz .LBB271_1632
; %bb.1089:                             ;   in Loop: Header=BB271_1071 Depth=1
	s_or_saveexec_b64 s[20:21], s[20:21]
	v_mov_b32_e32 v19, s24
	s_xor_b64 exec, exec, s[20:21]
	s_cbranch_execnz .LBB271_1635
.LBB271_1090:                           ;   in Loop: Header=BB271_1071 Depth=1
	s_or_b64 exec, exec, s[20:21]
	v_mov_b32_e32 v16, v59
	s_and_saveexec_b64 s[20:21], s[2:3]
	s_cbranch_execz .LBB271_1092
.LBB271_1091:                           ;   in Loop: Header=BB271_1071 Depth=1
	v_and_b32_e32 v19, 7, v59
	v_ffbh_u32_e32 v19, v19
	v_bfe_u32 v25, v59, 3, 4
	v_min_u32_e32 v19, 32, v19
	v_subrev_u32_e32 v26, 28, v19
	v_sub_u32_e32 v19, 29, v19
	v_cmp_eq_u32_e32 vcc, 0, v25
	s_nop 1
	v_cndmask_b32_e32 v19, v25, v19, vcc
	v_cndmask_b32_e32 v25, 0, v26, vcc
	v_lshlrev_b64 v[26:27], v25, v[16:17]
	v_lshlrev_b32_e32 v25, 7, v26
	v_lshlrev_b32_e32 v26, 8, v59
	v_lshl_add_u32 v19, v19, 10, v18
	v_and_or_b32 v19, v26, s27, v19
	v_and_or_b32 v19, v25, s28, v19
	v_cvt_f32_f16_e32 v19, v19
.LBB271_1092:                           ;   in Loop: Header=BB271_1071 Depth=1
	s_or_b64 exec, exec, s[20:21]
	v_lshrrev_b16_e32 v16, 8, v16
	v_cmp_lt_i16_e32 vcc, s17, v16
	s_mov_b64 s[2:3], 0
                                        ; implicit-def: $sgpr24
	s_and_saveexec_b64 s[20:21], vcc
	s_xor_b64 s[20:21], exec, s[20:21]
	s_cbranch_execnz .LBB271_1636
; %bb.1093:                             ;   in Loop: Header=BB271_1071 Depth=1
	s_or_saveexec_b64 s[20:21], s[20:21]
	v_mov_b32_e32 v25, s24
	s_xor_b64 exec, exec, s[20:21]
	s_cbranch_execnz .LBB271_1639
.LBB271_1094:                           ;   in Loop: Header=BB271_1071 Depth=1
	s_or_b64 exec, exec, s[20:21]
	s_and_saveexec_b64 s[20:21], s[2:3]
	s_cbranch_execz .LBB271_1096
.LBB271_1095:                           ;   in Loop: Header=BB271_1071 Depth=1
	v_and_b32_e32 v25, 7, v16
	v_ffbh_u32_e32 v26, v25
	v_min_u32_e32 v37, 32, v26
	v_subrev_u32_e32 v26, 28, v37
	v_bfe_u32 v36, v16, 3, 4
	v_lshlrev_b64 v[26:27], v26, v[16:17]
	v_sub_u32_e32 v27, 29, v37
	v_cmp_eq_u32_e32 vcc, 0, v36
	v_and_b32_e32 v26, 7, v26
	v_lshlrev_b32_e32 v16, 8, v16
	v_cndmask_b32_e32 v27, v36, v27, vcc
	v_cndmask_b32_e32 v25, v25, v26, vcc
	v_lshl_add_u32 v26, v27, 10, v18
	v_and_or_b32 v16, v16, s27, v26
	v_lshl_or_b32 v16, v25, 7, v16
	v_cvt_f32_f16_e32 v25, v16
.LBB271_1096:                           ;   in Loop: Header=BB271_1071 Depth=1
	s_or_b64 exec, exec, s[20:21]
	v_lshrrev_b32_e32 v16, 16, v59
	v_cmp_gt_i16_sdwa s[20:21], v16, s17 src0_sel:BYTE_0 src1_sel:DWORD
	s_mov_b64 s[2:3], 0
                                        ; implicit-def: $sgpr24
	s_and_saveexec_b64 s[22:23], s[20:21]
	s_xor_b64 s[20:21], exec, s[22:23]
	s_cbranch_execnz .LBB271_1640
; %bb.1097:                             ;   in Loop: Header=BB271_1071 Depth=1
	s_or_saveexec_b64 s[20:21], s[20:21]
	v_mov_b32_e32 v26, s24
	s_xor_b64 exec, exec, s[20:21]
	s_cbranch_execnz .LBB271_1643
.LBB271_1098:                           ;   in Loop: Header=BB271_1071 Depth=1
	s_or_b64 exec, exec, s[20:21]
	s_and_saveexec_b64 s[20:21], s[2:3]
	s_cbranch_execz .LBB271_1100
.LBB271_1099:                           ;   in Loop: Header=BB271_1071 Depth=1
	v_bfe_u32 v36, v59, 16, 3
	v_ffbh_u32_e32 v26, v36
	v_min_u32_e32 v38, 32, v26
	v_subrev_u32_e32 v26, 28, v38
	v_bfe_u32 v37, v59, 19, 4
	v_lshlrev_b64 v[26:27], v26, v[16:17]
	v_sub_u32_e32 v27, 29, v38
	v_cmp_eq_u32_e32 vcc, 0, v37
	v_and_b32_e32 v26, 7, v26
	v_lshlrev_b32_e32 v16, 8, v16
	v_cndmask_b32_e32 v27, v37, v27, vcc
	v_lshl_add_u32 v27, v27, 10, v18
	v_cndmask_b32_e32 v26, v36, v26, vcc
	v_and_or_b32 v16, v16, s27, v27
	v_lshl_or_b32 v16, v26, 7, v16
	v_cvt_f32_f16_e32 v26, v16
.LBB271_1100:                           ;   in Loop: Header=BB271_1071 Depth=1
	s_or_b64 exec, exec, s[20:21]
	v_lshrrev_b32_e32 v16, 24, v59
	v_cmp_lt_i16_e32 vcc, s17, v16
	s_mov_b64 s[2:3], 0
                                        ; implicit-def: $sgpr24
	s_and_saveexec_b64 s[20:21], vcc
	s_xor_b64 s[20:21], exec, s[20:21]
	s_cbranch_execnz .LBB271_1644
; %bb.1101:                             ;   in Loop: Header=BB271_1071 Depth=1
	s_or_saveexec_b64 s[20:21], s[20:21]
	v_mov_b32_e32 v36, s24
	s_xor_b64 exec, exec, s[20:21]
	s_cbranch_execnz .LBB271_1647
.LBB271_1102:                           ;   in Loop: Header=BB271_1071 Depth=1
	s_or_b64 exec, exec, s[20:21]
	s_and_saveexec_b64 s[20:21], s[2:3]
	s_cbranch_execz .LBB271_1104
.LBB271_1103:                           ;   in Loop: Header=BB271_1071 Depth=1
	v_bfe_u32 v27, v59, 24, 3
	v_ffbh_u32_e32 v36, v27
	v_min_u32_e32 v39, 32, v36
	v_subrev_u32_e32 v36, 28, v39
	v_bfe_u32 v38, v59, 27, 4
	v_lshlrev_b64 v[36:37], v36, v[16:17]
	v_sub_u32_e32 v37, 29, v39
	v_cmp_eq_u32_e32 vcc, 0, v38
	v_and_b32_e32 v36, 7, v36
	v_lshlrev_b32_e32 v16, 8, v16
	v_cndmask_b32_e32 v37, v38, v37, vcc
	v_cndmask_b32_e32 v27, v27, v36, vcc
	v_lshl_add_u32 v36, v37, 10, v18
	v_and_or_b32 v16, v16, s27, v36
	v_lshl_or_b32 v16, v27, 7, v16
	v_cvt_f32_f16_e32 v36, v16
.LBB271_1104:                           ;   in Loop: Header=BB271_1071 Depth=1
	s_or_b64 exec, exec, s[20:21]
	s_waitcnt vmcnt(0) lgkmcnt(0)
	v_pk_mul_f32 v[38:39], v[56:57], v[44:45] op_sel_hi:[0,1]
	v_pk_mul_f32 v[48:49], v[56:57], v[60:61] op_sel_hi:[0,1]
	v_cvt_f16_f32_e32 v16, v39
	v_cvt_f16_f32_e32 v39, v48
	v_accvgpr_read_b32 v37, a14
	v_accvgpr_read_b32 v48, a19
	v_add_u32_e32 v37, v48, v37
	scratch_load_dword v48, off, s32 offset:208 ; 4-byte Folded Reload
	v_cvt_f16_f32_e32 v27, v38
	v_cvt_f16_f32_e32 v38, v49
	v_fma_mixlo_f16 v25, v56, v25, 0
	v_lshlrev_b32_e32 v25, 16, v25
	v_fma_mixlo_f16 v19, v56, v19, 0
	v_pack_b32_f16 v27, v27, v16
	v_pack_b32_f16 v38, v39, v38
	v_or_b32_sdwa v25, v25, v19 dst_sel:DWORD dst_unused:UNUSED_PAD src0_sel:DWORD src1_sel:WORD_0
	v_fma_mixlo_f16 v19, v56, v36, 0
	v_accvgpr_read_b32 v49, a22
	v_perm_b32 v16, v38, v27, s29
	v_perm_b32 v27, v38, v27, s30
	v_fma_mixlo_f16 v38, v56, v26, 0
	v_lshlrev_b32_e32 v19, 16, v19
	v_or_b32_sdwa v40, v19, v38 dst_sel:DWORD dst_unused:UNUSED_PAD src0_sel:DWORD src1_sel:WORD_0
	v_add_u32_e32 v26, 1, v37
	v_or_b32_e32 v55, 3, v37
	v_or_b32_e32 v54, 2, v37
	;; [unrolled: 1-line block ×5, first 2 shown]
	s_waitcnt vmcnt(0)
	v_cmp_eq_u32_e32 vcc, v49, v48
	v_or_b32_e32 v49, 5, v37
	s_and_saveexec_b64 s[20:21], vcc
	s_cbranch_execz .LBB271_1106
; %bb.1105:                             ;   in Loop: Header=BB271_1071 Depth=1
	scratch_load_dwordx2 v[50:51], off, s32 offset:196 ; 8-byte Folded Reload
	v_lshrrev_b32_e32 v48, 16, v27
	v_cmp_lt_i32_e64 s[2:3], v26, v3
	s_nop 1
	v_cndmask_b32_e64 v48, 0, v48, s[2:3]
	s_waitcnt vmcnt(0)
	v_cmp_lt_i32_e64 s[2:3], v37, v50
	s_nop 1
	v_cndmask_b32_e64 v27, 0, v27, s[2:3]
	v_perm_b32 v27, v48, v27, s31
	v_lshrrev_b32_e32 v48, 16, v16
	v_cmp_lt_i32_e64 s[2:3], v55, v3
	s_nop 1
	v_cndmask_b32_e64 v48, 0, v48, s[2:3]
	v_cmp_lt_i32_e64 s[2:3], v54, v50
	s_nop 1
	v_cndmask_b32_e64 v16, 0, v16, s[2:3]
	v_perm_b32 v16, v48, v16, s31
	v_lshrrev_b32_e32 v48, 16, v25
	v_cmp_lt_i32_e64 s[2:3], v49, v3
	s_nop 1
	v_cndmask_b32_e64 v48, 0, v48, s[2:3]
	;; [unrolled: 8-line block ×3, first 2 shown]
	v_cmp_lt_i32_e64 s[2:3], v19, v50
	s_nop 1
	v_cndmask_b32_e64 v38, 0, v38, s[2:3]
	v_perm_b32 v40, v48, v38, s31
.LBB271_1106:                           ;   in Loop: Header=BB271_1071 Depth=1
	s_or_b64 exec, exec, s[20:21]
	v_and_b32_e32 v0, 0xffff, v0
	v_lshl_or_b32 v51, v1, 16, v0
	v_and_b32_e32 v0, 0xffff, v2
	v_lshl_or_b32 v50, v12, 16, v0
	;; [unrolled: 2-line block ×4, first 2 shown]
	;;#ASMSTART
	v_pk_mul_f16 v0, v51, v27;

	;;#ASMEND
	;;#ASMSTART
	v_pk_mul_f16 v1, v50, v16;

	;;#ASMEND
	;; [unrolled: 4-line block ×4, first 2 shown]
	s_mov_b64 s[2:3], 0
	;;#ASMSTART
	v_pk_add_f16 v0, v0, v1;

	;;#ASMEND
                                        ; implicit-def: $sgpr24
	s_nop 0
	;;#ASMSTART
	v_pk_add_f16 v0, v0, v2;

	;;#ASMEND
	s_nop 0
	;;#ASMSTART
	v_pk_add_f16 v0, v0, v12;

	;;#ASMEND
	s_nop 0
	v_lshrrev_b32_e32 v1, 16, v0
	v_and_b32_e32 v0, 0xffff, v0
	;;#ASMSTART
	v_cvt_f32_f16 v0, v0;
	;;#ASMEND
	s_nop 0
	v_accvgpr_write_b32 a23, v0
	;;#ASMSTART
	v_cvt_f32_f16 v0, v1;
	;;#ASMEND
	s_nop 0
	v_accvgpr_write_b32 a43, v0
	flat_load_dwordx2 v[58:59], v[46:47] offset:512
	scratch_load_dwordx2 v[0:1], off, s32 offset:188 ; 8-byte Folded Reload
	s_waitcnt vmcnt(0) lgkmcnt(0)
	v_cmp_gt_i16_sdwa s[20:21], v58, s17 src0_sel:BYTE_0 src1_sel:DWORD
	flat_load_dword v56, v[0:1]
	s_and_saveexec_b64 s[22:23], s[20:21]
	s_xor_b64 s[20:21], exec, s[22:23]
	s_cbranch_execnz .LBB271_1648
; %bb.1107:                             ;   in Loop: Header=BB271_1071 Depth=1
	s_or_saveexec_b64 s[20:21], s[20:21]
	v_mov_b32_e32 v60, s24
	s_xor_b64 exec, exec, s[20:21]
	s_cbranch_execnz .LBB271_1651
.LBB271_1108:                           ;   in Loop: Header=BB271_1071 Depth=1
	s_or_b64 exec, exec, s[20:21]
	s_and_saveexec_b64 s[20:21], s[2:3]
	s_cbranch_execz .LBB271_1110
.LBB271_1109:                           ;   in Loop: Header=BB271_1071 Depth=1
	v_and_b32_e32 v0, 7, v58
	v_ffbh_u32_e32 v0, v0
	v_bfe_u32 v1, v58, 3, 4
	v_min_u32_e32 v0, 32, v0
	v_subrev_u32_e32 v2, 28, v0
	v_sub_u32_e32 v0, 29, v0
	v_cmp_eq_u32_e64 s[2:3], 0, v1
	s_nop 1
	v_cndmask_b32_e64 v12, v1, v0, s[2:3]
	v_cndmask_b32_e64 v0, 0, v2, s[2:3]
	v_lshlrev_b64 v[0:1], v0, v[58:59]
	v_lshlrev_b32_e32 v1, 8, v58
	v_lshl_add_u32 v2, v12, 10, v18
	v_lshlrev_b32_e32 v0, 7, v0
	v_and_or_b32 v1, v1, s27, v2
	v_and_or_b32 v0, v0, s28, v1
	v_cvt_f32_f16_e32 v60, v0
.LBB271_1110:                           ;   in Loop: Header=BB271_1071 Depth=1
	s_or_b64 exec, exec, s[20:21]
	v_lshrrev_b16_e32 v16, 8, v58
	v_cmp_lt_i16_e64 s[2:3], s17, v16
	s_mov_b64 s[20:21], 0
                                        ; implicit-def: $sgpr34
	s_and_saveexec_b64 s[22:23], s[2:3]
	s_xor_b64 s[22:23], exec, s[22:23]
	s_cbranch_execnz .LBB271_1652
; %bb.1111:                             ;   in Loop: Header=BB271_1071 Depth=1
	s_or_saveexec_b64 s[22:23], s[22:23]
	v_mov_b32_e32 v44, s34
	s_xor_b64 exec, exec, s[22:23]
	s_cbranch_execnz .LBB271_1655
.LBB271_1112:                           ;   in Loop: Header=BB271_1071 Depth=1
	s_or_b64 exec, exec, s[22:23]
	s_and_saveexec_b64 s[22:23], s[20:21]
	s_cbranch_execz .LBB271_1114
.LBB271_1113:                           ;   in Loop: Header=BB271_1071 Depth=1
	v_and_b32_e32 v2, 7, v16
	v_ffbh_u32_e32 v0, v2
	v_min_u32_e32 v13, 32, v0
	v_subrev_u32_e32 v0, 28, v13
	v_bfe_u32 v12, v16, 3, 4
	v_lshlrev_b64 v[0:1], v0, v[16:17]
	v_sub_u32_e32 v1, 29, v13
	v_cmp_eq_u32_e64 s[2:3], 0, v12
	v_and_b32_e32 v0, 7, v0
	s_nop 0
	v_cndmask_b32_e64 v1, v12, v1, s[2:3]
	v_cndmask_b32_e64 v0, v2, v0, s[2:3]
	v_lshlrev_b32_e32 v2, 8, v16
	v_lshl_add_u32 v1, v1, 10, v18
	v_and_or_b32 v1, v2, s27, v1
	v_lshl_or_b32 v0, v0, 7, v1
	v_cvt_f32_f16_e32 v44, v0
.LBB271_1114:                           ;   in Loop: Header=BB271_1071 Depth=1
	s_or_b64 exec, exec, s[22:23]
	v_lshrrev_b32_e32 v16, 16, v58
	v_cmp_gt_i16_sdwa s[20:21], v16, s17 src0_sel:BYTE_0 src1_sel:DWORD
	s_mov_b64 s[2:3], 0
                                        ; implicit-def: $sgpr24
	s_and_saveexec_b64 s[22:23], s[20:21]
	s_xor_b64 s[20:21], exec, s[22:23]
	s_cbranch_execnz .LBB271_1656
; %bb.1115:                             ;   in Loop: Header=BB271_1071 Depth=1
	s_or_saveexec_b64 s[20:21], s[20:21]
	v_mov_b32_e32 v61, s24
	s_xor_b64 exec, exec, s[20:21]
	s_cbranch_execnz .LBB271_1659
.LBB271_1116:                           ;   in Loop: Header=BB271_1071 Depth=1
	s_or_b64 exec, exec, s[20:21]
	s_and_saveexec_b64 s[20:21], s[2:3]
	s_cbranch_execz .LBB271_1118
.LBB271_1117:                           ;   in Loop: Header=BB271_1071 Depth=1
	v_bfe_u32 v2, v58, 16, 3
	v_ffbh_u32_e32 v0, v2
	v_min_u32_e32 v13, 32, v0
	v_subrev_u32_e32 v0, 28, v13
	v_bfe_u32 v12, v58, 19, 4
	v_lshlrev_b64 v[0:1], v0, v[16:17]
	v_sub_u32_e32 v1, 29, v13
	v_cmp_eq_u32_e64 s[2:3], 0, v12
	v_and_b32_e32 v0, 7, v0
	s_nop 0
	v_cndmask_b32_e64 v1, v12, v1, s[2:3]
	v_cndmask_b32_e64 v0, v2, v0, s[2:3]
	v_lshlrev_b32_e32 v2, 8, v16
	v_lshl_add_u32 v1, v1, 10, v18
	v_and_or_b32 v1, v2, s27, v1
	v_lshl_or_b32 v0, v0, 7, v1
	v_cvt_f32_f16_e32 v61, v0
.LBB271_1118:                           ;   in Loop: Header=BB271_1071 Depth=1
	s_or_b64 exec, exec, s[20:21]
	v_lshrrev_b32_e32 v16, 24, v58
	v_cmp_lt_i16_e64 s[2:3], s17, v16
	s_mov_b64 s[20:21], 0
                                        ; implicit-def: $sgpr34
	s_and_saveexec_b64 s[22:23], s[2:3]
	s_xor_b64 s[22:23], exec, s[22:23]
	s_cbranch_execnz .LBB271_1660
; %bb.1119:                             ;   in Loop: Header=BB271_1071 Depth=1
	s_or_saveexec_b64 s[22:23], s[22:23]
	v_mov_b32_e32 v45, s34
	s_xor_b64 exec, exec, s[22:23]
	s_cbranch_execnz .LBB271_1663
.LBB271_1120:                           ;   in Loop: Header=BB271_1071 Depth=1
	s_or_b64 exec, exec, s[22:23]
	s_and_saveexec_b64 s[22:23], s[20:21]
	s_cbranch_execz .LBB271_1122
.LBB271_1121:                           ;   in Loop: Header=BB271_1071 Depth=1
	v_bfe_u32 v2, v58, 24, 3
	v_ffbh_u32_e32 v0, v2
	v_min_u32_e32 v13, 32, v0
	v_subrev_u32_e32 v0, 28, v13
	v_bfe_u32 v12, v58, 27, 4
	v_lshlrev_b64 v[0:1], v0, v[16:17]
	v_sub_u32_e32 v1, 29, v13
	v_cmp_eq_u32_e64 s[2:3], 0, v12
	v_and_b32_e32 v0, 7, v0
	s_nop 0
	v_cndmask_b32_e64 v1, v12, v1, s[2:3]
	v_cndmask_b32_e64 v0, v2, v0, s[2:3]
	v_lshlrev_b32_e32 v2, 8, v16
	v_lshl_add_u32 v1, v1, 10, v18
	v_and_or_b32 v1, v2, s27, v1
	v_lshl_or_b32 v0, v0, 7, v1
	v_cvt_f32_f16_e32 v45, v0
.LBB271_1122:                           ;   in Loop: Header=BB271_1071 Depth=1
	s_or_b64 exec, exec, s[22:23]
	v_cmp_gt_i16_sdwa s[20:21], v59, s17 src0_sel:BYTE_0 src1_sel:DWORD
	s_mov_b64 s[2:3], 0
                                        ; implicit-def: $sgpr24
	s_and_saveexec_b64 s[22:23], s[20:21]
	s_xor_b64 s[20:21], exec, s[22:23]
	s_cbranch_execnz .LBB271_1664
; %bb.1123:                             ;   in Loop: Header=BB271_1071 Depth=1
	s_or_saveexec_b64 s[20:21], s[20:21]
	v_mov_b32_e32 v0, s24
	s_xor_b64 exec, exec, s[20:21]
	s_cbranch_execnz .LBB271_1667
.LBB271_1124:                           ;   in Loop: Header=BB271_1071 Depth=1
	s_or_b64 exec, exec, s[20:21]
	v_mov_b32_e32 v16, v59
	s_and_saveexec_b64 s[20:21], s[2:3]
	s_cbranch_execz .LBB271_1126
.LBB271_1125:                           ;   in Loop: Header=BB271_1071 Depth=1
	v_and_b32_e32 v0, 7, v59
	v_ffbh_u32_e32 v0, v0
	v_bfe_u32 v1, v59, 3, 4
	v_min_u32_e32 v0, 32, v0
	v_subrev_u32_e32 v2, 28, v0
	v_sub_u32_e32 v0, 29, v0
	v_cmp_eq_u32_e64 s[2:3], 0, v1
	s_nop 1
	v_cndmask_b32_e64 v12, v1, v0, s[2:3]
	v_cndmask_b32_e64 v0, 0, v2, s[2:3]
	v_lshlrev_b64 v[0:1], v0, v[16:17]
	v_lshlrev_b32_e32 v1, 8, v59
	v_lshl_add_u32 v2, v12, 10, v18
	v_lshlrev_b32_e32 v0, 7, v0
	v_and_or_b32 v1, v1, s27, v2
	v_and_or_b32 v0, v0, s28, v1
	v_cvt_f32_f16_e32 v0, v0
.LBB271_1126:                           ;   in Loop: Header=BB271_1071 Depth=1
	s_or_b64 exec, exec, s[20:21]
	v_lshrrev_b16_e32 v16, 8, v16
	v_cmp_lt_i16_e64 s[2:3], s17, v16
	s_mov_b64 s[20:21], 0
                                        ; implicit-def: $sgpr34
	s_and_saveexec_b64 s[22:23], s[2:3]
	s_xor_b64 s[22:23], exec, s[22:23]
	s_cbranch_execnz .LBB271_1668
; %bb.1127:                             ;   in Loop: Header=BB271_1071 Depth=1
	s_or_saveexec_b64 s[22:23], s[22:23]
	v_mov_b32_e32 v1, s34
	s_xor_b64 exec, exec, s[22:23]
	s_cbranch_execnz .LBB271_1671
.LBB271_1128:                           ;   in Loop: Header=BB271_1071 Depth=1
	s_or_b64 exec, exec, s[22:23]
	s_and_saveexec_b64 s[22:23], s[20:21]
	s_cbranch_execz .LBB271_1130
.LBB271_1129:                           ;   in Loop: Header=BB271_1071 Depth=1
	v_and_b32_e32 v1, 7, v16
	v_ffbh_u32_e32 v12, v1
	v_min_u32_e32 v22, 32, v12
	v_subrev_u32_e32 v12, 28, v22
	v_bfe_u32 v2, v16, 3, 4
	v_lshlrev_b64 v[12:13], v12, v[16:17]
	v_sub_u32_e32 v13, 29, v22
	v_cmp_eq_u32_e64 s[2:3], 0, v2
	v_and_b32_e32 v12, 7, v12
	s_nop 0
	v_cndmask_b32_e64 v2, v2, v13, s[2:3]
	v_cndmask_b32_e64 v1, v1, v12, s[2:3]
	v_lshlrev_b32_e32 v12, 8, v16
	v_lshl_add_u32 v2, v2, 10, v18
	v_and_or_b32 v2, v12, s27, v2
	v_lshl_or_b32 v1, v1, 7, v2
	v_cvt_f32_f16_e32 v1, v1
.LBB271_1130:                           ;   in Loop: Header=BB271_1071 Depth=1
	s_or_b64 exec, exec, s[22:23]
	v_lshrrev_b32_e32 v16, 16, v59
	v_cmp_gt_i16_sdwa s[20:21], v16, s17 src0_sel:BYTE_0 src1_sel:DWORD
	s_mov_b64 s[2:3], 0
                                        ; implicit-def: $sgpr24
	s_and_saveexec_b64 s[22:23], s[20:21]
	s_xor_b64 s[20:21], exec, s[22:23]
	s_cbranch_execnz .LBB271_1672
; %bb.1131:                             ;   in Loop: Header=BB271_1071 Depth=1
	s_or_saveexec_b64 s[20:21], s[20:21]
	v_mov_b32_e32 v2, s24
	s_xor_b64 exec, exec, s[20:21]
	s_cbranch_execnz .LBB271_1675
.LBB271_1132:                           ;   in Loop: Header=BB271_1071 Depth=1
	s_or_b64 exec, exec, s[20:21]
	s_and_saveexec_b64 s[20:21], s[2:3]
	s_cbranch_execz .LBB271_1134
.LBB271_1133:                           ;   in Loop: Header=BB271_1071 Depth=1
	v_bfe_u32 v2, v59, 16, 3
	v_ffbh_u32_e32 v12, v2
	v_min_u32_e32 v23, 32, v12
	v_subrev_u32_e32 v12, 28, v23
	v_bfe_u32 v22, v59, 19, 4
	v_lshlrev_b64 v[12:13], v12, v[16:17]
	v_sub_u32_e32 v13, 29, v23
	v_cmp_eq_u32_e64 s[2:3], 0, v22
	v_and_b32_e32 v12, 7, v12
	s_nop 0
	v_cndmask_b32_e64 v13, v22, v13, s[2:3]
	v_cndmask_b32_e64 v2, v2, v12, s[2:3]
	v_lshlrev_b32_e32 v12, 8, v16
	v_lshl_add_u32 v13, v13, 10, v18
	v_and_or_b32 v12, v12, s27, v13
	v_lshl_or_b32 v2, v2, 7, v12
	v_cvt_f32_f16_e32 v2, v2
.LBB271_1134:                           ;   in Loop: Header=BB271_1071 Depth=1
	s_or_b64 exec, exec, s[20:21]
	v_lshrrev_b32_e32 v16, 24, v59
	v_cmp_lt_i16_e64 s[2:3], s17, v16
	s_mov_b64 s[20:21], 0
                                        ; implicit-def: $sgpr34
	s_and_saveexec_b64 s[22:23], s[2:3]
	s_xor_b64 s[22:23], exec, s[22:23]
	s_cbranch_execnz .LBB271_1676
; %bb.1135:                             ;   in Loop: Header=BB271_1071 Depth=1
	s_or_saveexec_b64 s[22:23], s[22:23]
	v_mov_b32_e32 v22, s34
	s_xor_b64 exec, exec, s[22:23]
	s_cbranch_execnz .LBB271_1679
.LBB271_1136:                           ;   in Loop: Header=BB271_1071 Depth=1
	s_or_b64 exec, exec, s[22:23]
	s_and_saveexec_b64 s[22:23], s[20:21]
	s_cbranch_execz .LBB271_1138
.LBB271_1137:                           ;   in Loop: Header=BB271_1071 Depth=1
	v_bfe_u32 v22, v59, 24, 3
	v_ffbh_u32_e32 v12, v22
	v_min_u32_e32 v24, 32, v12
	v_subrev_u32_e32 v12, 28, v24
	v_bfe_u32 v23, v59, 27, 4
	v_lshlrev_b64 v[12:13], v12, v[16:17]
	v_sub_u32_e32 v13, 29, v24
	v_cmp_eq_u32_e64 s[2:3], 0, v23
	v_and_b32_e32 v12, 7, v12
	v_lshlrev_b32_e32 v16, 8, v16
	v_cndmask_b32_e64 v13, v23, v13, s[2:3]
	v_lshl_add_u32 v13, v13, 10, v18
	v_cndmask_b32_e64 v12, v22, v12, s[2:3]
	v_and_or_b32 v13, v16, s27, v13
	v_lshl_or_b32 v12, v12, 7, v13
	v_cvt_f32_f16_e32 v22, v12
.LBB271_1138:                           ;   in Loop: Header=BB271_1071 Depth=1
	s_or_b64 exec, exec, s[22:23]
	s_waitcnt vmcnt(0) lgkmcnt(0)
	v_pk_mul_f32 v[12:13], v[56:57], v[44:45] op_sel_hi:[0,1]
	v_pk_mul_f32 v[24:25], v[56:57], v[60:61] op_sel_hi:[0,1]
	v_cvt_f16_f32_e32 v13, v13
	v_cvt_f16_f32_e32 v12, v12
	;; [unrolled: 1-line block ×4, first 2 shown]
	v_fma_mixlo_f16 v1, v56, v1, 0
	v_lshlrev_b32_e32 v1, 16, v1
	v_fma_mixlo_f16 v0, v56, v0, 0
	v_or_b32_sdwa v0, v1, v0 dst_sel:DWORD dst_unused:UNUSED_PAD src0_sel:DWORD src1_sel:WORD_0
	v_fma_mixlo_f16 v1, v56, v22, 0
	v_pack_b32_f16 v13, v12, v13
	v_pack_b32_f16 v16, v23, v16
	v_fma_mixlo_f16 v2, v56, v2, 0
	v_lshlrev_b32_e32 v1, 16, v1
	v_perm_b32 v12, v16, v13, s29
	v_perm_b32 v13, v16, v13, s30
	v_or_b32_sdwa v1, v1, v2 dst_sel:DWORD dst_unused:UNUSED_PAD src0_sel:DWORD src1_sel:WORD_0
	s_and_saveexec_b64 s[20:21], vcc
	s_cbranch_execz .LBB271_1140
; %bb.1139:                             ;   in Loop: Header=BB271_1071 Depth=1
	scratch_load_dwordx2 v[22:23], off, s32 offset:196 ; 8-byte Folded Reload
	v_lshrrev_b32_e32 v16, 16, v13
	v_cmp_lt_i32_e64 s[2:3], v26, v3
	v_lshrrev_b32_e32 v1, 16, v1
	s_nop 0
	v_cndmask_b32_e64 v16, 0, v16, s[2:3]
	s_waitcnt vmcnt(0)
	v_cmp_lt_i32_e64 s[2:3], v37, v22
	s_nop 1
	v_cndmask_b32_e64 v13, 0, v13, s[2:3]
	v_perm_b32 v13, v16, v13, s31
	v_lshrrev_b32_e32 v16, 16, v12
	v_cmp_lt_i32_e64 s[2:3], v55, v3
	s_nop 1
	v_cndmask_b32_e64 v16, 0, v16, s[2:3]
	v_cmp_lt_i32_e64 s[2:3], v54, v22
	s_nop 1
	v_cndmask_b32_e64 v12, 0, v12, s[2:3]
	v_perm_b32 v12, v16, v12, s31
	v_lshrrev_b32_e32 v16, 16, v0
	v_cmp_lt_i32_e64 s[2:3], v49, v3
	s_nop 1
	v_cndmask_b32_e64 v16, 0, v16, s[2:3]
	v_cmp_lt_i32_e64 s[2:3], v39, v22
	s_nop 1
	v_cndmask_b32_e64 v0, 0, v0, s[2:3]
	v_cmp_lt_i32_e64 s[2:3], v36, v3
	v_perm_b32 v0, v16, v0, s31
	s_nop 0
	v_cndmask_b32_e64 v1, 0, v1, s[2:3]
	v_cmp_lt_i32_e64 s[2:3], v19, v22
	s_nop 1
	v_cndmask_b32_e64 v2, 0, v2, s[2:3]
	v_perm_b32 v1, v1, v2, s31
.LBB271_1140:                           ;   in Loop: Header=BB271_1071 Depth=1
	s_or_b64 exec, exec, s[20:21]
	;;#ASMSTART
	v_pk_mul_f16 v2, v51, v13;

	;;#ASMEND
	;;#ASMSTART
	v_pk_mul_f16 v12, v50, v12;

	;;#ASMEND
	;; [unrolled: 4-line block ×4, first 2 shown]
	s_mov_b64 s[2:3], 0
	;;#ASMSTART
	v_pk_add_f16 v2, v2, v12;

	;;#ASMEND
                                        ; implicit-def: $sgpr24
	s_nop 0
	;;#ASMSTART
	v_pk_add_f16 v0, v2, v0;

	;;#ASMEND
	s_nop 0
	;;#ASMSTART
	v_pk_add_f16 v0, v0, v1;

	;;#ASMEND
	s_nop 0
	v_lshrrev_b32_e32 v1, 16, v0
	v_and_b32_e32 v0, 0xffff, v0
	;;#ASMSTART
	v_cvt_f32_f16 v0, v0;
	;;#ASMEND
	s_nop 0
	v_accvgpr_write_b32 a44, v0
	;;#ASMSTART
	v_cvt_f32_f16 v0, v1;
	;;#ASMEND
	s_nop 0
	v_accvgpr_write_b32 a45, v0
	flat_load_dwordx2 v[58:59], v[46:47] offset:1024
	scratch_load_dwordx2 v[0:1], off, s32 offset:188 ; 8-byte Folded Reload
	s_waitcnt vmcnt(0) lgkmcnt(0)
	v_cmp_gt_i16_sdwa s[20:21], v58, s17 src0_sel:BYTE_0 src1_sel:DWORD
	flat_load_dword v56, v[0:1]
	s_and_saveexec_b64 s[22:23], s[20:21]
	s_xor_b64 s[20:21], exec, s[22:23]
	s_cbranch_execnz .LBB271_1680
; %bb.1141:                             ;   in Loop: Header=BB271_1071 Depth=1
	s_or_saveexec_b64 s[20:21], s[20:21]
	v_mov_b32_e32 v60, s24
	s_xor_b64 exec, exec, s[20:21]
	s_cbranch_execnz .LBB271_1683
.LBB271_1142:                           ;   in Loop: Header=BB271_1071 Depth=1
	s_or_b64 exec, exec, s[20:21]
	s_and_saveexec_b64 s[20:21], s[2:3]
	s_cbranch_execz .LBB271_1144
.LBB271_1143:                           ;   in Loop: Header=BB271_1071 Depth=1
	v_and_b32_e32 v0, 7, v58
	v_ffbh_u32_e32 v0, v0
	v_bfe_u32 v1, v58, 3, 4
	v_min_u32_e32 v0, 32, v0
	v_subrev_u32_e32 v2, 28, v0
	v_sub_u32_e32 v0, 29, v0
	v_cmp_eq_u32_e64 s[2:3], 0, v1
	s_nop 1
	v_cndmask_b32_e64 v12, v1, v0, s[2:3]
	v_cndmask_b32_e64 v0, 0, v2, s[2:3]
	v_lshlrev_b64 v[0:1], v0, v[58:59]
	v_lshlrev_b32_e32 v1, 8, v58
	v_lshl_add_u32 v2, v12, 10, v18
	v_lshlrev_b32_e32 v0, 7, v0
	v_and_or_b32 v1, v1, s27, v2
	v_and_or_b32 v0, v0, s28, v1
	v_cvt_f32_f16_e32 v60, v0
.LBB271_1144:                           ;   in Loop: Header=BB271_1071 Depth=1
	s_or_b64 exec, exec, s[20:21]
	v_lshrrev_b16_e32 v16, 8, v58
	v_cmp_lt_i16_e64 s[2:3], s17, v16
	s_mov_b64 s[20:21], 0
                                        ; implicit-def: $sgpr34
	s_and_saveexec_b64 s[22:23], s[2:3]
	s_xor_b64 s[22:23], exec, s[22:23]
	s_cbranch_execnz .LBB271_1684
; %bb.1145:                             ;   in Loop: Header=BB271_1071 Depth=1
	s_or_saveexec_b64 s[22:23], s[22:23]
	v_mov_b32_e32 v44, s34
	s_xor_b64 exec, exec, s[22:23]
	s_cbranch_execnz .LBB271_1687
.LBB271_1146:                           ;   in Loop: Header=BB271_1071 Depth=1
	s_or_b64 exec, exec, s[22:23]
	s_and_saveexec_b64 s[22:23], s[20:21]
	s_cbranch_execz .LBB271_1148
.LBB271_1147:                           ;   in Loop: Header=BB271_1071 Depth=1
	v_and_b32_e32 v2, 7, v16
	v_ffbh_u32_e32 v0, v2
	v_min_u32_e32 v13, 32, v0
	v_subrev_u32_e32 v0, 28, v13
	v_bfe_u32 v12, v16, 3, 4
	v_lshlrev_b64 v[0:1], v0, v[16:17]
	v_sub_u32_e32 v1, 29, v13
	v_cmp_eq_u32_e64 s[2:3], 0, v12
	v_and_b32_e32 v0, 7, v0
	s_nop 0
	v_cndmask_b32_e64 v1, v12, v1, s[2:3]
	v_cndmask_b32_e64 v0, v2, v0, s[2:3]
	v_lshlrev_b32_e32 v2, 8, v16
	v_lshl_add_u32 v1, v1, 10, v18
	v_and_or_b32 v1, v2, s27, v1
	v_lshl_or_b32 v0, v0, 7, v1
	v_cvt_f32_f16_e32 v44, v0
.LBB271_1148:                           ;   in Loop: Header=BB271_1071 Depth=1
	s_or_b64 exec, exec, s[22:23]
	v_lshrrev_b32_e32 v16, 16, v58
	v_cmp_gt_i16_sdwa s[20:21], v16, s17 src0_sel:BYTE_0 src1_sel:DWORD
	s_mov_b64 s[2:3], 0
                                        ; implicit-def: $sgpr24
	s_and_saveexec_b64 s[22:23], s[20:21]
	s_xor_b64 s[20:21], exec, s[22:23]
	s_cbranch_execnz .LBB271_1688
; %bb.1149:                             ;   in Loop: Header=BB271_1071 Depth=1
	s_or_saveexec_b64 s[20:21], s[20:21]
	v_mov_b32_e32 v61, s24
	s_xor_b64 exec, exec, s[20:21]
	s_cbranch_execnz .LBB271_1691
.LBB271_1150:                           ;   in Loop: Header=BB271_1071 Depth=1
	s_or_b64 exec, exec, s[20:21]
	s_and_saveexec_b64 s[20:21], s[2:3]
	s_cbranch_execz .LBB271_1152
.LBB271_1151:                           ;   in Loop: Header=BB271_1071 Depth=1
	v_bfe_u32 v2, v58, 16, 3
	v_ffbh_u32_e32 v0, v2
	v_min_u32_e32 v13, 32, v0
	v_subrev_u32_e32 v0, 28, v13
	v_bfe_u32 v12, v58, 19, 4
	v_lshlrev_b64 v[0:1], v0, v[16:17]
	v_sub_u32_e32 v1, 29, v13
	v_cmp_eq_u32_e64 s[2:3], 0, v12
	v_and_b32_e32 v0, 7, v0
	s_nop 0
	v_cndmask_b32_e64 v1, v12, v1, s[2:3]
	v_cndmask_b32_e64 v0, v2, v0, s[2:3]
	v_lshlrev_b32_e32 v2, 8, v16
	v_lshl_add_u32 v1, v1, 10, v18
	v_and_or_b32 v1, v2, s27, v1
	v_lshl_or_b32 v0, v0, 7, v1
	v_cvt_f32_f16_e32 v61, v0
.LBB271_1152:                           ;   in Loop: Header=BB271_1071 Depth=1
	s_or_b64 exec, exec, s[20:21]
	v_lshrrev_b32_e32 v16, 24, v58
	v_cmp_lt_i16_e64 s[2:3], s17, v16
	s_mov_b64 s[20:21], 0
                                        ; implicit-def: $sgpr34
	s_and_saveexec_b64 s[22:23], s[2:3]
	s_xor_b64 s[22:23], exec, s[22:23]
	s_cbranch_execnz .LBB271_1692
; %bb.1153:                             ;   in Loop: Header=BB271_1071 Depth=1
	s_or_saveexec_b64 s[22:23], s[22:23]
	v_mov_b32_e32 v45, s34
	s_xor_b64 exec, exec, s[22:23]
	s_cbranch_execnz .LBB271_1695
.LBB271_1154:                           ;   in Loop: Header=BB271_1071 Depth=1
	s_or_b64 exec, exec, s[22:23]
	s_and_saveexec_b64 s[22:23], s[20:21]
	s_cbranch_execz .LBB271_1156
.LBB271_1155:                           ;   in Loop: Header=BB271_1071 Depth=1
	v_bfe_u32 v2, v58, 24, 3
	v_ffbh_u32_e32 v0, v2
	v_min_u32_e32 v13, 32, v0
	v_subrev_u32_e32 v0, 28, v13
	v_bfe_u32 v12, v58, 27, 4
	v_lshlrev_b64 v[0:1], v0, v[16:17]
	v_sub_u32_e32 v1, 29, v13
	v_cmp_eq_u32_e64 s[2:3], 0, v12
	v_and_b32_e32 v0, 7, v0
	s_nop 0
	v_cndmask_b32_e64 v1, v12, v1, s[2:3]
	v_cndmask_b32_e64 v0, v2, v0, s[2:3]
	v_lshlrev_b32_e32 v2, 8, v16
	v_lshl_add_u32 v1, v1, 10, v18
	v_and_or_b32 v1, v2, s27, v1
	v_lshl_or_b32 v0, v0, 7, v1
	v_cvt_f32_f16_e32 v45, v0
.LBB271_1156:                           ;   in Loop: Header=BB271_1071 Depth=1
	s_or_b64 exec, exec, s[22:23]
	v_cmp_gt_i16_sdwa s[20:21], v59, s17 src0_sel:BYTE_0 src1_sel:DWORD
	s_mov_b64 s[2:3], 0
                                        ; implicit-def: $sgpr24
	s_and_saveexec_b64 s[22:23], s[20:21]
	s_xor_b64 s[20:21], exec, s[22:23]
	s_cbranch_execnz .LBB271_1696
; %bb.1157:                             ;   in Loop: Header=BB271_1071 Depth=1
	s_or_saveexec_b64 s[20:21], s[20:21]
	v_mov_b32_e32 v0, s24
	s_xor_b64 exec, exec, s[20:21]
	s_cbranch_execnz .LBB271_1699
.LBB271_1158:                           ;   in Loop: Header=BB271_1071 Depth=1
	s_or_b64 exec, exec, s[20:21]
	v_mov_b32_e32 v16, v59
	s_and_saveexec_b64 s[20:21], s[2:3]
	s_cbranch_execz .LBB271_1160
.LBB271_1159:                           ;   in Loop: Header=BB271_1071 Depth=1
	v_and_b32_e32 v0, 7, v59
	v_ffbh_u32_e32 v0, v0
	v_bfe_u32 v1, v59, 3, 4
	v_min_u32_e32 v0, 32, v0
	v_subrev_u32_e32 v2, 28, v0
	v_sub_u32_e32 v0, 29, v0
	v_cmp_eq_u32_e64 s[2:3], 0, v1
	s_nop 1
	v_cndmask_b32_e64 v12, v1, v0, s[2:3]
	v_cndmask_b32_e64 v0, 0, v2, s[2:3]
	v_lshlrev_b64 v[0:1], v0, v[16:17]
	v_lshlrev_b32_e32 v1, 8, v59
	v_lshl_add_u32 v2, v12, 10, v18
	v_lshlrev_b32_e32 v0, 7, v0
	v_and_or_b32 v1, v1, s27, v2
	v_and_or_b32 v0, v0, s28, v1
	v_cvt_f32_f16_e32 v0, v0
.LBB271_1160:                           ;   in Loop: Header=BB271_1071 Depth=1
	s_or_b64 exec, exec, s[20:21]
	v_lshrrev_b16_e32 v16, 8, v16
	v_cmp_lt_i16_e64 s[2:3], s17, v16
	s_mov_b64 s[20:21], 0
                                        ; implicit-def: $sgpr34
	s_and_saveexec_b64 s[22:23], s[2:3]
	s_xor_b64 s[22:23], exec, s[22:23]
	s_cbranch_execnz .LBB271_1700
; %bb.1161:                             ;   in Loop: Header=BB271_1071 Depth=1
	s_or_saveexec_b64 s[22:23], s[22:23]
	v_mov_b32_e32 v1, s34
	s_xor_b64 exec, exec, s[22:23]
	s_cbranch_execnz .LBB271_1703
.LBB271_1162:                           ;   in Loop: Header=BB271_1071 Depth=1
	s_or_b64 exec, exec, s[22:23]
	s_and_saveexec_b64 s[22:23], s[20:21]
	s_cbranch_execz .LBB271_1164
.LBB271_1163:                           ;   in Loop: Header=BB271_1071 Depth=1
	v_and_b32_e32 v1, 7, v16
	v_ffbh_u32_e32 v12, v1
	v_min_u32_e32 v22, 32, v12
	v_subrev_u32_e32 v12, 28, v22
	v_bfe_u32 v2, v16, 3, 4
	v_lshlrev_b64 v[12:13], v12, v[16:17]
	v_sub_u32_e32 v13, 29, v22
	v_cmp_eq_u32_e64 s[2:3], 0, v2
	v_and_b32_e32 v12, 7, v12
	s_nop 0
	v_cndmask_b32_e64 v2, v2, v13, s[2:3]
	v_cndmask_b32_e64 v1, v1, v12, s[2:3]
	v_lshlrev_b32_e32 v12, 8, v16
	v_lshl_add_u32 v2, v2, 10, v18
	v_and_or_b32 v2, v12, s27, v2
	v_lshl_or_b32 v1, v1, 7, v2
	v_cvt_f32_f16_e32 v1, v1
.LBB271_1164:                           ;   in Loop: Header=BB271_1071 Depth=1
	s_or_b64 exec, exec, s[22:23]
	v_lshrrev_b32_e32 v16, 16, v59
	v_cmp_gt_i16_sdwa s[20:21], v16, s17 src0_sel:BYTE_0 src1_sel:DWORD
	s_mov_b64 s[2:3], 0
                                        ; implicit-def: $sgpr24
	s_and_saveexec_b64 s[22:23], s[20:21]
	s_xor_b64 s[20:21], exec, s[22:23]
	s_cbranch_execnz .LBB271_1704
; %bb.1165:                             ;   in Loop: Header=BB271_1071 Depth=1
	s_or_saveexec_b64 s[20:21], s[20:21]
	v_mov_b32_e32 v2, s24
	s_xor_b64 exec, exec, s[20:21]
	s_cbranch_execnz .LBB271_1707
.LBB271_1166:                           ;   in Loop: Header=BB271_1071 Depth=1
	s_or_b64 exec, exec, s[20:21]
	s_and_saveexec_b64 s[20:21], s[2:3]
	s_cbranch_execz .LBB271_1168
.LBB271_1167:                           ;   in Loop: Header=BB271_1071 Depth=1
	v_bfe_u32 v2, v59, 16, 3
	v_ffbh_u32_e32 v12, v2
	v_min_u32_e32 v23, 32, v12
	v_subrev_u32_e32 v12, 28, v23
	v_bfe_u32 v22, v59, 19, 4
	v_lshlrev_b64 v[12:13], v12, v[16:17]
	v_sub_u32_e32 v13, 29, v23
	v_cmp_eq_u32_e64 s[2:3], 0, v22
	v_and_b32_e32 v12, 7, v12
	s_nop 0
	v_cndmask_b32_e64 v13, v22, v13, s[2:3]
	v_cndmask_b32_e64 v2, v2, v12, s[2:3]
	v_lshlrev_b32_e32 v12, 8, v16
	v_lshl_add_u32 v13, v13, 10, v18
	v_and_or_b32 v12, v12, s27, v13
	v_lshl_or_b32 v2, v2, 7, v12
	v_cvt_f32_f16_e32 v2, v2
.LBB271_1168:                           ;   in Loop: Header=BB271_1071 Depth=1
	s_or_b64 exec, exec, s[20:21]
	v_lshrrev_b32_e32 v16, 24, v59
	v_cmp_lt_i16_e64 s[2:3], s17, v16
	s_mov_b64 s[20:21], 0
                                        ; implicit-def: $sgpr34
	s_and_saveexec_b64 s[22:23], s[2:3]
	s_xor_b64 s[22:23], exec, s[22:23]
	s_cbranch_execnz .LBB271_1708
; %bb.1169:                             ;   in Loop: Header=BB271_1071 Depth=1
	s_or_saveexec_b64 s[22:23], s[22:23]
	v_mov_b32_e32 v22, s34
	s_xor_b64 exec, exec, s[22:23]
	s_cbranch_execnz .LBB271_1711
.LBB271_1170:                           ;   in Loop: Header=BB271_1071 Depth=1
	s_or_b64 exec, exec, s[22:23]
	s_and_saveexec_b64 s[22:23], s[20:21]
	s_cbranch_execz .LBB271_1172
.LBB271_1171:                           ;   in Loop: Header=BB271_1071 Depth=1
	v_bfe_u32 v22, v59, 24, 3
	v_ffbh_u32_e32 v12, v22
	v_min_u32_e32 v24, 32, v12
	v_subrev_u32_e32 v12, 28, v24
	v_bfe_u32 v23, v59, 27, 4
	v_lshlrev_b64 v[12:13], v12, v[16:17]
	v_sub_u32_e32 v13, 29, v24
	v_cmp_eq_u32_e64 s[2:3], 0, v23
	v_and_b32_e32 v12, 7, v12
	v_lshlrev_b32_e32 v16, 8, v16
	v_cndmask_b32_e64 v13, v23, v13, s[2:3]
	v_lshl_add_u32 v13, v13, 10, v18
	v_cndmask_b32_e64 v12, v22, v12, s[2:3]
	v_and_or_b32 v13, v16, s27, v13
	v_lshl_or_b32 v12, v12, 7, v13
	v_cvt_f32_f16_e32 v22, v12
.LBB271_1172:                           ;   in Loop: Header=BB271_1071 Depth=1
	s_or_b64 exec, exec, s[22:23]
	s_waitcnt vmcnt(0) lgkmcnt(0)
	v_pk_mul_f32 v[12:13], v[56:57], v[44:45] op_sel_hi:[0,1]
	v_pk_mul_f32 v[24:25], v[56:57], v[60:61] op_sel_hi:[0,1]
	v_cvt_f16_f32_e32 v13, v13
	v_cvt_f16_f32_e32 v12, v12
	;; [unrolled: 1-line block ×4, first 2 shown]
	v_fma_mixlo_f16 v1, v56, v1, 0
	v_lshlrev_b32_e32 v1, 16, v1
	v_fma_mixlo_f16 v0, v56, v0, 0
	v_or_b32_sdwa v0, v1, v0 dst_sel:DWORD dst_unused:UNUSED_PAD src0_sel:DWORD src1_sel:WORD_0
	v_fma_mixlo_f16 v1, v56, v22, 0
	v_pack_b32_f16 v13, v12, v13
	v_pack_b32_f16 v16, v23, v16
	v_fma_mixlo_f16 v2, v56, v2, 0
	v_lshlrev_b32_e32 v1, 16, v1
	v_perm_b32 v12, v16, v13, s29
	v_perm_b32 v13, v16, v13, s30
	v_or_b32_sdwa v1, v1, v2 dst_sel:DWORD dst_unused:UNUSED_PAD src0_sel:DWORD src1_sel:WORD_0
	s_and_saveexec_b64 s[20:21], vcc
	s_cbranch_execz .LBB271_1174
; %bb.1173:                             ;   in Loop: Header=BB271_1071 Depth=1
	scratch_load_dwordx2 v[22:23], off, s32 offset:196 ; 8-byte Folded Reload
	v_lshrrev_b32_e32 v16, 16, v13
	v_cmp_lt_i32_e64 s[2:3], v26, v3
	v_lshrrev_b32_e32 v1, 16, v1
	s_nop 0
	v_cndmask_b32_e64 v16, 0, v16, s[2:3]
	s_waitcnt vmcnt(0)
	v_cmp_lt_i32_e64 s[2:3], v37, v22
	s_nop 1
	v_cndmask_b32_e64 v13, 0, v13, s[2:3]
	v_perm_b32 v13, v16, v13, s31
	v_lshrrev_b32_e32 v16, 16, v12
	v_cmp_lt_i32_e64 s[2:3], v55, v3
	s_nop 1
	v_cndmask_b32_e64 v16, 0, v16, s[2:3]
	v_cmp_lt_i32_e64 s[2:3], v54, v22
	s_nop 1
	v_cndmask_b32_e64 v12, 0, v12, s[2:3]
	v_perm_b32 v12, v16, v12, s31
	v_lshrrev_b32_e32 v16, 16, v0
	v_cmp_lt_i32_e64 s[2:3], v49, v3
	s_nop 1
	v_cndmask_b32_e64 v16, 0, v16, s[2:3]
	v_cmp_lt_i32_e64 s[2:3], v39, v22
	s_nop 1
	v_cndmask_b32_e64 v0, 0, v0, s[2:3]
	v_cmp_lt_i32_e64 s[2:3], v36, v3
	v_perm_b32 v0, v16, v0, s31
	s_nop 0
	v_cndmask_b32_e64 v1, 0, v1, s[2:3]
	v_cmp_lt_i32_e64 s[2:3], v19, v22
	s_nop 1
	v_cndmask_b32_e64 v2, 0, v2, s[2:3]
	v_perm_b32 v1, v1, v2, s31
.LBB271_1174:                           ;   in Loop: Header=BB271_1071 Depth=1
	s_or_b64 exec, exec, s[20:21]
	;;#ASMSTART
	v_pk_mul_f16 v2, v51, v13;

	;;#ASMEND
	;;#ASMSTART
	v_pk_mul_f16 v12, v50, v12;

	;;#ASMEND
	;; [unrolled: 4-line block ×4, first 2 shown]
	s_mov_b64 s[2:3], 0
	;;#ASMSTART
	v_pk_add_f16 v2, v2, v12;

	;;#ASMEND
                                        ; implicit-def: $sgpr24
	s_nop 0
	;;#ASMSTART
	v_pk_add_f16 v0, v2, v0;

	;;#ASMEND
	s_nop 0
	;;#ASMSTART
	v_pk_add_f16 v0, v0, v1;

	;;#ASMEND
	s_nop 0
	v_lshrrev_b32_e32 v1, 16, v0
	v_and_b32_e32 v0, 0xffff, v0
	;;#ASMSTART
	v_cvt_f32_f16 v0, v0;
	;;#ASMEND
	s_nop 0
	v_accvgpr_write_b32 a46, v0
	;;#ASMSTART
	v_cvt_f32_f16 v0, v1;
	;;#ASMEND
	s_nop 0
	v_accvgpr_write_b32 a47, v0
	flat_load_dwordx2 v[58:59], v[46:47] offset:1536
	scratch_load_dwordx2 v[0:1], off, s32 offset:188 ; 8-byte Folded Reload
	s_waitcnt vmcnt(0) lgkmcnt(0)
	v_cmp_gt_i16_sdwa s[20:21], v58, s17 src0_sel:BYTE_0 src1_sel:DWORD
	flat_load_dword v56, v[0:1]
	s_and_saveexec_b64 s[22:23], s[20:21]
	s_xor_b64 s[20:21], exec, s[22:23]
	s_cbranch_execnz .LBB271_1712
; %bb.1175:                             ;   in Loop: Header=BB271_1071 Depth=1
	s_or_saveexec_b64 s[20:21], s[20:21]
	v_mov_b32_e32 v60, s24
	s_xor_b64 exec, exec, s[20:21]
	s_cbranch_execnz .LBB271_1715
.LBB271_1176:                           ;   in Loop: Header=BB271_1071 Depth=1
	s_or_b64 exec, exec, s[20:21]
	s_and_saveexec_b64 s[20:21], s[2:3]
	s_cbranch_execz .LBB271_1178
.LBB271_1177:                           ;   in Loop: Header=BB271_1071 Depth=1
	v_and_b32_e32 v0, 7, v58
	v_ffbh_u32_e32 v0, v0
	v_bfe_u32 v1, v58, 3, 4
	v_min_u32_e32 v0, 32, v0
	v_subrev_u32_e32 v2, 28, v0
	v_sub_u32_e32 v0, 29, v0
	v_cmp_eq_u32_e64 s[2:3], 0, v1
	s_nop 1
	v_cndmask_b32_e64 v12, v1, v0, s[2:3]
	v_cndmask_b32_e64 v0, 0, v2, s[2:3]
	v_lshlrev_b64 v[0:1], v0, v[58:59]
	v_lshlrev_b32_e32 v1, 8, v58
	v_lshl_add_u32 v2, v12, 10, v18
	v_lshlrev_b32_e32 v0, 7, v0
	v_and_or_b32 v1, v1, s27, v2
	v_and_or_b32 v0, v0, s28, v1
	v_cvt_f32_f16_e32 v60, v0
.LBB271_1178:                           ;   in Loop: Header=BB271_1071 Depth=1
	s_or_b64 exec, exec, s[20:21]
	v_lshrrev_b16_e32 v16, 8, v58
	v_cmp_lt_i16_e64 s[2:3], s17, v16
	s_mov_b64 s[20:21], 0
                                        ; implicit-def: $sgpr34
	s_and_saveexec_b64 s[22:23], s[2:3]
	s_xor_b64 s[22:23], exec, s[22:23]
	s_cbranch_execnz .LBB271_1716
; %bb.1179:                             ;   in Loop: Header=BB271_1071 Depth=1
	s_or_saveexec_b64 s[22:23], s[22:23]
	v_mov_b32_e32 v44, s34
	s_xor_b64 exec, exec, s[22:23]
	s_cbranch_execnz .LBB271_1719
.LBB271_1180:                           ;   in Loop: Header=BB271_1071 Depth=1
	s_or_b64 exec, exec, s[22:23]
	s_and_saveexec_b64 s[22:23], s[20:21]
	s_cbranch_execz .LBB271_1182
.LBB271_1181:                           ;   in Loop: Header=BB271_1071 Depth=1
	v_and_b32_e32 v2, 7, v16
	v_ffbh_u32_e32 v0, v2
	v_min_u32_e32 v13, 32, v0
	v_subrev_u32_e32 v0, 28, v13
	v_bfe_u32 v12, v16, 3, 4
	v_lshlrev_b64 v[0:1], v0, v[16:17]
	v_sub_u32_e32 v1, 29, v13
	v_cmp_eq_u32_e64 s[2:3], 0, v12
	v_and_b32_e32 v0, 7, v0
	s_nop 0
	v_cndmask_b32_e64 v1, v12, v1, s[2:3]
	v_cndmask_b32_e64 v0, v2, v0, s[2:3]
	v_lshlrev_b32_e32 v2, 8, v16
	v_lshl_add_u32 v1, v1, 10, v18
	v_and_or_b32 v1, v2, s27, v1
	v_lshl_or_b32 v0, v0, 7, v1
	v_cvt_f32_f16_e32 v44, v0
.LBB271_1182:                           ;   in Loop: Header=BB271_1071 Depth=1
	s_or_b64 exec, exec, s[22:23]
	v_lshrrev_b32_e32 v16, 16, v58
	v_cmp_gt_i16_sdwa s[20:21], v16, s17 src0_sel:BYTE_0 src1_sel:DWORD
	s_mov_b64 s[2:3], 0
                                        ; implicit-def: $sgpr24
	s_and_saveexec_b64 s[22:23], s[20:21]
	s_xor_b64 s[20:21], exec, s[22:23]
	s_cbranch_execnz .LBB271_1720
; %bb.1183:                             ;   in Loop: Header=BB271_1071 Depth=1
	s_or_saveexec_b64 s[20:21], s[20:21]
	v_mov_b32_e32 v61, s24
	s_xor_b64 exec, exec, s[20:21]
	s_cbranch_execnz .LBB271_1723
.LBB271_1184:                           ;   in Loop: Header=BB271_1071 Depth=1
	s_or_b64 exec, exec, s[20:21]
	s_and_saveexec_b64 s[20:21], s[2:3]
	s_cbranch_execz .LBB271_1186
.LBB271_1185:                           ;   in Loop: Header=BB271_1071 Depth=1
	v_bfe_u32 v2, v58, 16, 3
	v_ffbh_u32_e32 v0, v2
	v_min_u32_e32 v13, 32, v0
	v_subrev_u32_e32 v0, 28, v13
	v_bfe_u32 v12, v58, 19, 4
	v_lshlrev_b64 v[0:1], v0, v[16:17]
	v_sub_u32_e32 v1, 29, v13
	v_cmp_eq_u32_e64 s[2:3], 0, v12
	v_and_b32_e32 v0, 7, v0
	s_nop 0
	v_cndmask_b32_e64 v1, v12, v1, s[2:3]
	v_cndmask_b32_e64 v0, v2, v0, s[2:3]
	v_lshlrev_b32_e32 v2, 8, v16
	v_lshl_add_u32 v1, v1, 10, v18
	v_and_or_b32 v1, v2, s27, v1
	v_lshl_or_b32 v0, v0, 7, v1
	v_cvt_f32_f16_e32 v61, v0
.LBB271_1186:                           ;   in Loop: Header=BB271_1071 Depth=1
	s_or_b64 exec, exec, s[20:21]
	v_lshrrev_b32_e32 v16, 24, v58
	v_cmp_lt_i16_e64 s[2:3], s17, v16
	s_mov_b64 s[20:21], 0
                                        ; implicit-def: $sgpr34
	s_and_saveexec_b64 s[22:23], s[2:3]
	s_xor_b64 s[22:23], exec, s[22:23]
	s_cbranch_execnz .LBB271_1724
; %bb.1187:                             ;   in Loop: Header=BB271_1071 Depth=1
	s_or_saveexec_b64 s[22:23], s[22:23]
	v_mov_b32_e32 v45, s34
	s_xor_b64 exec, exec, s[22:23]
	s_cbranch_execnz .LBB271_1727
.LBB271_1188:                           ;   in Loop: Header=BB271_1071 Depth=1
	s_or_b64 exec, exec, s[22:23]
	s_and_saveexec_b64 s[22:23], s[20:21]
	s_cbranch_execz .LBB271_1190
.LBB271_1189:                           ;   in Loop: Header=BB271_1071 Depth=1
	v_bfe_u32 v2, v58, 24, 3
	v_ffbh_u32_e32 v0, v2
	v_min_u32_e32 v13, 32, v0
	v_subrev_u32_e32 v0, 28, v13
	v_bfe_u32 v12, v58, 27, 4
	v_lshlrev_b64 v[0:1], v0, v[16:17]
	v_sub_u32_e32 v1, 29, v13
	v_cmp_eq_u32_e64 s[2:3], 0, v12
	v_and_b32_e32 v0, 7, v0
	s_nop 0
	v_cndmask_b32_e64 v1, v12, v1, s[2:3]
	v_cndmask_b32_e64 v0, v2, v0, s[2:3]
	v_lshlrev_b32_e32 v2, 8, v16
	v_lshl_add_u32 v1, v1, 10, v18
	v_and_or_b32 v1, v2, s27, v1
	v_lshl_or_b32 v0, v0, 7, v1
	v_cvt_f32_f16_e32 v45, v0
.LBB271_1190:                           ;   in Loop: Header=BB271_1071 Depth=1
	s_or_b64 exec, exec, s[22:23]
	v_cmp_gt_i16_sdwa s[20:21], v59, s17 src0_sel:BYTE_0 src1_sel:DWORD
	s_mov_b64 s[2:3], 0
                                        ; implicit-def: $sgpr24
	s_and_saveexec_b64 s[22:23], s[20:21]
	s_xor_b64 s[20:21], exec, s[22:23]
	s_cbranch_execnz .LBB271_1728
; %bb.1191:                             ;   in Loop: Header=BB271_1071 Depth=1
	s_or_saveexec_b64 s[20:21], s[20:21]
	v_mov_b32_e32 v0, s24
	s_xor_b64 exec, exec, s[20:21]
	s_cbranch_execnz .LBB271_1731
.LBB271_1192:                           ;   in Loop: Header=BB271_1071 Depth=1
	s_or_b64 exec, exec, s[20:21]
	v_mov_b32_e32 v16, v59
	s_and_saveexec_b64 s[20:21], s[2:3]
	s_cbranch_execz .LBB271_1194
.LBB271_1193:                           ;   in Loop: Header=BB271_1071 Depth=1
	v_and_b32_e32 v0, 7, v59
	v_ffbh_u32_e32 v0, v0
	v_bfe_u32 v1, v59, 3, 4
	v_min_u32_e32 v0, 32, v0
	v_subrev_u32_e32 v2, 28, v0
	v_sub_u32_e32 v0, 29, v0
	v_cmp_eq_u32_e64 s[2:3], 0, v1
	s_nop 1
	v_cndmask_b32_e64 v12, v1, v0, s[2:3]
	v_cndmask_b32_e64 v0, 0, v2, s[2:3]
	v_lshlrev_b64 v[0:1], v0, v[16:17]
	v_lshlrev_b32_e32 v1, 8, v59
	v_lshl_add_u32 v2, v12, 10, v18
	v_lshlrev_b32_e32 v0, 7, v0
	v_and_or_b32 v1, v1, s27, v2
	v_and_or_b32 v0, v0, s28, v1
	v_cvt_f32_f16_e32 v0, v0
.LBB271_1194:                           ;   in Loop: Header=BB271_1071 Depth=1
	s_or_b64 exec, exec, s[20:21]
	v_lshrrev_b16_e32 v16, 8, v16
	v_cmp_lt_i16_e64 s[2:3], s17, v16
	s_mov_b64 s[20:21], 0
                                        ; implicit-def: $sgpr34
	s_and_saveexec_b64 s[22:23], s[2:3]
	s_xor_b64 s[22:23], exec, s[22:23]
	s_cbranch_execnz .LBB271_1732
; %bb.1195:                             ;   in Loop: Header=BB271_1071 Depth=1
	s_or_saveexec_b64 s[22:23], s[22:23]
	v_mov_b32_e32 v1, s34
	s_xor_b64 exec, exec, s[22:23]
	s_cbranch_execnz .LBB271_1735
.LBB271_1196:                           ;   in Loop: Header=BB271_1071 Depth=1
	s_or_b64 exec, exec, s[22:23]
	s_and_saveexec_b64 s[22:23], s[20:21]
	s_cbranch_execz .LBB271_1198
.LBB271_1197:                           ;   in Loop: Header=BB271_1071 Depth=1
	v_and_b32_e32 v1, 7, v16
	v_ffbh_u32_e32 v12, v1
	v_min_u32_e32 v22, 32, v12
	v_subrev_u32_e32 v12, 28, v22
	v_bfe_u32 v2, v16, 3, 4
	v_lshlrev_b64 v[12:13], v12, v[16:17]
	v_sub_u32_e32 v13, 29, v22
	v_cmp_eq_u32_e64 s[2:3], 0, v2
	v_and_b32_e32 v12, 7, v12
	s_nop 0
	v_cndmask_b32_e64 v2, v2, v13, s[2:3]
	v_cndmask_b32_e64 v1, v1, v12, s[2:3]
	v_lshlrev_b32_e32 v12, 8, v16
	v_lshl_add_u32 v2, v2, 10, v18
	v_and_or_b32 v2, v12, s27, v2
	v_lshl_or_b32 v1, v1, 7, v2
	v_cvt_f32_f16_e32 v1, v1
.LBB271_1198:                           ;   in Loop: Header=BB271_1071 Depth=1
	s_or_b64 exec, exec, s[22:23]
	v_lshrrev_b32_e32 v16, 16, v59
	v_cmp_gt_i16_sdwa s[20:21], v16, s17 src0_sel:BYTE_0 src1_sel:DWORD
	s_mov_b64 s[2:3], 0
                                        ; implicit-def: $sgpr24
	s_and_saveexec_b64 s[22:23], s[20:21]
	s_xor_b64 s[20:21], exec, s[22:23]
	s_cbranch_execnz .LBB271_1736
; %bb.1199:                             ;   in Loop: Header=BB271_1071 Depth=1
	s_or_saveexec_b64 s[20:21], s[20:21]
	v_mov_b32_e32 v2, s24
	s_xor_b64 exec, exec, s[20:21]
	s_cbranch_execnz .LBB271_1739
.LBB271_1200:                           ;   in Loop: Header=BB271_1071 Depth=1
	s_or_b64 exec, exec, s[20:21]
	s_and_saveexec_b64 s[20:21], s[2:3]
	s_cbranch_execz .LBB271_1202
.LBB271_1201:                           ;   in Loop: Header=BB271_1071 Depth=1
	v_bfe_u32 v2, v59, 16, 3
	v_ffbh_u32_e32 v12, v2
	v_min_u32_e32 v23, 32, v12
	v_subrev_u32_e32 v12, 28, v23
	v_bfe_u32 v22, v59, 19, 4
	v_lshlrev_b64 v[12:13], v12, v[16:17]
	v_sub_u32_e32 v13, 29, v23
	v_cmp_eq_u32_e64 s[2:3], 0, v22
	v_and_b32_e32 v12, 7, v12
	s_nop 0
	v_cndmask_b32_e64 v13, v22, v13, s[2:3]
	v_cndmask_b32_e64 v2, v2, v12, s[2:3]
	v_lshlrev_b32_e32 v12, 8, v16
	v_lshl_add_u32 v13, v13, 10, v18
	v_and_or_b32 v12, v12, s27, v13
	v_lshl_or_b32 v2, v2, 7, v12
	v_cvt_f32_f16_e32 v2, v2
.LBB271_1202:                           ;   in Loop: Header=BB271_1071 Depth=1
	s_or_b64 exec, exec, s[20:21]
	v_lshrrev_b32_e32 v16, 24, v59
	v_cmp_lt_i16_e64 s[2:3], s17, v16
	s_mov_b64 s[20:21], 0
                                        ; implicit-def: $sgpr34
	s_and_saveexec_b64 s[22:23], s[2:3]
	s_xor_b64 s[22:23], exec, s[22:23]
	s_cbranch_execnz .LBB271_1740
; %bb.1203:                             ;   in Loop: Header=BB271_1071 Depth=1
	s_or_saveexec_b64 s[22:23], s[22:23]
	v_mov_b32_e32 v22, s34
	s_xor_b64 exec, exec, s[22:23]
	s_cbranch_execnz .LBB271_1743
.LBB271_1204:                           ;   in Loop: Header=BB271_1071 Depth=1
	s_or_b64 exec, exec, s[22:23]
	s_and_saveexec_b64 s[22:23], s[20:21]
	s_cbranch_execz .LBB271_1206
.LBB271_1205:                           ;   in Loop: Header=BB271_1071 Depth=1
	v_bfe_u32 v22, v59, 24, 3
	v_ffbh_u32_e32 v12, v22
	v_min_u32_e32 v24, 32, v12
	v_subrev_u32_e32 v12, 28, v24
	v_bfe_u32 v23, v59, 27, 4
	v_lshlrev_b64 v[12:13], v12, v[16:17]
	v_sub_u32_e32 v13, 29, v24
	v_cmp_eq_u32_e64 s[2:3], 0, v23
	v_and_b32_e32 v12, 7, v12
	v_lshlrev_b32_e32 v16, 8, v16
	v_cndmask_b32_e64 v13, v23, v13, s[2:3]
	v_lshl_add_u32 v13, v13, 10, v18
	v_cndmask_b32_e64 v12, v22, v12, s[2:3]
	v_and_or_b32 v13, v16, s27, v13
	v_lshl_or_b32 v12, v12, 7, v13
	v_cvt_f32_f16_e32 v22, v12
.LBB271_1206:                           ;   in Loop: Header=BB271_1071 Depth=1
	s_or_b64 exec, exec, s[22:23]
	s_waitcnt vmcnt(0) lgkmcnt(0)
	v_pk_mul_f32 v[12:13], v[56:57], v[44:45] op_sel_hi:[0,1]
	v_pk_mul_f32 v[24:25], v[56:57], v[60:61] op_sel_hi:[0,1]
	v_cvt_f16_f32_e32 v13, v13
	v_cvt_f16_f32_e32 v12, v12
	;; [unrolled: 1-line block ×4, first 2 shown]
	v_fma_mixlo_f16 v1, v56, v1, 0
	v_lshlrev_b32_e32 v1, 16, v1
	v_fma_mixlo_f16 v0, v56, v0, 0
	v_or_b32_sdwa v0, v1, v0 dst_sel:DWORD dst_unused:UNUSED_PAD src0_sel:DWORD src1_sel:WORD_0
	v_fma_mixlo_f16 v1, v56, v22, 0
	v_pack_b32_f16 v13, v12, v13
	v_pack_b32_f16 v16, v23, v16
	v_fma_mixlo_f16 v2, v56, v2, 0
	v_lshlrev_b32_e32 v1, 16, v1
	v_perm_b32 v12, v16, v13, s29
	v_perm_b32 v13, v16, v13, s30
	v_or_b32_sdwa v1, v1, v2 dst_sel:DWORD dst_unused:UNUSED_PAD src0_sel:DWORD src1_sel:WORD_0
	s_and_saveexec_b64 s[20:21], vcc
	s_cbranch_execz .LBB271_1208
; %bb.1207:                             ;   in Loop: Header=BB271_1071 Depth=1
	scratch_load_dwordx2 v[22:23], off, s32 offset:196 ; 8-byte Folded Reload
	v_lshrrev_b32_e32 v16, 16, v13
	v_cmp_lt_i32_e64 s[2:3], v26, v3
	v_lshrrev_b32_e32 v1, 16, v1
	s_nop 0
	v_cndmask_b32_e64 v16, 0, v16, s[2:3]
	s_waitcnt vmcnt(0)
	v_cmp_lt_i32_e64 s[2:3], v37, v22
	s_nop 1
	v_cndmask_b32_e64 v13, 0, v13, s[2:3]
	v_perm_b32 v13, v16, v13, s31
	v_lshrrev_b32_e32 v16, 16, v12
	v_cmp_lt_i32_e64 s[2:3], v55, v3
	s_nop 1
	v_cndmask_b32_e64 v16, 0, v16, s[2:3]
	v_cmp_lt_i32_e64 s[2:3], v54, v22
	s_nop 1
	v_cndmask_b32_e64 v12, 0, v12, s[2:3]
	v_perm_b32 v12, v16, v12, s31
	v_lshrrev_b32_e32 v16, 16, v0
	v_cmp_lt_i32_e64 s[2:3], v49, v3
	s_nop 1
	v_cndmask_b32_e64 v16, 0, v16, s[2:3]
	v_cmp_lt_i32_e64 s[2:3], v39, v22
	s_nop 1
	v_cndmask_b32_e64 v0, 0, v0, s[2:3]
	v_cmp_lt_i32_e64 s[2:3], v36, v3
	v_perm_b32 v0, v16, v0, s31
	s_nop 0
	v_cndmask_b32_e64 v1, 0, v1, s[2:3]
	v_cmp_lt_i32_e64 s[2:3], v19, v22
	s_nop 1
	v_cndmask_b32_e64 v2, 0, v2, s[2:3]
	v_perm_b32 v1, v1, v2, s31
.LBB271_1208:                           ;   in Loop: Header=BB271_1071 Depth=1
	s_or_b64 exec, exec, s[20:21]
	;;#ASMSTART
	v_pk_mul_f16 v2, v51, v13;

	;;#ASMEND
	;;#ASMSTART
	v_pk_mul_f16 v12, v50, v12;

	;;#ASMEND
	;;#ASMSTART
	v_pk_mul_f16 v0, v48, v0;

	;;#ASMEND
	;;#ASMSTART
	v_pk_mul_f16 v1, v38, v1;

	;;#ASMEND
	s_mov_b64 s[2:3], 0
	;;#ASMSTART
	v_pk_add_f16 v2, v2, v12;

	;;#ASMEND
                                        ; implicit-def: $sgpr24
	s_nop 0
	;;#ASMSTART
	v_pk_add_f16 v0, v2, v0;

	;;#ASMEND
	s_nop 0
	;;#ASMSTART
	v_pk_add_f16 v0, v0, v1;

	;;#ASMEND
	s_nop 0
	v_lshrrev_b32_e32 v1, 16, v0
	v_and_b32_e32 v0, 0xffff, v0
	;;#ASMSTART
	v_cvt_f32_f16 v0, v0;
	;;#ASMEND
	s_nop 0
	v_accvgpr_write_b32 a48, v0
	;;#ASMSTART
	v_cvt_f32_f16 v0, v1;
	;;#ASMEND
	s_nop 0
	v_accvgpr_write_b32 a49, v0
	flat_load_dwordx2 v[58:59], v[46:47] offset:2048
	scratch_load_dwordx2 v[0:1], off, s32 offset:188 ; 8-byte Folded Reload
	s_waitcnt vmcnt(0) lgkmcnt(0)
	v_cmp_gt_i16_sdwa s[20:21], v58, s17 src0_sel:BYTE_0 src1_sel:DWORD
	flat_load_dword v56, v[0:1]
	s_and_saveexec_b64 s[22:23], s[20:21]
	s_xor_b64 s[20:21], exec, s[22:23]
	s_cbranch_execnz .LBB271_1744
; %bb.1209:                             ;   in Loop: Header=BB271_1071 Depth=1
	s_or_saveexec_b64 s[20:21], s[20:21]
	v_mov_b32_e32 v60, s24
	s_xor_b64 exec, exec, s[20:21]
	s_cbranch_execnz .LBB271_1747
.LBB271_1210:                           ;   in Loop: Header=BB271_1071 Depth=1
	s_or_b64 exec, exec, s[20:21]
	s_and_saveexec_b64 s[20:21], s[2:3]
	s_cbranch_execz .LBB271_1212
.LBB271_1211:                           ;   in Loop: Header=BB271_1071 Depth=1
	v_and_b32_e32 v0, 7, v58
	v_ffbh_u32_e32 v0, v0
	v_bfe_u32 v1, v58, 3, 4
	v_min_u32_e32 v0, 32, v0
	v_subrev_u32_e32 v2, 28, v0
	v_sub_u32_e32 v0, 29, v0
	v_cmp_eq_u32_e64 s[2:3], 0, v1
	s_nop 1
	v_cndmask_b32_e64 v12, v1, v0, s[2:3]
	v_cndmask_b32_e64 v0, 0, v2, s[2:3]
	v_lshlrev_b64 v[0:1], v0, v[58:59]
	v_lshlrev_b32_e32 v1, 8, v58
	v_lshl_add_u32 v2, v12, 10, v18
	v_lshlrev_b32_e32 v0, 7, v0
	v_and_or_b32 v1, v1, s27, v2
	v_and_or_b32 v0, v0, s28, v1
	v_cvt_f32_f16_e32 v60, v0
.LBB271_1212:                           ;   in Loop: Header=BB271_1071 Depth=1
	s_or_b64 exec, exec, s[20:21]
	v_lshrrev_b16_e32 v16, 8, v58
	v_cmp_lt_i16_e64 s[2:3], s17, v16
	s_mov_b64 s[20:21], 0
                                        ; implicit-def: $sgpr34
	s_and_saveexec_b64 s[22:23], s[2:3]
	s_xor_b64 s[22:23], exec, s[22:23]
	s_cbranch_execnz .LBB271_1748
; %bb.1213:                             ;   in Loop: Header=BB271_1071 Depth=1
	s_or_saveexec_b64 s[22:23], s[22:23]
	v_mov_b32_e32 v44, s34
	s_xor_b64 exec, exec, s[22:23]
	s_cbranch_execnz .LBB271_1751
.LBB271_1214:                           ;   in Loop: Header=BB271_1071 Depth=1
	s_or_b64 exec, exec, s[22:23]
	s_and_saveexec_b64 s[22:23], s[20:21]
	s_cbranch_execz .LBB271_1216
.LBB271_1215:                           ;   in Loop: Header=BB271_1071 Depth=1
	v_and_b32_e32 v2, 7, v16
	v_ffbh_u32_e32 v0, v2
	v_min_u32_e32 v13, 32, v0
	v_subrev_u32_e32 v0, 28, v13
	v_bfe_u32 v12, v16, 3, 4
	v_lshlrev_b64 v[0:1], v0, v[16:17]
	v_sub_u32_e32 v1, 29, v13
	v_cmp_eq_u32_e64 s[2:3], 0, v12
	v_and_b32_e32 v0, 7, v0
	s_nop 0
	v_cndmask_b32_e64 v1, v12, v1, s[2:3]
	v_cndmask_b32_e64 v0, v2, v0, s[2:3]
	v_lshlrev_b32_e32 v2, 8, v16
	v_lshl_add_u32 v1, v1, 10, v18
	v_and_or_b32 v1, v2, s27, v1
	v_lshl_or_b32 v0, v0, 7, v1
	v_cvt_f32_f16_e32 v44, v0
.LBB271_1216:                           ;   in Loop: Header=BB271_1071 Depth=1
	s_or_b64 exec, exec, s[22:23]
	v_lshrrev_b32_e32 v16, 16, v58
	v_cmp_gt_i16_sdwa s[20:21], v16, s17 src0_sel:BYTE_0 src1_sel:DWORD
	s_mov_b64 s[2:3], 0
                                        ; implicit-def: $sgpr24
	s_and_saveexec_b64 s[22:23], s[20:21]
	s_xor_b64 s[20:21], exec, s[22:23]
	s_cbranch_execnz .LBB271_1752
; %bb.1217:                             ;   in Loop: Header=BB271_1071 Depth=1
	s_or_saveexec_b64 s[20:21], s[20:21]
	v_mov_b32_e32 v61, s24
	s_xor_b64 exec, exec, s[20:21]
	s_cbranch_execnz .LBB271_1755
.LBB271_1218:                           ;   in Loop: Header=BB271_1071 Depth=1
	s_or_b64 exec, exec, s[20:21]
	s_and_saveexec_b64 s[20:21], s[2:3]
	s_cbranch_execz .LBB271_1220
.LBB271_1219:                           ;   in Loop: Header=BB271_1071 Depth=1
	v_bfe_u32 v2, v58, 16, 3
	v_ffbh_u32_e32 v0, v2
	v_min_u32_e32 v13, 32, v0
	v_subrev_u32_e32 v0, 28, v13
	v_bfe_u32 v12, v58, 19, 4
	v_lshlrev_b64 v[0:1], v0, v[16:17]
	v_sub_u32_e32 v1, 29, v13
	v_cmp_eq_u32_e64 s[2:3], 0, v12
	v_and_b32_e32 v0, 7, v0
	s_nop 0
	v_cndmask_b32_e64 v1, v12, v1, s[2:3]
	v_cndmask_b32_e64 v0, v2, v0, s[2:3]
	v_lshlrev_b32_e32 v2, 8, v16
	v_lshl_add_u32 v1, v1, 10, v18
	v_and_or_b32 v1, v2, s27, v1
	v_lshl_or_b32 v0, v0, 7, v1
	v_cvt_f32_f16_e32 v61, v0
.LBB271_1220:                           ;   in Loop: Header=BB271_1071 Depth=1
	s_or_b64 exec, exec, s[20:21]
	v_lshrrev_b32_e32 v16, 24, v58
	v_cmp_lt_i16_e64 s[2:3], s17, v16
	s_mov_b64 s[20:21], 0
                                        ; implicit-def: $sgpr34
	s_and_saveexec_b64 s[22:23], s[2:3]
	s_xor_b64 s[22:23], exec, s[22:23]
	s_cbranch_execnz .LBB271_1756
; %bb.1221:                             ;   in Loop: Header=BB271_1071 Depth=1
	s_or_saveexec_b64 s[22:23], s[22:23]
	v_mov_b32_e32 v45, s34
	s_xor_b64 exec, exec, s[22:23]
	s_cbranch_execnz .LBB271_1759
.LBB271_1222:                           ;   in Loop: Header=BB271_1071 Depth=1
	s_or_b64 exec, exec, s[22:23]
	s_and_saveexec_b64 s[22:23], s[20:21]
	s_cbranch_execz .LBB271_1224
.LBB271_1223:                           ;   in Loop: Header=BB271_1071 Depth=1
	v_bfe_u32 v2, v58, 24, 3
	v_ffbh_u32_e32 v0, v2
	v_min_u32_e32 v13, 32, v0
	v_subrev_u32_e32 v0, 28, v13
	v_bfe_u32 v12, v58, 27, 4
	v_lshlrev_b64 v[0:1], v0, v[16:17]
	v_sub_u32_e32 v1, 29, v13
	v_cmp_eq_u32_e64 s[2:3], 0, v12
	v_and_b32_e32 v0, 7, v0
	s_nop 0
	v_cndmask_b32_e64 v1, v12, v1, s[2:3]
	v_cndmask_b32_e64 v0, v2, v0, s[2:3]
	v_lshlrev_b32_e32 v2, 8, v16
	v_lshl_add_u32 v1, v1, 10, v18
	v_and_or_b32 v1, v2, s27, v1
	v_lshl_or_b32 v0, v0, 7, v1
	v_cvt_f32_f16_e32 v45, v0
.LBB271_1224:                           ;   in Loop: Header=BB271_1071 Depth=1
	s_or_b64 exec, exec, s[22:23]
	v_cmp_gt_i16_sdwa s[20:21], v59, s17 src0_sel:BYTE_0 src1_sel:DWORD
	s_mov_b64 s[2:3], 0
                                        ; implicit-def: $sgpr24
	s_and_saveexec_b64 s[22:23], s[20:21]
	s_xor_b64 s[20:21], exec, s[22:23]
	s_cbranch_execnz .LBB271_1760
; %bb.1225:                             ;   in Loop: Header=BB271_1071 Depth=1
	s_or_saveexec_b64 s[20:21], s[20:21]
	v_mov_b32_e32 v0, s24
	s_xor_b64 exec, exec, s[20:21]
	s_cbranch_execnz .LBB271_1763
.LBB271_1226:                           ;   in Loop: Header=BB271_1071 Depth=1
	s_or_b64 exec, exec, s[20:21]
	v_mov_b32_e32 v16, v59
	s_and_saveexec_b64 s[20:21], s[2:3]
	s_cbranch_execz .LBB271_1228
.LBB271_1227:                           ;   in Loop: Header=BB271_1071 Depth=1
	v_and_b32_e32 v0, 7, v59
	v_ffbh_u32_e32 v0, v0
	v_bfe_u32 v1, v59, 3, 4
	v_min_u32_e32 v0, 32, v0
	v_subrev_u32_e32 v2, 28, v0
	v_sub_u32_e32 v0, 29, v0
	v_cmp_eq_u32_e64 s[2:3], 0, v1
	s_nop 1
	v_cndmask_b32_e64 v12, v1, v0, s[2:3]
	v_cndmask_b32_e64 v0, 0, v2, s[2:3]
	v_lshlrev_b64 v[0:1], v0, v[16:17]
	v_lshlrev_b32_e32 v1, 8, v59
	v_lshl_add_u32 v2, v12, 10, v18
	v_lshlrev_b32_e32 v0, 7, v0
	v_and_or_b32 v1, v1, s27, v2
	v_and_or_b32 v0, v0, s28, v1
	v_cvt_f32_f16_e32 v0, v0
.LBB271_1228:                           ;   in Loop: Header=BB271_1071 Depth=1
	s_or_b64 exec, exec, s[20:21]
	v_lshrrev_b16_e32 v16, 8, v16
	v_cmp_lt_i16_e64 s[2:3], s17, v16
	s_mov_b64 s[20:21], 0
                                        ; implicit-def: $sgpr34
	s_and_saveexec_b64 s[22:23], s[2:3]
	s_xor_b64 s[22:23], exec, s[22:23]
	s_cbranch_execnz .LBB271_1764
; %bb.1229:                             ;   in Loop: Header=BB271_1071 Depth=1
	s_or_saveexec_b64 s[22:23], s[22:23]
	v_mov_b32_e32 v1, s34
	s_xor_b64 exec, exec, s[22:23]
	s_cbranch_execnz .LBB271_1767
.LBB271_1230:                           ;   in Loop: Header=BB271_1071 Depth=1
	s_or_b64 exec, exec, s[22:23]
	s_and_saveexec_b64 s[22:23], s[20:21]
	s_cbranch_execz .LBB271_1232
.LBB271_1231:                           ;   in Loop: Header=BB271_1071 Depth=1
	v_and_b32_e32 v1, 7, v16
	v_ffbh_u32_e32 v12, v1
	v_min_u32_e32 v22, 32, v12
	v_subrev_u32_e32 v12, 28, v22
	v_bfe_u32 v2, v16, 3, 4
	v_lshlrev_b64 v[12:13], v12, v[16:17]
	v_sub_u32_e32 v13, 29, v22
	v_cmp_eq_u32_e64 s[2:3], 0, v2
	v_and_b32_e32 v12, 7, v12
	s_nop 0
	v_cndmask_b32_e64 v2, v2, v13, s[2:3]
	v_cndmask_b32_e64 v1, v1, v12, s[2:3]
	v_lshlrev_b32_e32 v12, 8, v16
	v_lshl_add_u32 v2, v2, 10, v18
	v_and_or_b32 v2, v12, s27, v2
	v_lshl_or_b32 v1, v1, 7, v2
	v_cvt_f32_f16_e32 v1, v1
.LBB271_1232:                           ;   in Loop: Header=BB271_1071 Depth=1
	s_or_b64 exec, exec, s[22:23]
	v_lshrrev_b32_e32 v16, 16, v59
	v_cmp_gt_i16_sdwa s[20:21], v16, s17 src0_sel:BYTE_0 src1_sel:DWORD
	s_mov_b64 s[2:3], 0
                                        ; implicit-def: $sgpr24
	s_and_saveexec_b64 s[22:23], s[20:21]
	s_xor_b64 s[20:21], exec, s[22:23]
	s_cbranch_execnz .LBB271_1768
; %bb.1233:                             ;   in Loop: Header=BB271_1071 Depth=1
	s_or_saveexec_b64 s[20:21], s[20:21]
	v_mov_b32_e32 v2, s24
	s_xor_b64 exec, exec, s[20:21]
	s_cbranch_execnz .LBB271_1771
.LBB271_1234:                           ;   in Loop: Header=BB271_1071 Depth=1
	s_or_b64 exec, exec, s[20:21]
	s_and_saveexec_b64 s[20:21], s[2:3]
	s_cbranch_execz .LBB271_1236
.LBB271_1235:                           ;   in Loop: Header=BB271_1071 Depth=1
	v_bfe_u32 v2, v59, 16, 3
	v_ffbh_u32_e32 v12, v2
	v_min_u32_e32 v23, 32, v12
	v_subrev_u32_e32 v12, 28, v23
	v_bfe_u32 v22, v59, 19, 4
	v_lshlrev_b64 v[12:13], v12, v[16:17]
	v_sub_u32_e32 v13, 29, v23
	v_cmp_eq_u32_e64 s[2:3], 0, v22
	v_and_b32_e32 v12, 7, v12
	s_nop 0
	v_cndmask_b32_e64 v13, v22, v13, s[2:3]
	v_cndmask_b32_e64 v2, v2, v12, s[2:3]
	v_lshlrev_b32_e32 v12, 8, v16
	v_lshl_add_u32 v13, v13, 10, v18
	v_and_or_b32 v12, v12, s27, v13
	v_lshl_or_b32 v2, v2, 7, v12
	v_cvt_f32_f16_e32 v2, v2
.LBB271_1236:                           ;   in Loop: Header=BB271_1071 Depth=1
	s_or_b64 exec, exec, s[20:21]
	v_lshrrev_b32_e32 v16, 24, v59
	v_cmp_lt_i16_e64 s[2:3], s17, v16
	s_mov_b64 s[20:21], 0
                                        ; implicit-def: $sgpr34
	s_and_saveexec_b64 s[22:23], s[2:3]
	s_xor_b64 s[22:23], exec, s[22:23]
	s_cbranch_execnz .LBB271_1772
; %bb.1237:                             ;   in Loop: Header=BB271_1071 Depth=1
	s_or_saveexec_b64 s[22:23], s[22:23]
	v_mov_b32_e32 v22, s34
	s_xor_b64 exec, exec, s[22:23]
	s_cbranch_execnz .LBB271_1775
.LBB271_1238:                           ;   in Loop: Header=BB271_1071 Depth=1
	s_or_b64 exec, exec, s[22:23]
	s_and_saveexec_b64 s[22:23], s[20:21]
	s_cbranch_execz .LBB271_1240
.LBB271_1239:                           ;   in Loop: Header=BB271_1071 Depth=1
	v_bfe_u32 v22, v59, 24, 3
	v_ffbh_u32_e32 v12, v22
	v_min_u32_e32 v24, 32, v12
	v_subrev_u32_e32 v12, 28, v24
	v_bfe_u32 v23, v59, 27, 4
	v_lshlrev_b64 v[12:13], v12, v[16:17]
	v_sub_u32_e32 v13, 29, v24
	v_cmp_eq_u32_e64 s[2:3], 0, v23
	v_and_b32_e32 v12, 7, v12
	v_lshlrev_b32_e32 v16, 8, v16
	v_cndmask_b32_e64 v13, v23, v13, s[2:3]
	v_lshl_add_u32 v13, v13, 10, v18
	v_cndmask_b32_e64 v12, v22, v12, s[2:3]
	v_and_or_b32 v13, v16, s27, v13
	v_lshl_or_b32 v12, v12, 7, v13
	v_cvt_f32_f16_e32 v22, v12
.LBB271_1240:                           ;   in Loop: Header=BB271_1071 Depth=1
	s_or_b64 exec, exec, s[22:23]
	s_waitcnt vmcnt(0) lgkmcnt(0)
	v_pk_mul_f32 v[12:13], v[56:57], v[44:45] op_sel_hi:[0,1]
	v_pk_mul_f32 v[24:25], v[56:57], v[60:61] op_sel_hi:[0,1]
	v_cvt_f16_f32_e32 v13, v13
	v_cvt_f16_f32_e32 v12, v12
	v_cvt_f16_f32_e32 v16, v25
	v_cvt_f16_f32_e32 v23, v24
	v_fma_mixlo_f16 v1, v56, v1, 0
	v_lshlrev_b32_e32 v1, 16, v1
	v_fma_mixlo_f16 v0, v56, v0, 0
	v_or_b32_sdwa v0, v1, v0 dst_sel:DWORD dst_unused:UNUSED_PAD src0_sel:DWORD src1_sel:WORD_0
	v_fma_mixlo_f16 v1, v56, v22, 0
	v_pack_b32_f16 v13, v12, v13
	v_pack_b32_f16 v16, v23, v16
	v_fma_mixlo_f16 v2, v56, v2, 0
	v_lshlrev_b32_e32 v1, 16, v1
	v_perm_b32 v12, v16, v13, s29
	v_perm_b32 v13, v16, v13, s30
	v_or_b32_sdwa v1, v1, v2 dst_sel:DWORD dst_unused:UNUSED_PAD src0_sel:DWORD src1_sel:WORD_0
	s_and_saveexec_b64 s[20:21], vcc
	s_cbranch_execz .LBB271_1242
; %bb.1241:                             ;   in Loop: Header=BB271_1071 Depth=1
	scratch_load_dwordx2 v[22:23], off, s32 offset:196 ; 8-byte Folded Reload
	v_lshrrev_b32_e32 v16, 16, v13
	v_cmp_lt_i32_e64 s[2:3], v26, v3
	v_lshrrev_b32_e32 v1, 16, v1
	s_nop 0
	v_cndmask_b32_e64 v16, 0, v16, s[2:3]
	s_waitcnt vmcnt(0)
	v_cmp_lt_i32_e64 s[2:3], v37, v22
	s_nop 1
	v_cndmask_b32_e64 v13, 0, v13, s[2:3]
	v_perm_b32 v13, v16, v13, s31
	v_lshrrev_b32_e32 v16, 16, v12
	v_cmp_lt_i32_e64 s[2:3], v55, v3
	s_nop 1
	v_cndmask_b32_e64 v16, 0, v16, s[2:3]
	v_cmp_lt_i32_e64 s[2:3], v54, v22
	s_nop 1
	v_cndmask_b32_e64 v12, 0, v12, s[2:3]
	v_perm_b32 v12, v16, v12, s31
	v_lshrrev_b32_e32 v16, 16, v0
	v_cmp_lt_i32_e64 s[2:3], v49, v3
	s_nop 1
	v_cndmask_b32_e64 v16, 0, v16, s[2:3]
	v_cmp_lt_i32_e64 s[2:3], v39, v22
	s_nop 1
	v_cndmask_b32_e64 v0, 0, v0, s[2:3]
	v_cmp_lt_i32_e64 s[2:3], v36, v3
	v_perm_b32 v0, v16, v0, s31
	s_nop 0
	v_cndmask_b32_e64 v1, 0, v1, s[2:3]
	v_cmp_lt_i32_e64 s[2:3], v19, v22
	s_nop 1
	v_cndmask_b32_e64 v2, 0, v2, s[2:3]
	v_perm_b32 v1, v1, v2, s31
.LBB271_1242:                           ;   in Loop: Header=BB271_1071 Depth=1
	s_or_b64 exec, exec, s[20:21]
	;;#ASMSTART
	v_pk_mul_f16 v2, v51, v13;

	;;#ASMEND
	;;#ASMSTART
	v_pk_mul_f16 v12, v50, v12;

	;;#ASMEND
	;; [unrolled: 4-line block ×4, first 2 shown]
	s_mov_b64 s[2:3], 0
	;;#ASMSTART
	v_pk_add_f16 v2, v2, v12;

	;;#ASMEND
                                        ; implicit-def: $sgpr24
	s_nop 0
	;;#ASMSTART
	v_pk_add_f16 v0, v2, v0;

	;;#ASMEND
	s_nop 0
	;;#ASMSTART
	v_pk_add_f16 v0, v0, v1;

	;;#ASMEND
	s_nop 0
	v_lshrrev_b32_e32 v1, 16, v0
	v_and_b32_e32 v0, 0xffff, v0
	;;#ASMSTART
	v_cvt_f32_f16 v0, v0;
	;;#ASMEND
	s_nop 0
	v_accvgpr_write_b32 a50, v0
	;;#ASMSTART
	v_cvt_f32_f16 v0, v1;
	;;#ASMEND
	s_nop 0
	v_accvgpr_write_b32 a51, v0
	flat_load_dwordx2 v[58:59], v[46:47] offset:2560
	scratch_load_dwordx2 v[0:1], off, s32 offset:188 ; 8-byte Folded Reload
	s_waitcnt vmcnt(0) lgkmcnt(0)
	v_cmp_gt_i16_sdwa s[20:21], v58, s17 src0_sel:BYTE_0 src1_sel:DWORD
	flat_load_dword v56, v[0:1]
	s_and_saveexec_b64 s[22:23], s[20:21]
	s_xor_b64 s[20:21], exec, s[22:23]
	s_cbranch_execnz .LBB271_1776
; %bb.1243:                             ;   in Loop: Header=BB271_1071 Depth=1
	s_or_saveexec_b64 s[20:21], s[20:21]
	v_mov_b32_e32 v60, s24
	s_xor_b64 exec, exec, s[20:21]
	s_cbranch_execnz .LBB271_1779
.LBB271_1244:                           ;   in Loop: Header=BB271_1071 Depth=1
	s_or_b64 exec, exec, s[20:21]
	s_and_saveexec_b64 s[20:21], s[2:3]
	s_cbranch_execz .LBB271_1246
.LBB271_1245:                           ;   in Loop: Header=BB271_1071 Depth=1
	v_and_b32_e32 v0, 7, v58
	v_ffbh_u32_e32 v0, v0
	v_bfe_u32 v1, v58, 3, 4
	v_min_u32_e32 v0, 32, v0
	v_subrev_u32_e32 v2, 28, v0
	v_sub_u32_e32 v0, 29, v0
	v_cmp_eq_u32_e64 s[2:3], 0, v1
	s_nop 1
	v_cndmask_b32_e64 v12, v1, v0, s[2:3]
	v_cndmask_b32_e64 v0, 0, v2, s[2:3]
	v_lshlrev_b64 v[0:1], v0, v[58:59]
	v_lshlrev_b32_e32 v1, 8, v58
	v_lshl_add_u32 v2, v12, 10, v18
	v_lshlrev_b32_e32 v0, 7, v0
	v_and_or_b32 v1, v1, s27, v2
	v_and_or_b32 v0, v0, s28, v1
	v_cvt_f32_f16_e32 v60, v0
.LBB271_1246:                           ;   in Loop: Header=BB271_1071 Depth=1
	s_or_b64 exec, exec, s[20:21]
	v_lshrrev_b16_e32 v16, 8, v58
	v_cmp_lt_i16_e64 s[2:3], s17, v16
	s_mov_b64 s[20:21], 0
                                        ; implicit-def: $sgpr34
	s_and_saveexec_b64 s[22:23], s[2:3]
	s_xor_b64 s[22:23], exec, s[22:23]
	s_cbranch_execnz .LBB271_1780
; %bb.1247:                             ;   in Loop: Header=BB271_1071 Depth=1
	s_or_saveexec_b64 s[22:23], s[22:23]
	v_mov_b32_e32 v44, s34
	s_xor_b64 exec, exec, s[22:23]
	s_cbranch_execnz .LBB271_1783
.LBB271_1248:                           ;   in Loop: Header=BB271_1071 Depth=1
	s_or_b64 exec, exec, s[22:23]
	s_and_saveexec_b64 s[22:23], s[20:21]
	s_cbranch_execz .LBB271_1250
.LBB271_1249:                           ;   in Loop: Header=BB271_1071 Depth=1
	v_and_b32_e32 v2, 7, v16
	v_ffbh_u32_e32 v0, v2
	v_min_u32_e32 v13, 32, v0
	v_subrev_u32_e32 v0, 28, v13
	v_bfe_u32 v12, v16, 3, 4
	v_lshlrev_b64 v[0:1], v0, v[16:17]
	v_sub_u32_e32 v1, 29, v13
	v_cmp_eq_u32_e64 s[2:3], 0, v12
	v_and_b32_e32 v0, 7, v0
	s_nop 0
	v_cndmask_b32_e64 v1, v12, v1, s[2:3]
	v_cndmask_b32_e64 v0, v2, v0, s[2:3]
	v_lshlrev_b32_e32 v2, 8, v16
	v_lshl_add_u32 v1, v1, 10, v18
	v_and_or_b32 v1, v2, s27, v1
	v_lshl_or_b32 v0, v0, 7, v1
	v_cvt_f32_f16_e32 v44, v0
.LBB271_1250:                           ;   in Loop: Header=BB271_1071 Depth=1
	s_or_b64 exec, exec, s[22:23]
	v_lshrrev_b32_e32 v16, 16, v58
	v_cmp_gt_i16_sdwa s[20:21], v16, s17 src0_sel:BYTE_0 src1_sel:DWORD
	s_mov_b64 s[2:3], 0
                                        ; implicit-def: $sgpr24
	s_and_saveexec_b64 s[22:23], s[20:21]
	s_xor_b64 s[20:21], exec, s[22:23]
	s_cbranch_execnz .LBB271_1784
; %bb.1251:                             ;   in Loop: Header=BB271_1071 Depth=1
	s_or_saveexec_b64 s[20:21], s[20:21]
	v_mov_b32_e32 v61, s24
	s_xor_b64 exec, exec, s[20:21]
	s_cbranch_execnz .LBB271_1787
.LBB271_1252:                           ;   in Loop: Header=BB271_1071 Depth=1
	s_or_b64 exec, exec, s[20:21]
	s_and_saveexec_b64 s[20:21], s[2:3]
	s_cbranch_execz .LBB271_1254
.LBB271_1253:                           ;   in Loop: Header=BB271_1071 Depth=1
	v_bfe_u32 v2, v58, 16, 3
	v_ffbh_u32_e32 v0, v2
	v_min_u32_e32 v13, 32, v0
	v_subrev_u32_e32 v0, 28, v13
	v_bfe_u32 v12, v58, 19, 4
	v_lshlrev_b64 v[0:1], v0, v[16:17]
	v_sub_u32_e32 v1, 29, v13
	v_cmp_eq_u32_e64 s[2:3], 0, v12
	v_and_b32_e32 v0, 7, v0
	s_nop 0
	v_cndmask_b32_e64 v1, v12, v1, s[2:3]
	v_cndmask_b32_e64 v0, v2, v0, s[2:3]
	v_lshlrev_b32_e32 v2, 8, v16
	v_lshl_add_u32 v1, v1, 10, v18
	v_and_or_b32 v1, v2, s27, v1
	v_lshl_or_b32 v0, v0, 7, v1
	v_cvt_f32_f16_e32 v61, v0
.LBB271_1254:                           ;   in Loop: Header=BB271_1071 Depth=1
	s_or_b64 exec, exec, s[20:21]
	v_lshrrev_b32_e32 v16, 24, v58
	v_cmp_lt_i16_e64 s[2:3], s17, v16
	s_mov_b64 s[20:21], 0
                                        ; implicit-def: $sgpr34
	s_and_saveexec_b64 s[22:23], s[2:3]
	s_xor_b64 s[22:23], exec, s[22:23]
	s_cbranch_execnz .LBB271_1788
; %bb.1255:                             ;   in Loop: Header=BB271_1071 Depth=1
	s_or_saveexec_b64 s[22:23], s[22:23]
	v_mov_b32_e32 v45, s34
	s_xor_b64 exec, exec, s[22:23]
	s_cbranch_execnz .LBB271_1791
.LBB271_1256:                           ;   in Loop: Header=BB271_1071 Depth=1
	s_or_b64 exec, exec, s[22:23]
	s_and_saveexec_b64 s[22:23], s[20:21]
	s_cbranch_execz .LBB271_1258
.LBB271_1257:                           ;   in Loop: Header=BB271_1071 Depth=1
	v_bfe_u32 v2, v58, 24, 3
	v_ffbh_u32_e32 v0, v2
	v_min_u32_e32 v13, 32, v0
	v_subrev_u32_e32 v0, 28, v13
	v_bfe_u32 v12, v58, 27, 4
	v_lshlrev_b64 v[0:1], v0, v[16:17]
	v_sub_u32_e32 v1, 29, v13
	v_cmp_eq_u32_e64 s[2:3], 0, v12
	v_and_b32_e32 v0, 7, v0
	s_nop 0
	v_cndmask_b32_e64 v1, v12, v1, s[2:3]
	v_cndmask_b32_e64 v0, v2, v0, s[2:3]
	v_lshlrev_b32_e32 v2, 8, v16
	v_lshl_add_u32 v1, v1, 10, v18
	v_and_or_b32 v1, v2, s27, v1
	v_lshl_or_b32 v0, v0, 7, v1
	v_cvt_f32_f16_e32 v45, v0
.LBB271_1258:                           ;   in Loop: Header=BB271_1071 Depth=1
	s_or_b64 exec, exec, s[22:23]
	v_cmp_gt_i16_sdwa s[20:21], v59, s17 src0_sel:BYTE_0 src1_sel:DWORD
	s_mov_b64 s[2:3], 0
                                        ; implicit-def: $sgpr24
	s_and_saveexec_b64 s[22:23], s[20:21]
	s_xor_b64 s[20:21], exec, s[22:23]
	s_cbranch_execnz .LBB271_1792
; %bb.1259:                             ;   in Loop: Header=BB271_1071 Depth=1
	s_or_saveexec_b64 s[20:21], s[20:21]
	v_mov_b32_e32 v0, s24
	s_xor_b64 exec, exec, s[20:21]
	s_cbranch_execnz .LBB271_1795
.LBB271_1260:                           ;   in Loop: Header=BB271_1071 Depth=1
	s_or_b64 exec, exec, s[20:21]
	v_mov_b32_e32 v16, v59
	s_and_saveexec_b64 s[20:21], s[2:3]
	s_cbranch_execz .LBB271_1262
.LBB271_1261:                           ;   in Loop: Header=BB271_1071 Depth=1
	v_and_b32_e32 v0, 7, v59
	v_ffbh_u32_e32 v0, v0
	v_bfe_u32 v1, v59, 3, 4
	v_min_u32_e32 v0, 32, v0
	v_subrev_u32_e32 v2, 28, v0
	v_sub_u32_e32 v0, 29, v0
	v_cmp_eq_u32_e64 s[2:3], 0, v1
	s_nop 1
	v_cndmask_b32_e64 v12, v1, v0, s[2:3]
	v_cndmask_b32_e64 v0, 0, v2, s[2:3]
	v_lshlrev_b64 v[0:1], v0, v[16:17]
	v_lshlrev_b32_e32 v1, 8, v59
	v_lshl_add_u32 v2, v12, 10, v18
	v_lshlrev_b32_e32 v0, 7, v0
	v_and_or_b32 v1, v1, s27, v2
	v_and_or_b32 v0, v0, s28, v1
	v_cvt_f32_f16_e32 v0, v0
.LBB271_1262:                           ;   in Loop: Header=BB271_1071 Depth=1
	s_or_b64 exec, exec, s[20:21]
	v_lshrrev_b16_e32 v16, 8, v16
	v_cmp_lt_i16_e64 s[2:3], s17, v16
	s_mov_b64 s[20:21], 0
                                        ; implicit-def: $sgpr34
	s_and_saveexec_b64 s[22:23], s[2:3]
	s_xor_b64 s[22:23], exec, s[22:23]
	s_cbranch_execnz .LBB271_1796
; %bb.1263:                             ;   in Loop: Header=BB271_1071 Depth=1
	s_or_saveexec_b64 s[22:23], s[22:23]
	v_mov_b32_e32 v1, s34
	s_xor_b64 exec, exec, s[22:23]
	s_cbranch_execnz .LBB271_1799
.LBB271_1264:                           ;   in Loop: Header=BB271_1071 Depth=1
	s_or_b64 exec, exec, s[22:23]
	s_and_saveexec_b64 s[22:23], s[20:21]
	s_cbranch_execz .LBB271_1266
.LBB271_1265:                           ;   in Loop: Header=BB271_1071 Depth=1
	v_and_b32_e32 v1, 7, v16
	v_ffbh_u32_e32 v12, v1
	v_min_u32_e32 v22, 32, v12
	v_subrev_u32_e32 v12, 28, v22
	v_bfe_u32 v2, v16, 3, 4
	v_lshlrev_b64 v[12:13], v12, v[16:17]
	v_sub_u32_e32 v13, 29, v22
	v_cmp_eq_u32_e64 s[2:3], 0, v2
	v_and_b32_e32 v12, 7, v12
	s_nop 0
	v_cndmask_b32_e64 v2, v2, v13, s[2:3]
	v_cndmask_b32_e64 v1, v1, v12, s[2:3]
	v_lshlrev_b32_e32 v12, 8, v16
	v_lshl_add_u32 v2, v2, 10, v18
	v_and_or_b32 v2, v12, s27, v2
	v_lshl_or_b32 v1, v1, 7, v2
	v_cvt_f32_f16_e32 v1, v1
.LBB271_1266:                           ;   in Loop: Header=BB271_1071 Depth=1
	s_or_b64 exec, exec, s[22:23]
	v_lshrrev_b32_e32 v16, 16, v59
	v_cmp_gt_i16_sdwa s[20:21], v16, s17 src0_sel:BYTE_0 src1_sel:DWORD
	s_mov_b64 s[2:3], 0
                                        ; implicit-def: $sgpr24
	s_and_saveexec_b64 s[22:23], s[20:21]
	s_xor_b64 s[20:21], exec, s[22:23]
	s_cbranch_execnz .LBB271_1800
; %bb.1267:                             ;   in Loop: Header=BB271_1071 Depth=1
	s_or_saveexec_b64 s[20:21], s[20:21]
	v_mov_b32_e32 v2, s24
	s_xor_b64 exec, exec, s[20:21]
	s_cbranch_execnz .LBB271_1803
.LBB271_1268:                           ;   in Loop: Header=BB271_1071 Depth=1
	s_or_b64 exec, exec, s[20:21]
	s_and_saveexec_b64 s[20:21], s[2:3]
	s_cbranch_execz .LBB271_1270
.LBB271_1269:                           ;   in Loop: Header=BB271_1071 Depth=1
	v_bfe_u32 v2, v59, 16, 3
	v_ffbh_u32_e32 v12, v2
	v_min_u32_e32 v23, 32, v12
	v_subrev_u32_e32 v12, 28, v23
	v_bfe_u32 v22, v59, 19, 4
	v_lshlrev_b64 v[12:13], v12, v[16:17]
	v_sub_u32_e32 v13, 29, v23
	v_cmp_eq_u32_e64 s[2:3], 0, v22
	v_and_b32_e32 v12, 7, v12
	s_nop 0
	v_cndmask_b32_e64 v13, v22, v13, s[2:3]
	v_cndmask_b32_e64 v2, v2, v12, s[2:3]
	v_lshlrev_b32_e32 v12, 8, v16
	v_lshl_add_u32 v13, v13, 10, v18
	v_and_or_b32 v12, v12, s27, v13
	v_lshl_or_b32 v2, v2, 7, v12
	v_cvt_f32_f16_e32 v2, v2
.LBB271_1270:                           ;   in Loop: Header=BB271_1071 Depth=1
	s_or_b64 exec, exec, s[20:21]
	v_lshrrev_b32_e32 v16, 24, v59
	v_cmp_lt_i16_e64 s[2:3], s17, v16
	s_mov_b64 s[20:21], 0
                                        ; implicit-def: $sgpr34
	s_and_saveexec_b64 s[22:23], s[2:3]
	s_xor_b64 s[22:23], exec, s[22:23]
	s_cbranch_execnz .LBB271_1804
; %bb.1271:                             ;   in Loop: Header=BB271_1071 Depth=1
	s_or_saveexec_b64 s[22:23], s[22:23]
	v_mov_b32_e32 v22, s34
	s_xor_b64 exec, exec, s[22:23]
	s_cbranch_execnz .LBB271_1807
.LBB271_1272:                           ;   in Loop: Header=BB271_1071 Depth=1
	s_or_b64 exec, exec, s[22:23]
	s_and_saveexec_b64 s[22:23], s[20:21]
	s_cbranch_execz .LBB271_1274
.LBB271_1273:                           ;   in Loop: Header=BB271_1071 Depth=1
	v_bfe_u32 v22, v59, 24, 3
	v_ffbh_u32_e32 v12, v22
	v_min_u32_e32 v24, 32, v12
	v_subrev_u32_e32 v12, 28, v24
	v_bfe_u32 v23, v59, 27, 4
	v_lshlrev_b64 v[12:13], v12, v[16:17]
	v_sub_u32_e32 v13, 29, v24
	v_cmp_eq_u32_e64 s[2:3], 0, v23
	v_and_b32_e32 v12, 7, v12
	v_lshlrev_b32_e32 v16, 8, v16
	v_cndmask_b32_e64 v13, v23, v13, s[2:3]
	v_lshl_add_u32 v13, v13, 10, v18
	v_cndmask_b32_e64 v12, v22, v12, s[2:3]
	v_and_or_b32 v13, v16, s27, v13
	v_lshl_or_b32 v12, v12, 7, v13
	v_cvt_f32_f16_e32 v22, v12
.LBB271_1274:                           ;   in Loop: Header=BB271_1071 Depth=1
	s_or_b64 exec, exec, s[22:23]
	s_waitcnt vmcnt(0) lgkmcnt(0)
	v_pk_mul_f32 v[12:13], v[56:57], v[44:45] op_sel_hi:[0,1]
	v_pk_mul_f32 v[24:25], v[56:57], v[60:61] op_sel_hi:[0,1]
	v_cvt_f16_f32_e32 v13, v13
	v_cvt_f16_f32_e32 v12, v12
	;; [unrolled: 1-line block ×4, first 2 shown]
	v_fma_mixlo_f16 v1, v56, v1, 0
	v_lshlrev_b32_e32 v1, 16, v1
	v_fma_mixlo_f16 v0, v56, v0, 0
	v_or_b32_sdwa v0, v1, v0 dst_sel:DWORD dst_unused:UNUSED_PAD src0_sel:DWORD src1_sel:WORD_0
	v_fma_mixlo_f16 v1, v56, v22, 0
	v_pack_b32_f16 v13, v12, v13
	v_pack_b32_f16 v16, v23, v16
	v_fma_mixlo_f16 v2, v56, v2, 0
	v_lshlrev_b32_e32 v1, 16, v1
	v_perm_b32 v12, v16, v13, s29
	v_perm_b32 v13, v16, v13, s30
	v_or_b32_sdwa v1, v1, v2 dst_sel:DWORD dst_unused:UNUSED_PAD src0_sel:DWORD src1_sel:WORD_0
	s_and_saveexec_b64 s[20:21], vcc
	s_cbranch_execz .LBB271_1276
; %bb.1275:                             ;   in Loop: Header=BB271_1071 Depth=1
	scratch_load_dwordx2 v[22:23], off, s32 offset:196 ; 8-byte Folded Reload
	v_lshrrev_b32_e32 v16, 16, v13
	v_cmp_lt_i32_e64 s[2:3], v26, v3
	v_lshrrev_b32_e32 v1, 16, v1
	s_nop 0
	v_cndmask_b32_e64 v16, 0, v16, s[2:3]
	s_waitcnt vmcnt(0)
	v_cmp_lt_i32_e64 s[2:3], v37, v22
	s_nop 1
	v_cndmask_b32_e64 v13, 0, v13, s[2:3]
	v_perm_b32 v13, v16, v13, s31
	v_lshrrev_b32_e32 v16, 16, v12
	v_cmp_lt_i32_e64 s[2:3], v55, v3
	s_nop 1
	v_cndmask_b32_e64 v16, 0, v16, s[2:3]
	v_cmp_lt_i32_e64 s[2:3], v54, v22
	s_nop 1
	v_cndmask_b32_e64 v12, 0, v12, s[2:3]
	v_perm_b32 v12, v16, v12, s31
	v_lshrrev_b32_e32 v16, 16, v0
	v_cmp_lt_i32_e64 s[2:3], v49, v3
	s_nop 1
	v_cndmask_b32_e64 v16, 0, v16, s[2:3]
	v_cmp_lt_i32_e64 s[2:3], v39, v22
	s_nop 1
	v_cndmask_b32_e64 v0, 0, v0, s[2:3]
	v_cmp_lt_i32_e64 s[2:3], v36, v3
	v_perm_b32 v0, v16, v0, s31
	s_nop 0
	v_cndmask_b32_e64 v1, 0, v1, s[2:3]
	v_cmp_lt_i32_e64 s[2:3], v19, v22
	s_nop 1
	v_cndmask_b32_e64 v2, 0, v2, s[2:3]
	v_perm_b32 v1, v1, v2, s31
.LBB271_1276:                           ;   in Loop: Header=BB271_1071 Depth=1
	s_or_b64 exec, exec, s[20:21]
	;;#ASMSTART
	v_pk_mul_f16 v2, v51, v13;

	;;#ASMEND
	;;#ASMSTART
	v_pk_mul_f16 v12, v50, v12;

	;;#ASMEND
	;; [unrolled: 4-line block ×4, first 2 shown]
	s_mov_b64 s[2:3], 0
	;;#ASMSTART
	v_pk_add_f16 v2, v2, v12;

	;;#ASMEND
                                        ; implicit-def: $sgpr24
	s_nop 0
	;;#ASMSTART
	v_pk_add_f16 v0, v2, v0;

	;;#ASMEND
	s_nop 0
	;;#ASMSTART
	v_pk_add_f16 v0, v0, v1;

	;;#ASMEND
	s_nop 0
	v_lshrrev_b32_e32 v1, 16, v0
	v_and_b32_e32 v0, 0xffff, v0
	;;#ASMSTART
	v_cvt_f32_f16 v0, v0;
	;;#ASMEND
	s_nop 0
	v_accvgpr_write_b32 a52, v0
	;;#ASMSTART
	v_cvt_f32_f16 v0, v1;
	;;#ASMEND
	s_nop 0
	v_accvgpr_write_b32 a53, v0
	flat_load_dwordx2 v[58:59], v[46:47] offset:3072
	scratch_load_dwordx2 v[0:1], off, s32 offset:188 ; 8-byte Folded Reload
	s_waitcnt vmcnt(0) lgkmcnt(0)
	v_cmp_gt_i16_sdwa s[20:21], v58, s17 src0_sel:BYTE_0 src1_sel:DWORD
	flat_load_dword v56, v[0:1]
	s_and_saveexec_b64 s[22:23], s[20:21]
	s_xor_b64 s[20:21], exec, s[22:23]
	s_cbranch_execnz .LBB271_1808
; %bb.1277:                             ;   in Loop: Header=BB271_1071 Depth=1
	s_or_saveexec_b64 s[20:21], s[20:21]
	v_mov_b32_e32 v60, s24
	s_xor_b64 exec, exec, s[20:21]
	s_cbranch_execnz .LBB271_1811
.LBB271_1278:                           ;   in Loop: Header=BB271_1071 Depth=1
	s_or_b64 exec, exec, s[20:21]
	s_and_saveexec_b64 s[20:21], s[2:3]
	s_cbranch_execz .LBB271_1280
.LBB271_1279:                           ;   in Loop: Header=BB271_1071 Depth=1
	v_and_b32_e32 v0, 7, v58
	v_ffbh_u32_e32 v0, v0
	v_bfe_u32 v1, v58, 3, 4
	v_min_u32_e32 v0, 32, v0
	v_subrev_u32_e32 v2, 28, v0
	v_sub_u32_e32 v0, 29, v0
	v_cmp_eq_u32_e64 s[2:3], 0, v1
	s_nop 1
	v_cndmask_b32_e64 v12, v1, v0, s[2:3]
	v_cndmask_b32_e64 v0, 0, v2, s[2:3]
	v_lshlrev_b64 v[0:1], v0, v[58:59]
	v_lshlrev_b32_e32 v1, 8, v58
	v_lshl_add_u32 v2, v12, 10, v18
	v_lshlrev_b32_e32 v0, 7, v0
	v_and_or_b32 v1, v1, s27, v2
	v_and_or_b32 v0, v0, s28, v1
	v_cvt_f32_f16_e32 v60, v0
.LBB271_1280:                           ;   in Loop: Header=BB271_1071 Depth=1
	s_or_b64 exec, exec, s[20:21]
	v_lshrrev_b16_e32 v16, 8, v58
	v_cmp_lt_i16_e64 s[2:3], s17, v16
	s_mov_b64 s[20:21], 0
                                        ; implicit-def: $sgpr34
	s_and_saveexec_b64 s[22:23], s[2:3]
	s_xor_b64 s[22:23], exec, s[22:23]
	s_cbranch_execnz .LBB271_1812
; %bb.1281:                             ;   in Loop: Header=BB271_1071 Depth=1
	s_or_saveexec_b64 s[22:23], s[22:23]
	v_mov_b32_e32 v44, s34
	s_xor_b64 exec, exec, s[22:23]
	s_cbranch_execnz .LBB271_1815
.LBB271_1282:                           ;   in Loop: Header=BB271_1071 Depth=1
	s_or_b64 exec, exec, s[22:23]
	s_and_saveexec_b64 s[22:23], s[20:21]
	s_cbranch_execz .LBB271_1284
.LBB271_1283:                           ;   in Loop: Header=BB271_1071 Depth=1
	v_and_b32_e32 v2, 7, v16
	v_ffbh_u32_e32 v0, v2
	v_min_u32_e32 v13, 32, v0
	v_subrev_u32_e32 v0, 28, v13
	v_bfe_u32 v12, v16, 3, 4
	v_lshlrev_b64 v[0:1], v0, v[16:17]
	v_sub_u32_e32 v1, 29, v13
	v_cmp_eq_u32_e64 s[2:3], 0, v12
	v_and_b32_e32 v0, 7, v0
	s_nop 0
	v_cndmask_b32_e64 v1, v12, v1, s[2:3]
	v_cndmask_b32_e64 v0, v2, v0, s[2:3]
	v_lshlrev_b32_e32 v2, 8, v16
	v_lshl_add_u32 v1, v1, 10, v18
	v_and_or_b32 v1, v2, s27, v1
	v_lshl_or_b32 v0, v0, 7, v1
	v_cvt_f32_f16_e32 v44, v0
.LBB271_1284:                           ;   in Loop: Header=BB271_1071 Depth=1
	s_or_b64 exec, exec, s[22:23]
	v_lshrrev_b32_e32 v16, 16, v58
	v_cmp_gt_i16_sdwa s[20:21], v16, s17 src0_sel:BYTE_0 src1_sel:DWORD
	s_mov_b64 s[2:3], 0
                                        ; implicit-def: $sgpr24
	s_and_saveexec_b64 s[22:23], s[20:21]
	s_xor_b64 s[20:21], exec, s[22:23]
	s_cbranch_execnz .LBB271_1816
; %bb.1285:                             ;   in Loop: Header=BB271_1071 Depth=1
	s_or_saveexec_b64 s[20:21], s[20:21]
	v_mov_b32_e32 v61, s24
	s_xor_b64 exec, exec, s[20:21]
	s_cbranch_execnz .LBB271_1819
.LBB271_1286:                           ;   in Loop: Header=BB271_1071 Depth=1
	s_or_b64 exec, exec, s[20:21]
	s_and_saveexec_b64 s[20:21], s[2:3]
	s_cbranch_execz .LBB271_1288
.LBB271_1287:                           ;   in Loop: Header=BB271_1071 Depth=1
	v_bfe_u32 v2, v58, 16, 3
	v_ffbh_u32_e32 v0, v2
	v_min_u32_e32 v13, 32, v0
	v_subrev_u32_e32 v0, 28, v13
	v_bfe_u32 v12, v58, 19, 4
	v_lshlrev_b64 v[0:1], v0, v[16:17]
	v_sub_u32_e32 v1, 29, v13
	v_cmp_eq_u32_e64 s[2:3], 0, v12
	v_and_b32_e32 v0, 7, v0
	s_nop 0
	v_cndmask_b32_e64 v1, v12, v1, s[2:3]
	v_cndmask_b32_e64 v0, v2, v0, s[2:3]
	v_lshlrev_b32_e32 v2, 8, v16
	v_lshl_add_u32 v1, v1, 10, v18
	v_and_or_b32 v1, v2, s27, v1
	v_lshl_or_b32 v0, v0, 7, v1
	v_cvt_f32_f16_e32 v61, v0
.LBB271_1288:                           ;   in Loop: Header=BB271_1071 Depth=1
	s_or_b64 exec, exec, s[20:21]
	v_lshrrev_b32_e32 v16, 24, v58
	v_cmp_lt_i16_e64 s[2:3], s17, v16
	s_mov_b64 s[20:21], 0
                                        ; implicit-def: $sgpr34
	s_and_saveexec_b64 s[22:23], s[2:3]
	s_xor_b64 s[22:23], exec, s[22:23]
	s_cbranch_execnz .LBB271_1820
; %bb.1289:                             ;   in Loop: Header=BB271_1071 Depth=1
	s_or_saveexec_b64 s[22:23], s[22:23]
	v_mov_b32_e32 v45, s34
	s_xor_b64 exec, exec, s[22:23]
	s_cbranch_execnz .LBB271_1823
.LBB271_1290:                           ;   in Loop: Header=BB271_1071 Depth=1
	s_or_b64 exec, exec, s[22:23]
	s_and_saveexec_b64 s[22:23], s[20:21]
	s_cbranch_execz .LBB271_1292
.LBB271_1291:                           ;   in Loop: Header=BB271_1071 Depth=1
	v_bfe_u32 v2, v58, 24, 3
	v_ffbh_u32_e32 v0, v2
	v_min_u32_e32 v13, 32, v0
	v_subrev_u32_e32 v0, 28, v13
	v_bfe_u32 v12, v58, 27, 4
	v_lshlrev_b64 v[0:1], v0, v[16:17]
	v_sub_u32_e32 v1, 29, v13
	v_cmp_eq_u32_e64 s[2:3], 0, v12
	v_and_b32_e32 v0, 7, v0
	s_nop 0
	v_cndmask_b32_e64 v1, v12, v1, s[2:3]
	v_cndmask_b32_e64 v0, v2, v0, s[2:3]
	v_lshlrev_b32_e32 v2, 8, v16
	v_lshl_add_u32 v1, v1, 10, v18
	v_and_or_b32 v1, v2, s27, v1
	v_lshl_or_b32 v0, v0, 7, v1
	v_cvt_f32_f16_e32 v45, v0
.LBB271_1292:                           ;   in Loop: Header=BB271_1071 Depth=1
	s_or_b64 exec, exec, s[22:23]
	v_cmp_gt_i16_sdwa s[20:21], v59, s17 src0_sel:BYTE_0 src1_sel:DWORD
	s_mov_b64 s[2:3], 0
                                        ; implicit-def: $sgpr24
	s_and_saveexec_b64 s[22:23], s[20:21]
	s_xor_b64 s[20:21], exec, s[22:23]
	s_cbranch_execnz .LBB271_1824
; %bb.1293:                             ;   in Loop: Header=BB271_1071 Depth=1
	s_or_saveexec_b64 s[20:21], s[20:21]
	v_mov_b32_e32 v0, s24
	s_xor_b64 exec, exec, s[20:21]
	s_cbranch_execnz .LBB271_1827
.LBB271_1294:                           ;   in Loop: Header=BB271_1071 Depth=1
	s_or_b64 exec, exec, s[20:21]
	v_mov_b32_e32 v16, v59
	s_and_saveexec_b64 s[20:21], s[2:3]
	s_cbranch_execz .LBB271_1296
.LBB271_1295:                           ;   in Loop: Header=BB271_1071 Depth=1
	v_and_b32_e32 v0, 7, v59
	v_ffbh_u32_e32 v0, v0
	v_bfe_u32 v1, v59, 3, 4
	v_min_u32_e32 v0, 32, v0
	v_subrev_u32_e32 v2, 28, v0
	v_sub_u32_e32 v0, 29, v0
	v_cmp_eq_u32_e64 s[2:3], 0, v1
	s_nop 1
	v_cndmask_b32_e64 v12, v1, v0, s[2:3]
	v_cndmask_b32_e64 v0, 0, v2, s[2:3]
	v_lshlrev_b64 v[0:1], v0, v[16:17]
	v_lshlrev_b32_e32 v1, 8, v59
	v_lshl_add_u32 v2, v12, 10, v18
	v_lshlrev_b32_e32 v0, 7, v0
	v_and_or_b32 v1, v1, s27, v2
	v_and_or_b32 v0, v0, s28, v1
	v_cvt_f32_f16_e32 v0, v0
.LBB271_1296:                           ;   in Loop: Header=BB271_1071 Depth=1
	s_or_b64 exec, exec, s[20:21]
	v_lshrrev_b16_e32 v16, 8, v16
	v_cmp_lt_i16_e64 s[2:3], s17, v16
	s_mov_b64 s[20:21], 0
                                        ; implicit-def: $sgpr34
	s_and_saveexec_b64 s[22:23], s[2:3]
	s_xor_b64 s[22:23], exec, s[22:23]
	s_cbranch_execnz .LBB271_1828
; %bb.1297:                             ;   in Loop: Header=BB271_1071 Depth=1
	s_or_saveexec_b64 s[22:23], s[22:23]
	v_mov_b32_e32 v1, s34
	s_xor_b64 exec, exec, s[22:23]
	s_cbranch_execnz .LBB271_1831
.LBB271_1298:                           ;   in Loop: Header=BB271_1071 Depth=1
	s_or_b64 exec, exec, s[22:23]
	s_and_saveexec_b64 s[22:23], s[20:21]
	s_cbranch_execz .LBB271_1300
.LBB271_1299:                           ;   in Loop: Header=BB271_1071 Depth=1
	v_and_b32_e32 v1, 7, v16
	v_ffbh_u32_e32 v12, v1
	v_min_u32_e32 v22, 32, v12
	v_subrev_u32_e32 v12, 28, v22
	v_bfe_u32 v2, v16, 3, 4
	v_lshlrev_b64 v[12:13], v12, v[16:17]
	v_sub_u32_e32 v13, 29, v22
	v_cmp_eq_u32_e64 s[2:3], 0, v2
	v_and_b32_e32 v12, 7, v12
	s_nop 0
	v_cndmask_b32_e64 v2, v2, v13, s[2:3]
	v_cndmask_b32_e64 v1, v1, v12, s[2:3]
	v_lshlrev_b32_e32 v12, 8, v16
	v_lshl_add_u32 v2, v2, 10, v18
	v_and_or_b32 v2, v12, s27, v2
	v_lshl_or_b32 v1, v1, 7, v2
	v_cvt_f32_f16_e32 v1, v1
.LBB271_1300:                           ;   in Loop: Header=BB271_1071 Depth=1
	s_or_b64 exec, exec, s[22:23]
	v_lshrrev_b32_e32 v16, 16, v59
	v_cmp_gt_i16_sdwa s[20:21], v16, s17 src0_sel:BYTE_0 src1_sel:DWORD
	s_mov_b64 s[2:3], 0
                                        ; implicit-def: $sgpr24
	s_and_saveexec_b64 s[22:23], s[20:21]
	s_xor_b64 s[20:21], exec, s[22:23]
	s_cbranch_execnz .LBB271_1832
; %bb.1301:                             ;   in Loop: Header=BB271_1071 Depth=1
	s_or_saveexec_b64 s[20:21], s[20:21]
	v_mov_b32_e32 v2, s24
	s_xor_b64 exec, exec, s[20:21]
	s_cbranch_execnz .LBB271_1835
.LBB271_1302:                           ;   in Loop: Header=BB271_1071 Depth=1
	s_or_b64 exec, exec, s[20:21]
	s_and_saveexec_b64 s[20:21], s[2:3]
	s_cbranch_execz .LBB271_1304
.LBB271_1303:                           ;   in Loop: Header=BB271_1071 Depth=1
	v_bfe_u32 v2, v59, 16, 3
	v_ffbh_u32_e32 v12, v2
	v_min_u32_e32 v23, 32, v12
	v_subrev_u32_e32 v12, 28, v23
	v_bfe_u32 v22, v59, 19, 4
	v_lshlrev_b64 v[12:13], v12, v[16:17]
	v_sub_u32_e32 v13, 29, v23
	v_cmp_eq_u32_e64 s[2:3], 0, v22
	v_and_b32_e32 v12, 7, v12
	s_nop 0
	v_cndmask_b32_e64 v13, v22, v13, s[2:3]
	v_cndmask_b32_e64 v2, v2, v12, s[2:3]
	v_lshlrev_b32_e32 v12, 8, v16
	v_lshl_add_u32 v13, v13, 10, v18
	v_and_or_b32 v12, v12, s27, v13
	v_lshl_or_b32 v2, v2, 7, v12
	v_cvt_f32_f16_e32 v2, v2
.LBB271_1304:                           ;   in Loop: Header=BB271_1071 Depth=1
	s_or_b64 exec, exec, s[20:21]
	v_lshrrev_b32_e32 v16, 24, v59
	v_cmp_lt_i16_e64 s[2:3], s17, v16
	s_mov_b64 s[20:21], 0
                                        ; implicit-def: $sgpr34
	s_and_saveexec_b64 s[22:23], s[2:3]
	s_xor_b64 s[22:23], exec, s[22:23]
	s_cbranch_execnz .LBB271_1836
; %bb.1305:                             ;   in Loop: Header=BB271_1071 Depth=1
	s_or_saveexec_b64 s[22:23], s[22:23]
	v_mov_b32_e32 v22, s34
	s_xor_b64 exec, exec, s[22:23]
	s_cbranch_execnz .LBB271_1839
.LBB271_1306:                           ;   in Loop: Header=BB271_1071 Depth=1
	s_or_b64 exec, exec, s[22:23]
	s_and_saveexec_b64 s[22:23], s[20:21]
	s_cbranch_execz .LBB271_1308
.LBB271_1307:                           ;   in Loop: Header=BB271_1071 Depth=1
	v_bfe_u32 v22, v59, 24, 3
	v_ffbh_u32_e32 v12, v22
	v_min_u32_e32 v24, 32, v12
	v_subrev_u32_e32 v12, 28, v24
	v_bfe_u32 v23, v59, 27, 4
	v_lshlrev_b64 v[12:13], v12, v[16:17]
	v_sub_u32_e32 v13, 29, v24
	v_cmp_eq_u32_e64 s[2:3], 0, v23
	v_and_b32_e32 v12, 7, v12
	v_lshlrev_b32_e32 v16, 8, v16
	v_cndmask_b32_e64 v13, v23, v13, s[2:3]
	v_lshl_add_u32 v13, v13, 10, v18
	v_cndmask_b32_e64 v12, v22, v12, s[2:3]
	v_and_or_b32 v13, v16, s27, v13
	v_lshl_or_b32 v12, v12, 7, v13
	v_cvt_f32_f16_e32 v22, v12
.LBB271_1308:                           ;   in Loop: Header=BB271_1071 Depth=1
	s_or_b64 exec, exec, s[22:23]
	s_waitcnt vmcnt(0) lgkmcnt(0)
	v_pk_mul_f32 v[12:13], v[56:57], v[44:45] op_sel_hi:[0,1]
	v_pk_mul_f32 v[24:25], v[56:57], v[60:61] op_sel_hi:[0,1]
	v_cvt_f16_f32_e32 v13, v13
	v_cvt_f16_f32_e32 v12, v12
	;; [unrolled: 1-line block ×4, first 2 shown]
	v_fma_mixlo_f16 v1, v56, v1, 0
	v_lshlrev_b32_e32 v1, 16, v1
	v_fma_mixlo_f16 v0, v56, v0, 0
	v_or_b32_sdwa v0, v1, v0 dst_sel:DWORD dst_unused:UNUSED_PAD src0_sel:DWORD src1_sel:WORD_0
	v_fma_mixlo_f16 v1, v56, v22, 0
	v_pack_b32_f16 v13, v12, v13
	v_pack_b32_f16 v16, v23, v16
	v_fma_mixlo_f16 v2, v56, v2, 0
	v_lshlrev_b32_e32 v1, 16, v1
	v_perm_b32 v12, v16, v13, s29
	v_perm_b32 v13, v16, v13, s30
	v_or_b32_sdwa v1, v1, v2 dst_sel:DWORD dst_unused:UNUSED_PAD src0_sel:DWORD src1_sel:WORD_0
	s_and_saveexec_b64 s[20:21], vcc
	s_cbranch_execz .LBB271_1310
; %bb.1309:                             ;   in Loop: Header=BB271_1071 Depth=1
	scratch_load_dwordx2 v[22:23], off, s32 offset:196 ; 8-byte Folded Reload
	v_lshrrev_b32_e32 v16, 16, v13
	v_cmp_lt_i32_e64 s[2:3], v26, v3
	v_lshrrev_b32_e32 v1, 16, v1
	s_nop 0
	v_cndmask_b32_e64 v16, 0, v16, s[2:3]
	s_waitcnt vmcnt(0)
	v_cmp_lt_i32_e64 s[2:3], v37, v22
	s_nop 1
	v_cndmask_b32_e64 v13, 0, v13, s[2:3]
	v_perm_b32 v13, v16, v13, s31
	v_lshrrev_b32_e32 v16, 16, v12
	v_cmp_lt_i32_e64 s[2:3], v55, v3
	s_nop 1
	v_cndmask_b32_e64 v16, 0, v16, s[2:3]
	v_cmp_lt_i32_e64 s[2:3], v54, v22
	s_nop 1
	v_cndmask_b32_e64 v12, 0, v12, s[2:3]
	v_perm_b32 v12, v16, v12, s31
	v_lshrrev_b32_e32 v16, 16, v0
	v_cmp_lt_i32_e64 s[2:3], v49, v3
	s_nop 1
	v_cndmask_b32_e64 v16, 0, v16, s[2:3]
	v_cmp_lt_i32_e64 s[2:3], v39, v22
	s_nop 1
	v_cndmask_b32_e64 v0, 0, v0, s[2:3]
	v_cmp_lt_i32_e64 s[2:3], v36, v3
	v_perm_b32 v0, v16, v0, s31
	s_nop 0
	v_cndmask_b32_e64 v1, 0, v1, s[2:3]
	v_cmp_lt_i32_e64 s[2:3], v19, v22
	s_nop 1
	v_cndmask_b32_e64 v2, 0, v2, s[2:3]
	v_perm_b32 v1, v1, v2, s31
.LBB271_1310:                           ;   in Loop: Header=BB271_1071 Depth=1
	s_or_b64 exec, exec, s[20:21]
	;;#ASMSTART
	v_pk_mul_f16 v2, v51, v13;

	;;#ASMEND
	;;#ASMSTART
	v_pk_mul_f16 v12, v50, v12;

	;;#ASMEND
	;; [unrolled: 4-line block ×4, first 2 shown]
	s_mov_b64 s[2:3], 0
	;;#ASMSTART
	v_pk_add_f16 v2, v2, v12;

	;;#ASMEND
                                        ; implicit-def: $sgpr24
	s_nop 0
	;;#ASMSTART
	v_pk_add_f16 v0, v2, v0;

	;;#ASMEND
	s_nop 0
	;;#ASMSTART
	v_pk_add_f16 v0, v0, v1;

	;;#ASMEND
	s_nop 0
	v_lshrrev_b32_e32 v1, 16, v0
	v_and_b32_e32 v0, 0xffff, v0
	;;#ASMSTART
	v_cvt_f32_f16 v0, v0;
	;;#ASMEND
	s_nop 0
	v_accvgpr_write_b32 a54, v0
	;;#ASMSTART
	v_cvt_f32_f16 v0, v1;
	;;#ASMEND
	s_nop 0
	v_accvgpr_write_b32 a55, v0
	flat_load_dwordx2 v[56:57], v[46:47] offset:3584
	scratch_load_dwordx2 v[0:1], off, s32 offset:188 ; 8-byte Folded Reload
	s_waitcnt vmcnt(0) lgkmcnt(0)
	v_cmp_gt_i16_sdwa s[20:21], v56, s17 src0_sel:BYTE_0 src1_sel:DWORD
	flat_load_dword v46, v[0:1]
	s_and_saveexec_b64 s[22:23], s[20:21]
	s_xor_b64 s[20:21], exec, s[22:23]
	s_cbranch_execnz .LBB271_1840
; %bb.1311:                             ;   in Loop: Header=BB271_1071 Depth=1
	s_or_saveexec_b64 s[20:21], s[20:21]
	v_mov_b32_e32 v58, s24
	s_xor_b64 exec, exec, s[20:21]
	s_cbranch_execnz .LBB271_1843
.LBB271_1312:                           ;   in Loop: Header=BB271_1071 Depth=1
	s_or_b64 exec, exec, s[20:21]
	s_and_saveexec_b64 s[20:21], s[2:3]
	s_cbranch_execz .LBB271_1314
.LBB271_1313:                           ;   in Loop: Header=BB271_1071 Depth=1
	v_and_b32_e32 v0, 7, v56
	v_ffbh_u32_e32 v0, v0
	v_bfe_u32 v1, v56, 3, 4
	v_min_u32_e32 v0, 32, v0
	v_subrev_u32_e32 v2, 28, v0
	v_sub_u32_e32 v0, 29, v0
	v_cmp_eq_u32_e64 s[2:3], 0, v1
	s_nop 1
	v_cndmask_b32_e64 v12, v1, v0, s[2:3]
	v_cndmask_b32_e64 v0, 0, v2, s[2:3]
	v_lshlrev_b64 v[0:1], v0, v[56:57]
	v_lshlrev_b32_e32 v1, 8, v56
	v_lshl_add_u32 v2, v12, 10, v18
	v_lshlrev_b32_e32 v0, 7, v0
	v_and_or_b32 v1, v1, s27, v2
	v_and_or_b32 v0, v0, s28, v1
	v_cvt_f32_f16_e32 v58, v0
.LBB271_1314:                           ;   in Loop: Header=BB271_1071 Depth=1
	s_or_b64 exec, exec, s[20:21]
	v_lshrrev_b16_e32 v16, 8, v56
	v_cmp_lt_i16_e64 s[2:3], s17, v16
	s_mov_b64 s[20:21], 0
                                        ; implicit-def: $sgpr34
	s_and_saveexec_b64 s[22:23], s[2:3]
	s_xor_b64 s[22:23], exec, s[22:23]
	s_cbranch_execnz .LBB271_1844
; %bb.1315:                             ;   in Loop: Header=BB271_1071 Depth=1
	s_or_saveexec_b64 s[22:23], s[22:23]
	v_mov_b32_e32 v44, s34
	s_xor_b64 exec, exec, s[22:23]
	s_cbranch_execnz .LBB271_1847
.LBB271_1316:                           ;   in Loop: Header=BB271_1071 Depth=1
	s_or_b64 exec, exec, s[22:23]
	s_and_saveexec_b64 s[22:23], s[20:21]
	s_cbranch_execz .LBB271_1318
.LBB271_1317:                           ;   in Loop: Header=BB271_1071 Depth=1
	v_and_b32_e32 v2, 7, v16
	v_ffbh_u32_e32 v0, v2
	v_min_u32_e32 v13, 32, v0
	v_subrev_u32_e32 v0, 28, v13
	v_bfe_u32 v12, v16, 3, 4
	v_lshlrev_b64 v[0:1], v0, v[16:17]
	v_sub_u32_e32 v1, 29, v13
	v_cmp_eq_u32_e64 s[2:3], 0, v12
	v_and_b32_e32 v0, 7, v0
	s_nop 0
	v_cndmask_b32_e64 v1, v12, v1, s[2:3]
	v_cndmask_b32_e64 v0, v2, v0, s[2:3]
	v_lshlrev_b32_e32 v2, 8, v16
	v_lshl_add_u32 v1, v1, 10, v18
	v_and_or_b32 v1, v2, s27, v1
	v_lshl_or_b32 v0, v0, 7, v1
	v_cvt_f32_f16_e32 v44, v0
.LBB271_1318:                           ;   in Loop: Header=BB271_1071 Depth=1
	s_or_b64 exec, exec, s[22:23]
	v_lshrrev_b32_e32 v16, 16, v56
	v_cmp_gt_i16_sdwa s[20:21], v16, s17 src0_sel:BYTE_0 src1_sel:DWORD
	s_mov_b64 s[2:3], 0
                                        ; implicit-def: $sgpr24
	s_and_saveexec_b64 s[22:23], s[20:21]
	s_xor_b64 s[20:21], exec, s[22:23]
	s_cbranch_execnz .LBB271_1848
; %bb.1319:                             ;   in Loop: Header=BB271_1071 Depth=1
	s_or_saveexec_b64 s[20:21], s[20:21]
	v_mov_b32_e32 v59, s24
	s_xor_b64 exec, exec, s[20:21]
	s_cbranch_execnz .LBB271_1851
.LBB271_1320:                           ;   in Loop: Header=BB271_1071 Depth=1
	s_or_b64 exec, exec, s[20:21]
	s_and_saveexec_b64 s[20:21], s[2:3]
	s_cbranch_execz .LBB271_1322
.LBB271_1321:                           ;   in Loop: Header=BB271_1071 Depth=1
	v_bfe_u32 v2, v56, 16, 3
	v_ffbh_u32_e32 v0, v2
	v_min_u32_e32 v13, 32, v0
	v_subrev_u32_e32 v0, 28, v13
	v_bfe_u32 v12, v56, 19, 4
	v_lshlrev_b64 v[0:1], v0, v[16:17]
	v_sub_u32_e32 v1, 29, v13
	v_cmp_eq_u32_e64 s[2:3], 0, v12
	v_and_b32_e32 v0, 7, v0
	s_nop 0
	v_cndmask_b32_e64 v1, v12, v1, s[2:3]
	v_cndmask_b32_e64 v0, v2, v0, s[2:3]
	v_lshlrev_b32_e32 v2, 8, v16
	v_lshl_add_u32 v1, v1, 10, v18
	v_and_or_b32 v1, v2, s27, v1
	v_lshl_or_b32 v0, v0, 7, v1
	v_cvt_f32_f16_e32 v59, v0
.LBB271_1322:                           ;   in Loop: Header=BB271_1071 Depth=1
	s_or_b64 exec, exec, s[20:21]
	v_lshrrev_b32_e32 v16, 24, v56
	v_cmp_lt_i16_e64 s[2:3], s17, v16
	s_mov_b64 s[20:21], 0
                                        ; implicit-def: $sgpr34
	s_and_saveexec_b64 s[22:23], s[2:3]
	s_xor_b64 s[22:23], exec, s[22:23]
	s_cbranch_execnz .LBB271_1852
; %bb.1323:                             ;   in Loop: Header=BB271_1071 Depth=1
	s_or_saveexec_b64 s[22:23], s[22:23]
	v_mov_b32_e32 v45, s34
	s_xor_b64 exec, exec, s[22:23]
	s_cbranch_execnz .LBB271_1855
.LBB271_1324:                           ;   in Loop: Header=BB271_1071 Depth=1
	s_or_b64 exec, exec, s[22:23]
	s_and_saveexec_b64 s[22:23], s[20:21]
	s_cbranch_execz .LBB271_1326
.LBB271_1325:                           ;   in Loop: Header=BB271_1071 Depth=1
	v_bfe_u32 v2, v56, 24, 3
	v_ffbh_u32_e32 v0, v2
	v_min_u32_e32 v13, 32, v0
	v_subrev_u32_e32 v0, 28, v13
	v_bfe_u32 v12, v56, 27, 4
	v_lshlrev_b64 v[0:1], v0, v[16:17]
	v_sub_u32_e32 v1, 29, v13
	v_cmp_eq_u32_e64 s[2:3], 0, v12
	v_and_b32_e32 v0, 7, v0
	s_nop 0
	v_cndmask_b32_e64 v1, v12, v1, s[2:3]
	v_cndmask_b32_e64 v0, v2, v0, s[2:3]
	v_lshlrev_b32_e32 v2, 8, v16
	v_lshl_add_u32 v1, v1, 10, v18
	v_and_or_b32 v1, v2, s27, v1
	v_lshl_or_b32 v0, v0, 7, v1
	v_cvt_f32_f16_e32 v45, v0
.LBB271_1326:                           ;   in Loop: Header=BB271_1071 Depth=1
	s_or_b64 exec, exec, s[22:23]
	v_cmp_gt_i16_sdwa s[20:21], v57, s17 src0_sel:BYTE_0 src1_sel:DWORD
	s_mov_b64 s[2:3], 0
                                        ; implicit-def: $sgpr24
	s_and_saveexec_b64 s[22:23], s[20:21]
	s_xor_b64 s[20:21], exec, s[22:23]
	s_cbranch_execnz .LBB271_1856
; %bb.1327:                             ;   in Loop: Header=BB271_1071 Depth=1
	s_or_saveexec_b64 s[20:21], s[20:21]
	v_mov_b32_e32 v0, s24
	s_xor_b64 exec, exec, s[20:21]
	s_cbranch_execnz .LBB271_1859
.LBB271_1328:                           ;   in Loop: Header=BB271_1071 Depth=1
	s_or_b64 exec, exec, s[20:21]
	v_mov_b32_e32 v16, v57
	s_and_saveexec_b64 s[20:21], s[2:3]
	s_cbranch_execz .LBB271_1330
.LBB271_1329:                           ;   in Loop: Header=BB271_1071 Depth=1
	v_and_b32_e32 v0, 7, v57
	v_ffbh_u32_e32 v0, v0
	v_bfe_u32 v1, v57, 3, 4
	v_min_u32_e32 v0, 32, v0
	v_subrev_u32_e32 v2, 28, v0
	v_sub_u32_e32 v0, 29, v0
	v_cmp_eq_u32_e64 s[2:3], 0, v1
	s_nop 1
	v_cndmask_b32_e64 v12, v1, v0, s[2:3]
	v_cndmask_b32_e64 v0, 0, v2, s[2:3]
	v_lshlrev_b64 v[0:1], v0, v[16:17]
	v_lshlrev_b32_e32 v1, 8, v57
	v_lshl_add_u32 v2, v12, 10, v18
	v_lshlrev_b32_e32 v0, 7, v0
	v_and_or_b32 v1, v1, s27, v2
	v_and_or_b32 v0, v0, s28, v1
	v_cvt_f32_f16_e32 v0, v0
.LBB271_1330:                           ;   in Loop: Header=BB271_1071 Depth=1
	s_or_b64 exec, exec, s[20:21]
	v_lshrrev_b16_e32 v16, 8, v16
	v_cmp_lt_i16_e64 s[2:3], s17, v16
	s_mov_b64 s[20:21], 0
                                        ; implicit-def: $sgpr34
	s_and_saveexec_b64 s[22:23], s[2:3]
	s_xor_b64 s[22:23], exec, s[22:23]
	s_cbranch_execnz .LBB271_1860
; %bb.1331:                             ;   in Loop: Header=BB271_1071 Depth=1
	s_or_saveexec_b64 s[22:23], s[22:23]
	v_mov_b32_e32 v1, s34
	s_xor_b64 exec, exec, s[22:23]
	s_cbranch_execnz .LBB271_1863
.LBB271_1332:                           ;   in Loop: Header=BB271_1071 Depth=1
	s_or_b64 exec, exec, s[22:23]
	s_and_saveexec_b64 s[22:23], s[20:21]
	s_cbranch_execz .LBB271_1334
.LBB271_1333:                           ;   in Loop: Header=BB271_1071 Depth=1
	v_and_b32_e32 v1, 7, v16
	v_ffbh_u32_e32 v12, v1
	v_min_u32_e32 v22, 32, v12
	v_subrev_u32_e32 v12, 28, v22
	v_bfe_u32 v2, v16, 3, 4
	v_lshlrev_b64 v[12:13], v12, v[16:17]
	v_sub_u32_e32 v13, 29, v22
	v_cmp_eq_u32_e64 s[2:3], 0, v2
	v_and_b32_e32 v12, 7, v12
	s_nop 0
	v_cndmask_b32_e64 v2, v2, v13, s[2:3]
	v_cndmask_b32_e64 v1, v1, v12, s[2:3]
	v_lshlrev_b32_e32 v12, 8, v16
	v_lshl_add_u32 v2, v2, 10, v18
	v_and_or_b32 v2, v12, s27, v2
	v_lshl_or_b32 v1, v1, 7, v2
	v_cvt_f32_f16_e32 v1, v1
.LBB271_1334:                           ;   in Loop: Header=BB271_1071 Depth=1
	s_or_b64 exec, exec, s[22:23]
	v_lshrrev_b32_e32 v16, 16, v57
	v_cmp_gt_i16_sdwa s[20:21], v16, s17 src0_sel:BYTE_0 src1_sel:DWORD
	s_mov_b64 s[2:3], 0
                                        ; implicit-def: $sgpr24
	s_and_saveexec_b64 s[22:23], s[20:21]
	s_xor_b64 s[20:21], exec, s[22:23]
	s_cbranch_execnz .LBB271_1864
; %bb.1335:                             ;   in Loop: Header=BB271_1071 Depth=1
	s_or_saveexec_b64 s[20:21], s[20:21]
	v_mov_b32_e32 v2, s24
	s_xor_b64 exec, exec, s[20:21]
	s_cbranch_execnz .LBB271_1867
.LBB271_1336:                           ;   in Loop: Header=BB271_1071 Depth=1
	s_or_b64 exec, exec, s[20:21]
	s_and_saveexec_b64 s[20:21], s[2:3]
	s_cbranch_execz .LBB271_1338
.LBB271_1337:                           ;   in Loop: Header=BB271_1071 Depth=1
	v_bfe_u32 v2, v57, 16, 3
	v_ffbh_u32_e32 v12, v2
	v_min_u32_e32 v23, 32, v12
	v_subrev_u32_e32 v12, 28, v23
	v_bfe_u32 v22, v57, 19, 4
	v_lshlrev_b64 v[12:13], v12, v[16:17]
	v_sub_u32_e32 v13, 29, v23
	v_cmp_eq_u32_e64 s[2:3], 0, v22
	v_and_b32_e32 v12, 7, v12
	s_nop 0
	v_cndmask_b32_e64 v13, v22, v13, s[2:3]
	v_cndmask_b32_e64 v2, v2, v12, s[2:3]
	v_lshlrev_b32_e32 v12, 8, v16
	v_lshl_add_u32 v13, v13, 10, v18
	v_and_or_b32 v12, v12, s27, v13
	v_lshl_or_b32 v2, v2, 7, v12
	v_cvt_f32_f16_e32 v2, v2
.LBB271_1338:                           ;   in Loop: Header=BB271_1071 Depth=1
	s_or_b64 exec, exec, s[20:21]
	v_lshrrev_b32_e32 v16, 24, v57
	v_cmp_lt_i16_e64 s[2:3], s17, v16
	s_mov_b64 s[20:21], 0
                                        ; implicit-def: $sgpr34
	s_and_saveexec_b64 s[22:23], s[2:3]
	s_xor_b64 s[22:23], exec, s[22:23]
	s_cbranch_execnz .LBB271_1868
; %bb.1339:                             ;   in Loop: Header=BB271_1071 Depth=1
	s_or_saveexec_b64 s[22:23], s[22:23]
	v_mov_b32_e32 v22, s34
	s_xor_b64 exec, exec, s[22:23]
	s_cbranch_execnz .LBB271_1871
.LBB271_1340:                           ;   in Loop: Header=BB271_1071 Depth=1
	s_or_b64 exec, exec, s[22:23]
	s_and_saveexec_b64 s[22:23], s[20:21]
	s_cbranch_execz .LBB271_1342
.LBB271_1341:                           ;   in Loop: Header=BB271_1071 Depth=1
	v_bfe_u32 v22, v57, 24, 3
	v_ffbh_u32_e32 v12, v22
	v_min_u32_e32 v24, 32, v12
	v_subrev_u32_e32 v12, 28, v24
	v_bfe_u32 v23, v57, 27, 4
	v_lshlrev_b64 v[12:13], v12, v[16:17]
	v_sub_u32_e32 v13, 29, v24
	v_cmp_eq_u32_e64 s[2:3], 0, v23
	v_and_b32_e32 v12, 7, v12
	v_lshlrev_b32_e32 v16, 8, v16
	v_cndmask_b32_e64 v13, v23, v13, s[2:3]
	v_lshl_add_u32 v13, v13, 10, v18
	v_cndmask_b32_e64 v12, v22, v12, s[2:3]
	v_and_or_b32 v13, v16, s27, v13
	v_lshl_or_b32 v12, v12, 7, v13
	v_cvt_f32_f16_e32 v22, v12
.LBB271_1342:                           ;   in Loop: Header=BB271_1071 Depth=1
	s_or_b64 exec, exec, s[22:23]
	s_waitcnt vmcnt(0) lgkmcnt(0)
	v_pk_mul_f32 v[12:13], v[46:47], v[44:45] op_sel_hi:[0,1]
	v_pk_mul_f32 v[24:25], v[46:47], v[58:59] op_sel_hi:[0,1]
	v_cvt_f16_f32_e32 v13, v13
	v_cvt_f16_f32_e32 v12, v12
	v_cvt_f16_f32_e32 v16, v25
	v_cvt_f16_f32_e32 v23, v24
	v_fma_mixlo_f16 v1, v46, v1, 0
	v_lshlrev_b32_e32 v1, 16, v1
	v_fma_mixlo_f16 v0, v46, v0, 0
	v_or_b32_sdwa v0, v1, v0 dst_sel:DWORD dst_unused:UNUSED_PAD src0_sel:DWORD src1_sel:WORD_0
	v_fma_mixlo_f16 v1, v46, v22, 0
	v_pack_b32_f16 v13, v12, v13
	v_pack_b32_f16 v16, v23, v16
	v_fma_mixlo_f16 v2, v46, v2, 0
	v_lshlrev_b32_e32 v1, 16, v1
	v_perm_b32 v12, v16, v13, s29
	v_perm_b32 v13, v16, v13, s30
	v_or_b32_sdwa v1, v1, v2 dst_sel:DWORD dst_unused:UNUSED_PAD src0_sel:DWORD src1_sel:WORD_0
	s_and_saveexec_b64 s[20:21], vcc
	s_cbranch_execz .LBB271_1344
; %bb.1343:                             ;   in Loop: Header=BB271_1071 Depth=1
	scratch_load_dwordx2 v[22:23], off, s32 offset:196 ; 8-byte Folded Reload
	v_lshrrev_b32_e32 v16, 16, v13
	v_cmp_lt_i32_e64 s[2:3], v26, v3
	v_lshrrev_b32_e32 v1, 16, v1
	s_nop 0
	v_cndmask_b32_e64 v16, 0, v16, s[2:3]
	s_waitcnt vmcnt(0)
	v_cmp_lt_i32_e64 s[2:3], v37, v22
	s_nop 1
	v_cndmask_b32_e64 v13, 0, v13, s[2:3]
	v_perm_b32 v13, v16, v13, s31
	v_lshrrev_b32_e32 v16, 16, v12
	v_cmp_lt_i32_e64 s[2:3], v55, v3
	s_nop 1
	v_cndmask_b32_e64 v16, 0, v16, s[2:3]
	v_cmp_lt_i32_e64 s[2:3], v54, v22
	s_nop 1
	v_cndmask_b32_e64 v12, 0, v12, s[2:3]
	v_perm_b32 v12, v16, v12, s31
	v_lshrrev_b32_e32 v16, 16, v0
	v_cmp_lt_i32_e64 s[2:3], v49, v3
	s_nop 1
	v_cndmask_b32_e64 v16, 0, v16, s[2:3]
	v_cmp_lt_i32_e64 s[2:3], v39, v22
	s_nop 1
	v_cndmask_b32_e64 v0, 0, v0, s[2:3]
	v_cmp_lt_i32_e64 s[2:3], v36, v3
	v_perm_b32 v0, v16, v0, s31
	s_nop 0
	v_cndmask_b32_e64 v1, 0, v1, s[2:3]
	v_cmp_lt_i32_e64 s[2:3], v19, v22
	s_nop 1
	v_cndmask_b32_e64 v2, 0, v2, s[2:3]
	v_perm_b32 v1, v1, v2, s31
.LBB271_1344:                           ;   in Loop: Header=BB271_1071 Depth=1
	s_or_b64 exec, exec, s[20:21]
	;;#ASMSTART
	v_pk_mul_f16 v2, v51, v13;

	;;#ASMEND
	;;#ASMSTART
	v_pk_mul_f16 v12, v50, v12;

	;;#ASMEND
	;; [unrolled: 4-line block ×4, first 2 shown]
	s_mov_b64 s[2:3], 0
	;;#ASMSTART
	v_pk_add_f16 v2, v2, v12;

	;;#ASMEND
                                        ; implicit-def: $sgpr24
	s_nop 0
	;;#ASMSTART
	v_pk_add_f16 v0, v2, v0;

	;;#ASMEND
	s_nop 0
	;;#ASMSTART
	v_pk_add_f16 v0, v0, v1;

	;;#ASMEND
	s_nop 0
	v_lshrrev_b32_e32 v1, 16, v0
	v_and_b32_e32 v0, 0xffff, v0
	;;#ASMSTART
	v_cvt_f32_f16 v0, v0;
	;;#ASMEND
	s_nop 0
	v_accvgpr_write_b32 a56, v0
	;;#ASMSTART
	v_cvt_f32_f16 v0, v1;
	;;#ASMEND
	s_nop 0
	v_accvgpr_write_b32 a57, v0
	v_accvgpr_read_b32 v0, a26
	v_accvgpr_read_b32 v1, a27
	v_lshl_add_u64 v[0:1], v[14:15], 0, v[0:1]
	flat_load_dwordx2 v[56:57], v[0:1]
	s_nop 0
	scratch_load_dwordx2 v[0:1], off, s32 offset:188 ; 8-byte Folded Reload
	s_waitcnt vmcnt(0) lgkmcnt(0)
	v_cmp_gt_i16_sdwa s[20:21], v56, s17 src0_sel:BYTE_0 src1_sel:DWORD
	flat_load_dword v46, v[0:1]
	s_and_saveexec_b64 s[22:23], s[20:21]
	s_xor_b64 s[20:21], exec, s[22:23]
	s_cbranch_execnz .LBB271_1872
; %bb.1345:                             ;   in Loop: Header=BB271_1071 Depth=1
	s_or_saveexec_b64 s[20:21], s[20:21]
	v_mov_b32_e32 v58, s24
	s_xor_b64 exec, exec, s[20:21]
	s_cbranch_execnz .LBB271_1875
.LBB271_1346:                           ;   in Loop: Header=BB271_1071 Depth=1
	s_or_b64 exec, exec, s[20:21]
	s_and_saveexec_b64 s[20:21], s[2:3]
	s_cbranch_execz .LBB271_1348
.LBB271_1347:                           ;   in Loop: Header=BB271_1071 Depth=1
	v_and_b32_e32 v0, 7, v56
	v_ffbh_u32_e32 v0, v0
	v_bfe_u32 v1, v56, 3, 4
	v_min_u32_e32 v0, 32, v0
	v_subrev_u32_e32 v2, 28, v0
	v_sub_u32_e32 v0, 29, v0
	v_cmp_eq_u32_e64 s[2:3], 0, v1
	s_nop 1
	v_cndmask_b32_e64 v12, v1, v0, s[2:3]
	v_cndmask_b32_e64 v0, 0, v2, s[2:3]
	v_lshlrev_b64 v[0:1], v0, v[56:57]
	v_lshlrev_b32_e32 v1, 8, v56
	v_lshl_add_u32 v2, v12, 10, v18
	v_lshlrev_b32_e32 v0, 7, v0
	v_and_or_b32 v1, v1, s27, v2
	v_and_or_b32 v0, v0, s28, v1
	v_cvt_f32_f16_e32 v58, v0
.LBB271_1348:                           ;   in Loop: Header=BB271_1071 Depth=1
	s_or_b64 exec, exec, s[20:21]
	v_lshrrev_b16_e32 v16, 8, v56
	v_cmp_lt_i16_e64 s[2:3], s17, v16
	s_mov_b64 s[20:21], 0
                                        ; implicit-def: $sgpr34
	s_and_saveexec_b64 s[22:23], s[2:3]
	s_xor_b64 s[22:23], exec, s[22:23]
	s_cbranch_execnz .LBB271_1876
; %bb.1349:                             ;   in Loop: Header=BB271_1071 Depth=1
	s_or_saveexec_b64 s[22:23], s[22:23]
	v_mov_b32_e32 v44, s34
	s_xor_b64 exec, exec, s[22:23]
	s_cbranch_execnz .LBB271_1879
.LBB271_1350:                           ;   in Loop: Header=BB271_1071 Depth=1
	s_or_b64 exec, exec, s[22:23]
	s_and_saveexec_b64 s[22:23], s[20:21]
	s_cbranch_execz .LBB271_1352
.LBB271_1351:                           ;   in Loop: Header=BB271_1071 Depth=1
	v_and_b32_e32 v2, 7, v16
	v_ffbh_u32_e32 v0, v2
	v_min_u32_e32 v13, 32, v0
	v_subrev_u32_e32 v0, 28, v13
	v_bfe_u32 v12, v16, 3, 4
	v_lshlrev_b64 v[0:1], v0, v[16:17]
	v_sub_u32_e32 v1, 29, v13
	v_cmp_eq_u32_e64 s[2:3], 0, v12
	v_and_b32_e32 v0, 7, v0
	s_nop 0
	v_cndmask_b32_e64 v1, v12, v1, s[2:3]
	v_cndmask_b32_e64 v0, v2, v0, s[2:3]
	v_lshlrev_b32_e32 v2, 8, v16
	v_lshl_add_u32 v1, v1, 10, v18
	v_and_or_b32 v1, v2, s27, v1
	v_lshl_or_b32 v0, v0, 7, v1
	v_cvt_f32_f16_e32 v44, v0
.LBB271_1352:                           ;   in Loop: Header=BB271_1071 Depth=1
	s_or_b64 exec, exec, s[22:23]
	v_lshrrev_b32_e32 v16, 16, v56
	v_cmp_gt_i16_sdwa s[20:21], v16, s17 src0_sel:BYTE_0 src1_sel:DWORD
	s_mov_b64 s[2:3], 0
                                        ; implicit-def: $sgpr24
	s_and_saveexec_b64 s[22:23], s[20:21]
	s_xor_b64 s[20:21], exec, s[22:23]
	s_cbranch_execnz .LBB271_1880
; %bb.1353:                             ;   in Loop: Header=BB271_1071 Depth=1
	s_or_saveexec_b64 s[20:21], s[20:21]
	v_mov_b32_e32 v59, s24
	s_xor_b64 exec, exec, s[20:21]
	s_cbranch_execnz .LBB271_1883
.LBB271_1354:                           ;   in Loop: Header=BB271_1071 Depth=1
	s_or_b64 exec, exec, s[20:21]
	s_and_saveexec_b64 s[20:21], s[2:3]
	s_cbranch_execz .LBB271_1356
.LBB271_1355:                           ;   in Loop: Header=BB271_1071 Depth=1
	v_bfe_u32 v2, v56, 16, 3
	v_ffbh_u32_e32 v0, v2
	v_min_u32_e32 v13, 32, v0
	v_subrev_u32_e32 v0, 28, v13
	v_bfe_u32 v12, v56, 19, 4
	v_lshlrev_b64 v[0:1], v0, v[16:17]
	v_sub_u32_e32 v1, 29, v13
	v_cmp_eq_u32_e64 s[2:3], 0, v12
	v_and_b32_e32 v0, 7, v0
	s_nop 0
	v_cndmask_b32_e64 v1, v12, v1, s[2:3]
	v_cndmask_b32_e64 v0, v2, v0, s[2:3]
	v_lshlrev_b32_e32 v2, 8, v16
	v_lshl_add_u32 v1, v1, 10, v18
	v_and_or_b32 v1, v2, s27, v1
	v_lshl_or_b32 v0, v0, 7, v1
	v_cvt_f32_f16_e32 v59, v0
.LBB271_1356:                           ;   in Loop: Header=BB271_1071 Depth=1
	s_or_b64 exec, exec, s[20:21]
	v_lshrrev_b32_e32 v16, 24, v56
	v_cmp_lt_i16_e64 s[2:3], s17, v16
	s_mov_b64 s[20:21], 0
                                        ; implicit-def: $sgpr34
	s_and_saveexec_b64 s[22:23], s[2:3]
	s_xor_b64 s[22:23], exec, s[22:23]
	s_cbranch_execnz .LBB271_1884
; %bb.1357:                             ;   in Loop: Header=BB271_1071 Depth=1
	s_or_saveexec_b64 s[22:23], s[22:23]
	v_mov_b32_e32 v45, s34
	s_xor_b64 exec, exec, s[22:23]
	s_cbranch_execnz .LBB271_1887
.LBB271_1358:                           ;   in Loop: Header=BB271_1071 Depth=1
	s_or_b64 exec, exec, s[22:23]
	s_and_saveexec_b64 s[22:23], s[20:21]
	s_cbranch_execz .LBB271_1360
.LBB271_1359:                           ;   in Loop: Header=BB271_1071 Depth=1
	v_bfe_u32 v2, v56, 24, 3
	v_ffbh_u32_e32 v0, v2
	v_min_u32_e32 v13, 32, v0
	v_subrev_u32_e32 v0, 28, v13
	v_bfe_u32 v12, v56, 27, 4
	v_lshlrev_b64 v[0:1], v0, v[16:17]
	v_sub_u32_e32 v1, 29, v13
	v_cmp_eq_u32_e64 s[2:3], 0, v12
	v_and_b32_e32 v0, 7, v0
	s_nop 0
	v_cndmask_b32_e64 v1, v12, v1, s[2:3]
	v_cndmask_b32_e64 v0, v2, v0, s[2:3]
	v_lshlrev_b32_e32 v2, 8, v16
	v_lshl_add_u32 v1, v1, 10, v18
	v_and_or_b32 v1, v2, s27, v1
	v_lshl_or_b32 v0, v0, 7, v1
	v_cvt_f32_f16_e32 v45, v0
.LBB271_1360:                           ;   in Loop: Header=BB271_1071 Depth=1
	s_or_b64 exec, exec, s[22:23]
	v_cmp_gt_i16_sdwa s[20:21], v57, s17 src0_sel:BYTE_0 src1_sel:DWORD
	s_mov_b64 s[2:3], 0
                                        ; implicit-def: $sgpr24
	s_and_saveexec_b64 s[22:23], s[20:21]
	s_xor_b64 s[20:21], exec, s[22:23]
	s_cbranch_execnz .LBB271_1888
; %bb.1361:                             ;   in Loop: Header=BB271_1071 Depth=1
	s_or_saveexec_b64 s[20:21], s[20:21]
	v_mov_b32_e32 v0, s24
	s_xor_b64 exec, exec, s[20:21]
	s_cbranch_execnz .LBB271_1891
.LBB271_1362:                           ;   in Loop: Header=BB271_1071 Depth=1
	s_or_b64 exec, exec, s[20:21]
	v_mov_b32_e32 v16, v57
	s_and_saveexec_b64 s[20:21], s[2:3]
	s_cbranch_execz .LBB271_1364
.LBB271_1363:                           ;   in Loop: Header=BB271_1071 Depth=1
	v_and_b32_e32 v0, 7, v57
	v_ffbh_u32_e32 v0, v0
	v_bfe_u32 v1, v57, 3, 4
	v_min_u32_e32 v0, 32, v0
	v_subrev_u32_e32 v2, 28, v0
	v_sub_u32_e32 v0, 29, v0
	v_cmp_eq_u32_e64 s[2:3], 0, v1
	s_nop 1
	v_cndmask_b32_e64 v12, v1, v0, s[2:3]
	v_cndmask_b32_e64 v0, 0, v2, s[2:3]
	v_lshlrev_b64 v[0:1], v0, v[16:17]
	v_lshlrev_b32_e32 v1, 8, v57
	v_lshl_add_u32 v2, v12, 10, v18
	v_lshlrev_b32_e32 v0, 7, v0
	v_and_or_b32 v1, v1, s27, v2
	v_and_or_b32 v0, v0, s28, v1
	v_cvt_f32_f16_e32 v0, v0
.LBB271_1364:                           ;   in Loop: Header=BB271_1071 Depth=1
	s_or_b64 exec, exec, s[20:21]
	v_lshrrev_b16_e32 v16, 8, v16
	v_cmp_lt_i16_e64 s[2:3], s17, v16
	s_mov_b64 s[20:21], 0
                                        ; implicit-def: $sgpr34
	s_and_saveexec_b64 s[22:23], s[2:3]
	s_xor_b64 s[22:23], exec, s[22:23]
	s_cbranch_execnz .LBB271_1892
; %bb.1365:                             ;   in Loop: Header=BB271_1071 Depth=1
	s_or_saveexec_b64 s[22:23], s[22:23]
	v_mov_b32_e32 v1, s34
	s_xor_b64 exec, exec, s[22:23]
	s_cbranch_execnz .LBB271_1895
.LBB271_1366:                           ;   in Loop: Header=BB271_1071 Depth=1
	s_or_b64 exec, exec, s[22:23]
	s_and_saveexec_b64 s[22:23], s[20:21]
	s_cbranch_execz .LBB271_1368
.LBB271_1367:                           ;   in Loop: Header=BB271_1071 Depth=1
	v_and_b32_e32 v1, 7, v16
	v_ffbh_u32_e32 v12, v1
	v_min_u32_e32 v22, 32, v12
	v_subrev_u32_e32 v12, 28, v22
	v_bfe_u32 v2, v16, 3, 4
	v_lshlrev_b64 v[12:13], v12, v[16:17]
	v_sub_u32_e32 v13, 29, v22
	v_cmp_eq_u32_e64 s[2:3], 0, v2
	v_and_b32_e32 v12, 7, v12
	s_nop 0
	v_cndmask_b32_e64 v2, v2, v13, s[2:3]
	v_cndmask_b32_e64 v1, v1, v12, s[2:3]
	v_lshlrev_b32_e32 v12, 8, v16
	v_lshl_add_u32 v2, v2, 10, v18
	v_and_or_b32 v2, v12, s27, v2
	v_lshl_or_b32 v1, v1, 7, v2
	v_cvt_f32_f16_e32 v1, v1
.LBB271_1368:                           ;   in Loop: Header=BB271_1071 Depth=1
	s_or_b64 exec, exec, s[22:23]
	v_lshrrev_b32_e32 v16, 16, v57
	v_cmp_gt_i16_sdwa s[20:21], v16, s17 src0_sel:BYTE_0 src1_sel:DWORD
	s_mov_b64 s[2:3], 0
                                        ; implicit-def: $sgpr24
	s_and_saveexec_b64 s[22:23], s[20:21]
	s_xor_b64 s[20:21], exec, s[22:23]
	s_cbranch_execnz .LBB271_1896
; %bb.1369:                             ;   in Loop: Header=BB271_1071 Depth=1
	s_or_saveexec_b64 s[20:21], s[20:21]
	v_mov_b32_e32 v2, s24
	s_xor_b64 exec, exec, s[20:21]
	s_cbranch_execnz .LBB271_1899
.LBB271_1370:                           ;   in Loop: Header=BB271_1071 Depth=1
	s_or_b64 exec, exec, s[20:21]
	s_and_saveexec_b64 s[20:21], s[2:3]
	s_cbranch_execz .LBB271_1372
.LBB271_1371:                           ;   in Loop: Header=BB271_1071 Depth=1
	v_bfe_u32 v2, v57, 16, 3
	v_ffbh_u32_e32 v12, v2
	v_min_u32_e32 v23, 32, v12
	v_subrev_u32_e32 v12, 28, v23
	v_bfe_u32 v22, v57, 19, 4
	v_lshlrev_b64 v[12:13], v12, v[16:17]
	v_sub_u32_e32 v13, 29, v23
	v_cmp_eq_u32_e64 s[2:3], 0, v22
	v_and_b32_e32 v12, 7, v12
	s_nop 0
	v_cndmask_b32_e64 v13, v22, v13, s[2:3]
	v_cndmask_b32_e64 v2, v2, v12, s[2:3]
	v_lshlrev_b32_e32 v12, 8, v16
	v_lshl_add_u32 v13, v13, 10, v18
	v_and_or_b32 v12, v12, s27, v13
	v_lshl_or_b32 v2, v2, 7, v12
	v_cvt_f32_f16_e32 v2, v2
.LBB271_1372:                           ;   in Loop: Header=BB271_1071 Depth=1
	s_or_b64 exec, exec, s[20:21]
	v_lshrrev_b32_e32 v16, 24, v57
	v_cmp_lt_i16_e64 s[2:3], s17, v16
	s_mov_b64 s[20:21], 0
                                        ; implicit-def: $sgpr34
	s_and_saveexec_b64 s[22:23], s[2:3]
	s_xor_b64 s[22:23], exec, s[22:23]
	s_cbranch_execnz .LBB271_1900
; %bb.1373:                             ;   in Loop: Header=BB271_1071 Depth=1
	s_or_saveexec_b64 s[22:23], s[22:23]
	v_mov_b32_e32 v22, s34
	s_xor_b64 exec, exec, s[22:23]
	s_cbranch_execnz .LBB271_1903
.LBB271_1374:                           ;   in Loop: Header=BB271_1071 Depth=1
	s_or_b64 exec, exec, s[22:23]
	s_and_saveexec_b64 s[22:23], s[20:21]
	s_cbranch_execz .LBB271_1376
.LBB271_1375:                           ;   in Loop: Header=BB271_1071 Depth=1
	v_bfe_u32 v22, v57, 24, 3
	v_ffbh_u32_e32 v12, v22
	v_min_u32_e32 v24, 32, v12
	v_subrev_u32_e32 v12, 28, v24
	v_bfe_u32 v23, v57, 27, 4
	v_lshlrev_b64 v[12:13], v12, v[16:17]
	v_sub_u32_e32 v13, 29, v24
	v_cmp_eq_u32_e64 s[2:3], 0, v23
	v_and_b32_e32 v12, 7, v12
	v_lshlrev_b32_e32 v16, 8, v16
	v_cndmask_b32_e64 v13, v23, v13, s[2:3]
	v_lshl_add_u32 v13, v13, 10, v18
	v_cndmask_b32_e64 v12, v22, v12, s[2:3]
	v_and_or_b32 v13, v16, s27, v13
	v_lshl_or_b32 v12, v12, 7, v13
	v_cvt_f32_f16_e32 v22, v12
.LBB271_1376:                           ;   in Loop: Header=BB271_1071 Depth=1
	s_or_b64 exec, exec, s[22:23]
	s_waitcnt vmcnt(0) lgkmcnt(0)
	v_pk_mul_f32 v[12:13], v[46:47], v[44:45] op_sel_hi:[0,1]
	v_pk_mul_f32 v[24:25], v[46:47], v[58:59] op_sel_hi:[0,1]
	v_cvt_f16_f32_e32 v13, v13
	v_cvt_f16_f32_e32 v12, v12
	;; [unrolled: 1-line block ×4, first 2 shown]
	v_fma_mixlo_f16 v1, v46, v1, 0
	v_lshlrev_b32_e32 v1, 16, v1
	v_fma_mixlo_f16 v0, v46, v0, 0
	v_or_b32_sdwa v0, v1, v0 dst_sel:DWORD dst_unused:UNUSED_PAD src0_sel:DWORD src1_sel:WORD_0
	v_fma_mixlo_f16 v1, v46, v22, 0
	v_pack_b32_f16 v13, v12, v13
	v_pack_b32_f16 v16, v23, v16
	v_fma_mixlo_f16 v2, v46, v2, 0
	v_lshlrev_b32_e32 v1, 16, v1
	v_perm_b32 v12, v16, v13, s29
	v_perm_b32 v13, v16, v13, s30
	v_or_b32_sdwa v1, v1, v2 dst_sel:DWORD dst_unused:UNUSED_PAD src0_sel:DWORD src1_sel:WORD_0
	s_and_saveexec_b64 s[20:21], vcc
	s_cbranch_execz .LBB271_1378
; %bb.1377:                             ;   in Loop: Header=BB271_1071 Depth=1
	scratch_load_dwordx2 v[22:23], off, s32 offset:196 ; 8-byte Folded Reload
	v_lshrrev_b32_e32 v16, 16, v13
	v_cmp_lt_i32_e64 s[2:3], v26, v3
	v_lshrrev_b32_e32 v1, 16, v1
	s_nop 0
	v_cndmask_b32_e64 v16, 0, v16, s[2:3]
	s_waitcnt vmcnt(0)
	v_cmp_lt_i32_e64 s[2:3], v37, v22
	s_nop 1
	v_cndmask_b32_e64 v13, 0, v13, s[2:3]
	v_perm_b32 v13, v16, v13, s31
	v_lshrrev_b32_e32 v16, 16, v12
	v_cmp_lt_i32_e64 s[2:3], v55, v3
	s_nop 1
	v_cndmask_b32_e64 v16, 0, v16, s[2:3]
	v_cmp_lt_i32_e64 s[2:3], v54, v22
	s_nop 1
	v_cndmask_b32_e64 v12, 0, v12, s[2:3]
	v_perm_b32 v12, v16, v12, s31
	v_lshrrev_b32_e32 v16, 16, v0
	v_cmp_lt_i32_e64 s[2:3], v49, v3
	s_nop 1
	v_cndmask_b32_e64 v16, 0, v16, s[2:3]
	v_cmp_lt_i32_e64 s[2:3], v39, v22
	s_nop 1
	v_cndmask_b32_e64 v0, 0, v0, s[2:3]
	v_cmp_lt_i32_e64 s[2:3], v36, v3
	v_perm_b32 v0, v16, v0, s31
	s_nop 0
	v_cndmask_b32_e64 v1, 0, v1, s[2:3]
	v_cmp_lt_i32_e64 s[2:3], v19, v22
	s_nop 1
	v_cndmask_b32_e64 v2, 0, v2, s[2:3]
	v_perm_b32 v1, v1, v2, s31
.LBB271_1378:                           ;   in Loop: Header=BB271_1071 Depth=1
	s_or_b64 exec, exec, s[20:21]
	;;#ASMSTART
	v_pk_mul_f16 v2, v51, v13;

	;;#ASMEND
	;;#ASMSTART
	v_pk_mul_f16 v12, v50, v12;

	;;#ASMEND
	;; [unrolled: 4-line block ×4, first 2 shown]
	s_mov_b64 s[2:3], 0
	;;#ASMSTART
	v_pk_add_f16 v2, v2, v12;

	;;#ASMEND
                                        ; implicit-def: $sgpr24
	s_nop 0
	;;#ASMSTART
	v_pk_add_f16 v0, v2, v0;

	;;#ASMEND
	s_nop 0
	;;#ASMSTART
	v_pk_add_f16 v0, v0, v1;

	;;#ASMEND
	s_nop 0
	v_lshrrev_b32_e32 v1, 16, v0
	v_and_b32_e32 v0, 0xffff, v0
	;;#ASMSTART
	v_cvt_f32_f16 v13, v0;
	;;#ASMEND
	;;#ASMSTART
	v_cvt_f32_f16 v24, v1;
	;;#ASMEND
	v_accvgpr_read_b32 v0, a28
	v_accvgpr_read_b32 v1, a29
	v_lshl_add_u64 v[0:1], v[14:15], 0, v[0:1]
	flat_load_dwordx2 v[56:57], v[0:1]
	s_nop 0
	scratch_load_dwordx2 v[0:1], off, s32 offset:188 ; 8-byte Folded Reload
	s_waitcnt vmcnt(0) lgkmcnt(0)
	v_cmp_gt_i16_sdwa s[20:21], v56, s17 src0_sel:BYTE_0 src1_sel:DWORD
	flat_load_dword v46, v[0:1]
	s_and_saveexec_b64 s[22:23], s[20:21]
	s_xor_b64 s[20:21], exec, s[22:23]
	s_cbranch_execnz .LBB271_1904
; %bb.1379:                             ;   in Loop: Header=BB271_1071 Depth=1
	s_or_saveexec_b64 s[20:21], s[20:21]
	v_mov_b32_e32 v58, s24
	s_xor_b64 exec, exec, s[20:21]
	s_cbranch_execnz .LBB271_1907
.LBB271_1380:                           ;   in Loop: Header=BB271_1071 Depth=1
	s_or_b64 exec, exec, s[20:21]
	s_and_saveexec_b64 s[20:21], s[2:3]
	s_cbranch_execz .LBB271_1382
.LBB271_1381:                           ;   in Loop: Header=BB271_1071 Depth=1
	v_and_b32_e32 v0, 7, v56
	v_ffbh_u32_e32 v0, v0
	v_bfe_u32 v1, v56, 3, 4
	v_min_u32_e32 v0, 32, v0
	v_subrev_u32_e32 v2, 28, v0
	v_sub_u32_e32 v0, 29, v0
	v_cmp_eq_u32_e64 s[2:3], 0, v1
	s_nop 1
	v_cndmask_b32_e64 v12, v1, v0, s[2:3]
	v_cndmask_b32_e64 v0, 0, v2, s[2:3]
	v_lshlrev_b64 v[0:1], v0, v[56:57]
	v_lshlrev_b32_e32 v1, 8, v56
	v_lshl_add_u32 v2, v12, 10, v18
	v_lshlrev_b32_e32 v0, 7, v0
	v_and_or_b32 v1, v1, s27, v2
	v_and_or_b32 v0, v0, s28, v1
	v_cvt_f32_f16_e32 v58, v0
.LBB271_1382:                           ;   in Loop: Header=BB271_1071 Depth=1
	s_or_b64 exec, exec, s[20:21]
	v_lshrrev_b16_e32 v16, 8, v56
	v_cmp_lt_i16_e64 s[2:3], s17, v16
	s_mov_b64 s[20:21], 0
                                        ; implicit-def: $sgpr34
	s_and_saveexec_b64 s[22:23], s[2:3]
	s_xor_b64 s[22:23], exec, s[22:23]
	s_cbranch_execnz .LBB271_1908
; %bb.1383:                             ;   in Loop: Header=BB271_1071 Depth=1
	s_or_saveexec_b64 s[22:23], s[22:23]
	v_mov_b32_e32 v44, s34
	s_xor_b64 exec, exec, s[22:23]
	s_cbranch_execnz .LBB271_1911
.LBB271_1384:                           ;   in Loop: Header=BB271_1071 Depth=1
	s_or_b64 exec, exec, s[22:23]
	s_and_saveexec_b64 s[22:23], s[20:21]
	s_cbranch_execz .LBB271_1386
.LBB271_1385:                           ;   in Loop: Header=BB271_1071 Depth=1
	v_and_b32_e32 v2, 7, v16
	v_ffbh_u32_e32 v0, v2
	v_min_u32_e32 v22, 32, v0
	v_subrev_u32_e32 v0, 28, v22
	v_bfe_u32 v12, v16, 3, 4
	v_lshlrev_b64 v[0:1], v0, v[16:17]
	v_sub_u32_e32 v1, 29, v22
	v_cmp_eq_u32_e64 s[2:3], 0, v12
	v_and_b32_e32 v0, 7, v0
	s_nop 0
	v_cndmask_b32_e64 v1, v12, v1, s[2:3]
	v_cndmask_b32_e64 v0, v2, v0, s[2:3]
	v_lshlrev_b32_e32 v2, 8, v16
	v_lshl_add_u32 v1, v1, 10, v18
	v_and_or_b32 v1, v2, s27, v1
	v_lshl_or_b32 v0, v0, 7, v1
	v_cvt_f32_f16_e32 v44, v0
.LBB271_1386:                           ;   in Loop: Header=BB271_1071 Depth=1
	s_or_b64 exec, exec, s[22:23]
	v_lshrrev_b32_e32 v16, 16, v56
	v_cmp_gt_i16_sdwa s[20:21], v16, s17 src0_sel:BYTE_0 src1_sel:DWORD
	s_mov_b64 s[2:3], 0
                                        ; implicit-def: $sgpr24
	s_and_saveexec_b64 s[22:23], s[20:21]
	s_xor_b64 s[20:21], exec, s[22:23]
	s_cbranch_execnz .LBB271_1912
; %bb.1387:                             ;   in Loop: Header=BB271_1071 Depth=1
	s_or_saveexec_b64 s[20:21], s[20:21]
	v_mov_b32_e32 v59, s24
	s_xor_b64 exec, exec, s[20:21]
	s_cbranch_execnz .LBB271_1915
.LBB271_1388:                           ;   in Loop: Header=BB271_1071 Depth=1
	s_or_b64 exec, exec, s[20:21]
	s_and_saveexec_b64 s[20:21], s[2:3]
	s_cbranch_execz .LBB271_1390
.LBB271_1389:                           ;   in Loop: Header=BB271_1071 Depth=1
	v_bfe_u32 v2, v56, 16, 3
	v_ffbh_u32_e32 v0, v2
	v_min_u32_e32 v22, 32, v0
	v_subrev_u32_e32 v0, 28, v22
	v_bfe_u32 v12, v56, 19, 4
	v_lshlrev_b64 v[0:1], v0, v[16:17]
	v_sub_u32_e32 v1, 29, v22
	v_cmp_eq_u32_e64 s[2:3], 0, v12
	v_and_b32_e32 v0, 7, v0
	s_nop 0
	v_cndmask_b32_e64 v1, v12, v1, s[2:3]
	v_cndmask_b32_e64 v0, v2, v0, s[2:3]
	v_lshlrev_b32_e32 v2, 8, v16
	v_lshl_add_u32 v1, v1, 10, v18
	v_and_or_b32 v1, v2, s27, v1
	v_lshl_or_b32 v0, v0, 7, v1
	v_cvt_f32_f16_e32 v59, v0
.LBB271_1390:                           ;   in Loop: Header=BB271_1071 Depth=1
	s_or_b64 exec, exec, s[20:21]
	v_lshrrev_b32_e32 v16, 24, v56
	v_cmp_lt_i16_e64 s[2:3], s17, v16
	s_mov_b64 s[20:21], 0
                                        ; implicit-def: $sgpr34
	s_and_saveexec_b64 s[22:23], s[2:3]
	s_xor_b64 s[22:23], exec, s[22:23]
	s_cbranch_execnz .LBB271_1916
; %bb.1391:                             ;   in Loop: Header=BB271_1071 Depth=1
	s_or_saveexec_b64 s[22:23], s[22:23]
	v_mov_b32_e32 v45, s34
	s_xor_b64 exec, exec, s[22:23]
	s_cbranch_execnz .LBB271_1919
.LBB271_1392:                           ;   in Loop: Header=BB271_1071 Depth=1
	s_or_b64 exec, exec, s[22:23]
	s_and_saveexec_b64 s[22:23], s[20:21]
	s_cbranch_execz .LBB271_1394
.LBB271_1393:                           ;   in Loop: Header=BB271_1071 Depth=1
	v_bfe_u32 v2, v56, 24, 3
	v_ffbh_u32_e32 v0, v2
	v_min_u32_e32 v22, 32, v0
	v_subrev_u32_e32 v0, 28, v22
	v_bfe_u32 v12, v56, 27, 4
	v_lshlrev_b64 v[0:1], v0, v[16:17]
	v_sub_u32_e32 v1, 29, v22
	v_cmp_eq_u32_e64 s[2:3], 0, v12
	v_and_b32_e32 v0, 7, v0
	s_nop 0
	v_cndmask_b32_e64 v1, v12, v1, s[2:3]
	v_cndmask_b32_e64 v0, v2, v0, s[2:3]
	v_lshlrev_b32_e32 v2, 8, v16
	v_lshl_add_u32 v1, v1, 10, v18
	v_and_or_b32 v1, v2, s27, v1
	v_lshl_or_b32 v0, v0, 7, v1
	v_cvt_f32_f16_e32 v45, v0
.LBB271_1394:                           ;   in Loop: Header=BB271_1071 Depth=1
	s_or_b64 exec, exec, s[22:23]
	v_cmp_gt_i16_sdwa s[20:21], v57, s17 src0_sel:BYTE_0 src1_sel:DWORD
	s_mov_b64 s[2:3], 0
                                        ; implicit-def: $sgpr24
	s_and_saveexec_b64 s[22:23], s[20:21]
	s_xor_b64 s[20:21], exec, s[22:23]
	s_cbranch_execnz .LBB271_1920
; %bb.1395:                             ;   in Loop: Header=BB271_1071 Depth=1
	s_or_saveexec_b64 s[20:21], s[20:21]
	v_mov_b32_e32 v0, s24
	s_xor_b64 exec, exec, s[20:21]
	s_cbranch_execnz .LBB271_1923
.LBB271_1396:                           ;   in Loop: Header=BB271_1071 Depth=1
	s_or_b64 exec, exec, s[20:21]
	v_mov_b32_e32 v16, v57
	s_and_saveexec_b64 s[20:21], s[2:3]
	s_cbranch_execz .LBB271_1398
.LBB271_1397:                           ;   in Loop: Header=BB271_1071 Depth=1
	v_and_b32_e32 v0, 7, v57
	v_ffbh_u32_e32 v0, v0
	v_bfe_u32 v1, v57, 3, 4
	v_min_u32_e32 v0, 32, v0
	v_subrev_u32_e32 v2, 28, v0
	v_sub_u32_e32 v0, 29, v0
	v_cmp_eq_u32_e64 s[2:3], 0, v1
	s_nop 1
	v_cndmask_b32_e64 v12, v1, v0, s[2:3]
	v_cndmask_b32_e64 v0, 0, v2, s[2:3]
	v_lshlrev_b64 v[0:1], v0, v[16:17]
	v_lshlrev_b32_e32 v1, 8, v57
	v_lshl_add_u32 v2, v12, 10, v18
	v_lshlrev_b32_e32 v0, 7, v0
	v_and_or_b32 v1, v1, s27, v2
	v_and_or_b32 v0, v0, s28, v1
	v_cvt_f32_f16_e32 v0, v0
.LBB271_1398:                           ;   in Loop: Header=BB271_1071 Depth=1
	s_or_b64 exec, exec, s[20:21]
	v_lshrrev_b16_e32 v16, 8, v16
	v_cmp_lt_i16_e64 s[2:3], s17, v16
	s_mov_b64 s[20:21], 0
                                        ; implicit-def: $sgpr34
	s_and_saveexec_b64 s[22:23], s[2:3]
	s_xor_b64 s[22:23], exec, s[22:23]
	s_cbranch_execnz .LBB271_1924
; %bb.1399:                             ;   in Loop: Header=BB271_1071 Depth=1
	s_or_saveexec_b64 s[22:23], s[22:23]
	v_mov_b32_e32 v1, s34
	s_xor_b64 exec, exec, s[22:23]
	s_cbranch_execnz .LBB271_1927
.LBB271_1400:                           ;   in Loop: Header=BB271_1071 Depth=1
	s_or_b64 exec, exec, s[22:23]
	s_and_saveexec_b64 s[22:23], s[20:21]
	s_cbranch_execz .LBB271_1402
.LBB271_1401:                           ;   in Loop: Header=BB271_1071 Depth=1
	v_and_b32_e32 v1, 7, v16
	v_ffbh_u32_e32 v12, v1
	v_bfe_u32 v2, v16, 3, 4
	v_min_u32_e32 v12, 32, v12
	v_subrev_u32_e32 v22, 28, v12
	v_sub_u32_e32 v12, 29, v12
	v_cmp_eq_u32_e64 s[2:3], 0, v2
	v_lshlrev_b64 v[22:23], v22, v[16:17]
	v_and_b32_e32 v22, 7, v22
	v_cndmask_b32_e64 v2, v2, v12, s[2:3]
	v_lshlrev_b32_e32 v12, 8, v16
	v_lshl_add_u32 v2, v2, 10, v18
	v_cndmask_b32_e64 v1, v1, v22, s[2:3]
	v_and_or_b32 v2, v12, s27, v2
	v_lshl_or_b32 v1, v1, 7, v2
	v_cvt_f32_f16_e32 v1, v1
.LBB271_1402:                           ;   in Loop: Header=BB271_1071 Depth=1
	s_or_b64 exec, exec, s[22:23]
	v_lshrrev_b32_e32 v16, 16, v57
	v_cmp_gt_i16_sdwa s[20:21], v16, s17 src0_sel:BYTE_0 src1_sel:DWORD
	s_mov_b64 s[2:3], 0
                                        ; implicit-def: $sgpr24
	s_and_saveexec_b64 s[22:23], s[20:21]
	s_xor_b64 s[20:21], exec, s[22:23]
	s_cbranch_execnz .LBB271_1928
; %bb.1403:                             ;   in Loop: Header=BB271_1071 Depth=1
	s_or_saveexec_b64 s[20:21], s[20:21]
	v_mov_b32_e32 v2, s24
	s_xor_b64 exec, exec, s[20:21]
	s_cbranch_execnz .LBB271_1931
.LBB271_1404:                           ;   in Loop: Header=BB271_1071 Depth=1
	s_or_b64 exec, exec, s[20:21]
	s_and_saveexec_b64 s[20:21], s[2:3]
	s_cbranch_execz .LBB271_1406
.LBB271_1405:                           ;   in Loop: Header=BB271_1071 Depth=1
	v_bfe_u32 v2, v57, 16, 3
	v_ffbh_u32_e32 v22, v2
	v_min_u32_e32 v25, 32, v22
	v_subrev_u32_e32 v22, 28, v25
	v_bfe_u32 v12, v57, 19, 4
	v_lshlrev_b64 v[22:23], v22, v[16:17]
	v_sub_u32_e32 v23, 29, v25
	v_cmp_eq_u32_e64 s[2:3], 0, v12
	v_and_b32_e32 v22, 7, v22
	v_lshlrev_b32_e32 v16, 8, v16
	v_cndmask_b32_e64 v12, v12, v23, s[2:3]
	v_lshl_add_u32 v12, v12, 10, v18
	v_cndmask_b32_e64 v2, v2, v22, s[2:3]
	v_and_or_b32 v12, v16, s27, v12
	v_lshl_or_b32 v2, v2, 7, v12
	v_cvt_f32_f16_e32 v2, v2
.LBB271_1406:                           ;   in Loop: Header=BB271_1071 Depth=1
	s_or_b64 exec, exec, s[20:21]
	v_lshrrev_b32_e32 v16, 24, v57
	v_cmp_lt_i16_e64 s[2:3], s17, v16
	s_mov_b64 s[20:21], 0
                                        ; implicit-def: $sgpr34
	s_and_saveexec_b64 s[22:23], s[2:3]
	s_xor_b64 s[22:23], exec, s[22:23]
	s_cbranch_execnz .LBB271_1932
; %bb.1407:                             ;   in Loop: Header=BB271_1071 Depth=1
	s_or_saveexec_b64 s[22:23], s[22:23]
	v_mov_b32_e32 v22, s34
	s_xor_b64 exec, exec, s[22:23]
	s_cbranch_execnz .LBB271_1935
.LBB271_1408:                           ;   in Loop: Header=BB271_1071 Depth=1
	s_or_b64 exec, exec, s[22:23]
	s_and_saveexec_b64 s[22:23], s[20:21]
	s_cbranch_execz .LBB271_1410
.LBB271_1409:                           ;   in Loop: Header=BB271_1071 Depth=1
	v_bfe_u32 v12, v57, 24, 3
	v_ffbh_u32_e32 v22, v12
	v_min_u32_e32 v27, 32, v22
	v_subrev_u32_e32 v22, 28, v27
	v_bfe_u32 v25, v57, 27, 4
	v_lshlrev_b64 v[22:23], v22, v[16:17]
	v_sub_u32_e32 v23, 29, v27
	v_cmp_eq_u32_e64 s[2:3], 0, v25
	v_and_b32_e32 v22, 7, v22
	v_lshlrev_b32_e32 v16, 8, v16
	v_cndmask_b32_e64 v23, v25, v23, s[2:3]
	v_cndmask_b32_e64 v12, v12, v22, s[2:3]
	v_lshl_add_u32 v22, v23, 10, v18
	v_and_or_b32 v16, v16, s27, v22
	v_lshl_or_b32 v12, v12, 7, v16
	v_cvt_f32_f16_e32 v22, v12
.LBB271_1410:                           ;   in Loop: Header=BB271_1071 Depth=1
	s_or_b64 exec, exec, s[22:23]
	s_waitcnt vmcnt(0) lgkmcnt(0)
	v_pk_mul_f32 v[40:41], v[46:47], v[44:45] op_sel_hi:[0,1]
	v_pk_mul_f32 v[44:45], v[46:47], v[58:59] op_sel_hi:[0,1]
	v_cvt_f16_f32_e32 v12, v41
	v_cvt_f16_f32_e32 v16, v40
	;; [unrolled: 1-line block ×4, first 2 shown]
	v_fma_mixlo_f16 v1, v46, v1, 0
	v_lshlrev_b32_e32 v1, 16, v1
	v_fma_mixlo_f16 v0, v46, v0, 0
	v_or_b32_sdwa v0, v1, v0 dst_sel:DWORD dst_unused:UNUSED_PAD src0_sel:DWORD src1_sel:WORD_0
	v_fma_mixlo_f16 v1, v46, v22, 0
	v_pack_b32_f16 v16, v16, v12
	v_pack_b32_f16 v23, v25, v23
	v_fma_mixlo_f16 v2, v46, v2, 0
	v_lshlrev_b32_e32 v1, 16, v1
	v_perm_b32 v12, v23, v16, s29
	v_perm_b32 v16, v23, v16, s30
	v_or_b32_sdwa v1, v1, v2 dst_sel:DWORD dst_unused:UNUSED_PAD src0_sel:DWORD src1_sel:WORD_0
	s_and_saveexec_b64 s[20:21], vcc
	s_cbranch_execz .LBB271_1412
; %bb.1411:                             ;   in Loop: Header=BB271_1071 Depth=1
	scratch_load_dwordx2 v[40:41], off, s32 offset:196 ; 8-byte Folded Reload
	v_lshrrev_b32_e32 v22, 16, v16
	v_cmp_lt_i32_e64 s[2:3], v26, v3
	v_lshrrev_b32_e32 v1, 16, v1
	s_nop 0
	v_cndmask_b32_e64 v22, 0, v22, s[2:3]
	s_waitcnt vmcnt(0)
	v_cmp_lt_i32_e64 s[2:3], v37, v40
	s_nop 1
	v_cndmask_b32_e64 v16, 0, v16, s[2:3]
	v_perm_b32 v16, v22, v16, s31
	v_lshrrev_b32_e32 v22, 16, v12
	v_cmp_lt_i32_e64 s[2:3], v55, v3
	s_nop 1
	v_cndmask_b32_e64 v22, 0, v22, s[2:3]
	v_cmp_lt_i32_e64 s[2:3], v54, v40
	s_nop 1
	v_cndmask_b32_e64 v12, 0, v12, s[2:3]
	v_perm_b32 v12, v22, v12, s31
	v_lshrrev_b32_e32 v22, 16, v0
	v_cmp_lt_i32_e64 s[2:3], v49, v3
	s_nop 1
	v_cndmask_b32_e64 v22, 0, v22, s[2:3]
	v_cmp_lt_i32_e64 s[2:3], v39, v40
	s_nop 1
	v_cndmask_b32_e64 v0, 0, v0, s[2:3]
	v_cmp_lt_i32_e64 s[2:3], v36, v3
	v_perm_b32 v0, v22, v0, s31
	s_nop 0
	v_cndmask_b32_e64 v1, 0, v1, s[2:3]
	v_cmp_lt_i32_e64 s[2:3], v19, v40
	s_nop 1
	v_cndmask_b32_e64 v2, 0, v2, s[2:3]
	v_perm_b32 v1, v1, v2, s31
.LBB271_1412:                           ;   in Loop: Header=BB271_1071 Depth=1
	s_or_b64 exec, exec, s[20:21]
	;;#ASMSTART
	v_pk_mul_f16 v2, v51, v16;

	;;#ASMEND
	;;#ASMSTART
	v_pk_mul_f16 v12, v50, v12;

	;;#ASMEND
	;; [unrolled: 4-line block ×4, first 2 shown]
	s_mov_b64 s[2:3], 0
	;;#ASMSTART
	v_pk_add_f16 v2, v2, v12;

	;;#ASMEND
                                        ; implicit-def: $sgpr24
	s_nop 0
	;;#ASMSTART
	v_pk_add_f16 v0, v2, v0;

	;;#ASMEND
	s_nop 0
	;;#ASMSTART
	v_pk_add_f16 v0, v0, v1;

	;;#ASMEND
	s_nop 0
	v_lshrrev_b32_e32 v1, 16, v0
	v_and_b32_e32 v0, 0xffff, v0
	;;#ASMSTART
	v_cvt_f32_f16 v25, v0;
	;;#ASMEND
	;;#ASMSTART
	v_cvt_f32_f16 v2, v1;
	;;#ASMEND
	v_accvgpr_read_b32 v0, a30
	v_accvgpr_read_b32 v1, a31
	v_lshl_add_u64 v[0:1], v[14:15], 0, v[0:1]
	flat_load_dwordx2 v[56:57], v[0:1]
	s_nop 0
	scratch_load_dwordx2 v[0:1], off, s32 offset:188 ; 8-byte Folded Reload
	s_waitcnt vmcnt(0) lgkmcnt(0)
	v_cmp_gt_i16_sdwa s[20:21], v56, s17 src0_sel:BYTE_0 src1_sel:DWORD
	flat_load_dword v46, v[0:1]
	s_and_saveexec_b64 s[22:23], s[20:21]
	s_xor_b64 s[20:21], exec, s[22:23]
	s_cbranch_execnz .LBB271_1936
; %bb.1413:                             ;   in Loop: Header=BB271_1071 Depth=1
	s_or_saveexec_b64 s[20:21], s[20:21]
	v_mov_b32_e32 v58, s24
	s_xor_b64 exec, exec, s[20:21]
	s_cbranch_execnz .LBB271_1939
.LBB271_1414:                           ;   in Loop: Header=BB271_1071 Depth=1
	s_or_b64 exec, exec, s[20:21]
	s_and_saveexec_b64 s[20:21], s[2:3]
	s_cbranch_execz .LBB271_1416
.LBB271_1415:                           ;   in Loop: Header=BB271_1071 Depth=1
	v_and_b32_e32 v0, 7, v56
	v_ffbh_u32_e32 v0, v0
	v_bfe_u32 v1, v56, 3, 4
	v_min_u32_e32 v0, 32, v0
	v_subrev_u32_e32 v12, 28, v0
	v_sub_u32_e32 v0, 29, v0
	v_cmp_eq_u32_e64 s[2:3], 0, v1
	s_nop 1
	v_cndmask_b32_e64 v16, v1, v0, s[2:3]
	v_cndmask_b32_e64 v0, 0, v12, s[2:3]
	v_lshlrev_b64 v[0:1], v0, v[56:57]
	v_lshlrev_b32_e32 v1, 8, v56
	v_lshl_add_u32 v12, v16, 10, v18
	v_lshlrev_b32_e32 v0, 7, v0
	v_and_or_b32 v1, v1, s27, v12
	v_and_or_b32 v0, v0, s28, v1
	v_cvt_f32_f16_e32 v58, v0
.LBB271_1416:                           ;   in Loop: Header=BB271_1071 Depth=1
	s_or_b64 exec, exec, s[20:21]
	v_lshrrev_b16_e32 v16, 8, v56
	v_cmp_lt_i16_e64 s[2:3], s17, v16
	s_mov_b64 s[20:21], 0
                                        ; implicit-def: $sgpr34
	s_and_saveexec_b64 s[22:23], s[2:3]
	s_xor_b64 s[22:23], exec, s[22:23]
	s_cbranch_execnz .LBB271_1940
; %bb.1417:                             ;   in Loop: Header=BB271_1071 Depth=1
	s_or_saveexec_b64 s[22:23], s[22:23]
	v_mov_b32_e32 v44, s34
	s_xor_b64 exec, exec, s[22:23]
	s_cbranch_execnz .LBB271_1943
.LBB271_1418:                           ;   in Loop: Header=BB271_1071 Depth=1
	s_or_b64 exec, exec, s[22:23]
	s_and_saveexec_b64 s[22:23], s[20:21]
	s_cbranch_execz .LBB271_1420
.LBB271_1419:                           ;   in Loop: Header=BB271_1071 Depth=1
	v_and_b32_e32 v12, 7, v16
	v_ffbh_u32_e32 v0, v12
	v_min_u32_e32 v23, 32, v0
	v_subrev_u32_e32 v0, 28, v23
	v_bfe_u32 v22, v16, 3, 4
	v_lshlrev_b64 v[0:1], v0, v[16:17]
	v_sub_u32_e32 v1, 29, v23
	v_cmp_eq_u32_e64 s[2:3], 0, v22
	v_and_b32_e32 v0, 7, v0
	s_nop 0
	v_cndmask_b32_e64 v1, v22, v1, s[2:3]
	v_cndmask_b32_e64 v0, v12, v0, s[2:3]
	v_lshlrev_b32_e32 v12, 8, v16
	v_lshl_add_u32 v1, v1, 10, v18
	v_and_or_b32 v1, v12, s27, v1
	v_lshl_or_b32 v0, v0, 7, v1
	v_cvt_f32_f16_e32 v44, v0
.LBB271_1420:                           ;   in Loop: Header=BB271_1071 Depth=1
	s_or_b64 exec, exec, s[22:23]
	v_lshrrev_b32_e32 v16, 16, v56
	v_cmp_gt_i16_sdwa s[20:21], v16, s17 src0_sel:BYTE_0 src1_sel:DWORD
	s_mov_b64 s[2:3], 0
                                        ; implicit-def: $sgpr24
	s_and_saveexec_b64 s[22:23], s[20:21]
	s_xor_b64 s[20:21], exec, s[22:23]
	s_cbranch_execnz .LBB271_1944
; %bb.1421:                             ;   in Loop: Header=BB271_1071 Depth=1
	s_or_saveexec_b64 s[20:21], s[20:21]
	v_mov_b32_e32 v59, s24
	s_xor_b64 exec, exec, s[20:21]
	s_cbranch_execnz .LBB271_1947
.LBB271_1422:                           ;   in Loop: Header=BB271_1071 Depth=1
	s_or_b64 exec, exec, s[20:21]
	s_and_saveexec_b64 s[20:21], s[2:3]
	s_cbranch_execz .LBB271_1424
.LBB271_1423:                           ;   in Loop: Header=BB271_1071 Depth=1
	v_bfe_u32 v12, v56, 16, 3
	v_ffbh_u32_e32 v0, v12
	v_min_u32_e32 v23, 32, v0
	v_subrev_u32_e32 v0, 28, v23
	v_bfe_u32 v22, v56, 19, 4
	v_lshlrev_b64 v[0:1], v0, v[16:17]
	v_sub_u32_e32 v1, 29, v23
	v_cmp_eq_u32_e64 s[2:3], 0, v22
	v_and_b32_e32 v0, 7, v0
	s_nop 0
	v_cndmask_b32_e64 v1, v22, v1, s[2:3]
	v_cndmask_b32_e64 v0, v12, v0, s[2:3]
	v_lshlrev_b32_e32 v12, 8, v16
	v_lshl_add_u32 v1, v1, 10, v18
	v_and_or_b32 v1, v12, s27, v1
	v_lshl_or_b32 v0, v0, 7, v1
	v_cvt_f32_f16_e32 v59, v0
.LBB271_1424:                           ;   in Loop: Header=BB271_1071 Depth=1
	s_or_b64 exec, exec, s[20:21]
	v_lshrrev_b32_e32 v16, 24, v56
	v_cmp_lt_i16_e64 s[2:3], s17, v16
	s_mov_b64 s[20:21], 0
                                        ; implicit-def: $sgpr34
	s_and_saveexec_b64 s[22:23], s[2:3]
	s_xor_b64 s[22:23], exec, s[22:23]
	s_cbranch_execnz .LBB271_1948
; %bb.1425:                             ;   in Loop: Header=BB271_1071 Depth=1
	s_or_saveexec_b64 s[22:23], s[22:23]
	v_mov_b32_e32 v45, s34
	s_xor_b64 exec, exec, s[22:23]
	s_cbranch_execnz .LBB271_1951
.LBB271_1426:                           ;   in Loop: Header=BB271_1071 Depth=1
	s_or_b64 exec, exec, s[22:23]
	s_and_saveexec_b64 s[22:23], s[20:21]
	s_cbranch_execz .LBB271_1428
.LBB271_1427:                           ;   in Loop: Header=BB271_1071 Depth=1
	v_bfe_u32 v12, v56, 24, 3
	v_ffbh_u32_e32 v0, v12
	v_min_u32_e32 v23, 32, v0
	v_subrev_u32_e32 v0, 28, v23
	v_bfe_u32 v22, v56, 27, 4
	v_lshlrev_b64 v[0:1], v0, v[16:17]
	v_sub_u32_e32 v1, 29, v23
	v_cmp_eq_u32_e64 s[2:3], 0, v22
	v_and_b32_e32 v0, 7, v0
	s_nop 0
	v_cndmask_b32_e64 v1, v22, v1, s[2:3]
	v_cndmask_b32_e64 v0, v12, v0, s[2:3]
	v_lshlrev_b32_e32 v12, 8, v16
	v_lshl_add_u32 v1, v1, 10, v18
	v_and_or_b32 v1, v12, s27, v1
	v_lshl_or_b32 v0, v0, 7, v1
	v_cvt_f32_f16_e32 v45, v0
.LBB271_1428:                           ;   in Loop: Header=BB271_1071 Depth=1
	s_or_b64 exec, exec, s[22:23]
	v_cmp_gt_i16_sdwa s[20:21], v57, s17 src0_sel:BYTE_0 src1_sel:DWORD
	s_mov_b64 s[2:3], 0
                                        ; implicit-def: $sgpr24
	s_and_saveexec_b64 s[22:23], s[20:21]
	s_xor_b64 s[20:21], exec, s[22:23]
	s_cbranch_execnz .LBB271_1952
; %bb.1429:                             ;   in Loop: Header=BB271_1071 Depth=1
	s_or_saveexec_b64 s[20:21], s[20:21]
	v_mov_b32_e32 v0, s24
	s_xor_b64 exec, exec, s[20:21]
	s_cbranch_execnz .LBB271_1955
.LBB271_1430:                           ;   in Loop: Header=BB271_1071 Depth=1
	s_or_b64 exec, exec, s[20:21]
	v_mov_b32_e32 v16, v57
	s_and_saveexec_b64 s[20:21], s[2:3]
	s_cbranch_execz .LBB271_1432
.LBB271_1431:                           ;   in Loop: Header=BB271_1071 Depth=1
	v_and_b32_e32 v0, 7, v57
	v_ffbh_u32_e32 v0, v0
	v_bfe_u32 v1, v57, 3, 4
	v_min_u32_e32 v0, 32, v0
	v_subrev_u32_e32 v12, 28, v0
	v_sub_u32_e32 v0, 29, v0
	v_cmp_eq_u32_e64 s[2:3], 0, v1
	s_nop 1
	v_cndmask_b32_e64 v22, v1, v0, s[2:3]
	v_cndmask_b32_e64 v0, 0, v12, s[2:3]
	v_lshlrev_b64 v[0:1], v0, v[16:17]
	v_lshlrev_b32_e32 v1, 8, v57
	v_lshl_add_u32 v12, v22, 10, v18
	v_lshlrev_b32_e32 v0, 7, v0
	v_and_or_b32 v1, v1, s27, v12
	v_and_or_b32 v0, v0, s28, v1
	v_cvt_f32_f16_e32 v0, v0
.LBB271_1432:                           ;   in Loop: Header=BB271_1071 Depth=1
	s_or_b64 exec, exec, s[20:21]
	v_lshrrev_b16_e32 v16, 8, v16
	v_cmp_lt_i16_e64 s[2:3], s17, v16
	s_mov_b64 s[20:21], 0
                                        ; implicit-def: $sgpr34
	s_and_saveexec_b64 s[22:23], s[2:3]
	s_xor_b64 s[22:23], exec, s[22:23]
	s_cbranch_execnz .LBB271_1956
; %bb.1433:                             ;   in Loop: Header=BB271_1071 Depth=1
	s_or_saveexec_b64 s[22:23], s[22:23]
	v_mov_b32_e32 v1, s34
	s_xor_b64 exec, exec, s[22:23]
	s_cbranch_execnz .LBB271_1959
.LBB271_1434:                           ;   in Loop: Header=BB271_1071 Depth=1
	s_or_b64 exec, exec, s[22:23]
	s_and_saveexec_b64 s[22:23], s[20:21]
	s_cbranch_execz .LBB271_1436
.LBB271_1435:                           ;   in Loop: Header=BB271_1071 Depth=1
	v_and_b32_e32 v1, 7, v16
	v_ffbh_u32_e32 v22, v1
	v_min_u32_e32 v27, 32, v22
	v_subrev_u32_e32 v22, 28, v27
	v_bfe_u32 v12, v16, 3, 4
	v_lshlrev_b64 v[22:23], v22, v[16:17]
	v_sub_u32_e32 v23, 29, v27
	v_cmp_eq_u32_e64 s[2:3], 0, v12
	v_and_b32_e32 v22, 7, v22
	v_lshlrev_b32_e32 v16, 8, v16
	v_cndmask_b32_e64 v12, v12, v23, s[2:3]
	v_lshl_add_u32 v12, v12, 10, v18
	v_cndmask_b32_e64 v1, v1, v22, s[2:3]
	v_and_or_b32 v12, v16, s27, v12
	v_lshl_or_b32 v1, v1, 7, v12
	v_cvt_f32_f16_e32 v1, v1
.LBB271_1436:                           ;   in Loop: Header=BB271_1071 Depth=1
	s_or_b64 exec, exec, s[22:23]
	v_lshrrev_b32_e32 v16, 16, v57
	v_cmp_gt_i16_sdwa s[20:21], v16, s17 src0_sel:BYTE_0 src1_sel:DWORD
	s_mov_b64 s[2:3], 0
                                        ; implicit-def: $sgpr24
	s_and_saveexec_b64 s[22:23], s[20:21]
	s_xor_b64 s[20:21], exec, s[22:23]
	s_cbranch_execnz .LBB271_1960
; %bb.1437:                             ;   in Loop: Header=BB271_1071 Depth=1
	s_or_saveexec_b64 s[20:21], s[20:21]
	v_mov_b32_e32 v12, s24
	s_xor_b64 exec, exec, s[20:21]
	s_cbranch_execnz .LBB271_1963
.LBB271_1438:                           ;   in Loop: Header=BB271_1071 Depth=1
	s_or_b64 exec, exec, s[20:21]
	s_and_saveexec_b64 s[20:21], s[2:3]
	s_cbranch_execz .LBB271_1440
.LBB271_1439:                           ;   in Loop: Header=BB271_1071 Depth=1
	v_bfe_u32 v12, v57, 16, 3
	v_ffbh_u32_e32 v22, v12
	v_min_u32_e32 v40, 32, v22
	v_subrev_u32_e32 v22, 28, v40
	v_bfe_u32 v27, v57, 19, 4
	v_lshlrev_b64 v[22:23], v22, v[16:17]
	v_sub_u32_e32 v23, 29, v40
	v_cmp_eq_u32_e64 s[2:3], 0, v27
	v_and_b32_e32 v22, 7, v22
	v_lshlrev_b32_e32 v16, 8, v16
	v_cndmask_b32_e64 v23, v27, v23, s[2:3]
	v_cndmask_b32_e64 v12, v12, v22, s[2:3]
	v_lshl_add_u32 v22, v23, 10, v18
	v_and_or_b32 v16, v16, s27, v22
	v_lshl_or_b32 v12, v12, 7, v16
	v_cvt_f32_f16_e32 v12, v12
.LBB271_1440:                           ;   in Loop: Header=BB271_1071 Depth=1
	s_or_b64 exec, exec, s[20:21]
	v_lshrrev_b32_e32 v16, 24, v57
	v_cmp_lt_i16_e64 s[2:3], s17, v16
	s_mov_b64 s[20:21], 0
                                        ; implicit-def: $sgpr34
	s_and_saveexec_b64 s[22:23], s[2:3]
	s_xor_b64 s[22:23], exec, s[22:23]
	s_cbranch_execnz .LBB271_1964
; %bb.1441:                             ;   in Loop: Header=BB271_1071 Depth=1
	s_or_saveexec_b64 s[22:23], s[22:23]
	v_mov_b32_e32 v23, s34
	s_xor_b64 exec, exec, s[22:23]
	s_cbranch_execnz .LBB271_1967
.LBB271_1442:                           ;   in Loop: Header=BB271_1071 Depth=1
	s_or_b64 exec, exec, s[22:23]
	s_and_saveexec_b64 s[22:23], s[20:21]
	s_cbranch_execz .LBB271_1444
.LBB271_1443:                           ;   in Loop: Header=BB271_1071 Depth=1
	v_bfe_u32 v27, v57, 24, 3
	v_ffbh_u32_e32 v22, v27
	v_min_u32_e32 v41, 32, v22
	v_subrev_u32_e32 v22, 28, v41
	v_bfe_u32 v40, v57, 27, 4
	v_lshlrev_b64 v[22:23], v22, v[16:17]
	v_sub_u32_e32 v23, 29, v41
	v_cmp_eq_u32_e64 s[2:3], 0, v40
	v_and_b32_e32 v22, 7, v22
	v_lshlrev_b32_e32 v16, 8, v16
	v_cndmask_b32_e64 v23, v40, v23, s[2:3]
	v_lshl_add_u32 v23, v23, 10, v18
	v_cndmask_b32_e64 v22, v27, v22, s[2:3]
	v_and_or_b32 v16, v16, s27, v23
	v_lshl_or_b32 v16, v22, 7, v16
	v_cvt_f32_f16_e32 v23, v16
.LBB271_1444:                           ;   in Loop: Header=BB271_1071 Depth=1
	s_or_b64 exec, exec, s[22:23]
	s_waitcnt vmcnt(0) lgkmcnt(0)
	v_pk_mul_f32 v[40:41], v[46:47], v[44:45] op_sel_hi:[0,1]
	v_pk_mul_f32 v[44:45], v[46:47], v[58:59] op_sel_hi:[0,1]
	v_cvt_f16_f32_e32 v16, v41
	v_cvt_f16_f32_e32 v22, v40
	;; [unrolled: 1-line block ×4, first 2 shown]
	v_fma_mixlo_f16 v1, v46, v1, 0
	v_lshlrev_b32_e32 v1, 16, v1
	v_fma_mixlo_f16 v0, v46, v0, 0
	v_or_b32_sdwa v0, v1, v0 dst_sel:DWORD dst_unused:UNUSED_PAD src0_sel:DWORD src1_sel:WORD_0
	v_fma_mixlo_f16 v1, v46, v23, 0
	v_pack_b32_f16 v22, v22, v16
	v_pack_b32_f16 v27, v40, v27
	v_fma_mixlo_f16 v12, v46, v12, 0
	v_lshlrev_b32_e32 v1, 16, v1
	v_perm_b32 v16, v27, v22, s29
	v_perm_b32 v22, v27, v22, s30
	v_or_b32_sdwa v1, v1, v12 dst_sel:DWORD dst_unused:UNUSED_PAD src0_sel:DWORD src1_sel:WORD_0
	s_and_saveexec_b64 s[20:21], vcc
	s_cbranch_execz .LBB271_1446
; %bb.1445:                             ;   in Loop: Header=BB271_1071 Depth=1
	scratch_load_dwordx2 v[40:41], off, s32 offset:196 ; 8-byte Folded Reload
	v_lshrrev_b32_e32 v23, 16, v22
	v_cmp_lt_i32_e64 s[2:3], v26, v3
	v_lshrrev_b32_e32 v1, 16, v1
	s_nop 0
	v_cndmask_b32_e64 v23, 0, v23, s[2:3]
	s_waitcnt vmcnt(0)
	v_cmp_lt_i32_e64 s[2:3], v37, v40
	s_nop 1
	v_cndmask_b32_e64 v22, 0, v22, s[2:3]
	v_perm_b32 v22, v23, v22, s31
	v_lshrrev_b32_e32 v23, 16, v16
	v_cmp_lt_i32_e64 s[2:3], v55, v3
	s_nop 1
	v_cndmask_b32_e64 v23, 0, v23, s[2:3]
	v_cmp_lt_i32_e64 s[2:3], v54, v40
	s_nop 1
	v_cndmask_b32_e64 v16, 0, v16, s[2:3]
	v_perm_b32 v16, v23, v16, s31
	v_lshrrev_b32_e32 v23, 16, v0
	v_cmp_lt_i32_e64 s[2:3], v49, v3
	s_nop 1
	v_cndmask_b32_e64 v23, 0, v23, s[2:3]
	v_cmp_lt_i32_e64 s[2:3], v39, v40
	s_nop 1
	v_cndmask_b32_e64 v0, 0, v0, s[2:3]
	v_cmp_lt_i32_e64 s[2:3], v36, v3
	v_perm_b32 v0, v23, v0, s31
	s_nop 0
	v_cndmask_b32_e64 v1, 0, v1, s[2:3]
	v_cmp_lt_i32_e64 s[2:3], v19, v40
	s_nop 1
	v_cndmask_b32_e64 v12, 0, v12, s[2:3]
	v_perm_b32 v1, v1, v12, s31
.LBB271_1446:                           ;   in Loop: Header=BB271_1071 Depth=1
	s_or_b64 exec, exec, s[20:21]
	;;#ASMSTART
	v_pk_mul_f16 v12, v51, v22;

	;;#ASMEND
	;;#ASMSTART
	v_pk_mul_f16 v16, v50, v16;

	;;#ASMEND
	;; [unrolled: 4-line block ×3, first 2 shown]
	v_accvgpr_read_b32 v22, a32
	;;#ASMSTART
	v_pk_mul_f16 v1, v38, v1;

	;;#ASMEND
	;;#ASMSTART
	v_pk_add_f16 v12, v12, v16;

	;;#ASMEND
	v_accvgpr_read_b32 v23, a33
	;;#ASMSTART
	v_pk_add_f16 v0, v12, v0;

	;;#ASMEND
	v_lshl_add_u64 v[22:23], v[14:15], 0, v[22:23]
	;;#ASMSTART
	v_pk_add_f16 v0, v0, v1;

	;;#ASMEND
	s_mov_b64 s[2:3], 0
	v_lshrrev_b32_e32 v12, 16, v0
	v_and_b32_e32 v0, 0xffff, v0
	;;#ASMSTART
	v_cvt_f32_f16 v1, v0;
	;;#ASMEND
	;;#ASMSTART
	v_cvt_f32_f16 v27, v12;
	;;#ASMEND
	flat_load_dwordx2 v[56:57], v[22:23]
	s_nop 0
	scratch_load_dwordx2 v[22:23], off, s32 offset:188 ; 8-byte Folded Reload
                                        ; implicit-def: $sgpr24
	s_waitcnt vmcnt(0) lgkmcnt(0)
	v_cmp_gt_i16_sdwa s[20:21], v56, s17 src0_sel:BYTE_0 src1_sel:DWORD
	flat_load_dword v46, v[22:23]
	s_and_saveexec_b64 s[22:23], s[20:21]
	s_xor_b64 s[20:21], exec, s[22:23]
	s_cbranch_execnz .LBB271_1968
; %bb.1447:                             ;   in Loop: Header=BB271_1071 Depth=1
	s_or_saveexec_b64 s[20:21], s[20:21]
	v_mov_b32_e32 v58, s24
	s_xor_b64 exec, exec, s[20:21]
	s_cbranch_execnz .LBB271_1971
.LBB271_1448:                           ;   in Loop: Header=BB271_1071 Depth=1
	s_or_b64 exec, exec, s[20:21]
	s_and_saveexec_b64 s[20:21], s[2:3]
	s_cbranch_execz .LBB271_1450
.LBB271_1449:                           ;   in Loop: Header=BB271_1071 Depth=1
	v_and_b32_e32 v0, 7, v56
	v_ffbh_u32_e32 v0, v0
	v_bfe_u32 v12, v56, 3, 4
	v_min_u32_e32 v0, 32, v0
	v_subrev_u32_e32 v16, 28, v0
	v_sub_u32_e32 v0, 29, v0
	v_cmp_eq_u32_e64 s[2:3], 0, v12
	s_nop 1
	v_cndmask_b32_e64 v0, v12, v0, s[2:3]
	v_cndmask_b32_e64 v12, 0, v16, s[2:3]
	v_lshlrev_b64 v[22:23], v12, v[56:57]
	v_lshlrev_b32_e32 v16, 8, v56
	v_lshl_add_u32 v0, v0, 10, v18
	v_lshlrev_b32_e32 v12, 7, v22
	v_and_or_b32 v0, v16, s27, v0
	v_and_or_b32 v0, v12, s28, v0
	v_cvt_f32_f16_e32 v58, v0
.LBB271_1450:                           ;   in Loop: Header=BB271_1071 Depth=1
	s_or_b64 exec, exec, s[20:21]
	v_lshrrev_b16_e32 v16, 8, v56
	v_cmp_lt_i16_e64 s[2:3], s17, v16
	s_mov_b64 s[20:21], 0
                                        ; implicit-def: $sgpr34
	s_and_saveexec_b64 s[22:23], s[2:3]
	s_xor_b64 s[22:23], exec, s[22:23]
	s_cbranch_execnz .LBB271_1972
; %bb.1451:                             ;   in Loop: Header=BB271_1071 Depth=1
	s_or_saveexec_b64 s[22:23], s[22:23]
	v_mov_b32_e32 v44, s34
	s_xor_b64 exec, exec, s[22:23]
	s_cbranch_execnz .LBB271_1975
.LBB271_1452:                           ;   in Loop: Header=BB271_1071 Depth=1
	s_or_b64 exec, exec, s[22:23]
	s_and_saveexec_b64 s[22:23], s[20:21]
	s_cbranch_execz .LBB271_1454
.LBB271_1453:                           ;   in Loop: Header=BB271_1071 Depth=1
	v_and_b32_e32 v0, 7, v16
	v_ffbh_u32_e32 v22, v0
	v_min_u32_e32 v40, 32, v22
	v_subrev_u32_e32 v22, 28, v40
	v_bfe_u32 v12, v16, 3, 4
	v_lshlrev_b64 v[22:23], v22, v[16:17]
	v_sub_u32_e32 v23, 29, v40
	v_cmp_eq_u32_e64 s[2:3], 0, v12
	v_and_b32_e32 v22, 7, v22
	v_lshlrev_b32_e32 v16, 8, v16
	v_cndmask_b32_e64 v12, v12, v23, s[2:3]
	v_lshl_add_u32 v12, v12, 10, v18
	v_cndmask_b32_e64 v0, v0, v22, s[2:3]
	v_and_or_b32 v12, v16, s27, v12
	v_lshl_or_b32 v0, v0, 7, v12
	v_cvt_f32_f16_e32 v44, v0
.LBB271_1454:                           ;   in Loop: Header=BB271_1071 Depth=1
	s_or_b64 exec, exec, s[22:23]
	v_lshrrev_b32_e32 v16, 16, v56
	v_cmp_gt_i16_sdwa s[20:21], v16, s17 src0_sel:BYTE_0 src1_sel:DWORD
	s_mov_b64 s[2:3], 0
                                        ; implicit-def: $sgpr24
	s_and_saveexec_b64 s[22:23], s[20:21]
	s_xor_b64 s[20:21], exec, s[22:23]
	s_cbranch_execnz .LBB271_1976
; %bb.1455:                             ;   in Loop: Header=BB271_1071 Depth=1
	s_or_saveexec_b64 s[20:21], s[20:21]
	v_mov_b32_e32 v59, s24
	s_xor_b64 exec, exec, s[20:21]
	s_cbranch_execnz .LBB271_1979
.LBB271_1456:                           ;   in Loop: Header=BB271_1071 Depth=1
	s_or_b64 exec, exec, s[20:21]
	s_and_saveexec_b64 s[20:21], s[2:3]
	s_cbranch_execz .LBB271_1458
.LBB271_1457:                           ;   in Loop: Header=BB271_1071 Depth=1
	v_bfe_u32 v0, v56, 16, 3
	v_ffbh_u32_e32 v22, v0
	v_min_u32_e32 v40, 32, v22
	v_subrev_u32_e32 v22, 28, v40
	v_bfe_u32 v12, v56, 19, 4
	v_lshlrev_b64 v[22:23], v22, v[16:17]
	v_sub_u32_e32 v23, 29, v40
	v_cmp_eq_u32_e64 s[2:3], 0, v12
	v_and_b32_e32 v22, 7, v22
	v_lshlrev_b32_e32 v16, 8, v16
	v_cndmask_b32_e64 v12, v12, v23, s[2:3]
	v_lshl_add_u32 v12, v12, 10, v18
	v_cndmask_b32_e64 v0, v0, v22, s[2:3]
	v_and_or_b32 v12, v16, s27, v12
	v_lshl_or_b32 v0, v0, 7, v12
	v_cvt_f32_f16_e32 v59, v0
.LBB271_1458:                           ;   in Loop: Header=BB271_1071 Depth=1
	s_or_b64 exec, exec, s[20:21]
	v_lshrrev_b32_e32 v16, 24, v56
	v_cmp_lt_i16_e64 s[2:3], s17, v16
	s_mov_b64 s[20:21], 0
                                        ; implicit-def: $sgpr34
	s_and_saveexec_b64 s[22:23], s[2:3]
	s_xor_b64 s[22:23], exec, s[22:23]
	s_cbranch_execnz .LBB271_1980
; %bb.1459:                             ;   in Loop: Header=BB271_1071 Depth=1
	s_or_saveexec_b64 s[22:23], s[22:23]
	v_mov_b32_e32 v45, s34
	s_xor_b64 exec, exec, s[22:23]
	s_cbranch_execnz .LBB271_1983
.LBB271_1460:                           ;   in Loop: Header=BB271_1071 Depth=1
	s_or_b64 exec, exec, s[22:23]
	s_and_saveexec_b64 s[22:23], s[20:21]
	s_cbranch_execz .LBB271_1462
.LBB271_1461:                           ;   in Loop: Header=BB271_1071 Depth=1
	v_bfe_u32 v0, v56, 24, 3
	v_ffbh_u32_e32 v22, v0
	v_min_u32_e32 v40, 32, v22
	v_subrev_u32_e32 v22, 28, v40
	v_bfe_u32 v12, v56, 27, 4
	v_lshlrev_b64 v[22:23], v22, v[16:17]
	v_sub_u32_e32 v23, 29, v40
	v_cmp_eq_u32_e64 s[2:3], 0, v12
	v_and_b32_e32 v22, 7, v22
	v_lshlrev_b32_e32 v16, 8, v16
	v_cndmask_b32_e64 v12, v12, v23, s[2:3]
	v_lshl_add_u32 v12, v12, 10, v18
	v_cndmask_b32_e64 v0, v0, v22, s[2:3]
	v_and_or_b32 v12, v16, s27, v12
	v_lshl_or_b32 v0, v0, 7, v12
	v_cvt_f32_f16_e32 v45, v0
.LBB271_1462:                           ;   in Loop: Header=BB271_1071 Depth=1
	s_or_b64 exec, exec, s[22:23]
	v_cmp_gt_i16_sdwa s[20:21], v57, s17 src0_sel:BYTE_0 src1_sel:DWORD
	s_mov_b64 s[2:3], 0
                                        ; implicit-def: $sgpr24
	s_and_saveexec_b64 s[22:23], s[20:21]
	s_xor_b64 s[20:21], exec, s[22:23]
	s_cbranch_execnz .LBB271_1984
; %bb.1463:                             ;   in Loop: Header=BB271_1071 Depth=1
	s_or_saveexec_b64 s[20:21], s[20:21]
	v_mov_b32_e32 v0, s24
	s_xor_b64 exec, exec, s[20:21]
	s_cbranch_execnz .LBB271_1987
.LBB271_1464:                           ;   in Loop: Header=BB271_1071 Depth=1
	s_or_b64 exec, exec, s[20:21]
	v_mov_b32_e32 v16, v57
	s_and_saveexec_b64 s[20:21], s[2:3]
	s_cbranch_execz .LBB271_1466
.LBB271_1465:                           ;   in Loop: Header=BB271_1071 Depth=1
	v_and_b32_e32 v0, 7, v57
	v_ffbh_u32_e32 v0, v0
	v_bfe_u32 v12, v57, 3, 4
	v_min_u32_e32 v0, 32, v0
	v_subrev_u32_e32 v22, 28, v0
	v_sub_u32_e32 v0, 29, v0
	v_cmp_eq_u32_e64 s[2:3], 0, v12
	s_nop 1
	v_cndmask_b32_e64 v0, v12, v0, s[2:3]
	v_cndmask_b32_e64 v12, 0, v22, s[2:3]
	v_lshlrev_b64 v[22:23], v12, v[16:17]
	v_lshlrev_b32_e32 v12, 7, v22
	v_lshlrev_b32_e32 v22, 8, v57
	v_lshl_add_u32 v0, v0, 10, v18
	v_and_or_b32 v0, v22, s27, v0
	v_and_or_b32 v0, v12, s28, v0
	v_cvt_f32_f16_e32 v0, v0
.LBB271_1466:                           ;   in Loop: Header=BB271_1071 Depth=1
	s_or_b64 exec, exec, s[20:21]
	v_lshrrev_b16_e32 v16, 8, v16
	v_cmp_lt_i16_e64 s[2:3], s17, v16
	s_mov_b64 s[20:21], 0
                                        ; implicit-def: $sgpr34
	s_and_saveexec_b64 s[22:23], s[2:3]
	s_xor_b64 s[22:23], exec, s[22:23]
	s_cbranch_execnz .LBB271_1988
; %bb.1467:                             ;   in Loop: Header=BB271_1071 Depth=1
	s_or_saveexec_b64 s[22:23], s[22:23]
	v_mov_b32_e32 v12, s34
	s_xor_b64 exec, exec, s[22:23]
	s_cbranch_execnz .LBB271_1991
.LBB271_1468:                           ;   in Loop: Header=BB271_1071 Depth=1
	s_or_b64 exec, exec, s[22:23]
	s_and_saveexec_b64 s[22:23], s[20:21]
	s_cbranch_execz .LBB271_1470
.LBB271_1469:                           ;   in Loop: Header=BB271_1071 Depth=1
	v_and_b32_e32 v12, 7, v16
	v_ffbh_u32_e32 v22, v12
	v_min_u32_e32 v41, 32, v22
	v_subrev_u32_e32 v22, 28, v41
	v_bfe_u32 v40, v16, 3, 4
	v_lshlrev_b64 v[22:23], v22, v[16:17]
	v_sub_u32_e32 v23, 29, v41
	v_cmp_eq_u32_e64 s[2:3], 0, v40
	v_and_b32_e32 v22, 7, v22
	v_lshlrev_b32_e32 v16, 8, v16
	v_cndmask_b32_e64 v23, v40, v23, s[2:3]
	v_cndmask_b32_e64 v12, v12, v22, s[2:3]
	v_lshl_add_u32 v22, v23, 10, v18
	v_and_or_b32 v16, v16, s27, v22
	v_lshl_or_b32 v12, v12, 7, v16
	v_cvt_f32_f16_e32 v12, v12
.LBB271_1470:                           ;   in Loop: Header=BB271_1071 Depth=1
	s_or_b64 exec, exec, s[22:23]
	v_lshrrev_b32_e32 v16, 16, v57
	v_cmp_gt_i16_sdwa s[20:21], v16, s17 src0_sel:BYTE_0 src1_sel:DWORD
	s_mov_b64 s[2:3], 0
                                        ; implicit-def: $sgpr24
	s_and_saveexec_b64 s[22:23], s[20:21]
	s_xor_b64 s[20:21], exec, s[22:23]
	s_cbranch_execnz .LBB271_1992
; %bb.1471:                             ;   in Loop: Header=BB271_1071 Depth=1
	s_or_saveexec_b64 s[20:21], s[20:21]
	v_mov_b32_e32 v22, s24
	s_xor_b64 exec, exec, s[20:21]
	s_cbranch_execnz .LBB271_1995
.LBB271_1472:                           ;   in Loop: Header=BB271_1071 Depth=1
	s_or_b64 exec, exec, s[20:21]
	s_and_saveexec_b64 s[20:21], s[2:3]
	s_cbranch_execz .LBB271_1474
.LBB271_1473:                           ;   in Loop: Header=BB271_1071 Depth=1
	v_bfe_u32 v40, v57, 16, 3
	v_ffbh_u32_e32 v22, v40
	v_min_u32_e32 v42, 32, v22
	v_subrev_u32_e32 v22, 28, v42
	v_bfe_u32 v41, v57, 19, 4
	v_lshlrev_b64 v[22:23], v22, v[16:17]
	v_sub_u32_e32 v23, 29, v42
	v_cmp_eq_u32_e64 s[2:3], 0, v41
	v_and_b32_e32 v22, 7, v22
	v_lshlrev_b32_e32 v16, 8, v16
	v_cndmask_b32_e64 v23, v41, v23, s[2:3]
	v_lshl_add_u32 v23, v23, 10, v18
	v_cndmask_b32_e64 v22, v40, v22, s[2:3]
	v_and_or_b32 v16, v16, s27, v23
	v_lshl_or_b32 v16, v22, 7, v16
	v_cvt_f32_f16_e32 v22, v16
.LBB271_1474:                           ;   in Loop: Header=BB271_1071 Depth=1
	s_or_b64 exec, exec, s[20:21]
	v_lshrrev_b32_e32 v16, 24, v57
	v_cmp_lt_i16_e64 s[2:3], s17, v16
	s_mov_b64 s[20:21], 0
                                        ; implicit-def: $sgpr34
	s_and_saveexec_b64 s[22:23], s[2:3]
	s_xor_b64 s[22:23], exec, s[22:23]
	s_cbranch_execnz .LBB271_1996
; %bb.1475:                             ;   in Loop: Header=BB271_1071 Depth=1
	s_or_saveexec_b64 s[22:23], s[22:23]
	v_mov_b32_e32 v40, s34
	s_xor_b64 exec, exec, s[22:23]
	s_cbranch_execnz .LBB271_1999
.LBB271_1476:                           ;   in Loop: Header=BB271_1071 Depth=1
	s_or_b64 exec, exec, s[22:23]
	s_and_saveexec_b64 s[22:23], s[20:21]
	s_cbranch_execz .LBB271_1478
.LBB271_1477:                           ;   in Loop: Header=BB271_1071 Depth=1
	v_bfe_u32 v23, v57, 24, 3
	v_ffbh_u32_e32 v40, v23
	v_min_u32_e32 v43, 32, v40
	v_subrev_u32_e32 v40, 28, v43
	v_bfe_u32 v42, v57, 27, 4
	v_lshlrev_b64 v[40:41], v40, v[16:17]
	v_sub_u32_e32 v41, 29, v43
	v_cmp_eq_u32_e64 s[2:3], 0, v42
	v_and_b32_e32 v40, 7, v40
	v_lshlrev_b32_e32 v16, 8, v16
	v_cndmask_b32_e64 v41, v42, v41, s[2:3]
	v_cndmask_b32_e64 v23, v23, v40, s[2:3]
	v_lshl_add_u32 v40, v41, 10, v18
	v_and_or_b32 v16, v16, s27, v40
	v_lshl_or_b32 v16, v23, 7, v16
	v_cvt_f32_f16_e32 v40, v16
.LBB271_1478:                           ;   in Loop: Header=BB271_1071 Depth=1
	s_or_b64 exec, exec, s[22:23]
	s_waitcnt vmcnt(0) lgkmcnt(0)
	v_pk_mul_f32 v[44:45], v[46:47], v[44:45] op_sel_hi:[0,1]
	v_pk_mul_f32 v[56:57], v[46:47], v[58:59] op_sel_hi:[0,1]
	v_cvt_f16_f32_e32 v16, v45
	v_cvt_f16_f32_e32 v23, v44
	;; [unrolled: 1-line block ×4, first 2 shown]
	v_fma_mixlo_f16 v12, v46, v12, 0
	v_lshlrev_b32_e32 v12, 16, v12
	v_fma_mixlo_f16 v0, v46, v0, 0
	v_or_b32_sdwa v0, v12, v0 dst_sel:DWORD dst_unused:UNUSED_PAD src0_sel:DWORD src1_sel:WORD_0
	v_fma_mixlo_f16 v12, v46, v40, 0
	v_pack_b32_f16 v23, v23, v16
	v_pack_b32_f16 v41, v42, v41
	v_fma_mixlo_f16 v22, v46, v22, 0
	v_lshlrev_b32_e32 v12, 16, v12
	v_perm_b32 v16, v41, v23, s29
	v_perm_b32 v23, v41, v23, s30
	v_or_b32_sdwa v12, v12, v22 dst_sel:DWORD dst_unused:UNUSED_PAD src0_sel:DWORD src1_sel:WORD_0
	s_and_saveexec_b64 s[20:21], vcc
	s_cbranch_execz .LBB271_1480
; %bb.1479:                             ;   in Loop: Header=BB271_1071 Depth=1
	scratch_load_dwordx2 v[42:43], off, s32 offset:196 ; 8-byte Folded Reload
	v_lshrrev_b32_e32 v40, 16, v23
	v_cmp_lt_i32_e64 s[2:3], v26, v3
	v_lshrrev_b32_e32 v12, 16, v12
	s_nop 0
	v_cndmask_b32_e64 v40, 0, v40, s[2:3]
	s_waitcnt vmcnt(0)
	v_cmp_lt_i32_e64 s[2:3], v37, v42
	s_nop 1
	v_cndmask_b32_e64 v23, 0, v23, s[2:3]
	v_perm_b32 v23, v40, v23, s31
	v_lshrrev_b32_e32 v40, 16, v16
	v_cmp_lt_i32_e64 s[2:3], v55, v3
	s_nop 1
	v_cndmask_b32_e64 v40, 0, v40, s[2:3]
	v_cmp_lt_i32_e64 s[2:3], v54, v42
	s_nop 1
	v_cndmask_b32_e64 v16, 0, v16, s[2:3]
	v_perm_b32 v16, v40, v16, s31
	v_lshrrev_b32_e32 v40, 16, v0
	v_cmp_lt_i32_e64 s[2:3], v49, v3
	s_nop 1
	v_cndmask_b32_e64 v40, 0, v40, s[2:3]
	v_cmp_lt_i32_e64 s[2:3], v39, v42
	s_nop 1
	v_cndmask_b32_e64 v0, 0, v0, s[2:3]
	v_cmp_lt_i32_e64 s[2:3], v36, v3
	v_perm_b32 v0, v40, v0, s31
	s_nop 0
	v_cndmask_b32_e64 v12, 0, v12, s[2:3]
	v_cmp_lt_i32_e64 s[2:3], v19, v42
	s_nop 1
	v_cndmask_b32_e64 v22, 0, v22, s[2:3]
	v_perm_b32 v12, v12, v22, s31
.LBB271_1480:                           ;   in Loop: Header=BB271_1071 Depth=1
	s_or_b64 exec, exec, s[20:21]
	;;#ASMSTART
	v_pk_mul_f16 v22, v51, v23;

	;;#ASMEND
	;;#ASMSTART
	v_pk_mul_f16 v16, v50, v16;

	;;#ASMEND
	;; [unrolled: 4-line block ×4, first 2 shown]
	s_mov_b64 s[2:3], 0
	;;#ASMSTART
	v_pk_add_f16 v16, v22, v16;

	;;#ASMEND
	v_accvgpr_read_b32 v22, a34
	;;#ASMSTART
	v_pk_add_f16 v0, v16, v0;

	;;#ASMEND
	v_accvgpr_read_b32 v23, a35
	;;#ASMSTART
	v_pk_add_f16 v0, v0, v12;

	;;#ASMEND
	v_lshl_add_u64 v[22:23], v[14:15], 0, v[22:23]
	v_lshrrev_b32_e32 v12, 16, v0
	v_and_b32_e32 v0, 0xffff, v0
	;;#ASMSTART
	v_cvt_f32_f16 v40, v0;
	;;#ASMEND
	;;#ASMSTART
	v_cvt_f32_f16 v41, v12;
	;;#ASMEND
	flat_load_dwordx2 v[56:57], v[22:23]
	s_nop 0
	scratch_load_dwordx2 v[22:23], off, s32 offset:188 ; 8-byte Folded Reload
                                        ; implicit-def: $sgpr24
	s_waitcnt vmcnt(0) lgkmcnt(0)
	v_cmp_gt_i16_sdwa s[20:21], v56, s17 src0_sel:BYTE_0 src1_sel:DWORD
	flat_load_dword v46, v[22:23]
	s_and_saveexec_b64 s[22:23], s[20:21]
	s_xor_b64 s[20:21], exec, s[22:23]
	s_cbranch_execnz .LBB271_2000
; %bb.1481:                             ;   in Loop: Header=BB271_1071 Depth=1
	s_or_saveexec_b64 s[20:21], s[20:21]
	v_mov_b32_e32 v58, s24
	s_xor_b64 exec, exec, s[20:21]
	s_cbranch_execnz .LBB271_2003
.LBB271_1482:                           ;   in Loop: Header=BB271_1071 Depth=1
	s_or_b64 exec, exec, s[20:21]
	s_and_saveexec_b64 s[20:21], s[2:3]
	s_cbranch_execz .LBB271_1484
.LBB271_1483:                           ;   in Loop: Header=BB271_1071 Depth=1
	v_and_b32_e32 v0, 7, v56
	v_ffbh_u32_e32 v0, v0
	v_bfe_u32 v12, v56, 3, 4
	v_min_u32_e32 v0, 32, v0
	v_subrev_u32_e32 v16, 28, v0
	v_sub_u32_e32 v0, 29, v0
	v_cmp_eq_u32_e64 s[2:3], 0, v12
	s_nop 1
	v_cndmask_b32_e64 v0, v12, v0, s[2:3]
	v_cndmask_b32_e64 v12, 0, v16, s[2:3]
	v_lshlrev_b64 v[22:23], v12, v[56:57]
	v_lshlrev_b32_e32 v16, 8, v56
	v_lshl_add_u32 v0, v0, 10, v18
	v_lshlrev_b32_e32 v12, 7, v22
	v_and_or_b32 v0, v16, s27, v0
	v_and_or_b32 v0, v12, s28, v0
	v_cvt_f32_f16_e32 v58, v0
.LBB271_1484:                           ;   in Loop: Header=BB271_1071 Depth=1
	s_or_b64 exec, exec, s[20:21]
	v_lshrrev_b16_e32 v16, 8, v56
	v_cmp_lt_i16_e64 s[2:3], s17, v16
	s_mov_b64 s[20:21], 0
                                        ; implicit-def: $sgpr34
	s_and_saveexec_b64 s[22:23], s[2:3]
	s_xor_b64 s[22:23], exec, s[22:23]
	s_cbranch_execnz .LBB271_2004
; %bb.1485:                             ;   in Loop: Header=BB271_1071 Depth=1
	s_or_saveexec_b64 s[22:23], s[22:23]
	v_mov_b32_e32 v44, s34
	s_xor_b64 exec, exec, s[22:23]
	s_cbranch_execnz .LBB271_2007
.LBB271_1486:                           ;   in Loop: Header=BB271_1071 Depth=1
	s_or_b64 exec, exec, s[22:23]
	s_and_saveexec_b64 s[22:23], s[20:21]
	s_cbranch_execz .LBB271_1488
.LBB271_1487:                           ;   in Loop: Header=BB271_1071 Depth=1
	v_and_b32_e32 v0, 7, v16
	v_ffbh_u32_e32 v22, v0
	v_min_u32_e32 v42, 32, v22
	v_subrev_u32_e32 v22, 28, v42
	v_bfe_u32 v12, v16, 3, 4
	v_lshlrev_b64 v[22:23], v22, v[16:17]
	v_sub_u32_e32 v23, 29, v42
	v_cmp_eq_u32_e64 s[2:3], 0, v12
	v_and_b32_e32 v22, 7, v22
	v_lshlrev_b32_e32 v16, 8, v16
	v_cndmask_b32_e64 v12, v12, v23, s[2:3]
	v_lshl_add_u32 v12, v12, 10, v18
	v_cndmask_b32_e64 v0, v0, v22, s[2:3]
	v_and_or_b32 v12, v16, s27, v12
	v_lshl_or_b32 v0, v0, 7, v12
	v_cvt_f32_f16_e32 v44, v0
.LBB271_1488:                           ;   in Loop: Header=BB271_1071 Depth=1
	s_or_b64 exec, exec, s[22:23]
	v_lshrrev_b32_e32 v16, 16, v56
	v_cmp_gt_i16_sdwa s[20:21], v16, s17 src0_sel:BYTE_0 src1_sel:DWORD
	s_mov_b64 s[2:3], 0
                                        ; implicit-def: $sgpr24
	s_and_saveexec_b64 s[22:23], s[20:21]
	s_xor_b64 s[20:21], exec, s[22:23]
	s_cbranch_execnz .LBB271_2008
; %bb.1489:                             ;   in Loop: Header=BB271_1071 Depth=1
	s_or_saveexec_b64 s[20:21], s[20:21]
	v_mov_b32_e32 v59, s24
	s_xor_b64 exec, exec, s[20:21]
	s_cbranch_execnz .LBB271_2011
.LBB271_1490:                           ;   in Loop: Header=BB271_1071 Depth=1
	s_or_b64 exec, exec, s[20:21]
	s_and_saveexec_b64 s[20:21], s[2:3]
	s_cbranch_execz .LBB271_1492
.LBB271_1491:                           ;   in Loop: Header=BB271_1071 Depth=1
	v_bfe_u32 v0, v56, 16, 3
	v_ffbh_u32_e32 v22, v0
	v_min_u32_e32 v42, 32, v22
	v_subrev_u32_e32 v22, 28, v42
	v_bfe_u32 v12, v56, 19, 4
	v_lshlrev_b64 v[22:23], v22, v[16:17]
	v_sub_u32_e32 v23, 29, v42
	v_cmp_eq_u32_e64 s[2:3], 0, v12
	v_and_b32_e32 v22, 7, v22
	v_lshlrev_b32_e32 v16, 8, v16
	v_cndmask_b32_e64 v12, v12, v23, s[2:3]
	v_lshl_add_u32 v12, v12, 10, v18
	v_cndmask_b32_e64 v0, v0, v22, s[2:3]
	v_and_or_b32 v12, v16, s27, v12
	v_lshl_or_b32 v0, v0, 7, v12
	v_cvt_f32_f16_e32 v59, v0
.LBB271_1492:                           ;   in Loop: Header=BB271_1071 Depth=1
	s_or_b64 exec, exec, s[20:21]
	v_lshrrev_b32_e32 v16, 24, v56
	v_cmp_lt_i16_e64 s[2:3], s17, v16
	s_mov_b64 s[20:21], 0
                                        ; implicit-def: $sgpr34
	s_and_saveexec_b64 s[22:23], s[2:3]
	s_xor_b64 s[22:23], exec, s[22:23]
	s_cbranch_execnz .LBB271_2012
; %bb.1493:                             ;   in Loop: Header=BB271_1071 Depth=1
	s_or_saveexec_b64 s[22:23], s[22:23]
	v_mov_b32_e32 v45, s34
	s_xor_b64 exec, exec, s[22:23]
	s_cbranch_execnz .LBB271_2015
.LBB271_1494:                           ;   in Loop: Header=BB271_1071 Depth=1
	s_or_b64 exec, exec, s[22:23]
	s_and_saveexec_b64 s[22:23], s[20:21]
	s_cbranch_execz .LBB271_1496
.LBB271_1495:                           ;   in Loop: Header=BB271_1071 Depth=1
	v_bfe_u32 v0, v56, 24, 3
	v_ffbh_u32_e32 v22, v0
	v_min_u32_e32 v42, 32, v22
	v_subrev_u32_e32 v22, 28, v42
	v_bfe_u32 v12, v56, 27, 4
	v_lshlrev_b64 v[22:23], v22, v[16:17]
	v_sub_u32_e32 v23, 29, v42
	v_cmp_eq_u32_e64 s[2:3], 0, v12
	v_and_b32_e32 v22, 7, v22
	v_lshlrev_b32_e32 v16, 8, v16
	v_cndmask_b32_e64 v12, v12, v23, s[2:3]
	v_lshl_add_u32 v12, v12, 10, v18
	v_cndmask_b32_e64 v0, v0, v22, s[2:3]
	v_and_or_b32 v12, v16, s27, v12
	v_lshl_or_b32 v0, v0, 7, v12
	v_cvt_f32_f16_e32 v45, v0
.LBB271_1496:                           ;   in Loop: Header=BB271_1071 Depth=1
	s_or_b64 exec, exec, s[22:23]
	v_cmp_gt_i16_sdwa s[20:21], v57, s17 src0_sel:BYTE_0 src1_sel:DWORD
	s_mov_b64 s[2:3], 0
                                        ; implicit-def: $sgpr24
	s_and_saveexec_b64 s[22:23], s[20:21]
	s_xor_b64 s[20:21], exec, s[22:23]
	s_cbranch_execnz .LBB271_2016
; %bb.1497:                             ;   in Loop: Header=BB271_1071 Depth=1
	s_or_saveexec_b64 s[20:21], s[20:21]
	v_mov_b32_e32 v0, s24
	s_xor_b64 exec, exec, s[20:21]
	s_cbranch_execnz .LBB271_2019
.LBB271_1498:                           ;   in Loop: Header=BB271_1071 Depth=1
	s_or_b64 exec, exec, s[20:21]
	v_mov_b32_e32 v16, v57
	s_and_saveexec_b64 s[20:21], s[2:3]
	s_cbranch_execz .LBB271_1500
.LBB271_1499:                           ;   in Loop: Header=BB271_1071 Depth=1
	v_and_b32_e32 v0, 7, v57
	v_ffbh_u32_e32 v0, v0
	v_bfe_u32 v12, v57, 3, 4
	v_min_u32_e32 v0, 32, v0
	v_subrev_u32_e32 v22, 28, v0
	v_sub_u32_e32 v0, 29, v0
	v_cmp_eq_u32_e64 s[2:3], 0, v12
	s_nop 1
	v_cndmask_b32_e64 v0, v12, v0, s[2:3]
	v_cndmask_b32_e64 v12, 0, v22, s[2:3]
	v_lshlrev_b64 v[22:23], v12, v[16:17]
	v_lshlrev_b32_e32 v12, 7, v22
	v_lshlrev_b32_e32 v22, 8, v57
	v_lshl_add_u32 v0, v0, 10, v18
	v_and_or_b32 v0, v22, s27, v0
	v_and_or_b32 v0, v12, s28, v0
	v_cvt_f32_f16_e32 v0, v0
.LBB271_1500:                           ;   in Loop: Header=BB271_1071 Depth=1
	s_or_b64 exec, exec, s[20:21]
	v_lshrrev_b16_e32 v16, 8, v16
	v_cmp_lt_i16_e64 s[2:3], s17, v16
	s_mov_b64 s[20:21], 0
                                        ; implicit-def: $sgpr34
	s_and_saveexec_b64 s[22:23], s[2:3]
	s_xor_b64 s[22:23], exec, s[22:23]
	s_cbranch_execnz .LBB271_2020
; %bb.1501:                             ;   in Loop: Header=BB271_1071 Depth=1
	s_or_saveexec_b64 s[22:23], s[22:23]
	v_mov_b32_e32 v12, s34
	s_xor_b64 exec, exec, s[22:23]
	s_cbranch_execnz .LBB271_2023
.LBB271_1502:                           ;   in Loop: Header=BB271_1071 Depth=1
	s_or_b64 exec, exec, s[22:23]
	s_and_saveexec_b64 s[22:23], s[20:21]
	s_cbranch_execz .LBB271_1504
.LBB271_1503:                           ;   in Loop: Header=BB271_1071 Depth=1
	v_and_b32_e32 v12, 7, v16
	v_ffbh_u32_e32 v22, v12
	v_min_u32_e32 v43, 32, v22
	v_subrev_u32_e32 v22, 28, v43
	v_bfe_u32 v42, v16, 3, 4
	v_lshlrev_b64 v[22:23], v22, v[16:17]
	v_sub_u32_e32 v23, 29, v43
	v_cmp_eq_u32_e64 s[2:3], 0, v42
	v_and_b32_e32 v22, 7, v22
	v_lshlrev_b32_e32 v16, 8, v16
	v_cndmask_b32_e64 v23, v42, v23, s[2:3]
	v_cndmask_b32_e64 v12, v12, v22, s[2:3]
	v_lshl_add_u32 v22, v23, 10, v18
	v_and_or_b32 v16, v16, s27, v22
	v_lshl_or_b32 v12, v12, 7, v16
	v_cvt_f32_f16_e32 v12, v12
.LBB271_1504:                           ;   in Loop: Header=BB271_1071 Depth=1
	s_or_b64 exec, exec, s[22:23]
	v_lshrrev_b32_e32 v16, 16, v57
	v_cmp_gt_i16_sdwa s[20:21], v16, s17 src0_sel:BYTE_0 src1_sel:DWORD
	s_mov_b64 s[2:3], 0
                                        ; implicit-def: $sgpr24
	s_and_saveexec_b64 s[22:23], s[20:21]
	s_xor_b64 s[20:21], exec, s[22:23]
	s_cbranch_execnz .LBB271_2024
; %bb.1505:                             ;   in Loop: Header=BB271_1071 Depth=1
	s_or_saveexec_b64 s[20:21], s[20:21]
	v_mov_b32_e32 v22, s24
	s_xor_b64 exec, exec, s[20:21]
	s_cbranch_execnz .LBB271_2027
.LBB271_1506:                           ;   in Loop: Header=BB271_1071 Depth=1
	s_or_b64 exec, exec, s[20:21]
	s_and_saveexec_b64 s[20:21], s[2:3]
	s_cbranch_execz .LBB271_1508
.LBB271_1507:                           ;   in Loop: Header=BB271_1071 Depth=1
	v_bfe_u32 v42, v57, 16, 3
	v_ffbh_u32_e32 v22, v42
	v_min_u32_e32 v47, 32, v22
	v_subrev_u32_e32 v22, 28, v47
	v_bfe_u32 v43, v57, 19, 4
	v_lshlrev_b64 v[22:23], v22, v[16:17]
	v_sub_u32_e32 v23, 29, v47
	v_cmp_eq_u32_e64 s[2:3], 0, v43
	v_and_b32_e32 v22, 7, v22
	v_lshlrev_b32_e32 v16, 8, v16
	v_cndmask_b32_e64 v23, v43, v23, s[2:3]
	v_lshl_add_u32 v23, v23, 10, v18
	v_cndmask_b32_e64 v22, v42, v22, s[2:3]
	v_and_or_b32 v16, v16, s27, v23
	v_lshl_or_b32 v16, v22, 7, v16
	v_cvt_f32_f16_e32 v22, v16
.LBB271_1508:                           ;   in Loop: Header=BB271_1071 Depth=1
	s_or_b64 exec, exec, s[20:21]
	v_lshrrev_b32_e32 v16, 24, v57
	v_cmp_lt_i16_e64 s[2:3], s17, v16
	s_mov_b64 s[20:21], 0
                                        ; implicit-def: $sgpr34
	s_and_saveexec_b64 s[22:23], s[2:3]
	s_xor_b64 s[22:23], exec, s[22:23]
	s_cbranch_execnz .LBB271_2028
; %bb.1509:                             ;   in Loop: Header=BB271_1071 Depth=1
	s_or_saveexec_b64 s[22:23], s[22:23]
	v_mov_b32_e32 v47, s34
	s_xor_b64 exec, exec, s[22:23]
	s_cbranch_execnz .LBB271_2031
.LBB271_1510:                           ;   in Loop: Header=BB271_1071 Depth=1
	s_or_b64 exec, exec, s[22:23]
	s_and_saveexec_b64 s[22:23], s[20:21]
	s_cbranch_execz .LBB271_1512
.LBB271_1511:                           ;   in Loop: Header=BB271_1071 Depth=1
	v_bfe_u32 v23, v57, 24, 3
	v_ffbh_u32_e32 v43, v23
	v_bfe_u32 v42, v57, 27, 4
	v_min_u32_e32 v43, 32, v43
	v_subrev_u32_e32 v47, 28, v43
	v_sub_u32_e32 v43, 29, v43
	v_cmp_eq_u32_e64 s[2:3], 0, v42
	v_lshlrev_b64 v[56:57], v47, v[16:17]
	v_and_b32_e32 v47, 7, v56
	v_cndmask_b32_e64 v42, v42, v43, s[2:3]
	v_lshlrev_b32_e32 v16, 8, v16
	v_lshl_add_u32 v42, v42, 10, v18
	v_cndmask_b32_e64 v23, v23, v47, s[2:3]
	v_and_or_b32 v16, v16, s27, v42
	v_lshl_or_b32 v16, v23, 7, v16
	v_cvt_f32_f16_e32 v47, v16
.LBB271_1512:                           ;   in Loop: Header=BB271_1071 Depth=1
	s_or_b64 exec, exec, s[22:23]
	s_waitcnt vmcnt(0) lgkmcnt(0)
	v_pk_mul_f32 v[44:45], v[46:47], v[44:45] op_sel_hi:[0,1]
	v_pk_mul_f32 v[56:57], v[46:47], v[58:59] op_sel_hi:[0,1]
	v_cvt_f16_f32_e32 v16, v45
	v_cvt_f16_f32_e32 v23, v44
	;; [unrolled: 1-line block ×4, first 2 shown]
	v_fma_mixlo_f16 v12, v46, v12, 0
	v_lshlrev_b32_e32 v12, 16, v12
	v_fma_mixlo_f16 v0, v46, v0, 0
	v_or_b32_sdwa v0, v12, v0 dst_sel:DWORD dst_unused:UNUSED_PAD src0_sel:DWORD src1_sel:WORD_0
	v_fma_mixlo_f16 v12, v46, v47, 0
	v_pack_b32_f16 v23, v23, v16
	v_pack_b32_f16 v42, v43, v42
	v_fma_mixlo_f16 v22, v46, v22, 0
	v_lshlrev_b32_e32 v12, 16, v12
	v_perm_b32 v16, v42, v23, s29
	v_perm_b32 v23, v42, v23, s30
	v_or_b32_sdwa v12, v12, v22 dst_sel:DWORD dst_unused:UNUSED_PAD src0_sel:DWORD src1_sel:WORD_0
	s_and_saveexec_b64 s[20:21], vcc
	s_cbranch_execz .LBB271_1514
; %bb.1513:                             ;   in Loop: Header=BB271_1071 Depth=1
	scratch_load_dwordx2 v[44:45], off, s32 offset:196 ; 8-byte Folded Reload
	v_lshrrev_b32_e32 v42, 16, v23
	v_cmp_lt_i32_e64 s[2:3], v26, v3
	v_lshrrev_b32_e32 v12, 16, v12
	s_nop 0
	v_cndmask_b32_e64 v42, 0, v42, s[2:3]
	s_waitcnt vmcnt(0)
	v_cmp_lt_i32_e64 s[2:3], v37, v44
	s_nop 1
	v_cndmask_b32_e64 v23, 0, v23, s[2:3]
	v_perm_b32 v23, v42, v23, s31
	v_lshrrev_b32_e32 v42, 16, v16
	v_cmp_lt_i32_e64 s[2:3], v55, v3
	s_nop 1
	v_cndmask_b32_e64 v42, 0, v42, s[2:3]
	v_cmp_lt_i32_e64 s[2:3], v54, v44
	s_nop 1
	v_cndmask_b32_e64 v16, 0, v16, s[2:3]
	v_perm_b32 v16, v42, v16, s31
	v_lshrrev_b32_e32 v42, 16, v0
	v_cmp_lt_i32_e64 s[2:3], v49, v3
	s_nop 1
	v_cndmask_b32_e64 v42, 0, v42, s[2:3]
	v_cmp_lt_i32_e64 s[2:3], v39, v44
	s_nop 1
	v_cndmask_b32_e64 v0, 0, v0, s[2:3]
	v_cmp_lt_i32_e64 s[2:3], v36, v3
	v_perm_b32 v0, v42, v0, s31
	s_nop 0
	v_cndmask_b32_e64 v12, 0, v12, s[2:3]
	v_cmp_lt_i32_e64 s[2:3], v19, v44
	s_nop 1
	v_cndmask_b32_e64 v22, 0, v22, s[2:3]
	v_perm_b32 v12, v12, v22, s31
.LBB271_1514:                           ;   in Loop: Header=BB271_1071 Depth=1
	s_or_b64 exec, exec, s[20:21]
	;;#ASMSTART
	v_pk_mul_f16 v22, v51, v23;

	;;#ASMEND
	;;#ASMSTART
	v_pk_mul_f16 v16, v50, v16;

	;;#ASMEND
	;;#ASMSTART
	v_pk_mul_f16 v0, v48, v0;

	;;#ASMEND
	;;#ASMSTART
	v_pk_mul_f16 v12, v38, v12;

	;;#ASMEND
	s_mov_b64 s[2:3], 0
	;;#ASMSTART
	v_pk_add_f16 v16, v22, v16;

	;;#ASMEND
	v_accvgpr_read_b32 v22, a36
	;;#ASMSTART
	v_pk_add_f16 v0, v16, v0;

	;;#ASMEND
	v_accvgpr_read_b32 v23, a37
	;;#ASMSTART
	v_pk_add_f16 v0, v0, v12;

	;;#ASMEND
	v_lshl_add_u64 v[22:23], v[14:15], 0, v[22:23]
	v_lshrrev_b32_e32 v12, 16, v0
	v_and_b32_e32 v0, 0xffff, v0
	;;#ASMSTART
	v_cvt_f32_f16 v60, v0;
	;;#ASMEND
	;;#ASMSTART
	v_cvt_f32_f16 v61, v12;
	;;#ASMEND
	flat_load_dwordx2 v[56:57], v[22:23]
	s_nop 0
	scratch_load_dwordx2 v[22:23], off, s32 offset:188 ; 8-byte Folded Reload
                                        ; implicit-def: $sgpr24
	s_waitcnt vmcnt(0) lgkmcnt(0)
	v_cmp_gt_i16_sdwa s[20:21], v56, s17 src0_sel:BYTE_0 src1_sel:DWORD
	flat_load_dword v46, v[22:23]
	s_and_saveexec_b64 s[22:23], s[20:21]
	s_xor_b64 s[20:21], exec, s[22:23]
	s_cbranch_execnz .LBB271_2032
; %bb.1515:                             ;   in Loop: Header=BB271_1071 Depth=1
	s_or_saveexec_b64 s[20:21], s[20:21]
	v_mov_b32_e32 v58, s24
	s_xor_b64 exec, exec, s[20:21]
	s_cbranch_execnz .LBB271_2035
.LBB271_1516:                           ;   in Loop: Header=BB271_1071 Depth=1
	s_or_b64 exec, exec, s[20:21]
	s_and_saveexec_b64 s[20:21], s[2:3]
	s_cbranch_execz .LBB271_1518
.LBB271_1517:                           ;   in Loop: Header=BB271_1071 Depth=1
	v_and_b32_e32 v0, 7, v56
	v_ffbh_u32_e32 v0, v0
	v_bfe_u32 v12, v56, 3, 4
	v_min_u32_e32 v0, 32, v0
	v_subrev_u32_e32 v16, 28, v0
	v_sub_u32_e32 v0, 29, v0
	v_cmp_eq_u32_e64 s[2:3], 0, v12
	s_nop 1
	v_cndmask_b32_e64 v0, v12, v0, s[2:3]
	v_cndmask_b32_e64 v12, 0, v16, s[2:3]
	v_lshlrev_b64 v[22:23], v12, v[56:57]
	v_lshlrev_b32_e32 v16, 8, v56
	v_lshl_add_u32 v0, v0, 10, v18
	v_lshlrev_b32_e32 v12, 7, v22
	v_and_or_b32 v0, v16, s27, v0
	v_and_or_b32 v0, v12, s28, v0
	v_cvt_f32_f16_e32 v58, v0
.LBB271_1518:                           ;   in Loop: Header=BB271_1071 Depth=1
	s_or_b64 exec, exec, s[20:21]
	v_lshrrev_b16_e32 v16, 8, v56
	v_cmp_lt_i16_e64 s[2:3], s17, v16
	s_mov_b64 s[20:21], 0
                                        ; implicit-def: $sgpr34
	s_and_saveexec_b64 s[22:23], s[2:3]
	s_xor_b64 s[22:23], exec, s[22:23]
	s_cbranch_execnz .LBB271_2036
; %bb.1519:                             ;   in Loop: Header=BB271_1071 Depth=1
	s_or_saveexec_b64 s[22:23], s[22:23]
	v_mov_b32_e32 v44, s34
	s_xor_b64 exec, exec, s[22:23]
	s_cbranch_execnz .LBB271_2039
.LBB271_1520:                           ;   in Loop: Header=BB271_1071 Depth=1
	s_or_b64 exec, exec, s[22:23]
	s_and_saveexec_b64 s[22:23], s[20:21]
	s_cbranch_execz .LBB271_1522
.LBB271_1521:                           ;   in Loop: Header=BB271_1071 Depth=1
	v_and_b32_e32 v0, 7, v16
	v_ffbh_u32_e32 v22, v0
	v_min_u32_e32 v42, 32, v22
	v_subrev_u32_e32 v22, 28, v42
	v_bfe_u32 v12, v16, 3, 4
	v_lshlrev_b64 v[22:23], v22, v[16:17]
	v_sub_u32_e32 v23, 29, v42
	v_cmp_eq_u32_e64 s[2:3], 0, v12
	v_and_b32_e32 v22, 7, v22
	v_lshlrev_b32_e32 v16, 8, v16
	v_cndmask_b32_e64 v12, v12, v23, s[2:3]
	v_lshl_add_u32 v12, v12, 10, v18
	v_cndmask_b32_e64 v0, v0, v22, s[2:3]
	v_and_or_b32 v12, v16, s27, v12
	v_lshl_or_b32 v0, v0, 7, v12
	v_cvt_f32_f16_e32 v44, v0
.LBB271_1522:                           ;   in Loop: Header=BB271_1071 Depth=1
	s_or_b64 exec, exec, s[22:23]
	v_lshrrev_b32_e32 v16, 16, v56
	v_cmp_gt_i16_sdwa s[20:21], v16, s17 src0_sel:BYTE_0 src1_sel:DWORD
	s_mov_b64 s[2:3], 0
                                        ; implicit-def: $sgpr24
	s_and_saveexec_b64 s[22:23], s[20:21]
	s_xor_b64 s[20:21], exec, s[22:23]
	s_cbranch_execnz .LBB271_2040
; %bb.1523:                             ;   in Loop: Header=BB271_1071 Depth=1
	s_or_saveexec_b64 s[20:21], s[20:21]
	v_mov_b32_e32 v59, s24
	s_xor_b64 exec, exec, s[20:21]
	s_cbranch_execnz .LBB271_2043
.LBB271_1524:                           ;   in Loop: Header=BB271_1071 Depth=1
	s_or_b64 exec, exec, s[20:21]
	s_and_saveexec_b64 s[20:21], s[2:3]
	s_cbranch_execz .LBB271_1526
.LBB271_1525:                           ;   in Loop: Header=BB271_1071 Depth=1
	v_bfe_u32 v0, v56, 16, 3
	v_ffbh_u32_e32 v22, v0
	v_min_u32_e32 v42, 32, v22
	v_subrev_u32_e32 v22, 28, v42
	v_bfe_u32 v12, v56, 19, 4
	v_lshlrev_b64 v[22:23], v22, v[16:17]
	v_sub_u32_e32 v23, 29, v42
	v_cmp_eq_u32_e64 s[2:3], 0, v12
	v_and_b32_e32 v22, 7, v22
	v_lshlrev_b32_e32 v16, 8, v16
	v_cndmask_b32_e64 v12, v12, v23, s[2:3]
	v_lshl_add_u32 v12, v12, 10, v18
	v_cndmask_b32_e64 v0, v0, v22, s[2:3]
	v_and_or_b32 v12, v16, s27, v12
	v_lshl_or_b32 v0, v0, 7, v12
	v_cvt_f32_f16_e32 v59, v0
.LBB271_1526:                           ;   in Loop: Header=BB271_1071 Depth=1
	s_or_b64 exec, exec, s[20:21]
	v_lshrrev_b32_e32 v16, 24, v56
	v_cmp_lt_i16_e64 s[2:3], s17, v16
	s_mov_b64 s[20:21], 0
                                        ; implicit-def: $sgpr34
	s_and_saveexec_b64 s[22:23], s[2:3]
	s_xor_b64 s[22:23], exec, s[22:23]
	s_cbranch_execnz .LBB271_2044
; %bb.1527:                             ;   in Loop: Header=BB271_1071 Depth=1
	s_or_saveexec_b64 s[22:23], s[22:23]
	v_mov_b32_e32 v45, s34
	s_xor_b64 exec, exec, s[22:23]
	s_cbranch_execnz .LBB271_2047
.LBB271_1528:                           ;   in Loop: Header=BB271_1071 Depth=1
	s_or_b64 exec, exec, s[22:23]
	s_and_saveexec_b64 s[22:23], s[20:21]
	s_cbranch_execz .LBB271_1530
.LBB271_1529:                           ;   in Loop: Header=BB271_1071 Depth=1
	v_bfe_u32 v0, v56, 24, 3
	v_ffbh_u32_e32 v22, v0
	v_min_u32_e32 v42, 32, v22
	v_subrev_u32_e32 v22, 28, v42
	v_bfe_u32 v12, v56, 27, 4
	v_lshlrev_b64 v[22:23], v22, v[16:17]
	v_sub_u32_e32 v23, 29, v42
	v_cmp_eq_u32_e64 s[2:3], 0, v12
	v_and_b32_e32 v22, 7, v22
	v_lshlrev_b32_e32 v16, 8, v16
	v_cndmask_b32_e64 v12, v12, v23, s[2:3]
	v_lshl_add_u32 v12, v12, 10, v18
	v_cndmask_b32_e64 v0, v0, v22, s[2:3]
	v_and_or_b32 v12, v16, s27, v12
	v_lshl_or_b32 v0, v0, 7, v12
	v_cvt_f32_f16_e32 v45, v0
.LBB271_1530:                           ;   in Loop: Header=BB271_1071 Depth=1
	s_or_b64 exec, exec, s[22:23]
	v_cmp_gt_i16_sdwa s[20:21], v57, s17 src0_sel:BYTE_0 src1_sel:DWORD
	s_mov_b64 s[2:3], 0
                                        ; implicit-def: $sgpr24
	s_and_saveexec_b64 s[22:23], s[20:21]
	s_xor_b64 s[20:21], exec, s[22:23]
	s_cbranch_execnz .LBB271_2048
; %bb.1531:                             ;   in Loop: Header=BB271_1071 Depth=1
	s_or_saveexec_b64 s[20:21], s[20:21]
	v_mov_b32_e32 v0, s24
	s_xor_b64 exec, exec, s[20:21]
	s_cbranch_execnz .LBB271_2051
.LBB271_1532:                           ;   in Loop: Header=BB271_1071 Depth=1
	s_or_b64 exec, exec, s[20:21]
	v_mov_b32_e32 v16, v57
	s_and_saveexec_b64 s[20:21], s[2:3]
	s_cbranch_execz .LBB271_1534
.LBB271_1533:                           ;   in Loop: Header=BB271_1071 Depth=1
	v_and_b32_e32 v0, 7, v57
	v_ffbh_u32_e32 v0, v0
	v_bfe_u32 v12, v57, 3, 4
	v_min_u32_e32 v0, 32, v0
	v_subrev_u32_e32 v22, 28, v0
	v_sub_u32_e32 v0, 29, v0
	v_cmp_eq_u32_e64 s[2:3], 0, v12
	s_nop 1
	v_cndmask_b32_e64 v0, v12, v0, s[2:3]
	v_cndmask_b32_e64 v12, 0, v22, s[2:3]
	v_lshlrev_b64 v[22:23], v12, v[16:17]
	v_lshlrev_b32_e32 v12, 7, v22
	v_lshlrev_b32_e32 v22, 8, v57
	v_lshl_add_u32 v0, v0, 10, v18
	v_and_or_b32 v0, v22, s27, v0
	v_and_or_b32 v0, v12, s28, v0
	v_cvt_f32_f16_e32 v0, v0
.LBB271_1534:                           ;   in Loop: Header=BB271_1071 Depth=1
	s_or_b64 exec, exec, s[20:21]
	v_lshrrev_b16_e32 v16, 8, v16
	v_cmp_lt_i16_e64 s[2:3], s17, v16
	s_mov_b64 s[20:21], 0
                                        ; implicit-def: $sgpr34
	s_and_saveexec_b64 s[22:23], s[2:3]
	s_xor_b64 s[22:23], exec, s[22:23]
	s_cbranch_execnz .LBB271_2052
; %bb.1535:                             ;   in Loop: Header=BB271_1071 Depth=1
	s_or_saveexec_b64 s[22:23], s[22:23]
	v_mov_b32_e32 v12, s34
	s_xor_b64 exec, exec, s[22:23]
	s_cbranch_execnz .LBB271_2055
.LBB271_1536:                           ;   in Loop: Header=BB271_1071 Depth=1
	s_or_b64 exec, exec, s[22:23]
	s_and_saveexec_b64 s[22:23], s[20:21]
	s_cbranch_execz .LBB271_1538
.LBB271_1537:                           ;   in Loop: Header=BB271_1071 Depth=1
	v_and_b32_e32 v12, 7, v16
	v_ffbh_u32_e32 v22, v12
	v_min_u32_e32 v43, 32, v22
	v_subrev_u32_e32 v22, 28, v43
	v_bfe_u32 v42, v16, 3, 4
	v_lshlrev_b64 v[22:23], v22, v[16:17]
	v_sub_u32_e32 v23, 29, v43
	v_cmp_eq_u32_e64 s[2:3], 0, v42
	v_and_b32_e32 v22, 7, v22
	v_lshlrev_b32_e32 v16, 8, v16
	v_cndmask_b32_e64 v23, v42, v23, s[2:3]
	v_cndmask_b32_e64 v12, v12, v22, s[2:3]
	v_lshl_add_u32 v22, v23, 10, v18
	v_and_or_b32 v16, v16, s27, v22
	v_lshl_or_b32 v12, v12, 7, v16
	v_cvt_f32_f16_e32 v12, v12
.LBB271_1538:                           ;   in Loop: Header=BB271_1071 Depth=1
	s_or_b64 exec, exec, s[22:23]
	v_lshrrev_b32_e32 v16, 16, v57
	v_cmp_gt_i16_sdwa s[20:21], v16, s17 src0_sel:BYTE_0 src1_sel:DWORD
	s_mov_b64 s[2:3], 0
                                        ; implicit-def: $sgpr24
	s_and_saveexec_b64 s[22:23], s[20:21]
	s_xor_b64 s[20:21], exec, s[22:23]
	s_cbranch_execnz .LBB271_2056
; %bb.1539:                             ;   in Loop: Header=BB271_1071 Depth=1
	s_or_saveexec_b64 s[20:21], s[20:21]
	v_mov_b32_e32 v22, s24
	s_xor_b64 exec, exec, s[20:21]
	s_cbranch_execnz .LBB271_2059
.LBB271_1540:                           ;   in Loop: Header=BB271_1071 Depth=1
	s_or_b64 exec, exec, s[20:21]
	s_and_saveexec_b64 s[20:21], s[2:3]
	s_cbranch_execz .LBB271_1542
.LBB271_1541:                           ;   in Loop: Header=BB271_1071 Depth=1
	v_bfe_u32 v42, v57, 16, 3
	v_ffbh_u32_e32 v22, v42
	v_min_u32_e32 v47, 32, v22
	v_subrev_u32_e32 v22, 28, v47
	v_bfe_u32 v43, v57, 19, 4
	v_lshlrev_b64 v[22:23], v22, v[16:17]
	v_sub_u32_e32 v23, 29, v47
	v_cmp_eq_u32_e64 s[2:3], 0, v43
	v_and_b32_e32 v22, 7, v22
	v_lshlrev_b32_e32 v16, 8, v16
	v_cndmask_b32_e64 v23, v43, v23, s[2:3]
	v_lshl_add_u32 v23, v23, 10, v18
	v_cndmask_b32_e64 v22, v42, v22, s[2:3]
	v_and_or_b32 v16, v16, s27, v23
	v_lshl_or_b32 v16, v22, 7, v16
	v_cvt_f32_f16_e32 v22, v16
.LBB271_1542:                           ;   in Loop: Header=BB271_1071 Depth=1
	s_or_b64 exec, exec, s[20:21]
	v_lshrrev_b32_e32 v16, 24, v57
	v_cmp_lt_i16_e64 s[2:3], s17, v16
	s_mov_b64 s[20:21], 0
                                        ; implicit-def: $sgpr34
	s_and_saveexec_b64 s[22:23], s[2:3]
	s_xor_b64 s[22:23], exec, s[22:23]
	s_cbranch_execnz .LBB271_2060
; %bb.1543:                             ;   in Loop: Header=BB271_1071 Depth=1
	s_or_saveexec_b64 s[22:23], s[22:23]
	v_mov_b32_e32 v47, s34
	s_xor_b64 exec, exec, s[22:23]
	s_cbranch_execnz .LBB271_2063
.LBB271_1544:                           ;   in Loop: Header=BB271_1071 Depth=1
	s_or_b64 exec, exec, s[22:23]
	s_and_saveexec_b64 s[22:23], s[20:21]
	s_cbranch_execz .LBB271_1546
.LBB271_1545:                           ;   in Loop: Header=BB271_1071 Depth=1
	v_bfe_u32 v23, v57, 24, 3
	v_ffbh_u32_e32 v43, v23
	v_bfe_u32 v42, v57, 27, 4
	v_min_u32_e32 v43, 32, v43
	v_subrev_u32_e32 v47, 28, v43
	v_sub_u32_e32 v43, 29, v43
	v_cmp_eq_u32_e64 s[2:3], 0, v42
	v_lshlrev_b64 v[56:57], v47, v[16:17]
	v_and_b32_e32 v47, 7, v56
	v_cndmask_b32_e64 v42, v42, v43, s[2:3]
	v_lshlrev_b32_e32 v16, 8, v16
	v_lshl_add_u32 v42, v42, 10, v18
	v_cndmask_b32_e64 v23, v23, v47, s[2:3]
	v_and_or_b32 v16, v16, s27, v42
	v_lshl_or_b32 v16, v23, 7, v16
	v_cvt_f32_f16_e32 v47, v16
.LBB271_1546:                           ;   in Loop: Header=BB271_1071 Depth=1
	s_or_b64 exec, exec, s[22:23]
	s_waitcnt vmcnt(0) lgkmcnt(0)
	v_pk_mul_f32 v[44:45], v[46:47], v[44:45] op_sel_hi:[0,1]
	v_pk_mul_f32 v[56:57], v[46:47], v[58:59] op_sel_hi:[0,1]
	v_cvt_f16_f32_e32 v16, v45
	v_cvt_f16_f32_e32 v23, v44
	;; [unrolled: 1-line block ×4, first 2 shown]
	v_fma_mixlo_f16 v12, v46, v12, 0
	v_lshlrev_b32_e32 v12, 16, v12
	v_fma_mixlo_f16 v0, v46, v0, 0
	v_or_b32_sdwa v0, v12, v0 dst_sel:DWORD dst_unused:UNUSED_PAD src0_sel:DWORD src1_sel:WORD_0
	v_fma_mixlo_f16 v12, v46, v47, 0
	v_pack_b32_f16 v23, v23, v16
	v_pack_b32_f16 v42, v43, v42
	v_fma_mixlo_f16 v22, v46, v22, 0
	v_lshlrev_b32_e32 v12, 16, v12
	v_perm_b32 v16, v42, v23, s29
	v_perm_b32 v23, v42, v23, s30
	v_or_b32_sdwa v12, v12, v22 dst_sel:DWORD dst_unused:UNUSED_PAD src0_sel:DWORD src1_sel:WORD_0
	s_and_saveexec_b64 s[20:21], vcc
	s_cbranch_execz .LBB271_1548
; %bb.1547:                             ;   in Loop: Header=BB271_1071 Depth=1
	scratch_load_dwordx2 v[44:45], off, s32 offset:196 ; 8-byte Folded Reload
	v_lshrrev_b32_e32 v42, 16, v23
	v_cmp_lt_i32_e64 s[2:3], v26, v3
	v_lshrrev_b32_e32 v12, 16, v12
	s_nop 0
	v_cndmask_b32_e64 v42, 0, v42, s[2:3]
	s_waitcnt vmcnt(0)
	v_cmp_lt_i32_e64 s[2:3], v37, v44
	s_nop 1
	v_cndmask_b32_e64 v23, 0, v23, s[2:3]
	v_perm_b32 v23, v42, v23, s31
	v_lshrrev_b32_e32 v42, 16, v16
	v_cmp_lt_i32_e64 s[2:3], v55, v3
	s_nop 1
	v_cndmask_b32_e64 v42, 0, v42, s[2:3]
	v_cmp_lt_i32_e64 s[2:3], v54, v44
	s_nop 1
	v_cndmask_b32_e64 v16, 0, v16, s[2:3]
	v_perm_b32 v16, v42, v16, s31
	v_lshrrev_b32_e32 v42, 16, v0
	v_cmp_lt_i32_e64 s[2:3], v49, v3
	s_nop 1
	v_cndmask_b32_e64 v42, 0, v42, s[2:3]
	v_cmp_lt_i32_e64 s[2:3], v39, v44
	s_nop 1
	v_cndmask_b32_e64 v0, 0, v0, s[2:3]
	v_cmp_lt_i32_e64 s[2:3], v36, v3
	v_perm_b32 v0, v42, v0, s31
	s_nop 0
	v_cndmask_b32_e64 v12, 0, v12, s[2:3]
	v_cmp_lt_i32_e64 s[2:3], v19, v44
	s_nop 1
	v_cndmask_b32_e64 v22, 0, v22, s[2:3]
	v_perm_b32 v12, v12, v22, s31
.LBB271_1548:                           ;   in Loop: Header=BB271_1071 Depth=1
	s_or_b64 exec, exec, s[20:21]
	;;#ASMSTART
	v_pk_mul_f16 v22, v51, v23;

	;;#ASMEND
	;;#ASMSTART
	v_pk_mul_f16 v16, v50, v16;

	;;#ASMEND
	;; [unrolled: 4-line block ×4, first 2 shown]
	v_accvgpr_read_b32 v43, a39
	;;#ASMSTART
	v_pk_add_f16 v16, v22, v16;

	;;#ASMEND
	v_accvgpr_read_b32 v42, a38
	;;#ASMSTART
	v_pk_add_f16 v0, v16, v0;

	;;#ASMEND
	v_lshl_add_u64 v[44:45], v[14:15], 0, v[42:43]
	;;#ASMSTART
	v_pk_add_f16 v0, v0, v12;

	;;#ASMEND
	s_mov_b64 s[2:3], 0
	v_lshrrev_b32_e32 v12, 16, v0
	v_and_b32_e32 v0, 0xffff, v0
	;;#ASMSTART
	v_cvt_f32_f16 v0, v0;
	;;#ASMEND
	;;#ASMSTART
	v_cvt_f32_f16 v22, v12;
	;;#ASMEND
	flat_load_dwordx2 v[56:57], v[44:45]
	scratch_load_dwordx2 v[42:43], off, s32 offset:188 ; 8-byte Folded Reload
                                        ; implicit-def: $sgpr24
	s_waitcnt vmcnt(0) lgkmcnt(0)
	v_cmp_gt_i16_sdwa s[20:21], v56, s17 src0_sel:BYTE_0 src1_sel:DWORD
	flat_load_dword v46, v[42:43]
	s_and_saveexec_b64 s[22:23], s[20:21]
	s_xor_b64 s[20:21], exec, s[22:23]
	s_cbranch_execnz .LBB271_2064
; %bb.1549:                             ;   in Loop: Header=BB271_1071 Depth=1
	s_or_saveexec_b64 s[20:21], s[20:21]
	v_mov_b32_e32 v58, s24
	s_xor_b64 exec, exec, s[20:21]
	s_cbranch_execnz .LBB271_2067
.LBB271_1550:                           ;   in Loop: Header=BB271_1071 Depth=1
	s_or_b64 exec, exec, s[20:21]
	s_and_saveexec_b64 s[20:21], s[2:3]
	s_cbranch_execz .LBB271_1552
.LBB271_1551:                           ;   in Loop: Header=BB271_1071 Depth=1
	v_and_b32_e32 v12, 7, v56
	v_ffbh_u32_e32 v12, v12
	v_bfe_u32 v16, v56, 3, 4
	v_min_u32_e32 v12, 32, v12
	v_subrev_u32_e32 v23, 28, v12
	v_sub_u32_e32 v12, 29, v12
	v_cmp_eq_u32_e64 s[2:3], 0, v16
	s_nop 1
	v_cndmask_b32_e64 v12, v16, v12, s[2:3]
	v_cndmask_b32_e64 v16, 0, v23, s[2:3]
	v_lshlrev_b64 v[44:45], v16, v[56:57]
	v_lshlrev_b32_e32 v23, 8, v56
	v_lshl_add_u32 v12, v12, 10, v18
	v_lshlrev_b32_e32 v16, 7, v44
	v_and_or_b32 v12, v23, s27, v12
	v_and_or_b32 v12, v16, s28, v12
	v_cvt_f32_f16_e32 v58, v12
.LBB271_1552:                           ;   in Loop: Header=BB271_1071 Depth=1
	s_or_b64 exec, exec, s[20:21]
	v_lshrrev_b16_e32 v16, 8, v56
	v_cmp_lt_i16_e64 s[2:3], s17, v16
	s_mov_b64 s[20:21], 0
                                        ; implicit-def: $sgpr34
	s_and_saveexec_b64 s[22:23], s[2:3]
	s_xor_b64 s[22:23], exec, s[22:23]
	s_cbranch_execnz .LBB271_2068
; %bb.1553:                             ;   in Loop: Header=BB271_1071 Depth=1
	s_or_saveexec_b64 s[22:23], s[22:23]
	v_mov_b32_e32 v44, s34
	s_xor_b64 exec, exec, s[22:23]
	s_cbranch_execnz .LBB271_2071
.LBB271_1554:                           ;   in Loop: Header=BB271_1071 Depth=1
	s_or_b64 exec, exec, s[22:23]
	s_and_saveexec_b64 s[22:23], s[20:21]
	s_cbranch_execz .LBB271_1556
.LBB271_1555:                           ;   in Loop: Header=BB271_1071 Depth=1
	v_and_b32_e32 v12, 7, v16
	v_ffbh_u32_e32 v42, v12
	v_bfe_u32 v23, v16, 3, 4
	v_min_u32_e32 v42, 32, v42
	v_subrev_u32_e32 v43, 28, v42
	v_sub_u32_e32 v42, 29, v42
	v_cmp_eq_u32_e64 s[2:3], 0, v23
	v_lshlrev_b64 v[44:45], v43, v[16:17]
	v_and_b32_e32 v43, 7, v44
	v_cndmask_b32_e64 v23, v23, v42, s[2:3]
	v_lshlrev_b32_e32 v16, 8, v16
	v_lshl_add_u32 v23, v23, 10, v18
	v_cndmask_b32_e64 v12, v12, v43, s[2:3]
	v_and_or_b32 v16, v16, s27, v23
	v_lshl_or_b32 v12, v12, 7, v16
	v_cvt_f32_f16_e32 v44, v12
.LBB271_1556:                           ;   in Loop: Header=BB271_1071 Depth=1
	s_or_b64 exec, exec, s[22:23]
	v_lshrrev_b32_e32 v16, 16, v56
	v_cmp_gt_i16_sdwa s[20:21], v16, s17 src0_sel:BYTE_0 src1_sel:DWORD
	s_mov_b64 s[2:3], 0
                                        ; implicit-def: $sgpr24
	s_and_saveexec_b64 s[22:23], s[20:21]
	s_xor_b64 s[20:21], exec, s[22:23]
	s_cbranch_execnz .LBB271_2072
; %bb.1557:                             ;   in Loop: Header=BB271_1071 Depth=1
	s_or_saveexec_b64 s[20:21], s[20:21]
	v_mov_b32_e32 v59, s24
	s_xor_b64 exec, exec, s[20:21]
	s_cbranch_execnz .LBB271_2075
.LBB271_1558:                           ;   in Loop: Header=BB271_1071 Depth=1
	s_or_b64 exec, exec, s[20:21]
	s_and_saveexec_b64 s[20:21], s[2:3]
	s_cbranch_execz .LBB271_1560
.LBB271_1559:                           ;   in Loop: Header=BB271_1071 Depth=1
	v_bfe_u32 v12, v56, 16, 3
	v_ffbh_u32_e32 v42, v12
	v_min_u32_e32 v45, 32, v42
	v_subrev_u32_e32 v42, 28, v45
	v_bfe_u32 v23, v56, 19, 4
	v_lshlrev_b64 v[42:43], v42, v[16:17]
	v_sub_u32_e32 v43, 29, v45
	v_cmp_eq_u32_e64 s[2:3], 0, v23
	v_and_b32_e32 v42, 7, v42
	v_lshlrev_b32_e32 v16, 8, v16
	v_cndmask_b32_e64 v23, v23, v43, s[2:3]
	v_lshl_add_u32 v23, v23, 10, v18
	v_cndmask_b32_e64 v12, v12, v42, s[2:3]
	v_and_or_b32 v16, v16, s27, v23
	v_lshl_or_b32 v12, v12, 7, v16
	v_cvt_f32_f16_e32 v59, v12
.LBB271_1560:                           ;   in Loop: Header=BB271_1071 Depth=1
	s_or_b64 exec, exec, s[20:21]
	v_lshrrev_b32_e32 v16, 24, v56
	v_cmp_lt_i16_e64 s[2:3], s17, v16
	s_mov_b64 s[20:21], 0
                                        ; implicit-def: $sgpr34
	s_and_saveexec_b64 s[22:23], s[2:3]
	s_xor_b64 s[22:23], exec, s[22:23]
	s_cbranch_execnz .LBB271_2076
; %bb.1561:                             ;   in Loop: Header=BB271_1071 Depth=1
	s_or_saveexec_b64 s[22:23], s[22:23]
	v_mov_b32_e32 v45, s34
	s_xor_b64 exec, exec, s[22:23]
	s_cbranch_execnz .LBB271_2079
.LBB271_1562:                           ;   in Loop: Header=BB271_1071 Depth=1
	s_or_b64 exec, exec, s[22:23]
	s_and_saveexec_b64 s[22:23], s[20:21]
	s_cbranch_execz .LBB271_1564
.LBB271_1563:                           ;   in Loop: Header=BB271_1071 Depth=1
	v_bfe_u32 v12, v56, 24, 3
	v_ffbh_u32_e32 v42, v12
	v_min_u32_e32 v45, 32, v42
	v_subrev_u32_e32 v42, 28, v45
	v_bfe_u32 v23, v56, 27, 4
	v_lshlrev_b64 v[42:43], v42, v[16:17]
	v_sub_u32_e32 v43, 29, v45
	v_cmp_eq_u32_e64 s[2:3], 0, v23
	v_and_b32_e32 v42, 7, v42
	v_lshlrev_b32_e32 v16, 8, v16
	v_cndmask_b32_e64 v23, v23, v43, s[2:3]
	v_lshl_add_u32 v23, v23, 10, v18
	v_cndmask_b32_e64 v12, v12, v42, s[2:3]
	v_and_or_b32 v16, v16, s27, v23
	v_lshl_or_b32 v12, v12, 7, v16
	v_cvt_f32_f16_e32 v45, v12
.LBB271_1564:                           ;   in Loop: Header=BB271_1071 Depth=1
	s_or_b64 exec, exec, s[22:23]
	v_cmp_gt_i16_sdwa s[20:21], v57, s17 src0_sel:BYTE_0 src1_sel:DWORD
	s_mov_b64 s[2:3], 0
                                        ; implicit-def: $sgpr24
	s_and_saveexec_b64 s[22:23], s[20:21]
	s_xor_b64 s[20:21], exec, s[22:23]
	s_cbranch_execnz .LBB271_2080
; %bb.1565:                             ;   in Loop: Header=BB271_1071 Depth=1
	s_or_saveexec_b64 s[20:21], s[20:21]
	v_mov_b32_e32 v12, s24
	s_xor_b64 exec, exec, s[20:21]
	s_cbranch_execnz .LBB271_2083
.LBB271_1566:                           ;   in Loop: Header=BB271_1071 Depth=1
	s_or_b64 exec, exec, s[20:21]
	v_mov_b32_e32 v16, v57
	s_and_saveexec_b64 s[20:21], s[2:3]
	s_cbranch_execz .LBB271_1568
.LBB271_1567:                           ;   in Loop: Header=BB271_1071 Depth=1
	v_and_b32_e32 v12, 7, v57
	v_ffbh_u32_e32 v12, v12
	v_bfe_u32 v23, v57, 3, 4
	v_min_u32_e32 v12, 32, v12
	v_subrev_u32_e32 v42, 28, v12
	v_sub_u32_e32 v12, 29, v12
	v_cmp_eq_u32_e64 s[2:3], 0, v23
	s_nop 1
	v_cndmask_b32_e64 v12, v23, v12, s[2:3]
	v_cndmask_b32_e64 v23, 0, v42, s[2:3]
	v_lshlrev_b64 v[42:43], v23, v[16:17]
	v_lshlrev_b32_e32 v23, 7, v42
	v_lshlrev_b32_e32 v42, 8, v57
	v_lshl_add_u32 v12, v12, 10, v18
	v_and_or_b32 v12, v42, s27, v12
	v_and_or_b32 v12, v23, s28, v12
	v_cvt_f32_f16_e32 v12, v12
.LBB271_1568:                           ;   in Loop: Header=BB271_1071 Depth=1
	s_or_b64 exec, exec, s[20:21]
	v_lshrrev_b16_e32 v16, 8, v16
	v_cmp_lt_i16_e64 s[2:3], s17, v16
	s_mov_b64 s[20:21], 0
                                        ; implicit-def: $sgpr34
	s_and_saveexec_b64 s[22:23], s[2:3]
	s_xor_b64 s[22:23], exec, s[22:23]
	s_cbranch_execnz .LBB271_2084
; %bb.1569:                             ;   in Loop: Header=BB271_1071 Depth=1
	s_or_saveexec_b64 s[22:23], s[22:23]
	v_mov_b32_e32 v23, s34
	s_xor_b64 exec, exec, s[22:23]
	s_cbranch_execnz .LBB271_2087
.LBB271_1570:                           ;   in Loop: Header=BB271_1071 Depth=1
	s_or_b64 exec, exec, s[22:23]
	s_and_saveexec_b64 s[22:23], s[20:21]
	s_cbranch_execz .LBB271_1572
.LBB271_1571:                           ;   in Loop: Header=BB271_1071 Depth=1
	v_and_b32_e32 v23, 7, v16
	v_ffbh_u32_e32 v42, v23
	v_min_u32_e32 v56, 32, v42
	v_subrev_u32_e32 v42, 28, v56
	v_bfe_u32 v47, v16, 3, 4
	v_lshlrev_b64 v[42:43], v42, v[16:17]
	v_sub_u32_e32 v43, 29, v56
	v_cmp_eq_u32_e64 s[2:3], 0, v47
	v_and_b32_e32 v42, 7, v42
	v_lshlrev_b32_e32 v16, 8, v16
	v_cndmask_b32_e64 v43, v47, v43, s[2:3]
	v_cndmask_b32_e64 v23, v23, v42, s[2:3]
	v_lshl_add_u32 v42, v43, 10, v18
	v_and_or_b32 v16, v16, s27, v42
	v_lshl_or_b32 v16, v23, 7, v16
	v_cvt_f32_f16_e32 v23, v16
.LBB271_1572:                           ;   in Loop: Header=BB271_1071 Depth=1
	s_or_b64 exec, exec, s[22:23]
	v_lshrrev_b32_e32 v16, 16, v57
	v_cmp_gt_i16_sdwa s[20:21], v16, s17 src0_sel:BYTE_0 src1_sel:DWORD
	s_mov_b64 s[2:3], 0
                                        ; implicit-def: $sgpr24
	s_and_saveexec_b64 s[22:23], s[20:21]
	s_xor_b64 s[20:21], exec, s[22:23]
	s_cbranch_execnz .LBB271_2088
; %bb.1573:                             ;   in Loop: Header=BB271_1071 Depth=1
	s_or_saveexec_b64 s[20:21], s[20:21]
	v_mov_b32_e32 v47, s24
	s_xor_b64 exec, exec, s[20:21]
	s_cbranch_execnz .LBB271_2091
.LBB271_1574:                           ;   in Loop: Header=BB271_1071 Depth=1
	s_or_b64 exec, exec, s[20:21]
	s_and_saveexec_b64 s[20:21], s[2:3]
	s_cbranch_execz .LBB271_1576
.LBB271_1575:                           ;   in Loop: Header=BB271_1071 Depth=1
	v_bfe_u32 v47, v57, 16, 3
	v_ffbh_u32_e32 v42, v47
	v_min_u32_e32 v62, 32, v42
	v_subrev_u32_e32 v42, 28, v62
	v_bfe_u32 v56, v57, 19, 4
	v_lshlrev_b64 v[42:43], v42, v[16:17]
	v_sub_u32_e32 v43, 29, v62
	v_cmp_eq_u32_e64 s[2:3], 0, v56
	v_and_b32_e32 v42, 7, v42
	v_lshlrev_b32_e32 v16, 8, v16
	v_cndmask_b32_e64 v43, v56, v43, s[2:3]
	v_lshl_add_u32 v43, v43, 10, v18
	v_cndmask_b32_e64 v42, v47, v42, s[2:3]
	v_and_or_b32 v16, v16, s27, v43
	v_lshl_or_b32 v16, v42, 7, v16
	v_cvt_f32_f16_e32 v47, v16
.LBB271_1576:                           ;   in Loop: Header=BB271_1071 Depth=1
	s_or_b64 exec, exec, s[20:21]
	v_lshrrev_b32_e32 v16, 24, v57
	v_cmp_lt_i16_e64 s[2:3], s17, v16
	s_mov_b64 s[20:21], 0
                                        ; implicit-def: $sgpr34
	s_and_saveexec_b64 s[22:23], s[2:3]
	s_xor_b64 s[22:23], exec, s[22:23]
	s_cbranch_execnz .LBB271_2092
; %bb.1577:                             ;   in Loop: Header=BB271_1071 Depth=1
	s_or_saveexec_b64 s[22:23], s[22:23]
	v_mov_b32_e32 v56, s34
	s_xor_b64 exec, exec, s[22:23]
	s_cbranch_execnz .LBB271_2095
.LBB271_1578:                           ;   in Loop: Header=BB271_1071 Depth=1
	s_or_b64 exec, exec, s[22:23]
	s_and_saveexec_b64 s[22:23], s[20:21]
	s_cbranch_execz .LBB271_1580
.LBB271_1579:                           ;   in Loop: Header=BB271_1071 Depth=1
	v_bfe_u32 v56, v57, 24, 3
	v_ffbh_u32_e32 v42, v56
	v_min_u32_e32 v62, 32, v42
	v_subrev_u32_e32 v42, 28, v62
	v_bfe_u32 v57, v57, 27, 4
	v_lshlrev_b64 v[42:43], v42, v[16:17]
	v_sub_u32_e32 v43, 29, v62
	v_cmp_eq_u32_e64 s[2:3], 0, v57
	v_and_b32_e32 v42, 7, v42
	v_lshlrev_b32_e32 v16, 8, v16
	v_cndmask_b32_e64 v43, v57, v43, s[2:3]
	v_lshl_add_u32 v43, v43, 10, v18
	v_cndmask_b32_e64 v42, v56, v42, s[2:3]
	v_and_or_b32 v16, v16, s27, v43
	v_lshl_or_b32 v16, v42, 7, v16
	v_cvt_f32_f16_e32 v56, v16
.LBB271_1580:                           ;   in Loop: Header=BB271_1071 Depth=1
	s_or_b64 exec, exec, s[22:23]
	s_waitcnt vmcnt(0) lgkmcnt(0)
	v_pk_mul_f32 v[42:43], v[46:47], v[44:45] op_sel_hi:[0,1]
	v_pk_mul_f32 v[44:45], v[46:47], v[58:59] op_sel_hi:[0,1]
	v_cvt_f16_f32_e32 v16, v43
	v_cvt_f16_f32_e32 v42, v42
	;; [unrolled: 1-line block ×4, first 2 shown]
	v_fma_mixlo_f16 v23, v46, v23, 0
	v_lshlrev_b32_e32 v23, 16, v23
	v_fma_mixlo_f16 v12, v46, v12, 0
	v_or_b32_sdwa v12, v23, v12 dst_sel:DWORD dst_unused:UNUSED_PAD src0_sel:DWORD src1_sel:WORD_0
	v_fma_mixlo_f16 v23, v46, v56, 0
	v_pack_b32_f16 v42, v42, v16
	v_pack_b32_f16 v43, v44, v43
	v_fma_mixlo_f16 v45, v46, v47, 0
	v_lshlrev_b32_e32 v23, 16, v23
	v_perm_b32 v16, v43, v42, s29
	v_perm_b32 v44, v43, v42, s30
	v_or_b32_sdwa v23, v23, v45 dst_sel:DWORD dst_unused:UNUSED_PAD src0_sel:DWORD src1_sel:WORD_0
	s_and_saveexec_b64 s[20:21], vcc
	s_cbranch_execz .LBB271_1582
; %bb.1581:                             ;   in Loop: Header=BB271_1071 Depth=1
	scratch_load_dwordx2 v[46:47], off, s32 offset:196 ; 8-byte Folded Reload
	v_lshrrev_b32_e32 v42, 16, v44
	v_cmp_lt_i32_e64 s[2:3], v26, v3
	v_lshrrev_b32_e32 v23, 16, v23
	s_nop 0
	v_cndmask_b32_e64 v42, 0, v42, s[2:3]
	s_waitcnt vmcnt(0)
	v_cmp_lt_i32_e64 s[2:3], v37, v46
	s_nop 1
	v_cndmask_b32_e64 v43, 0, v44, s[2:3]
	v_perm_b32 v44, v42, v43, s31
	v_lshrrev_b32_e32 v42, 16, v16
	v_cmp_lt_i32_e64 s[2:3], v55, v3
	s_nop 1
	v_cndmask_b32_e64 v42, 0, v42, s[2:3]
	v_cmp_lt_i32_e64 s[2:3], v54, v46
	s_nop 1
	v_cndmask_b32_e64 v16, 0, v16, s[2:3]
	v_perm_b32 v16, v42, v16, s31
	v_lshrrev_b32_e32 v42, 16, v12
	v_cmp_lt_i32_e64 s[2:3], v49, v3
	s_nop 1
	v_cndmask_b32_e64 v42, 0, v42, s[2:3]
	v_cmp_lt_i32_e64 s[2:3], v39, v46
	s_nop 1
	v_cndmask_b32_e64 v12, 0, v12, s[2:3]
	v_cmp_lt_i32_e64 s[2:3], v36, v3
	v_perm_b32 v12, v42, v12, s31
	s_nop 0
	v_cndmask_b32_e64 v23, 0, v23, s[2:3]
	v_cmp_lt_i32_e64 s[2:3], v19, v46
	s_nop 1
	v_cndmask_b32_e64 v42, 0, v45, s[2:3]
	v_perm_b32 v23, v23, v42, s31
.LBB271_1582:                           ;   in Loop: Header=BB271_1071 Depth=1
	s_or_b64 exec, exec, s[20:21]
	;;#ASMSTART
	v_pk_mul_f16 v42, v51, v44;

	;;#ASMEND
	;;#ASMSTART
	v_pk_mul_f16 v16, v50, v16;

	;;#ASMEND
	;; [unrolled: 4-line block ×4, first 2 shown]
	s_mov_b64 s[2:3], 0
	;;#ASMSTART
	v_pk_add_f16 v16, v42, v16;

	;;#ASMEND
	v_accvgpr_read_b32 v43, a41
	;;#ASMSTART
	v_pk_add_f16 v12, v16, v12;

	;;#ASMEND
	v_accvgpr_read_b32 v42, a40
	;;#ASMSTART
	v_pk_add_f16 v12, v12, v23;

	;;#ASMEND
	v_lshl_add_u64 v[14:15], v[14:15], 0, v[42:43]
	v_lshrrev_b32_e32 v16, 16, v12
	v_and_b32_e32 v12, 0xffff, v12
	;;#ASMSTART
	v_cvt_f32_f16 v12, v12;
	;;#ASMEND
	;;#ASMSTART
	v_cvt_f32_f16 v23, v16;
	;;#ASMEND
	flat_load_dwordx2 v[46:47], v[14:15]
	s_nop 0
	scratch_load_dwordx2 v[14:15], off, s32 offset:188 ; 8-byte Folded Reload
                                        ; implicit-def: $sgpr24
	s_waitcnt vmcnt(0) lgkmcnt(0)
	v_cmp_gt_i16_sdwa s[20:21], v46, s17 src0_sel:BYTE_0 src1_sel:DWORD
	flat_load_dword v14, v[14:15]
	s_and_saveexec_b64 s[22:23], s[20:21]
	s_xor_b64 s[20:21], exec, s[22:23]
	s_cbranch_execnz .LBB271_2096
; %bb.1583:                             ;   in Loop: Header=BB271_1071 Depth=1
	s_or_saveexec_b64 s[20:21], s[20:21]
	v_mov_b32_e32 v56, s24
	s_xor_b64 exec, exec, s[20:21]
	s_cbranch_execnz .LBB271_2099
.LBB271_1584:                           ;   in Loop: Header=BB271_1071 Depth=1
	s_or_b64 exec, exec, s[20:21]
	s_and_saveexec_b64 s[20:21], s[2:3]
	s_cbranch_execz .LBB271_1586
.LBB271_1585:                           ;   in Loop: Header=BB271_1071 Depth=1
	v_and_b32_e32 v15, 7, v46
	v_ffbh_u32_e32 v15, v15
	v_bfe_u32 v16, v46, 3, 4
	v_min_u32_e32 v15, 32, v15
	v_subrev_u32_e32 v42, 28, v15
	v_sub_u32_e32 v15, 29, v15
	v_cmp_eq_u32_e64 s[2:3], 0, v16
	s_nop 1
	v_cndmask_b32_e64 v15, v16, v15, s[2:3]
	v_cndmask_b32_e64 v16, 0, v42, s[2:3]
	v_lshlrev_b64 v[42:43], v16, v[46:47]
	v_lshlrev_b32_e32 v16, 7, v42
	v_lshlrev_b32_e32 v42, 8, v46
	v_lshl_add_u32 v15, v15, 10, v18
	v_and_or_b32 v15, v42, s27, v15
	v_and_or_b32 v15, v16, s28, v15
	v_cvt_f32_f16_e32 v56, v15
.LBB271_1586:                           ;   in Loop: Header=BB271_1071 Depth=1
	s_or_b64 exec, exec, s[20:21]
	v_lshrrev_b16_e32 v16, 8, v46
	v_cmp_lt_i16_e64 s[2:3], s17, v16
	s_mov_b64 s[20:21], 0
                                        ; implicit-def: $sgpr34
	s_and_saveexec_b64 s[22:23], s[2:3]
	s_xor_b64 s[22:23], exec, s[22:23]
	s_cbranch_execnz .LBB271_2100
; %bb.1587:                             ;   in Loop: Header=BB271_1071 Depth=1
	s_or_saveexec_b64 s[22:23], s[22:23]
	v_mov_b32_e32 v44, s34
	s_xor_b64 exec, exec, s[22:23]
	s_cbranch_execnz .LBB271_2103
.LBB271_1588:                           ;   in Loop: Header=BB271_1071 Depth=1
	s_or_b64 exec, exec, s[22:23]
	s_and_saveexec_b64 s[22:23], s[20:21]
	s_cbranch_execz .LBB271_1590
.LBB271_1589:                           ;   in Loop: Header=BB271_1071 Depth=1
	v_and_b32_e32 v15, 7, v16
	v_ffbh_u32_e32 v42, v15
	v_min_u32_e32 v45, 32, v42
	v_subrev_u32_e32 v42, 28, v45
	v_bfe_u32 v44, v16, 3, 4
	v_lshlrev_b64 v[42:43], v42, v[16:17]
	v_sub_u32_e32 v43, 29, v45
	v_cmp_eq_u32_e64 s[2:3], 0, v44
	v_and_b32_e32 v42, 7, v42
	v_lshlrev_b32_e32 v16, 8, v16
	v_cndmask_b32_e64 v43, v44, v43, s[2:3]
	v_cndmask_b32_e64 v15, v15, v42, s[2:3]
	v_lshl_add_u32 v42, v43, 10, v18
	v_and_or_b32 v16, v16, s27, v42
	v_lshl_or_b32 v15, v15, 7, v16
	v_cvt_f32_f16_e32 v44, v15
.LBB271_1590:                           ;   in Loop: Header=BB271_1071 Depth=1
	s_or_b64 exec, exec, s[22:23]
	v_lshrrev_b32_e32 v16, 16, v46
	v_cmp_gt_i16_sdwa s[20:21], v16, s17 src0_sel:BYTE_0 src1_sel:DWORD
	s_mov_b64 s[2:3], 0
                                        ; implicit-def: $sgpr24
	s_and_saveexec_b64 s[22:23], s[20:21]
	s_xor_b64 s[20:21], exec, s[22:23]
	s_cbranch_execnz .LBB271_2104
; %bb.1591:                             ;   in Loop: Header=BB271_1071 Depth=1
	s_or_saveexec_b64 s[20:21], s[20:21]
	v_mov_b32_e32 v57, s24
	s_xor_b64 exec, exec, s[20:21]
	s_cbranch_execnz .LBB271_2107
.LBB271_1592:                           ;   in Loop: Header=BB271_1071 Depth=1
	s_or_b64 exec, exec, s[20:21]
	s_and_saveexec_b64 s[20:21], s[2:3]
	s_cbranch_execz .LBB271_1594
.LBB271_1593:                           ;   in Loop: Header=BB271_1071 Depth=1
	v_bfe_u32 v15, v46, 16, 3
	v_ffbh_u32_e32 v42, v15
	v_min_u32_e32 v57, 32, v42
	v_subrev_u32_e32 v42, 28, v57
	v_bfe_u32 v45, v46, 19, 4
	v_lshlrev_b64 v[42:43], v42, v[16:17]
	v_sub_u32_e32 v43, 29, v57
	v_cmp_eq_u32_e64 s[2:3], 0, v45
	v_and_b32_e32 v42, 7, v42
	v_lshlrev_b32_e32 v16, 8, v16
	v_cndmask_b32_e64 v43, v45, v43, s[2:3]
	v_cndmask_b32_e64 v15, v15, v42, s[2:3]
	v_lshl_add_u32 v42, v43, 10, v18
	v_and_or_b32 v16, v16, s27, v42
	v_lshl_or_b32 v15, v15, 7, v16
	v_cvt_f32_f16_e32 v57, v15
.LBB271_1594:                           ;   in Loop: Header=BB271_1071 Depth=1
	s_or_b64 exec, exec, s[20:21]
	v_lshrrev_b32_e32 v16, 24, v46
	v_cmp_lt_i16_e64 s[2:3], s17, v16
	s_mov_b64 s[20:21], 0
                                        ; implicit-def: $sgpr34
	s_and_saveexec_b64 s[22:23], s[2:3]
	s_xor_b64 s[22:23], exec, s[22:23]
	s_cbranch_execnz .LBB271_2108
; %bb.1595:                             ;   in Loop: Header=BB271_1071 Depth=1
	s_or_saveexec_b64 s[22:23], s[22:23]
	v_mov_b32_e32 v45, s34
	s_xor_b64 exec, exec, s[22:23]
	s_cbranch_execnz .LBB271_2111
.LBB271_1596:                           ;   in Loop: Header=BB271_1071 Depth=1
	s_or_b64 exec, exec, s[22:23]
	s_and_saveexec_b64 s[22:23], s[20:21]
	s_cbranch_execz .LBB271_1598
.LBB271_1597:                           ;   in Loop: Header=BB271_1071 Depth=1
	v_bfe_u32 v15, v46, 24, 3
	v_ffbh_u32_e32 v42, v15
	v_bfe_u32 v45, v46, 27, 4
	v_min_u32_e32 v46, 32, v42
	v_subrev_u32_e32 v42, 28, v46
	v_lshlrev_b64 v[42:43], v42, v[16:17]
	v_sub_u32_e32 v43, 29, v46
	v_cmp_eq_u32_e64 s[2:3], 0, v45
	v_and_b32_e32 v42, 7, v42
	v_lshlrev_b32_e32 v16, 8, v16
	v_cndmask_b32_e64 v43, v45, v43, s[2:3]
	v_cndmask_b32_e64 v15, v15, v42, s[2:3]
	v_lshl_add_u32 v42, v43, 10, v18
	v_and_or_b32 v16, v16, s27, v42
	v_lshl_or_b32 v15, v15, 7, v16
	v_cvt_f32_f16_e32 v45, v15
.LBB271_1598:                           ;   in Loop: Header=BB271_1071 Depth=1
	s_or_b64 exec, exec, s[22:23]
	v_cmp_gt_i16_sdwa s[20:21], v47, s17 src0_sel:BYTE_0 src1_sel:DWORD
	s_mov_b64 s[2:3], 0
                                        ; implicit-def: $sgpr24
	s_and_saveexec_b64 s[22:23], s[20:21]
	s_xor_b64 s[20:21], exec, s[22:23]
	s_cbranch_execnz .LBB271_2112
; %bb.1599:                             ;   in Loop: Header=BB271_1071 Depth=1
	s_or_saveexec_b64 s[20:21], s[20:21]
	v_mov_b32_e32 v15, s24
	s_xor_b64 exec, exec, s[20:21]
	s_cbranch_execnz .LBB271_2115
.LBB271_1600:                           ;   in Loop: Header=BB271_1071 Depth=1
	s_or_b64 exec, exec, s[20:21]
	v_mov_b32_e32 v16, v47
	s_and_saveexec_b64 s[20:21], s[2:3]
	s_cbranch_execz .LBB271_1602
.LBB271_1601:                           ;   in Loop: Header=BB271_1071 Depth=1
	v_and_b32_e32 v15, 7, v47
	v_ffbh_u32_e32 v15, v15
	v_bfe_u32 v42, v47, 3, 4
	v_min_u32_e32 v15, 32, v15
	v_subrev_u32_e32 v43, 28, v15
	v_sub_u32_e32 v15, 29, v15
	v_cmp_eq_u32_e64 s[2:3], 0, v42
	s_nop 1
	v_cndmask_b32_e64 v15, v42, v15, s[2:3]
	v_cndmask_b32_e64 v42, 0, v43, s[2:3]
	v_lshlrev_b64 v[42:43], v42, v[16:17]
	v_lshlrev_b32_e32 v43, 8, v47
	v_lshl_add_u32 v15, v15, 10, v18
	v_lshlrev_b32_e32 v42, 7, v42
	v_and_or_b32 v15, v43, s27, v15
	v_and_or_b32 v15, v42, s28, v15
	v_cvt_f32_f16_e32 v15, v15
.LBB271_1602:                           ;   in Loop: Header=BB271_1071 Depth=1
	s_or_b64 exec, exec, s[20:21]
	v_lshrrev_b16_e32 v16, 8, v16
	v_cmp_lt_i16_e64 s[2:3], s17, v16
	s_mov_b64 s[20:21], 0
                                        ; implicit-def: $sgpr34
	s_and_saveexec_b64 s[22:23], s[2:3]
	s_xor_b64 s[22:23], exec, s[22:23]
	s_cbranch_execnz .LBB271_2116
; %bb.1603:                             ;   in Loop: Header=BB271_1071 Depth=1
	s_or_saveexec_b64 s[22:23], s[22:23]
	v_mov_b32_e32 v46, s34
	s_xor_b64 exec, exec, s[22:23]
	s_cbranch_execnz .LBB271_2119
.LBB271_1604:                           ;   in Loop: Header=BB271_1071 Depth=1
	s_or_b64 exec, exec, s[22:23]
	s_and_saveexec_b64 s[22:23], s[20:21]
	s_cbranch_execz .LBB271_1606
.LBB271_1605:                           ;   in Loop: Header=BB271_1071 Depth=1
	v_and_b32_e32 v46, 7, v16
	v_ffbh_u32_e32 v42, v46
	v_min_u32_e32 v59, 32, v42
	v_subrev_u32_e32 v42, 28, v59
	v_bfe_u32 v58, v16, 3, 4
	v_lshlrev_b64 v[42:43], v42, v[16:17]
	v_sub_u32_e32 v43, 29, v59
	v_cmp_eq_u32_e64 s[2:3], 0, v58
	v_and_b32_e32 v42, 7, v42
	v_lshlrev_b32_e32 v16, 8, v16
	v_cndmask_b32_e64 v43, v58, v43, s[2:3]
	v_lshl_add_u32 v43, v43, 10, v18
	v_cndmask_b32_e64 v42, v46, v42, s[2:3]
	v_and_or_b32 v16, v16, s27, v43
	v_lshl_or_b32 v16, v42, 7, v16
	v_cvt_f32_f16_e32 v46, v16
.LBB271_1606:                           ;   in Loop: Header=BB271_1071 Depth=1
	s_or_b64 exec, exec, s[22:23]
	v_lshrrev_b32_e32 v16, 16, v47
	v_cmp_gt_i16_sdwa s[20:21], v16, s17 src0_sel:BYTE_0 src1_sel:DWORD
	s_mov_b64 s[2:3], 0
                                        ; implicit-def: $sgpr24
	s_and_saveexec_b64 s[22:23], s[20:21]
	s_xor_b64 s[20:21], exec, s[22:23]
	s_cbranch_execnz .LBB271_2120
; %bb.1607:                             ;   in Loop: Header=BB271_1071 Depth=1
	s_or_saveexec_b64 s[20:21], s[20:21]
	v_mov_b32_e32 v58, s24
	s_xor_b64 exec, exec, s[20:21]
	s_cbranch_execnz .LBB271_2123
.LBB271_1608:                           ;   in Loop: Header=BB271_1071 Depth=1
	s_or_b64 exec, exec, s[20:21]
	s_and_saveexec_b64 s[20:21], s[2:3]
	s_cbranch_execz .LBB271_1610
.LBB271_1609:                           ;   in Loop: Header=BB271_1071 Depth=1
	v_bfe_u32 v58, v47, 16, 3
	v_ffbh_u32_e32 v42, v58
	v_min_u32_e32 v62, 32, v42
	v_subrev_u32_e32 v42, 28, v62
	v_bfe_u32 v59, v47, 19, 4
	v_lshlrev_b64 v[42:43], v42, v[16:17]
	v_sub_u32_e32 v43, 29, v62
	v_cmp_eq_u32_e64 s[2:3], 0, v59
	v_and_b32_e32 v42, 7, v42
	v_lshlrev_b32_e32 v16, 8, v16
	v_cndmask_b32_e64 v43, v59, v43, s[2:3]
	v_lshl_add_u32 v43, v43, 10, v18
	v_cndmask_b32_e64 v42, v58, v42, s[2:3]
	v_and_or_b32 v16, v16, s27, v43
	v_lshl_or_b32 v16, v42, 7, v16
	v_cvt_f32_f16_e32 v58, v16
.LBB271_1610:                           ;   in Loop: Header=BB271_1071 Depth=1
	s_or_b64 exec, exec, s[20:21]
	v_lshrrev_b32_e32 v16, 24, v47
	v_cmp_lt_i16_e64 s[2:3], s17, v16
	s_mov_b64 s[20:21], 0
                                        ; implicit-def: $sgpr34
	s_and_saveexec_b64 s[22:23], s[2:3]
	s_xor_b64 s[22:23], exec, s[22:23]
	s_cbranch_execnz .LBB271_2124
; %bb.1611:                             ;   in Loop: Header=BB271_1071 Depth=1
	s_or_saveexec_b64 s[22:23], s[22:23]
	v_mov_b32_e32 v59, s34
	s_xor_b64 exec, exec, s[22:23]
	s_cbranch_execnz .LBB271_2127
.LBB271_1612:                           ;   in Loop: Header=BB271_1071 Depth=1
	s_or_b64 exec, exec, s[22:23]
	s_and_saveexec_b64 s[22:23], s[20:21]
	s_cbranch_execz .LBB271_1614
.LBB271_1613:                           ;   in Loop: Header=BB271_1071 Depth=1
	v_bfe_u32 v59, v47, 24, 3
	v_ffbh_u32_e32 v42, v59
	v_min_u32_e32 v62, 32, v42
	v_subrev_u32_e32 v42, 28, v62
	v_bfe_u32 v47, v47, 27, 4
	v_lshlrev_b64 v[42:43], v42, v[16:17]
	v_sub_u32_e32 v43, 29, v62
	v_cmp_eq_u32_e64 s[2:3], 0, v47
	v_and_b32_e32 v42, 7, v42
	v_lshlrev_b32_e32 v16, 8, v16
	v_cndmask_b32_e64 v43, v47, v43, s[2:3]
	v_lshl_add_u32 v43, v43, 10, v18
	v_cndmask_b32_e64 v42, v59, v42, s[2:3]
	v_and_or_b32 v16, v16, s27, v43
	v_lshl_or_b32 v16, v42, 7, v16
	v_cvt_f32_f16_e32 v59, v16
.LBB271_1614:                           ;   in Loop: Header=BB271_1071 Depth=1
	s_or_b64 exec, exec, s[22:23]
	s_waitcnt vmcnt(0) lgkmcnt(0)
	v_pk_mul_f32 v[42:43], v[14:15], v[44:45] op_sel_hi:[0,1]
	v_pk_mul_f32 v[44:45], v[14:15], v[56:57] op_sel_hi:[0,1]
	v_cvt_f16_f32_e32 v16, v43
	v_cvt_f16_f32_e32 v42, v42
	;; [unrolled: 1-line block ×4, first 2 shown]
	v_fma_mixlo_f16 v15, v14, v15, 0
	v_pack_b32_f16 v42, v42, v16
	v_fma_mixlo_f16 v45, v14, v58, 0
	v_pack_b32_f16 v43, v44, v43
	v_perm_b32 v16, v43, v42, s29
	v_perm_b32 v44, v43, v42, s30
	v_fma_mixlo_f16 v42, v14, v46, 0
	v_fma_mixlo_f16 v14, v14, v59, 0
	v_lshlrev_b32_e32 v42, 16, v42
	v_lshlrev_b32_e32 v14, 16, v14
	v_or_b32_sdwa v15, v42, v15 dst_sel:DWORD dst_unused:UNUSED_PAD src0_sel:DWORD src1_sel:WORD_0
	v_or_b32_sdwa v14, v14, v45 dst_sel:DWORD dst_unused:UNUSED_PAD src0_sel:DWORD src1_sel:WORD_0
	s_and_saveexec_b64 s[2:3], vcc
	s_cbranch_execz .LBB271_1069
; %bb.1615:                             ;   in Loop: Header=BB271_1071 Depth=1
	v_lshrrev_b32_e32 v42, 16, v44
	v_cmp_lt_i32_e32 vcc, v26, v3
	v_lshrrev_b32_e32 v14, 16, v14
	s_nop 0
	v_cndmask_b32_e32 v26, 0, v42, vcc
	scratch_load_dwordx2 v[42:43], off, s32 offset:196 ; 8-byte Folded Reload
	s_waitcnt vmcnt(0)
	v_cmp_lt_i32_e32 vcc, v37, v42
	s_nop 1
	v_cndmask_b32_e32 v37, 0, v44, vcc
	v_perm_b32 v44, v26, v37, s31
	v_lshrrev_b32_e32 v26, 16, v16
	v_cmp_lt_i32_e32 vcc, v55, v3
	s_nop 1
	v_cndmask_b32_e32 v26, 0, v26, vcc
	v_cmp_lt_i32_e32 vcc, v54, v42
	s_nop 1
	v_cndmask_b32_e32 v16, 0, v16, vcc
	v_perm_b32 v16, v26, v16, s31
	v_lshrrev_b32_e32 v26, 16, v15
	v_cmp_lt_i32_e32 vcc, v49, v3
	s_nop 1
	v_cndmask_b32_e32 v26, 0, v26, vcc
	v_cmp_lt_i32_e32 vcc, v39, v42
	s_nop 1
	v_cndmask_b32_e32 v15, 0, v15, vcc
	v_cmp_lt_i32_e32 vcc, v36, v3
	v_perm_b32 v15, v26, v15, s31
	s_nop 0
	v_cndmask_b32_e32 v14, 0, v14, vcc
	v_cmp_lt_i32_e32 vcc, v19, v42
	s_nop 1
	v_cndmask_b32_e32 v19, 0, v45, vcc
	v_perm_b32 v14, v14, v19, s31
	s_branch .LBB271_1069
.LBB271_1616:                           ;   in Loop: Header=BB271_1071 Depth=1
	v_cmp_eq_u16_sdwa vcc, v58, s26 src0_sel:BYTE_0 src1_sel:DWORD
	s_mov_b64 s[2:3], -1
                                        ; implicit-def: $sgpr24
	s_and_saveexec_b64 s[22:23], vcc
; %bb.1617:                             ;   in Loop: Header=BB271_1071 Depth=1
	s_mov_b32 s24, 0x7fc02000
	s_xor_b64 s[2:3], exec, -1
; %bb.1618:                             ;   in Loop: Header=BB271_1071 Depth=1
	s_or_b64 exec, exec, s[22:23]
	s_and_b64 s[2:3], s[2:3], exec
	s_or_saveexec_b64 s[20:21], s[20:21]
	v_mov_b32_e32 v60, s24
	s_xor_b64 exec, exec, s[20:21]
	s_cbranch_execz .LBB271_1074
.LBB271_1619:                           ;   in Loop: Header=BB271_1071 Depth=1
	v_cmp_ne_u16_sdwa s[22:23], v58, v17 src0_sel:BYTE_0 src1_sel:DWORD
	s_andn2_b64 s[2:3], s[2:3], exec
	s_and_b64 s[22:23], s[22:23], exec
	v_mov_b32_e32 v60, 0
	s_or_b64 s[2:3], s[2:3], s[22:23]
	s_or_b64 exec, exec, s[20:21]
	s_and_saveexec_b64 s[20:21], s[2:3]
	s_cbranch_execnz .LBB271_1075
	s_branch .LBB271_1076
.LBB271_1620:                           ;   in Loop: Header=BB271_1071 Depth=1
	v_cmp_eq_u16_e32 vcc, s26, v16
	s_mov_b64 s[2:3], -1
                                        ; implicit-def: $sgpr24
	s_and_saveexec_b64 s[22:23], vcc
; %bb.1621:                             ;   in Loop: Header=BB271_1071 Depth=1
	s_mov_b32 s24, 0x7fc02000
	s_xor_b64 s[2:3], exec, -1
; %bb.1622:                             ;   in Loop: Header=BB271_1071 Depth=1
	s_or_b64 exec, exec, s[22:23]
	s_and_b64 s[2:3], s[2:3], exec
	s_or_saveexec_b64 s[20:21], s[20:21]
	v_mov_b32_e32 v44, s24
	s_xor_b64 exec, exec, s[20:21]
	s_cbranch_execz .LBB271_1078
.LBB271_1623:                           ;   in Loop: Header=BB271_1071 Depth=1
	v_cmp_ne_u16_e32 vcc, 0, v16
	s_andn2_b64 s[2:3], s[2:3], exec
	s_and_b64 s[22:23], vcc, exec
	v_mov_b32_e32 v44, 0
	s_or_b64 s[2:3], s[2:3], s[22:23]
	s_or_b64 exec, exec, s[20:21]
	s_and_saveexec_b64 s[20:21], s[2:3]
	s_cbranch_execnz .LBB271_1079
	s_branch .LBB271_1080
.LBB271_1624:                           ;   in Loop: Header=BB271_1071 Depth=1
	v_cmp_eq_u16_sdwa vcc, v16, s26 src0_sel:BYTE_0 src1_sel:DWORD
	s_mov_b64 s[2:3], -1
                                        ; implicit-def: $sgpr24
	s_and_saveexec_b64 s[22:23], vcc
; %bb.1625:                             ;   in Loop: Header=BB271_1071 Depth=1
	s_mov_b32 s24, 0x7fc02000
	s_xor_b64 s[2:3], exec, -1
; %bb.1626:                             ;   in Loop: Header=BB271_1071 Depth=1
	s_or_b64 exec, exec, s[22:23]
	s_and_b64 s[2:3], s[2:3], exec
	s_or_saveexec_b64 s[20:21], s[20:21]
	v_mov_b32_e32 v61, s24
	s_xor_b64 exec, exec, s[20:21]
	s_cbranch_execz .LBB271_1082
.LBB271_1627:                           ;   in Loop: Header=BB271_1071 Depth=1
	v_cmp_ne_u16_sdwa s[22:23], v16, v17 src0_sel:BYTE_0 src1_sel:DWORD
	s_andn2_b64 s[2:3], s[2:3], exec
	s_and_b64 s[22:23], s[22:23], exec
	v_mov_b32_e32 v61, 0
	s_or_b64 s[2:3], s[2:3], s[22:23]
	s_or_b64 exec, exec, s[20:21]
	s_and_saveexec_b64 s[20:21], s[2:3]
	s_cbranch_execnz .LBB271_1083
	s_branch .LBB271_1084
.LBB271_1628:                           ;   in Loop: Header=BB271_1071 Depth=1
	v_cmp_eq_u16_e32 vcc, s26, v16
	s_mov_b64 s[2:3], -1
                                        ; implicit-def: $sgpr24
	s_and_saveexec_b64 s[22:23], vcc
; %bb.1629:                             ;   in Loop: Header=BB271_1071 Depth=1
	s_mov_b32 s24, 0x7fc02000
	s_xor_b64 s[2:3], exec, -1
; %bb.1630:                             ;   in Loop: Header=BB271_1071 Depth=1
	s_or_b64 exec, exec, s[22:23]
	s_and_b64 s[2:3], s[2:3], exec
	s_or_saveexec_b64 s[20:21], s[20:21]
	v_mov_b32_e32 v45, s24
	s_xor_b64 exec, exec, s[20:21]
	s_cbranch_execz .LBB271_1086
.LBB271_1631:                           ;   in Loop: Header=BB271_1071 Depth=1
	v_cmp_ne_u16_e32 vcc, 0, v16
	s_andn2_b64 s[2:3], s[2:3], exec
	s_and_b64 s[22:23], vcc, exec
	v_mov_b32_e32 v45, 0
	s_or_b64 s[2:3], s[2:3], s[22:23]
	s_or_b64 exec, exec, s[20:21]
	s_and_saveexec_b64 s[20:21], s[2:3]
	s_cbranch_execnz .LBB271_1087
	s_branch .LBB271_1088
.LBB271_1632:                           ;   in Loop: Header=BB271_1071 Depth=1
	v_cmp_eq_u16_sdwa vcc, v59, s26 src0_sel:BYTE_0 src1_sel:DWORD
	s_mov_b64 s[2:3], -1
                                        ; implicit-def: $sgpr24
	s_and_saveexec_b64 s[22:23], vcc
; %bb.1633:                             ;   in Loop: Header=BB271_1071 Depth=1
	s_mov_b32 s24, 0x7fc02000
	s_xor_b64 s[2:3], exec, -1
; %bb.1634:                             ;   in Loop: Header=BB271_1071 Depth=1
	s_or_b64 exec, exec, s[22:23]
	s_and_b64 s[2:3], s[2:3], exec
	s_or_saveexec_b64 s[20:21], s[20:21]
	v_mov_b32_e32 v19, s24
	s_xor_b64 exec, exec, s[20:21]
	s_cbranch_execz .LBB271_1090
.LBB271_1635:                           ;   in Loop: Header=BB271_1071 Depth=1
	v_cmp_ne_u16_sdwa s[22:23], v59, v17 src0_sel:BYTE_0 src1_sel:DWORD
	s_andn2_b64 s[2:3], s[2:3], exec
	s_and_b64 s[22:23], s[22:23], exec
	v_mov_b32_e32 v19, 0
	s_or_b64 s[2:3], s[2:3], s[22:23]
	s_or_b64 exec, exec, s[20:21]
	v_mov_b32_e32 v16, v59
	s_and_saveexec_b64 s[20:21], s[2:3]
	s_cbranch_execnz .LBB271_1091
	s_branch .LBB271_1092
.LBB271_1636:                           ;   in Loop: Header=BB271_1071 Depth=1
	v_cmp_eq_u16_e32 vcc, s26, v16
	s_mov_b64 s[2:3], -1
                                        ; implicit-def: $sgpr24
	s_and_saveexec_b64 s[22:23], vcc
; %bb.1637:                             ;   in Loop: Header=BB271_1071 Depth=1
	s_mov_b32 s24, 0x7fc02000
	s_xor_b64 s[2:3], exec, -1
; %bb.1638:                             ;   in Loop: Header=BB271_1071 Depth=1
	s_or_b64 exec, exec, s[22:23]
	s_and_b64 s[2:3], s[2:3], exec
	s_or_saveexec_b64 s[20:21], s[20:21]
	v_mov_b32_e32 v25, s24
	s_xor_b64 exec, exec, s[20:21]
	s_cbranch_execz .LBB271_1094
.LBB271_1639:                           ;   in Loop: Header=BB271_1071 Depth=1
	v_cmp_ne_u16_e32 vcc, 0, v16
	s_andn2_b64 s[2:3], s[2:3], exec
	s_and_b64 s[22:23], vcc, exec
	v_mov_b32_e32 v25, 0
	s_or_b64 s[2:3], s[2:3], s[22:23]
	s_or_b64 exec, exec, s[20:21]
	s_and_saveexec_b64 s[20:21], s[2:3]
	s_cbranch_execnz .LBB271_1095
	s_branch .LBB271_1096
.LBB271_1640:                           ;   in Loop: Header=BB271_1071 Depth=1
	v_cmp_eq_u16_sdwa vcc, v16, s26 src0_sel:BYTE_0 src1_sel:DWORD
	s_mov_b64 s[2:3], -1
                                        ; implicit-def: $sgpr24
	s_and_saveexec_b64 s[22:23], vcc
; %bb.1641:                             ;   in Loop: Header=BB271_1071 Depth=1
	s_mov_b32 s24, 0x7fc02000
	s_xor_b64 s[2:3], exec, -1
; %bb.1642:                             ;   in Loop: Header=BB271_1071 Depth=1
	s_or_b64 exec, exec, s[22:23]
	s_and_b64 s[2:3], s[2:3], exec
	s_or_saveexec_b64 s[20:21], s[20:21]
	v_mov_b32_e32 v26, s24
	s_xor_b64 exec, exec, s[20:21]
	s_cbranch_execz .LBB271_1098
.LBB271_1643:                           ;   in Loop: Header=BB271_1071 Depth=1
	v_cmp_ne_u16_sdwa s[22:23], v16, v17 src0_sel:BYTE_0 src1_sel:DWORD
	s_andn2_b64 s[2:3], s[2:3], exec
	s_and_b64 s[22:23], s[22:23], exec
	v_mov_b32_e32 v26, 0
	s_or_b64 s[2:3], s[2:3], s[22:23]
	s_or_b64 exec, exec, s[20:21]
	s_and_saveexec_b64 s[20:21], s[2:3]
	s_cbranch_execnz .LBB271_1099
	s_branch .LBB271_1100
.LBB271_1644:                           ;   in Loop: Header=BB271_1071 Depth=1
	v_cmp_eq_u16_e32 vcc, s26, v16
	s_mov_b64 s[2:3], -1
                                        ; implicit-def: $sgpr24
	s_and_saveexec_b64 s[22:23], vcc
; %bb.1645:                             ;   in Loop: Header=BB271_1071 Depth=1
	s_mov_b32 s24, 0x7fc02000
	s_xor_b64 s[2:3], exec, -1
; %bb.1646:                             ;   in Loop: Header=BB271_1071 Depth=1
	s_or_b64 exec, exec, s[22:23]
	s_and_b64 s[2:3], s[2:3], exec
	s_or_saveexec_b64 s[20:21], s[20:21]
	v_mov_b32_e32 v36, s24
	s_xor_b64 exec, exec, s[20:21]
	s_cbranch_execz .LBB271_1102
.LBB271_1647:                           ;   in Loop: Header=BB271_1071 Depth=1
	v_cmp_ne_u16_e32 vcc, 0, v16
	s_andn2_b64 s[2:3], s[2:3], exec
	s_and_b64 s[22:23], vcc, exec
	v_mov_b32_e32 v36, 0
	s_or_b64 s[2:3], s[2:3], s[22:23]
	s_or_b64 exec, exec, s[20:21]
	s_and_saveexec_b64 s[20:21], s[2:3]
	s_cbranch_execnz .LBB271_1103
	s_branch .LBB271_1104
.LBB271_1648:                           ;   in Loop: Header=BB271_1071 Depth=1
	v_cmp_eq_u16_sdwa s[34:35], v58, s26 src0_sel:BYTE_0 src1_sel:DWORD
	s_mov_b64 s[2:3], -1
                                        ; implicit-def: $sgpr24
	s_and_saveexec_b64 s[22:23], s[34:35]
; %bb.1649:                             ;   in Loop: Header=BB271_1071 Depth=1
	s_mov_b32 s24, 0x7fc02000
	s_xor_b64 s[2:3], exec, -1
; %bb.1650:                             ;   in Loop: Header=BB271_1071 Depth=1
	s_or_b64 exec, exec, s[22:23]
	s_and_b64 s[2:3], s[2:3], exec
	s_or_saveexec_b64 s[20:21], s[20:21]
	v_mov_b32_e32 v60, s24
	s_xor_b64 exec, exec, s[20:21]
	s_cbranch_execz .LBB271_1108
.LBB271_1651:                           ;   in Loop: Header=BB271_1071 Depth=1
	v_cmp_ne_u16_sdwa s[22:23], v58, v17 src0_sel:BYTE_0 src1_sel:DWORD
	s_andn2_b64 s[2:3], s[2:3], exec
	s_and_b64 s[22:23], s[22:23], exec
	v_mov_b32_e32 v60, 0
	s_or_b64 s[2:3], s[2:3], s[22:23]
	s_or_b64 exec, exec, s[20:21]
	s_and_saveexec_b64 s[20:21], s[2:3]
	s_cbranch_execnz .LBB271_1109
	s_branch .LBB271_1110
.LBB271_1652:                           ;   in Loop: Header=BB271_1071 Depth=1
	v_cmp_eq_u16_e64 s[2:3], s26, v16
	s_mov_b64 s[20:21], -1
                                        ; implicit-def: $sgpr34
	s_and_saveexec_b64 s[24:25], s[2:3]
; %bb.1653:                             ;   in Loop: Header=BB271_1071 Depth=1
	s_mov_b32 s34, 0x7fc02000
	s_xor_b64 s[20:21], exec, -1
; %bb.1654:                             ;   in Loop: Header=BB271_1071 Depth=1
	s_or_b64 exec, exec, s[24:25]
	s_and_b64 s[20:21], s[20:21], exec
	s_or_saveexec_b64 s[22:23], s[22:23]
	v_mov_b32_e32 v44, s34
	s_xor_b64 exec, exec, s[22:23]
	s_cbranch_execz .LBB271_1112
.LBB271_1655:                           ;   in Loop: Header=BB271_1071 Depth=1
	v_cmp_ne_u16_e64 s[2:3], 0, v16
	s_andn2_b64 s[20:21], s[20:21], exec
	s_and_b64 s[2:3], s[2:3], exec
	v_mov_b32_e32 v44, 0
	s_or_b64 s[20:21], s[20:21], s[2:3]
	s_or_b64 exec, exec, s[22:23]
	s_and_saveexec_b64 s[22:23], s[20:21]
	s_cbranch_execnz .LBB271_1113
	s_branch .LBB271_1114
.LBB271_1656:                           ;   in Loop: Header=BB271_1071 Depth=1
	v_cmp_eq_u16_sdwa s[34:35], v16, s26 src0_sel:BYTE_0 src1_sel:DWORD
	s_mov_b64 s[2:3], -1
                                        ; implicit-def: $sgpr24
	s_and_saveexec_b64 s[22:23], s[34:35]
; %bb.1657:                             ;   in Loop: Header=BB271_1071 Depth=1
	s_mov_b32 s24, 0x7fc02000
	s_xor_b64 s[2:3], exec, -1
; %bb.1658:                             ;   in Loop: Header=BB271_1071 Depth=1
	s_or_b64 exec, exec, s[22:23]
	s_and_b64 s[2:3], s[2:3], exec
	s_or_saveexec_b64 s[20:21], s[20:21]
	v_mov_b32_e32 v61, s24
	s_xor_b64 exec, exec, s[20:21]
	s_cbranch_execz .LBB271_1116
.LBB271_1659:                           ;   in Loop: Header=BB271_1071 Depth=1
	v_cmp_ne_u16_sdwa s[22:23], v16, v17 src0_sel:BYTE_0 src1_sel:DWORD
	s_andn2_b64 s[2:3], s[2:3], exec
	s_and_b64 s[22:23], s[22:23], exec
	v_mov_b32_e32 v61, 0
	s_or_b64 s[2:3], s[2:3], s[22:23]
	s_or_b64 exec, exec, s[20:21]
	s_and_saveexec_b64 s[20:21], s[2:3]
	s_cbranch_execnz .LBB271_1117
	s_branch .LBB271_1118
.LBB271_1660:                           ;   in Loop: Header=BB271_1071 Depth=1
	v_cmp_eq_u16_e64 s[2:3], s26, v16
	s_mov_b64 s[20:21], -1
                                        ; implicit-def: $sgpr34
	s_and_saveexec_b64 s[24:25], s[2:3]
; %bb.1661:                             ;   in Loop: Header=BB271_1071 Depth=1
	s_mov_b32 s34, 0x7fc02000
	s_xor_b64 s[20:21], exec, -1
; %bb.1662:                             ;   in Loop: Header=BB271_1071 Depth=1
	s_or_b64 exec, exec, s[24:25]
	s_and_b64 s[20:21], s[20:21], exec
	s_or_saveexec_b64 s[22:23], s[22:23]
	v_mov_b32_e32 v45, s34
	s_xor_b64 exec, exec, s[22:23]
	s_cbranch_execz .LBB271_1120
.LBB271_1663:                           ;   in Loop: Header=BB271_1071 Depth=1
	v_cmp_ne_u16_e64 s[2:3], 0, v16
	s_andn2_b64 s[20:21], s[20:21], exec
	s_and_b64 s[2:3], s[2:3], exec
	v_mov_b32_e32 v45, 0
	s_or_b64 s[20:21], s[20:21], s[2:3]
	s_or_b64 exec, exec, s[22:23]
	s_and_saveexec_b64 s[22:23], s[20:21]
	s_cbranch_execnz .LBB271_1121
	s_branch .LBB271_1122
.LBB271_1664:                           ;   in Loop: Header=BB271_1071 Depth=1
	v_cmp_eq_u16_sdwa s[34:35], v59, s26 src0_sel:BYTE_0 src1_sel:DWORD
	s_mov_b64 s[2:3], -1
                                        ; implicit-def: $sgpr24
	s_and_saveexec_b64 s[22:23], s[34:35]
; %bb.1665:                             ;   in Loop: Header=BB271_1071 Depth=1
	s_mov_b32 s24, 0x7fc02000
	s_xor_b64 s[2:3], exec, -1
; %bb.1666:                             ;   in Loop: Header=BB271_1071 Depth=1
	s_or_b64 exec, exec, s[22:23]
	s_and_b64 s[2:3], s[2:3], exec
	s_or_saveexec_b64 s[20:21], s[20:21]
	v_mov_b32_e32 v0, s24
	s_xor_b64 exec, exec, s[20:21]
	s_cbranch_execz .LBB271_1124
.LBB271_1667:                           ;   in Loop: Header=BB271_1071 Depth=1
	v_cmp_ne_u16_sdwa s[22:23], v59, v17 src0_sel:BYTE_0 src1_sel:DWORD
	s_andn2_b64 s[2:3], s[2:3], exec
	s_and_b64 s[22:23], s[22:23], exec
	v_mov_b32_e32 v0, 0
	s_or_b64 s[2:3], s[2:3], s[22:23]
	s_or_b64 exec, exec, s[20:21]
	v_mov_b32_e32 v16, v59
	s_and_saveexec_b64 s[20:21], s[2:3]
	s_cbranch_execnz .LBB271_1125
	s_branch .LBB271_1126
.LBB271_1668:                           ;   in Loop: Header=BB271_1071 Depth=1
	v_cmp_eq_u16_e64 s[2:3], s26, v16
	s_mov_b64 s[20:21], -1
                                        ; implicit-def: $sgpr34
	s_and_saveexec_b64 s[24:25], s[2:3]
; %bb.1669:                             ;   in Loop: Header=BB271_1071 Depth=1
	s_mov_b32 s34, 0x7fc02000
	s_xor_b64 s[20:21], exec, -1
; %bb.1670:                             ;   in Loop: Header=BB271_1071 Depth=1
	s_or_b64 exec, exec, s[24:25]
	s_and_b64 s[20:21], s[20:21], exec
	s_or_saveexec_b64 s[22:23], s[22:23]
	v_mov_b32_e32 v1, s34
	s_xor_b64 exec, exec, s[22:23]
	s_cbranch_execz .LBB271_1128
.LBB271_1671:                           ;   in Loop: Header=BB271_1071 Depth=1
	v_cmp_ne_u16_e64 s[2:3], 0, v16
	s_andn2_b64 s[20:21], s[20:21], exec
	s_and_b64 s[2:3], s[2:3], exec
	v_mov_b32_e32 v1, 0
	s_or_b64 s[20:21], s[20:21], s[2:3]
	s_or_b64 exec, exec, s[22:23]
	s_and_saveexec_b64 s[22:23], s[20:21]
	s_cbranch_execnz .LBB271_1129
	s_branch .LBB271_1130
.LBB271_1672:                           ;   in Loop: Header=BB271_1071 Depth=1
	v_cmp_eq_u16_sdwa s[34:35], v16, s26 src0_sel:BYTE_0 src1_sel:DWORD
	s_mov_b64 s[2:3], -1
                                        ; implicit-def: $sgpr24
	s_and_saveexec_b64 s[22:23], s[34:35]
; %bb.1673:                             ;   in Loop: Header=BB271_1071 Depth=1
	s_mov_b32 s24, 0x7fc02000
	s_xor_b64 s[2:3], exec, -1
; %bb.1674:                             ;   in Loop: Header=BB271_1071 Depth=1
	s_or_b64 exec, exec, s[22:23]
	s_and_b64 s[2:3], s[2:3], exec
	s_or_saveexec_b64 s[20:21], s[20:21]
	v_mov_b32_e32 v2, s24
	s_xor_b64 exec, exec, s[20:21]
	s_cbranch_execz .LBB271_1132
.LBB271_1675:                           ;   in Loop: Header=BB271_1071 Depth=1
	v_cmp_ne_u16_sdwa s[22:23], v16, v17 src0_sel:BYTE_0 src1_sel:DWORD
	s_andn2_b64 s[2:3], s[2:3], exec
	s_and_b64 s[22:23], s[22:23], exec
	v_mov_b32_e32 v2, 0
	s_or_b64 s[2:3], s[2:3], s[22:23]
	s_or_b64 exec, exec, s[20:21]
	s_and_saveexec_b64 s[20:21], s[2:3]
	s_cbranch_execnz .LBB271_1133
	s_branch .LBB271_1134
.LBB271_1676:                           ;   in Loop: Header=BB271_1071 Depth=1
	v_cmp_eq_u16_e64 s[2:3], s26, v16
	s_mov_b64 s[20:21], -1
                                        ; implicit-def: $sgpr34
	s_and_saveexec_b64 s[24:25], s[2:3]
; %bb.1677:                             ;   in Loop: Header=BB271_1071 Depth=1
	s_mov_b32 s34, 0x7fc02000
	s_xor_b64 s[20:21], exec, -1
; %bb.1678:                             ;   in Loop: Header=BB271_1071 Depth=1
	s_or_b64 exec, exec, s[24:25]
	s_and_b64 s[20:21], s[20:21], exec
	s_or_saveexec_b64 s[22:23], s[22:23]
	v_mov_b32_e32 v22, s34
	s_xor_b64 exec, exec, s[22:23]
	s_cbranch_execz .LBB271_1136
.LBB271_1679:                           ;   in Loop: Header=BB271_1071 Depth=1
	v_cmp_ne_u16_e64 s[2:3], 0, v16
	s_andn2_b64 s[20:21], s[20:21], exec
	s_and_b64 s[2:3], s[2:3], exec
	v_mov_b32_e32 v22, 0
	s_or_b64 s[20:21], s[20:21], s[2:3]
	s_or_b64 exec, exec, s[22:23]
	s_and_saveexec_b64 s[22:23], s[20:21]
	s_cbranch_execnz .LBB271_1137
	s_branch .LBB271_1138
.LBB271_1680:                           ;   in Loop: Header=BB271_1071 Depth=1
	v_cmp_eq_u16_sdwa s[34:35], v58, s26 src0_sel:BYTE_0 src1_sel:DWORD
	s_mov_b64 s[2:3], -1
                                        ; implicit-def: $sgpr24
	s_and_saveexec_b64 s[22:23], s[34:35]
; %bb.1681:                             ;   in Loop: Header=BB271_1071 Depth=1
	s_mov_b32 s24, 0x7fc02000
	s_xor_b64 s[2:3], exec, -1
; %bb.1682:                             ;   in Loop: Header=BB271_1071 Depth=1
	s_or_b64 exec, exec, s[22:23]
	s_and_b64 s[2:3], s[2:3], exec
	s_or_saveexec_b64 s[20:21], s[20:21]
	v_mov_b32_e32 v60, s24
	s_xor_b64 exec, exec, s[20:21]
	s_cbranch_execz .LBB271_1142
.LBB271_1683:                           ;   in Loop: Header=BB271_1071 Depth=1
	v_cmp_ne_u16_sdwa s[22:23], v58, v17 src0_sel:BYTE_0 src1_sel:DWORD
	s_andn2_b64 s[2:3], s[2:3], exec
	s_and_b64 s[22:23], s[22:23], exec
	v_mov_b32_e32 v60, 0
	s_or_b64 s[2:3], s[2:3], s[22:23]
	s_or_b64 exec, exec, s[20:21]
	s_and_saveexec_b64 s[20:21], s[2:3]
	s_cbranch_execnz .LBB271_1143
	s_branch .LBB271_1144
.LBB271_1684:                           ;   in Loop: Header=BB271_1071 Depth=1
	v_cmp_eq_u16_e64 s[2:3], s26, v16
	s_mov_b64 s[20:21], -1
                                        ; implicit-def: $sgpr34
	s_and_saveexec_b64 s[24:25], s[2:3]
; %bb.1685:                             ;   in Loop: Header=BB271_1071 Depth=1
	s_mov_b32 s34, 0x7fc02000
	s_xor_b64 s[20:21], exec, -1
; %bb.1686:                             ;   in Loop: Header=BB271_1071 Depth=1
	s_or_b64 exec, exec, s[24:25]
	s_and_b64 s[20:21], s[20:21], exec
	s_or_saveexec_b64 s[22:23], s[22:23]
	v_mov_b32_e32 v44, s34
	s_xor_b64 exec, exec, s[22:23]
	s_cbranch_execz .LBB271_1146
.LBB271_1687:                           ;   in Loop: Header=BB271_1071 Depth=1
	v_cmp_ne_u16_e64 s[2:3], 0, v16
	s_andn2_b64 s[20:21], s[20:21], exec
	s_and_b64 s[2:3], s[2:3], exec
	v_mov_b32_e32 v44, 0
	s_or_b64 s[20:21], s[20:21], s[2:3]
	s_or_b64 exec, exec, s[22:23]
	s_and_saveexec_b64 s[22:23], s[20:21]
	s_cbranch_execnz .LBB271_1147
	s_branch .LBB271_1148
.LBB271_1688:                           ;   in Loop: Header=BB271_1071 Depth=1
	v_cmp_eq_u16_sdwa s[34:35], v16, s26 src0_sel:BYTE_0 src1_sel:DWORD
	s_mov_b64 s[2:3], -1
                                        ; implicit-def: $sgpr24
	s_and_saveexec_b64 s[22:23], s[34:35]
; %bb.1689:                             ;   in Loop: Header=BB271_1071 Depth=1
	s_mov_b32 s24, 0x7fc02000
	s_xor_b64 s[2:3], exec, -1
; %bb.1690:                             ;   in Loop: Header=BB271_1071 Depth=1
	s_or_b64 exec, exec, s[22:23]
	s_and_b64 s[2:3], s[2:3], exec
	s_or_saveexec_b64 s[20:21], s[20:21]
	v_mov_b32_e32 v61, s24
	s_xor_b64 exec, exec, s[20:21]
	s_cbranch_execz .LBB271_1150
.LBB271_1691:                           ;   in Loop: Header=BB271_1071 Depth=1
	v_cmp_ne_u16_sdwa s[22:23], v16, v17 src0_sel:BYTE_0 src1_sel:DWORD
	s_andn2_b64 s[2:3], s[2:3], exec
	s_and_b64 s[22:23], s[22:23], exec
	v_mov_b32_e32 v61, 0
	s_or_b64 s[2:3], s[2:3], s[22:23]
	s_or_b64 exec, exec, s[20:21]
	s_and_saveexec_b64 s[20:21], s[2:3]
	s_cbranch_execnz .LBB271_1151
	s_branch .LBB271_1152
.LBB271_1692:                           ;   in Loop: Header=BB271_1071 Depth=1
	v_cmp_eq_u16_e64 s[2:3], s26, v16
	s_mov_b64 s[20:21], -1
                                        ; implicit-def: $sgpr34
	s_and_saveexec_b64 s[24:25], s[2:3]
; %bb.1693:                             ;   in Loop: Header=BB271_1071 Depth=1
	s_mov_b32 s34, 0x7fc02000
	s_xor_b64 s[20:21], exec, -1
; %bb.1694:                             ;   in Loop: Header=BB271_1071 Depth=1
	s_or_b64 exec, exec, s[24:25]
	s_and_b64 s[20:21], s[20:21], exec
	s_or_saveexec_b64 s[22:23], s[22:23]
	v_mov_b32_e32 v45, s34
	s_xor_b64 exec, exec, s[22:23]
	s_cbranch_execz .LBB271_1154
.LBB271_1695:                           ;   in Loop: Header=BB271_1071 Depth=1
	v_cmp_ne_u16_e64 s[2:3], 0, v16
	s_andn2_b64 s[20:21], s[20:21], exec
	s_and_b64 s[2:3], s[2:3], exec
	v_mov_b32_e32 v45, 0
	s_or_b64 s[20:21], s[20:21], s[2:3]
	s_or_b64 exec, exec, s[22:23]
	s_and_saveexec_b64 s[22:23], s[20:21]
	s_cbranch_execnz .LBB271_1155
	s_branch .LBB271_1156
.LBB271_1696:                           ;   in Loop: Header=BB271_1071 Depth=1
	v_cmp_eq_u16_sdwa s[34:35], v59, s26 src0_sel:BYTE_0 src1_sel:DWORD
	s_mov_b64 s[2:3], -1
                                        ; implicit-def: $sgpr24
	s_and_saveexec_b64 s[22:23], s[34:35]
; %bb.1697:                             ;   in Loop: Header=BB271_1071 Depth=1
	s_mov_b32 s24, 0x7fc02000
	s_xor_b64 s[2:3], exec, -1
; %bb.1698:                             ;   in Loop: Header=BB271_1071 Depth=1
	s_or_b64 exec, exec, s[22:23]
	s_and_b64 s[2:3], s[2:3], exec
	s_or_saveexec_b64 s[20:21], s[20:21]
	v_mov_b32_e32 v0, s24
	s_xor_b64 exec, exec, s[20:21]
	s_cbranch_execz .LBB271_1158
.LBB271_1699:                           ;   in Loop: Header=BB271_1071 Depth=1
	v_cmp_ne_u16_sdwa s[22:23], v59, v17 src0_sel:BYTE_0 src1_sel:DWORD
	s_andn2_b64 s[2:3], s[2:3], exec
	s_and_b64 s[22:23], s[22:23], exec
	v_mov_b32_e32 v0, 0
	s_or_b64 s[2:3], s[2:3], s[22:23]
	s_or_b64 exec, exec, s[20:21]
	v_mov_b32_e32 v16, v59
	s_and_saveexec_b64 s[20:21], s[2:3]
	s_cbranch_execnz .LBB271_1159
	s_branch .LBB271_1160
.LBB271_1700:                           ;   in Loop: Header=BB271_1071 Depth=1
	v_cmp_eq_u16_e64 s[2:3], s26, v16
	s_mov_b64 s[20:21], -1
                                        ; implicit-def: $sgpr34
	s_and_saveexec_b64 s[24:25], s[2:3]
; %bb.1701:                             ;   in Loop: Header=BB271_1071 Depth=1
	s_mov_b32 s34, 0x7fc02000
	s_xor_b64 s[20:21], exec, -1
; %bb.1702:                             ;   in Loop: Header=BB271_1071 Depth=1
	s_or_b64 exec, exec, s[24:25]
	s_and_b64 s[20:21], s[20:21], exec
	s_or_saveexec_b64 s[22:23], s[22:23]
	v_mov_b32_e32 v1, s34
	s_xor_b64 exec, exec, s[22:23]
	s_cbranch_execz .LBB271_1162
.LBB271_1703:                           ;   in Loop: Header=BB271_1071 Depth=1
	v_cmp_ne_u16_e64 s[2:3], 0, v16
	s_andn2_b64 s[20:21], s[20:21], exec
	s_and_b64 s[2:3], s[2:3], exec
	v_mov_b32_e32 v1, 0
	s_or_b64 s[20:21], s[20:21], s[2:3]
	s_or_b64 exec, exec, s[22:23]
	s_and_saveexec_b64 s[22:23], s[20:21]
	s_cbranch_execnz .LBB271_1163
	s_branch .LBB271_1164
.LBB271_1704:                           ;   in Loop: Header=BB271_1071 Depth=1
	v_cmp_eq_u16_sdwa s[34:35], v16, s26 src0_sel:BYTE_0 src1_sel:DWORD
	s_mov_b64 s[2:3], -1
                                        ; implicit-def: $sgpr24
	s_and_saveexec_b64 s[22:23], s[34:35]
; %bb.1705:                             ;   in Loop: Header=BB271_1071 Depth=1
	s_mov_b32 s24, 0x7fc02000
	s_xor_b64 s[2:3], exec, -1
; %bb.1706:                             ;   in Loop: Header=BB271_1071 Depth=1
	s_or_b64 exec, exec, s[22:23]
	s_and_b64 s[2:3], s[2:3], exec
	s_or_saveexec_b64 s[20:21], s[20:21]
	v_mov_b32_e32 v2, s24
	s_xor_b64 exec, exec, s[20:21]
	s_cbranch_execz .LBB271_1166
.LBB271_1707:                           ;   in Loop: Header=BB271_1071 Depth=1
	v_cmp_ne_u16_sdwa s[22:23], v16, v17 src0_sel:BYTE_0 src1_sel:DWORD
	s_andn2_b64 s[2:3], s[2:3], exec
	s_and_b64 s[22:23], s[22:23], exec
	v_mov_b32_e32 v2, 0
	s_or_b64 s[2:3], s[2:3], s[22:23]
	s_or_b64 exec, exec, s[20:21]
	s_and_saveexec_b64 s[20:21], s[2:3]
	s_cbranch_execnz .LBB271_1167
	s_branch .LBB271_1168
.LBB271_1708:                           ;   in Loop: Header=BB271_1071 Depth=1
	v_cmp_eq_u16_e64 s[2:3], s26, v16
	s_mov_b64 s[20:21], -1
                                        ; implicit-def: $sgpr34
	s_and_saveexec_b64 s[24:25], s[2:3]
; %bb.1709:                             ;   in Loop: Header=BB271_1071 Depth=1
	s_mov_b32 s34, 0x7fc02000
	s_xor_b64 s[20:21], exec, -1
; %bb.1710:                             ;   in Loop: Header=BB271_1071 Depth=1
	s_or_b64 exec, exec, s[24:25]
	s_and_b64 s[20:21], s[20:21], exec
	s_or_saveexec_b64 s[22:23], s[22:23]
	v_mov_b32_e32 v22, s34
	s_xor_b64 exec, exec, s[22:23]
	s_cbranch_execz .LBB271_1170
.LBB271_1711:                           ;   in Loop: Header=BB271_1071 Depth=1
	v_cmp_ne_u16_e64 s[2:3], 0, v16
	s_andn2_b64 s[20:21], s[20:21], exec
	s_and_b64 s[2:3], s[2:3], exec
	v_mov_b32_e32 v22, 0
	s_or_b64 s[20:21], s[20:21], s[2:3]
	s_or_b64 exec, exec, s[22:23]
	s_and_saveexec_b64 s[22:23], s[20:21]
	s_cbranch_execnz .LBB271_1171
	s_branch .LBB271_1172
.LBB271_1712:                           ;   in Loop: Header=BB271_1071 Depth=1
	v_cmp_eq_u16_sdwa s[34:35], v58, s26 src0_sel:BYTE_0 src1_sel:DWORD
	s_mov_b64 s[2:3], -1
                                        ; implicit-def: $sgpr24
	s_and_saveexec_b64 s[22:23], s[34:35]
; %bb.1713:                             ;   in Loop: Header=BB271_1071 Depth=1
	s_mov_b32 s24, 0x7fc02000
	s_xor_b64 s[2:3], exec, -1
; %bb.1714:                             ;   in Loop: Header=BB271_1071 Depth=1
	s_or_b64 exec, exec, s[22:23]
	s_and_b64 s[2:3], s[2:3], exec
	s_or_saveexec_b64 s[20:21], s[20:21]
	v_mov_b32_e32 v60, s24
	s_xor_b64 exec, exec, s[20:21]
	s_cbranch_execz .LBB271_1176
.LBB271_1715:                           ;   in Loop: Header=BB271_1071 Depth=1
	v_cmp_ne_u16_sdwa s[22:23], v58, v17 src0_sel:BYTE_0 src1_sel:DWORD
	s_andn2_b64 s[2:3], s[2:3], exec
	s_and_b64 s[22:23], s[22:23], exec
	v_mov_b32_e32 v60, 0
	s_or_b64 s[2:3], s[2:3], s[22:23]
	s_or_b64 exec, exec, s[20:21]
	s_and_saveexec_b64 s[20:21], s[2:3]
	s_cbranch_execnz .LBB271_1177
	s_branch .LBB271_1178
.LBB271_1716:                           ;   in Loop: Header=BB271_1071 Depth=1
	v_cmp_eq_u16_e64 s[2:3], s26, v16
	s_mov_b64 s[20:21], -1
                                        ; implicit-def: $sgpr34
	s_and_saveexec_b64 s[24:25], s[2:3]
; %bb.1717:                             ;   in Loop: Header=BB271_1071 Depth=1
	s_mov_b32 s34, 0x7fc02000
	s_xor_b64 s[20:21], exec, -1
; %bb.1718:                             ;   in Loop: Header=BB271_1071 Depth=1
	s_or_b64 exec, exec, s[24:25]
	s_and_b64 s[20:21], s[20:21], exec
	s_or_saveexec_b64 s[22:23], s[22:23]
	v_mov_b32_e32 v44, s34
	s_xor_b64 exec, exec, s[22:23]
	s_cbranch_execz .LBB271_1180
.LBB271_1719:                           ;   in Loop: Header=BB271_1071 Depth=1
	v_cmp_ne_u16_e64 s[2:3], 0, v16
	s_andn2_b64 s[20:21], s[20:21], exec
	s_and_b64 s[2:3], s[2:3], exec
	v_mov_b32_e32 v44, 0
	s_or_b64 s[20:21], s[20:21], s[2:3]
	s_or_b64 exec, exec, s[22:23]
	s_and_saveexec_b64 s[22:23], s[20:21]
	s_cbranch_execnz .LBB271_1181
	s_branch .LBB271_1182
.LBB271_1720:                           ;   in Loop: Header=BB271_1071 Depth=1
	v_cmp_eq_u16_sdwa s[34:35], v16, s26 src0_sel:BYTE_0 src1_sel:DWORD
	s_mov_b64 s[2:3], -1
                                        ; implicit-def: $sgpr24
	s_and_saveexec_b64 s[22:23], s[34:35]
; %bb.1721:                             ;   in Loop: Header=BB271_1071 Depth=1
	s_mov_b32 s24, 0x7fc02000
	s_xor_b64 s[2:3], exec, -1
; %bb.1722:                             ;   in Loop: Header=BB271_1071 Depth=1
	s_or_b64 exec, exec, s[22:23]
	s_and_b64 s[2:3], s[2:3], exec
	s_or_saveexec_b64 s[20:21], s[20:21]
	v_mov_b32_e32 v61, s24
	s_xor_b64 exec, exec, s[20:21]
	s_cbranch_execz .LBB271_1184
.LBB271_1723:                           ;   in Loop: Header=BB271_1071 Depth=1
	v_cmp_ne_u16_sdwa s[22:23], v16, v17 src0_sel:BYTE_0 src1_sel:DWORD
	s_andn2_b64 s[2:3], s[2:3], exec
	s_and_b64 s[22:23], s[22:23], exec
	v_mov_b32_e32 v61, 0
	s_or_b64 s[2:3], s[2:3], s[22:23]
	s_or_b64 exec, exec, s[20:21]
	s_and_saveexec_b64 s[20:21], s[2:3]
	s_cbranch_execnz .LBB271_1185
	s_branch .LBB271_1186
.LBB271_1724:                           ;   in Loop: Header=BB271_1071 Depth=1
	v_cmp_eq_u16_e64 s[2:3], s26, v16
	s_mov_b64 s[20:21], -1
                                        ; implicit-def: $sgpr34
	s_and_saveexec_b64 s[24:25], s[2:3]
; %bb.1725:                             ;   in Loop: Header=BB271_1071 Depth=1
	s_mov_b32 s34, 0x7fc02000
	s_xor_b64 s[20:21], exec, -1
; %bb.1726:                             ;   in Loop: Header=BB271_1071 Depth=1
	s_or_b64 exec, exec, s[24:25]
	s_and_b64 s[20:21], s[20:21], exec
	s_or_saveexec_b64 s[22:23], s[22:23]
	v_mov_b32_e32 v45, s34
	s_xor_b64 exec, exec, s[22:23]
	s_cbranch_execz .LBB271_1188
.LBB271_1727:                           ;   in Loop: Header=BB271_1071 Depth=1
	v_cmp_ne_u16_e64 s[2:3], 0, v16
	s_andn2_b64 s[20:21], s[20:21], exec
	s_and_b64 s[2:3], s[2:3], exec
	v_mov_b32_e32 v45, 0
	s_or_b64 s[20:21], s[20:21], s[2:3]
	s_or_b64 exec, exec, s[22:23]
	s_and_saveexec_b64 s[22:23], s[20:21]
	s_cbranch_execnz .LBB271_1189
	s_branch .LBB271_1190
.LBB271_1728:                           ;   in Loop: Header=BB271_1071 Depth=1
	v_cmp_eq_u16_sdwa s[34:35], v59, s26 src0_sel:BYTE_0 src1_sel:DWORD
	s_mov_b64 s[2:3], -1
                                        ; implicit-def: $sgpr24
	s_and_saveexec_b64 s[22:23], s[34:35]
; %bb.1729:                             ;   in Loop: Header=BB271_1071 Depth=1
	s_mov_b32 s24, 0x7fc02000
	s_xor_b64 s[2:3], exec, -1
; %bb.1730:                             ;   in Loop: Header=BB271_1071 Depth=1
	s_or_b64 exec, exec, s[22:23]
	s_and_b64 s[2:3], s[2:3], exec
	s_or_saveexec_b64 s[20:21], s[20:21]
	v_mov_b32_e32 v0, s24
	s_xor_b64 exec, exec, s[20:21]
	s_cbranch_execz .LBB271_1192
.LBB271_1731:                           ;   in Loop: Header=BB271_1071 Depth=1
	v_cmp_ne_u16_sdwa s[22:23], v59, v17 src0_sel:BYTE_0 src1_sel:DWORD
	s_andn2_b64 s[2:3], s[2:3], exec
	s_and_b64 s[22:23], s[22:23], exec
	v_mov_b32_e32 v0, 0
	s_or_b64 s[2:3], s[2:3], s[22:23]
	s_or_b64 exec, exec, s[20:21]
	v_mov_b32_e32 v16, v59
	s_and_saveexec_b64 s[20:21], s[2:3]
	s_cbranch_execnz .LBB271_1193
	s_branch .LBB271_1194
.LBB271_1732:                           ;   in Loop: Header=BB271_1071 Depth=1
	v_cmp_eq_u16_e64 s[2:3], s26, v16
	s_mov_b64 s[20:21], -1
                                        ; implicit-def: $sgpr34
	s_and_saveexec_b64 s[24:25], s[2:3]
; %bb.1733:                             ;   in Loop: Header=BB271_1071 Depth=1
	s_mov_b32 s34, 0x7fc02000
	s_xor_b64 s[20:21], exec, -1
; %bb.1734:                             ;   in Loop: Header=BB271_1071 Depth=1
	s_or_b64 exec, exec, s[24:25]
	s_and_b64 s[20:21], s[20:21], exec
	s_or_saveexec_b64 s[22:23], s[22:23]
	v_mov_b32_e32 v1, s34
	s_xor_b64 exec, exec, s[22:23]
	s_cbranch_execz .LBB271_1196
.LBB271_1735:                           ;   in Loop: Header=BB271_1071 Depth=1
	v_cmp_ne_u16_e64 s[2:3], 0, v16
	s_andn2_b64 s[20:21], s[20:21], exec
	s_and_b64 s[2:3], s[2:3], exec
	v_mov_b32_e32 v1, 0
	s_or_b64 s[20:21], s[20:21], s[2:3]
	s_or_b64 exec, exec, s[22:23]
	s_and_saveexec_b64 s[22:23], s[20:21]
	s_cbranch_execnz .LBB271_1197
	s_branch .LBB271_1198
.LBB271_1736:                           ;   in Loop: Header=BB271_1071 Depth=1
	v_cmp_eq_u16_sdwa s[34:35], v16, s26 src0_sel:BYTE_0 src1_sel:DWORD
	s_mov_b64 s[2:3], -1
                                        ; implicit-def: $sgpr24
	s_and_saveexec_b64 s[22:23], s[34:35]
; %bb.1737:                             ;   in Loop: Header=BB271_1071 Depth=1
	s_mov_b32 s24, 0x7fc02000
	s_xor_b64 s[2:3], exec, -1
; %bb.1738:                             ;   in Loop: Header=BB271_1071 Depth=1
	s_or_b64 exec, exec, s[22:23]
	s_and_b64 s[2:3], s[2:3], exec
	s_or_saveexec_b64 s[20:21], s[20:21]
	v_mov_b32_e32 v2, s24
	s_xor_b64 exec, exec, s[20:21]
	s_cbranch_execz .LBB271_1200
.LBB271_1739:                           ;   in Loop: Header=BB271_1071 Depth=1
	v_cmp_ne_u16_sdwa s[22:23], v16, v17 src0_sel:BYTE_0 src1_sel:DWORD
	s_andn2_b64 s[2:3], s[2:3], exec
	s_and_b64 s[22:23], s[22:23], exec
	v_mov_b32_e32 v2, 0
	s_or_b64 s[2:3], s[2:3], s[22:23]
	s_or_b64 exec, exec, s[20:21]
	s_and_saveexec_b64 s[20:21], s[2:3]
	s_cbranch_execnz .LBB271_1201
	s_branch .LBB271_1202
.LBB271_1740:                           ;   in Loop: Header=BB271_1071 Depth=1
	v_cmp_eq_u16_e64 s[2:3], s26, v16
	s_mov_b64 s[20:21], -1
                                        ; implicit-def: $sgpr34
	s_and_saveexec_b64 s[24:25], s[2:3]
; %bb.1741:                             ;   in Loop: Header=BB271_1071 Depth=1
	s_mov_b32 s34, 0x7fc02000
	s_xor_b64 s[20:21], exec, -1
; %bb.1742:                             ;   in Loop: Header=BB271_1071 Depth=1
	s_or_b64 exec, exec, s[24:25]
	s_and_b64 s[20:21], s[20:21], exec
	s_or_saveexec_b64 s[22:23], s[22:23]
	v_mov_b32_e32 v22, s34
	s_xor_b64 exec, exec, s[22:23]
	s_cbranch_execz .LBB271_1204
.LBB271_1743:                           ;   in Loop: Header=BB271_1071 Depth=1
	v_cmp_ne_u16_e64 s[2:3], 0, v16
	s_andn2_b64 s[20:21], s[20:21], exec
	s_and_b64 s[2:3], s[2:3], exec
	v_mov_b32_e32 v22, 0
	s_or_b64 s[20:21], s[20:21], s[2:3]
	s_or_b64 exec, exec, s[22:23]
	s_and_saveexec_b64 s[22:23], s[20:21]
	s_cbranch_execnz .LBB271_1205
	s_branch .LBB271_1206
.LBB271_1744:                           ;   in Loop: Header=BB271_1071 Depth=1
	v_cmp_eq_u16_sdwa s[34:35], v58, s26 src0_sel:BYTE_0 src1_sel:DWORD
	s_mov_b64 s[2:3], -1
                                        ; implicit-def: $sgpr24
	s_and_saveexec_b64 s[22:23], s[34:35]
; %bb.1745:                             ;   in Loop: Header=BB271_1071 Depth=1
	s_mov_b32 s24, 0x7fc02000
	s_xor_b64 s[2:3], exec, -1
; %bb.1746:                             ;   in Loop: Header=BB271_1071 Depth=1
	s_or_b64 exec, exec, s[22:23]
	s_and_b64 s[2:3], s[2:3], exec
	s_or_saveexec_b64 s[20:21], s[20:21]
	v_mov_b32_e32 v60, s24
	s_xor_b64 exec, exec, s[20:21]
	s_cbranch_execz .LBB271_1210
.LBB271_1747:                           ;   in Loop: Header=BB271_1071 Depth=1
	v_cmp_ne_u16_sdwa s[22:23], v58, v17 src0_sel:BYTE_0 src1_sel:DWORD
	s_andn2_b64 s[2:3], s[2:3], exec
	s_and_b64 s[22:23], s[22:23], exec
	v_mov_b32_e32 v60, 0
	s_or_b64 s[2:3], s[2:3], s[22:23]
	s_or_b64 exec, exec, s[20:21]
	s_and_saveexec_b64 s[20:21], s[2:3]
	s_cbranch_execnz .LBB271_1211
	s_branch .LBB271_1212
.LBB271_1748:                           ;   in Loop: Header=BB271_1071 Depth=1
	v_cmp_eq_u16_e64 s[2:3], s26, v16
	s_mov_b64 s[20:21], -1
                                        ; implicit-def: $sgpr34
	s_and_saveexec_b64 s[24:25], s[2:3]
; %bb.1749:                             ;   in Loop: Header=BB271_1071 Depth=1
	s_mov_b32 s34, 0x7fc02000
	s_xor_b64 s[20:21], exec, -1
; %bb.1750:                             ;   in Loop: Header=BB271_1071 Depth=1
	s_or_b64 exec, exec, s[24:25]
	s_and_b64 s[20:21], s[20:21], exec
	s_or_saveexec_b64 s[22:23], s[22:23]
	v_mov_b32_e32 v44, s34
	s_xor_b64 exec, exec, s[22:23]
	s_cbranch_execz .LBB271_1214
.LBB271_1751:                           ;   in Loop: Header=BB271_1071 Depth=1
	v_cmp_ne_u16_e64 s[2:3], 0, v16
	s_andn2_b64 s[20:21], s[20:21], exec
	s_and_b64 s[2:3], s[2:3], exec
	v_mov_b32_e32 v44, 0
	s_or_b64 s[20:21], s[20:21], s[2:3]
	s_or_b64 exec, exec, s[22:23]
	s_and_saveexec_b64 s[22:23], s[20:21]
	s_cbranch_execnz .LBB271_1215
	s_branch .LBB271_1216
.LBB271_1752:                           ;   in Loop: Header=BB271_1071 Depth=1
	v_cmp_eq_u16_sdwa s[34:35], v16, s26 src0_sel:BYTE_0 src1_sel:DWORD
	s_mov_b64 s[2:3], -1
                                        ; implicit-def: $sgpr24
	s_and_saveexec_b64 s[22:23], s[34:35]
; %bb.1753:                             ;   in Loop: Header=BB271_1071 Depth=1
	s_mov_b32 s24, 0x7fc02000
	s_xor_b64 s[2:3], exec, -1
; %bb.1754:                             ;   in Loop: Header=BB271_1071 Depth=1
	s_or_b64 exec, exec, s[22:23]
	s_and_b64 s[2:3], s[2:3], exec
	s_or_saveexec_b64 s[20:21], s[20:21]
	v_mov_b32_e32 v61, s24
	s_xor_b64 exec, exec, s[20:21]
	s_cbranch_execz .LBB271_1218
.LBB271_1755:                           ;   in Loop: Header=BB271_1071 Depth=1
	v_cmp_ne_u16_sdwa s[22:23], v16, v17 src0_sel:BYTE_0 src1_sel:DWORD
	s_andn2_b64 s[2:3], s[2:3], exec
	s_and_b64 s[22:23], s[22:23], exec
	v_mov_b32_e32 v61, 0
	s_or_b64 s[2:3], s[2:3], s[22:23]
	s_or_b64 exec, exec, s[20:21]
	s_and_saveexec_b64 s[20:21], s[2:3]
	s_cbranch_execnz .LBB271_1219
	s_branch .LBB271_1220
.LBB271_1756:                           ;   in Loop: Header=BB271_1071 Depth=1
	v_cmp_eq_u16_e64 s[2:3], s26, v16
	s_mov_b64 s[20:21], -1
                                        ; implicit-def: $sgpr34
	s_and_saveexec_b64 s[24:25], s[2:3]
; %bb.1757:                             ;   in Loop: Header=BB271_1071 Depth=1
	s_mov_b32 s34, 0x7fc02000
	s_xor_b64 s[20:21], exec, -1
; %bb.1758:                             ;   in Loop: Header=BB271_1071 Depth=1
	s_or_b64 exec, exec, s[24:25]
	s_and_b64 s[20:21], s[20:21], exec
	s_or_saveexec_b64 s[22:23], s[22:23]
	v_mov_b32_e32 v45, s34
	s_xor_b64 exec, exec, s[22:23]
	s_cbranch_execz .LBB271_1222
.LBB271_1759:                           ;   in Loop: Header=BB271_1071 Depth=1
	v_cmp_ne_u16_e64 s[2:3], 0, v16
	s_andn2_b64 s[20:21], s[20:21], exec
	s_and_b64 s[2:3], s[2:3], exec
	v_mov_b32_e32 v45, 0
	s_or_b64 s[20:21], s[20:21], s[2:3]
	s_or_b64 exec, exec, s[22:23]
	s_and_saveexec_b64 s[22:23], s[20:21]
	s_cbranch_execnz .LBB271_1223
	s_branch .LBB271_1224
.LBB271_1760:                           ;   in Loop: Header=BB271_1071 Depth=1
	v_cmp_eq_u16_sdwa s[34:35], v59, s26 src0_sel:BYTE_0 src1_sel:DWORD
	s_mov_b64 s[2:3], -1
                                        ; implicit-def: $sgpr24
	s_and_saveexec_b64 s[22:23], s[34:35]
; %bb.1761:                             ;   in Loop: Header=BB271_1071 Depth=1
	s_mov_b32 s24, 0x7fc02000
	s_xor_b64 s[2:3], exec, -1
; %bb.1762:                             ;   in Loop: Header=BB271_1071 Depth=1
	s_or_b64 exec, exec, s[22:23]
	s_and_b64 s[2:3], s[2:3], exec
	s_or_saveexec_b64 s[20:21], s[20:21]
	v_mov_b32_e32 v0, s24
	s_xor_b64 exec, exec, s[20:21]
	s_cbranch_execz .LBB271_1226
.LBB271_1763:                           ;   in Loop: Header=BB271_1071 Depth=1
	v_cmp_ne_u16_sdwa s[22:23], v59, v17 src0_sel:BYTE_0 src1_sel:DWORD
	s_andn2_b64 s[2:3], s[2:3], exec
	s_and_b64 s[22:23], s[22:23], exec
	v_mov_b32_e32 v0, 0
	s_or_b64 s[2:3], s[2:3], s[22:23]
	s_or_b64 exec, exec, s[20:21]
	v_mov_b32_e32 v16, v59
	s_and_saveexec_b64 s[20:21], s[2:3]
	s_cbranch_execnz .LBB271_1227
	s_branch .LBB271_1228
.LBB271_1764:                           ;   in Loop: Header=BB271_1071 Depth=1
	v_cmp_eq_u16_e64 s[2:3], s26, v16
	s_mov_b64 s[20:21], -1
                                        ; implicit-def: $sgpr34
	s_and_saveexec_b64 s[24:25], s[2:3]
; %bb.1765:                             ;   in Loop: Header=BB271_1071 Depth=1
	s_mov_b32 s34, 0x7fc02000
	s_xor_b64 s[20:21], exec, -1
; %bb.1766:                             ;   in Loop: Header=BB271_1071 Depth=1
	s_or_b64 exec, exec, s[24:25]
	s_and_b64 s[20:21], s[20:21], exec
	s_or_saveexec_b64 s[22:23], s[22:23]
	v_mov_b32_e32 v1, s34
	s_xor_b64 exec, exec, s[22:23]
	s_cbranch_execz .LBB271_1230
.LBB271_1767:                           ;   in Loop: Header=BB271_1071 Depth=1
	v_cmp_ne_u16_e64 s[2:3], 0, v16
	s_andn2_b64 s[20:21], s[20:21], exec
	s_and_b64 s[2:3], s[2:3], exec
	v_mov_b32_e32 v1, 0
	s_or_b64 s[20:21], s[20:21], s[2:3]
	s_or_b64 exec, exec, s[22:23]
	s_and_saveexec_b64 s[22:23], s[20:21]
	s_cbranch_execnz .LBB271_1231
	s_branch .LBB271_1232
.LBB271_1768:                           ;   in Loop: Header=BB271_1071 Depth=1
	v_cmp_eq_u16_sdwa s[34:35], v16, s26 src0_sel:BYTE_0 src1_sel:DWORD
	s_mov_b64 s[2:3], -1
                                        ; implicit-def: $sgpr24
	s_and_saveexec_b64 s[22:23], s[34:35]
; %bb.1769:                             ;   in Loop: Header=BB271_1071 Depth=1
	s_mov_b32 s24, 0x7fc02000
	s_xor_b64 s[2:3], exec, -1
; %bb.1770:                             ;   in Loop: Header=BB271_1071 Depth=1
	s_or_b64 exec, exec, s[22:23]
	s_and_b64 s[2:3], s[2:3], exec
	s_or_saveexec_b64 s[20:21], s[20:21]
	v_mov_b32_e32 v2, s24
	s_xor_b64 exec, exec, s[20:21]
	s_cbranch_execz .LBB271_1234
.LBB271_1771:                           ;   in Loop: Header=BB271_1071 Depth=1
	v_cmp_ne_u16_sdwa s[22:23], v16, v17 src0_sel:BYTE_0 src1_sel:DWORD
	s_andn2_b64 s[2:3], s[2:3], exec
	s_and_b64 s[22:23], s[22:23], exec
	v_mov_b32_e32 v2, 0
	s_or_b64 s[2:3], s[2:3], s[22:23]
	s_or_b64 exec, exec, s[20:21]
	s_and_saveexec_b64 s[20:21], s[2:3]
	s_cbranch_execnz .LBB271_1235
	s_branch .LBB271_1236
.LBB271_1772:                           ;   in Loop: Header=BB271_1071 Depth=1
	v_cmp_eq_u16_e64 s[2:3], s26, v16
	s_mov_b64 s[20:21], -1
                                        ; implicit-def: $sgpr34
	s_and_saveexec_b64 s[24:25], s[2:3]
; %bb.1773:                             ;   in Loop: Header=BB271_1071 Depth=1
	s_mov_b32 s34, 0x7fc02000
	s_xor_b64 s[20:21], exec, -1
; %bb.1774:                             ;   in Loop: Header=BB271_1071 Depth=1
	s_or_b64 exec, exec, s[24:25]
	s_and_b64 s[20:21], s[20:21], exec
	s_or_saveexec_b64 s[22:23], s[22:23]
	v_mov_b32_e32 v22, s34
	s_xor_b64 exec, exec, s[22:23]
	s_cbranch_execz .LBB271_1238
.LBB271_1775:                           ;   in Loop: Header=BB271_1071 Depth=1
	v_cmp_ne_u16_e64 s[2:3], 0, v16
	s_andn2_b64 s[20:21], s[20:21], exec
	s_and_b64 s[2:3], s[2:3], exec
	v_mov_b32_e32 v22, 0
	s_or_b64 s[20:21], s[20:21], s[2:3]
	s_or_b64 exec, exec, s[22:23]
	s_and_saveexec_b64 s[22:23], s[20:21]
	s_cbranch_execnz .LBB271_1239
	s_branch .LBB271_1240
.LBB271_1776:                           ;   in Loop: Header=BB271_1071 Depth=1
	v_cmp_eq_u16_sdwa s[34:35], v58, s26 src0_sel:BYTE_0 src1_sel:DWORD
	s_mov_b64 s[2:3], -1
                                        ; implicit-def: $sgpr24
	s_and_saveexec_b64 s[22:23], s[34:35]
; %bb.1777:                             ;   in Loop: Header=BB271_1071 Depth=1
	s_mov_b32 s24, 0x7fc02000
	s_xor_b64 s[2:3], exec, -1
; %bb.1778:                             ;   in Loop: Header=BB271_1071 Depth=1
	s_or_b64 exec, exec, s[22:23]
	s_and_b64 s[2:3], s[2:3], exec
	s_or_saveexec_b64 s[20:21], s[20:21]
	v_mov_b32_e32 v60, s24
	s_xor_b64 exec, exec, s[20:21]
	s_cbranch_execz .LBB271_1244
.LBB271_1779:                           ;   in Loop: Header=BB271_1071 Depth=1
	v_cmp_ne_u16_sdwa s[22:23], v58, v17 src0_sel:BYTE_0 src1_sel:DWORD
	s_andn2_b64 s[2:3], s[2:3], exec
	s_and_b64 s[22:23], s[22:23], exec
	v_mov_b32_e32 v60, 0
	s_or_b64 s[2:3], s[2:3], s[22:23]
	s_or_b64 exec, exec, s[20:21]
	s_and_saveexec_b64 s[20:21], s[2:3]
	s_cbranch_execnz .LBB271_1245
	s_branch .LBB271_1246
.LBB271_1780:                           ;   in Loop: Header=BB271_1071 Depth=1
	v_cmp_eq_u16_e64 s[2:3], s26, v16
	s_mov_b64 s[20:21], -1
                                        ; implicit-def: $sgpr34
	s_and_saveexec_b64 s[24:25], s[2:3]
; %bb.1781:                             ;   in Loop: Header=BB271_1071 Depth=1
	s_mov_b32 s34, 0x7fc02000
	s_xor_b64 s[20:21], exec, -1
; %bb.1782:                             ;   in Loop: Header=BB271_1071 Depth=1
	s_or_b64 exec, exec, s[24:25]
	s_and_b64 s[20:21], s[20:21], exec
	s_or_saveexec_b64 s[22:23], s[22:23]
	v_mov_b32_e32 v44, s34
	s_xor_b64 exec, exec, s[22:23]
	s_cbranch_execz .LBB271_1248
.LBB271_1783:                           ;   in Loop: Header=BB271_1071 Depth=1
	v_cmp_ne_u16_e64 s[2:3], 0, v16
	s_andn2_b64 s[20:21], s[20:21], exec
	s_and_b64 s[2:3], s[2:3], exec
	v_mov_b32_e32 v44, 0
	s_or_b64 s[20:21], s[20:21], s[2:3]
	s_or_b64 exec, exec, s[22:23]
	s_and_saveexec_b64 s[22:23], s[20:21]
	s_cbranch_execnz .LBB271_1249
	s_branch .LBB271_1250
.LBB271_1784:                           ;   in Loop: Header=BB271_1071 Depth=1
	v_cmp_eq_u16_sdwa s[34:35], v16, s26 src0_sel:BYTE_0 src1_sel:DWORD
	s_mov_b64 s[2:3], -1
                                        ; implicit-def: $sgpr24
	s_and_saveexec_b64 s[22:23], s[34:35]
; %bb.1785:                             ;   in Loop: Header=BB271_1071 Depth=1
	s_mov_b32 s24, 0x7fc02000
	s_xor_b64 s[2:3], exec, -1
; %bb.1786:                             ;   in Loop: Header=BB271_1071 Depth=1
	s_or_b64 exec, exec, s[22:23]
	s_and_b64 s[2:3], s[2:3], exec
	s_or_saveexec_b64 s[20:21], s[20:21]
	v_mov_b32_e32 v61, s24
	s_xor_b64 exec, exec, s[20:21]
	s_cbranch_execz .LBB271_1252
.LBB271_1787:                           ;   in Loop: Header=BB271_1071 Depth=1
	v_cmp_ne_u16_sdwa s[22:23], v16, v17 src0_sel:BYTE_0 src1_sel:DWORD
	s_andn2_b64 s[2:3], s[2:3], exec
	s_and_b64 s[22:23], s[22:23], exec
	v_mov_b32_e32 v61, 0
	s_or_b64 s[2:3], s[2:3], s[22:23]
	s_or_b64 exec, exec, s[20:21]
	s_and_saveexec_b64 s[20:21], s[2:3]
	s_cbranch_execnz .LBB271_1253
	s_branch .LBB271_1254
.LBB271_1788:                           ;   in Loop: Header=BB271_1071 Depth=1
	v_cmp_eq_u16_e64 s[2:3], s26, v16
	s_mov_b64 s[20:21], -1
                                        ; implicit-def: $sgpr34
	s_and_saveexec_b64 s[24:25], s[2:3]
; %bb.1789:                             ;   in Loop: Header=BB271_1071 Depth=1
	s_mov_b32 s34, 0x7fc02000
	s_xor_b64 s[20:21], exec, -1
; %bb.1790:                             ;   in Loop: Header=BB271_1071 Depth=1
	s_or_b64 exec, exec, s[24:25]
	s_and_b64 s[20:21], s[20:21], exec
	s_or_saveexec_b64 s[22:23], s[22:23]
	v_mov_b32_e32 v45, s34
	s_xor_b64 exec, exec, s[22:23]
	s_cbranch_execz .LBB271_1256
.LBB271_1791:                           ;   in Loop: Header=BB271_1071 Depth=1
	v_cmp_ne_u16_e64 s[2:3], 0, v16
	s_andn2_b64 s[20:21], s[20:21], exec
	s_and_b64 s[2:3], s[2:3], exec
	v_mov_b32_e32 v45, 0
	s_or_b64 s[20:21], s[20:21], s[2:3]
	s_or_b64 exec, exec, s[22:23]
	s_and_saveexec_b64 s[22:23], s[20:21]
	s_cbranch_execnz .LBB271_1257
	s_branch .LBB271_1258
.LBB271_1792:                           ;   in Loop: Header=BB271_1071 Depth=1
	v_cmp_eq_u16_sdwa s[34:35], v59, s26 src0_sel:BYTE_0 src1_sel:DWORD
	s_mov_b64 s[2:3], -1
                                        ; implicit-def: $sgpr24
	s_and_saveexec_b64 s[22:23], s[34:35]
; %bb.1793:                             ;   in Loop: Header=BB271_1071 Depth=1
	s_mov_b32 s24, 0x7fc02000
	s_xor_b64 s[2:3], exec, -1
; %bb.1794:                             ;   in Loop: Header=BB271_1071 Depth=1
	s_or_b64 exec, exec, s[22:23]
	s_and_b64 s[2:3], s[2:3], exec
	s_or_saveexec_b64 s[20:21], s[20:21]
	v_mov_b32_e32 v0, s24
	s_xor_b64 exec, exec, s[20:21]
	s_cbranch_execz .LBB271_1260
.LBB271_1795:                           ;   in Loop: Header=BB271_1071 Depth=1
	v_cmp_ne_u16_sdwa s[22:23], v59, v17 src0_sel:BYTE_0 src1_sel:DWORD
	s_andn2_b64 s[2:3], s[2:3], exec
	s_and_b64 s[22:23], s[22:23], exec
	v_mov_b32_e32 v0, 0
	s_or_b64 s[2:3], s[2:3], s[22:23]
	s_or_b64 exec, exec, s[20:21]
	v_mov_b32_e32 v16, v59
	s_and_saveexec_b64 s[20:21], s[2:3]
	s_cbranch_execnz .LBB271_1261
	s_branch .LBB271_1262
.LBB271_1796:                           ;   in Loop: Header=BB271_1071 Depth=1
	v_cmp_eq_u16_e64 s[2:3], s26, v16
	s_mov_b64 s[20:21], -1
                                        ; implicit-def: $sgpr34
	s_and_saveexec_b64 s[24:25], s[2:3]
; %bb.1797:                             ;   in Loop: Header=BB271_1071 Depth=1
	s_mov_b32 s34, 0x7fc02000
	s_xor_b64 s[20:21], exec, -1
; %bb.1798:                             ;   in Loop: Header=BB271_1071 Depth=1
	s_or_b64 exec, exec, s[24:25]
	s_and_b64 s[20:21], s[20:21], exec
	s_or_saveexec_b64 s[22:23], s[22:23]
	v_mov_b32_e32 v1, s34
	s_xor_b64 exec, exec, s[22:23]
	s_cbranch_execz .LBB271_1264
.LBB271_1799:                           ;   in Loop: Header=BB271_1071 Depth=1
	v_cmp_ne_u16_e64 s[2:3], 0, v16
	s_andn2_b64 s[20:21], s[20:21], exec
	s_and_b64 s[2:3], s[2:3], exec
	v_mov_b32_e32 v1, 0
	s_or_b64 s[20:21], s[20:21], s[2:3]
	s_or_b64 exec, exec, s[22:23]
	s_and_saveexec_b64 s[22:23], s[20:21]
	s_cbranch_execnz .LBB271_1265
	s_branch .LBB271_1266
.LBB271_1800:                           ;   in Loop: Header=BB271_1071 Depth=1
	v_cmp_eq_u16_sdwa s[34:35], v16, s26 src0_sel:BYTE_0 src1_sel:DWORD
	s_mov_b64 s[2:3], -1
                                        ; implicit-def: $sgpr24
	s_and_saveexec_b64 s[22:23], s[34:35]
; %bb.1801:                             ;   in Loop: Header=BB271_1071 Depth=1
	s_mov_b32 s24, 0x7fc02000
	s_xor_b64 s[2:3], exec, -1
; %bb.1802:                             ;   in Loop: Header=BB271_1071 Depth=1
	s_or_b64 exec, exec, s[22:23]
	s_and_b64 s[2:3], s[2:3], exec
	s_or_saveexec_b64 s[20:21], s[20:21]
	v_mov_b32_e32 v2, s24
	s_xor_b64 exec, exec, s[20:21]
	s_cbranch_execz .LBB271_1268
.LBB271_1803:                           ;   in Loop: Header=BB271_1071 Depth=1
	v_cmp_ne_u16_sdwa s[22:23], v16, v17 src0_sel:BYTE_0 src1_sel:DWORD
	s_andn2_b64 s[2:3], s[2:3], exec
	s_and_b64 s[22:23], s[22:23], exec
	v_mov_b32_e32 v2, 0
	s_or_b64 s[2:3], s[2:3], s[22:23]
	s_or_b64 exec, exec, s[20:21]
	s_and_saveexec_b64 s[20:21], s[2:3]
	s_cbranch_execnz .LBB271_1269
	s_branch .LBB271_1270
.LBB271_1804:                           ;   in Loop: Header=BB271_1071 Depth=1
	v_cmp_eq_u16_e64 s[2:3], s26, v16
	s_mov_b64 s[20:21], -1
                                        ; implicit-def: $sgpr34
	s_and_saveexec_b64 s[24:25], s[2:3]
; %bb.1805:                             ;   in Loop: Header=BB271_1071 Depth=1
	s_mov_b32 s34, 0x7fc02000
	s_xor_b64 s[20:21], exec, -1
; %bb.1806:                             ;   in Loop: Header=BB271_1071 Depth=1
	s_or_b64 exec, exec, s[24:25]
	s_and_b64 s[20:21], s[20:21], exec
	s_or_saveexec_b64 s[22:23], s[22:23]
	v_mov_b32_e32 v22, s34
	s_xor_b64 exec, exec, s[22:23]
	s_cbranch_execz .LBB271_1272
.LBB271_1807:                           ;   in Loop: Header=BB271_1071 Depth=1
	v_cmp_ne_u16_e64 s[2:3], 0, v16
	s_andn2_b64 s[20:21], s[20:21], exec
	s_and_b64 s[2:3], s[2:3], exec
	v_mov_b32_e32 v22, 0
	s_or_b64 s[20:21], s[20:21], s[2:3]
	s_or_b64 exec, exec, s[22:23]
	s_and_saveexec_b64 s[22:23], s[20:21]
	s_cbranch_execnz .LBB271_1273
	s_branch .LBB271_1274
.LBB271_1808:                           ;   in Loop: Header=BB271_1071 Depth=1
	v_cmp_eq_u16_sdwa s[34:35], v58, s26 src0_sel:BYTE_0 src1_sel:DWORD
	s_mov_b64 s[2:3], -1
                                        ; implicit-def: $sgpr24
	s_and_saveexec_b64 s[22:23], s[34:35]
; %bb.1809:                             ;   in Loop: Header=BB271_1071 Depth=1
	s_mov_b32 s24, 0x7fc02000
	s_xor_b64 s[2:3], exec, -1
; %bb.1810:                             ;   in Loop: Header=BB271_1071 Depth=1
	s_or_b64 exec, exec, s[22:23]
	s_and_b64 s[2:3], s[2:3], exec
	s_or_saveexec_b64 s[20:21], s[20:21]
	v_mov_b32_e32 v60, s24
	s_xor_b64 exec, exec, s[20:21]
	s_cbranch_execz .LBB271_1278
.LBB271_1811:                           ;   in Loop: Header=BB271_1071 Depth=1
	v_cmp_ne_u16_sdwa s[22:23], v58, v17 src0_sel:BYTE_0 src1_sel:DWORD
	s_andn2_b64 s[2:3], s[2:3], exec
	s_and_b64 s[22:23], s[22:23], exec
	v_mov_b32_e32 v60, 0
	s_or_b64 s[2:3], s[2:3], s[22:23]
	s_or_b64 exec, exec, s[20:21]
	s_and_saveexec_b64 s[20:21], s[2:3]
	s_cbranch_execnz .LBB271_1279
	s_branch .LBB271_1280
.LBB271_1812:                           ;   in Loop: Header=BB271_1071 Depth=1
	v_cmp_eq_u16_e64 s[2:3], s26, v16
	s_mov_b64 s[20:21], -1
                                        ; implicit-def: $sgpr34
	s_and_saveexec_b64 s[24:25], s[2:3]
; %bb.1813:                             ;   in Loop: Header=BB271_1071 Depth=1
	s_mov_b32 s34, 0x7fc02000
	s_xor_b64 s[20:21], exec, -1
; %bb.1814:                             ;   in Loop: Header=BB271_1071 Depth=1
	s_or_b64 exec, exec, s[24:25]
	s_and_b64 s[20:21], s[20:21], exec
	s_or_saveexec_b64 s[22:23], s[22:23]
	v_mov_b32_e32 v44, s34
	s_xor_b64 exec, exec, s[22:23]
	s_cbranch_execz .LBB271_1282
.LBB271_1815:                           ;   in Loop: Header=BB271_1071 Depth=1
	v_cmp_ne_u16_e64 s[2:3], 0, v16
	s_andn2_b64 s[20:21], s[20:21], exec
	s_and_b64 s[2:3], s[2:3], exec
	v_mov_b32_e32 v44, 0
	s_or_b64 s[20:21], s[20:21], s[2:3]
	s_or_b64 exec, exec, s[22:23]
	s_and_saveexec_b64 s[22:23], s[20:21]
	s_cbranch_execnz .LBB271_1283
	s_branch .LBB271_1284
.LBB271_1816:                           ;   in Loop: Header=BB271_1071 Depth=1
	v_cmp_eq_u16_sdwa s[34:35], v16, s26 src0_sel:BYTE_0 src1_sel:DWORD
	s_mov_b64 s[2:3], -1
                                        ; implicit-def: $sgpr24
	s_and_saveexec_b64 s[22:23], s[34:35]
; %bb.1817:                             ;   in Loop: Header=BB271_1071 Depth=1
	s_mov_b32 s24, 0x7fc02000
	s_xor_b64 s[2:3], exec, -1
; %bb.1818:                             ;   in Loop: Header=BB271_1071 Depth=1
	s_or_b64 exec, exec, s[22:23]
	s_and_b64 s[2:3], s[2:3], exec
	s_or_saveexec_b64 s[20:21], s[20:21]
	v_mov_b32_e32 v61, s24
	s_xor_b64 exec, exec, s[20:21]
	s_cbranch_execz .LBB271_1286
.LBB271_1819:                           ;   in Loop: Header=BB271_1071 Depth=1
	v_cmp_ne_u16_sdwa s[22:23], v16, v17 src0_sel:BYTE_0 src1_sel:DWORD
	s_andn2_b64 s[2:3], s[2:3], exec
	s_and_b64 s[22:23], s[22:23], exec
	v_mov_b32_e32 v61, 0
	s_or_b64 s[2:3], s[2:3], s[22:23]
	s_or_b64 exec, exec, s[20:21]
	s_and_saveexec_b64 s[20:21], s[2:3]
	s_cbranch_execnz .LBB271_1287
	s_branch .LBB271_1288
.LBB271_1820:                           ;   in Loop: Header=BB271_1071 Depth=1
	v_cmp_eq_u16_e64 s[2:3], s26, v16
	s_mov_b64 s[20:21], -1
                                        ; implicit-def: $sgpr34
	s_and_saveexec_b64 s[24:25], s[2:3]
; %bb.1821:                             ;   in Loop: Header=BB271_1071 Depth=1
	s_mov_b32 s34, 0x7fc02000
	s_xor_b64 s[20:21], exec, -1
; %bb.1822:                             ;   in Loop: Header=BB271_1071 Depth=1
	s_or_b64 exec, exec, s[24:25]
	s_and_b64 s[20:21], s[20:21], exec
	s_or_saveexec_b64 s[22:23], s[22:23]
	v_mov_b32_e32 v45, s34
	s_xor_b64 exec, exec, s[22:23]
	s_cbranch_execz .LBB271_1290
.LBB271_1823:                           ;   in Loop: Header=BB271_1071 Depth=1
	v_cmp_ne_u16_e64 s[2:3], 0, v16
	s_andn2_b64 s[20:21], s[20:21], exec
	s_and_b64 s[2:3], s[2:3], exec
	v_mov_b32_e32 v45, 0
	s_or_b64 s[20:21], s[20:21], s[2:3]
	s_or_b64 exec, exec, s[22:23]
	s_and_saveexec_b64 s[22:23], s[20:21]
	s_cbranch_execnz .LBB271_1291
	s_branch .LBB271_1292
.LBB271_1824:                           ;   in Loop: Header=BB271_1071 Depth=1
	v_cmp_eq_u16_sdwa s[34:35], v59, s26 src0_sel:BYTE_0 src1_sel:DWORD
	s_mov_b64 s[2:3], -1
                                        ; implicit-def: $sgpr24
	s_and_saveexec_b64 s[22:23], s[34:35]
; %bb.1825:                             ;   in Loop: Header=BB271_1071 Depth=1
	s_mov_b32 s24, 0x7fc02000
	s_xor_b64 s[2:3], exec, -1
; %bb.1826:                             ;   in Loop: Header=BB271_1071 Depth=1
	s_or_b64 exec, exec, s[22:23]
	s_and_b64 s[2:3], s[2:3], exec
	s_or_saveexec_b64 s[20:21], s[20:21]
	v_mov_b32_e32 v0, s24
	s_xor_b64 exec, exec, s[20:21]
	s_cbranch_execz .LBB271_1294
.LBB271_1827:                           ;   in Loop: Header=BB271_1071 Depth=1
	v_cmp_ne_u16_sdwa s[22:23], v59, v17 src0_sel:BYTE_0 src1_sel:DWORD
	s_andn2_b64 s[2:3], s[2:3], exec
	s_and_b64 s[22:23], s[22:23], exec
	v_mov_b32_e32 v0, 0
	s_or_b64 s[2:3], s[2:3], s[22:23]
	s_or_b64 exec, exec, s[20:21]
	v_mov_b32_e32 v16, v59
	s_and_saveexec_b64 s[20:21], s[2:3]
	s_cbranch_execnz .LBB271_1295
	s_branch .LBB271_1296
.LBB271_1828:                           ;   in Loop: Header=BB271_1071 Depth=1
	v_cmp_eq_u16_e64 s[2:3], s26, v16
	s_mov_b64 s[20:21], -1
                                        ; implicit-def: $sgpr34
	s_and_saveexec_b64 s[24:25], s[2:3]
; %bb.1829:                             ;   in Loop: Header=BB271_1071 Depth=1
	s_mov_b32 s34, 0x7fc02000
	s_xor_b64 s[20:21], exec, -1
; %bb.1830:                             ;   in Loop: Header=BB271_1071 Depth=1
	s_or_b64 exec, exec, s[24:25]
	s_and_b64 s[20:21], s[20:21], exec
	s_or_saveexec_b64 s[22:23], s[22:23]
	v_mov_b32_e32 v1, s34
	s_xor_b64 exec, exec, s[22:23]
	s_cbranch_execz .LBB271_1298
.LBB271_1831:                           ;   in Loop: Header=BB271_1071 Depth=1
	v_cmp_ne_u16_e64 s[2:3], 0, v16
	s_andn2_b64 s[20:21], s[20:21], exec
	s_and_b64 s[2:3], s[2:3], exec
	v_mov_b32_e32 v1, 0
	s_or_b64 s[20:21], s[20:21], s[2:3]
	s_or_b64 exec, exec, s[22:23]
	s_and_saveexec_b64 s[22:23], s[20:21]
	s_cbranch_execnz .LBB271_1299
	s_branch .LBB271_1300
.LBB271_1832:                           ;   in Loop: Header=BB271_1071 Depth=1
	v_cmp_eq_u16_sdwa s[34:35], v16, s26 src0_sel:BYTE_0 src1_sel:DWORD
	s_mov_b64 s[2:3], -1
                                        ; implicit-def: $sgpr24
	s_and_saveexec_b64 s[22:23], s[34:35]
; %bb.1833:                             ;   in Loop: Header=BB271_1071 Depth=1
	s_mov_b32 s24, 0x7fc02000
	s_xor_b64 s[2:3], exec, -1
; %bb.1834:                             ;   in Loop: Header=BB271_1071 Depth=1
	s_or_b64 exec, exec, s[22:23]
	s_and_b64 s[2:3], s[2:3], exec
	s_or_saveexec_b64 s[20:21], s[20:21]
	v_mov_b32_e32 v2, s24
	s_xor_b64 exec, exec, s[20:21]
	s_cbranch_execz .LBB271_1302
.LBB271_1835:                           ;   in Loop: Header=BB271_1071 Depth=1
	v_cmp_ne_u16_sdwa s[22:23], v16, v17 src0_sel:BYTE_0 src1_sel:DWORD
	s_andn2_b64 s[2:3], s[2:3], exec
	s_and_b64 s[22:23], s[22:23], exec
	v_mov_b32_e32 v2, 0
	s_or_b64 s[2:3], s[2:3], s[22:23]
	s_or_b64 exec, exec, s[20:21]
	s_and_saveexec_b64 s[20:21], s[2:3]
	s_cbranch_execnz .LBB271_1303
	s_branch .LBB271_1304
.LBB271_1836:                           ;   in Loop: Header=BB271_1071 Depth=1
	v_cmp_eq_u16_e64 s[2:3], s26, v16
	s_mov_b64 s[20:21], -1
                                        ; implicit-def: $sgpr34
	s_and_saveexec_b64 s[24:25], s[2:3]
; %bb.1837:                             ;   in Loop: Header=BB271_1071 Depth=1
	s_mov_b32 s34, 0x7fc02000
	s_xor_b64 s[20:21], exec, -1
; %bb.1838:                             ;   in Loop: Header=BB271_1071 Depth=1
	s_or_b64 exec, exec, s[24:25]
	s_and_b64 s[20:21], s[20:21], exec
	s_or_saveexec_b64 s[22:23], s[22:23]
	v_mov_b32_e32 v22, s34
	s_xor_b64 exec, exec, s[22:23]
	s_cbranch_execz .LBB271_1306
.LBB271_1839:                           ;   in Loop: Header=BB271_1071 Depth=1
	v_cmp_ne_u16_e64 s[2:3], 0, v16
	s_andn2_b64 s[20:21], s[20:21], exec
	s_and_b64 s[2:3], s[2:3], exec
	v_mov_b32_e32 v22, 0
	s_or_b64 s[20:21], s[20:21], s[2:3]
	s_or_b64 exec, exec, s[22:23]
	s_and_saveexec_b64 s[22:23], s[20:21]
	s_cbranch_execnz .LBB271_1307
	s_branch .LBB271_1308
.LBB271_1840:                           ;   in Loop: Header=BB271_1071 Depth=1
	v_cmp_eq_u16_sdwa s[34:35], v56, s26 src0_sel:BYTE_0 src1_sel:DWORD
	s_mov_b64 s[2:3], -1
                                        ; implicit-def: $sgpr24
	s_and_saveexec_b64 s[22:23], s[34:35]
; %bb.1841:                             ;   in Loop: Header=BB271_1071 Depth=1
	s_mov_b32 s24, 0x7fc02000
	s_xor_b64 s[2:3], exec, -1
; %bb.1842:                             ;   in Loop: Header=BB271_1071 Depth=1
	s_or_b64 exec, exec, s[22:23]
	s_and_b64 s[2:3], s[2:3], exec
	s_or_saveexec_b64 s[20:21], s[20:21]
	v_mov_b32_e32 v58, s24
	s_xor_b64 exec, exec, s[20:21]
	s_cbranch_execz .LBB271_1312
.LBB271_1843:                           ;   in Loop: Header=BB271_1071 Depth=1
	v_cmp_ne_u16_sdwa s[22:23], v56, v17 src0_sel:BYTE_0 src1_sel:DWORD
	s_andn2_b64 s[2:3], s[2:3], exec
	s_and_b64 s[22:23], s[22:23], exec
	v_mov_b32_e32 v58, 0
	s_or_b64 s[2:3], s[2:3], s[22:23]
	s_or_b64 exec, exec, s[20:21]
	s_and_saveexec_b64 s[20:21], s[2:3]
	s_cbranch_execnz .LBB271_1313
	s_branch .LBB271_1314
.LBB271_1844:                           ;   in Loop: Header=BB271_1071 Depth=1
	v_cmp_eq_u16_e64 s[2:3], s26, v16
	s_mov_b64 s[20:21], -1
                                        ; implicit-def: $sgpr34
	s_and_saveexec_b64 s[24:25], s[2:3]
; %bb.1845:                             ;   in Loop: Header=BB271_1071 Depth=1
	s_mov_b32 s34, 0x7fc02000
	s_xor_b64 s[20:21], exec, -1
; %bb.1846:                             ;   in Loop: Header=BB271_1071 Depth=1
	s_or_b64 exec, exec, s[24:25]
	s_and_b64 s[20:21], s[20:21], exec
	s_or_saveexec_b64 s[22:23], s[22:23]
	v_mov_b32_e32 v44, s34
	s_xor_b64 exec, exec, s[22:23]
	s_cbranch_execz .LBB271_1316
.LBB271_1847:                           ;   in Loop: Header=BB271_1071 Depth=1
	v_cmp_ne_u16_e64 s[2:3], 0, v16
	s_andn2_b64 s[20:21], s[20:21], exec
	s_and_b64 s[2:3], s[2:3], exec
	v_mov_b32_e32 v44, 0
	s_or_b64 s[20:21], s[20:21], s[2:3]
	s_or_b64 exec, exec, s[22:23]
	s_and_saveexec_b64 s[22:23], s[20:21]
	s_cbranch_execnz .LBB271_1317
	s_branch .LBB271_1318
.LBB271_1848:                           ;   in Loop: Header=BB271_1071 Depth=1
	v_cmp_eq_u16_sdwa s[34:35], v16, s26 src0_sel:BYTE_0 src1_sel:DWORD
	s_mov_b64 s[2:3], -1
                                        ; implicit-def: $sgpr24
	s_and_saveexec_b64 s[22:23], s[34:35]
; %bb.1849:                             ;   in Loop: Header=BB271_1071 Depth=1
	s_mov_b32 s24, 0x7fc02000
	s_xor_b64 s[2:3], exec, -1
; %bb.1850:                             ;   in Loop: Header=BB271_1071 Depth=1
	s_or_b64 exec, exec, s[22:23]
	s_and_b64 s[2:3], s[2:3], exec
	s_or_saveexec_b64 s[20:21], s[20:21]
	v_mov_b32_e32 v59, s24
	s_xor_b64 exec, exec, s[20:21]
	s_cbranch_execz .LBB271_1320
.LBB271_1851:                           ;   in Loop: Header=BB271_1071 Depth=1
	v_cmp_ne_u16_sdwa s[22:23], v16, v17 src0_sel:BYTE_0 src1_sel:DWORD
	s_andn2_b64 s[2:3], s[2:3], exec
	s_and_b64 s[22:23], s[22:23], exec
	v_mov_b32_e32 v59, 0
	s_or_b64 s[2:3], s[2:3], s[22:23]
	s_or_b64 exec, exec, s[20:21]
	s_and_saveexec_b64 s[20:21], s[2:3]
	s_cbranch_execnz .LBB271_1321
	s_branch .LBB271_1322
.LBB271_1852:                           ;   in Loop: Header=BB271_1071 Depth=1
	v_cmp_eq_u16_e64 s[2:3], s26, v16
	s_mov_b64 s[20:21], -1
                                        ; implicit-def: $sgpr34
	s_and_saveexec_b64 s[24:25], s[2:3]
; %bb.1853:                             ;   in Loop: Header=BB271_1071 Depth=1
	s_mov_b32 s34, 0x7fc02000
	s_xor_b64 s[20:21], exec, -1
; %bb.1854:                             ;   in Loop: Header=BB271_1071 Depth=1
	s_or_b64 exec, exec, s[24:25]
	s_and_b64 s[20:21], s[20:21], exec
	s_or_saveexec_b64 s[22:23], s[22:23]
	v_mov_b32_e32 v45, s34
	s_xor_b64 exec, exec, s[22:23]
	s_cbranch_execz .LBB271_1324
.LBB271_1855:                           ;   in Loop: Header=BB271_1071 Depth=1
	v_cmp_ne_u16_e64 s[2:3], 0, v16
	s_andn2_b64 s[20:21], s[20:21], exec
	s_and_b64 s[2:3], s[2:3], exec
	v_mov_b32_e32 v45, 0
	s_or_b64 s[20:21], s[20:21], s[2:3]
	s_or_b64 exec, exec, s[22:23]
	s_and_saveexec_b64 s[22:23], s[20:21]
	s_cbranch_execnz .LBB271_1325
	s_branch .LBB271_1326
.LBB271_1856:                           ;   in Loop: Header=BB271_1071 Depth=1
	v_cmp_eq_u16_sdwa s[34:35], v57, s26 src0_sel:BYTE_0 src1_sel:DWORD
	s_mov_b64 s[2:3], -1
                                        ; implicit-def: $sgpr24
	s_and_saveexec_b64 s[22:23], s[34:35]
; %bb.1857:                             ;   in Loop: Header=BB271_1071 Depth=1
	s_mov_b32 s24, 0x7fc02000
	s_xor_b64 s[2:3], exec, -1
; %bb.1858:                             ;   in Loop: Header=BB271_1071 Depth=1
	s_or_b64 exec, exec, s[22:23]
	s_and_b64 s[2:3], s[2:3], exec
	s_or_saveexec_b64 s[20:21], s[20:21]
	v_mov_b32_e32 v0, s24
	s_xor_b64 exec, exec, s[20:21]
	s_cbranch_execz .LBB271_1328
.LBB271_1859:                           ;   in Loop: Header=BB271_1071 Depth=1
	v_cmp_ne_u16_sdwa s[22:23], v57, v17 src0_sel:BYTE_0 src1_sel:DWORD
	s_andn2_b64 s[2:3], s[2:3], exec
	s_and_b64 s[22:23], s[22:23], exec
	v_mov_b32_e32 v0, 0
	s_or_b64 s[2:3], s[2:3], s[22:23]
	s_or_b64 exec, exec, s[20:21]
	v_mov_b32_e32 v16, v57
	s_and_saveexec_b64 s[20:21], s[2:3]
	s_cbranch_execnz .LBB271_1329
	s_branch .LBB271_1330
.LBB271_1860:                           ;   in Loop: Header=BB271_1071 Depth=1
	v_cmp_eq_u16_e64 s[2:3], s26, v16
	s_mov_b64 s[20:21], -1
                                        ; implicit-def: $sgpr34
	s_and_saveexec_b64 s[24:25], s[2:3]
; %bb.1861:                             ;   in Loop: Header=BB271_1071 Depth=1
	s_mov_b32 s34, 0x7fc02000
	s_xor_b64 s[20:21], exec, -1
; %bb.1862:                             ;   in Loop: Header=BB271_1071 Depth=1
	s_or_b64 exec, exec, s[24:25]
	s_and_b64 s[20:21], s[20:21], exec
	s_or_saveexec_b64 s[22:23], s[22:23]
	v_mov_b32_e32 v1, s34
	s_xor_b64 exec, exec, s[22:23]
	s_cbranch_execz .LBB271_1332
.LBB271_1863:                           ;   in Loop: Header=BB271_1071 Depth=1
	v_cmp_ne_u16_e64 s[2:3], 0, v16
	s_andn2_b64 s[20:21], s[20:21], exec
	s_and_b64 s[2:3], s[2:3], exec
	v_mov_b32_e32 v1, 0
	s_or_b64 s[20:21], s[20:21], s[2:3]
	s_or_b64 exec, exec, s[22:23]
	s_and_saveexec_b64 s[22:23], s[20:21]
	s_cbranch_execnz .LBB271_1333
	s_branch .LBB271_1334
.LBB271_1864:                           ;   in Loop: Header=BB271_1071 Depth=1
	v_cmp_eq_u16_sdwa s[34:35], v16, s26 src0_sel:BYTE_0 src1_sel:DWORD
	s_mov_b64 s[2:3], -1
                                        ; implicit-def: $sgpr24
	s_and_saveexec_b64 s[22:23], s[34:35]
; %bb.1865:                             ;   in Loop: Header=BB271_1071 Depth=1
	s_mov_b32 s24, 0x7fc02000
	s_xor_b64 s[2:3], exec, -1
; %bb.1866:                             ;   in Loop: Header=BB271_1071 Depth=1
	s_or_b64 exec, exec, s[22:23]
	s_and_b64 s[2:3], s[2:3], exec
	s_or_saveexec_b64 s[20:21], s[20:21]
	v_mov_b32_e32 v2, s24
	s_xor_b64 exec, exec, s[20:21]
	s_cbranch_execz .LBB271_1336
.LBB271_1867:                           ;   in Loop: Header=BB271_1071 Depth=1
	v_cmp_ne_u16_sdwa s[22:23], v16, v17 src0_sel:BYTE_0 src1_sel:DWORD
	s_andn2_b64 s[2:3], s[2:3], exec
	s_and_b64 s[22:23], s[22:23], exec
	v_mov_b32_e32 v2, 0
	s_or_b64 s[2:3], s[2:3], s[22:23]
	s_or_b64 exec, exec, s[20:21]
	s_and_saveexec_b64 s[20:21], s[2:3]
	s_cbranch_execnz .LBB271_1337
	s_branch .LBB271_1338
.LBB271_1868:                           ;   in Loop: Header=BB271_1071 Depth=1
	v_cmp_eq_u16_e64 s[2:3], s26, v16
	s_mov_b64 s[20:21], -1
                                        ; implicit-def: $sgpr34
	s_and_saveexec_b64 s[24:25], s[2:3]
; %bb.1869:                             ;   in Loop: Header=BB271_1071 Depth=1
	s_mov_b32 s34, 0x7fc02000
	s_xor_b64 s[20:21], exec, -1
; %bb.1870:                             ;   in Loop: Header=BB271_1071 Depth=1
	s_or_b64 exec, exec, s[24:25]
	s_and_b64 s[20:21], s[20:21], exec
	s_or_saveexec_b64 s[22:23], s[22:23]
	v_mov_b32_e32 v22, s34
	s_xor_b64 exec, exec, s[22:23]
	s_cbranch_execz .LBB271_1340
.LBB271_1871:                           ;   in Loop: Header=BB271_1071 Depth=1
	v_cmp_ne_u16_e64 s[2:3], 0, v16
	s_andn2_b64 s[20:21], s[20:21], exec
	s_and_b64 s[2:3], s[2:3], exec
	v_mov_b32_e32 v22, 0
	s_or_b64 s[20:21], s[20:21], s[2:3]
	s_or_b64 exec, exec, s[22:23]
	s_and_saveexec_b64 s[22:23], s[20:21]
	s_cbranch_execnz .LBB271_1341
	s_branch .LBB271_1342
.LBB271_1872:                           ;   in Loop: Header=BB271_1071 Depth=1
	v_cmp_eq_u16_sdwa s[34:35], v56, s26 src0_sel:BYTE_0 src1_sel:DWORD
	s_mov_b64 s[2:3], -1
                                        ; implicit-def: $sgpr24
	s_and_saveexec_b64 s[22:23], s[34:35]
; %bb.1873:                             ;   in Loop: Header=BB271_1071 Depth=1
	s_mov_b32 s24, 0x7fc02000
	s_xor_b64 s[2:3], exec, -1
; %bb.1874:                             ;   in Loop: Header=BB271_1071 Depth=1
	s_or_b64 exec, exec, s[22:23]
	s_and_b64 s[2:3], s[2:3], exec
	s_or_saveexec_b64 s[20:21], s[20:21]
	v_mov_b32_e32 v58, s24
	s_xor_b64 exec, exec, s[20:21]
	s_cbranch_execz .LBB271_1346
.LBB271_1875:                           ;   in Loop: Header=BB271_1071 Depth=1
	v_cmp_ne_u16_sdwa s[22:23], v56, v17 src0_sel:BYTE_0 src1_sel:DWORD
	s_andn2_b64 s[2:3], s[2:3], exec
	s_and_b64 s[22:23], s[22:23], exec
	v_mov_b32_e32 v58, 0
	s_or_b64 s[2:3], s[2:3], s[22:23]
	s_or_b64 exec, exec, s[20:21]
	s_and_saveexec_b64 s[20:21], s[2:3]
	s_cbranch_execnz .LBB271_1347
	s_branch .LBB271_1348
.LBB271_1876:                           ;   in Loop: Header=BB271_1071 Depth=1
	v_cmp_eq_u16_e64 s[2:3], s26, v16
	s_mov_b64 s[20:21], -1
                                        ; implicit-def: $sgpr34
	s_and_saveexec_b64 s[24:25], s[2:3]
; %bb.1877:                             ;   in Loop: Header=BB271_1071 Depth=1
	s_mov_b32 s34, 0x7fc02000
	s_xor_b64 s[20:21], exec, -1
; %bb.1878:                             ;   in Loop: Header=BB271_1071 Depth=1
	s_or_b64 exec, exec, s[24:25]
	s_and_b64 s[20:21], s[20:21], exec
	s_or_saveexec_b64 s[22:23], s[22:23]
	v_mov_b32_e32 v44, s34
	s_xor_b64 exec, exec, s[22:23]
	s_cbranch_execz .LBB271_1350
.LBB271_1879:                           ;   in Loop: Header=BB271_1071 Depth=1
	v_cmp_ne_u16_e64 s[2:3], 0, v16
	s_andn2_b64 s[20:21], s[20:21], exec
	s_and_b64 s[2:3], s[2:3], exec
	v_mov_b32_e32 v44, 0
	s_or_b64 s[20:21], s[20:21], s[2:3]
	s_or_b64 exec, exec, s[22:23]
	s_and_saveexec_b64 s[22:23], s[20:21]
	s_cbranch_execnz .LBB271_1351
	s_branch .LBB271_1352
.LBB271_1880:                           ;   in Loop: Header=BB271_1071 Depth=1
	v_cmp_eq_u16_sdwa s[34:35], v16, s26 src0_sel:BYTE_0 src1_sel:DWORD
	s_mov_b64 s[2:3], -1
                                        ; implicit-def: $sgpr24
	s_and_saveexec_b64 s[22:23], s[34:35]
; %bb.1881:                             ;   in Loop: Header=BB271_1071 Depth=1
	s_mov_b32 s24, 0x7fc02000
	s_xor_b64 s[2:3], exec, -1
; %bb.1882:                             ;   in Loop: Header=BB271_1071 Depth=1
	s_or_b64 exec, exec, s[22:23]
	s_and_b64 s[2:3], s[2:3], exec
	s_or_saveexec_b64 s[20:21], s[20:21]
	v_mov_b32_e32 v59, s24
	s_xor_b64 exec, exec, s[20:21]
	s_cbranch_execz .LBB271_1354
.LBB271_1883:                           ;   in Loop: Header=BB271_1071 Depth=1
	v_cmp_ne_u16_sdwa s[22:23], v16, v17 src0_sel:BYTE_0 src1_sel:DWORD
	s_andn2_b64 s[2:3], s[2:3], exec
	s_and_b64 s[22:23], s[22:23], exec
	v_mov_b32_e32 v59, 0
	s_or_b64 s[2:3], s[2:3], s[22:23]
	s_or_b64 exec, exec, s[20:21]
	s_and_saveexec_b64 s[20:21], s[2:3]
	s_cbranch_execnz .LBB271_1355
	s_branch .LBB271_1356
.LBB271_1884:                           ;   in Loop: Header=BB271_1071 Depth=1
	v_cmp_eq_u16_e64 s[2:3], s26, v16
	s_mov_b64 s[20:21], -1
                                        ; implicit-def: $sgpr34
	s_and_saveexec_b64 s[24:25], s[2:3]
; %bb.1885:                             ;   in Loop: Header=BB271_1071 Depth=1
	s_mov_b32 s34, 0x7fc02000
	s_xor_b64 s[20:21], exec, -1
; %bb.1886:                             ;   in Loop: Header=BB271_1071 Depth=1
	s_or_b64 exec, exec, s[24:25]
	s_and_b64 s[20:21], s[20:21], exec
	s_or_saveexec_b64 s[22:23], s[22:23]
	v_mov_b32_e32 v45, s34
	s_xor_b64 exec, exec, s[22:23]
	s_cbranch_execz .LBB271_1358
.LBB271_1887:                           ;   in Loop: Header=BB271_1071 Depth=1
	v_cmp_ne_u16_e64 s[2:3], 0, v16
	s_andn2_b64 s[20:21], s[20:21], exec
	s_and_b64 s[2:3], s[2:3], exec
	v_mov_b32_e32 v45, 0
	s_or_b64 s[20:21], s[20:21], s[2:3]
	s_or_b64 exec, exec, s[22:23]
	s_and_saveexec_b64 s[22:23], s[20:21]
	s_cbranch_execnz .LBB271_1359
	s_branch .LBB271_1360
.LBB271_1888:                           ;   in Loop: Header=BB271_1071 Depth=1
	v_cmp_eq_u16_sdwa s[34:35], v57, s26 src0_sel:BYTE_0 src1_sel:DWORD
	s_mov_b64 s[2:3], -1
                                        ; implicit-def: $sgpr24
	s_and_saveexec_b64 s[22:23], s[34:35]
; %bb.1889:                             ;   in Loop: Header=BB271_1071 Depth=1
	s_mov_b32 s24, 0x7fc02000
	s_xor_b64 s[2:3], exec, -1
; %bb.1890:                             ;   in Loop: Header=BB271_1071 Depth=1
	s_or_b64 exec, exec, s[22:23]
	s_and_b64 s[2:3], s[2:3], exec
	s_or_saveexec_b64 s[20:21], s[20:21]
	v_mov_b32_e32 v0, s24
	s_xor_b64 exec, exec, s[20:21]
	s_cbranch_execz .LBB271_1362
.LBB271_1891:                           ;   in Loop: Header=BB271_1071 Depth=1
	v_cmp_ne_u16_sdwa s[22:23], v57, v17 src0_sel:BYTE_0 src1_sel:DWORD
	s_andn2_b64 s[2:3], s[2:3], exec
	s_and_b64 s[22:23], s[22:23], exec
	v_mov_b32_e32 v0, 0
	s_or_b64 s[2:3], s[2:3], s[22:23]
	s_or_b64 exec, exec, s[20:21]
	v_mov_b32_e32 v16, v57
	s_and_saveexec_b64 s[20:21], s[2:3]
	s_cbranch_execnz .LBB271_1363
	s_branch .LBB271_1364
.LBB271_1892:                           ;   in Loop: Header=BB271_1071 Depth=1
	v_cmp_eq_u16_e64 s[2:3], s26, v16
	s_mov_b64 s[20:21], -1
                                        ; implicit-def: $sgpr34
	s_and_saveexec_b64 s[24:25], s[2:3]
; %bb.1893:                             ;   in Loop: Header=BB271_1071 Depth=1
	s_mov_b32 s34, 0x7fc02000
	s_xor_b64 s[20:21], exec, -1
; %bb.1894:                             ;   in Loop: Header=BB271_1071 Depth=1
	s_or_b64 exec, exec, s[24:25]
	s_and_b64 s[20:21], s[20:21], exec
	s_or_saveexec_b64 s[22:23], s[22:23]
	v_mov_b32_e32 v1, s34
	s_xor_b64 exec, exec, s[22:23]
	s_cbranch_execz .LBB271_1366
.LBB271_1895:                           ;   in Loop: Header=BB271_1071 Depth=1
	v_cmp_ne_u16_e64 s[2:3], 0, v16
	s_andn2_b64 s[20:21], s[20:21], exec
	s_and_b64 s[2:3], s[2:3], exec
	v_mov_b32_e32 v1, 0
	s_or_b64 s[20:21], s[20:21], s[2:3]
	s_or_b64 exec, exec, s[22:23]
	s_and_saveexec_b64 s[22:23], s[20:21]
	s_cbranch_execnz .LBB271_1367
	s_branch .LBB271_1368
.LBB271_1896:                           ;   in Loop: Header=BB271_1071 Depth=1
	v_cmp_eq_u16_sdwa s[34:35], v16, s26 src0_sel:BYTE_0 src1_sel:DWORD
	s_mov_b64 s[2:3], -1
                                        ; implicit-def: $sgpr24
	s_and_saveexec_b64 s[22:23], s[34:35]
; %bb.1897:                             ;   in Loop: Header=BB271_1071 Depth=1
	s_mov_b32 s24, 0x7fc02000
	s_xor_b64 s[2:3], exec, -1
; %bb.1898:                             ;   in Loop: Header=BB271_1071 Depth=1
	s_or_b64 exec, exec, s[22:23]
	s_and_b64 s[2:3], s[2:3], exec
	s_or_saveexec_b64 s[20:21], s[20:21]
	v_mov_b32_e32 v2, s24
	s_xor_b64 exec, exec, s[20:21]
	s_cbranch_execz .LBB271_1370
.LBB271_1899:                           ;   in Loop: Header=BB271_1071 Depth=1
	v_cmp_ne_u16_sdwa s[22:23], v16, v17 src0_sel:BYTE_0 src1_sel:DWORD
	s_andn2_b64 s[2:3], s[2:3], exec
	s_and_b64 s[22:23], s[22:23], exec
	v_mov_b32_e32 v2, 0
	s_or_b64 s[2:3], s[2:3], s[22:23]
	s_or_b64 exec, exec, s[20:21]
	s_and_saveexec_b64 s[20:21], s[2:3]
	s_cbranch_execnz .LBB271_1371
	s_branch .LBB271_1372
.LBB271_1900:                           ;   in Loop: Header=BB271_1071 Depth=1
	v_cmp_eq_u16_e64 s[2:3], s26, v16
	s_mov_b64 s[20:21], -1
                                        ; implicit-def: $sgpr34
	s_and_saveexec_b64 s[24:25], s[2:3]
; %bb.1901:                             ;   in Loop: Header=BB271_1071 Depth=1
	s_mov_b32 s34, 0x7fc02000
	s_xor_b64 s[20:21], exec, -1
; %bb.1902:                             ;   in Loop: Header=BB271_1071 Depth=1
	s_or_b64 exec, exec, s[24:25]
	s_and_b64 s[20:21], s[20:21], exec
	s_or_saveexec_b64 s[22:23], s[22:23]
	v_mov_b32_e32 v22, s34
	s_xor_b64 exec, exec, s[22:23]
	s_cbranch_execz .LBB271_1374
.LBB271_1903:                           ;   in Loop: Header=BB271_1071 Depth=1
	v_cmp_ne_u16_e64 s[2:3], 0, v16
	s_andn2_b64 s[20:21], s[20:21], exec
	s_and_b64 s[2:3], s[2:3], exec
	v_mov_b32_e32 v22, 0
	s_or_b64 s[20:21], s[20:21], s[2:3]
	s_or_b64 exec, exec, s[22:23]
	s_and_saveexec_b64 s[22:23], s[20:21]
	s_cbranch_execnz .LBB271_1375
	s_branch .LBB271_1376
.LBB271_1904:                           ;   in Loop: Header=BB271_1071 Depth=1
	v_cmp_eq_u16_sdwa s[34:35], v56, s26 src0_sel:BYTE_0 src1_sel:DWORD
	s_mov_b64 s[2:3], -1
                                        ; implicit-def: $sgpr24
	s_and_saveexec_b64 s[22:23], s[34:35]
; %bb.1905:                             ;   in Loop: Header=BB271_1071 Depth=1
	s_mov_b32 s24, 0x7fc02000
	s_xor_b64 s[2:3], exec, -1
; %bb.1906:                             ;   in Loop: Header=BB271_1071 Depth=1
	s_or_b64 exec, exec, s[22:23]
	s_and_b64 s[2:3], s[2:3], exec
	s_or_saveexec_b64 s[20:21], s[20:21]
	v_mov_b32_e32 v58, s24
	s_xor_b64 exec, exec, s[20:21]
	s_cbranch_execz .LBB271_1380
.LBB271_1907:                           ;   in Loop: Header=BB271_1071 Depth=1
	v_cmp_ne_u16_sdwa s[22:23], v56, v17 src0_sel:BYTE_0 src1_sel:DWORD
	s_andn2_b64 s[2:3], s[2:3], exec
	s_and_b64 s[22:23], s[22:23], exec
	v_mov_b32_e32 v58, 0
	s_or_b64 s[2:3], s[2:3], s[22:23]
	s_or_b64 exec, exec, s[20:21]
	s_and_saveexec_b64 s[20:21], s[2:3]
	s_cbranch_execnz .LBB271_1381
	s_branch .LBB271_1382
.LBB271_1908:                           ;   in Loop: Header=BB271_1071 Depth=1
	v_cmp_eq_u16_e64 s[2:3], s26, v16
	s_mov_b64 s[20:21], -1
                                        ; implicit-def: $sgpr34
	s_and_saveexec_b64 s[24:25], s[2:3]
; %bb.1909:                             ;   in Loop: Header=BB271_1071 Depth=1
	s_mov_b32 s34, 0x7fc02000
	s_xor_b64 s[20:21], exec, -1
; %bb.1910:                             ;   in Loop: Header=BB271_1071 Depth=1
	s_or_b64 exec, exec, s[24:25]
	s_and_b64 s[20:21], s[20:21], exec
	s_or_saveexec_b64 s[22:23], s[22:23]
	v_mov_b32_e32 v44, s34
	s_xor_b64 exec, exec, s[22:23]
	s_cbranch_execz .LBB271_1384
.LBB271_1911:                           ;   in Loop: Header=BB271_1071 Depth=1
	v_cmp_ne_u16_e64 s[2:3], 0, v16
	s_andn2_b64 s[20:21], s[20:21], exec
	s_and_b64 s[2:3], s[2:3], exec
	v_mov_b32_e32 v44, 0
	s_or_b64 s[20:21], s[20:21], s[2:3]
	s_or_b64 exec, exec, s[22:23]
	s_and_saveexec_b64 s[22:23], s[20:21]
	s_cbranch_execnz .LBB271_1385
	s_branch .LBB271_1386
.LBB271_1912:                           ;   in Loop: Header=BB271_1071 Depth=1
	v_cmp_eq_u16_sdwa s[34:35], v16, s26 src0_sel:BYTE_0 src1_sel:DWORD
	s_mov_b64 s[2:3], -1
                                        ; implicit-def: $sgpr24
	s_and_saveexec_b64 s[22:23], s[34:35]
; %bb.1913:                             ;   in Loop: Header=BB271_1071 Depth=1
	s_mov_b32 s24, 0x7fc02000
	s_xor_b64 s[2:3], exec, -1
; %bb.1914:                             ;   in Loop: Header=BB271_1071 Depth=1
	s_or_b64 exec, exec, s[22:23]
	s_and_b64 s[2:3], s[2:3], exec
	s_or_saveexec_b64 s[20:21], s[20:21]
	v_mov_b32_e32 v59, s24
	s_xor_b64 exec, exec, s[20:21]
	s_cbranch_execz .LBB271_1388
.LBB271_1915:                           ;   in Loop: Header=BB271_1071 Depth=1
	v_cmp_ne_u16_sdwa s[22:23], v16, v17 src0_sel:BYTE_0 src1_sel:DWORD
	s_andn2_b64 s[2:3], s[2:3], exec
	s_and_b64 s[22:23], s[22:23], exec
	v_mov_b32_e32 v59, 0
	s_or_b64 s[2:3], s[2:3], s[22:23]
	s_or_b64 exec, exec, s[20:21]
	s_and_saveexec_b64 s[20:21], s[2:3]
	s_cbranch_execnz .LBB271_1389
	s_branch .LBB271_1390
.LBB271_1916:                           ;   in Loop: Header=BB271_1071 Depth=1
	v_cmp_eq_u16_e64 s[2:3], s26, v16
	s_mov_b64 s[20:21], -1
                                        ; implicit-def: $sgpr34
	s_and_saveexec_b64 s[24:25], s[2:3]
; %bb.1917:                             ;   in Loop: Header=BB271_1071 Depth=1
	s_mov_b32 s34, 0x7fc02000
	s_xor_b64 s[20:21], exec, -1
; %bb.1918:                             ;   in Loop: Header=BB271_1071 Depth=1
	s_or_b64 exec, exec, s[24:25]
	s_and_b64 s[20:21], s[20:21], exec
	s_or_saveexec_b64 s[22:23], s[22:23]
	v_mov_b32_e32 v45, s34
	s_xor_b64 exec, exec, s[22:23]
	s_cbranch_execz .LBB271_1392
.LBB271_1919:                           ;   in Loop: Header=BB271_1071 Depth=1
	v_cmp_ne_u16_e64 s[2:3], 0, v16
	s_andn2_b64 s[20:21], s[20:21], exec
	s_and_b64 s[2:3], s[2:3], exec
	v_mov_b32_e32 v45, 0
	s_or_b64 s[20:21], s[20:21], s[2:3]
	s_or_b64 exec, exec, s[22:23]
	s_and_saveexec_b64 s[22:23], s[20:21]
	s_cbranch_execnz .LBB271_1393
	s_branch .LBB271_1394
.LBB271_1920:                           ;   in Loop: Header=BB271_1071 Depth=1
	v_cmp_eq_u16_sdwa s[34:35], v57, s26 src0_sel:BYTE_0 src1_sel:DWORD
	s_mov_b64 s[2:3], -1
                                        ; implicit-def: $sgpr24
	s_and_saveexec_b64 s[22:23], s[34:35]
; %bb.1921:                             ;   in Loop: Header=BB271_1071 Depth=1
	s_mov_b32 s24, 0x7fc02000
	s_xor_b64 s[2:3], exec, -1
; %bb.1922:                             ;   in Loop: Header=BB271_1071 Depth=1
	s_or_b64 exec, exec, s[22:23]
	s_and_b64 s[2:3], s[2:3], exec
	s_or_saveexec_b64 s[20:21], s[20:21]
	v_mov_b32_e32 v0, s24
	s_xor_b64 exec, exec, s[20:21]
	s_cbranch_execz .LBB271_1396
.LBB271_1923:                           ;   in Loop: Header=BB271_1071 Depth=1
	v_cmp_ne_u16_sdwa s[22:23], v57, v17 src0_sel:BYTE_0 src1_sel:DWORD
	s_andn2_b64 s[2:3], s[2:3], exec
	s_and_b64 s[22:23], s[22:23], exec
	v_mov_b32_e32 v0, 0
	s_or_b64 s[2:3], s[2:3], s[22:23]
	s_or_b64 exec, exec, s[20:21]
	v_mov_b32_e32 v16, v57
	s_and_saveexec_b64 s[20:21], s[2:3]
	s_cbranch_execnz .LBB271_1397
	s_branch .LBB271_1398
.LBB271_1924:                           ;   in Loop: Header=BB271_1071 Depth=1
	v_cmp_eq_u16_e64 s[2:3], s26, v16
	s_mov_b64 s[20:21], -1
                                        ; implicit-def: $sgpr34
	s_and_saveexec_b64 s[24:25], s[2:3]
; %bb.1925:                             ;   in Loop: Header=BB271_1071 Depth=1
	s_mov_b32 s34, 0x7fc02000
	s_xor_b64 s[20:21], exec, -1
; %bb.1926:                             ;   in Loop: Header=BB271_1071 Depth=1
	s_or_b64 exec, exec, s[24:25]
	s_and_b64 s[20:21], s[20:21], exec
	s_or_saveexec_b64 s[22:23], s[22:23]
	v_mov_b32_e32 v1, s34
	s_xor_b64 exec, exec, s[22:23]
	s_cbranch_execz .LBB271_1400
.LBB271_1927:                           ;   in Loop: Header=BB271_1071 Depth=1
	v_cmp_ne_u16_e64 s[2:3], 0, v16
	s_andn2_b64 s[20:21], s[20:21], exec
	s_and_b64 s[2:3], s[2:3], exec
	v_mov_b32_e32 v1, 0
	s_or_b64 s[20:21], s[20:21], s[2:3]
	s_or_b64 exec, exec, s[22:23]
	s_and_saveexec_b64 s[22:23], s[20:21]
	s_cbranch_execnz .LBB271_1401
	s_branch .LBB271_1402
.LBB271_1928:                           ;   in Loop: Header=BB271_1071 Depth=1
	v_cmp_eq_u16_sdwa s[34:35], v16, s26 src0_sel:BYTE_0 src1_sel:DWORD
	s_mov_b64 s[2:3], -1
                                        ; implicit-def: $sgpr24
	s_and_saveexec_b64 s[22:23], s[34:35]
; %bb.1929:                             ;   in Loop: Header=BB271_1071 Depth=1
	s_mov_b32 s24, 0x7fc02000
	s_xor_b64 s[2:3], exec, -1
; %bb.1930:                             ;   in Loop: Header=BB271_1071 Depth=1
	s_or_b64 exec, exec, s[22:23]
	s_and_b64 s[2:3], s[2:3], exec
	s_or_saveexec_b64 s[20:21], s[20:21]
	v_mov_b32_e32 v2, s24
	s_xor_b64 exec, exec, s[20:21]
	s_cbranch_execz .LBB271_1404
.LBB271_1931:                           ;   in Loop: Header=BB271_1071 Depth=1
	v_cmp_ne_u16_sdwa s[22:23], v16, v17 src0_sel:BYTE_0 src1_sel:DWORD
	s_andn2_b64 s[2:3], s[2:3], exec
	s_and_b64 s[22:23], s[22:23], exec
	v_mov_b32_e32 v2, 0
	s_or_b64 s[2:3], s[2:3], s[22:23]
	s_or_b64 exec, exec, s[20:21]
	s_and_saveexec_b64 s[20:21], s[2:3]
	s_cbranch_execnz .LBB271_1405
	s_branch .LBB271_1406
.LBB271_1932:                           ;   in Loop: Header=BB271_1071 Depth=1
	v_cmp_eq_u16_e64 s[2:3], s26, v16
	s_mov_b64 s[20:21], -1
                                        ; implicit-def: $sgpr34
	s_and_saveexec_b64 s[24:25], s[2:3]
; %bb.1933:                             ;   in Loop: Header=BB271_1071 Depth=1
	s_mov_b32 s34, 0x7fc02000
	s_xor_b64 s[20:21], exec, -1
; %bb.1934:                             ;   in Loop: Header=BB271_1071 Depth=1
	s_or_b64 exec, exec, s[24:25]
	s_and_b64 s[20:21], s[20:21], exec
	s_or_saveexec_b64 s[22:23], s[22:23]
	v_mov_b32_e32 v22, s34
	s_xor_b64 exec, exec, s[22:23]
	s_cbranch_execz .LBB271_1408
.LBB271_1935:                           ;   in Loop: Header=BB271_1071 Depth=1
	v_cmp_ne_u16_e64 s[2:3], 0, v16
	s_andn2_b64 s[20:21], s[20:21], exec
	s_and_b64 s[2:3], s[2:3], exec
	v_mov_b32_e32 v22, 0
	s_or_b64 s[20:21], s[20:21], s[2:3]
	s_or_b64 exec, exec, s[22:23]
	s_and_saveexec_b64 s[22:23], s[20:21]
	s_cbranch_execnz .LBB271_1409
	s_branch .LBB271_1410
.LBB271_1936:                           ;   in Loop: Header=BB271_1071 Depth=1
	v_cmp_eq_u16_sdwa s[34:35], v56, s26 src0_sel:BYTE_0 src1_sel:DWORD
	s_mov_b64 s[2:3], -1
                                        ; implicit-def: $sgpr24
	s_and_saveexec_b64 s[22:23], s[34:35]
; %bb.1937:                             ;   in Loop: Header=BB271_1071 Depth=1
	s_mov_b32 s24, 0x7fc02000
	s_xor_b64 s[2:3], exec, -1
; %bb.1938:                             ;   in Loop: Header=BB271_1071 Depth=1
	s_or_b64 exec, exec, s[22:23]
	s_and_b64 s[2:3], s[2:3], exec
	s_or_saveexec_b64 s[20:21], s[20:21]
	v_mov_b32_e32 v58, s24
	s_xor_b64 exec, exec, s[20:21]
	s_cbranch_execz .LBB271_1414
.LBB271_1939:                           ;   in Loop: Header=BB271_1071 Depth=1
	v_cmp_ne_u16_sdwa s[22:23], v56, v17 src0_sel:BYTE_0 src1_sel:DWORD
	s_andn2_b64 s[2:3], s[2:3], exec
	s_and_b64 s[22:23], s[22:23], exec
	v_mov_b32_e32 v58, 0
	s_or_b64 s[2:3], s[2:3], s[22:23]
	s_or_b64 exec, exec, s[20:21]
	s_and_saveexec_b64 s[20:21], s[2:3]
	s_cbranch_execnz .LBB271_1415
	s_branch .LBB271_1416
.LBB271_1940:                           ;   in Loop: Header=BB271_1071 Depth=1
	v_cmp_eq_u16_e64 s[2:3], s26, v16
	s_mov_b64 s[20:21], -1
                                        ; implicit-def: $sgpr34
	s_and_saveexec_b64 s[24:25], s[2:3]
; %bb.1941:                             ;   in Loop: Header=BB271_1071 Depth=1
	s_mov_b32 s34, 0x7fc02000
	s_xor_b64 s[20:21], exec, -1
; %bb.1942:                             ;   in Loop: Header=BB271_1071 Depth=1
	s_or_b64 exec, exec, s[24:25]
	s_and_b64 s[20:21], s[20:21], exec
	s_or_saveexec_b64 s[22:23], s[22:23]
	v_mov_b32_e32 v44, s34
	s_xor_b64 exec, exec, s[22:23]
	s_cbranch_execz .LBB271_1418
.LBB271_1943:                           ;   in Loop: Header=BB271_1071 Depth=1
	v_cmp_ne_u16_e64 s[2:3], 0, v16
	s_andn2_b64 s[20:21], s[20:21], exec
	s_and_b64 s[2:3], s[2:3], exec
	v_mov_b32_e32 v44, 0
	s_or_b64 s[20:21], s[20:21], s[2:3]
	s_or_b64 exec, exec, s[22:23]
	s_and_saveexec_b64 s[22:23], s[20:21]
	s_cbranch_execnz .LBB271_1419
	s_branch .LBB271_1420
.LBB271_1944:                           ;   in Loop: Header=BB271_1071 Depth=1
	v_cmp_eq_u16_sdwa s[34:35], v16, s26 src0_sel:BYTE_0 src1_sel:DWORD
	s_mov_b64 s[2:3], -1
                                        ; implicit-def: $sgpr24
	s_and_saveexec_b64 s[22:23], s[34:35]
; %bb.1945:                             ;   in Loop: Header=BB271_1071 Depth=1
	s_mov_b32 s24, 0x7fc02000
	s_xor_b64 s[2:3], exec, -1
; %bb.1946:                             ;   in Loop: Header=BB271_1071 Depth=1
	s_or_b64 exec, exec, s[22:23]
	s_and_b64 s[2:3], s[2:3], exec
	s_or_saveexec_b64 s[20:21], s[20:21]
	v_mov_b32_e32 v59, s24
	s_xor_b64 exec, exec, s[20:21]
	s_cbranch_execz .LBB271_1422
.LBB271_1947:                           ;   in Loop: Header=BB271_1071 Depth=1
	v_cmp_ne_u16_sdwa s[22:23], v16, v17 src0_sel:BYTE_0 src1_sel:DWORD
	s_andn2_b64 s[2:3], s[2:3], exec
	s_and_b64 s[22:23], s[22:23], exec
	v_mov_b32_e32 v59, 0
	s_or_b64 s[2:3], s[2:3], s[22:23]
	s_or_b64 exec, exec, s[20:21]
	s_and_saveexec_b64 s[20:21], s[2:3]
	s_cbranch_execnz .LBB271_1423
	s_branch .LBB271_1424
.LBB271_1948:                           ;   in Loop: Header=BB271_1071 Depth=1
	v_cmp_eq_u16_e64 s[2:3], s26, v16
	s_mov_b64 s[20:21], -1
                                        ; implicit-def: $sgpr34
	s_and_saveexec_b64 s[24:25], s[2:3]
; %bb.1949:                             ;   in Loop: Header=BB271_1071 Depth=1
	s_mov_b32 s34, 0x7fc02000
	s_xor_b64 s[20:21], exec, -1
; %bb.1950:                             ;   in Loop: Header=BB271_1071 Depth=1
	s_or_b64 exec, exec, s[24:25]
	s_and_b64 s[20:21], s[20:21], exec
	s_or_saveexec_b64 s[22:23], s[22:23]
	v_mov_b32_e32 v45, s34
	s_xor_b64 exec, exec, s[22:23]
	s_cbranch_execz .LBB271_1426
.LBB271_1951:                           ;   in Loop: Header=BB271_1071 Depth=1
	v_cmp_ne_u16_e64 s[2:3], 0, v16
	s_andn2_b64 s[20:21], s[20:21], exec
	s_and_b64 s[2:3], s[2:3], exec
	v_mov_b32_e32 v45, 0
	s_or_b64 s[20:21], s[20:21], s[2:3]
	s_or_b64 exec, exec, s[22:23]
	s_and_saveexec_b64 s[22:23], s[20:21]
	s_cbranch_execnz .LBB271_1427
	s_branch .LBB271_1428
.LBB271_1952:                           ;   in Loop: Header=BB271_1071 Depth=1
	v_cmp_eq_u16_sdwa s[34:35], v57, s26 src0_sel:BYTE_0 src1_sel:DWORD
	s_mov_b64 s[2:3], -1
                                        ; implicit-def: $sgpr24
	s_and_saveexec_b64 s[22:23], s[34:35]
; %bb.1953:                             ;   in Loop: Header=BB271_1071 Depth=1
	s_mov_b32 s24, 0x7fc02000
	s_xor_b64 s[2:3], exec, -1
; %bb.1954:                             ;   in Loop: Header=BB271_1071 Depth=1
	s_or_b64 exec, exec, s[22:23]
	s_and_b64 s[2:3], s[2:3], exec
	s_or_saveexec_b64 s[20:21], s[20:21]
	v_mov_b32_e32 v0, s24
	s_xor_b64 exec, exec, s[20:21]
	s_cbranch_execz .LBB271_1430
.LBB271_1955:                           ;   in Loop: Header=BB271_1071 Depth=1
	v_cmp_ne_u16_sdwa s[22:23], v57, v17 src0_sel:BYTE_0 src1_sel:DWORD
	s_andn2_b64 s[2:3], s[2:3], exec
	s_and_b64 s[22:23], s[22:23], exec
	v_mov_b32_e32 v0, 0
	s_or_b64 s[2:3], s[2:3], s[22:23]
	s_or_b64 exec, exec, s[20:21]
	v_mov_b32_e32 v16, v57
	s_and_saveexec_b64 s[20:21], s[2:3]
	s_cbranch_execnz .LBB271_1431
	s_branch .LBB271_1432
.LBB271_1956:                           ;   in Loop: Header=BB271_1071 Depth=1
	v_cmp_eq_u16_e64 s[2:3], s26, v16
	s_mov_b64 s[20:21], -1
                                        ; implicit-def: $sgpr34
	s_and_saveexec_b64 s[24:25], s[2:3]
; %bb.1957:                             ;   in Loop: Header=BB271_1071 Depth=1
	s_mov_b32 s34, 0x7fc02000
	s_xor_b64 s[20:21], exec, -1
; %bb.1958:                             ;   in Loop: Header=BB271_1071 Depth=1
	s_or_b64 exec, exec, s[24:25]
	s_and_b64 s[20:21], s[20:21], exec
	s_or_saveexec_b64 s[22:23], s[22:23]
	v_mov_b32_e32 v1, s34
	s_xor_b64 exec, exec, s[22:23]
	s_cbranch_execz .LBB271_1434
.LBB271_1959:                           ;   in Loop: Header=BB271_1071 Depth=1
	v_cmp_ne_u16_e64 s[2:3], 0, v16
	s_andn2_b64 s[20:21], s[20:21], exec
	s_and_b64 s[2:3], s[2:3], exec
	v_mov_b32_e32 v1, 0
	s_or_b64 s[20:21], s[20:21], s[2:3]
	s_or_b64 exec, exec, s[22:23]
	s_and_saveexec_b64 s[22:23], s[20:21]
	s_cbranch_execnz .LBB271_1435
	s_branch .LBB271_1436
.LBB271_1960:                           ;   in Loop: Header=BB271_1071 Depth=1
	v_cmp_eq_u16_sdwa s[34:35], v16, s26 src0_sel:BYTE_0 src1_sel:DWORD
	s_mov_b64 s[2:3], -1
                                        ; implicit-def: $sgpr24
	s_and_saveexec_b64 s[22:23], s[34:35]
; %bb.1961:                             ;   in Loop: Header=BB271_1071 Depth=1
	s_mov_b32 s24, 0x7fc02000
	s_xor_b64 s[2:3], exec, -1
; %bb.1962:                             ;   in Loop: Header=BB271_1071 Depth=1
	s_or_b64 exec, exec, s[22:23]
	s_and_b64 s[2:3], s[2:3], exec
	s_or_saveexec_b64 s[20:21], s[20:21]
	v_mov_b32_e32 v12, s24
	s_xor_b64 exec, exec, s[20:21]
	s_cbranch_execz .LBB271_1438
.LBB271_1963:                           ;   in Loop: Header=BB271_1071 Depth=1
	v_cmp_ne_u16_sdwa s[22:23], v16, v17 src0_sel:BYTE_0 src1_sel:DWORD
	s_andn2_b64 s[2:3], s[2:3], exec
	s_and_b64 s[22:23], s[22:23], exec
	v_mov_b32_e32 v12, 0
	s_or_b64 s[2:3], s[2:3], s[22:23]
	s_or_b64 exec, exec, s[20:21]
	s_and_saveexec_b64 s[20:21], s[2:3]
	s_cbranch_execnz .LBB271_1439
	s_branch .LBB271_1440
.LBB271_1964:                           ;   in Loop: Header=BB271_1071 Depth=1
	v_cmp_eq_u16_e64 s[2:3], s26, v16
	s_mov_b64 s[20:21], -1
                                        ; implicit-def: $sgpr34
	s_and_saveexec_b64 s[24:25], s[2:3]
; %bb.1965:                             ;   in Loop: Header=BB271_1071 Depth=1
	s_mov_b32 s34, 0x7fc02000
	s_xor_b64 s[20:21], exec, -1
; %bb.1966:                             ;   in Loop: Header=BB271_1071 Depth=1
	s_or_b64 exec, exec, s[24:25]
	s_and_b64 s[20:21], s[20:21], exec
	s_or_saveexec_b64 s[22:23], s[22:23]
	v_mov_b32_e32 v23, s34
	s_xor_b64 exec, exec, s[22:23]
	s_cbranch_execz .LBB271_1442
.LBB271_1967:                           ;   in Loop: Header=BB271_1071 Depth=1
	v_cmp_ne_u16_e64 s[2:3], 0, v16
	s_andn2_b64 s[20:21], s[20:21], exec
	s_and_b64 s[2:3], s[2:3], exec
	v_mov_b32_e32 v23, 0
	s_or_b64 s[20:21], s[20:21], s[2:3]
	s_or_b64 exec, exec, s[22:23]
	s_and_saveexec_b64 s[22:23], s[20:21]
	s_cbranch_execnz .LBB271_1443
	s_branch .LBB271_1444
.LBB271_1968:                           ;   in Loop: Header=BB271_1071 Depth=1
	v_cmp_eq_u16_sdwa s[34:35], v56, s26 src0_sel:BYTE_0 src1_sel:DWORD
	s_mov_b64 s[2:3], -1
                                        ; implicit-def: $sgpr24
	s_and_saveexec_b64 s[22:23], s[34:35]
; %bb.1969:                             ;   in Loop: Header=BB271_1071 Depth=1
	s_mov_b32 s24, 0x7fc02000
	s_xor_b64 s[2:3], exec, -1
; %bb.1970:                             ;   in Loop: Header=BB271_1071 Depth=1
	s_or_b64 exec, exec, s[22:23]
	s_and_b64 s[2:3], s[2:3], exec
	s_or_saveexec_b64 s[20:21], s[20:21]
	v_mov_b32_e32 v58, s24
	s_xor_b64 exec, exec, s[20:21]
	s_cbranch_execz .LBB271_1448
.LBB271_1971:                           ;   in Loop: Header=BB271_1071 Depth=1
	v_cmp_ne_u16_sdwa s[22:23], v56, v17 src0_sel:BYTE_0 src1_sel:DWORD
	s_andn2_b64 s[2:3], s[2:3], exec
	s_and_b64 s[22:23], s[22:23], exec
	v_mov_b32_e32 v58, 0
	s_or_b64 s[2:3], s[2:3], s[22:23]
	s_or_b64 exec, exec, s[20:21]
	s_and_saveexec_b64 s[20:21], s[2:3]
	s_cbranch_execnz .LBB271_1449
	s_branch .LBB271_1450
.LBB271_1972:                           ;   in Loop: Header=BB271_1071 Depth=1
	v_cmp_eq_u16_e64 s[2:3], s26, v16
	s_mov_b64 s[20:21], -1
                                        ; implicit-def: $sgpr34
	s_and_saveexec_b64 s[24:25], s[2:3]
; %bb.1973:                             ;   in Loop: Header=BB271_1071 Depth=1
	s_mov_b32 s34, 0x7fc02000
	s_xor_b64 s[20:21], exec, -1
; %bb.1974:                             ;   in Loop: Header=BB271_1071 Depth=1
	s_or_b64 exec, exec, s[24:25]
	s_and_b64 s[20:21], s[20:21], exec
	s_or_saveexec_b64 s[22:23], s[22:23]
	v_mov_b32_e32 v44, s34
	s_xor_b64 exec, exec, s[22:23]
	s_cbranch_execz .LBB271_1452
.LBB271_1975:                           ;   in Loop: Header=BB271_1071 Depth=1
	v_cmp_ne_u16_e64 s[2:3], 0, v16
	s_andn2_b64 s[20:21], s[20:21], exec
	s_and_b64 s[2:3], s[2:3], exec
	v_mov_b32_e32 v44, 0
	s_or_b64 s[20:21], s[20:21], s[2:3]
	s_or_b64 exec, exec, s[22:23]
	s_and_saveexec_b64 s[22:23], s[20:21]
	s_cbranch_execnz .LBB271_1453
	s_branch .LBB271_1454
.LBB271_1976:                           ;   in Loop: Header=BB271_1071 Depth=1
	v_cmp_eq_u16_sdwa s[34:35], v16, s26 src0_sel:BYTE_0 src1_sel:DWORD
	s_mov_b64 s[2:3], -1
                                        ; implicit-def: $sgpr24
	s_and_saveexec_b64 s[22:23], s[34:35]
; %bb.1977:                             ;   in Loop: Header=BB271_1071 Depth=1
	s_mov_b32 s24, 0x7fc02000
	s_xor_b64 s[2:3], exec, -1
; %bb.1978:                             ;   in Loop: Header=BB271_1071 Depth=1
	s_or_b64 exec, exec, s[22:23]
	s_and_b64 s[2:3], s[2:3], exec
	s_or_saveexec_b64 s[20:21], s[20:21]
	v_mov_b32_e32 v59, s24
	s_xor_b64 exec, exec, s[20:21]
	s_cbranch_execz .LBB271_1456
.LBB271_1979:                           ;   in Loop: Header=BB271_1071 Depth=1
	v_cmp_ne_u16_sdwa s[22:23], v16, v17 src0_sel:BYTE_0 src1_sel:DWORD
	s_andn2_b64 s[2:3], s[2:3], exec
	s_and_b64 s[22:23], s[22:23], exec
	v_mov_b32_e32 v59, 0
	s_or_b64 s[2:3], s[2:3], s[22:23]
	s_or_b64 exec, exec, s[20:21]
	s_and_saveexec_b64 s[20:21], s[2:3]
	s_cbranch_execnz .LBB271_1457
	s_branch .LBB271_1458
.LBB271_1980:                           ;   in Loop: Header=BB271_1071 Depth=1
	v_cmp_eq_u16_e64 s[2:3], s26, v16
	s_mov_b64 s[20:21], -1
                                        ; implicit-def: $sgpr34
	s_and_saveexec_b64 s[24:25], s[2:3]
; %bb.1981:                             ;   in Loop: Header=BB271_1071 Depth=1
	s_mov_b32 s34, 0x7fc02000
	s_xor_b64 s[20:21], exec, -1
; %bb.1982:                             ;   in Loop: Header=BB271_1071 Depth=1
	s_or_b64 exec, exec, s[24:25]
	s_and_b64 s[20:21], s[20:21], exec
	s_or_saveexec_b64 s[22:23], s[22:23]
	v_mov_b32_e32 v45, s34
	s_xor_b64 exec, exec, s[22:23]
	s_cbranch_execz .LBB271_1460
.LBB271_1983:                           ;   in Loop: Header=BB271_1071 Depth=1
	v_cmp_ne_u16_e64 s[2:3], 0, v16
	s_andn2_b64 s[20:21], s[20:21], exec
	s_and_b64 s[2:3], s[2:3], exec
	v_mov_b32_e32 v45, 0
	s_or_b64 s[20:21], s[20:21], s[2:3]
	s_or_b64 exec, exec, s[22:23]
	s_and_saveexec_b64 s[22:23], s[20:21]
	s_cbranch_execnz .LBB271_1461
	s_branch .LBB271_1462
.LBB271_1984:                           ;   in Loop: Header=BB271_1071 Depth=1
	v_cmp_eq_u16_sdwa s[34:35], v57, s26 src0_sel:BYTE_0 src1_sel:DWORD
	s_mov_b64 s[2:3], -1
                                        ; implicit-def: $sgpr24
	s_and_saveexec_b64 s[22:23], s[34:35]
; %bb.1985:                             ;   in Loop: Header=BB271_1071 Depth=1
	s_mov_b32 s24, 0x7fc02000
	s_xor_b64 s[2:3], exec, -1
; %bb.1986:                             ;   in Loop: Header=BB271_1071 Depth=1
	s_or_b64 exec, exec, s[22:23]
	s_and_b64 s[2:3], s[2:3], exec
	s_or_saveexec_b64 s[20:21], s[20:21]
	v_mov_b32_e32 v0, s24
	s_xor_b64 exec, exec, s[20:21]
	s_cbranch_execz .LBB271_1464
.LBB271_1987:                           ;   in Loop: Header=BB271_1071 Depth=1
	v_cmp_ne_u16_sdwa s[22:23], v57, v17 src0_sel:BYTE_0 src1_sel:DWORD
	s_andn2_b64 s[2:3], s[2:3], exec
	s_and_b64 s[22:23], s[22:23], exec
	v_mov_b32_e32 v0, 0
	s_or_b64 s[2:3], s[2:3], s[22:23]
	s_or_b64 exec, exec, s[20:21]
	v_mov_b32_e32 v16, v57
	s_and_saveexec_b64 s[20:21], s[2:3]
	s_cbranch_execnz .LBB271_1465
	s_branch .LBB271_1466
.LBB271_1988:                           ;   in Loop: Header=BB271_1071 Depth=1
	v_cmp_eq_u16_e64 s[2:3], s26, v16
	s_mov_b64 s[20:21], -1
                                        ; implicit-def: $sgpr34
	s_and_saveexec_b64 s[24:25], s[2:3]
; %bb.1989:                             ;   in Loop: Header=BB271_1071 Depth=1
	s_mov_b32 s34, 0x7fc02000
	s_xor_b64 s[20:21], exec, -1
; %bb.1990:                             ;   in Loop: Header=BB271_1071 Depth=1
	s_or_b64 exec, exec, s[24:25]
	s_and_b64 s[20:21], s[20:21], exec
	s_or_saveexec_b64 s[22:23], s[22:23]
	v_mov_b32_e32 v12, s34
	s_xor_b64 exec, exec, s[22:23]
	s_cbranch_execz .LBB271_1468
.LBB271_1991:                           ;   in Loop: Header=BB271_1071 Depth=1
	v_cmp_ne_u16_e64 s[2:3], 0, v16
	s_andn2_b64 s[20:21], s[20:21], exec
	s_and_b64 s[2:3], s[2:3], exec
	v_mov_b32_e32 v12, 0
	s_or_b64 s[20:21], s[20:21], s[2:3]
	s_or_b64 exec, exec, s[22:23]
	s_and_saveexec_b64 s[22:23], s[20:21]
	s_cbranch_execnz .LBB271_1469
	s_branch .LBB271_1470
.LBB271_1992:                           ;   in Loop: Header=BB271_1071 Depth=1
	v_cmp_eq_u16_sdwa s[34:35], v16, s26 src0_sel:BYTE_0 src1_sel:DWORD
	s_mov_b64 s[2:3], -1
                                        ; implicit-def: $sgpr24
	s_and_saveexec_b64 s[22:23], s[34:35]
; %bb.1993:                             ;   in Loop: Header=BB271_1071 Depth=1
	s_mov_b32 s24, 0x7fc02000
	s_xor_b64 s[2:3], exec, -1
; %bb.1994:                             ;   in Loop: Header=BB271_1071 Depth=1
	s_or_b64 exec, exec, s[22:23]
	s_and_b64 s[2:3], s[2:3], exec
	s_or_saveexec_b64 s[20:21], s[20:21]
	v_mov_b32_e32 v22, s24
	s_xor_b64 exec, exec, s[20:21]
	s_cbranch_execz .LBB271_1472
.LBB271_1995:                           ;   in Loop: Header=BB271_1071 Depth=1
	v_cmp_ne_u16_sdwa s[22:23], v16, v17 src0_sel:BYTE_0 src1_sel:DWORD
	s_andn2_b64 s[2:3], s[2:3], exec
	s_and_b64 s[22:23], s[22:23], exec
	v_mov_b32_e32 v22, 0
	s_or_b64 s[2:3], s[2:3], s[22:23]
	s_or_b64 exec, exec, s[20:21]
	s_and_saveexec_b64 s[20:21], s[2:3]
	s_cbranch_execnz .LBB271_1473
	s_branch .LBB271_1474
.LBB271_1996:                           ;   in Loop: Header=BB271_1071 Depth=1
	v_cmp_eq_u16_e64 s[2:3], s26, v16
	s_mov_b64 s[20:21], -1
                                        ; implicit-def: $sgpr34
	s_and_saveexec_b64 s[24:25], s[2:3]
; %bb.1997:                             ;   in Loop: Header=BB271_1071 Depth=1
	s_mov_b32 s34, 0x7fc02000
	s_xor_b64 s[20:21], exec, -1
; %bb.1998:                             ;   in Loop: Header=BB271_1071 Depth=1
	s_or_b64 exec, exec, s[24:25]
	s_and_b64 s[20:21], s[20:21], exec
	s_or_saveexec_b64 s[22:23], s[22:23]
	v_mov_b32_e32 v40, s34
	s_xor_b64 exec, exec, s[22:23]
	s_cbranch_execz .LBB271_1476
.LBB271_1999:                           ;   in Loop: Header=BB271_1071 Depth=1
	v_cmp_ne_u16_e64 s[2:3], 0, v16
	s_andn2_b64 s[20:21], s[20:21], exec
	s_and_b64 s[2:3], s[2:3], exec
	v_mov_b32_e32 v40, 0
	s_or_b64 s[20:21], s[20:21], s[2:3]
	s_or_b64 exec, exec, s[22:23]
	s_and_saveexec_b64 s[22:23], s[20:21]
	s_cbranch_execnz .LBB271_1477
	s_branch .LBB271_1478
.LBB271_2000:                           ;   in Loop: Header=BB271_1071 Depth=1
	v_cmp_eq_u16_sdwa s[34:35], v56, s26 src0_sel:BYTE_0 src1_sel:DWORD
	s_mov_b64 s[2:3], -1
                                        ; implicit-def: $sgpr24
	s_and_saveexec_b64 s[22:23], s[34:35]
; %bb.2001:                             ;   in Loop: Header=BB271_1071 Depth=1
	s_mov_b32 s24, 0x7fc02000
	s_xor_b64 s[2:3], exec, -1
; %bb.2002:                             ;   in Loop: Header=BB271_1071 Depth=1
	s_or_b64 exec, exec, s[22:23]
	s_and_b64 s[2:3], s[2:3], exec
	s_or_saveexec_b64 s[20:21], s[20:21]
	v_mov_b32_e32 v58, s24
	s_xor_b64 exec, exec, s[20:21]
	s_cbranch_execz .LBB271_1482
.LBB271_2003:                           ;   in Loop: Header=BB271_1071 Depth=1
	v_cmp_ne_u16_sdwa s[22:23], v56, v17 src0_sel:BYTE_0 src1_sel:DWORD
	s_andn2_b64 s[2:3], s[2:3], exec
	s_and_b64 s[22:23], s[22:23], exec
	v_mov_b32_e32 v58, 0
	s_or_b64 s[2:3], s[2:3], s[22:23]
	s_or_b64 exec, exec, s[20:21]
	s_and_saveexec_b64 s[20:21], s[2:3]
	s_cbranch_execnz .LBB271_1483
	s_branch .LBB271_1484
.LBB271_2004:                           ;   in Loop: Header=BB271_1071 Depth=1
	v_cmp_eq_u16_e64 s[2:3], s26, v16
	s_mov_b64 s[20:21], -1
                                        ; implicit-def: $sgpr34
	s_and_saveexec_b64 s[24:25], s[2:3]
; %bb.2005:                             ;   in Loop: Header=BB271_1071 Depth=1
	s_mov_b32 s34, 0x7fc02000
	s_xor_b64 s[20:21], exec, -1
; %bb.2006:                             ;   in Loop: Header=BB271_1071 Depth=1
	s_or_b64 exec, exec, s[24:25]
	s_and_b64 s[20:21], s[20:21], exec
	s_or_saveexec_b64 s[22:23], s[22:23]
	v_mov_b32_e32 v44, s34
	s_xor_b64 exec, exec, s[22:23]
	s_cbranch_execz .LBB271_1486
.LBB271_2007:                           ;   in Loop: Header=BB271_1071 Depth=1
	v_cmp_ne_u16_e64 s[2:3], 0, v16
	s_andn2_b64 s[20:21], s[20:21], exec
	s_and_b64 s[2:3], s[2:3], exec
	v_mov_b32_e32 v44, 0
	s_or_b64 s[20:21], s[20:21], s[2:3]
	s_or_b64 exec, exec, s[22:23]
	s_and_saveexec_b64 s[22:23], s[20:21]
	s_cbranch_execnz .LBB271_1487
	s_branch .LBB271_1488
.LBB271_2008:                           ;   in Loop: Header=BB271_1071 Depth=1
	v_cmp_eq_u16_sdwa s[34:35], v16, s26 src0_sel:BYTE_0 src1_sel:DWORD
	s_mov_b64 s[2:3], -1
                                        ; implicit-def: $sgpr24
	s_and_saveexec_b64 s[22:23], s[34:35]
; %bb.2009:                             ;   in Loop: Header=BB271_1071 Depth=1
	s_mov_b32 s24, 0x7fc02000
	s_xor_b64 s[2:3], exec, -1
; %bb.2010:                             ;   in Loop: Header=BB271_1071 Depth=1
	s_or_b64 exec, exec, s[22:23]
	s_and_b64 s[2:3], s[2:3], exec
	s_or_saveexec_b64 s[20:21], s[20:21]
	v_mov_b32_e32 v59, s24
	s_xor_b64 exec, exec, s[20:21]
	s_cbranch_execz .LBB271_1490
.LBB271_2011:                           ;   in Loop: Header=BB271_1071 Depth=1
	v_cmp_ne_u16_sdwa s[22:23], v16, v17 src0_sel:BYTE_0 src1_sel:DWORD
	s_andn2_b64 s[2:3], s[2:3], exec
	s_and_b64 s[22:23], s[22:23], exec
	v_mov_b32_e32 v59, 0
	s_or_b64 s[2:3], s[2:3], s[22:23]
	s_or_b64 exec, exec, s[20:21]
	s_and_saveexec_b64 s[20:21], s[2:3]
	s_cbranch_execnz .LBB271_1491
	s_branch .LBB271_1492
.LBB271_2012:                           ;   in Loop: Header=BB271_1071 Depth=1
	v_cmp_eq_u16_e64 s[2:3], s26, v16
	s_mov_b64 s[20:21], -1
                                        ; implicit-def: $sgpr34
	s_and_saveexec_b64 s[24:25], s[2:3]
; %bb.2013:                             ;   in Loop: Header=BB271_1071 Depth=1
	s_mov_b32 s34, 0x7fc02000
	s_xor_b64 s[20:21], exec, -1
; %bb.2014:                             ;   in Loop: Header=BB271_1071 Depth=1
	s_or_b64 exec, exec, s[24:25]
	s_and_b64 s[20:21], s[20:21], exec
	s_or_saveexec_b64 s[22:23], s[22:23]
	v_mov_b32_e32 v45, s34
	s_xor_b64 exec, exec, s[22:23]
	s_cbranch_execz .LBB271_1494
.LBB271_2015:                           ;   in Loop: Header=BB271_1071 Depth=1
	v_cmp_ne_u16_e64 s[2:3], 0, v16
	s_andn2_b64 s[20:21], s[20:21], exec
	s_and_b64 s[2:3], s[2:3], exec
	v_mov_b32_e32 v45, 0
	s_or_b64 s[20:21], s[20:21], s[2:3]
	s_or_b64 exec, exec, s[22:23]
	s_and_saveexec_b64 s[22:23], s[20:21]
	s_cbranch_execnz .LBB271_1495
	s_branch .LBB271_1496
.LBB271_2016:                           ;   in Loop: Header=BB271_1071 Depth=1
	v_cmp_eq_u16_sdwa s[34:35], v57, s26 src0_sel:BYTE_0 src1_sel:DWORD
	s_mov_b64 s[2:3], -1
                                        ; implicit-def: $sgpr24
	s_and_saveexec_b64 s[22:23], s[34:35]
; %bb.2017:                             ;   in Loop: Header=BB271_1071 Depth=1
	s_mov_b32 s24, 0x7fc02000
	s_xor_b64 s[2:3], exec, -1
; %bb.2018:                             ;   in Loop: Header=BB271_1071 Depth=1
	s_or_b64 exec, exec, s[22:23]
	s_and_b64 s[2:3], s[2:3], exec
	s_or_saveexec_b64 s[20:21], s[20:21]
	v_mov_b32_e32 v0, s24
	s_xor_b64 exec, exec, s[20:21]
	s_cbranch_execz .LBB271_1498
.LBB271_2019:                           ;   in Loop: Header=BB271_1071 Depth=1
	v_cmp_ne_u16_sdwa s[22:23], v57, v17 src0_sel:BYTE_0 src1_sel:DWORD
	s_andn2_b64 s[2:3], s[2:3], exec
	s_and_b64 s[22:23], s[22:23], exec
	v_mov_b32_e32 v0, 0
	s_or_b64 s[2:3], s[2:3], s[22:23]
	s_or_b64 exec, exec, s[20:21]
	v_mov_b32_e32 v16, v57
	s_and_saveexec_b64 s[20:21], s[2:3]
	s_cbranch_execnz .LBB271_1499
	s_branch .LBB271_1500
.LBB271_2020:                           ;   in Loop: Header=BB271_1071 Depth=1
	v_cmp_eq_u16_e64 s[2:3], s26, v16
	s_mov_b64 s[20:21], -1
                                        ; implicit-def: $sgpr34
	s_and_saveexec_b64 s[24:25], s[2:3]
; %bb.2021:                             ;   in Loop: Header=BB271_1071 Depth=1
	s_mov_b32 s34, 0x7fc02000
	s_xor_b64 s[20:21], exec, -1
; %bb.2022:                             ;   in Loop: Header=BB271_1071 Depth=1
	s_or_b64 exec, exec, s[24:25]
	s_and_b64 s[20:21], s[20:21], exec
	s_or_saveexec_b64 s[22:23], s[22:23]
	v_mov_b32_e32 v12, s34
	s_xor_b64 exec, exec, s[22:23]
	s_cbranch_execz .LBB271_1502
.LBB271_2023:                           ;   in Loop: Header=BB271_1071 Depth=1
	v_cmp_ne_u16_e64 s[2:3], 0, v16
	s_andn2_b64 s[20:21], s[20:21], exec
	s_and_b64 s[2:3], s[2:3], exec
	v_mov_b32_e32 v12, 0
	s_or_b64 s[20:21], s[20:21], s[2:3]
	s_or_b64 exec, exec, s[22:23]
	s_and_saveexec_b64 s[22:23], s[20:21]
	s_cbranch_execnz .LBB271_1503
	s_branch .LBB271_1504
.LBB271_2024:                           ;   in Loop: Header=BB271_1071 Depth=1
	v_cmp_eq_u16_sdwa s[34:35], v16, s26 src0_sel:BYTE_0 src1_sel:DWORD
	s_mov_b64 s[2:3], -1
                                        ; implicit-def: $sgpr24
	s_and_saveexec_b64 s[22:23], s[34:35]
; %bb.2025:                             ;   in Loop: Header=BB271_1071 Depth=1
	s_mov_b32 s24, 0x7fc02000
	s_xor_b64 s[2:3], exec, -1
; %bb.2026:                             ;   in Loop: Header=BB271_1071 Depth=1
	s_or_b64 exec, exec, s[22:23]
	s_and_b64 s[2:3], s[2:3], exec
	s_or_saveexec_b64 s[20:21], s[20:21]
	v_mov_b32_e32 v22, s24
	s_xor_b64 exec, exec, s[20:21]
	s_cbranch_execz .LBB271_1506
.LBB271_2027:                           ;   in Loop: Header=BB271_1071 Depth=1
	v_cmp_ne_u16_sdwa s[22:23], v16, v17 src0_sel:BYTE_0 src1_sel:DWORD
	s_andn2_b64 s[2:3], s[2:3], exec
	s_and_b64 s[22:23], s[22:23], exec
	v_mov_b32_e32 v22, 0
	s_or_b64 s[2:3], s[2:3], s[22:23]
	s_or_b64 exec, exec, s[20:21]
	s_and_saveexec_b64 s[20:21], s[2:3]
	s_cbranch_execnz .LBB271_1507
	s_branch .LBB271_1508
.LBB271_2028:                           ;   in Loop: Header=BB271_1071 Depth=1
	v_cmp_eq_u16_e64 s[2:3], s26, v16
	s_mov_b64 s[20:21], -1
                                        ; implicit-def: $sgpr34
	s_and_saveexec_b64 s[24:25], s[2:3]
; %bb.2029:                             ;   in Loop: Header=BB271_1071 Depth=1
	s_mov_b32 s34, 0x7fc02000
	s_xor_b64 s[20:21], exec, -1
; %bb.2030:                             ;   in Loop: Header=BB271_1071 Depth=1
	s_or_b64 exec, exec, s[24:25]
	s_and_b64 s[20:21], s[20:21], exec
	s_or_saveexec_b64 s[22:23], s[22:23]
	v_mov_b32_e32 v47, s34
	s_xor_b64 exec, exec, s[22:23]
	s_cbranch_execz .LBB271_1510
.LBB271_2031:                           ;   in Loop: Header=BB271_1071 Depth=1
	v_cmp_ne_u16_e64 s[2:3], 0, v16
	s_andn2_b64 s[20:21], s[20:21], exec
	s_and_b64 s[2:3], s[2:3], exec
	v_mov_b32_e32 v47, 0
	s_or_b64 s[20:21], s[20:21], s[2:3]
	s_or_b64 exec, exec, s[22:23]
	s_and_saveexec_b64 s[22:23], s[20:21]
	s_cbranch_execnz .LBB271_1511
	s_branch .LBB271_1512
.LBB271_2032:                           ;   in Loop: Header=BB271_1071 Depth=1
	v_cmp_eq_u16_sdwa s[34:35], v56, s26 src0_sel:BYTE_0 src1_sel:DWORD
	s_mov_b64 s[2:3], -1
                                        ; implicit-def: $sgpr24
	s_and_saveexec_b64 s[22:23], s[34:35]
; %bb.2033:                             ;   in Loop: Header=BB271_1071 Depth=1
	s_mov_b32 s24, 0x7fc02000
	s_xor_b64 s[2:3], exec, -1
; %bb.2034:                             ;   in Loop: Header=BB271_1071 Depth=1
	s_or_b64 exec, exec, s[22:23]
	s_and_b64 s[2:3], s[2:3], exec
	s_or_saveexec_b64 s[20:21], s[20:21]
	v_mov_b32_e32 v58, s24
	s_xor_b64 exec, exec, s[20:21]
	s_cbranch_execz .LBB271_1516
.LBB271_2035:                           ;   in Loop: Header=BB271_1071 Depth=1
	v_cmp_ne_u16_sdwa s[22:23], v56, v17 src0_sel:BYTE_0 src1_sel:DWORD
	s_andn2_b64 s[2:3], s[2:3], exec
	s_and_b64 s[22:23], s[22:23], exec
	v_mov_b32_e32 v58, 0
	s_or_b64 s[2:3], s[2:3], s[22:23]
	s_or_b64 exec, exec, s[20:21]
	s_and_saveexec_b64 s[20:21], s[2:3]
	s_cbranch_execnz .LBB271_1517
	s_branch .LBB271_1518
.LBB271_2036:                           ;   in Loop: Header=BB271_1071 Depth=1
	v_cmp_eq_u16_e64 s[2:3], s26, v16
	s_mov_b64 s[20:21], -1
                                        ; implicit-def: $sgpr34
	s_and_saveexec_b64 s[24:25], s[2:3]
; %bb.2037:                             ;   in Loop: Header=BB271_1071 Depth=1
	s_mov_b32 s34, 0x7fc02000
	s_xor_b64 s[20:21], exec, -1
; %bb.2038:                             ;   in Loop: Header=BB271_1071 Depth=1
	s_or_b64 exec, exec, s[24:25]
	s_and_b64 s[20:21], s[20:21], exec
	s_or_saveexec_b64 s[22:23], s[22:23]
	v_mov_b32_e32 v44, s34
	s_xor_b64 exec, exec, s[22:23]
	s_cbranch_execz .LBB271_1520
.LBB271_2039:                           ;   in Loop: Header=BB271_1071 Depth=1
	v_cmp_ne_u16_e64 s[2:3], 0, v16
	s_andn2_b64 s[20:21], s[20:21], exec
	s_and_b64 s[2:3], s[2:3], exec
	v_mov_b32_e32 v44, 0
	s_or_b64 s[20:21], s[20:21], s[2:3]
	s_or_b64 exec, exec, s[22:23]
	s_and_saveexec_b64 s[22:23], s[20:21]
	s_cbranch_execnz .LBB271_1521
	s_branch .LBB271_1522
.LBB271_2040:                           ;   in Loop: Header=BB271_1071 Depth=1
	v_cmp_eq_u16_sdwa s[34:35], v16, s26 src0_sel:BYTE_0 src1_sel:DWORD
	s_mov_b64 s[2:3], -1
                                        ; implicit-def: $sgpr24
	s_and_saveexec_b64 s[22:23], s[34:35]
; %bb.2041:                             ;   in Loop: Header=BB271_1071 Depth=1
	s_mov_b32 s24, 0x7fc02000
	s_xor_b64 s[2:3], exec, -1
; %bb.2042:                             ;   in Loop: Header=BB271_1071 Depth=1
	s_or_b64 exec, exec, s[22:23]
	s_and_b64 s[2:3], s[2:3], exec
	s_or_saveexec_b64 s[20:21], s[20:21]
	v_mov_b32_e32 v59, s24
	s_xor_b64 exec, exec, s[20:21]
	s_cbranch_execz .LBB271_1524
.LBB271_2043:                           ;   in Loop: Header=BB271_1071 Depth=1
	v_cmp_ne_u16_sdwa s[22:23], v16, v17 src0_sel:BYTE_0 src1_sel:DWORD
	s_andn2_b64 s[2:3], s[2:3], exec
	s_and_b64 s[22:23], s[22:23], exec
	v_mov_b32_e32 v59, 0
	s_or_b64 s[2:3], s[2:3], s[22:23]
	s_or_b64 exec, exec, s[20:21]
	s_and_saveexec_b64 s[20:21], s[2:3]
	s_cbranch_execnz .LBB271_1525
	s_branch .LBB271_1526
.LBB271_2044:                           ;   in Loop: Header=BB271_1071 Depth=1
	v_cmp_eq_u16_e64 s[2:3], s26, v16
	s_mov_b64 s[20:21], -1
                                        ; implicit-def: $sgpr34
	s_and_saveexec_b64 s[24:25], s[2:3]
; %bb.2045:                             ;   in Loop: Header=BB271_1071 Depth=1
	s_mov_b32 s34, 0x7fc02000
	s_xor_b64 s[20:21], exec, -1
; %bb.2046:                             ;   in Loop: Header=BB271_1071 Depth=1
	s_or_b64 exec, exec, s[24:25]
	s_and_b64 s[20:21], s[20:21], exec
	s_or_saveexec_b64 s[22:23], s[22:23]
	v_mov_b32_e32 v45, s34
	s_xor_b64 exec, exec, s[22:23]
	s_cbranch_execz .LBB271_1528
.LBB271_2047:                           ;   in Loop: Header=BB271_1071 Depth=1
	v_cmp_ne_u16_e64 s[2:3], 0, v16
	s_andn2_b64 s[20:21], s[20:21], exec
	s_and_b64 s[2:3], s[2:3], exec
	v_mov_b32_e32 v45, 0
	s_or_b64 s[20:21], s[20:21], s[2:3]
	s_or_b64 exec, exec, s[22:23]
	s_and_saveexec_b64 s[22:23], s[20:21]
	s_cbranch_execnz .LBB271_1529
	s_branch .LBB271_1530
.LBB271_2048:                           ;   in Loop: Header=BB271_1071 Depth=1
	v_cmp_eq_u16_sdwa s[34:35], v57, s26 src0_sel:BYTE_0 src1_sel:DWORD
	s_mov_b64 s[2:3], -1
                                        ; implicit-def: $sgpr24
	s_and_saveexec_b64 s[22:23], s[34:35]
; %bb.2049:                             ;   in Loop: Header=BB271_1071 Depth=1
	s_mov_b32 s24, 0x7fc02000
	s_xor_b64 s[2:3], exec, -1
; %bb.2050:                             ;   in Loop: Header=BB271_1071 Depth=1
	s_or_b64 exec, exec, s[22:23]
	s_and_b64 s[2:3], s[2:3], exec
	s_or_saveexec_b64 s[20:21], s[20:21]
	v_mov_b32_e32 v0, s24
	s_xor_b64 exec, exec, s[20:21]
	s_cbranch_execz .LBB271_1532
.LBB271_2051:                           ;   in Loop: Header=BB271_1071 Depth=1
	v_cmp_ne_u16_sdwa s[22:23], v57, v17 src0_sel:BYTE_0 src1_sel:DWORD
	s_andn2_b64 s[2:3], s[2:3], exec
	s_and_b64 s[22:23], s[22:23], exec
	v_mov_b32_e32 v0, 0
	s_or_b64 s[2:3], s[2:3], s[22:23]
	s_or_b64 exec, exec, s[20:21]
	v_mov_b32_e32 v16, v57
	s_and_saveexec_b64 s[20:21], s[2:3]
	s_cbranch_execnz .LBB271_1533
	s_branch .LBB271_1534
.LBB271_2052:                           ;   in Loop: Header=BB271_1071 Depth=1
	v_cmp_eq_u16_e64 s[2:3], s26, v16
	s_mov_b64 s[20:21], -1
                                        ; implicit-def: $sgpr34
	s_and_saveexec_b64 s[24:25], s[2:3]
; %bb.2053:                             ;   in Loop: Header=BB271_1071 Depth=1
	s_mov_b32 s34, 0x7fc02000
	s_xor_b64 s[20:21], exec, -1
; %bb.2054:                             ;   in Loop: Header=BB271_1071 Depth=1
	s_or_b64 exec, exec, s[24:25]
	s_and_b64 s[20:21], s[20:21], exec
	s_or_saveexec_b64 s[22:23], s[22:23]
	v_mov_b32_e32 v12, s34
	s_xor_b64 exec, exec, s[22:23]
	s_cbranch_execz .LBB271_1536
.LBB271_2055:                           ;   in Loop: Header=BB271_1071 Depth=1
	v_cmp_ne_u16_e64 s[2:3], 0, v16
	s_andn2_b64 s[20:21], s[20:21], exec
	s_and_b64 s[2:3], s[2:3], exec
	v_mov_b32_e32 v12, 0
	s_or_b64 s[20:21], s[20:21], s[2:3]
	s_or_b64 exec, exec, s[22:23]
	s_and_saveexec_b64 s[22:23], s[20:21]
	s_cbranch_execnz .LBB271_1537
	s_branch .LBB271_1538
.LBB271_2056:                           ;   in Loop: Header=BB271_1071 Depth=1
	v_cmp_eq_u16_sdwa s[34:35], v16, s26 src0_sel:BYTE_0 src1_sel:DWORD
	s_mov_b64 s[2:3], -1
                                        ; implicit-def: $sgpr24
	s_and_saveexec_b64 s[22:23], s[34:35]
; %bb.2057:                             ;   in Loop: Header=BB271_1071 Depth=1
	s_mov_b32 s24, 0x7fc02000
	s_xor_b64 s[2:3], exec, -1
; %bb.2058:                             ;   in Loop: Header=BB271_1071 Depth=1
	s_or_b64 exec, exec, s[22:23]
	s_and_b64 s[2:3], s[2:3], exec
	s_or_saveexec_b64 s[20:21], s[20:21]
	v_mov_b32_e32 v22, s24
	s_xor_b64 exec, exec, s[20:21]
	s_cbranch_execz .LBB271_1540
.LBB271_2059:                           ;   in Loop: Header=BB271_1071 Depth=1
	v_cmp_ne_u16_sdwa s[22:23], v16, v17 src0_sel:BYTE_0 src1_sel:DWORD
	s_andn2_b64 s[2:3], s[2:3], exec
	s_and_b64 s[22:23], s[22:23], exec
	v_mov_b32_e32 v22, 0
	s_or_b64 s[2:3], s[2:3], s[22:23]
	s_or_b64 exec, exec, s[20:21]
	s_and_saveexec_b64 s[20:21], s[2:3]
	s_cbranch_execnz .LBB271_1541
	s_branch .LBB271_1542
.LBB271_2060:                           ;   in Loop: Header=BB271_1071 Depth=1
	v_cmp_eq_u16_e64 s[2:3], s26, v16
	s_mov_b64 s[20:21], -1
                                        ; implicit-def: $sgpr34
	s_and_saveexec_b64 s[24:25], s[2:3]
; %bb.2061:                             ;   in Loop: Header=BB271_1071 Depth=1
	s_mov_b32 s34, 0x7fc02000
	s_xor_b64 s[20:21], exec, -1
; %bb.2062:                             ;   in Loop: Header=BB271_1071 Depth=1
	s_or_b64 exec, exec, s[24:25]
	s_and_b64 s[20:21], s[20:21], exec
	s_or_saveexec_b64 s[22:23], s[22:23]
	v_mov_b32_e32 v47, s34
	s_xor_b64 exec, exec, s[22:23]
	s_cbranch_execz .LBB271_1544
.LBB271_2063:                           ;   in Loop: Header=BB271_1071 Depth=1
	v_cmp_ne_u16_e64 s[2:3], 0, v16
	s_andn2_b64 s[20:21], s[20:21], exec
	s_and_b64 s[2:3], s[2:3], exec
	v_mov_b32_e32 v47, 0
	s_or_b64 s[20:21], s[20:21], s[2:3]
	s_or_b64 exec, exec, s[22:23]
	s_and_saveexec_b64 s[22:23], s[20:21]
	s_cbranch_execnz .LBB271_1545
	s_branch .LBB271_1546
.LBB271_2064:                           ;   in Loop: Header=BB271_1071 Depth=1
	v_cmp_eq_u16_sdwa s[34:35], v56, s26 src0_sel:BYTE_0 src1_sel:DWORD
	s_mov_b64 s[2:3], -1
                                        ; implicit-def: $sgpr24
	s_and_saveexec_b64 s[22:23], s[34:35]
; %bb.2065:                             ;   in Loop: Header=BB271_1071 Depth=1
	s_mov_b32 s24, 0x7fc02000
	s_xor_b64 s[2:3], exec, -1
; %bb.2066:                             ;   in Loop: Header=BB271_1071 Depth=1
	s_or_b64 exec, exec, s[22:23]
	s_and_b64 s[2:3], s[2:3], exec
	s_or_saveexec_b64 s[20:21], s[20:21]
	v_mov_b32_e32 v58, s24
	s_xor_b64 exec, exec, s[20:21]
	s_cbranch_execz .LBB271_1550
.LBB271_2067:                           ;   in Loop: Header=BB271_1071 Depth=1
	v_cmp_ne_u16_sdwa s[22:23], v56, v17 src0_sel:BYTE_0 src1_sel:DWORD
	s_andn2_b64 s[2:3], s[2:3], exec
	s_and_b64 s[22:23], s[22:23], exec
	v_mov_b32_e32 v58, 0
	s_or_b64 s[2:3], s[2:3], s[22:23]
	s_or_b64 exec, exec, s[20:21]
	s_and_saveexec_b64 s[20:21], s[2:3]
	s_cbranch_execnz .LBB271_1551
	s_branch .LBB271_1552
.LBB271_2068:                           ;   in Loop: Header=BB271_1071 Depth=1
	v_cmp_eq_u16_e64 s[2:3], s26, v16
	s_mov_b64 s[20:21], -1
                                        ; implicit-def: $sgpr34
	s_and_saveexec_b64 s[24:25], s[2:3]
; %bb.2069:                             ;   in Loop: Header=BB271_1071 Depth=1
	s_mov_b32 s34, 0x7fc02000
	s_xor_b64 s[20:21], exec, -1
; %bb.2070:                             ;   in Loop: Header=BB271_1071 Depth=1
	s_or_b64 exec, exec, s[24:25]
	s_and_b64 s[20:21], s[20:21], exec
	s_or_saveexec_b64 s[22:23], s[22:23]
	v_mov_b32_e32 v44, s34
	s_xor_b64 exec, exec, s[22:23]
	s_cbranch_execz .LBB271_1554
.LBB271_2071:                           ;   in Loop: Header=BB271_1071 Depth=1
	v_cmp_ne_u16_e64 s[2:3], 0, v16
	s_andn2_b64 s[20:21], s[20:21], exec
	s_and_b64 s[2:3], s[2:3], exec
	v_mov_b32_e32 v44, 0
	s_or_b64 s[20:21], s[20:21], s[2:3]
	s_or_b64 exec, exec, s[22:23]
	s_and_saveexec_b64 s[22:23], s[20:21]
	s_cbranch_execnz .LBB271_1555
	s_branch .LBB271_1556
.LBB271_2072:                           ;   in Loop: Header=BB271_1071 Depth=1
	v_cmp_eq_u16_sdwa s[34:35], v16, s26 src0_sel:BYTE_0 src1_sel:DWORD
	s_mov_b64 s[2:3], -1
                                        ; implicit-def: $sgpr24
	s_and_saveexec_b64 s[22:23], s[34:35]
; %bb.2073:                             ;   in Loop: Header=BB271_1071 Depth=1
	s_mov_b32 s24, 0x7fc02000
	s_xor_b64 s[2:3], exec, -1
; %bb.2074:                             ;   in Loop: Header=BB271_1071 Depth=1
	s_or_b64 exec, exec, s[22:23]
	s_and_b64 s[2:3], s[2:3], exec
	s_or_saveexec_b64 s[20:21], s[20:21]
	v_mov_b32_e32 v59, s24
	s_xor_b64 exec, exec, s[20:21]
	s_cbranch_execz .LBB271_1558
.LBB271_2075:                           ;   in Loop: Header=BB271_1071 Depth=1
	v_cmp_ne_u16_sdwa s[22:23], v16, v17 src0_sel:BYTE_0 src1_sel:DWORD
	s_andn2_b64 s[2:3], s[2:3], exec
	s_and_b64 s[22:23], s[22:23], exec
	v_mov_b32_e32 v59, 0
	s_or_b64 s[2:3], s[2:3], s[22:23]
	s_or_b64 exec, exec, s[20:21]
	s_and_saveexec_b64 s[20:21], s[2:3]
	s_cbranch_execnz .LBB271_1559
	s_branch .LBB271_1560
.LBB271_2076:                           ;   in Loop: Header=BB271_1071 Depth=1
	v_cmp_eq_u16_e64 s[2:3], s26, v16
	s_mov_b64 s[20:21], -1
                                        ; implicit-def: $sgpr34
	s_and_saveexec_b64 s[24:25], s[2:3]
; %bb.2077:                             ;   in Loop: Header=BB271_1071 Depth=1
	s_mov_b32 s34, 0x7fc02000
	s_xor_b64 s[20:21], exec, -1
; %bb.2078:                             ;   in Loop: Header=BB271_1071 Depth=1
	s_or_b64 exec, exec, s[24:25]
	s_and_b64 s[20:21], s[20:21], exec
	s_or_saveexec_b64 s[22:23], s[22:23]
	v_mov_b32_e32 v45, s34
	s_xor_b64 exec, exec, s[22:23]
	s_cbranch_execz .LBB271_1562
.LBB271_2079:                           ;   in Loop: Header=BB271_1071 Depth=1
	v_cmp_ne_u16_e64 s[2:3], 0, v16
	s_andn2_b64 s[20:21], s[20:21], exec
	s_and_b64 s[2:3], s[2:3], exec
	v_mov_b32_e32 v45, 0
	s_or_b64 s[20:21], s[20:21], s[2:3]
	s_or_b64 exec, exec, s[22:23]
	s_and_saveexec_b64 s[22:23], s[20:21]
	s_cbranch_execnz .LBB271_1563
	s_branch .LBB271_1564
.LBB271_2080:                           ;   in Loop: Header=BB271_1071 Depth=1
	v_cmp_eq_u16_sdwa s[34:35], v57, s26 src0_sel:BYTE_0 src1_sel:DWORD
	s_mov_b64 s[2:3], -1
                                        ; implicit-def: $sgpr24
	s_and_saveexec_b64 s[22:23], s[34:35]
; %bb.2081:                             ;   in Loop: Header=BB271_1071 Depth=1
	s_mov_b32 s24, 0x7fc02000
	s_xor_b64 s[2:3], exec, -1
; %bb.2082:                             ;   in Loop: Header=BB271_1071 Depth=1
	s_or_b64 exec, exec, s[22:23]
	s_and_b64 s[2:3], s[2:3], exec
	s_or_saveexec_b64 s[20:21], s[20:21]
	v_mov_b32_e32 v12, s24
	s_xor_b64 exec, exec, s[20:21]
	s_cbranch_execz .LBB271_1566
.LBB271_2083:                           ;   in Loop: Header=BB271_1071 Depth=1
	v_cmp_ne_u16_sdwa s[22:23], v57, v17 src0_sel:BYTE_0 src1_sel:DWORD
	s_andn2_b64 s[2:3], s[2:3], exec
	s_and_b64 s[22:23], s[22:23], exec
	v_mov_b32_e32 v12, 0
	s_or_b64 s[2:3], s[2:3], s[22:23]
	s_or_b64 exec, exec, s[20:21]
	v_mov_b32_e32 v16, v57
	s_and_saveexec_b64 s[20:21], s[2:3]
	s_cbranch_execnz .LBB271_1567
	s_branch .LBB271_1568
.LBB271_2084:                           ;   in Loop: Header=BB271_1071 Depth=1
	v_cmp_eq_u16_e64 s[2:3], s26, v16
	s_mov_b64 s[20:21], -1
                                        ; implicit-def: $sgpr34
	s_and_saveexec_b64 s[24:25], s[2:3]
; %bb.2085:                             ;   in Loop: Header=BB271_1071 Depth=1
	s_mov_b32 s34, 0x7fc02000
	s_xor_b64 s[20:21], exec, -1
; %bb.2086:                             ;   in Loop: Header=BB271_1071 Depth=1
	s_or_b64 exec, exec, s[24:25]
	s_and_b64 s[20:21], s[20:21], exec
	s_or_saveexec_b64 s[22:23], s[22:23]
	v_mov_b32_e32 v23, s34
	s_xor_b64 exec, exec, s[22:23]
	s_cbranch_execz .LBB271_1570
.LBB271_2087:                           ;   in Loop: Header=BB271_1071 Depth=1
	v_cmp_ne_u16_e64 s[2:3], 0, v16
	s_andn2_b64 s[20:21], s[20:21], exec
	s_and_b64 s[2:3], s[2:3], exec
	v_mov_b32_e32 v23, 0
	s_or_b64 s[20:21], s[20:21], s[2:3]
	s_or_b64 exec, exec, s[22:23]
	s_and_saveexec_b64 s[22:23], s[20:21]
	s_cbranch_execnz .LBB271_1571
	s_branch .LBB271_1572
.LBB271_2088:                           ;   in Loop: Header=BB271_1071 Depth=1
	v_cmp_eq_u16_sdwa s[34:35], v16, s26 src0_sel:BYTE_0 src1_sel:DWORD
	s_mov_b64 s[2:3], -1
                                        ; implicit-def: $sgpr24
	s_and_saveexec_b64 s[22:23], s[34:35]
; %bb.2089:                             ;   in Loop: Header=BB271_1071 Depth=1
	s_mov_b32 s24, 0x7fc02000
	s_xor_b64 s[2:3], exec, -1
; %bb.2090:                             ;   in Loop: Header=BB271_1071 Depth=1
	s_or_b64 exec, exec, s[22:23]
	s_and_b64 s[2:3], s[2:3], exec
	s_or_saveexec_b64 s[20:21], s[20:21]
	v_mov_b32_e32 v47, s24
	s_xor_b64 exec, exec, s[20:21]
	s_cbranch_execz .LBB271_1574
.LBB271_2091:                           ;   in Loop: Header=BB271_1071 Depth=1
	v_cmp_ne_u16_sdwa s[22:23], v16, v17 src0_sel:BYTE_0 src1_sel:DWORD
	s_andn2_b64 s[2:3], s[2:3], exec
	s_and_b64 s[22:23], s[22:23], exec
	v_mov_b32_e32 v47, 0
	s_or_b64 s[2:3], s[2:3], s[22:23]
	s_or_b64 exec, exec, s[20:21]
	s_and_saveexec_b64 s[20:21], s[2:3]
	s_cbranch_execnz .LBB271_1575
	s_branch .LBB271_1576
.LBB271_2092:                           ;   in Loop: Header=BB271_1071 Depth=1
	v_cmp_eq_u16_e64 s[2:3], s26, v16
	s_mov_b64 s[20:21], -1
                                        ; implicit-def: $sgpr34
	s_and_saveexec_b64 s[24:25], s[2:3]
; %bb.2093:                             ;   in Loop: Header=BB271_1071 Depth=1
	s_mov_b32 s34, 0x7fc02000
	s_xor_b64 s[20:21], exec, -1
; %bb.2094:                             ;   in Loop: Header=BB271_1071 Depth=1
	s_or_b64 exec, exec, s[24:25]
	s_and_b64 s[20:21], s[20:21], exec
	s_or_saveexec_b64 s[22:23], s[22:23]
	v_mov_b32_e32 v56, s34
	s_xor_b64 exec, exec, s[22:23]
	s_cbranch_execz .LBB271_1578
.LBB271_2095:                           ;   in Loop: Header=BB271_1071 Depth=1
	v_cmp_ne_u16_e64 s[2:3], 0, v16
	s_andn2_b64 s[20:21], s[20:21], exec
	s_and_b64 s[2:3], s[2:3], exec
	v_mov_b32_e32 v56, 0
	s_or_b64 s[20:21], s[20:21], s[2:3]
	s_or_b64 exec, exec, s[22:23]
	s_and_saveexec_b64 s[22:23], s[20:21]
	s_cbranch_execnz .LBB271_1579
	s_branch .LBB271_1580
.LBB271_2096:                           ;   in Loop: Header=BB271_1071 Depth=1
	v_cmp_eq_u16_sdwa s[34:35], v46, s26 src0_sel:BYTE_0 src1_sel:DWORD
	s_mov_b64 s[2:3], -1
                                        ; implicit-def: $sgpr24
	s_and_saveexec_b64 s[22:23], s[34:35]
; %bb.2097:                             ;   in Loop: Header=BB271_1071 Depth=1
	s_mov_b32 s24, 0x7fc02000
	s_xor_b64 s[2:3], exec, -1
; %bb.2098:                             ;   in Loop: Header=BB271_1071 Depth=1
	s_or_b64 exec, exec, s[22:23]
	s_and_b64 s[2:3], s[2:3], exec
	s_or_saveexec_b64 s[20:21], s[20:21]
	v_mov_b32_e32 v56, s24
	s_xor_b64 exec, exec, s[20:21]
	s_cbranch_execz .LBB271_1584
.LBB271_2099:                           ;   in Loop: Header=BB271_1071 Depth=1
	v_cmp_ne_u16_sdwa s[22:23], v46, v17 src0_sel:BYTE_0 src1_sel:DWORD
	s_andn2_b64 s[2:3], s[2:3], exec
	s_and_b64 s[22:23], s[22:23], exec
	v_mov_b32_e32 v56, 0
	s_or_b64 s[2:3], s[2:3], s[22:23]
	s_or_b64 exec, exec, s[20:21]
	s_and_saveexec_b64 s[20:21], s[2:3]
	s_cbranch_execnz .LBB271_1585
	s_branch .LBB271_1586
.LBB271_2100:                           ;   in Loop: Header=BB271_1071 Depth=1
	v_cmp_eq_u16_e64 s[2:3], s26, v16
	s_mov_b64 s[20:21], -1
                                        ; implicit-def: $sgpr34
	s_and_saveexec_b64 s[24:25], s[2:3]
; %bb.2101:                             ;   in Loop: Header=BB271_1071 Depth=1
	s_mov_b32 s34, 0x7fc02000
	s_xor_b64 s[20:21], exec, -1
; %bb.2102:                             ;   in Loop: Header=BB271_1071 Depth=1
	s_or_b64 exec, exec, s[24:25]
	s_and_b64 s[20:21], s[20:21], exec
	s_or_saveexec_b64 s[22:23], s[22:23]
	v_mov_b32_e32 v44, s34
	s_xor_b64 exec, exec, s[22:23]
	s_cbranch_execz .LBB271_1588
.LBB271_2103:                           ;   in Loop: Header=BB271_1071 Depth=1
	v_cmp_ne_u16_e64 s[2:3], 0, v16
	s_andn2_b64 s[20:21], s[20:21], exec
	s_and_b64 s[2:3], s[2:3], exec
	v_mov_b32_e32 v44, 0
	s_or_b64 s[20:21], s[20:21], s[2:3]
	s_or_b64 exec, exec, s[22:23]
	s_and_saveexec_b64 s[22:23], s[20:21]
	s_cbranch_execnz .LBB271_1589
	s_branch .LBB271_1590
.LBB271_2104:                           ;   in Loop: Header=BB271_1071 Depth=1
	v_cmp_eq_u16_sdwa s[34:35], v16, s26 src0_sel:BYTE_0 src1_sel:DWORD
	s_mov_b64 s[2:3], -1
                                        ; implicit-def: $sgpr24
	s_and_saveexec_b64 s[22:23], s[34:35]
; %bb.2105:                             ;   in Loop: Header=BB271_1071 Depth=1
	s_mov_b32 s24, 0x7fc02000
	s_xor_b64 s[2:3], exec, -1
; %bb.2106:                             ;   in Loop: Header=BB271_1071 Depth=1
	s_or_b64 exec, exec, s[22:23]
	s_and_b64 s[2:3], s[2:3], exec
	s_or_saveexec_b64 s[20:21], s[20:21]
	v_mov_b32_e32 v57, s24
	s_xor_b64 exec, exec, s[20:21]
	s_cbranch_execz .LBB271_1592
.LBB271_2107:                           ;   in Loop: Header=BB271_1071 Depth=1
	v_cmp_ne_u16_sdwa s[22:23], v16, v17 src0_sel:BYTE_0 src1_sel:DWORD
	s_andn2_b64 s[2:3], s[2:3], exec
	s_and_b64 s[22:23], s[22:23], exec
	v_mov_b32_e32 v57, 0
	s_or_b64 s[2:3], s[2:3], s[22:23]
	s_or_b64 exec, exec, s[20:21]
	s_and_saveexec_b64 s[20:21], s[2:3]
	s_cbranch_execnz .LBB271_1593
	s_branch .LBB271_1594
.LBB271_2108:                           ;   in Loop: Header=BB271_1071 Depth=1
	v_cmp_eq_u16_e64 s[2:3], s26, v16
	s_mov_b64 s[20:21], -1
                                        ; implicit-def: $sgpr34
	s_and_saveexec_b64 s[24:25], s[2:3]
; %bb.2109:                             ;   in Loop: Header=BB271_1071 Depth=1
	s_mov_b32 s34, 0x7fc02000
	s_xor_b64 s[20:21], exec, -1
; %bb.2110:                             ;   in Loop: Header=BB271_1071 Depth=1
	s_or_b64 exec, exec, s[24:25]
	s_and_b64 s[20:21], s[20:21], exec
	s_or_saveexec_b64 s[22:23], s[22:23]
	v_mov_b32_e32 v45, s34
	s_xor_b64 exec, exec, s[22:23]
	s_cbranch_execz .LBB271_1596
.LBB271_2111:                           ;   in Loop: Header=BB271_1071 Depth=1
	v_cmp_ne_u16_e64 s[2:3], 0, v16
	s_andn2_b64 s[20:21], s[20:21], exec
	s_and_b64 s[2:3], s[2:3], exec
	v_mov_b32_e32 v45, 0
	s_or_b64 s[20:21], s[20:21], s[2:3]
	s_or_b64 exec, exec, s[22:23]
	s_and_saveexec_b64 s[22:23], s[20:21]
	s_cbranch_execnz .LBB271_1597
	s_branch .LBB271_1598
.LBB271_2112:                           ;   in Loop: Header=BB271_1071 Depth=1
	v_cmp_eq_u16_sdwa s[34:35], v47, s26 src0_sel:BYTE_0 src1_sel:DWORD
	s_mov_b64 s[2:3], -1
                                        ; implicit-def: $sgpr24
	s_and_saveexec_b64 s[22:23], s[34:35]
; %bb.2113:                             ;   in Loop: Header=BB271_1071 Depth=1
	s_mov_b32 s24, 0x7fc02000
	s_xor_b64 s[2:3], exec, -1
; %bb.2114:                             ;   in Loop: Header=BB271_1071 Depth=1
	s_or_b64 exec, exec, s[22:23]
	s_and_b64 s[2:3], s[2:3], exec
	s_or_saveexec_b64 s[20:21], s[20:21]
	v_mov_b32_e32 v15, s24
	s_xor_b64 exec, exec, s[20:21]
	s_cbranch_execz .LBB271_1600
.LBB271_2115:                           ;   in Loop: Header=BB271_1071 Depth=1
	v_cmp_ne_u16_sdwa s[22:23], v47, v17 src0_sel:BYTE_0 src1_sel:DWORD
	s_andn2_b64 s[2:3], s[2:3], exec
	s_and_b64 s[22:23], s[22:23], exec
	v_mov_b32_e32 v15, 0
	s_or_b64 s[2:3], s[2:3], s[22:23]
	s_or_b64 exec, exec, s[20:21]
	v_mov_b32_e32 v16, v47
	s_and_saveexec_b64 s[20:21], s[2:3]
	s_cbranch_execnz .LBB271_1601
	s_branch .LBB271_1602
.LBB271_2116:                           ;   in Loop: Header=BB271_1071 Depth=1
	v_cmp_eq_u16_e64 s[2:3], s26, v16
	s_mov_b64 s[20:21], -1
                                        ; implicit-def: $sgpr34
	s_and_saveexec_b64 s[24:25], s[2:3]
; %bb.2117:                             ;   in Loop: Header=BB271_1071 Depth=1
	s_mov_b32 s34, 0x7fc02000
	s_xor_b64 s[20:21], exec, -1
; %bb.2118:                             ;   in Loop: Header=BB271_1071 Depth=1
	s_or_b64 exec, exec, s[24:25]
	s_and_b64 s[20:21], s[20:21], exec
	s_or_saveexec_b64 s[22:23], s[22:23]
	v_mov_b32_e32 v46, s34
	s_xor_b64 exec, exec, s[22:23]
	s_cbranch_execz .LBB271_1604
.LBB271_2119:                           ;   in Loop: Header=BB271_1071 Depth=1
	v_cmp_ne_u16_e64 s[2:3], 0, v16
	s_andn2_b64 s[20:21], s[20:21], exec
	s_and_b64 s[2:3], s[2:3], exec
	v_mov_b32_e32 v46, 0
	s_or_b64 s[20:21], s[20:21], s[2:3]
	s_or_b64 exec, exec, s[22:23]
	s_and_saveexec_b64 s[22:23], s[20:21]
	s_cbranch_execnz .LBB271_1605
	s_branch .LBB271_1606
.LBB271_2120:                           ;   in Loop: Header=BB271_1071 Depth=1
	v_cmp_eq_u16_sdwa s[34:35], v16, s26 src0_sel:BYTE_0 src1_sel:DWORD
	s_mov_b64 s[2:3], -1
                                        ; implicit-def: $sgpr24
	s_and_saveexec_b64 s[22:23], s[34:35]
; %bb.2121:                             ;   in Loop: Header=BB271_1071 Depth=1
	s_mov_b32 s24, 0x7fc02000
	s_xor_b64 s[2:3], exec, -1
; %bb.2122:                             ;   in Loop: Header=BB271_1071 Depth=1
	s_or_b64 exec, exec, s[22:23]
	s_and_b64 s[2:3], s[2:3], exec
	s_or_saveexec_b64 s[20:21], s[20:21]
	v_mov_b32_e32 v58, s24
	s_xor_b64 exec, exec, s[20:21]
	s_cbranch_execz .LBB271_1608
.LBB271_2123:                           ;   in Loop: Header=BB271_1071 Depth=1
	v_cmp_ne_u16_sdwa s[22:23], v16, v17 src0_sel:BYTE_0 src1_sel:DWORD
	s_andn2_b64 s[2:3], s[2:3], exec
	s_and_b64 s[22:23], s[22:23], exec
	v_mov_b32_e32 v58, 0
	s_or_b64 s[2:3], s[2:3], s[22:23]
	s_or_b64 exec, exec, s[20:21]
	s_and_saveexec_b64 s[20:21], s[2:3]
	s_cbranch_execnz .LBB271_1609
	s_branch .LBB271_1610
.LBB271_2124:                           ;   in Loop: Header=BB271_1071 Depth=1
	v_cmp_eq_u16_e64 s[2:3], s26, v16
	s_mov_b64 s[20:21], -1
                                        ; implicit-def: $sgpr34
	s_and_saveexec_b64 s[24:25], s[2:3]
; %bb.2125:                             ;   in Loop: Header=BB271_1071 Depth=1
	s_mov_b32 s34, 0x7fc02000
	s_xor_b64 s[20:21], exec, -1
; %bb.2126:                             ;   in Loop: Header=BB271_1071 Depth=1
	s_or_b64 exec, exec, s[24:25]
	s_and_b64 s[20:21], s[20:21], exec
	s_or_saveexec_b64 s[22:23], s[22:23]
	v_mov_b32_e32 v59, s34
	s_xor_b64 exec, exec, s[22:23]
	s_cbranch_execz .LBB271_1612
.LBB271_2127:                           ;   in Loop: Header=BB271_1071 Depth=1
	v_cmp_ne_u16_e64 s[2:3], 0, v16
	s_andn2_b64 s[20:21], s[20:21], exec
	s_and_b64 s[2:3], s[2:3], exec
	v_mov_b32_e32 v59, 0
	s_or_b64 s[20:21], s[20:21], s[2:3]
	s_or_b64 exec, exec, s[22:23]
	s_and_saveexec_b64 s[22:23], s[20:21]
	s_cbranch_execnz .LBB271_1613
	s_branch .LBB271_1614
.LBB271_2128:
	s_or_b64 exec, exec, s[8:9]
	v_accvgpr_read_b32 v11, a17
.LBB271_2129:
	s_or_b64 exec, exec, s[4:5]
	v_accvgpr_read_b32 v27, a16
	ds_bpermute_b32 v0, v27, v52
	ds_bpermute_b32 v1, v27, v53
	;; [unrolled: 1-line block ×5, first 2 shown]
	v_mov_b32_e32 v36, v11
	s_waitcnt lgkmcnt(3)
	v_pk_add_f32 v[0:1], v[52:53], v[0:1]
	ds_bpermute_b32 v6, v11, v0
	ds_bpermute_b32 v7, v11, v1
	;; [unrolled: 1-line block ×3, first 2 shown]
	s_waitcnt lgkmcnt(4)
	v_pk_add_f32 v[12:13], v[34:35], v[2:3]
	ds_bpermute_b32 v16, v27, v30
	ds_bpermute_b32 v17, v27, v31
	s_waitcnt lgkmcnt(3)
	v_pk_add_f32 v[2:3], v[0:1], v[6:7]
	s_waitcnt lgkmcnt(2)
	v_pk_add_f32 v[0:1], v[32:33], v[10:11]
	ds_bpermute_b32 v10, v36, v0
	ds_bpermute_b32 v11, v36, v1
	;; [unrolled: 1-line block ×4, first 2 shown]
	s_waitcnt lgkmcnt(0)
	s_barrier
	v_pk_add_f32 v[10:11], v[0:1], v[10:11]
	v_pk_add_f32 v[0:1], v[30:31], v[16:17]
	;; [unrolled: 1-line block ×3, first 2 shown]
	ds_bpermute_b32 v14, v36, v0
	ds_bpermute_b32 v15, v36, v1
	;; [unrolled: 1-line block ×4, first 2 shown]
	s_waitcnt lgkmcnt(0)
	ds_bpermute_b32 v12, v27, v28
	ds_bpermute_b32 v13, v27, v29
	;; [unrolled: 1-line block ×3, first 2 shown]
	v_pk_add_f32 v[20:21], v[20:21], v[16:17]
	v_pk_add_f32 v[16:17], v[0:1], v[14:15]
	scratch_load_dword v0, off, s32 offset:600 ; 4-byte Folded Reload
	ds_bpermute_b32 v23, v27, v9
	s_waitcnt lgkmcnt(2)
	v_pk_add_f32 v[12:13], v[28:29], v[12:13]
	ds_bpermute_b32 v26, v27, v4
	ds_bpermute_b32 v27, v27, v5
	;; [unrolled: 1-line block ×4, first 2 shown]
	s_waitcnt lgkmcnt(4)
	v_pk_add_f32 v[8:9], v[8:9], v[22:23]
	ds_bpermute_b32 v24, v36, v20
	ds_bpermute_b32 v25, v36, v21
	;; [unrolled: 1-line block ×4, first 2 shown]
	s_waitcnt lgkmcnt(6)
	v_pk_add_f32 v[4:5], v[4:5], v[26:27]
	s_waitcnt lgkmcnt(4)
	v_pk_add_f32 v[14:15], v[12:13], v[18:19]
	ds_bpermute_b32 v18, v36, v4
	ds_bpermute_b32 v19, v36, v5
	s_waitcnt lgkmcnt(4)
	v_pk_add_f32 v[12:13], v[20:21], v[24:25]
	s_waitcnt lgkmcnt(2)
	v_pk_add_f32 v[8:9], v[8:9], v[22:23]
	s_waitcnt vmcnt(0)
	v_and_b32_e32 v0, 0x3c3, v0
	v_cmp_ne_u32_e32 vcc, 64, v0
	s_and_saveexec_b64 s[2:3], vcc
	s_xor_b64 s[2:3], exec, s[2:3]
; %bb.2130:
                                        ; implicit-def: $agpr15
; %bb.2131:
	s_or_saveexec_b64 s[2:3], s[2:3]
	s_waitcnt lgkmcnt(0)
	v_pk_add_f32 v[4:5], v[4:5], v[18:19]
	s_xor_b64 exec, exec, s[2:3]
	s_cbranch_execz .LBB271_2133
; %bb.2132:
	s_ashr_i32 s17, s16, 31
	s_lshl_b64 s[4:5], s[16:17], 2
	s_getpc_b64 s[6:7]
	s_add_u32 s6, s6, llvm.amdgcn.dynlds.offset.table@rel32@lo+4
	s_addc_u32 s7, s7, llvm.amdgcn.dynlds.offset.table@rel32@hi+12
	s_add_u32 s4, s4, s6
	s_addc_u32 s5, s5, s7
	s_load_dword s4, s[4:5], 0x0
	v_accvgpr_read_b32 v1, a15
	s_waitcnt lgkmcnt(0)
	v_add_u32_e32 v1, s4, v1
	ds_write2_b32 v1, v2, v3 offset1:16
	ds_write2_b32 v1, v6, v7 offset0:32 offset1:48
	ds_write2_b32 v1, v10, v11 offset0:64 offset1:80
	;; [unrolled: 1-line block ×7, first 2 shown]
.LBB271_2133:
	s_or_b64 exec, exec, s[2:3]
	s_waitcnt lgkmcnt(0)
	s_barrier
	s_and_saveexec_b64 s[2:3], s[0:1]
	s_cbranch_execz .LBB271_2152
; %bb.2134:
	v_accvgpr_read_b32 v1, a18
	v_cmp_eq_u32_e32 vcc, 0, v1
	scratch_load_dword v1, off, s32 offset:600 ; 4-byte Folded Reload
	s_waitcnt vmcnt(0)
	v_lshrrev_b32_e32 v1, 2, v1
	s_and_saveexec_b64 s[0:1], vcc
	s_cbranch_execnz .LBB271_2155
; %bb.2135:
	s_or_b64 exec, exec, s[0:1]
	s_and_saveexec_b64 s[0:1], vcc
	s_cbranch_execnz .LBB271_2156
.LBB271_2136:
	s_or_b64 exec, exec, s[0:1]
	s_and_saveexec_b64 s[0:1], vcc
	s_cbranch_execnz .LBB271_2157
.LBB271_2137:
	s_or_b64 exec, exec, s[0:1]
	s_and_saveexec_b64 s[0:1], vcc
	s_cbranch_execnz .LBB271_2158
.LBB271_2138:
	s_or_b64 exec, exec, s[0:1]
	s_and_saveexec_b64 s[0:1], vcc
	s_cbranch_execnz .LBB271_2159
.LBB271_2139:
	s_or_b64 exec, exec, s[0:1]
	s_and_saveexec_b64 s[0:1], vcc
	s_cbranch_execnz .LBB271_2160
.LBB271_2140:
	s_or_b64 exec, exec, s[0:1]
	s_and_saveexec_b64 s[0:1], vcc
	s_cbranch_execnz .LBB271_2161
.LBB271_2141:
	s_or_b64 exec, exec, s[0:1]
	s_and_saveexec_b64 s[0:1], vcc
	s_cbranch_execnz .LBB271_2162
.LBB271_2142:
	s_or_b64 exec, exec, s[0:1]
	s_and_saveexec_b64 s[0:1], vcc
	s_cbranch_execnz .LBB271_2163
.LBB271_2143:
	s_or_b64 exec, exec, s[0:1]
	s_and_saveexec_b64 s[0:1], vcc
	s_cbranch_execnz .LBB271_2164
.LBB271_2144:
	s_or_b64 exec, exec, s[0:1]
	s_and_saveexec_b64 s[0:1], vcc
	s_cbranch_execnz .LBB271_2165
.LBB271_2145:
	s_or_b64 exec, exec, s[0:1]
	s_and_saveexec_b64 s[0:1], vcc
	s_cbranch_execnz .LBB271_2166
.LBB271_2146:
	s_or_b64 exec, exec, s[0:1]
	s_and_saveexec_b64 s[0:1], vcc
	s_cbranch_execnz .LBB271_2167
.LBB271_2147:
	s_or_b64 exec, exec, s[0:1]
	s_and_saveexec_b64 s[0:1], vcc
	s_cbranch_execnz .LBB271_2168
.LBB271_2148:
	s_or_b64 exec, exec, s[0:1]
	s_and_saveexec_b64 s[0:1], vcc
	s_cbranch_execnz .LBB271_2169
.LBB271_2149:
	s_or_b64 exec, exec, s[0:1]
	s_and_saveexec_b64 s[0:1], vcc
	s_cbranch_execz .LBB271_2151
.LBB271_2150:
	s_ashr_i32 s17, s16, 31
	s_lshl_b64 s[4:5], s[16:17], 2
	s_getpc_b64 s[6:7]
	s_add_u32 s6, s6, llvm.amdgcn.dynlds.offset.table@rel32@lo+4
	s_addc_u32 s7, s7, llvm.amdgcn.dynlds.offset.table@rel32@hi+12
	s_add_u32 s4, s4, s6
	s_addc_u32 s5, s5, s7
	s_load_dword s4, s[4:5], 0x0
	s_waitcnt lgkmcnt(0)
	v_lshl_add_u32 v1, v1, 2, s4
	ds_read_b32 v1, v1 offset:960
	s_waitcnt lgkmcnt(0)
	v_add_f32_e32 v5, v1, v5
.LBB271_2151:
	s_or_b64 exec, exec, s[0:1]
.LBB271_2152:
	s_or_b64 exec, exec, s[2:3]
	v_cmp_eq_u32_e32 vcc, 0, v0
	s_barrier
	s_and_saveexec_b64 s[0:1], vcc
	s_cbranch_execz .LBB271_2154
; %bb.2153:
	scratch_load_dwordx2 v[0:1], off, s32 offset:660 ; 8-byte Folded Reload
	scratch_load_dword v18, off, s32 offset:600 ; 4-byte Folded Reload
	v_cmp_ne_u16_e64 s[2:3], s19, 0
	s_cmp_lg_u64 s[2:3], 0
	s_addc_u32 s4, s15, 0
	s_mul_i32 s2, s10, s4
	s_mul_i32 s2, s2, s11
	s_lshl_b32 s2, s2, 8
	s_mul_i32 s4, s18, s4
	s_lshl_b32 s6, s14, 8
	s_ashr_i32 s3, s2, 31
	s_ashr_i32 s5, s4, 31
	;; [unrolled: 1-line block ×3, first 2 shown]
	s_lshl_b64 s[2:3], s[2:3], 1
	s_lshl_b64 s[4:5], s[4:5], 1
	;; [unrolled: 1-line block ×3, first 2 shown]
	s_add_u32 s4, s6, s4
	s_addc_u32 s5, s7, s5
	s_add_u32 s2, s4, s2
	s_addc_u32 s3, s5, s3
	v_mov_b32_e32 v19, 0
	;;#ASMSTART
	v_cvt_f16_f32 v2, v2;

	;;#ASMEND
	s_waitcnt vmcnt(1)
	v_lshl_add_u64 v[0:1], s[2:3], 0, v[0:1]
	s_waitcnt vmcnt(0)
	v_lshrrev_b32_e32 v18, 1, v18
	v_lshl_add_u64 v[0:1], v[0:1], 0, v[18:19]
	flat_store_short v[0:1], v2
	;;#ASMSTART
	v_cvt_f16_f32 v2, v3;

	;;#ASMEND
	flat_store_short v[0:1], v2 offset:32
	;;#ASMSTART
	v_cvt_f16_f32 v2, v6;

	;;#ASMEND
	flat_store_short v[0:1], v2 offset:64
	;;#ASMSTART
	v_cvt_f16_f32 v2, v7;

	;;#ASMEND
	flat_store_short v[0:1], v2 offset:96
	;;#ASMSTART
	v_cvt_f16_f32 v2, v10;

	;;#ASMEND
	flat_store_short v[0:1], v2 offset:128
	;;#ASMSTART
	v_cvt_f16_f32 v2, v11;

	;;#ASMEND
	flat_store_short v[0:1], v2 offset:160
	;;#ASMSTART
	v_cvt_f16_f32 v2, v16;

	;;#ASMEND
	flat_store_short v[0:1], v2 offset:192
	;;#ASMSTART
	v_cvt_f16_f32 v2, v17;

	;;#ASMEND
	flat_store_short v[0:1], v2 offset:224
	;;#ASMSTART
	v_cvt_f16_f32 v2, v14;

	;;#ASMEND
	flat_store_short v[0:1], v2 offset:256
	;;#ASMSTART
	v_cvt_f16_f32 v2, v15;

	;;#ASMEND
	flat_store_short v[0:1], v2 offset:288
	;;#ASMSTART
	v_cvt_f16_f32 v2, v12;

	;;#ASMEND
	flat_store_short v[0:1], v2 offset:320
	;;#ASMSTART
	v_cvt_f16_f32 v2, v13;

	;;#ASMEND
	flat_store_short v[0:1], v2 offset:352
	;;#ASMSTART
	v_cvt_f16_f32 v2, v8;

	;;#ASMEND
	flat_store_short v[0:1], v2 offset:384
	;;#ASMSTART
	v_cvt_f16_f32 v2, v9;

	;;#ASMEND
	flat_store_short v[0:1], v2 offset:416
	;;#ASMSTART
	v_cvt_f16_f32 v2, v4;

	;;#ASMEND
	flat_store_short v[0:1], v2 offset:448
	;;#ASMSTART
	v_cvt_f16_f32 v2, v5;

	;;#ASMEND
	flat_store_short v[0:1], v2 offset:480
.LBB271_2154:
	s_or_b64 exec, exec, s[0:1]
	scratch_load_dword a63, off, s32        ; 4-byte Folded Reload
	scratch_load_dword a62, off, s32 offset:4 ; 4-byte Folded Reload
	scratch_load_dword a61, off, s32 offset:8 ; 4-byte Folded Reload
	;; [unrolled: 1-line block ×46, first 2 shown]
	v_readlane_b32 s30, v63, 18
	v_readlane_b32 s31, v63, 19
	;; [unrolled: 1-line block ×20, first 2 shown]
	s_or_saveexec_b64 s[0:1], -1
	scratch_load_dword v63, off, s32 offset:720 ; 4-byte Folded Reload
	s_mov_b64 exec, s[0:1]
	s_waitcnt vmcnt(0) lgkmcnt(0)
	s_setpc_b64 s[30:31]
.LBB271_2155:
	s_ashr_i32 s17, s16, 31
	s_lshl_b64 s[4:5], s[16:17], 2
	s_getpc_b64 s[6:7]
	s_add_u32 s6, s6, llvm.amdgcn.dynlds.offset.table@rel32@lo+4
	s_addc_u32 s7, s7, llvm.amdgcn.dynlds.offset.table@rel32@hi+12
	s_add_u32 s4, s4, s6
	s_addc_u32 s5, s5, s7
	s_load_dword s4, s[4:5], 0x0
	s_waitcnt lgkmcnt(0)
	v_lshl_add_u32 v18, v1, 2, s4
	ds_read_b32 v18, v18
	s_waitcnt lgkmcnt(0)
	v_add_f32_e32 v2, v18, v2
	s_or_b64 exec, exec, s[0:1]
	s_and_saveexec_b64 s[0:1], vcc
	s_cbranch_execz .LBB271_2136
.LBB271_2156:
	s_ashr_i32 s17, s16, 31
	s_lshl_b64 s[4:5], s[16:17], 2
	s_getpc_b64 s[6:7]
	s_add_u32 s6, s6, llvm.amdgcn.dynlds.offset.table@rel32@lo+4
	s_addc_u32 s7, s7, llvm.amdgcn.dynlds.offset.table@rel32@hi+12
	s_add_u32 s4, s4, s6
	s_addc_u32 s5, s5, s7
	s_load_dword s4, s[4:5], 0x0
	s_waitcnt lgkmcnt(0)
	v_lshl_add_u32 v18, v1, 2, s4
	ds_read_b32 v18, v18 offset:64
	s_waitcnt lgkmcnt(0)
	v_add_f32_e32 v3, v18, v3
	s_or_b64 exec, exec, s[0:1]
	s_and_saveexec_b64 s[0:1], vcc
	s_cbranch_execz .LBB271_2137
.LBB271_2157:
	s_ashr_i32 s17, s16, 31
	s_lshl_b64 s[4:5], s[16:17], 2
	s_getpc_b64 s[6:7]
	s_add_u32 s6, s6, llvm.amdgcn.dynlds.offset.table@rel32@lo+4
	s_addc_u32 s7, s7, llvm.amdgcn.dynlds.offset.table@rel32@hi+12
	s_add_u32 s4, s4, s6
	s_addc_u32 s5, s5, s7
	s_load_dword s4, s[4:5], 0x0
	s_waitcnt lgkmcnt(0)
	v_lshl_add_u32 v18, v1, 2, s4
	ds_read_b32 v18, v18 offset:128
	s_waitcnt lgkmcnt(0)
	v_add_f32_e32 v6, v18, v6
	s_or_b64 exec, exec, s[0:1]
	s_and_saveexec_b64 s[0:1], vcc
	s_cbranch_execz .LBB271_2138
.LBB271_2158:
	s_ashr_i32 s17, s16, 31
	s_lshl_b64 s[4:5], s[16:17], 2
	s_getpc_b64 s[6:7]
	s_add_u32 s6, s6, llvm.amdgcn.dynlds.offset.table@rel32@lo+4
	s_addc_u32 s7, s7, llvm.amdgcn.dynlds.offset.table@rel32@hi+12
	s_add_u32 s4, s4, s6
	s_addc_u32 s5, s5, s7
	s_load_dword s4, s[4:5], 0x0
	s_waitcnt lgkmcnt(0)
	v_lshl_add_u32 v18, v1, 2, s4
	ds_read_b32 v18, v18 offset:192
	s_waitcnt lgkmcnt(0)
	v_add_f32_e32 v7, v18, v7
	s_or_b64 exec, exec, s[0:1]
	s_and_saveexec_b64 s[0:1], vcc
	s_cbranch_execz .LBB271_2139
.LBB271_2159:
	s_ashr_i32 s17, s16, 31
	s_lshl_b64 s[4:5], s[16:17], 2
	s_getpc_b64 s[6:7]
	s_add_u32 s6, s6, llvm.amdgcn.dynlds.offset.table@rel32@lo+4
	s_addc_u32 s7, s7, llvm.amdgcn.dynlds.offset.table@rel32@hi+12
	s_add_u32 s4, s4, s6
	s_addc_u32 s5, s5, s7
	s_load_dword s4, s[4:5], 0x0
	s_waitcnt lgkmcnt(0)
	v_lshl_add_u32 v18, v1, 2, s4
	ds_read_b32 v18, v18 offset:256
	s_waitcnt lgkmcnt(0)
	v_add_f32_e32 v10, v18, v10
	s_or_b64 exec, exec, s[0:1]
	s_and_saveexec_b64 s[0:1], vcc
	s_cbranch_execz .LBB271_2140
.LBB271_2160:
	s_ashr_i32 s17, s16, 31
	s_lshl_b64 s[4:5], s[16:17], 2
	s_getpc_b64 s[6:7]
	s_add_u32 s6, s6, llvm.amdgcn.dynlds.offset.table@rel32@lo+4
	s_addc_u32 s7, s7, llvm.amdgcn.dynlds.offset.table@rel32@hi+12
	s_add_u32 s4, s4, s6
	s_addc_u32 s5, s5, s7
	s_load_dword s4, s[4:5], 0x0
	s_waitcnt lgkmcnt(0)
	v_lshl_add_u32 v18, v1, 2, s4
	ds_read_b32 v18, v18 offset:320
	s_waitcnt lgkmcnt(0)
	v_add_f32_e32 v11, v18, v11
	s_or_b64 exec, exec, s[0:1]
	s_and_saveexec_b64 s[0:1], vcc
	s_cbranch_execz .LBB271_2141
.LBB271_2161:
	s_ashr_i32 s17, s16, 31
	s_lshl_b64 s[4:5], s[16:17], 2
	s_getpc_b64 s[6:7]
	s_add_u32 s6, s6, llvm.amdgcn.dynlds.offset.table@rel32@lo+4
	s_addc_u32 s7, s7, llvm.amdgcn.dynlds.offset.table@rel32@hi+12
	s_add_u32 s4, s4, s6
	s_addc_u32 s5, s5, s7
	s_load_dword s4, s[4:5], 0x0
	s_waitcnt lgkmcnt(0)
	v_lshl_add_u32 v18, v1, 2, s4
	ds_read_b32 v18, v18 offset:384
	s_waitcnt lgkmcnt(0)
	v_add_f32_e32 v16, v18, v16
	s_or_b64 exec, exec, s[0:1]
	s_and_saveexec_b64 s[0:1], vcc
	s_cbranch_execz .LBB271_2142
.LBB271_2162:
	s_ashr_i32 s17, s16, 31
	s_lshl_b64 s[4:5], s[16:17], 2
	s_getpc_b64 s[6:7]
	s_add_u32 s6, s6, llvm.amdgcn.dynlds.offset.table@rel32@lo+4
	s_addc_u32 s7, s7, llvm.amdgcn.dynlds.offset.table@rel32@hi+12
	s_add_u32 s4, s4, s6
	s_addc_u32 s5, s5, s7
	s_load_dword s4, s[4:5], 0x0
	s_waitcnt lgkmcnt(0)
	v_lshl_add_u32 v18, v1, 2, s4
	ds_read_b32 v18, v18 offset:448
	s_waitcnt lgkmcnt(0)
	v_add_f32_e32 v17, v18, v17
	s_or_b64 exec, exec, s[0:1]
	s_and_saveexec_b64 s[0:1], vcc
	s_cbranch_execz .LBB271_2143
.LBB271_2163:
	s_ashr_i32 s17, s16, 31
	s_lshl_b64 s[4:5], s[16:17], 2
	s_getpc_b64 s[6:7]
	s_add_u32 s6, s6, llvm.amdgcn.dynlds.offset.table@rel32@lo+4
	s_addc_u32 s7, s7, llvm.amdgcn.dynlds.offset.table@rel32@hi+12
	s_add_u32 s4, s4, s6
	s_addc_u32 s5, s5, s7
	s_load_dword s4, s[4:5], 0x0
	s_waitcnt lgkmcnt(0)
	v_lshl_add_u32 v18, v1, 2, s4
	ds_read_b32 v18, v18 offset:512
	s_waitcnt lgkmcnt(0)
	v_add_f32_e32 v14, v18, v14
	s_or_b64 exec, exec, s[0:1]
	s_and_saveexec_b64 s[0:1], vcc
	s_cbranch_execz .LBB271_2144
.LBB271_2164:
	s_ashr_i32 s17, s16, 31
	s_lshl_b64 s[4:5], s[16:17], 2
	s_getpc_b64 s[6:7]
	s_add_u32 s6, s6, llvm.amdgcn.dynlds.offset.table@rel32@lo+4
	s_addc_u32 s7, s7, llvm.amdgcn.dynlds.offset.table@rel32@hi+12
	s_add_u32 s4, s4, s6
	s_addc_u32 s5, s5, s7
	s_load_dword s4, s[4:5], 0x0
	s_waitcnt lgkmcnt(0)
	v_lshl_add_u32 v18, v1, 2, s4
	ds_read_b32 v18, v18 offset:576
	s_waitcnt lgkmcnt(0)
	v_add_f32_e32 v15, v18, v15
	s_or_b64 exec, exec, s[0:1]
	s_and_saveexec_b64 s[0:1], vcc
	s_cbranch_execz .LBB271_2145
.LBB271_2165:
	s_ashr_i32 s17, s16, 31
	s_lshl_b64 s[4:5], s[16:17], 2
	s_getpc_b64 s[6:7]
	s_add_u32 s6, s6, llvm.amdgcn.dynlds.offset.table@rel32@lo+4
	s_addc_u32 s7, s7, llvm.amdgcn.dynlds.offset.table@rel32@hi+12
	s_add_u32 s4, s4, s6
	s_addc_u32 s5, s5, s7
	s_load_dword s4, s[4:5], 0x0
	s_waitcnt lgkmcnt(0)
	v_lshl_add_u32 v18, v1, 2, s4
	ds_read_b32 v18, v18 offset:640
	s_waitcnt lgkmcnt(0)
	v_add_f32_e32 v12, v18, v12
	s_or_b64 exec, exec, s[0:1]
	s_and_saveexec_b64 s[0:1], vcc
	s_cbranch_execz .LBB271_2146
.LBB271_2166:
	s_ashr_i32 s17, s16, 31
	s_lshl_b64 s[4:5], s[16:17], 2
	s_getpc_b64 s[6:7]
	s_add_u32 s6, s6, llvm.amdgcn.dynlds.offset.table@rel32@lo+4
	s_addc_u32 s7, s7, llvm.amdgcn.dynlds.offset.table@rel32@hi+12
	s_add_u32 s4, s4, s6
	s_addc_u32 s5, s5, s7
	s_load_dword s4, s[4:5], 0x0
	s_waitcnt lgkmcnt(0)
	v_lshl_add_u32 v18, v1, 2, s4
	ds_read_b32 v18, v18 offset:704
	s_waitcnt lgkmcnt(0)
	v_add_f32_e32 v13, v18, v13
	s_or_b64 exec, exec, s[0:1]
	s_and_saveexec_b64 s[0:1], vcc
	s_cbranch_execz .LBB271_2147
.LBB271_2167:
	s_ashr_i32 s17, s16, 31
	s_lshl_b64 s[4:5], s[16:17], 2
	s_getpc_b64 s[6:7]
	s_add_u32 s6, s6, llvm.amdgcn.dynlds.offset.table@rel32@lo+4
	s_addc_u32 s7, s7, llvm.amdgcn.dynlds.offset.table@rel32@hi+12
	s_add_u32 s4, s4, s6
	s_addc_u32 s5, s5, s7
	s_load_dword s4, s[4:5], 0x0
	s_waitcnt lgkmcnt(0)
	v_lshl_add_u32 v18, v1, 2, s4
	ds_read_b32 v18, v18 offset:768
	s_waitcnt lgkmcnt(0)
	v_add_f32_e32 v8, v18, v8
	s_or_b64 exec, exec, s[0:1]
	s_and_saveexec_b64 s[0:1], vcc
	s_cbranch_execz .LBB271_2148
.LBB271_2168:
	s_ashr_i32 s17, s16, 31
	s_lshl_b64 s[4:5], s[16:17], 2
	s_getpc_b64 s[6:7]
	s_add_u32 s6, s6, llvm.amdgcn.dynlds.offset.table@rel32@lo+4
	s_addc_u32 s7, s7, llvm.amdgcn.dynlds.offset.table@rel32@hi+12
	s_add_u32 s4, s4, s6
	s_addc_u32 s5, s5, s7
	s_load_dword s4, s[4:5], 0x0
	s_waitcnt lgkmcnt(0)
	v_lshl_add_u32 v18, v1, 2, s4
	ds_read_b32 v18, v18 offset:832
	s_waitcnt lgkmcnt(0)
	v_add_f32_e32 v9, v18, v9
	s_or_b64 exec, exec, s[0:1]
	s_and_saveexec_b64 s[0:1], vcc
	s_cbranch_execz .LBB271_2149
.LBB271_2169:
	s_ashr_i32 s17, s16, 31
	s_lshl_b64 s[4:5], s[16:17], 2
	s_getpc_b64 s[6:7]
	s_add_u32 s6, s6, llvm.amdgcn.dynlds.offset.table@rel32@lo+4
	s_addc_u32 s7, s7, llvm.amdgcn.dynlds.offset.table@rel32@hi+12
	s_add_u32 s4, s4, s6
	s_addc_u32 s5, s5, s7
	s_load_dword s4, s[4:5], 0x0
	s_waitcnt lgkmcnt(0)
	v_lshl_add_u32 v18, v1, 2, s4
	ds_read_b32 v18, v18 offset:896
	s_waitcnt lgkmcnt(0)
	v_add_f32_e32 v4, v18, v4
	s_or_b64 exec, exec, s[0:1]
	s_and_saveexec_b64 s[0:1], vcc
	s_cbranch_execnz .LBB271_2150
	s_branch .LBB271_2151
.Lfunc_end271:
	.size	_ZN4vllm22paged_attention_kernelIthLi256ELi32ELi128ELNS_18Fp8KVCacheDataTypeE1ELb1ELi0EEEvPfS2_PT_PKS3_PKT0_S9_ifPKiSB_iPKfiiiSD_SD_iiiii, .Lfunc_end271-_ZN4vllm22paged_attention_kernelIthLi256ELi32ELi128ELNS_18Fp8KVCacheDataTypeE1ELb1ELi0EEEvPfS2_PT_PKS3_PKT0_S9_ifPKiSB_iPKfiiiSD_SD_iiiii
                                        ; -- End function
	.section	.AMDGPU.csdata,"",@progbits
; Function info:
; codeLenInByte = 87948
; NumSgprs: 58
; NumVgprs: 64
; NumAgprs: 64
; TotalNumVgprs: 128
; ScratchSize: 728
; MemoryBound: 0
	.section	.text._ZN4vllm25paged_attention_v1_kernelIthLi256ELi32ELi128ELNS_18Fp8KVCacheDataTypeE1ELb1EEEvPT_PKS2_PKT0_S8_ifPKiSA_iPKfiiiSC_SC_iiiii,"axG",@progbits,_ZN4vllm25paged_attention_v1_kernelIthLi256ELi32ELi128ELNS_18Fp8KVCacheDataTypeE1ELb1EEEvPT_PKS2_PKT0_S8_ifPKiSA_iPKfiiiSC_SC_iiiii,comdat
	.protected	_ZN4vllm25paged_attention_v1_kernelIthLi256ELi32ELi128ELNS_18Fp8KVCacheDataTypeE1ELb1EEEvPT_PKS2_PKT0_S8_ifPKiSA_iPKfiiiSC_SC_iiiii ; -- Begin function _ZN4vllm25paged_attention_v1_kernelIthLi256ELi32ELi128ELNS_18Fp8KVCacheDataTypeE1ELb1EEEvPT_PKS2_PKT0_S8_ifPKiSA_iPKfiiiSC_SC_iiiii
	.globl	_ZN4vllm25paged_attention_v1_kernelIthLi256ELi32ELi128ELNS_18Fp8KVCacheDataTypeE1ELb1EEEvPT_PKS2_PKT0_S8_ifPKiSA_iPKfiiiSC_SC_iiiii
	.p2align	8
	.type	_ZN4vllm25paged_attention_v1_kernelIthLi256ELi32ELi128ELNS_18Fp8KVCacheDataTypeE1ELb1EEEvPT_PKS2_PKT0_S8_ifPKiSA_iPKfiiiSC_SC_iiiii,@function
_ZN4vllm25paged_attention_v1_kernelIthLi256ELi32ELi128ELNS_18Fp8KVCacheDataTypeE1ELb1EEEvPT_PKS2_PKT0_S8_ifPKiSA_iPKfiiiSC_SC_iiiii: ; @_ZN4vllm25paged_attention_v1_kernelIthLi256ELi32ELi128ELNS_18Fp8KVCacheDataTypeE1ELb1EEEvPT_PKS2_PKT0_S8_ifPKiSA_iPKfiiiSC_SC_iiiii
; %bb.0:
	s_load_dwordx8 s[16:23], s[0:1], 0x0
	s_load_dwordx4 s[36:39], s[0:1], 0x20
	s_load_dwordx2 s[6:7], s[0:1], 0x30
	s_load_dword s5, s[0:1], 0x38
	s_load_dwordx2 s[10:11], s[0:1], 0x40
	s_load_dwordx8 s[24:31], s[0:1], 0x48
	s_waitcnt lgkmcnt(0)
	s_load_dword s27, s[0:1], 0x78
	s_load_dwordx4 s[40:43], s[0:1], 0x68
	s_add_u32 s8, s0, 0x80
	s_addc_u32 s9, s1, 0
	s_mov_b32 s12, s2
	s_mov_b32 s13, s3
	;; [unrolled: 1-line block ×4, first 2 shown]
	v_mov_b32_e32 v31, v0
	v_mov_b32_e32 v0, s16
	;; [unrolled: 1-line block ×25, first 2 shown]
	s_waitcnt lgkmcnt(0)
	v_mov_b32_e32 v24, s40
	v_mov_b32_e32 v25, s41
	;; [unrolled: 1-line block ×5, first 2 shown]
	s_mov_b32 s32, 0
	s_getpc_b64 s[0:1]
	s_add_u32 s0, s0, _ZN4vllm22paged_attention_kernelIthLi256ELi32ELi128ELNS_18Fp8KVCacheDataTypeE1ELb1ELi0EEEvPfS2_PT_PKS3_PKT0_S9_ifPKiSB_iPKfiiiSD_SD_iiiii@rel32@lo+4
	s_addc_u32 s1, s1, _ZN4vllm22paged_attention_kernelIthLi256ELi32ELi128ELNS_18Fp8KVCacheDataTypeE1ELb1ELi0EEEvPfS2_PT_PKS3_PKT0_S9_ifPKiSB_iPKfiiiSD_SD_iiiii@rel32@hi+12
	s_swappc_b64 s[30:31], s[0:1]
	s_endpgm
	.section	.rodata,"a",@progbits
	.p2align	6, 0x0
	.amdhsa_kernel _ZN4vllm25paged_attention_v1_kernelIthLi256ELi32ELi128ELNS_18Fp8KVCacheDataTypeE1ELb1EEEvPT_PKS2_PKT0_S8_ifPKiSA_iPKfiiiSC_SC_iiiii
		.amdhsa_group_segment_fixed_size 528
		.amdhsa_private_segment_fixed_size 728
		.amdhsa_kernarg_size 384
		.amdhsa_user_sgpr_count 2
		.amdhsa_user_sgpr_dispatch_ptr 0
		.amdhsa_user_sgpr_queue_ptr 0
		.amdhsa_user_sgpr_kernarg_segment_ptr 1
		.amdhsa_user_sgpr_dispatch_id 0
		.amdhsa_user_sgpr_kernarg_preload_length 0
		.amdhsa_user_sgpr_kernarg_preload_offset 0
		.amdhsa_user_sgpr_private_segment_size 0
		.amdhsa_uses_dynamic_stack 0
		.amdhsa_enable_private_segment 1
		.amdhsa_system_sgpr_workgroup_id_x 1
		.amdhsa_system_sgpr_workgroup_id_y 1
		.amdhsa_system_sgpr_workgroup_id_z 1
		.amdhsa_system_sgpr_workgroup_info 0
		.amdhsa_system_vgpr_workitem_id 0
		.amdhsa_next_free_vgpr 128
		.amdhsa_next_free_sgpr 52
		.amdhsa_accum_offset 64
		.amdhsa_reserve_vcc 1
		.amdhsa_float_round_mode_32 0
		.amdhsa_float_round_mode_16_64 0
		.amdhsa_float_denorm_mode_32 3
		.amdhsa_float_denorm_mode_16_64 3
		.amdhsa_dx10_clamp 1
		.amdhsa_ieee_mode 1
		.amdhsa_fp16_overflow 0
		.amdhsa_tg_split 0
		.amdhsa_exception_fp_ieee_invalid_op 0
		.amdhsa_exception_fp_denorm_src 0
		.amdhsa_exception_fp_ieee_div_zero 0
		.amdhsa_exception_fp_ieee_overflow 0
		.amdhsa_exception_fp_ieee_underflow 0
		.amdhsa_exception_fp_ieee_inexact 0
		.amdhsa_exception_int_div_zero 0
	.end_amdhsa_kernel
	.section	.text._ZN4vllm25paged_attention_v1_kernelIthLi256ELi32ELi128ELNS_18Fp8KVCacheDataTypeE1ELb1EEEvPT_PKS2_PKT0_S8_ifPKiSA_iPKfiiiSC_SC_iiiii,"axG",@progbits,_ZN4vllm25paged_attention_v1_kernelIthLi256ELi32ELi128ELNS_18Fp8KVCacheDataTypeE1ELb1EEEvPT_PKS2_PKT0_S8_ifPKiSA_iPKfiiiSC_SC_iiiii,comdat
.Lfunc_end272:
	.size	_ZN4vllm25paged_attention_v1_kernelIthLi256ELi32ELi128ELNS_18Fp8KVCacheDataTypeE1ELb1EEEvPT_PKS2_PKT0_S8_ifPKiSA_iPKfiiiSC_SC_iiiii, .Lfunc_end272-_ZN4vllm25paged_attention_v1_kernelIthLi256ELi32ELi128ELNS_18Fp8KVCacheDataTypeE1ELb1EEEvPT_PKS2_PKT0_S8_ifPKiSA_iPKfiiiSC_SC_iiiii
                                        ; -- End function
	.section	.AMDGPU.csdata,"",@progbits
; Kernel info:
; codeLenInByte = 252
; NumSgprs: 58
; NumVgprs: 64
; NumAgprs: 64
; TotalNumVgprs: 128
; ScratchSize: 728
; MemoryBound: 0
; FloatMode: 240
; IeeeMode: 1
; LDSByteSize: 528 bytes/workgroup (compile time only)
; SGPRBlocks: 7
; VGPRBlocks: 15
; NumSGPRsForWavesPerEU: 58
; NumVGPRsForWavesPerEU: 128
; AccumOffset: 64
; Occupancy: 4
; WaveLimiterHint : 1
; COMPUTE_PGM_RSRC2:SCRATCH_EN: 1
; COMPUTE_PGM_RSRC2:USER_SGPR: 2
; COMPUTE_PGM_RSRC2:TRAP_HANDLER: 0
; COMPUTE_PGM_RSRC2:TGID_X_EN: 1
; COMPUTE_PGM_RSRC2:TGID_Y_EN: 1
; COMPUTE_PGM_RSRC2:TGID_Z_EN: 1
; COMPUTE_PGM_RSRC2:TIDIG_COMP_CNT: 0
; COMPUTE_PGM_RSRC3_GFX90A:ACCUM_OFFSET: 15
; COMPUTE_PGM_RSRC3_GFX90A:TG_SPLIT: 0
	.section	.text._ZN4vllm25paged_attention_v1_kernelIthLi32ELi32ELi128ELNS_18Fp8KVCacheDataTypeE1ELb0EEEvPT_PKS2_PKT0_S8_ifPKiSA_iPKfiiiSC_SC_iiiii,"axG",@progbits,_ZN4vllm25paged_attention_v1_kernelIthLi32ELi32ELi128ELNS_18Fp8KVCacheDataTypeE1ELb0EEEvPT_PKS2_PKT0_S8_ifPKiSA_iPKfiiiSC_SC_iiiii,comdat
	.protected	_ZN4vllm25paged_attention_v1_kernelIthLi32ELi32ELi128ELNS_18Fp8KVCacheDataTypeE1ELb0EEEvPT_PKS2_PKT0_S8_ifPKiSA_iPKfiiiSC_SC_iiiii ; -- Begin function _ZN4vllm25paged_attention_v1_kernelIthLi32ELi32ELi128ELNS_18Fp8KVCacheDataTypeE1ELb0EEEvPT_PKS2_PKT0_S8_ifPKiSA_iPKfiiiSC_SC_iiiii
	.globl	_ZN4vllm25paged_attention_v1_kernelIthLi32ELi32ELi128ELNS_18Fp8KVCacheDataTypeE1ELb0EEEvPT_PKS2_PKT0_S8_ifPKiSA_iPKfiiiSC_SC_iiiii
	.p2align	8
	.type	_ZN4vllm25paged_attention_v1_kernelIthLi32ELi32ELi128ELNS_18Fp8KVCacheDataTypeE1ELb0EEEvPT_PKS2_PKT0_S8_ifPKiSA_iPKfiiiSC_SC_iiiii,@function
_ZN4vllm25paged_attention_v1_kernelIthLi32ELi32ELi128ELNS_18Fp8KVCacheDataTypeE1ELb0EEEvPT_PKS2_PKT0_S8_ifPKiSA_iPKfiiiSC_SC_iiiii: ; @_ZN4vllm25paged_attention_v1_kernelIthLi32ELi32ELi128ELNS_18Fp8KVCacheDataTypeE1ELb0EEEvPT_PKS2_PKT0_S8_ifPKiSA_iPKfiiiSC_SC_iiiii
; %bb.0:
	s_load_dword s5, s[0:1], 0x80
	s_load_dwordx2 s[6:7], s[0:1], 0x30
	s_load_dwordx2 s[28:29], s[0:1], 0x20
	s_mov_b32 s16, s3
	s_ashr_i32 s17, s3, 31
	s_lshl_b64 s[8:9], s[16:17], 2
	s_waitcnt lgkmcnt(0)
	s_add_u32 s6, s6, s8
	s_addc_u32 s7, s7, s9
	s_abs_i32 s3, s28
	v_cvt_f32_u32_e32 v1, s3
	s_sub_i32 s10, 0, s3
	s_abs_i32 s9, s5
	s_xor_b32 s8, s5, s28
	v_rcp_iflag_f32_e32 v1, v1
	s_ashr_i32 s8, s8, 31
	s_mov_b32 s28, 0
	v_mul_f32_e32 v1, 0x4f7ffffe, v1
	v_cvt_u32_f32_e32 v1, v1
	s_nop 0
	v_readfirstlane_b32 s11, v1
	s_mul_i32 s10, s10, s11
	s_mul_hi_u32 s10, s11, s10
	s_add_i32 s11, s11, s10
	s_mul_hi_u32 s10, s9, s11
	s_mul_i32 s11, s10, s3
	s_sub_i32 s9, s9, s11
	s_add_i32 s11, s10, 1
	s_sub_i32 s12, s9, s3
	s_cmp_ge_u32 s9, s3
	s_cselect_b32 s10, s11, s10
	s_cselect_b32 s9, s12, s9
	s_add_i32 s11, s10, 1
	s_cmp_ge_u32 s9, s3
	s_cselect_b32 s3, s11, s10
	s_xor_b32 s3, s3, s8
	s_sub_i32 s12, s3, s8
	s_abs_i32 s10, s12
	v_cvt_f32_u32_e32 v1, s10
	s_load_dwordx2 s[8:9], s[0:1], 0x40
	s_sub_i32 s3, 0, s10
	s_abs_i32 s11, s2
	v_rcp_iflag_f32_e32 v1, v1
	s_nop 0
	v_mul_f32_e32 v1, 0x4f7ffffe, v1
	v_cvt_u32_f32_e32 v1, v1
	s_nop 0
	v_readfirstlane_b32 s13, v1
	s_mul_i32 s3, s3, s13
	s_mul_hi_u32 s3, s13, s3
	s_add_i32 s13, s13, s3
	s_waitcnt lgkmcnt(0)
	s_cmp_eq_u64 s[8:9], 0
	s_mul_hi_u32 s17, s11, s13
	s_cbranch_scc1 .LBB273_2
; %bb.1:
	s_ashr_i32 s3, s2, 31
	s_lshl_b64 s[14:15], s[2:3], 2
	s_add_u32 s8, s8, s14
	s_addc_u32 s9, s9, s15
	s_load_dword s28, s[8:9], 0x0
.LBB273_2:
	s_load_dword s33, s[6:7], 0x0
	s_ashr_i32 s7, s12, 31
	s_load_dwordx4 s[12:15], s[0:1], 0x48
	s_ashr_i32 s6, s2, 31
	v_and_b32_e32 v7, 1, v0
	s_lshl_b32 s18, s2, 5
	v_cmp_gt_u32_e32 vcc, 8, v0
	v_lshlrev_b32_e32 v13, 3, v0
	s_and_saveexec_b64 s[2:3], vcc
	s_cbranch_execz .LBB273_4
; %bb.3:
	s_load_dwordx2 s[8:9], s[0:1], 0x8
	s_waitcnt lgkmcnt(0)
	s_mul_i32 s20, s16, s12
	s_ashr_i32 s21, s20, 31
	s_lshl_b64 s[20:21], s[20:21], 1
	v_lshlrev_b32_e32 v1, 2, v0
	s_add_u32 s12, s8, s20
	s_addc_u32 s15, s9, s21
	s_ashr_i32 s19, s18, 31
	s_lshl_b64 s[8:9], s[18:19], 1
	s_add_u32 s8, s12, s8
	s_addc_u32 s9, s15, s9
	global_load_dwordx2 v[2:3], v13, s[8:9]
	v_and_b32_e32 v1, 0xff8, v1
	v_lshl_add_u32 v1, v7, 5, v1
	s_waitcnt vmcnt(0)
	ds_write_b64 v1, v[2:3]
.LBB273_4:
	s_or_b64 exec, exec, s[2:3]
	s_waitcnt lgkmcnt(0)
	s_add_i32 s3, s33, 31
	s_ashr_i32 s8, s3, 31
	s_lshr_b32 s8, s8, 27
	s_add_i32 s3, s3, s8
	s_ashr_i32 s19, s3, 5
	s_xor_b32 s3, s6, s7
	s_mul_i32 s6, s17, s10
	s_sub_i32 s6, s11, s6
	s_add_i32 s7, s17, 1
	s_sub_i32 s8, s6, s10
	s_load_dwordx2 s[22:23], s[0:1], 0x28
	s_load_dword s2, s[0:1], 0x38
	s_cmp_ge_u32 s6, s10
	s_cselect_b32 s7, s7, s17
	s_cselect_b32 s6, s8, s6
	s_add_i32 s8, s7, 1
	s_cmp_ge_u32 s6, s10
	s_cselect_b32 s6, s8, s7
	v_lshrrev_b32_e32 v1, 6, v0
	s_xor_b32 s6, s6, s3
	s_waitcnt lgkmcnt(0)
	s_mul_i32 s24, s16, s2
	s_sub_i32 s12, s6, s3
	s_ashr_i32 s25, s24, 31
	v_cmp_gt_i32_e64 s[6:7], s19, v1
	v_cmp_le_i32_e32 vcc, s19, v1
	v_mbcnt_lo_u32_b32 v10, -1, 0
	s_barrier
	s_waitcnt lgkmcnt(0)
                                        ; implicit-def: $sgpr15
                                        ; implicit-def: $vgpr15
                                        ; implicit-def: $vgpr2
	s_and_saveexec_b64 s[2:3], vcc
	s_xor_b64 s[2:3], exec, s[2:3]
; %bb.5:
	v_mbcnt_hi_u32_b32 v15, -1, v10
	v_and_b32_e32 v2, 64, v15
	v_add_u32_e32 v2, 64, v2
	s_mov_b32 s15, 0xff7fffff
                                        ; implicit-def: $vgpr7
                                        ; implicit-def: $vgpr10
; %bb.6:
	s_or_saveexec_b64 s[30:31], s[2:3]
	s_load_dwordx2 s[20:21], s[0:1], 0x0
	s_load_dwordx2 s[26:27], s[0:1], 0x18
	s_load_dword s17, s[0:1], 0x88
	s_load_dwordx4 s[8:11], s[0:1], 0x58
	v_mov_b32_e32 v16, s15
	s_mul_i32 s12, s12, s14
	v_lshrrev_b32_e32 v14, 4, v0
	s_xor_b64 exec, exec, s[30:31]
	s_cbranch_execz .LBB273_140
; %bb.7:
	s_load_dwordx2 s[0:1], s[0:1], 0x10
	s_ashr_i32 s2, s12, 31
	v_bfe_u32 v8, v0, 1, 5
	v_lshlrev_b32_e32 v2, 4, v8
	v_mov_b32_e32 v3, 0
	s_waitcnt lgkmcnt(0)
	s_add_u32 s0, s0, s12
	s_addc_u32 s1, s1, s2
	v_lshl_add_u64 v[4:5], s[0:1], 0, v[2:3]
	s_sub_i32 s41, 1, s33
	v_lshlrev_b32_e32 v2, 2, v8
	s_lshl_b64 s[0:1], s[24:25], 2
	v_lshl_or_b32 v2, v1, 7, v2
	s_add_u32 s0, s22, s0
	v_add_u32_e32 v19, 0x50, v2
	v_and_b32_e32 v2, 60, v14
	s_addc_u32 s1, s23, s1
	s_mov_b32 s40, s13
	v_lshlrev_b32_e32 v6, 2, v7
	v_lshlrev_b32_e32 v17, 5, v7
	v_cmp_eq_u32_e32 vcc, 0, v7
	v_cmp_neq_f32_e64 s[2:3], s28, 0
	v_mov_b32_e32 v7, v3
	v_lshl_or_b32 v18, v1, 5, v8
	v_lshl_add_u64 v[8:9], s[0:1], 0, v[2:3]
	s_mov_b64 s[14:15], 0
	v_mov_b32_e32 v16, 0xff7fffff
	s_movk_i32 s42, 0x7f
	s_movk_i32 s43, 0x80
	s_mov_b32 s44, 0x8000
	v_mbcnt_hi_u32_b32 v15, -1, v10
	v_mov_b32_e32 v20, 0x1c00
	v_mov_b32_e32 v21, v1
	s_branch .LBB273_9
.LBB273_8:                              ;   in Loop: Header=BB273_9 Depth=1
	s_or_b64 exec, exec, s[34:35]
	v_add_u32_e32 v21, 2, v21
	v_cmp_le_i32_e64 s[0:1], s19, v21
	v_add_u32_e32 v18, 64, v18
	v_add_u32_e32 v19, 0x100, v19
	s_or_b64 s[14:15], s[0:1], s[14:15]
	v_lshl_add_u64 v[8:9], v[8:9], 0, 8
	s_andn2_b64 exec, exec, s[14:15]
	s_cbranch_execz .LBB273_139
.LBB273_9:                              ; =>This Inner Loop Header: Depth=1
	global_load_dword v2, v[8:9], off
                                        ; implicit-def: $sgpr38
	s_waitcnt vmcnt(0) lgkmcnt(0)
	v_mad_i64_i32 v[10:11], s[0:1], v2, s40, v[4:5]
	v_lshl_add_u64 v[10:11], v[10:11], 0, v[6:7]
	global_load_dword v12, v[10:11], off
	global_load_dword v22, v3, s[8:9]
	s_mov_b64 s[0:1], 0
	s_waitcnt vmcnt(1)
	v_cmp_gt_i16_sdwa s[34:35], v12, s42 src0_sel:BYTE_0 src1_sel:DWORD
	s_and_saveexec_b64 s[36:37], s[34:35]
	s_xor_b64 s[34:35], exec, s[36:37]
	s_cbranch_execnz .LBB273_75
; %bb.10:                               ;   in Loop: Header=BB273_9 Depth=1
	s_or_saveexec_b64 s[34:35], s[34:35]
	v_mov_b32_e32 v23, s38
	s_xor_b64 exec, exec, s[34:35]
	s_cbranch_execnz .LBB273_78
.LBB273_11:                             ;   in Loop: Header=BB273_9 Depth=1
	s_or_b64 exec, exec, s[34:35]
	s_and_saveexec_b64 s[34:35], s[0:1]
	s_cbranch_execz .LBB273_13
.LBB273_12:                             ;   in Loop: Header=BB273_9 Depth=1
	v_and_b32_e32 v2, 7, v12
	v_ffbh_u32_e32 v24, v2
	v_min_u32_e32 v26, 32, v24
	v_subrev_u32_e32 v24, 28, v26
	v_bfe_u32 v23, v12, 3, 4
	v_lshlrev_b64 v[24:25], v24, v[12:13]
	v_sub_u32_e32 v25, 29, v26
	v_cmp_eq_u32_e64 s[0:1], 0, v23
	v_and_b32_e32 v24, 7, v24
	s_nop 0
	v_cndmask_b32_e64 v23, v23, v25, s[0:1]
	v_cndmask_b32_e64 v2, v2, v24, s[0:1]
	v_lshlrev_b32_e32 v24, 8, v12
	v_lshl_add_u32 v23, v23, 10, v20
	v_and_or_b32 v23, v24, s44, v23
	v_lshl_or_b32 v2, v2, 7, v23
	v_cvt_f32_f16_e32 v23, v2
.LBB273_13:                             ;   in Loop: Header=BB273_9 Depth=1
	s_or_b64 exec, exec, s[34:35]
	v_lshrrev_b16_e32 v2, 8, v12
	v_cmp_lt_i16_e64 s[0:1], s42, v2
	s_mov_b64 s[34:35], 0
                                        ; implicit-def: $sgpr45
	s_and_saveexec_b64 s[36:37], s[0:1]
	s_xor_b64 s[36:37], exec, s[36:37]
	s_cbranch_execnz .LBB273_79
; %bb.14:                               ;   in Loop: Header=BB273_9 Depth=1
	s_or_saveexec_b64 s[36:37], s[36:37]
	v_mov_b32_e32 v24, s45
	s_xor_b64 exec, exec, s[36:37]
	s_cbranch_execnz .LBB273_82
.LBB273_15:                             ;   in Loop: Header=BB273_9 Depth=1
	s_or_b64 exec, exec, s[36:37]
	s_and_saveexec_b64 s[36:37], s[34:35]
	s_cbranch_execz .LBB273_17
.LBB273_16:                             ;   in Loop: Header=BB273_9 Depth=1
	v_and_b32_e32 v26, 7, v2
	v_ffbh_u32_e32 v24, v26
	v_min_u32_e32 v28, 32, v24
	v_subrev_u32_e32 v24, 28, v28
	v_bfe_u32 v27, v2, 3, 4
	v_lshlrev_b64 v[24:25], v24, v[2:3]
	v_sub_u32_e32 v25, 29, v28
	v_cmp_eq_u32_e64 s[0:1], 0, v27
	v_and_b32_e32 v24, 7, v24
	v_lshlrev_b32_e32 v2, 8, v2
	v_cndmask_b32_e64 v25, v27, v25, s[0:1]
	v_lshl_add_u32 v25, v25, 10, v20
	v_cndmask_b32_e64 v24, v26, v24, s[0:1]
	v_and_or_b32 v2, v2, s44, v25
	v_lshl_or_b32 v2, v24, 7, v2
	v_cvt_f32_f16_e32 v24, v2
.LBB273_17:                             ;   in Loop: Header=BB273_9 Depth=1
	s_or_b64 exec, exec, s[36:37]
	v_lshrrev_b32_e32 v2, 16, v12
	v_cmp_gt_i16_sdwa s[34:35], v2, s42 src0_sel:BYTE_0 src1_sel:DWORD
	s_mov_b64 s[0:1], 0
                                        ; implicit-def: $sgpr38
	s_and_saveexec_b64 s[36:37], s[34:35]
	s_xor_b64 s[34:35], exec, s[36:37]
	s_cbranch_execnz .LBB273_83
; %bb.18:                               ;   in Loop: Header=BB273_9 Depth=1
	s_or_saveexec_b64 s[34:35], s[34:35]
	v_mov_b32_e32 v25, s38
	s_xor_b64 exec, exec, s[34:35]
	s_cbranch_execnz .LBB273_86
.LBB273_19:                             ;   in Loop: Header=BB273_9 Depth=1
	s_or_b64 exec, exec, s[34:35]
	s_and_saveexec_b64 s[34:35], s[0:1]
	s_cbranch_execz .LBB273_21
.LBB273_20:                             ;   in Loop: Header=BB273_9 Depth=1
	v_bfe_u32 v25, v12, 16, 3
	v_ffbh_u32_e32 v26, v25
	v_min_u32_e32 v29, 32, v26
	v_subrev_u32_e32 v26, 28, v29
	v_bfe_u32 v28, v12, 19, 4
	v_lshlrev_b64 v[26:27], v26, v[2:3]
	v_sub_u32_e32 v27, 29, v29
	v_cmp_eq_u32_e64 s[0:1], 0, v28
	v_and_b32_e32 v26, 7, v26
	v_lshlrev_b32_e32 v2, 8, v2
	v_cndmask_b32_e64 v27, v28, v27, s[0:1]
	v_cndmask_b32_e64 v25, v25, v26, s[0:1]
	v_lshl_add_u32 v26, v27, 10, v20
	v_and_or_b32 v2, v2, s44, v26
	v_lshl_or_b32 v2, v25, 7, v2
	v_cvt_f32_f16_e32 v25, v2
.LBB273_21:                             ;   in Loop: Header=BB273_9 Depth=1
	s_or_b64 exec, exec, s[34:35]
	v_lshrrev_b32_e32 v2, 24, v12
	v_cmp_lt_i16_e64 s[0:1], s42, v2
	s_mov_b64 s[34:35], 0
                                        ; implicit-def: $sgpr45
	s_and_saveexec_b64 s[36:37], s[0:1]
	s_xor_b64 s[36:37], exec, s[36:37]
	s_cbranch_execnz .LBB273_87
; %bb.22:                               ;   in Loop: Header=BB273_9 Depth=1
	s_or_saveexec_b64 s[36:37], s[36:37]
	v_mov_b32_e32 v26, s45
	s_xor_b64 exec, exec, s[36:37]
	s_cbranch_execnz .LBB273_90
.LBB273_23:                             ;   in Loop: Header=BB273_9 Depth=1
	s_or_b64 exec, exec, s[36:37]
	s_and_saveexec_b64 s[36:37], s[34:35]
	s_cbranch_execz .LBB273_25
.LBB273_24:                             ;   in Loop: Header=BB273_9 Depth=1
	v_bfe_u32 v28, v12, 24, 3
	v_ffbh_u32_e32 v26, v28
	v_min_u32_e32 v29, 32, v26
	v_subrev_u32_e32 v26, 28, v29
	v_bfe_u32 v12, v12, 27, 4
	v_lshlrev_b64 v[26:27], v26, v[2:3]
	v_sub_u32_e32 v27, 29, v29
	v_cmp_eq_u32_e64 s[0:1], 0, v12
	v_and_b32_e32 v26, 7, v26
	v_lshlrev_b32_e32 v2, 8, v2
	v_cndmask_b32_e64 v12, v12, v27, s[0:1]
	v_lshl_add_u32 v12, v12, 10, v20
	v_cndmask_b32_e64 v26, v28, v26, s[0:1]
	v_and_or_b32 v2, v2, s44, v12
	v_lshl_or_b32 v2, v26, 7, v2
	v_cvt_f32_f16_e32 v26, v2
.LBB273_25:                             ;   in Loop: Header=BB273_9 Depth=1
	s_or_b64 exec, exec, s[36:37]
	global_load_dword v12, v[10:11], off offset:8
	s_mov_b64 s[0:1], 0
                                        ; implicit-def: $sgpr38
	s_waitcnt vmcnt(0)
	v_cmp_gt_i16_sdwa s[34:35], v12, s42 src0_sel:BYTE_0 src1_sel:DWORD
	s_and_saveexec_b64 s[36:37], s[34:35]
	s_xor_b64 s[34:35], exec, s[36:37]
	s_cbranch_execnz .LBB273_91
; %bb.26:                               ;   in Loop: Header=BB273_9 Depth=1
	s_or_saveexec_b64 s[34:35], s[34:35]
	v_mov_b32_e32 v27, s38
	s_xor_b64 exec, exec, s[34:35]
	s_cbranch_execnz .LBB273_94
.LBB273_27:                             ;   in Loop: Header=BB273_9 Depth=1
	s_or_b64 exec, exec, s[34:35]
	s_and_saveexec_b64 s[34:35], s[0:1]
	s_cbranch_execz .LBB273_29
.LBB273_28:                             ;   in Loop: Header=BB273_9 Depth=1
	v_and_b32_e32 v2, 7, v12
	v_ffbh_u32_e32 v28, v2
	v_min_u32_e32 v30, 32, v28
	v_subrev_u32_e32 v28, 28, v30
	v_bfe_u32 v27, v12, 3, 4
	v_lshlrev_b64 v[28:29], v28, v[12:13]
	v_sub_u32_e32 v29, 29, v30
	v_cmp_eq_u32_e64 s[0:1], 0, v27
	v_and_b32_e32 v28, 7, v28
	s_nop 0
	v_cndmask_b32_e64 v27, v27, v29, s[0:1]
	v_cndmask_b32_e64 v2, v2, v28, s[0:1]
	v_lshlrev_b32_e32 v28, 8, v12
	v_lshl_add_u32 v27, v27, 10, v20
	v_and_or_b32 v27, v28, s44, v27
	v_lshl_or_b32 v2, v2, 7, v27
	v_cvt_f32_f16_e32 v27, v2
.LBB273_29:                             ;   in Loop: Header=BB273_9 Depth=1
	s_or_b64 exec, exec, s[34:35]
	v_lshrrev_b16_e32 v2, 8, v12
	v_cmp_lt_i16_e64 s[0:1], s42, v2
	s_mov_b64 s[34:35], 0
                                        ; implicit-def: $sgpr45
	s_and_saveexec_b64 s[36:37], s[0:1]
	s_xor_b64 s[36:37], exec, s[36:37]
	s_cbranch_execnz .LBB273_95
; %bb.30:                               ;   in Loop: Header=BB273_9 Depth=1
	s_or_saveexec_b64 s[36:37], s[36:37]
	v_mov_b32_e32 v28, s45
	s_xor_b64 exec, exec, s[36:37]
	s_cbranch_execnz .LBB273_98
.LBB273_31:                             ;   in Loop: Header=BB273_9 Depth=1
	s_or_b64 exec, exec, s[36:37]
	s_and_saveexec_b64 s[36:37], s[34:35]
	s_cbranch_execz .LBB273_33
.LBB273_32:                             ;   in Loop: Header=BB273_9 Depth=1
	v_and_b32_e32 v30, 7, v2
	v_ffbh_u32_e32 v28, v30
	v_min_u32_e32 v32, 32, v28
	v_subrev_u32_e32 v28, 28, v32
	v_bfe_u32 v31, v2, 3, 4
	v_lshlrev_b64 v[28:29], v28, v[2:3]
	v_sub_u32_e32 v29, 29, v32
	v_cmp_eq_u32_e64 s[0:1], 0, v31
	v_and_b32_e32 v28, 7, v28
	v_lshlrev_b32_e32 v2, 8, v2
	v_cndmask_b32_e64 v29, v31, v29, s[0:1]
	v_lshl_add_u32 v29, v29, 10, v20
	v_cndmask_b32_e64 v28, v30, v28, s[0:1]
	v_and_or_b32 v2, v2, s44, v29
	v_lshl_or_b32 v2, v28, 7, v2
	v_cvt_f32_f16_e32 v28, v2
.LBB273_33:                             ;   in Loop: Header=BB273_9 Depth=1
	s_or_b64 exec, exec, s[36:37]
	v_lshrrev_b32_e32 v2, 16, v12
	v_cmp_gt_i16_sdwa s[34:35], v2, s42 src0_sel:BYTE_0 src1_sel:DWORD
	s_mov_b64 s[0:1], 0
                                        ; implicit-def: $sgpr38
	s_and_saveexec_b64 s[36:37], s[34:35]
	s_xor_b64 s[34:35], exec, s[36:37]
	s_cbranch_execnz .LBB273_99
; %bb.34:                               ;   in Loop: Header=BB273_9 Depth=1
	s_or_saveexec_b64 s[34:35], s[34:35]
	v_mov_b32_e32 v29, s38
	s_xor_b64 exec, exec, s[34:35]
	s_cbranch_execnz .LBB273_102
.LBB273_35:                             ;   in Loop: Header=BB273_9 Depth=1
	s_or_b64 exec, exec, s[34:35]
	s_and_saveexec_b64 s[34:35], s[0:1]
	s_cbranch_execz .LBB273_37
.LBB273_36:                             ;   in Loop: Header=BB273_9 Depth=1
	v_bfe_u32 v29, v12, 16, 3
	v_ffbh_u32_e32 v30, v29
	v_min_u32_e32 v33, 32, v30
	v_subrev_u32_e32 v30, 28, v33
	v_bfe_u32 v32, v12, 19, 4
	v_lshlrev_b64 v[30:31], v30, v[2:3]
	v_sub_u32_e32 v31, 29, v33
	v_cmp_eq_u32_e64 s[0:1], 0, v32
	v_and_b32_e32 v30, 7, v30
	v_lshlrev_b32_e32 v2, 8, v2
	v_cndmask_b32_e64 v31, v32, v31, s[0:1]
	v_cndmask_b32_e64 v29, v29, v30, s[0:1]
	v_lshl_add_u32 v30, v31, 10, v20
	v_and_or_b32 v2, v2, s44, v30
	v_lshl_or_b32 v2, v29, 7, v2
	v_cvt_f32_f16_e32 v29, v2
.LBB273_37:                             ;   in Loop: Header=BB273_9 Depth=1
	s_or_b64 exec, exec, s[34:35]
	v_lshrrev_b32_e32 v2, 24, v12
	v_cmp_lt_i16_e64 s[0:1], s42, v2
	s_mov_b64 s[34:35], 0
                                        ; implicit-def: $sgpr45
	s_and_saveexec_b64 s[36:37], s[0:1]
	s_xor_b64 s[36:37], exec, s[36:37]
	s_cbranch_execnz .LBB273_103
; %bb.38:                               ;   in Loop: Header=BB273_9 Depth=1
	s_or_saveexec_b64 s[36:37], s[36:37]
	v_mov_b32_e32 v30, s45
	s_xor_b64 exec, exec, s[36:37]
	s_cbranch_execnz .LBB273_106
.LBB273_39:                             ;   in Loop: Header=BB273_9 Depth=1
	s_or_b64 exec, exec, s[36:37]
	s_and_saveexec_b64 s[36:37], s[34:35]
	s_cbranch_execz .LBB273_41
.LBB273_40:                             ;   in Loop: Header=BB273_9 Depth=1
	v_bfe_u32 v32, v12, 24, 3
	v_ffbh_u32_e32 v30, v32
	v_min_u32_e32 v33, 32, v30
	v_subrev_u32_e32 v30, 28, v33
	v_bfe_u32 v12, v12, 27, 4
	v_lshlrev_b64 v[30:31], v30, v[2:3]
	v_sub_u32_e32 v31, 29, v33
	v_cmp_eq_u32_e64 s[0:1], 0, v12
	v_and_b32_e32 v30, 7, v30
	v_lshlrev_b32_e32 v2, 8, v2
	v_cndmask_b32_e64 v12, v12, v31, s[0:1]
	v_lshl_add_u32 v12, v12, 10, v20
	v_cndmask_b32_e64 v30, v32, v30, s[0:1]
	v_and_or_b32 v2, v2, s44, v12
	v_lshl_or_b32 v2, v30, 7, v2
	v_cvt_f32_f16_e32 v30, v2
.LBB273_41:                             ;   in Loop: Header=BB273_9 Depth=1
	s_or_b64 exec, exec, s[36:37]
	global_load_dword v12, v[10:11], off offset:512
	s_mov_b64 s[0:1], 0
                                        ; implicit-def: $sgpr38
	s_waitcnt vmcnt(0)
	v_cmp_gt_i16_sdwa s[34:35], v12, s42 src0_sel:BYTE_0 src1_sel:DWORD
	s_and_saveexec_b64 s[36:37], s[34:35]
	s_xor_b64 s[34:35], exec, s[36:37]
	s_cbranch_execnz .LBB273_107
; %bb.42:                               ;   in Loop: Header=BB273_9 Depth=1
	s_or_saveexec_b64 s[34:35], s[34:35]
	v_mov_b32_e32 v31, s38
	s_xor_b64 exec, exec, s[34:35]
	s_cbranch_execnz .LBB273_110
.LBB273_43:                             ;   in Loop: Header=BB273_9 Depth=1
	s_or_b64 exec, exec, s[34:35]
	s_and_saveexec_b64 s[34:35], s[0:1]
	s_cbranch_execz .LBB273_45
.LBB273_44:                             ;   in Loop: Header=BB273_9 Depth=1
	v_and_b32_e32 v2, 7, v12
	v_ffbh_u32_e32 v32, v2
	v_min_u32_e32 v34, 32, v32
	v_subrev_u32_e32 v32, 28, v34
	v_bfe_u32 v31, v12, 3, 4
	v_lshlrev_b64 v[32:33], v32, v[12:13]
	v_sub_u32_e32 v33, 29, v34
	v_cmp_eq_u32_e64 s[0:1], 0, v31
	v_and_b32_e32 v32, 7, v32
	s_nop 0
	v_cndmask_b32_e64 v31, v31, v33, s[0:1]
	v_cndmask_b32_e64 v2, v2, v32, s[0:1]
	v_lshlrev_b32_e32 v32, 8, v12
	v_lshl_add_u32 v31, v31, 10, v20
	v_and_or_b32 v31, v32, s44, v31
	v_lshl_or_b32 v2, v2, 7, v31
	v_cvt_f32_f16_e32 v31, v2
.LBB273_45:                             ;   in Loop: Header=BB273_9 Depth=1
	s_or_b64 exec, exec, s[34:35]
	v_lshrrev_b16_e32 v2, 8, v12
	v_cmp_lt_i16_e64 s[0:1], s42, v2
	s_mov_b64 s[34:35], 0
                                        ; implicit-def: $sgpr45
	s_and_saveexec_b64 s[36:37], s[0:1]
	s_xor_b64 s[36:37], exec, s[36:37]
	s_cbranch_execnz .LBB273_111
; %bb.46:                               ;   in Loop: Header=BB273_9 Depth=1
	s_or_saveexec_b64 s[36:37], s[36:37]
	v_mov_b32_e32 v32, s45
	s_xor_b64 exec, exec, s[36:37]
	s_cbranch_execnz .LBB273_114
.LBB273_47:                             ;   in Loop: Header=BB273_9 Depth=1
	s_or_b64 exec, exec, s[36:37]
	s_and_saveexec_b64 s[36:37], s[34:35]
	s_cbranch_execz .LBB273_49
.LBB273_48:                             ;   in Loop: Header=BB273_9 Depth=1
	v_and_b32_e32 v34, 7, v2
	v_ffbh_u32_e32 v32, v34
	v_min_u32_e32 v36, 32, v32
	v_subrev_u32_e32 v32, 28, v36
	v_bfe_u32 v35, v2, 3, 4
	v_lshlrev_b64 v[32:33], v32, v[2:3]
	v_sub_u32_e32 v33, 29, v36
	v_cmp_eq_u32_e64 s[0:1], 0, v35
	v_and_b32_e32 v32, 7, v32
	v_lshlrev_b32_e32 v2, 8, v2
	v_cndmask_b32_e64 v33, v35, v33, s[0:1]
	v_lshl_add_u32 v33, v33, 10, v20
	v_cndmask_b32_e64 v32, v34, v32, s[0:1]
	v_and_or_b32 v2, v2, s44, v33
	v_lshl_or_b32 v2, v32, 7, v2
	v_cvt_f32_f16_e32 v32, v2
.LBB273_49:                             ;   in Loop: Header=BB273_9 Depth=1
	s_or_b64 exec, exec, s[36:37]
	v_lshrrev_b32_e32 v2, 16, v12
	v_cmp_gt_i16_sdwa s[34:35], v2, s42 src0_sel:BYTE_0 src1_sel:DWORD
	s_mov_b64 s[0:1], 0
                                        ; implicit-def: $sgpr38
	s_and_saveexec_b64 s[36:37], s[34:35]
	s_xor_b64 s[34:35], exec, s[36:37]
	s_cbranch_execnz .LBB273_115
; %bb.50:                               ;   in Loop: Header=BB273_9 Depth=1
	s_or_saveexec_b64 s[34:35], s[34:35]
	v_mov_b32_e32 v33, s38
	s_xor_b64 exec, exec, s[34:35]
	s_cbranch_execnz .LBB273_118
.LBB273_51:                             ;   in Loop: Header=BB273_9 Depth=1
	s_or_b64 exec, exec, s[34:35]
	s_and_saveexec_b64 s[34:35], s[0:1]
	s_cbranch_execz .LBB273_53
.LBB273_52:                             ;   in Loop: Header=BB273_9 Depth=1
	v_bfe_u32 v33, v12, 16, 3
	v_ffbh_u32_e32 v34, v33
	v_min_u32_e32 v37, 32, v34
	v_subrev_u32_e32 v34, 28, v37
	v_bfe_u32 v36, v12, 19, 4
	v_lshlrev_b64 v[34:35], v34, v[2:3]
	v_sub_u32_e32 v35, 29, v37
	v_cmp_eq_u32_e64 s[0:1], 0, v36
	v_and_b32_e32 v34, 7, v34
	v_lshlrev_b32_e32 v2, 8, v2
	v_cndmask_b32_e64 v35, v36, v35, s[0:1]
	v_cndmask_b32_e64 v33, v33, v34, s[0:1]
	v_lshl_add_u32 v34, v35, 10, v20
	v_and_or_b32 v2, v2, s44, v34
	v_lshl_or_b32 v2, v33, 7, v2
	v_cvt_f32_f16_e32 v33, v2
.LBB273_53:                             ;   in Loop: Header=BB273_9 Depth=1
	s_or_b64 exec, exec, s[34:35]
	v_lshrrev_b32_e32 v2, 24, v12
	v_cmp_lt_i16_e64 s[0:1], s42, v2
	s_mov_b64 s[34:35], 0
                                        ; implicit-def: $sgpr45
	s_and_saveexec_b64 s[36:37], s[0:1]
	s_xor_b64 s[36:37], exec, s[36:37]
	s_cbranch_execnz .LBB273_119
; %bb.54:                               ;   in Loop: Header=BB273_9 Depth=1
	s_or_saveexec_b64 s[36:37], s[36:37]
	v_mov_b32_e32 v34, s45
	s_xor_b64 exec, exec, s[36:37]
	s_cbranch_execnz .LBB273_122
.LBB273_55:                             ;   in Loop: Header=BB273_9 Depth=1
	s_or_b64 exec, exec, s[36:37]
	s_and_saveexec_b64 s[36:37], s[34:35]
	s_cbranch_execz .LBB273_57
.LBB273_56:                             ;   in Loop: Header=BB273_9 Depth=1
	v_bfe_u32 v36, v12, 24, 3
	v_ffbh_u32_e32 v34, v36
	v_min_u32_e32 v37, 32, v34
	v_subrev_u32_e32 v34, 28, v37
	v_bfe_u32 v12, v12, 27, 4
	v_lshlrev_b64 v[34:35], v34, v[2:3]
	v_sub_u32_e32 v35, 29, v37
	v_cmp_eq_u32_e64 s[0:1], 0, v12
	v_and_b32_e32 v34, 7, v34
	v_lshlrev_b32_e32 v2, 8, v2
	v_cndmask_b32_e64 v12, v12, v35, s[0:1]
	v_lshl_add_u32 v12, v12, 10, v20
	v_cndmask_b32_e64 v34, v36, v34, s[0:1]
	v_and_or_b32 v2, v2, s44, v12
	v_lshl_or_b32 v2, v34, 7, v2
	v_cvt_f32_f16_e32 v34, v2
.LBB273_57:                             ;   in Loop: Header=BB273_9 Depth=1
	s_or_b64 exec, exec, s[36:37]
	global_load_dword v10, v[10:11], off offset:520
	s_mov_b64 s[0:1], 0
                                        ; implicit-def: $sgpr38
	s_waitcnt vmcnt(0)
	v_cmp_gt_i16_sdwa s[34:35], v10, s42 src0_sel:BYTE_0 src1_sel:DWORD
	s_and_saveexec_b64 s[36:37], s[34:35]
	s_xor_b64 s[34:35], exec, s[36:37]
	s_cbranch_execnz .LBB273_123
; %bb.58:                               ;   in Loop: Header=BB273_9 Depth=1
	s_or_saveexec_b64 s[34:35], s[34:35]
	v_mov_b32_e32 v11, s38
	s_xor_b64 exec, exec, s[34:35]
	s_cbranch_execnz .LBB273_126
.LBB273_59:                             ;   in Loop: Header=BB273_9 Depth=1
	s_or_b64 exec, exec, s[34:35]
	s_and_saveexec_b64 s[34:35], s[0:1]
	s_cbranch_execz .LBB273_61
.LBB273_60:                             ;   in Loop: Header=BB273_9 Depth=1
	v_and_b32_e32 v2, 7, v10
	v_ffbh_u32_e32 v12, v2
	v_bfe_u32 v11, v10, 3, 4
	v_min_u32_e32 v12, 32, v12
	v_subrev_u32_e32 v35, 28, v12
	v_sub_u32_e32 v12, 29, v12
	v_cmp_eq_u32_e64 s[0:1], 0, v11
	v_lshlrev_b64 v[36:37], v35, v[10:11]
	v_and_b32_e32 v35, 7, v36
	v_cndmask_b32_e64 v11, v11, v12, s[0:1]
	v_lshlrev_b32_e32 v12, 8, v10
	v_lshl_add_u32 v11, v11, 10, v20
	v_cndmask_b32_e64 v2, v2, v35, s[0:1]
	v_and_or_b32 v11, v12, s44, v11
	v_lshl_or_b32 v2, v2, 7, v11
	v_cvt_f32_f16_e32 v11, v2
.LBB273_61:                             ;   in Loop: Header=BB273_9 Depth=1
	s_or_b64 exec, exec, s[34:35]
	v_lshrrev_b16_e32 v2, 8, v10
	v_cmp_lt_i16_e64 s[0:1], s42, v2
	s_mov_b64 s[34:35], 0
                                        ; implicit-def: $sgpr45
	s_and_saveexec_b64 s[36:37], s[0:1]
	s_xor_b64 s[36:37], exec, s[36:37]
	s_cbranch_execnz .LBB273_127
; %bb.62:                               ;   in Loop: Header=BB273_9 Depth=1
	s_or_saveexec_b64 s[36:37], s[36:37]
	v_mov_b32_e32 v12, s45
	s_xor_b64 exec, exec, s[36:37]
	s_cbranch_execnz .LBB273_130
.LBB273_63:                             ;   in Loop: Header=BB273_9 Depth=1
	s_or_b64 exec, exec, s[36:37]
	s_and_saveexec_b64 s[36:37], s[34:35]
	s_cbranch_execz .LBB273_65
.LBB273_64:                             ;   in Loop: Header=BB273_9 Depth=1
	v_and_b32_e32 v12, 7, v2
	v_ffbh_u32_e32 v36, v12
	v_min_u32_e32 v38, 32, v36
	v_subrev_u32_e32 v36, 28, v38
	v_bfe_u32 v35, v2, 3, 4
	v_lshlrev_b64 v[36:37], v36, v[2:3]
	v_sub_u32_e32 v37, 29, v38
	v_cmp_eq_u32_e64 s[0:1], 0, v35
	v_and_b32_e32 v36, 7, v36
	v_lshlrev_b32_e32 v2, 8, v2
	v_cndmask_b32_e64 v35, v35, v37, s[0:1]
	v_lshl_add_u32 v35, v35, 10, v20
	v_cndmask_b32_e64 v12, v12, v36, s[0:1]
	v_and_or_b32 v2, v2, s44, v35
	v_lshl_or_b32 v2, v12, 7, v2
	v_cvt_f32_f16_e32 v12, v2
.LBB273_65:                             ;   in Loop: Header=BB273_9 Depth=1
	s_or_b64 exec, exec, s[36:37]
	v_lshrrev_b32_e32 v2, 16, v10
	v_cmp_gt_i16_sdwa s[34:35], v2, s42 src0_sel:BYTE_0 src1_sel:DWORD
	s_mov_b64 s[0:1], 0
                                        ; implicit-def: $sgpr38
	s_and_saveexec_b64 s[36:37], s[34:35]
	s_xor_b64 s[34:35], exec, s[36:37]
	s_cbranch_execnz .LBB273_131
; %bb.66:                               ;   in Loop: Header=BB273_9 Depth=1
	s_or_saveexec_b64 s[34:35], s[34:35]
	v_mov_b32_e32 v35, s38
	s_xor_b64 exec, exec, s[34:35]
	s_cbranch_execnz .LBB273_134
.LBB273_67:                             ;   in Loop: Header=BB273_9 Depth=1
	s_or_b64 exec, exec, s[34:35]
	s_and_saveexec_b64 s[34:35], s[0:1]
	s_cbranch_execz .LBB273_69
.LBB273_68:                             ;   in Loop: Header=BB273_9 Depth=1
	v_bfe_u32 v35, v10, 16, 3
	v_ffbh_u32_e32 v36, v35
	v_min_u32_e32 v39, 32, v36
	v_subrev_u32_e32 v36, 28, v39
	v_bfe_u32 v38, v10, 19, 4
	v_lshlrev_b64 v[36:37], v36, v[2:3]
	v_sub_u32_e32 v37, 29, v39
	v_cmp_eq_u32_e64 s[0:1], 0, v38
	v_and_b32_e32 v36, 7, v36
	v_lshlrev_b32_e32 v2, 8, v2
	v_cndmask_b32_e64 v37, v38, v37, s[0:1]
	v_cndmask_b32_e64 v35, v35, v36, s[0:1]
	v_lshl_add_u32 v36, v37, 10, v20
	v_and_or_b32 v2, v2, s44, v36
	v_lshl_or_b32 v2, v35, 7, v2
	v_cvt_f32_f16_e32 v35, v2
.LBB273_69:                             ;   in Loop: Header=BB273_9 Depth=1
	s_or_b64 exec, exec, s[34:35]
	v_lshrrev_b32_e32 v2, 24, v10
	v_cmp_lt_i16_e64 s[0:1], s42, v2
	s_mov_b64 s[34:35], 0
                                        ; implicit-def: $sgpr45
	s_and_saveexec_b64 s[36:37], s[0:1]
	s_xor_b64 s[36:37], exec, s[36:37]
	s_cbranch_execnz .LBB273_135
; %bb.70:                               ;   in Loop: Header=BB273_9 Depth=1
	s_or_saveexec_b64 s[36:37], s[36:37]
	v_mov_b32_e32 v36, s45
	s_xor_b64 exec, exec, s[36:37]
	s_cbranch_execnz .LBB273_138
.LBB273_71:                             ;   in Loop: Header=BB273_9 Depth=1
	s_or_b64 exec, exec, s[36:37]
	s_and_saveexec_b64 s[36:37], s[34:35]
	s_cbranch_execz .LBB273_73
.LBB273_72:                             ;   in Loop: Header=BB273_9 Depth=1
	v_bfe_u32 v38, v10, 24, 3
	v_ffbh_u32_e32 v36, v38
	v_min_u32_e32 v39, 32, v36
	v_subrev_u32_e32 v36, 28, v39
	v_bfe_u32 v10, v10, 27, 4
	v_lshlrev_b64 v[36:37], v36, v[2:3]
	v_sub_u32_e32 v37, 29, v39
	v_cmp_eq_u32_e64 s[0:1], 0, v10
	v_and_b32_e32 v36, 7, v36
	v_lshlrev_b32_e32 v2, 8, v2
	v_cndmask_b32_e64 v10, v10, v37, s[0:1]
	v_lshl_add_u32 v10, v10, 10, v20
	v_cndmask_b32_e64 v36, v38, v36, s[0:1]
	v_and_or_b32 v2, v2, s44, v10
	v_lshl_or_b32 v2, v36, 7, v2
	v_cvt_f32_f16_e32 v36, v2
.LBB273_73:                             ;   in Loop: Header=BB273_9 Depth=1
	s_or_b64 exec, exec, s[36:37]
	v_fma_mixlo_f16 v2, v22, v32, 0
	v_fma_mixlo_f16 v32, v22, v33, 0
	v_fma_mixlo_f16 v33, v22, v34, 0
	v_fma_mixlo_f16 v10, v22, v28, 0
	v_fma_mixlo_f16 v34, v22, v29, 0
	ds_read_b64 v[28:29], v17
	v_fma_mixlo_f16 v24, v22, v24, 0
	v_fma_mixlo_f16 v23, v22, v23, 0
	v_and_b32_e32 v23, 0xffff, v23
	v_and_b32_e32 v24, 0xffff, v24
	s_waitcnt lgkmcnt(0)
	v_lshrrev_b32_e32 v37, 16, v28
	v_and_b32_e32 v28, 0xffff, v28
	v_fma_mixlo_f16 v25, v22, v25, 0
	;;#ASMSTART
	v_cvt_f32_f16 v28, v28;
	;;#ASMEND
	;;#ASMSTART
	v_cvt_f32_f16 v37, v37;
	;;#ASMEND
	;; [unrolled: 3-line block ×4, first 2 shown]
	v_lshrrev_b32_e32 v24, 16, v29
	v_and_b32_e32 v29, 0xffff, v29
	v_fma_mixlo_f16 v26, v22, v26, 0
	;;#ASMSTART
	v_cvt_f32_f16 v29, v29;
	;;#ASMEND
	;;#ASMSTART
	v_cvt_f32_f16 v39, v24;
	;;#ASMEND
	v_and_b32_e32 v24, 0xffff, v25
	;;#ASMSTART
	v_cvt_f32_f16 v40, v24;
	;;#ASMEND
	v_and_b32_e32 v24, 0xffff, v26
	;;#ASMSTART
	v_cvt_f32_f16 v26, v24;
	;;#ASMEND
	ds_read_b64 v[24:25], v17 offset:8
	v_fma_mixlo_f16 v27, v22, v27, 0
	v_fma_mixlo_f16 v41, v22, v11, 0
	v_and_b32_e32 v27, 0xffff, v27
	v_and_b32_e32 v10, 0xffff, v10
	s_waitcnt lgkmcnt(0)
	v_lshrrev_b32_e32 v11, 16, v24
	v_and_b32_e32 v24, 0xffff, v24
	;;#ASMSTART
	v_cvt_f32_f16 v24, v24;
	;;#ASMEND
	;;#ASMSTART
	v_cvt_f32_f16 v11, v11;
	;;#ASMEND
	;; [unrolled: 3-line block ×4, first 2 shown]
	v_fma_mixlo_f16 v30, v22, v30, 0
	v_mul_f32_e32 v24, v24, v27
	v_fmac_f32_e32 v24, v28, v23
	v_mul_f32_e32 v23, v11, v10
	v_lshrrev_b32_e32 v10, 16, v25
	v_and_b32_e32 v11, 0xffff, v25
	;;#ASMSTART
	v_cvt_f32_f16 v25, v11;
	;;#ASMEND
	;;#ASMSTART
	v_cvt_f32_f16 v27, v10;
	;;#ASMEND
	v_and_b32_e32 v10, 0xffff, v34
	;;#ASMSTART
	v_cvt_f32_f16 v28, v10;
	;;#ASMEND
	v_and_b32_e32 v10, 0xffff, v30
	;;#ASMSTART
	v_cvt_f32_f16 v30, v10;
	;;#ASMEND
	ds_read_b64 v[10:11], v17 offset:16
	v_mul_f32_e32 v27, v27, v30
	v_fma_mixlo_f16 v31, v22, v31, 0
	v_fmac_f32_e32 v27, v39, v26
	v_mul_f32_e32 v25, v25, v28
	s_waitcnt lgkmcnt(0)
	v_lshrrev_b32_e32 v26, 16, v10
	v_and_b32_e32 v10, 0xffff, v10
	;;#ASMSTART
	v_cvt_f32_f16 v28, v10;
	;;#ASMEND
	v_and_b32_e32 v10, 0xffff, v31
	v_fmac_f32_e32 v25, v29, v40
	;;#ASMSTART
	v_cvt_f32_f16 v26, v26;
	;;#ASMEND
	;;#ASMSTART
	v_cvt_f32_f16 v29, v10;
	;;#ASMEND
	v_and_b32_e32 v2, 0xffff, v2
	v_lshrrev_b32_e32 v10, 16, v11
	;;#ASMSTART
	v_cvt_f32_f16 v2, v2;
	;;#ASMEND
	v_and_b32_e32 v11, 0xffff, v11
	;;#ASMSTART
	v_cvt_f32_f16 v30, v11;
	;;#ASMEND
	;;#ASMSTART
	v_cvt_f32_f16 v31, v10;
	;;#ASMEND
	v_and_b32_e32 v10, 0xffff, v32
	;;#ASMSTART
	v_cvt_f32_f16 v32, v10;
	;;#ASMEND
	v_and_b32_e32 v10, 0xffff, v33
	;;#ASMSTART
	v_cvt_f32_f16 v33, v10;
	;;#ASMEND
	ds_read_b64 v[10:11], v17 offset:24
	v_fmac_f32_e32 v23, v37, v38
	v_fma_mixlo_f16 v12, v22, v12, 0
	v_fmac_f32_e32 v23, v26, v2
	v_fmac_f32_e32 v24, v28, v29
	s_waitcnt lgkmcnt(0)
	v_lshrrev_b32_e32 v2, 16, v10
	v_and_b32_e32 v10, 0xffff, v10
	;;#ASMSTART
	v_cvt_f32_f16 v10, v10;
	;;#ASMEND
	;;#ASMSTART
	v_cvt_f32_f16 v2, v2;
	;;#ASMEND
	v_and_b32_e32 v26, 0xffff, v41
	v_and_b32_e32 v12, 0xffff, v12
	v_fma_mixlo_f16 v35, v22, v35, 0
	v_fma_mixlo_f16 v22, v22, v36, 0
	;;#ASMSTART
	v_cvt_f32_f16 v26, v26;
	;;#ASMEND
	;;#ASMSTART
	v_cvt_f32_f16 v12, v12;
	;;#ASMEND
	v_fmac_f32_e32 v25, v30, v32
	v_fmac_f32_e32 v24, v10, v26
	;; [unrolled: 1-line block ×3, first 2 shown]
	v_lshrrev_b32_e32 v2, 16, v11
	v_and_b32_e32 v10, 0xffff, v11
	v_fmac_f32_e32 v27, v31, v33
	;;#ASMSTART
	v_cvt_f32_f16 v10, v10;
	;;#ASMEND
	;;#ASMSTART
	v_cvt_f32_f16 v2, v2;
	;;#ASMEND
	v_and_b32_e32 v11, 0xffff, v35
	v_and_b32_e32 v12, 0xffff, v22
	;;#ASMSTART
	v_cvt_f32_f16 v11, v11;
	;;#ASMEND
	;;#ASMSTART
	v_cvt_f32_f16 v12, v12;
	;;#ASMEND
	s_nop 0
	v_fmac_f32_e32 v25, v10, v11
	v_fmac_f32_e32 v27, v2, v12
	v_add_f32_e32 v2, v24, v23
	v_add_f32_e32 v2, v2, v25
	;; [unrolled: 1-line block ×3, first 2 shown]
	v_and_b32_e32 v2, 64, v15
	v_xor_b32_e32 v11, 1, v15
	v_add_u32_e32 v2, 64, v2
	v_cmp_lt_i32_e64 s[0:1], v11, v2
	s_nop 1
	v_cndmask_b32_e64 v11, v15, v11, s[0:1]
	v_lshlrev_b32_e32 v11, 2, v11
	ds_bpermute_b32 v11, v11, v10
	s_and_saveexec_b64 s[34:35], vcc
	s_cbranch_execz .LBB273_8
; %bb.74:                               ;   in Loop: Header=BB273_9 Depth=1
	v_add_u32_e32 v12, s41, v18
	v_cvt_f32_i32_e32 v12, v12
	s_waitcnt lgkmcnt(0)
	v_add_f32_e32 v10, v10, v11
	v_cmp_gt_i32_e64 s[0:1], s33, v18
	v_max_f32_e32 v11, v16, v16
	v_mul_f32_e32 v12, s28, v12
	v_cndmask_b32_e64 v12, 0, v12, s[2:3]
	v_fmac_f32_e32 v12, s29, v10
	v_cndmask_b32_e64 v10, 0, v12, s[0:1]
	ds_write_b32 v19, v10
	v_max_f32_e32 v10, v11, v12
	v_cndmask_b32_e64 v16, v16, v10, s[0:1]
	s_branch .LBB273_8
.LBB273_75:                             ;   in Loop: Header=BB273_9 Depth=1
	v_cmp_eq_u16_sdwa s[46:47], v12, s43 src0_sel:BYTE_0 src1_sel:DWORD
	s_mov_b64 s[0:1], -1
                                        ; implicit-def: $sgpr38
	s_and_saveexec_b64 s[36:37], s[46:47]
; %bb.76:                               ;   in Loop: Header=BB273_9 Depth=1
	s_mov_b32 s38, 0x7fc02000
	s_xor_b64 s[0:1], exec, -1
; %bb.77:                               ;   in Loop: Header=BB273_9 Depth=1
	s_or_b64 exec, exec, s[36:37]
	s_and_b64 s[0:1], s[0:1], exec
	s_or_saveexec_b64 s[34:35], s[34:35]
	v_mov_b32_e32 v23, s38
	s_xor_b64 exec, exec, s[34:35]
	s_cbranch_execz .LBB273_11
.LBB273_78:                             ;   in Loop: Header=BB273_9 Depth=1
	v_cmp_ne_u16_sdwa s[36:37], v12, v3 src0_sel:BYTE_0 src1_sel:DWORD
	s_andn2_b64 s[0:1], s[0:1], exec
	s_and_b64 s[36:37], s[36:37], exec
	v_mov_b32_e32 v23, 0
	s_or_b64 s[0:1], s[0:1], s[36:37]
	s_or_b64 exec, exec, s[34:35]
	s_and_saveexec_b64 s[34:35], s[0:1]
	s_cbranch_execnz .LBB273_12
	s_branch .LBB273_13
.LBB273_79:                             ;   in Loop: Header=BB273_9 Depth=1
	v_cmp_eq_u16_e64 s[0:1], s43, v2
	s_mov_b64 s[34:35], -1
                                        ; implicit-def: $sgpr45
	s_and_saveexec_b64 s[38:39], s[0:1]
; %bb.80:                               ;   in Loop: Header=BB273_9 Depth=1
	s_mov_b32 s45, 0x7fc02000
	s_xor_b64 s[34:35], exec, -1
; %bb.81:                               ;   in Loop: Header=BB273_9 Depth=1
	s_or_b64 exec, exec, s[38:39]
	s_and_b64 s[34:35], s[34:35], exec
	s_or_saveexec_b64 s[36:37], s[36:37]
	v_mov_b32_e32 v24, s45
	s_xor_b64 exec, exec, s[36:37]
	s_cbranch_execz .LBB273_15
.LBB273_82:                             ;   in Loop: Header=BB273_9 Depth=1
	v_cmp_ne_u16_e64 s[0:1], 0, v2
	s_andn2_b64 s[34:35], s[34:35], exec
	s_and_b64 s[0:1], s[0:1], exec
	v_mov_b32_e32 v24, 0
	s_or_b64 s[34:35], s[34:35], s[0:1]
	s_or_b64 exec, exec, s[36:37]
	s_and_saveexec_b64 s[36:37], s[34:35]
	s_cbranch_execnz .LBB273_16
	s_branch .LBB273_17
.LBB273_83:                             ;   in Loop: Header=BB273_9 Depth=1
	v_cmp_eq_u16_sdwa s[46:47], v2, s43 src0_sel:BYTE_0 src1_sel:DWORD
	s_mov_b64 s[0:1], -1
                                        ; implicit-def: $sgpr38
	s_and_saveexec_b64 s[36:37], s[46:47]
; %bb.84:                               ;   in Loop: Header=BB273_9 Depth=1
	s_mov_b32 s38, 0x7fc02000
	s_xor_b64 s[0:1], exec, -1
; %bb.85:                               ;   in Loop: Header=BB273_9 Depth=1
	s_or_b64 exec, exec, s[36:37]
	s_and_b64 s[0:1], s[0:1], exec
	s_or_saveexec_b64 s[34:35], s[34:35]
	v_mov_b32_e32 v25, s38
	s_xor_b64 exec, exec, s[34:35]
	s_cbranch_execz .LBB273_19
.LBB273_86:                             ;   in Loop: Header=BB273_9 Depth=1
	v_cmp_ne_u16_sdwa s[36:37], v2, v3 src0_sel:BYTE_0 src1_sel:DWORD
	s_andn2_b64 s[0:1], s[0:1], exec
	s_and_b64 s[36:37], s[36:37], exec
	v_mov_b32_e32 v25, 0
	s_or_b64 s[0:1], s[0:1], s[36:37]
	s_or_b64 exec, exec, s[34:35]
	s_and_saveexec_b64 s[34:35], s[0:1]
	s_cbranch_execnz .LBB273_20
	s_branch .LBB273_21
.LBB273_87:                             ;   in Loop: Header=BB273_9 Depth=1
	v_cmp_eq_u16_e64 s[0:1], s43, v2
	s_mov_b64 s[34:35], -1
                                        ; implicit-def: $sgpr45
	s_and_saveexec_b64 s[38:39], s[0:1]
; %bb.88:                               ;   in Loop: Header=BB273_9 Depth=1
	s_mov_b32 s45, 0x7fc02000
	s_xor_b64 s[34:35], exec, -1
; %bb.89:                               ;   in Loop: Header=BB273_9 Depth=1
	s_or_b64 exec, exec, s[38:39]
	s_and_b64 s[34:35], s[34:35], exec
	s_or_saveexec_b64 s[36:37], s[36:37]
	v_mov_b32_e32 v26, s45
	s_xor_b64 exec, exec, s[36:37]
	s_cbranch_execz .LBB273_23
.LBB273_90:                             ;   in Loop: Header=BB273_9 Depth=1
	v_cmp_ne_u16_e64 s[0:1], 0, v2
	s_andn2_b64 s[34:35], s[34:35], exec
	s_and_b64 s[0:1], s[0:1], exec
	v_mov_b32_e32 v26, 0
	s_or_b64 s[34:35], s[34:35], s[0:1]
	s_or_b64 exec, exec, s[36:37]
	s_and_saveexec_b64 s[36:37], s[34:35]
	s_cbranch_execnz .LBB273_24
	s_branch .LBB273_25
.LBB273_91:                             ;   in Loop: Header=BB273_9 Depth=1
	v_cmp_eq_u16_sdwa s[46:47], v12, s43 src0_sel:BYTE_0 src1_sel:DWORD
	s_mov_b64 s[0:1], -1
                                        ; implicit-def: $sgpr38
	s_and_saveexec_b64 s[36:37], s[46:47]
; %bb.92:                               ;   in Loop: Header=BB273_9 Depth=1
	s_mov_b32 s38, 0x7fc02000
	s_xor_b64 s[0:1], exec, -1
; %bb.93:                               ;   in Loop: Header=BB273_9 Depth=1
	s_or_b64 exec, exec, s[36:37]
	s_and_b64 s[0:1], s[0:1], exec
	s_or_saveexec_b64 s[34:35], s[34:35]
	v_mov_b32_e32 v27, s38
	s_xor_b64 exec, exec, s[34:35]
	s_cbranch_execz .LBB273_27
.LBB273_94:                             ;   in Loop: Header=BB273_9 Depth=1
	v_cmp_ne_u16_sdwa s[36:37], v12, v3 src0_sel:BYTE_0 src1_sel:DWORD
	s_andn2_b64 s[0:1], s[0:1], exec
	s_and_b64 s[36:37], s[36:37], exec
	v_mov_b32_e32 v27, 0
	s_or_b64 s[0:1], s[0:1], s[36:37]
	s_or_b64 exec, exec, s[34:35]
	s_and_saveexec_b64 s[34:35], s[0:1]
	s_cbranch_execnz .LBB273_28
	s_branch .LBB273_29
.LBB273_95:                             ;   in Loop: Header=BB273_9 Depth=1
	v_cmp_eq_u16_e64 s[0:1], s43, v2
	s_mov_b64 s[34:35], -1
                                        ; implicit-def: $sgpr45
	s_and_saveexec_b64 s[38:39], s[0:1]
; %bb.96:                               ;   in Loop: Header=BB273_9 Depth=1
	s_mov_b32 s45, 0x7fc02000
	s_xor_b64 s[34:35], exec, -1
; %bb.97:                               ;   in Loop: Header=BB273_9 Depth=1
	s_or_b64 exec, exec, s[38:39]
	s_and_b64 s[34:35], s[34:35], exec
	s_or_saveexec_b64 s[36:37], s[36:37]
	v_mov_b32_e32 v28, s45
	s_xor_b64 exec, exec, s[36:37]
	s_cbranch_execz .LBB273_31
.LBB273_98:                             ;   in Loop: Header=BB273_9 Depth=1
	v_cmp_ne_u16_e64 s[0:1], 0, v2
	s_andn2_b64 s[34:35], s[34:35], exec
	s_and_b64 s[0:1], s[0:1], exec
	v_mov_b32_e32 v28, 0
	s_or_b64 s[34:35], s[34:35], s[0:1]
	s_or_b64 exec, exec, s[36:37]
	s_and_saveexec_b64 s[36:37], s[34:35]
	s_cbranch_execnz .LBB273_32
	s_branch .LBB273_33
.LBB273_99:                             ;   in Loop: Header=BB273_9 Depth=1
	v_cmp_eq_u16_sdwa s[46:47], v2, s43 src0_sel:BYTE_0 src1_sel:DWORD
	s_mov_b64 s[0:1], -1
                                        ; implicit-def: $sgpr38
	s_and_saveexec_b64 s[36:37], s[46:47]
; %bb.100:                              ;   in Loop: Header=BB273_9 Depth=1
	s_mov_b32 s38, 0x7fc02000
	s_xor_b64 s[0:1], exec, -1
; %bb.101:                              ;   in Loop: Header=BB273_9 Depth=1
	s_or_b64 exec, exec, s[36:37]
	s_and_b64 s[0:1], s[0:1], exec
	s_or_saveexec_b64 s[34:35], s[34:35]
	v_mov_b32_e32 v29, s38
	s_xor_b64 exec, exec, s[34:35]
	s_cbranch_execz .LBB273_35
.LBB273_102:                            ;   in Loop: Header=BB273_9 Depth=1
	v_cmp_ne_u16_sdwa s[36:37], v2, v3 src0_sel:BYTE_0 src1_sel:DWORD
	s_andn2_b64 s[0:1], s[0:1], exec
	s_and_b64 s[36:37], s[36:37], exec
	v_mov_b32_e32 v29, 0
	s_or_b64 s[0:1], s[0:1], s[36:37]
	s_or_b64 exec, exec, s[34:35]
	s_and_saveexec_b64 s[34:35], s[0:1]
	s_cbranch_execnz .LBB273_36
	s_branch .LBB273_37
.LBB273_103:                            ;   in Loop: Header=BB273_9 Depth=1
	v_cmp_eq_u16_e64 s[0:1], s43, v2
	s_mov_b64 s[34:35], -1
                                        ; implicit-def: $sgpr45
	s_and_saveexec_b64 s[38:39], s[0:1]
; %bb.104:                              ;   in Loop: Header=BB273_9 Depth=1
	s_mov_b32 s45, 0x7fc02000
	s_xor_b64 s[34:35], exec, -1
; %bb.105:                              ;   in Loop: Header=BB273_9 Depth=1
	s_or_b64 exec, exec, s[38:39]
	s_and_b64 s[34:35], s[34:35], exec
	s_or_saveexec_b64 s[36:37], s[36:37]
	v_mov_b32_e32 v30, s45
	s_xor_b64 exec, exec, s[36:37]
	s_cbranch_execz .LBB273_39
.LBB273_106:                            ;   in Loop: Header=BB273_9 Depth=1
	v_cmp_ne_u16_e64 s[0:1], 0, v2
	s_andn2_b64 s[34:35], s[34:35], exec
	s_and_b64 s[0:1], s[0:1], exec
	v_mov_b32_e32 v30, 0
	s_or_b64 s[34:35], s[34:35], s[0:1]
	s_or_b64 exec, exec, s[36:37]
	s_and_saveexec_b64 s[36:37], s[34:35]
	s_cbranch_execnz .LBB273_40
	s_branch .LBB273_41
.LBB273_107:                            ;   in Loop: Header=BB273_9 Depth=1
	v_cmp_eq_u16_sdwa s[46:47], v12, s43 src0_sel:BYTE_0 src1_sel:DWORD
	s_mov_b64 s[0:1], -1
                                        ; implicit-def: $sgpr38
	s_and_saveexec_b64 s[36:37], s[46:47]
; %bb.108:                              ;   in Loop: Header=BB273_9 Depth=1
	s_mov_b32 s38, 0x7fc02000
	s_xor_b64 s[0:1], exec, -1
; %bb.109:                              ;   in Loop: Header=BB273_9 Depth=1
	s_or_b64 exec, exec, s[36:37]
	s_and_b64 s[0:1], s[0:1], exec
	s_or_saveexec_b64 s[34:35], s[34:35]
	v_mov_b32_e32 v31, s38
	s_xor_b64 exec, exec, s[34:35]
	s_cbranch_execz .LBB273_43
.LBB273_110:                            ;   in Loop: Header=BB273_9 Depth=1
	v_cmp_ne_u16_sdwa s[36:37], v12, v3 src0_sel:BYTE_0 src1_sel:DWORD
	s_andn2_b64 s[0:1], s[0:1], exec
	s_and_b64 s[36:37], s[36:37], exec
	v_mov_b32_e32 v31, 0
	s_or_b64 s[0:1], s[0:1], s[36:37]
	s_or_b64 exec, exec, s[34:35]
	s_and_saveexec_b64 s[34:35], s[0:1]
	s_cbranch_execnz .LBB273_44
	s_branch .LBB273_45
.LBB273_111:                            ;   in Loop: Header=BB273_9 Depth=1
	v_cmp_eq_u16_e64 s[0:1], s43, v2
	s_mov_b64 s[34:35], -1
                                        ; implicit-def: $sgpr45
	s_and_saveexec_b64 s[38:39], s[0:1]
; %bb.112:                              ;   in Loop: Header=BB273_9 Depth=1
	s_mov_b32 s45, 0x7fc02000
	s_xor_b64 s[34:35], exec, -1
; %bb.113:                              ;   in Loop: Header=BB273_9 Depth=1
	s_or_b64 exec, exec, s[38:39]
	s_and_b64 s[34:35], s[34:35], exec
	s_or_saveexec_b64 s[36:37], s[36:37]
	v_mov_b32_e32 v32, s45
	s_xor_b64 exec, exec, s[36:37]
	s_cbranch_execz .LBB273_47
.LBB273_114:                            ;   in Loop: Header=BB273_9 Depth=1
	v_cmp_ne_u16_e64 s[0:1], 0, v2
	s_andn2_b64 s[34:35], s[34:35], exec
	s_and_b64 s[0:1], s[0:1], exec
	v_mov_b32_e32 v32, 0
	s_or_b64 s[34:35], s[34:35], s[0:1]
	s_or_b64 exec, exec, s[36:37]
	s_and_saveexec_b64 s[36:37], s[34:35]
	s_cbranch_execnz .LBB273_48
	s_branch .LBB273_49
.LBB273_115:                            ;   in Loop: Header=BB273_9 Depth=1
	v_cmp_eq_u16_sdwa s[46:47], v2, s43 src0_sel:BYTE_0 src1_sel:DWORD
	s_mov_b64 s[0:1], -1
                                        ; implicit-def: $sgpr38
	s_and_saveexec_b64 s[36:37], s[46:47]
; %bb.116:                              ;   in Loop: Header=BB273_9 Depth=1
	s_mov_b32 s38, 0x7fc02000
	s_xor_b64 s[0:1], exec, -1
; %bb.117:                              ;   in Loop: Header=BB273_9 Depth=1
	s_or_b64 exec, exec, s[36:37]
	s_and_b64 s[0:1], s[0:1], exec
	s_or_saveexec_b64 s[34:35], s[34:35]
	v_mov_b32_e32 v33, s38
	s_xor_b64 exec, exec, s[34:35]
	s_cbranch_execz .LBB273_51
.LBB273_118:                            ;   in Loop: Header=BB273_9 Depth=1
	v_cmp_ne_u16_sdwa s[36:37], v2, v3 src0_sel:BYTE_0 src1_sel:DWORD
	s_andn2_b64 s[0:1], s[0:1], exec
	s_and_b64 s[36:37], s[36:37], exec
	v_mov_b32_e32 v33, 0
	s_or_b64 s[0:1], s[0:1], s[36:37]
	s_or_b64 exec, exec, s[34:35]
	s_and_saveexec_b64 s[34:35], s[0:1]
	s_cbranch_execnz .LBB273_52
	s_branch .LBB273_53
.LBB273_119:                            ;   in Loop: Header=BB273_9 Depth=1
	v_cmp_eq_u16_e64 s[0:1], s43, v2
	s_mov_b64 s[34:35], -1
                                        ; implicit-def: $sgpr45
	s_and_saveexec_b64 s[38:39], s[0:1]
; %bb.120:                              ;   in Loop: Header=BB273_9 Depth=1
	s_mov_b32 s45, 0x7fc02000
	s_xor_b64 s[34:35], exec, -1
; %bb.121:                              ;   in Loop: Header=BB273_9 Depth=1
	s_or_b64 exec, exec, s[38:39]
	s_and_b64 s[34:35], s[34:35], exec
	s_or_saveexec_b64 s[36:37], s[36:37]
	v_mov_b32_e32 v34, s45
	s_xor_b64 exec, exec, s[36:37]
	s_cbranch_execz .LBB273_55
.LBB273_122:                            ;   in Loop: Header=BB273_9 Depth=1
	v_cmp_ne_u16_e64 s[0:1], 0, v2
	s_andn2_b64 s[34:35], s[34:35], exec
	s_and_b64 s[0:1], s[0:1], exec
	v_mov_b32_e32 v34, 0
	s_or_b64 s[34:35], s[34:35], s[0:1]
	s_or_b64 exec, exec, s[36:37]
	s_and_saveexec_b64 s[36:37], s[34:35]
	s_cbranch_execnz .LBB273_56
	s_branch .LBB273_57
.LBB273_123:                            ;   in Loop: Header=BB273_9 Depth=1
	v_cmp_eq_u16_sdwa s[46:47], v10, s43 src0_sel:BYTE_0 src1_sel:DWORD
	s_mov_b64 s[0:1], -1
                                        ; implicit-def: $sgpr38
	s_and_saveexec_b64 s[36:37], s[46:47]
; %bb.124:                              ;   in Loop: Header=BB273_9 Depth=1
	s_mov_b32 s38, 0x7fc02000
	s_xor_b64 s[0:1], exec, -1
; %bb.125:                              ;   in Loop: Header=BB273_9 Depth=1
	s_or_b64 exec, exec, s[36:37]
	s_and_b64 s[0:1], s[0:1], exec
	s_or_saveexec_b64 s[34:35], s[34:35]
	v_mov_b32_e32 v11, s38
	s_xor_b64 exec, exec, s[34:35]
	s_cbranch_execz .LBB273_59
.LBB273_126:                            ;   in Loop: Header=BB273_9 Depth=1
	v_cmp_ne_u16_sdwa s[36:37], v10, v3 src0_sel:BYTE_0 src1_sel:DWORD
	s_andn2_b64 s[0:1], s[0:1], exec
	s_and_b64 s[36:37], s[36:37], exec
	v_mov_b32_e32 v11, 0
	s_or_b64 s[0:1], s[0:1], s[36:37]
	s_or_b64 exec, exec, s[34:35]
	s_and_saveexec_b64 s[34:35], s[0:1]
	s_cbranch_execnz .LBB273_60
	s_branch .LBB273_61
.LBB273_127:                            ;   in Loop: Header=BB273_9 Depth=1
	v_cmp_eq_u16_e64 s[0:1], s43, v2
	s_mov_b64 s[34:35], -1
                                        ; implicit-def: $sgpr45
	s_and_saveexec_b64 s[38:39], s[0:1]
; %bb.128:                              ;   in Loop: Header=BB273_9 Depth=1
	s_mov_b32 s45, 0x7fc02000
	s_xor_b64 s[34:35], exec, -1
; %bb.129:                              ;   in Loop: Header=BB273_9 Depth=1
	s_or_b64 exec, exec, s[38:39]
	s_and_b64 s[34:35], s[34:35], exec
	s_or_saveexec_b64 s[36:37], s[36:37]
	v_mov_b32_e32 v12, s45
	s_xor_b64 exec, exec, s[36:37]
	s_cbranch_execz .LBB273_63
.LBB273_130:                            ;   in Loop: Header=BB273_9 Depth=1
	v_cmp_ne_u16_e64 s[0:1], 0, v2
	s_andn2_b64 s[34:35], s[34:35], exec
	s_and_b64 s[0:1], s[0:1], exec
	v_mov_b32_e32 v12, 0
	s_or_b64 s[34:35], s[34:35], s[0:1]
	s_or_b64 exec, exec, s[36:37]
	s_and_saveexec_b64 s[36:37], s[34:35]
	s_cbranch_execnz .LBB273_64
	s_branch .LBB273_65
.LBB273_131:                            ;   in Loop: Header=BB273_9 Depth=1
	v_cmp_eq_u16_sdwa s[46:47], v2, s43 src0_sel:BYTE_0 src1_sel:DWORD
	s_mov_b64 s[0:1], -1
                                        ; implicit-def: $sgpr38
	s_and_saveexec_b64 s[36:37], s[46:47]
; %bb.132:                              ;   in Loop: Header=BB273_9 Depth=1
	s_mov_b32 s38, 0x7fc02000
	s_xor_b64 s[0:1], exec, -1
; %bb.133:                              ;   in Loop: Header=BB273_9 Depth=1
	s_or_b64 exec, exec, s[36:37]
	s_and_b64 s[0:1], s[0:1], exec
	s_or_saveexec_b64 s[34:35], s[34:35]
	v_mov_b32_e32 v35, s38
	s_xor_b64 exec, exec, s[34:35]
	s_cbranch_execz .LBB273_67
.LBB273_134:                            ;   in Loop: Header=BB273_9 Depth=1
	v_cmp_ne_u16_sdwa s[36:37], v2, v3 src0_sel:BYTE_0 src1_sel:DWORD
	s_andn2_b64 s[0:1], s[0:1], exec
	s_and_b64 s[36:37], s[36:37], exec
	v_mov_b32_e32 v35, 0
	s_or_b64 s[0:1], s[0:1], s[36:37]
	s_or_b64 exec, exec, s[34:35]
	s_and_saveexec_b64 s[34:35], s[0:1]
	s_cbranch_execnz .LBB273_68
	s_branch .LBB273_69
.LBB273_135:                            ;   in Loop: Header=BB273_9 Depth=1
	v_cmp_eq_u16_e64 s[0:1], s43, v2
	s_mov_b64 s[34:35], -1
                                        ; implicit-def: $sgpr45
	s_and_saveexec_b64 s[38:39], s[0:1]
; %bb.136:                              ;   in Loop: Header=BB273_9 Depth=1
	s_mov_b32 s45, 0x7fc02000
	s_xor_b64 s[34:35], exec, -1
; %bb.137:                              ;   in Loop: Header=BB273_9 Depth=1
	s_or_b64 exec, exec, s[38:39]
	s_and_b64 s[34:35], s[34:35], exec
	s_or_saveexec_b64 s[36:37], s[36:37]
	v_mov_b32_e32 v36, s45
	s_xor_b64 exec, exec, s[36:37]
	s_cbranch_execz .LBB273_71
.LBB273_138:                            ;   in Loop: Header=BB273_9 Depth=1
	v_cmp_ne_u16_e64 s[0:1], 0, v2
	s_andn2_b64 s[34:35], s[34:35], exec
	s_and_b64 s[0:1], s[0:1], exec
	v_mov_b32_e32 v36, 0
	s_or_b64 s[34:35], s[34:35], s[0:1]
	s_or_b64 exec, exec, s[36:37]
	s_and_saveexec_b64 s[36:37], s[34:35]
	s_cbranch_execnz .LBB273_72
	s_branch .LBB273_73
.LBB273_139:
	s_or_b64 exec, exec, s[14:15]
.LBB273_140:
	s_or_b64 exec, exec, s[30:31]
	v_xor_b32_e32 v3, 32, v15
	v_cmp_lt_i32_e32 vcc, v3, v2
	v_xor_b32_e32 v6, 16, v15
	v_max_f32_e32 v5, v16, v16
	v_cndmask_b32_e32 v3, v15, v3, vcc
	v_lshlrev_b32_e32 v3, 2, v3
	ds_bpermute_b32 v4, v3, v16
	v_cmp_lt_i32_e32 vcc, v6, v2
	v_xor_b32_e32 v7, 8, v15
	v_xor_b32_e32 v8, 4, v15
	v_xor_b32_e32 v9, 2, v15
	s_waitcnt lgkmcnt(0)
	v_max_f32_e32 v4, v4, v4
	v_max_f32_e32 v5, v5, v4
	v_cndmask_b32_e32 v4, v15, v6, vcc
	v_lshlrev_b32_e32 v4, 2, v4
	ds_bpermute_b32 v6, v4, v5
	v_cmp_lt_i32_e32 vcc, v7, v2
	v_and_b32_e32 v20, 63, v0
	s_waitcnt lgkmcnt(0)
	v_max_f32_e32 v6, v6, v6
	v_max_f32_e32 v6, v5, v6
	v_cndmask_b32_e32 v5, v15, v7, vcc
	v_lshlrev_b32_e32 v5, 2, v5
	ds_bpermute_b32 v7, v5, v6
	v_cmp_lt_i32_e32 vcc, v8, v2
	s_waitcnt lgkmcnt(0)
	v_max_f32_e32 v7, v7, v7
	v_max_f32_e32 v7, v6, v7
	v_cndmask_b32_e32 v6, v15, v8, vcc
	v_lshlrev_b32_e32 v6, 2, v6
	ds_bpermute_b32 v8, v6, v7
	v_cmp_lt_i32_e32 vcc, v9, v2
	s_waitcnt lgkmcnt(0)
	v_max_f32_e32 v8, v8, v8
	v_max_f32_e32 v8, v7, v8
	v_cndmask_b32_e32 v7, v15, v9, vcc
	v_lshlrev_b32_e32 v21, 2, v7
	ds_bpermute_b32 v9, v21, v8
	v_cmp_eq_u32_e32 vcc, 0, v20
	v_lshlrev_b32_e32 v7, 2, v1
	s_and_saveexec_b64 s[0:1], vcc
	s_cbranch_execz .LBB273_142
; %bb.141:
	s_waitcnt lgkmcnt(0)
	v_max_f32_e32 v9, v9, v9
	v_max_f32_e32 v8, v8, v8
	;; [unrolled: 1-line block ×3, first 2 shown]
	ds_write_b32 v7, v8 offset:64
.LBB273_142:
	s_or_b64 exec, exec, s[0:1]
	v_cmp_gt_u32_e64 s[0:1], 2, v20
	s_waitcnt lgkmcnt(0)
	v_mov_b32_e32 v9, 0xff7fffff
	v_lshlrev_b32_e32 v8, 2, v20
	s_barrier
	s_and_saveexec_b64 s[2:3], s[0:1]
	s_cbranch_execz .LBB273_144
; %bb.143:
	ds_read_b32 v9, v8 offset:64
.LBB273_144:
	s_or_b64 exec, exec, s[2:3]
	v_xor_b32_e32 v10, 1, v15
	v_cmp_lt_i32_e64 s[2:3], v10, v2
	s_nop 1
	v_cndmask_b32_e64 v2, v15, v10, s[2:3]
	v_lshlrev_b32_e32 v22, 2, v2
	s_waitcnt lgkmcnt(0)
	ds_bpermute_b32 v2, v22, v9
	v_max_f32_e32 v9, v9, v9
	v_lshlrev_b32_e32 v10, 2, v15
	s_lshl_b32 s2, s19, 5
	s_min_i32 s30, s2, s33
	s_waitcnt lgkmcnt(0)
	v_max_f32_e32 v2, v2, v2
	v_max_f32_e32 v9, v9, v2
	v_and_b32_e32 v2, 0xffffff00, v10
	ds_bpermute_b32 v10, v2, v9
	v_cmp_gt_i32_e64 s[2:3], s30, v0
	v_mov_b32_e32 v9, 0
	s_and_saveexec_b64 s[14:15], s[2:3]
	s_cbranch_execz .LBB273_148
; %bb.145:
	v_mov_b32_e32 v9, 0x50
	v_lshl_add_u32 v11, v0, 2, v9
	s_mov_b64 s[28:29], 0
	v_mov_b32_e32 v9, 0
	v_mov_b32_e32 v12, v0
.LBB273_146:                            ; =>This Inner Loop Header: Depth=1
	ds_read_b32 v15, v11
	v_add_u32_e32 v12, 0x80, v12
	v_cmp_le_i32_e64 s[8:9], s30, v12
	s_or_b64 s[28:29], s[8:9], s[28:29]
	s_waitcnt lgkmcnt(0)
	v_sub_f32_e32 v15, v15, v10
	v_mul_f32_e32 v15, 0x3fb8aa3b, v15
	v_exp_f32_e32 v15, v15
	ds_write_b32 v11, v15
	v_add_f32_e32 v9, v9, v15
	v_add_u32_e32 v11, 0x200, v11
	s_andn2_b64 exec, exec, s[28:29]
	s_cbranch_execnz .LBB273_146
; %bb.147:
	s_or_b64 exec, exec, s[28:29]
.LBB273_148:
	s_or_b64 exec, exec, s[14:15]
	ds_bpermute_b32 v3, v3, v9
	s_waitcnt lgkmcnt(0)
	v_add_f32_e32 v3, v9, v3
	ds_bpermute_b32 v4, v4, v3
	s_waitcnt lgkmcnt(0)
	v_add_f32_e32 v3, v3, v4
	;; [unrolled: 3-line block ×6, first 2 shown]
	s_and_saveexec_b64 s[8:9], vcc
	s_cbranch_execz .LBB273_150
; %bb.149:
	ds_write_b32 v7, v3 offset:72
.LBB273_150:
	s_or_b64 exec, exec, s[8:9]
	s_waitcnt lgkmcnt(0)
	s_barrier
	s_and_saveexec_b64 s[8:9], s[0:1]
	s_cbranch_execz .LBB273_152
; %bb.151:
	ds_read_b32 v3, v8 offset:72
.LBB273_152:
	s_or_b64 exec, exec, s[8:9]
	s_waitcnt lgkmcnt(0)
	ds_bpermute_b32 v4, v22, v3
	s_waitcnt lgkmcnt(0)
	v_add_f32_e32 v3, v3, v4
	ds_bpermute_b32 v2, v2, v3
	s_and_saveexec_b64 s[0:1], s[2:3]
	s_cbranch_execz .LBB273_165
; %bb.153:
	s_waitcnt lgkmcnt(0)
	v_add_f32_e32 v2, 0x358637bd, v2
	v_div_scale_f32 v3, s[2:3], v2, v2, 1.0
	v_rcp_f32_e32 v4, v3
	v_div_scale_f32 v5, vcc, 1.0, v2, 1.0
	s_movk_i32 s2, 0x7f
	v_fma_f32 v6, -v3, v4, 1.0
	v_fmac_f32_e32 v4, v6, v4
	v_mul_f32_e32 v6, v5, v4
	v_fma_f32 v7, -v3, v6, v5
	v_fmac_f32_e32 v6, v7, v4
	v_fma_f32 v3, -v3, v6, v5
	v_div_fmas_f32 v3, v3, v4, v6
	v_xad_u32 v4, v0, -1, s30
	v_div_fixup_f32 v2, v3, v2, 1.0
	v_cmp_lt_u32_e32 vcc, s2, v4
	s_mov_b64 s[8:9], -1
	v_mov_b32_e32 v3, v0
	s_and_saveexec_b64 s[2:3], vcc
	s_cbranch_execz .LBB273_162
; %bb.154:
	v_lshrrev_b32_e32 v4, 7, v4
	v_add_u32_e32 v6, -1, v4
	v_lshrrev_b32_e32 v5, 1, v6
	v_mov_b32_e32 v3, v2
	v_add_u32_e32 v5, 1, v5
	v_cmp_lt_u32_e32 vcc, 13, v6
	v_mov_b32_e32 v8, 0
	s_and_saveexec_b64 s[8:9], vcc
	s_cbranch_execz .LBB273_158
; %bb.155:
	v_mov_b32_e32 v7, 0x50
	v_and_b32_e32 v6, -8, v5
	v_lshl_add_u32 v7, v0, 2, v7
	s_mov_b32 s28, 0
	s_mov_b64 s[14:15], 0
.LBB273_156:                            ; =>This Inner Loop Header: Depth=1
	ds_read2st64_b32 v[8:9], v7 offset1:2
	ds_read2st64_b32 v[10:11], v7 offset0:4 offset1:6
	ds_read2st64_b32 v[16:17], v7 offset0:8 offset1:10
	ds_read2st64_b32 v[18:19], v7 offset0:12 offset1:14
	v_add_u32_e32 v6, -8, v6
	s_waitcnt lgkmcnt(3)
	v_pk_mul_f32 v[8:9], v[2:3], v[8:9]
	s_waitcnt lgkmcnt(2)
	v_pk_mul_f32 v[10:11], v[2:3], v[10:11]
	ds_write2st64_b32 v7, v8, v9 offset1:2
	ds_write2st64_b32 v7, v10, v11 offset0:4 offset1:6
	ds_read2st64_b32 v[10:11], v7 offset0:16 offset1:18
	s_waitcnt lgkmcnt(4)
	v_pk_mul_f32 v[8:9], v[2:3], v[16:17]
	ds_write2st64_b32 v7, v8, v9 offset0:8 offset1:10
	s_waitcnt lgkmcnt(4)
	v_pk_mul_f32 v[8:9], v[2:3], v[18:19]
	ds_write2st64_b32 v7, v8, v9 offset0:12 offset1:14
	ds_read2st64_b32 v[8:9], v7 offset0:20 offset1:22
	s_waitcnt lgkmcnt(3)
	v_pk_mul_f32 v[10:11], v[2:3], v[10:11]
	ds_read2st64_b32 v[16:17], v7 offset0:24 offset1:26
	ds_write2st64_b32 v7, v10, v11 offset0:16 offset1:18
	ds_read2st64_b32 v[10:11], v7 offset0:28 offset1:30
	s_waitcnt lgkmcnt(3)
	v_pk_mul_f32 v[8:9], v[2:3], v[8:9]
	ds_write2st64_b32 v7, v8, v9 offset0:20 offset1:22
	s_waitcnt lgkmcnt(3)
	v_pk_mul_f32 v[8:9], v[2:3], v[16:17]
	ds_write2st64_b32 v7, v8, v9 offset0:24 offset1:26
	s_waitcnt lgkmcnt(2)
	v_pk_mul_f32 v[8:9], v[2:3], v[10:11]
	s_add_i32 s28, s28, 16
	v_cmp_eq_u32_e32 vcc, 0, v6
	ds_write2st64_b32 v7, v8, v9 offset0:28 offset1:30
	v_add_u32_e32 v7, 0x2000, v7
	s_or_b64 s[14:15], vcc, s[14:15]
	v_mov_b32_e32 v8, s28
	s_andn2_b64 exec, exec, s[14:15]
	s_cbranch_execnz .LBB273_156
; %bb.157:
	s_or_b64 exec, exec, s[14:15]
.LBB273_158:
	s_or_b64 exec, exec, s[8:9]
	v_and_b32_e32 v5, 7, v5
	v_cmp_ne_u32_e32 vcc, 0, v5
	s_and_saveexec_b64 s[8:9], vcc
	s_cbranch_execz .LBB273_161
; %bb.159:
	v_lshlrev_b32_e32 v6, 9, v8
	v_lshlrev_b32_e32 v7, 2, v0
	s_movk_i32 s14, 0x50
	v_add3_u32 v6, v6, v7, s14
	s_mov_b64 s[14:15], 0
.LBB273_160:                            ; =>This Inner Loop Header: Depth=1
	ds_read2st64_b32 v[8:9], v6 offset1:2
	v_add_u32_e32 v5, -1, v5
	v_cmp_eq_u32_e32 vcc, 0, v5
	s_or_b64 s[14:15], vcc, s[14:15]
	s_waitcnt lgkmcnt(0)
	v_pk_mul_f32 v[8:9], v[2:3], v[8:9]
	ds_write2st64_b32 v6, v8, v9 offset1:2
	v_add_u32_e32 v6, 0x400, v6
	s_andn2_b64 exec, exec, s[14:15]
	s_cbranch_execnz .LBB273_160
.LBB273_161:
	s_or_b64 exec, exec, s[8:9]
	v_add_u32_e32 v4, 1, v4
	v_and_b32_e32 v5, 0x3fffffe, v4
	v_cmp_ne_u32_e32 vcc, v4, v5
	v_lshl_add_u32 v3, v5, 7, v0
	s_orn2_b64 s[8:9], vcc, exec
.LBB273_162:
	s_or_b64 exec, exec, s[2:3]
	s_and_b64 exec, exec, s[8:9]
	s_cbranch_execz .LBB273_165
; %bb.163:
	v_mov_b32_e32 v4, 0x50
	v_lshl_add_u32 v4, v3, 2, v4
	s_mov_b64 s[2:3], 0
.LBB273_164:                            ; =>This Inner Loop Header: Depth=1
	ds_read_b32 v5, v4
	v_add_u32_e32 v3, 0x80, v3
	v_cmp_le_i32_e32 vcc, s30, v3
	s_or_b64 s[2:3], vcc, s[2:3]
	s_waitcnt lgkmcnt(0)
	v_mul_f32_e32 v5, v2, v5
	ds_write_b32 v4, v5
	v_add_u32_e32 v4, 0x200, v4
	s_andn2_b64 exec, exec, s[2:3]
	s_cbranch_execnz .LBB273_164
.LBB273_165:
	s_or_b64 exec, exec, s[0:1]
	v_mov_b32_e32 v7, 0
	v_and_b32_e32 v23, 3, v0
	v_mov_b32_e32 v6, 0
	s_waitcnt lgkmcnt(0)
	s_barrier
	s_and_saveexec_b64 s[2:3], s[6:7]
	s_cbranch_execz .LBB273_301
; %bb.166:
	s_ashr_i32 s1, s12, 31
	s_add_u32 s0, s26, s12
	s_addc_u32 s1, s27, s1
	v_and_b32_e32 v2, 0x1f8, v13
	v_mov_b32_e32 v3, 0
	s_add_i32 s26, s19, -1
	v_lshl_add_u64 v[4:5], s[0:1], 0, v[2:3]
	v_lshlrev_b32_e32 v2, 5, v23
	s_lshl_b64 s[0:1], s[24:25], 2
	v_lshl_or_b32 v2, v1, 7, v2
	s_add_u32 s0, s22, s0
	v_and_b32_e32 v6, 24, v13
	v_add_u32_e32 v24, 0x50, v2
	v_and_b32_e32 v2, 60, v14
	s_addc_u32 s1, s23, s1
	s_mov_b32 s28, s13
	s_mov_b32 s27, s33
	v_lshl_or_b32 v13, v1, 5, v6
	v_lshl_add_u64 v[8:9], s[0:1], 0, v[2:3]
	s_mov_b64 s[6:7], 0
	s_movk_i32 s22, 0x7f
	s_movk_i32 s23, 0x80
	s_mov_b32 s24, 0x8000
	s_movk_i32 s25, 0x380
	s_mov_b32 s29, 0x3020706
	s_mov_b32 s30, 0x1000504
	;; [unrolled: 1-line block ×3, first 2 shown]
	v_mov_b32_e32 v25, 0x1c00
	v_mov_b32_e32 v6, 0
	v_mov_b32_e32 v7, 0
	s_branch .LBB273_168
.LBB273_167:                            ;   in Loop: Header=BB273_168 Depth=1
	s_or_b64 exec, exec, s[0:1]
	;;#ASMSTART
	v_pk_mul_f16 v10, v31, v10;

	;;#ASMEND
	;;#ASMSTART
	v_pk_mul_f16 v2, v32, v2;

	;;#ASMEND
	;; [unrolled: 4-line block ×4, first 2 shown]
	v_add_u32_e32 v1, 2, v1
	;;#ASMSTART
	v_pk_add_f16 v2, v10, v2;

	;;#ASMEND
	v_add_f32_e32 v14, v35, v36
	;;#ASMSTART
	v_pk_add_f16 v2, v2, v11;

	;;#ASMEND
	v_cmp_le_i32_e32 vcc, s19, v1
	;;#ASMSTART
	v_pk_add_f16 v2, v2, v12;

	;;#ASMEND
	v_add_f32_e32 v6, v6, v14
	v_lshrrev_b32_e32 v10, 16, v2
	v_and_b32_e32 v2, 0xffff, v2
	;;#ASMSTART
	v_cvt_f32_f16 v2, v2;
	;;#ASMEND
	;;#ASMSTART
	v_cvt_f32_f16 v10, v10;
	;;#ASMEND
	v_add_u32_e32 v13, 64, v13
	v_add_f32_e32 v2, v2, v10
	v_add_f32_e32 v7, v7, v2
	v_add_u32_e32 v24, 0x100, v24
	s_or_b64 s[6:7], vcc, s[6:7]
	v_lshl_add_u64 v[8:9], v[8:9], 0, 8
	s_andn2_b64 exec, exec, s[6:7]
	s_cbranch_execz .LBB273_300
.LBB273_168:                            ; =>This Inner Loop Header: Depth=1
	ds_read2_b64 v[14:17], v24 offset1:1
	ds_read2_b64 v[26:29], v24 offset0:2 offset1:3
                                        ; implicit-def: $sgpr14
	s_waitcnt lgkmcnt(1)
	;;#ASMSTART
	v_cvt_f16_f32 v31, v14;

	;;#ASMEND
	;;#ASMSTART
	v_cvt_f16_f32 v32, v15;

	;;#ASMEND
	;; [unrolled: 4-line block ×4, first 2 shown]
	s_waitcnt lgkmcnt(0)
	;;#ASMSTART
	v_cvt_f16_f32 v35, v26;

	;;#ASMEND
	;;#ASMSTART
	v_cvt_f16_f32 v36, v27;

	;;#ASMEND
	;; [unrolled: 4-line block ×4, first 2 shown]
	global_load_dword v2, v[8:9], off
	s_waitcnt vmcnt(0)
	v_mad_i64_i32 v[10:11], s[0:1], v2, s28, v[4:5]
	global_load_dwordx2 v[14:15], v[10:11], off
	global_load_dword v12, v3, s[10:11]
	s_mov_b64 s[0:1], 0
	s_waitcnt vmcnt(1)
	v_cmp_gt_i16_sdwa s[8:9], v14, s22 src0_sel:BYTE_0 src1_sel:DWORD
	s_and_saveexec_b64 s[12:13], s[8:9]
	s_xor_b64 s[8:9], exec, s[12:13]
	s_cbranch_execnz .LBB273_236
; %bb.169:                              ;   in Loop: Header=BB273_168 Depth=1
	s_or_saveexec_b64 s[8:9], s[8:9]
	v_mov_b32_e32 v16, s14
	s_xor_b64 exec, exec, s[8:9]
	s_cbranch_execnz .LBB273_239
.LBB273_170:                            ;   in Loop: Header=BB273_168 Depth=1
	s_or_b64 exec, exec, s[8:9]
	s_and_saveexec_b64 s[8:9], s[0:1]
	s_cbranch_execz .LBB273_172
.LBB273_171:                            ;   in Loop: Header=BB273_168 Depth=1
	v_and_b32_e32 v2, 7, v14
	v_ffbh_u32_e32 v2, v2
	v_bfe_u32 v16, v14, 3, 4
	v_min_u32_e32 v2, 32, v2
	v_subrev_u32_e32 v17, 28, v2
	v_sub_u32_e32 v2, 29, v2
	v_cmp_eq_u32_e32 vcc, 0, v16
	s_nop 1
	v_cndmask_b32_e32 v2, v16, v2, vcc
	v_cndmask_b32_e32 v16, 0, v17, vcc
	v_lshlrev_b64 v[16:17], v16, v[14:15]
	v_lshlrev_b32_e32 v17, 8, v14
	v_lshl_add_u32 v2, v2, 10, v25
	v_lshlrev_b32_e32 v16, 7, v16
	v_and_or_b32 v2, v17, s24, v2
	v_and_or_b32 v2, v16, s25, v2
	v_cvt_f32_f16_e32 v16, v2
.LBB273_172:                            ;   in Loop: Header=BB273_168 Depth=1
	s_or_b64 exec, exec, s[8:9]
	v_lshrrev_b16_e32 v2, 8, v14
	v_cmp_lt_i16_e32 vcc, s22, v2
	s_mov_b64 s[0:1], 0
                                        ; implicit-def: $sgpr14
	s_and_saveexec_b64 s[8:9], vcc
	s_xor_b64 s[8:9], exec, s[8:9]
	s_cbranch_execnz .LBB273_240
; %bb.173:                              ;   in Loop: Header=BB273_168 Depth=1
	s_or_saveexec_b64 s[8:9], s[8:9]
	v_mov_b32_e32 v18, s14
	s_xor_b64 exec, exec, s[8:9]
	s_cbranch_execnz .LBB273_243
.LBB273_174:                            ;   in Loop: Header=BB273_168 Depth=1
	s_or_b64 exec, exec, s[8:9]
	s_and_saveexec_b64 s[8:9], s[0:1]
	s_cbranch_execz .LBB273_176
.LBB273_175:                            ;   in Loop: Header=BB273_168 Depth=1
	v_and_b32_e32 v17, 7, v2
	v_ffbh_u32_e32 v18, v17
	v_min_u32_e32 v27, 32, v18
	v_subrev_u32_e32 v18, 28, v27
	v_bfe_u32 v26, v2, 3, 4
	v_lshlrev_b64 v[18:19], v18, v[2:3]
	v_sub_u32_e32 v19, 29, v27
	v_cmp_eq_u32_e32 vcc, 0, v26
	v_and_b32_e32 v18, 7, v18
	v_lshlrev_b32_e32 v2, 8, v2
	v_cndmask_b32_e32 v19, v26, v19, vcc
	v_cndmask_b32_e32 v17, v17, v18, vcc
	v_lshl_add_u32 v18, v19, 10, v25
	v_and_or_b32 v2, v2, s24, v18
	v_lshl_or_b32 v2, v17, 7, v2
	v_cvt_f32_f16_e32 v18, v2
.LBB273_176:                            ;   in Loop: Header=BB273_168 Depth=1
	s_or_b64 exec, exec, s[8:9]
	v_lshrrev_b32_e32 v2, 16, v14
	v_cmp_gt_i16_sdwa s[8:9], v2, s22 src0_sel:BYTE_0 src1_sel:DWORD
	s_mov_b64 s[0:1], 0
                                        ; implicit-def: $sgpr14
	s_and_saveexec_b64 s[12:13], s[8:9]
	s_xor_b64 s[8:9], exec, s[12:13]
	s_cbranch_execnz .LBB273_244
; %bb.177:                              ;   in Loop: Header=BB273_168 Depth=1
	s_or_saveexec_b64 s[8:9], s[8:9]
	v_mov_b32_e32 v17, s14
	s_xor_b64 exec, exec, s[8:9]
	s_cbranch_execnz .LBB273_247
.LBB273_178:                            ;   in Loop: Header=BB273_168 Depth=1
	s_or_b64 exec, exec, s[8:9]
	s_and_saveexec_b64 s[8:9], s[0:1]
	s_cbranch_execz .LBB273_180
.LBB273_179:                            ;   in Loop: Header=BB273_168 Depth=1
	v_bfe_u32 v17, v14, 16, 3
	v_ffbh_u32_e32 v26, v17
	v_min_u32_e32 v28, 32, v26
	v_subrev_u32_e32 v26, 28, v28
	v_bfe_u32 v19, v14, 19, 4
	v_lshlrev_b64 v[26:27], v26, v[2:3]
	v_sub_u32_e32 v27, 29, v28
	v_cmp_eq_u32_e32 vcc, 0, v19
	v_and_b32_e32 v26, 7, v26
	v_lshlrev_b32_e32 v2, 8, v2
	v_cndmask_b32_e32 v19, v19, v27, vcc
	v_lshl_add_u32 v19, v19, 10, v25
	v_cndmask_b32_e32 v17, v17, v26, vcc
	v_and_or_b32 v2, v2, s24, v19
	v_lshl_or_b32 v2, v17, 7, v2
	v_cvt_f32_f16_e32 v17, v2
.LBB273_180:                            ;   in Loop: Header=BB273_168 Depth=1
	s_or_b64 exec, exec, s[8:9]
	v_lshrrev_b32_e32 v2, 24, v14
	v_cmp_lt_i16_e32 vcc, s22, v2
	s_mov_b64 s[0:1], 0
                                        ; implicit-def: $sgpr14
	s_and_saveexec_b64 s[8:9], vcc
	s_xor_b64 s[8:9], exec, s[8:9]
	s_cbranch_execnz .LBB273_248
; %bb.181:                              ;   in Loop: Header=BB273_168 Depth=1
	s_or_saveexec_b64 s[8:9], s[8:9]
	v_mov_b32_e32 v19, s14
	s_xor_b64 exec, exec, s[8:9]
	s_cbranch_execnz .LBB273_251
.LBB273_182:                            ;   in Loop: Header=BB273_168 Depth=1
	s_or_b64 exec, exec, s[8:9]
	s_and_saveexec_b64 s[8:9], s[0:1]
	s_cbranch_execz .LBB273_184
.LBB273_183:                            ;   in Loop: Header=BB273_168 Depth=1
	v_bfe_u32 v19, v14, 24, 3
	v_ffbh_u32_e32 v26, v19
	v_min_u32_e32 v28, 32, v26
	v_subrev_u32_e32 v26, 28, v28
	v_bfe_u32 v14, v14, 27, 4
	v_lshlrev_b64 v[26:27], v26, v[2:3]
	v_sub_u32_e32 v27, 29, v28
	v_cmp_eq_u32_e32 vcc, 0, v14
	v_and_b32_e32 v26, 7, v26
	v_lshlrev_b32_e32 v2, 8, v2
	v_cndmask_b32_e32 v14, v14, v27, vcc
	v_lshl_add_u32 v14, v14, 10, v25
	v_cndmask_b32_e32 v19, v19, v26, vcc
	v_and_or_b32 v2, v2, s24, v14
	v_lshl_or_b32 v2, v19, 7, v2
	v_cvt_f32_f16_e32 v19, v2
.LBB273_184:                            ;   in Loop: Header=BB273_168 Depth=1
	s_or_b64 exec, exec, s[8:9]
	v_cmp_gt_i16_sdwa s[8:9], v15, s22 src0_sel:BYTE_0 src1_sel:DWORD
	s_mov_b64 s[0:1], 0
                                        ; implicit-def: $sgpr14
	s_and_saveexec_b64 s[12:13], s[8:9]
	s_xor_b64 s[8:9], exec, s[12:13]
	s_cbranch_execnz .LBB273_252
; %bb.185:                              ;   in Loop: Header=BB273_168 Depth=1
	s_or_saveexec_b64 s[8:9], s[8:9]
	v_mov_b32_e32 v14, s14
	s_xor_b64 exec, exec, s[8:9]
	s_cbranch_execnz .LBB273_255
.LBB273_186:                            ;   in Loop: Header=BB273_168 Depth=1
	s_or_b64 exec, exec, s[8:9]
	v_mov_b32_e32 v2, v15
	s_and_saveexec_b64 s[8:9], s[0:1]
	s_cbranch_execz .LBB273_188
.LBB273_187:                            ;   in Loop: Header=BB273_168 Depth=1
	v_and_b32_e32 v14, 7, v15
	v_ffbh_u32_e32 v14, v14
	v_bfe_u32 v26, v15, 3, 4
	v_min_u32_e32 v14, 32, v14
	v_subrev_u32_e32 v27, 28, v14
	v_sub_u32_e32 v14, 29, v14
	v_cmp_eq_u32_e32 vcc, 0, v26
	s_nop 1
	v_cndmask_b32_e32 v14, v26, v14, vcc
	v_cndmask_b32_e32 v26, 0, v27, vcc
	v_lshlrev_b64 v[26:27], v26, v[2:3]
	v_lshlrev_b32_e32 v27, 8, v15
	v_lshl_add_u32 v14, v14, 10, v25
	v_lshlrev_b32_e32 v26, 7, v26
	v_and_or_b32 v14, v27, s24, v14
	v_and_or_b32 v14, v26, s25, v14
	v_cvt_f32_f16_e32 v14, v14
.LBB273_188:                            ;   in Loop: Header=BB273_168 Depth=1
	s_or_b64 exec, exec, s[8:9]
	v_lshrrev_b16_e32 v2, 8, v2
	v_cmp_lt_i16_e32 vcc, s22, v2
	s_mov_b64 s[0:1], 0
                                        ; implicit-def: $sgpr14
	s_and_saveexec_b64 s[8:9], vcc
	s_xor_b64 s[8:9], exec, s[8:9]
	s_cbranch_execnz .LBB273_256
; %bb.189:                              ;   in Loop: Header=BB273_168 Depth=1
	s_or_saveexec_b64 s[8:9], s[8:9]
	v_mov_b32_e32 v26, s14
	s_xor_b64 exec, exec, s[8:9]
	s_cbranch_execnz .LBB273_259
.LBB273_190:                            ;   in Loop: Header=BB273_168 Depth=1
	s_or_b64 exec, exec, s[8:9]
	s_and_saveexec_b64 s[8:9], s[0:1]
	s_cbranch_execz .LBB273_192
.LBB273_191:                            ;   in Loop: Header=BB273_168 Depth=1
	v_and_b32_e32 v28, 7, v2
	v_ffbh_u32_e32 v26, v28
	v_min_u32_e32 v30, 32, v26
	v_subrev_u32_e32 v26, 28, v30
	v_bfe_u32 v29, v2, 3, 4
	v_lshlrev_b64 v[26:27], v26, v[2:3]
	v_sub_u32_e32 v27, 29, v30
	v_cmp_eq_u32_e32 vcc, 0, v29
	v_and_b32_e32 v26, 7, v26
	v_lshlrev_b32_e32 v2, 8, v2
	v_cndmask_b32_e32 v27, v29, v27, vcc
	v_lshl_add_u32 v27, v27, 10, v25
	v_cndmask_b32_e32 v26, v28, v26, vcc
	v_and_or_b32 v2, v2, s24, v27
	v_lshl_or_b32 v2, v26, 7, v2
	v_cvt_f32_f16_e32 v26, v2
.LBB273_192:                            ;   in Loop: Header=BB273_168 Depth=1
	s_or_b64 exec, exec, s[8:9]
	v_lshrrev_b32_e32 v2, 16, v15
	v_cmp_gt_i16_sdwa s[8:9], v2, s22 src0_sel:BYTE_0 src1_sel:DWORD
	s_mov_b64 s[0:1], 0
                                        ; implicit-def: $sgpr14
	s_and_saveexec_b64 s[12:13], s[8:9]
	s_xor_b64 s[8:9], exec, s[12:13]
	s_cbranch_execnz .LBB273_260
; %bb.193:                              ;   in Loop: Header=BB273_168 Depth=1
	s_or_saveexec_b64 s[8:9], s[8:9]
	v_mov_b32_e32 v27, s14
	s_xor_b64 exec, exec, s[8:9]
	s_cbranch_execnz .LBB273_263
.LBB273_194:                            ;   in Loop: Header=BB273_168 Depth=1
	s_or_b64 exec, exec, s[8:9]
	s_and_saveexec_b64 s[8:9], s[0:1]
	s_cbranch_execz .LBB273_196
.LBB273_195:                            ;   in Loop: Header=BB273_168 Depth=1
	v_bfe_u32 v27, v15, 16, 3
	v_ffbh_u32_e32 v28, v27
	v_min_u32_e32 v39, 32, v28
	v_subrev_u32_e32 v28, 28, v39
	v_bfe_u32 v30, v15, 19, 4
	v_lshlrev_b64 v[28:29], v28, v[2:3]
	v_sub_u32_e32 v29, 29, v39
	v_cmp_eq_u32_e32 vcc, 0, v30
	v_and_b32_e32 v28, 7, v28
	v_lshlrev_b32_e32 v2, 8, v2
	v_cndmask_b32_e32 v29, v30, v29, vcc
	v_cndmask_b32_e32 v27, v27, v28, vcc
	v_lshl_add_u32 v28, v29, 10, v25
	v_and_or_b32 v2, v2, s24, v28
	v_lshl_or_b32 v2, v27, 7, v2
	v_cvt_f32_f16_e32 v27, v2
.LBB273_196:                            ;   in Loop: Header=BB273_168 Depth=1
	s_or_b64 exec, exec, s[8:9]
	v_lshrrev_b32_e32 v2, 24, v15
	v_cmp_lt_i16_e32 vcc, s22, v2
	s_mov_b64 s[0:1], 0
                                        ; implicit-def: $sgpr14
	s_and_saveexec_b64 s[8:9], vcc
	s_xor_b64 s[8:9], exec, s[8:9]
	s_cbranch_execnz .LBB273_264
; %bb.197:                              ;   in Loop: Header=BB273_168 Depth=1
	s_or_saveexec_b64 s[8:9], s[8:9]
	v_mov_b32_e32 v28, s14
	s_xor_b64 exec, exec, s[8:9]
	s_cbranch_execnz .LBB273_267
.LBB273_198:                            ;   in Loop: Header=BB273_168 Depth=1
	s_or_b64 exec, exec, s[8:9]
	s_and_saveexec_b64 s[8:9], s[0:1]
	s_cbranch_execz .LBB273_200
.LBB273_199:                            ;   in Loop: Header=BB273_168 Depth=1
	v_bfe_u32 v30, v15, 24, 3
	v_ffbh_u32_e32 v28, v30
	v_min_u32_e32 v39, 32, v28
	v_subrev_u32_e32 v28, 28, v39
	v_bfe_u32 v15, v15, 27, 4
	v_lshlrev_b64 v[28:29], v28, v[2:3]
	v_sub_u32_e32 v29, 29, v39
	v_cmp_eq_u32_e32 vcc, 0, v15
	v_and_b32_e32 v28, 7, v28
	v_lshlrev_b32_e32 v2, 8, v2
	v_cndmask_b32_e32 v15, v15, v29, vcc
	v_lshl_add_u32 v15, v15, 10, v25
	v_cndmask_b32_e32 v28, v30, v28, vcc
	v_and_or_b32 v2, v2, s24, v15
	v_lshl_or_b32 v2, v28, 7, v2
	v_cvt_f32_f16_e32 v28, v2
.LBB273_200:                            ;   in Loop: Header=BB273_168 Depth=1
	s_or_b64 exec, exec, s[8:9]
	s_waitcnt vmcnt(0)
	v_pk_mul_f32 v[18:19], v[12:13], v[18:19] op_sel_hi:[0,1]
	v_pk_mul_f32 v[16:17], v[12:13], v[16:17] op_sel_hi:[0,1]
	v_cvt_f16_f32_e32 v2, v19
	v_cvt_f16_f32_e32 v15, v18
	;; [unrolled: 1-line block ×4, first 2 shown]
	v_fma_mixlo_f16 v14, v12, v14, 0
	v_pack_b32_f16 v15, v15, v2
	v_cmp_eq_u32_e32 vcc, s26, v1
	v_pack_b32_f16 v16, v16, v17
	v_perm_b32 v2, v16, v15, s29
	v_perm_b32 v15, v16, v15, s30
	v_fma_mixlo_f16 v16, v12, v26, 0
	v_lshlrev_b32_e32 v16, 16, v16
	v_or_b32_sdwa v14, v16, v14 dst_sel:DWORD dst_unused:UNUSED_PAD src0_sel:DWORD src1_sel:WORD_0
	v_fma_mixlo_f16 v16, v12, v27, 0
	v_fma_mixlo_f16 v12, v12, v28, 0
	v_lshlrev_b32_e32 v12, 16, v12
	v_or_b32_sdwa v12, v12, v16 dst_sel:DWORD dst_unused:UNUSED_PAD src0_sel:DWORD src1_sel:WORD_0
	v_add_u32_e32 v30, 1, v13
	v_or_b32_e32 v29, 3, v13
	v_or_b32_e32 v28, 2, v13
	;; [unrolled: 1-line block ×6, first 2 shown]
	s_and_saveexec_b64 s[8:9], vcc
	s_cbranch_execz .LBB273_202
; %bb.201:                              ;   in Loop: Header=BB273_168 Depth=1
	v_lshrrev_b32_e32 v17, 16, v15
	v_cmp_gt_i32_e64 s[0:1], s27, v30
	v_lshrrev_b32_e32 v12, 16, v12
	s_nop 0
	v_cndmask_b32_e64 v17, 0, v17, s[0:1]
	v_cmp_gt_i32_e64 s[0:1], s33, v13
	s_nop 1
	v_cndmask_b32_e64 v15, 0, v15, s[0:1]
	v_perm_b32 v15, v17, v15, s31
	v_lshrrev_b32_e32 v17, 16, v2
	v_cmp_gt_i32_e64 s[0:1], s27, v29
	s_nop 1
	v_cndmask_b32_e64 v17, 0, v17, s[0:1]
	v_cmp_gt_i32_e64 s[0:1], s33, v28
	s_nop 1
	v_cndmask_b32_e64 v2, 0, v2, s[0:1]
	v_perm_b32 v2, v17, v2, s31
	v_lshrrev_b32_e32 v17, 16, v14
	v_cmp_gt_i32_e64 s[0:1], s27, v27
	s_nop 1
	v_cndmask_b32_e64 v17, 0, v17, s[0:1]
	v_cmp_gt_i32_e64 s[0:1], s33, v26
	s_nop 1
	v_cndmask_b32_e64 v14, 0, v14, s[0:1]
	v_cmp_gt_i32_e64 s[0:1], s27, v19
	v_perm_b32 v14, v17, v14, s31
	s_nop 0
	v_cndmask_b32_e64 v12, 0, v12, s[0:1]
	v_cmp_gt_i32_e64 s[0:1], s33, v18
	s_nop 1
	v_cndmask_b32_e64 v16, 0, v16, s[0:1]
	v_perm_b32 v12, v12, v16, s31
.LBB273_202:                            ;   in Loop: Header=BB273_168 Depth=1
	s_or_b64 exec, exec, s[8:9]
	v_and_b32_e32 v16, 0xffff, v31
	v_lshl_or_b32 v31, v32, 16, v16
	v_and_b32_e32 v16, 0xffff, v33
	v_lshl_or_b32 v32, v34, 16, v16
	;; [unrolled: 2-line block ×3, first 2 shown]
	v_and_b32_e32 v16, 0xffff, v37
	;;#ASMSTART
	v_pk_mul_f16 v15, v31, v15;

	;;#ASMEND
	;;#ASMSTART
	v_pk_mul_f16 v2, v32, v2;

	;;#ASMEND
	v_lshl_or_b32 v34, v38, 16, v16
	;;#ASMSTART
	v_pk_mul_f16 v14, v33, v14;

	;;#ASMEND
	;;#ASMSTART
	v_pk_mul_f16 v12, v34, v12;

	;;#ASMEND
	;;#ASMSTART
	v_pk_add_f16 v2, v15, v2;

	;;#ASMEND
	s_mov_b64 s[0:1], 0
	;;#ASMSTART
	v_pk_add_f16 v2, v2, v14;

	;;#ASMEND
                                        ; implicit-def: $sgpr14
	s_nop 0
	;;#ASMSTART
	v_pk_add_f16 v2, v2, v12;

	;;#ASMEND
	s_nop 0
	v_lshrrev_b32_e32 v12, 16, v2
	v_and_b32_e32 v2, 0xffff, v2
	;;#ASMSTART
	v_cvt_f32_f16 v35, v2;
	;;#ASMEND
	;;#ASMSTART
	v_cvt_f32_f16 v36, v12;
	;;#ASMEND
	global_load_dwordx2 v[14:15], v[10:11], off offset:512
	global_load_dword v12, v3, s[10:11]
	s_waitcnt vmcnt(1)
	v_cmp_gt_i16_sdwa s[8:9], v14, s22 src0_sel:BYTE_0 src1_sel:DWORD
	s_and_saveexec_b64 s[12:13], s[8:9]
	s_xor_b64 s[8:9], exec, s[12:13]
	s_cbranch_execnz .LBB273_268
; %bb.203:                              ;   in Loop: Header=BB273_168 Depth=1
	s_or_saveexec_b64 s[8:9], s[8:9]
	v_mov_b32_e32 v10, s14
	s_xor_b64 exec, exec, s[8:9]
	s_cbranch_execnz .LBB273_271
.LBB273_204:                            ;   in Loop: Header=BB273_168 Depth=1
	s_or_b64 exec, exec, s[8:9]
	s_and_saveexec_b64 s[8:9], s[0:1]
	s_cbranch_execz .LBB273_206
.LBB273_205:                            ;   in Loop: Header=BB273_168 Depth=1
	v_and_b32_e32 v2, 7, v14
	v_ffbh_u32_e32 v2, v2
	v_bfe_u32 v10, v14, 3, 4
	v_min_u32_e32 v2, 32, v2
	v_subrev_u32_e32 v11, 28, v2
	v_sub_u32_e32 v2, 29, v2
	v_cmp_eq_u32_e64 s[0:1], 0, v10
	s_nop 1
	v_cndmask_b32_e64 v2, v10, v2, s[0:1]
	v_cndmask_b32_e64 v10, 0, v11, s[0:1]
	v_lshlrev_b64 v[10:11], v10, v[14:15]
	v_lshlrev_b32_e32 v11, 8, v14
	v_lshl_add_u32 v2, v2, 10, v25
	v_lshlrev_b32_e32 v10, 7, v10
	v_and_or_b32 v2, v11, s24, v2
	v_and_or_b32 v2, v10, s25, v2
	v_cvt_f32_f16_e32 v10, v2
.LBB273_206:                            ;   in Loop: Header=BB273_168 Depth=1
	s_or_b64 exec, exec, s[8:9]
	v_lshrrev_b16_e32 v2, 8, v14
	v_cmp_lt_i16_e64 s[0:1], s22, v2
	s_mov_b64 s[8:9], 0
                                        ; implicit-def: $sgpr34
	s_and_saveexec_b64 s[12:13], s[0:1]
	s_xor_b64 s[12:13], exec, s[12:13]
	s_cbranch_execnz .LBB273_272
; %bb.207:                              ;   in Loop: Header=BB273_168 Depth=1
	s_or_saveexec_b64 s[12:13], s[12:13]
	v_mov_b32_e32 v16, s34
	s_xor_b64 exec, exec, s[12:13]
	s_cbranch_execnz .LBB273_275
.LBB273_208:                            ;   in Loop: Header=BB273_168 Depth=1
	s_or_b64 exec, exec, s[12:13]
	s_and_saveexec_b64 s[12:13], s[8:9]
	s_cbranch_execz .LBB273_210
.LBB273_209:                            ;   in Loop: Header=BB273_168 Depth=1
	v_and_b32_e32 v11, 7, v2
	v_ffbh_u32_e32 v16, v11
	v_min_u32_e32 v38, 32, v16
	v_subrev_u32_e32 v16, 28, v38
	v_bfe_u32 v37, v2, 3, 4
	v_lshlrev_b64 v[16:17], v16, v[2:3]
	v_sub_u32_e32 v17, 29, v38
	v_cmp_eq_u32_e64 s[0:1], 0, v37
	v_and_b32_e32 v16, 7, v16
	v_lshlrev_b32_e32 v2, 8, v2
	v_cndmask_b32_e64 v17, v37, v17, s[0:1]
	v_cndmask_b32_e64 v11, v11, v16, s[0:1]
	v_lshl_add_u32 v16, v17, 10, v25
	v_and_or_b32 v2, v2, s24, v16
	v_lshl_or_b32 v2, v11, 7, v2
	v_cvt_f32_f16_e32 v16, v2
.LBB273_210:                            ;   in Loop: Header=BB273_168 Depth=1
	s_or_b64 exec, exec, s[12:13]
	v_lshrrev_b32_e32 v2, 16, v14
	v_cmp_gt_i16_sdwa s[8:9], v2, s22 src0_sel:BYTE_0 src1_sel:DWORD
	s_mov_b64 s[0:1], 0
                                        ; implicit-def: $sgpr14
	s_and_saveexec_b64 s[12:13], s[8:9]
	s_xor_b64 s[8:9], exec, s[12:13]
	s_cbranch_execnz .LBB273_276
; %bb.211:                              ;   in Loop: Header=BB273_168 Depth=1
	s_or_saveexec_b64 s[8:9], s[8:9]
	v_mov_b32_e32 v11, s14
	s_xor_b64 exec, exec, s[8:9]
	s_cbranch_execnz .LBB273_279
.LBB273_212:                            ;   in Loop: Header=BB273_168 Depth=1
	s_or_b64 exec, exec, s[8:9]
	s_and_saveexec_b64 s[8:9], s[0:1]
	s_cbranch_execz .LBB273_214
.LBB273_213:                            ;   in Loop: Header=BB273_168 Depth=1
	v_bfe_u32 v11, v14, 16, 3
	v_ffbh_u32_e32 v37, v11
	v_bfe_u32 v17, v14, 19, 4
	v_min_u32_e32 v37, 32, v37
	v_subrev_u32_e32 v38, 28, v37
	v_sub_u32_e32 v37, 29, v37
	v_cmp_eq_u32_e64 s[0:1], 0, v17
	v_lshlrev_b64 v[38:39], v38, v[2:3]
	v_and_b32_e32 v38, 7, v38
	v_cndmask_b32_e64 v17, v17, v37, s[0:1]
	v_lshlrev_b32_e32 v2, 8, v2
	v_lshl_add_u32 v17, v17, 10, v25
	v_cndmask_b32_e64 v11, v11, v38, s[0:1]
	v_and_or_b32 v2, v2, s24, v17
	v_lshl_or_b32 v2, v11, 7, v2
	v_cvt_f32_f16_e32 v11, v2
.LBB273_214:                            ;   in Loop: Header=BB273_168 Depth=1
	s_or_b64 exec, exec, s[8:9]
	v_lshrrev_b32_e32 v2, 24, v14
	v_cmp_lt_i16_e64 s[0:1], s22, v2
	s_mov_b64 s[8:9], 0
                                        ; implicit-def: $sgpr34
	s_and_saveexec_b64 s[12:13], s[0:1]
	s_xor_b64 s[12:13], exec, s[12:13]
	s_cbranch_execnz .LBB273_280
; %bb.215:                              ;   in Loop: Header=BB273_168 Depth=1
	s_or_saveexec_b64 s[12:13], s[12:13]
	v_mov_b32_e32 v17, s34
	s_xor_b64 exec, exec, s[12:13]
	s_cbranch_execnz .LBB273_283
.LBB273_216:                            ;   in Loop: Header=BB273_168 Depth=1
	s_or_b64 exec, exec, s[12:13]
	s_and_saveexec_b64 s[12:13], s[8:9]
	s_cbranch_execz .LBB273_218
.LBB273_217:                            ;   in Loop: Header=BB273_168 Depth=1
	v_bfe_u32 v17, v14, 24, 3
	v_ffbh_u32_e32 v37, v17
	v_bfe_u32 v14, v14, 27, 4
	v_min_u32_e32 v37, 32, v37
	v_subrev_u32_e32 v38, 28, v37
	v_sub_u32_e32 v37, 29, v37
	v_cmp_eq_u32_e64 s[0:1], 0, v14
	v_lshlrev_b64 v[38:39], v38, v[2:3]
	v_and_b32_e32 v38, 7, v38
	v_cndmask_b32_e64 v14, v14, v37, s[0:1]
	v_lshlrev_b32_e32 v2, 8, v2
	v_lshl_add_u32 v14, v14, 10, v25
	v_cndmask_b32_e64 v17, v17, v38, s[0:1]
	v_and_or_b32 v2, v2, s24, v14
	v_lshl_or_b32 v2, v17, 7, v2
	v_cvt_f32_f16_e32 v17, v2
.LBB273_218:                            ;   in Loop: Header=BB273_168 Depth=1
	s_or_b64 exec, exec, s[12:13]
	v_cmp_gt_i16_sdwa s[8:9], v15, s22 src0_sel:BYTE_0 src1_sel:DWORD
	s_mov_b64 s[0:1], 0
                                        ; implicit-def: $sgpr14
	s_and_saveexec_b64 s[12:13], s[8:9]
	s_xor_b64 s[8:9], exec, s[12:13]
	s_cbranch_execnz .LBB273_284
; %bb.219:                              ;   in Loop: Header=BB273_168 Depth=1
	s_or_saveexec_b64 s[8:9], s[8:9]
	v_mov_b32_e32 v14, s14
	s_xor_b64 exec, exec, s[8:9]
	s_cbranch_execnz .LBB273_287
.LBB273_220:                            ;   in Loop: Header=BB273_168 Depth=1
	s_or_b64 exec, exec, s[8:9]
	v_mov_b32_e32 v2, v15
	s_and_saveexec_b64 s[8:9], s[0:1]
	s_cbranch_execz .LBB273_222
.LBB273_221:                            ;   in Loop: Header=BB273_168 Depth=1
	v_and_b32_e32 v14, 7, v15
	v_ffbh_u32_e32 v14, v14
	v_bfe_u32 v37, v15, 3, 4
	v_min_u32_e32 v14, 32, v14
	v_subrev_u32_e32 v38, 28, v14
	v_sub_u32_e32 v14, 29, v14
	v_cmp_eq_u32_e64 s[0:1], 0, v37
	s_nop 1
	v_cndmask_b32_e64 v14, v37, v14, s[0:1]
	v_cndmask_b32_e64 v37, 0, v38, s[0:1]
	v_lshlrev_b64 v[38:39], v37, v[2:3]
	v_lshlrev_b32_e32 v37, 7, v38
	v_lshlrev_b32_e32 v38, 8, v15
	v_lshl_add_u32 v14, v14, 10, v25
	v_and_or_b32 v14, v38, s24, v14
	v_and_or_b32 v14, v37, s25, v14
	v_cvt_f32_f16_e32 v14, v14
.LBB273_222:                            ;   in Loop: Header=BB273_168 Depth=1
	s_or_b64 exec, exec, s[8:9]
	v_lshrrev_b16_e32 v2, 8, v2
	v_cmp_lt_i16_e64 s[0:1], s22, v2
	s_mov_b64 s[8:9], 0
                                        ; implicit-def: $sgpr34
	s_and_saveexec_b64 s[12:13], s[0:1]
	s_xor_b64 s[12:13], exec, s[12:13]
	s_cbranch_execnz .LBB273_288
; %bb.223:                              ;   in Loop: Header=BB273_168 Depth=1
	s_or_saveexec_b64 s[12:13], s[12:13]
	v_mov_b32_e32 v37, s34
	s_xor_b64 exec, exec, s[12:13]
	s_cbranch_execnz .LBB273_291
.LBB273_224:                            ;   in Loop: Header=BB273_168 Depth=1
	s_or_b64 exec, exec, s[12:13]
	s_and_saveexec_b64 s[12:13], s[8:9]
	s_cbranch_execz .LBB273_226
.LBB273_225:                            ;   in Loop: Header=BB273_168 Depth=1
	v_and_b32_e32 v37, 7, v2
	v_ffbh_u32_e32 v38, v37
	v_min_u32_e32 v41, 32, v38
	v_subrev_u32_e32 v38, 28, v41
	v_bfe_u32 v40, v2, 3, 4
	v_lshlrev_b64 v[38:39], v38, v[2:3]
	v_sub_u32_e32 v39, 29, v41
	v_cmp_eq_u32_e64 s[0:1], 0, v40
	v_and_b32_e32 v38, 7, v38
	v_lshlrev_b32_e32 v2, 8, v2
	v_cndmask_b32_e64 v39, v40, v39, s[0:1]
	v_cndmask_b32_e64 v37, v37, v38, s[0:1]
	v_lshl_add_u32 v38, v39, 10, v25
	v_and_or_b32 v2, v2, s24, v38
	v_lshl_or_b32 v2, v37, 7, v2
	v_cvt_f32_f16_e32 v37, v2
.LBB273_226:                            ;   in Loop: Header=BB273_168 Depth=1
	s_or_b64 exec, exec, s[12:13]
	v_lshrrev_b32_e32 v2, 16, v15
	v_cmp_gt_i16_sdwa s[8:9], v2, s22 src0_sel:BYTE_0 src1_sel:DWORD
	s_mov_b64 s[0:1], 0
                                        ; implicit-def: $sgpr14
	s_and_saveexec_b64 s[12:13], s[8:9]
	s_xor_b64 s[8:9], exec, s[12:13]
	s_cbranch_execnz .LBB273_292
; %bb.227:                              ;   in Loop: Header=BB273_168 Depth=1
	s_or_saveexec_b64 s[8:9], s[8:9]
	v_mov_b32_e32 v38, s14
	s_xor_b64 exec, exec, s[8:9]
	s_cbranch_execnz .LBB273_295
.LBB273_228:                            ;   in Loop: Header=BB273_168 Depth=1
	s_or_b64 exec, exec, s[8:9]
	s_and_saveexec_b64 s[8:9], s[0:1]
	s_cbranch_execz .LBB273_230
.LBB273_229:                            ;   in Loop: Header=BB273_168 Depth=1
	v_bfe_u32 v40, v15, 16, 3
	v_ffbh_u32_e32 v38, v40
	v_min_u32_e32 v42, 32, v38
	v_subrev_u32_e32 v38, 28, v42
	v_bfe_u32 v41, v15, 19, 4
	v_lshlrev_b64 v[38:39], v38, v[2:3]
	v_sub_u32_e32 v39, 29, v42
	v_cmp_eq_u32_e64 s[0:1], 0, v41
	v_and_b32_e32 v38, 7, v38
	v_lshlrev_b32_e32 v2, 8, v2
	v_cndmask_b32_e64 v39, v41, v39, s[0:1]
	v_lshl_add_u32 v39, v39, 10, v25
	v_cndmask_b32_e64 v38, v40, v38, s[0:1]
	v_and_or_b32 v2, v2, s24, v39
	v_lshl_or_b32 v2, v38, 7, v2
	v_cvt_f32_f16_e32 v38, v2
.LBB273_230:                            ;   in Loop: Header=BB273_168 Depth=1
	s_or_b64 exec, exec, s[8:9]
	v_lshrrev_b32_e32 v2, 24, v15
	v_cmp_lt_i16_e64 s[0:1], s22, v2
	s_mov_b64 s[8:9], 0
                                        ; implicit-def: $sgpr34
	s_and_saveexec_b64 s[12:13], s[0:1]
	s_xor_b64 s[12:13], exec, s[12:13]
	s_cbranch_execnz .LBB273_296
; %bb.231:                              ;   in Loop: Header=BB273_168 Depth=1
	s_or_saveexec_b64 s[12:13], s[12:13]
	v_mov_b32_e32 v39, s34
	s_xor_b64 exec, exec, s[12:13]
	s_cbranch_execnz .LBB273_299
.LBB273_232:                            ;   in Loop: Header=BB273_168 Depth=1
	s_or_b64 exec, exec, s[12:13]
	s_and_saveexec_b64 s[12:13], s[8:9]
	s_cbranch_execz .LBB273_234
.LBB273_233:                            ;   in Loop: Header=BB273_168 Depth=1
	v_bfe_u32 v39, v15, 24, 3
	v_ffbh_u32_e32 v40, v39
	v_min_u32_e32 v42, 32, v40
	v_subrev_u32_e32 v40, 28, v42
	v_bfe_u32 v15, v15, 27, 4
	v_lshlrev_b64 v[40:41], v40, v[2:3]
	v_sub_u32_e32 v41, 29, v42
	v_cmp_eq_u32_e64 s[0:1], 0, v15
	v_and_b32_e32 v40, 7, v40
	v_lshlrev_b32_e32 v2, 8, v2
	v_cndmask_b32_e64 v15, v15, v41, s[0:1]
	v_lshl_add_u32 v15, v15, 10, v25
	v_cndmask_b32_e64 v39, v39, v40, s[0:1]
	v_and_or_b32 v2, v2, s24, v15
	v_lshl_or_b32 v2, v39, 7, v2
	v_cvt_f32_f16_e32 v39, v2
.LBB273_234:                            ;   in Loop: Header=BB273_168 Depth=1
	s_or_b64 exec, exec, s[12:13]
	s_waitcnt vmcnt(0)
	v_pk_mul_f32 v[10:11], v[12:13], v[10:11] op_sel_hi:[0,1]
	v_cvt_f16_f32_e32 v11, v11
	v_cvt_f16_f32_e32 v10, v10
	v_pk_mul_f32 v[16:17], v[12:13], v[16:17] op_sel_hi:[0,1]
	v_cvt_f16_f32_e32 v2, v17
	v_cvt_f16_f32_e32 v15, v16
	v_pack_b32_f16 v10, v10, v11
	v_fma_mixlo_f16 v11, v12, v37, 0
	v_lshlrev_b32_e32 v11, 16, v11
	v_fma_mixlo_f16 v14, v12, v14, 0
	v_or_b32_sdwa v11, v11, v14 dst_sel:DWORD dst_unused:UNUSED_PAD src0_sel:DWORD src1_sel:WORD_0
	v_fma_mixlo_f16 v14, v12, v38, 0
	v_fma_mixlo_f16 v12, v12, v39, 0
	v_pack_b32_f16 v15, v15, v2
	v_lshlrev_b32_e32 v12, 16, v12
	v_perm_b32 v2, v10, v15, s29
	v_perm_b32 v10, v10, v15, s30
	v_or_b32_sdwa v12, v12, v14 dst_sel:DWORD dst_unused:UNUSED_PAD src0_sel:DWORD src1_sel:WORD_0
	s_and_saveexec_b64 s[0:1], vcc
	s_cbranch_execz .LBB273_167
; %bb.235:                              ;   in Loop: Header=BB273_168 Depth=1
	v_lshrrev_b32_e32 v15, 16, v10
	v_cmp_gt_i32_e32 vcc, s27, v30
	v_lshrrev_b32_e32 v12, 16, v12
	s_nop 0
	v_cndmask_b32_e32 v15, 0, v15, vcc
	v_cmp_gt_i32_e32 vcc, s33, v13
	s_nop 1
	v_cndmask_b32_e32 v10, 0, v10, vcc
	v_perm_b32 v10, v15, v10, s31
	v_lshrrev_b32_e32 v15, 16, v2
	v_cmp_gt_i32_e32 vcc, s27, v29
	s_nop 1
	v_cndmask_b32_e32 v15, 0, v15, vcc
	v_cmp_gt_i32_e32 vcc, s33, v28
	s_nop 1
	v_cndmask_b32_e32 v2, 0, v2, vcc
	v_perm_b32 v2, v15, v2, s31
	v_lshrrev_b32_e32 v15, 16, v11
	v_cmp_gt_i32_e32 vcc, s27, v27
	s_nop 1
	v_cndmask_b32_e32 v15, 0, v15, vcc
	v_cmp_gt_i32_e32 vcc, s33, v26
	s_nop 1
	v_cndmask_b32_e32 v11, 0, v11, vcc
	v_cmp_gt_i32_e32 vcc, s27, v19
	v_perm_b32 v11, v15, v11, s31
	s_nop 0
	v_cndmask_b32_e32 v12, 0, v12, vcc
	v_cmp_gt_i32_e32 vcc, s33, v18
	s_nop 1
	v_cndmask_b32_e32 v14, 0, v14, vcc
	v_perm_b32 v12, v12, v14, s31
	s_branch .LBB273_167
.LBB273_236:                            ;   in Loop: Header=BB273_168 Depth=1
	v_cmp_eq_u16_sdwa s[34:35], v14, s23 src0_sel:BYTE_0 src1_sel:DWORD
	s_mov_b64 s[0:1], -1
                                        ; implicit-def: $sgpr14
	s_and_saveexec_b64 s[12:13], s[34:35]
; %bb.237:                              ;   in Loop: Header=BB273_168 Depth=1
	s_mov_b32 s14, 0x7fc02000
	s_xor_b64 s[0:1], exec, -1
; %bb.238:                              ;   in Loop: Header=BB273_168 Depth=1
	s_or_b64 exec, exec, s[12:13]
	s_and_b64 s[0:1], s[0:1], exec
	s_or_saveexec_b64 s[8:9], s[8:9]
	v_mov_b32_e32 v16, s14
	s_xor_b64 exec, exec, s[8:9]
	s_cbranch_execz .LBB273_170
.LBB273_239:                            ;   in Loop: Header=BB273_168 Depth=1
	v_cmp_ne_u16_sdwa s[12:13], v14, v3 src0_sel:BYTE_0 src1_sel:DWORD
	s_andn2_b64 s[0:1], s[0:1], exec
	s_and_b64 s[12:13], s[12:13], exec
	v_mov_b32_e32 v16, 0
	s_or_b64 s[0:1], s[0:1], s[12:13]
	s_or_b64 exec, exec, s[8:9]
	s_and_saveexec_b64 s[8:9], s[0:1]
	s_cbranch_execnz .LBB273_171
	s_branch .LBB273_172
.LBB273_240:                            ;   in Loop: Header=BB273_168 Depth=1
	v_cmp_eq_u16_e32 vcc, s23, v2
	s_mov_b64 s[0:1], -1
                                        ; implicit-def: $sgpr14
	s_and_saveexec_b64 s[12:13], vcc
; %bb.241:                              ;   in Loop: Header=BB273_168 Depth=1
	s_mov_b32 s14, 0x7fc02000
	s_xor_b64 s[0:1], exec, -1
; %bb.242:                              ;   in Loop: Header=BB273_168 Depth=1
	s_or_b64 exec, exec, s[12:13]
	s_and_b64 s[0:1], s[0:1], exec
	s_or_saveexec_b64 s[8:9], s[8:9]
	v_mov_b32_e32 v18, s14
	s_xor_b64 exec, exec, s[8:9]
	s_cbranch_execz .LBB273_174
.LBB273_243:                            ;   in Loop: Header=BB273_168 Depth=1
	v_cmp_ne_u16_e32 vcc, 0, v2
	s_andn2_b64 s[0:1], s[0:1], exec
	s_and_b64 s[12:13], vcc, exec
	v_mov_b32_e32 v18, 0
	s_or_b64 s[0:1], s[0:1], s[12:13]
	s_or_b64 exec, exec, s[8:9]
	s_and_saveexec_b64 s[8:9], s[0:1]
	s_cbranch_execnz .LBB273_175
	s_branch .LBB273_176
.LBB273_244:                            ;   in Loop: Header=BB273_168 Depth=1
	v_cmp_eq_u16_sdwa s[34:35], v2, s23 src0_sel:BYTE_0 src1_sel:DWORD
	s_mov_b64 s[0:1], -1
                                        ; implicit-def: $sgpr14
	s_and_saveexec_b64 s[12:13], s[34:35]
; %bb.245:                              ;   in Loop: Header=BB273_168 Depth=1
	s_mov_b32 s14, 0x7fc02000
	s_xor_b64 s[0:1], exec, -1
; %bb.246:                              ;   in Loop: Header=BB273_168 Depth=1
	s_or_b64 exec, exec, s[12:13]
	s_and_b64 s[0:1], s[0:1], exec
	s_or_saveexec_b64 s[8:9], s[8:9]
	v_mov_b32_e32 v17, s14
	s_xor_b64 exec, exec, s[8:9]
	s_cbranch_execz .LBB273_178
.LBB273_247:                            ;   in Loop: Header=BB273_168 Depth=1
	v_cmp_ne_u16_sdwa s[12:13], v2, v3 src0_sel:BYTE_0 src1_sel:DWORD
	s_andn2_b64 s[0:1], s[0:1], exec
	s_and_b64 s[12:13], s[12:13], exec
	v_mov_b32_e32 v17, 0
	s_or_b64 s[0:1], s[0:1], s[12:13]
	s_or_b64 exec, exec, s[8:9]
	s_and_saveexec_b64 s[8:9], s[0:1]
	s_cbranch_execnz .LBB273_179
	s_branch .LBB273_180
.LBB273_248:                            ;   in Loop: Header=BB273_168 Depth=1
	v_cmp_eq_u16_e32 vcc, s23, v2
	s_mov_b64 s[0:1], -1
                                        ; implicit-def: $sgpr14
	s_and_saveexec_b64 s[12:13], vcc
; %bb.249:                              ;   in Loop: Header=BB273_168 Depth=1
	s_mov_b32 s14, 0x7fc02000
	s_xor_b64 s[0:1], exec, -1
; %bb.250:                              ;   in Loop: Header=BB273_168 Depth=1
	s_or_b64 exec, exec, s[12:13]
	s_and_b64 s[0:1], s[0:1], exec
	s_or_saveexec_b64 s[8:9], s[8:9]
	v_mov_b32_e32 v19, s14
	s_xor_b64 exec, exec, s[8:9]
	s_cbranch_execz .LBB273_182
.LBB273_251:                            ;   in Loop: Header=BB273_168 Depth=1
	v_cmp_ne_u16_e32 vcc, 0, v2
	s_andn2_b64 s[0:1], s[0:1], exec
	s_and_b64 s[12:13], vcc, exec
	v_mov_b32_e32 v19, 0
	s_or_b64 s[0:1], s[0:1], s[12:13]
	s_or_b64 exec, exec, s[8:9]
	s_and_saveexec_b64 s[8:9], s[0:1]
	s_cbranch_execnz .LBB273_183
	s_branch .LBB273_184
.LBB273_252:                            ;   in Loop: Header=BB273_168 Depth=1
	v_cmp_eq_u16_sdwa s[34:35], v15, s23 src0_sel:BYTE_0 src1_sel:DWORD
	s_mov_b64 s[0:1], -1
                                        ; implicit-def: $sgpr14
	s_and_saveexec_b64 s[12:13], s[34:35]
; %bb.253:                              ;   in Loop: Header=BB273_168 Depth=1
	s_mov_b32 s14, 0x7fc02000
	s_xor_b64 s[0:1], exec, -1
; %bb.254:                              ;   in Loop: Header=BB273_168 Depth=1
	s_or_b64 exec, exec, s[12:13]
	s_and_b64 s[0:1], s[0:1], exec
	s_or_saveexec_b64 s[8:9], s[8:9]
	v_mov_b32_e32 v14, s14
	s_xor_b64 exec, exec, s[8:9]
	s_cbranch_execz .LBB273_186
.LBB273_255:                            ;   in Loop: Header=BB273_168 Depth=1
	v_cmp_ne_u16_sdwa s[12:13], v15, v3 src0_sel:BYTE_0 src1_sel:DWORD
	s_andn2_b64 s[0:1], s[0:1], exec
	s_and_b64 s[12:13], s[12:13], exec
	v_mov_b32_e32 v14, 0
	s_or_b64 s[0:1], s[0:1], s[12:13]
	s_or_b64 exec, exec, s[8:9]
	v_mov_b32_e32 v2, v15
	s_and_saveexec_b64 s[8:9], s[0:1]
	s_cbranch_execnz .LBB273_187
	s_branch .LBB273_188
.LBB273_256:                            ;   in Loop: Header=BB273_168 Depth=1
	v_cmp_eq_u16_e32 vcc, s23, v2
	s_mov_b64 s[0:1], -1
                                        ; implicit-def: $sgpr14
	s_and_saveexec_b64 s[12:13], vcc
; %bb.257:                              ;   in Loop: Header=BB273_168 Depth=1
	s_mov_b32 s14, 0x7fc02000
	s_xor_b64 s[0:1], exec, -1
; %bb.258:                              ;   in Loop: Header=BB273_168 Depth=1
	s_or_b64 exec, exec, s[12:13]
	s_and_b64 s[0:1], s[0:1], exec
	s_or_saveexec_b64 s[8:9], s[8:9]
	v_mov_b32_e32 v26, s14
	s_xor_b64 exec, exec, s[8:9]
	s_cbranch_execz .LBB273_190
.LBB273_259:                            ;   in Loop: Header=BB273_168 Depth=1
	v_cmp_ne_u16_e32 vcc, 0, v2
	s_andn2_b64 s[0:1], s[0:1], exec
	s_and_b64 s[12:13], vcc, exec
	v_mov_b32_e32 v26, 0
	s_or_b64 s[0:1], s[0:1], s[12:13]
	s_or_b64 exec, exec, s[8:9]
	s_and_saveexec_b64 s[8:9], s[0:1]
	s_cbranch_execnz .LBB273_191
	s_branch .LBB273_192
.LBB273_260:                            ;   in Loop: Header=BB273_168 Depth=1
	v_cmp_eq_u16_sdwa s[34:35], v2, s23 src0_sel:BYTE_0 src1_sel:DWORD
	s_mov_b64 s[0:1], -1
                                        ; implicit-def: $sgpr14
	s_and_saveexec_b64 s[12:13], s[34:35]
; %bb.261:                              ;   in Loop: Header=BB273_168 Depth=1
	s_mov_b32 s14, 0x7fc02000
	s_xor_b64 s[0:1], exec, -1
; %bb.262:                              ;   in Loop: Header=BB273_168 Depth=1
	s_or_b64 exec, exec, s[12:13]
	s_and_b64 s[0:1], s[0:1], exec
	s_or_saveexec_b64 s[8:9], s[8:9]
	v_mov_b32_e32 v27, s14
	s_xor_b64 exec, exec, s[8:9]
	s_cbranch_execz .LBB273_194
.LBB273_263:                            ;   in Loop: Header=BB273_168 Depth=1
	v_cmp_ne_u16_sdwa s[12:13], v2, v3 src0_sel:BYTE_0 src1_sel:DWORD
	s_andn2_b64 s[0:1], s[0:1], exec
	s_and_b64 s[12:13], s[12:13], exec
	v_mov_b32_e32 v27, 0
	s_or_b64 s[0:1], s[0:1], s[12:13]
	s_or_b64 exec, exec, s[8:9]
	s_and_saveexec_b64 s[8:9], s[0:1]
	s_cbranch_execnz .LBB273_195
	s_branch .LBB273_196
.LBB273_264:                            ;   in Loop: Header=BB273_168 Depth=1
	v_cmp_eq_u16_e32 vcc, s23, v2
	s_mov_b64 s[0:1], -1
                                        ; implicit-def: $sgpr14
	s_and_saveexec_b64 s[12:13], vcc
; %bb.265:                              ;   in Loop: Header=BB273_168 Depth=1
	s_mov_b32 s14, 0x7fc02000
	s_xor_b64 s[0:1], exec, -1
; %bb.266:                              ;   in Loop: Header=BB273_168 Depth=1
	s_or_b64 exec, exec, s[12:13]
	s_and_b64 s[0:1], s[0:1], exec
	s_or_saveexec_b64 s[8:9], s[8:9]
	v_mov_b32_e32 v28, s14
	s_xor_b64 exec, exec, s[8:9]
	s_cbranch_execz .LBB273_198
.LBB273_267:                            ;   in Loop: Header=BB273_168 Depth=1
	v_cmp_ne_u16_e32 vcc, 0, v2
	s_andn2_b64 s[0:1], s[0:1], exec
	s_and_b64 s[12:13], vcc, exec
	v_mov_b32_e32 v28, 0
	s_or_b64 s[0:1], s[0:1], s[12:13]
	s_or_b64 exec, exec, s[8:9]
	s_and_saveexec_b64 s[8:9], s[0:1]
	s_cbranch_execnz .LBB273_199
	s_branch .LBB273_200
.LBB273_268:                            ;   in Loop: Header=BB273_168 Depth=1
	v_cmp_eq_u16_sdwa s[34:35], v14, s23 src0_sel:BYTE_0 src1_sel:DWORD
	s_mov_b64 s[0:1], -1
                                        ; implicit-def: $sgpr14
	s_and_saveexec_b64 s[12:13], s[34:35]
; %bb.269:                              ;   in Loop: Header=BB273_168 Depth=1
	s_mov_b32 s14, 0x7fc02000
	s_xor_b64 s[0:1], exec, -1
; %bb.270:                              ;   in Loop: Header=BB273_168 Depth=1
	s_or_b64 exec, exec, s[12:13]
	s_and_b64 s[0:1], s[0:1], exec
	s_or_saveexec_b64 s[8:9], s[8:9]
	v_mov_b32_e32 v10, s14
	s_xor_b64 exec, exec, s[8:9]
	s_cbranch_execz .LBB273_204
.LBB273_271:                            ;   in Loop: Header=BB273_168 Depth=1
	v_cmp_ne_u16_sdwa s[12:13], v14, v3 src0_sel:BYTE_0 src1_sel:DWORD
	s_andn2_b64 s[0:1], s[0:1], exec
	s_and_b64 s[12:13], s[12:13], exec
	v_mov_b32_e32 v10, 0
	s_or_b64 s[0:1], s[0:1], s[12:13]
	s_or_b64 exec, exec, s[8:9]
	s_and_saveexec_b64 s[8:9], s[0:1]
	s_cbranch_execnz .LBB273_205
	s_branch .LBB273_206
.LBB273_272:                            ;   in Loop: Header=BB273_168 Depth=1
	v_cmp_eq_u16_e64 s[0:1], s23, v2
	s_mov_b64 s[8:9], -1
                                        ; implicit-def: $sgpr34
	s_and_saveexec_b64 s[14:15], s[0:1]
; %bb.273:                              ;   in Loop: Header=BB273_168 Depth=1
	s_mov_b32 s34, 0x7fc02000
	s_xor_b64 s[8:9], exec, -1
; %bb.274:                              ;   in Loop: Header=BB273_168 Depth=1
	s_or_b64 exec, exec, s[14:15]
	s_and_b64 s[8:9], s[8:9], exec
	s_or_saveexec_b64 s[12:13], s[12:13]
	v_mov_b32_e32 v16, s34
	s_xor_b64 exec, exec, s[12:13]
	s_cbranch_execz .LBB273_208
.LBB273_275:                            ;   in Loop: Header=BB273_168 Depth=1
	v_cmp_ne_u16_e64 s[0:1], 0, v2
	s_andn2_b64 s[8:9], s[8:9], exec
	s_and_b64 s[0:1], s[0:1], exec
	v_mov_b32_e32 v16, 0
	s_or_b64 s[8:9], s[8:9], s[0:1]
	s_or_b64 exec, exec, s[12:13]
	s_and_saveexec_b64 s[12:13], s[8:9]
	s_cbranch_execnz .LBB273_209
	s_branch .LBB273_210
.LBB273_276:                            ;   in Loop: Header=BB273_168 Depth=1
	v_cmp_eq_u16_sdwa s[34:35], v2, s23 src0_sel:BYTE_0 src1_sel:DWORD
	s_mov_b64 s[0:1], -1
                                        ; implicit-def: $sgpr14
	s_and_saveexec_b64 s[12:13], s[34:35]
; %bb.277:                              ;   in Loop: Header=BB273_168 Depth=1
	s_mov_b32 s14, 0x7fc02000
	s_xor_b64 s[0:1], exec, -1
; %bb.278:                              ;   in Loop: Header=BB273_168 Depth=1
	s_or_b64 exec, exec, s[12:13]
	s_and_b64 s[0:1], s[0:1], exec
	s_or_saveexec_b64 s[8:9], s[8:9]
	v_mov_b32_e32 v11, s14
	s_xor_b64 exec, exec, s[8:9]
	s_cbranch_execz .LBB273_212
.LBB273_279:                            ;   in Loop: Header=BB273_168 Depth=1
	v_cmp_ne_u16_sdwa s[12:13], v2, v3 src0_sel:BYTE_0 src1_sel:DWORD
	s_andn2_b64 s[0:1], s[0:1], exec
	s_and_b64 s[12:13], s[12:13], exec
	v_mov_b32_e32 v11, 0
	s_or_b64 s[0:1], s[0:1], s[12:13]
	s_or_b64 exec, exec, s[8:9]
	s_and_saveexec_b64 s[8:9], s[0:1]
	s_cbranch_execnz .LBB273_213
	s_branch .LBB273_214
.LBB273_280:                            ;   in Loop: Header=BB273_168 Depth=1
	v_cmp_eq_u16_e64 s[0:1], s23, v2
	s_mov_b64 s[8:9], -1
                                        ; implicit-def: $sgpr34
	s_and_saveexec_b64 s[14:15], s[0:1]
; %bb.281:                              ;   in Loop: Header=BB273_168 Depth=1
	s_mov_b32 s34, 0x7fc02000
	s_xor_b64 s[8:9], exec, -1
; %bb.282:                              ;   in Loop: Header=BB273_168 Depth=1
	s_or_b64 exec, exec, s[14:15]
	s_and_b64 s[8:9], s[8:9], exec
	s_or_saveexec_b64 s[12:13], s[12:13]
	v_mov_b32_e32 v17, s34
	s_xor_b64 exec, exec, s[12:13]
	s_cbranch_execz .LBB273_216
.LBB273_283:                            ;   in Loop: Header=BB273_168 Depth=1
	v_cmp_ne_u16_e64 s[0:1], 0, v2
	s_andn2_b64 s[8:9], s[8:9], exec
	s_and_b64 s[0:1], s[0:1], exec
	v_mov_b32_e32 v17, 0
	s_or_b64 s[8:9], s[8:9], s[0:1]
	s_or_b64 exec, exec, s[12:13]
	s_and_saveexec_b64 s[12:13], s[8:9]
	s_cbranch_execnz .LBB273_217
	s_branch .LBB273_218
.LBB273_284:                            ;   in Loop: Header=BB273_168 Depth=1
	v_cmp_eq_u16_sdwa s[34:35], v15, s23 src0_sel:BYTE_0 src1_sel:DWORD
	s_mov_b64 s[0:1], -1
                                        ; implicit-def: $sgpr14
	s_and_saveexec_b64 s[12:13], s[34:35]
; %bb.285:                              ;   in Loop: Header=BB273_168 Depth=1
	s_mov_b32 s14, 0x7fc02000
	s_xor_b64 s[0:1], exec, -1
; %bb.286:                              ;   in Loop: Header=BB273_168 Depth=1
	s_or_b64 exec, exec, s[12:13]
	s_and_b64 s[0:1], s[0:1], exec
	s_or_saveexec_b64 s[8:9], s[8:9]
	v_mov_b32_e32 v14, s14
	s_xor_b64 exec, exec, s[8:9]
	s_cbranch_execz .LBB273_220
.LBB273_287:                            ;   in Loop: Header=BB273_168 Depth=1
	v_cmp_ne_u16_sdwa s[12:13], v15, v3 src0_sel:BYTE_0 src1_sel:DWORD
	s_andn2_b64 s[0:1], s[0:1], exec
	s_and_b64 s[12:13], s[12:13], exec
	v_mov_b32_e32 v14, 0
	s_or_b64 s[0:1], s[0:1], s[12:13]
	s_or_b64 exec, exec, s[8:9]
	v_mov_b32_e32 v2, v15
	s_and_saveexec_b64 s[8:9], s[0:1]
	s_cbranch_execnz .LBB273_221
	s_branch .LBB273_222
.LBB273_288:                            ;   in Loop: Header=BB273_168 Depth=1
	v_cmp_eq_u16_e64 s[0:1], s23, v2
	s_mov_b64 s[8:9], -1
                                        ; implicit-def: $sgpr34
	s_and_saveexec_b64 s[14:15], s[0:1]
; %bb.289:                              ;   in Loop: Header=BB273_168 Depth=1
	s_mov_b32 s34, 0x7fc02000
	s_xor_b64 s[8:9], exec, -1
; %bb.290:                              ;   in Loop: Header=BB273_168 Depth=1
	s_or_b64 exec, exec, s[14:15]
	s_and_b64 s[8:9], s[8:9], exec
	s_or_saveexec_b64 s[12:13], s[12:13]
	v_mov_b32_e32 v37, s34
	s_xor_b64 exec, exec, s[12:13]
	s_cbranch_execz .LBB273_224
.LBB273_291:                            ;   in Loop: Header=BB273_168 Depth=1
	v_cmp_ne_u16_e64 s[0:1], 0, v2
	s_andn2_b64 s[8:9], s[8:9], exec
	s_and_b64 s[0:1], s[0:1], exec
	v_mov_b32_e32 v37, 0
	s_or_b64 s[8:9], s[8:9], s[0:1]
	s_or_b64 exec, exec, s[12:13]
	s_and_saveexec_b64 s[12:13], s[8:9]
	s_cbranch_execnz .LBB273_225
	s_branch .LBB273_226
.LBB273_292:                            ;   in Loop: Header=BB273_168 Depth=1
	v_cmp_eq_u16_sdwa s[34:35], v2, s23 src0_sel:BYTE_0 src1_sel:DWORD
	s_mov_b64 s[0:1], -1
                                        ; implicit-def: $sgpr14
	s_and_saveexec_b64 s[12:13], s[34:35]
; %bb.293:                              ;   in Loop: Header=BB273_168 Depth=1
	s_mov_b32 s14, 0x7fc02000
	s_xor_b64 s[0:1], exec, -1
; %bb.294:                              ;   in Loop: Header=BB273_168 Depth=1
	s_or_b64 exec, exec, s[12:13]
	s_and_b64 s[0:1], s[0:1], exec
	s_or_saveexec_b64 s[8:9], s[8:9]
	v_mov_b32_e32 v38, s14
	s_xor_b64 exec, exec, s[8:9]
	s_cbranch_execz .LBB273_228
.LBB273_295:                            ;   in Loop: Header=BB273_168 Depth=1
	v_cmp_ne_u16_sdwa s[12:13], v2, v3 src0_sel:BYTE_0 src1_sel:DWORD
	s_andn2_b64 s[0:1], s[0:1], exec
	s_and_b64 s[12:13], s[12:13], exec
	v_mov_b32_e32 v38, 0
	s_or_b64 s[0:1], s[0:1], s[12:13]
	s_or_b64 exec, exec, s[8:9]
	s_and_saveexec_b64 s[8:9], s[0:1]
	s_cbranch_execnz .LBB273_229
	s_branch .LBB273_230
.LBB273_296:                            ;   in Loop: Header=BB273_168 Depth=1
	v_cmp_eq_u16_e64 s[0:1], s23, v2
	s_mov_b64 s[8:9], -1
                                        ; implicit-def: $sgpr34
	s_and_saveexec_b64 s[14:15], s[0:1]
; %bb.297:                              ;   in Loop: Header=BB273_168 Depth=1
	s_mov_b32 s34, 0x7fc02000
	s_xor_b64 s[8:9], exec, -1
; %bb.298:                              ;   in Loop: Header=BB273_168 Depth=1
	s_or_b64 exec, exec, s[14:15]
	s_and_b64 s[8:9], s[8:9], exec
	s_or_saveexec_b64 s[12:13], s[12:13]
	v_mov_b32_e32 v39, s34
	s_xor_b64 exec, exec, s[12:13]
	s_cbranch_execz .LBB273_232
.LBB273_299:                            ;   in Loop: Header=BB273_168 Depth=1
	v_cmp_ne_u16_e64 s[0:1], 0, v2
	s_andn2_b64 s[8:9], s[8:9], exec
	s_and_b64 s[0:1], s[0:1], exec
	v_mov_b32_e32 v39, 0
	s_or_b64 s[8:9], s[8:9], s[0:1]
	s_or_b64 exec, exec, s[12:13]
	s_and_saveexec_b64 s[12:13], s[8:9]
	s_cbranch_execnz .LBB273_233
	s_branch .LBB273_234
.LBB273_300:
	s_or_b64 exec, exec, s[6:7]
.LBB273_301:
	s_or_b64 exec, exec, s[2:3]
	ds_bpermute_b32 v2, v21, v6
	ds_bpermute_b32 v3, v21, v7
	v_and_b32_e32 v1, 0x3c3, v0
	v_cmp_eq_u32_e32 vcc, 64, v1
	s_waitcnt lgkmcnt(0)
	s_barrier
	v_pk_add_f32 v[2:3], v[6:7], v[2:3]
	ds_bpermute_b32 v4, v22, v2
	ds_bpermute_b32 v5, v22, v3
	s_waitcnt lgkmcnt(0)
	v_pk_add_f32 v[2:3], v[2:3], v[4:5]
	s_and_saveexec_b64 s[0:1], vcc
	s_cbranch_execz .LBB273_303
; %bb.302:
	v_add_u32_e32 v5, 0x50, v20
	v_add_u32_e32 v4, 0x50, v0
	ds_write_b32 v5, v2
	ds_write_b32 v4, v3
.LBB273_303:
	s_or_b64 exec, exec, s[0:1]
	v_cmp_gt_u32_e32 vcc, 64, v0
	s_waitcnt lgkmcnt(0)
	s_barrier
	s_and_saveexec_b64 s[0:1], vcc
	s_cbranch_execz .LBB273_309
; %bb.304:
	v_cmp_eq_u32_e32 vcc, 0, v23
	v_lshrrev_b32_e32 v4, 2, v0
	s_and_saveexec_b64 s[2:3], vcc
	s_cbranch_execz .LBB273_306
; %bb.305:
	v_mov_b32_e32 v5, 0x50
	v_lshl_add_u32 v5, v4, 2, v5
	ds_read_b32 v5, v5
	s_waitcnt lgkmcnt(0)
	v_add_f32_e32 v2, v2, v5
.LBB273_306:
	s_or_b64 exec, exec, s[2:3]
	s_and_saveexec_b64 s[2:3], vcc
	s_cbranch_execz .LBB273_308
; %bb.307:
	v_mov_b32_e32 v5, 0x50
	v_lshl_add_u32 v4, v4, 2, v5
	ds_read_b32 v4, v4 offset:64
	s_waitcnt lgkmcnt(0)
	v_add_f32_e32 v3, v3, v4
.LBB273_308:
	s_or_b64 exec, exec, s[2:3]
.LBB273_309:
	s_or_b64 exec, exec, s[0:1]
	v_cmp_eq_u32_e32 vcc, 0, v1
	s_barrier
	s_and_saveexec_b64 s[0:1], vcc
	s_cbranch_execz .LBB273_311
; %bb.310:
	s_mul_i32 s0, s16, s17
	s_mul_i32 s0, s0, s5
	s_lshl_b32 s0, s0, 5
	s_ashr_i32 s1, s0, 31
	s_lshl_b64 s[0:1], s[0:1], 1
	s_add_u32 s2, s20, s0
	s_mul_i32 s0, s17, s18
	s_addc_u32 s3, s21, s1
	s_ashr_i32 s1, s0, 31
	s_lshl_b64 s[0:1], s[0:1], 1
	s_add_u32 s2, s2, s0
	s_addc_u32 s3, s3, s1
	s_lshl_b32 s0, s4, 5
	s_ashr_i32 s1, s0, 31
	s_lshl_b64 s[0:1], s[0:1], 1
	s_add_u32 s0, s2, s0
	s_addc_u32 s1, s3, s1
	v_lshrrev_b32_e32 v0, 1, v0
	;;#ASMSTART
	v_cvt_f16_f32 v1, v2;

	;;#ASMEND
	global_store_short v0, v1, s[0:1]
	;;#ASMSTART
	v_cvt_f16_f32 v1, v3;

	;;#ASMEND
	global_store_short v0, v1, s[0:1] offset:32
.LBB273_311:
	s_endpgm
	.section	.rodata,"a",@progbits
	.p2align	6, 0x0
	.amdhsa_kernel _ZN4vllm25paged_attention_v1_kernelIthLi32ELi32ELi128ELNS_18Fp8KVCacheDataTypeE1ELb0EEEvPT_PKS2_PKT0_S8_ifPKiSA_iPKfiiiSC_SC_iiiii
		.amdhsa_group_segment_fixed_size 80
		.amdhsa_private_segment_fixed_size 0
		.amdhsa_kernarg_size 384
		.amdhsa_user_sgpr_count 2
		.amdhsa_user_sgpr_dispatch_ptr 0
		.amdhsa_user_sgpr_queue_ptr 0
		.amdhsa_user_sgpr_kernarg_segment_ptr 1
		.amdhsa_user_sgpr_dispatch_id 0
		.amdhsa_user_sgpr_kernarg_preload_length 0
		.amdhsa_user_sgpr_kernarg_preload_offset 0
		.amdhsa_user_sgpr_private_segment_size 0
		.amdhsa_uses_dynamic_stack 0
		.amdhsa_enable_private_segment 0
		.amdhsa_system_sgpr_workgroup_id_x 1
		.amdhsa_system_sgpr_workgroup_id_y 1
		.amdhsa_system_sgpr_workgroup_id_z 1
		.amdhsa_system_sgpr_workgroup_info 0
		.amdhsa_system_vgpr_workitem_id 0
		.amdhsa_next_free_vgpr 43
		.amdhsa_next_free_sgpr 48
		.amdhsa_accum_offset 44
		.amdhsa_reserve_vcc 1
		.amdhsa_float_round_mode_32 0
		.amdhsa_float_round_mode_16_64 0
		.amdhsa_float_denorm_mode_32 3
		.amdhsa_float_denorm_mode_16_64 3
		.amdhsa_dx10_clamp 1
		.amdhsa_ieee_mode 1
		.amdhsa_fp16_overflow 0
		.amdhsa_tg_split 0
		.amdhsa_exception_fp_ieee_invalid_op 0
		.amdhsa_exception_fp_denorm_src 0
		.amdhsa_exception_fp_ieee_div_zero 0
		.amdhsa_exception_fp_ieee_overflow 0
		.amdhsa_exception_fp_ieee_underflow 0
		.amdhsa_exception_fp_ieee_inexact 0
		.amdhsa_exception_int_div_zero 0
	.end_amdhsa_kernel
	.section	.text._ZN4vllm25paged_attention_v1_kernelIthLi32ELi32ELi128ELNS_18Fp8KVCacheDataTypeE1ELb0EEEvPT_PKS2_PKT0_S8_ifPKiSA_iPKfiiiSC_SC_iiiii,"axG",@progbits,_ZN4vllm25paged_attention_v1_kernelIthLi32ELi32ELi128ELNS_18Fp8KVCacheDataTypeE1ELb0EEEvPT_PKS2_PKT0_S8_ifPKiSA_iPKfiiiSC_SC_iiiii,comdat
.Lfunc_end273:
	.size	_ZN4vllm25paged_attention_v1_kernelIthLi32ELi32ELi128ELNS_18Fp8KVCacheDataTypeE1ELb0EEEvPT_PKS2_PKT0_S8_ifPKiSA_iPKfiiiSC_SC_iiiii, .Lfunc_end273-_ZN4vllm25paged_attention_v1_kernelIthLi32ELi32ELi128ELNS_18Fp8KVCacheDataTypeE1ELb0EEEvPT_PKS2_PKT0_S8_ifPKiSA_iPKfiiiSC_SC_iiiii
                                        ; -- End function
	.section	.AMDGPU.csdata,"",@progbits
; Kernel info:
; codeLenInByte = 12688
; NumSgprs: 54
; NumVgprs: 43
; NumAgprs: 0
; TotalNumVgprs: 43
; ScratchSize: 0
; MemoryBound: 0
; FloatMode: 240
; IeeeMode: 1
; LDSByteSize: 80 bytes/workgroup (compile time only)
; SGPRBlocks: 6
; VGPRBlocks: 5
; NumSGPRsForWavesPerEU: 54
; NumVGPRsForWavesPerEU: 43
; AccumOffset: 44
; Occupancy: 8
; WaveLimiterHint : 1
; COMPUTE_PGM_RSRC2:SCRATCH_EN: 0
; COMPUTE_PGM_RSRC2:USER_SGPR: 2
; COMPUTE_PGM_RSRC2:TRAP_HANDLER: 0
; COMPUTE_PGM_RSRC2:TGID_X_EN: 1
; COMPUTE_PGM_RSRC2:TGID_Y_EN: 1
; COMPUTE_PGM_RSRC2:TGID_Z_EN: 1
; COMPUTE_PGM_RSRC2:TIDIG_COMP_CNT: 0
; COMPUTE_PGM_RSRC3_GFX90A:ACCUM_OFFSET: 10
; COMPUTE_PGM_RSRC3_GFX90A:TG_SPLIT: 0
	.section	.text._ZN4vllm25paged_attention_v1_kernelIthLi64ELi32ELi128ELNS_18Fp8KVCacheDataTypeE1ELb0EEEvPT_PKS2_PKT0_S8_ifPKiSA_iPKfiiiSC_SC_iiiii,"axG",@progbits,_ZN4vllm25paged_attention_v1_kernelIthLi64ELi32ELi128ELNS_18Fp8KVCacheDataTypeE1ELb0EEEvPT_PKS2_PKT0_S8_ifPKiSA_iPKfiiiSC_SC_iiiii,comdat
	.protected	_ZN4vllm25paged_attention_v1_kernelIthLi64ELi32ELi128ELNS_18Fp8KVCacheDataTypeE1ELb0EEEvPT_PKS2_PKT0_S8_ifPKiSA_iPKfiiiSC_SC_iiiii ; -- Begin function _ZN4vllm25paged_attention_v1_kernelIthLi64ELi32ELi128ELNS_18Fp8KVCacheDataTypeE1ELb0EEEvPT_PKS2_PKT0_S8_ifPKiSA_iPKfiiiSC_SC_iiiii
	.globl	_ZN4vllm25paged_attention_v1_kernelIthLi64ELi32ELi128ELNS_18Fp8KVCacheDataTypeE1ELb0EEEvPT_PKS2_PKT0_S8_ifPKiSA_iPKfiiiSC_SC_iiiii
	.p2align	8
	.type	_ZN4vllm25paged_attention_v1_kernelIthLi64ELi32ELi128ELNS_18Fp8KVCacheDataTypeE1ELb0EEEvPT_PKS2_PKT0_S8_ifPKiSA_iPKfiiiSC_SC_iiiii,@function
_ZN4vllm25paged_attention_v1_kernelIthLi64ELi32ELi128ELNS_18Fp8KVCacheDataTypeE1ELb0EEEvPT_PKS2_PKT0_S8_ifPKiSA_iPKfiiiSC_SC_iiiii: ; @_ZN4vllm25paged_attention_v1_kernelIthLi64ELi32ELi128ELNS_18Fp8KVCacheDataTypeE1ELb0EEEvPT_PKS2_PKT0_S8_ifPKiSA_iPKfiiiSC_SC_iiiii
; %bb.0:
	s_load_dword s5, s[0:1], 0x80
	s_load_dwordx2 s[6:7], s[0:1], 0x30
	s_load_dwordx2 s[28:29], s[0:1], 0x20
	s_mov_b32 s16, s3
	s_ashr_i32 s17, s3, 31
	s_lshl_b64 s[8:9], s[16:17], 2
	s_waitcnt lgkmcnt(0)
	s_add_u32 s6, s6, s8
	s_addc_u32 s7, s7, s9
	s_abs_i32 s3, s28
	v_cvt_f32_u32_e32 v1, s3
	s_sub_i32 s10, 0, s3
	s_abs_i32 s9, s5
	s_xor_b32 s8, s5, s28
	v_rcp_iflag_f32_e32 v1, v1
	s_ashr_i32 s8, s8, 31
	s_mov_b32 s28, 0
	v_mul_f32_e32 v1, 0x4f7ffffe, v1
	v_cvt_u32_f32_e32 v1, v1
	s_nop 0
	v_readfirstlane_b32 s11, v1
	s_mul_i32 s10, s10, s11
	s_mul_hi_u32 s10, s11, s10
	s_add_i32 s11, s11, s10
	s_mul_hi_u32 s10, s9, s11
	s_mul_i32 s11, s10, s3
	s_sub_i32 s9, s9, s11
	s_add_i32 s11, s10, 1
	s_sub_i32 s12, s9, s3
	s_cmp_ge_u32 s9, s3
	s_cselect_b32 s10, s11, s10
	s_cselect_b32 s9, s12, s9
	s_add_i32 s11, s10, 1
	s_cmp_ge_u32 s9, s3
	s_cselect_b32 s3, s11, s10
	s_xor_b32 s3, s3, s8
	s_sub_i32 s12, s3, s8
	s_abs_i32 s10, s12
	v_cvt_f32_u32_e32 v1, s10
	s_load_dwordx2 s[8:9], s[0:1], 0x40
	s_sub_i32 s3, 0, s10
	s_abs_i32 s11, s2
	v_rcp_iflag_f32_e32 v1, v1
	s_nop 0
	v_mul_f32_e32 v1, 0x4f7ffffe, v1
	v_cvt_u32_f32_e32 v1, v1
	s_nop 0
	v_readfirstlane_b32 s13, v1
	s_mul_i32 s3, s3, s13
	s_mul_hi_u32 s3, s13, s3
	s_add_i32 s13, s13, s3
	s_waitcnt lgkmcnt(0)
	s_cmp_eq_u64 s[8:9], 0
	s_mul_hi_u32 s17, s11, s13
	s_cbranch_scc1 .LBB274_2
; %bb.1:
	s_ashr_i32 s3, s2, 31
	s_lshl_b64 s[14:15], s[2:3], 2
	s_add_u32 s8, s8, s14
	s_addc_u32 s9, s9, s15
	s_load_dword s28, s[8:9], 0x0
.LBB274_2:
	s_load_dword s33, s[6:7], 0x0
	s_ashr_i32 s7, s12, 31
	s_load_dwordx4 s[12:15], s[0:1], 0x48
	s_ashr_i32 s6, s2, 31
	v_and_b32_e32 v7, 1, v0
	s_lshl_b32 s18, s2, 6
	v_cmp_gt_u32_e32 vcc, 16, v0
	v_lshlrev_b32_e32 v13, 3, v0
	s_and_saveexec_b64 s[2:3], vcc
	s_cbranch_execz .LBB274_4
; %bb.3:
	s_load_dwordx2 s[8:9], s[0:1], 0x8
	s_waitcnt lgkmcnt(0)
	s_mul_i32 s20, s16, s12
	s_ashr_i32 s21, s20, 31
	s_lshl_b64 s[20:21], s[20:21], 1
	v_lshlrev_b32_e32 v1, 2, v0
	s_add_u32 s12, s8, s20
	s_addc_u32 s15, s9, s21
	s_ashr_i32 s19, s18, 31
	s_lshl_b64 s[8:9], s[18:19], 1
	s_add_u32 s8, s12, s8
	s_addc_u32 s9, s15, s9
	global_load_dwordx2 v[2:3], v13, s[8:9]
	v_and_b32_e32 v1, 0xff8, v1
	v_lshl_add_u32 v1, v7, 6, v1
	s_waitcnt vmcnt(0)
	ds_write_b64 v1, v[2:3]
.LBB274_4:
	s_or_b64 exec, exec, s[2:3]
	s_waitcnt lgkmcnt(0)
	s_add_i32 s3, s33, 31
	s_ashr_i32 s8, s3, 31
	s_lshr_b32 s8, s8, 27
	s_add_i32 s3, s3, s8
	s_ashr_i32 s19, s3, 5
	s_xor_b32 s3, s6, s7
	s_mul_i32 s6, s17, s10
	s_sub_i32 s6, s11, s6
	s_add_i32 s7, s17, 1
	s_sub_i32 s8, s6, s10
	s_load_dwordx2 s[22:23], s[0:1], 0x28
	s_load_dword s2, s[0:1], 0x38
	s_cmp_ge_u32 s6, s10
	s_cselect_b32 s7, s7, s17
	s_cselect_b32 s6, s8, s6
	s_add_i32 s8, s7, 1
	s_cmp_ge_u32 s6, s10
	s_cselect_b32 s6, s8, s7
	v_lshrrev_b32_e32 v1, 6, v0
	s_xor_b32 s6, s6, s3
	s_waitcnt lgkmcnt(0)
	s_mul_i32 s24, s16, s2
	s_sub_i32 s12, s6, s3
	s_ashr_i32 s25, s24, 31
	v_cmp_gt_i32_e64 s[6:7], s19, v1
	v_cmp_le_i32_e32 vcc, s19, v1
	v_mbcnt_lo_u32_b32 v10, -1, 0
	s_barrier
	s_waitcnt lgkmcnt(0)
                                        ; implicit-def: $sgpr15
                                        ; implicit-def: $vgpr16
                                        ; implicit-def: $vgpr2
	s_and_saveexec_b64 s[2:3], vcc
	s_xor_b64 s[2:3], exec, s[2:3]
; %bb.5:
	v_mbcnt_hi_u32_b32 v16, -1, v10
	v_and_b32_e32 v2, 64, v16
	v_add_u32_e32 v2, 64, v2
	s_mov_b32 s15, 0xff7fffff
                                        ; implicit-def: $vgpr7
                                        ; implicit-def: $vgpr10
; %bb.6:
	s_or_saveexec_b64 s[30:31], s[2:3]
	s_load_dwordx2 s[20:21], s[0:1], 0x0
	s_load_dwordx2 s[26:27], s[0:1], 0x18
	s_load_dword s17, s[0:1], 0x88
	s_load_dwordx4 s[8:11], s[0:1], 0x58
	v_mov_b32_e32 v15, s15
	s_mul_i32 s12, s12, s14
	v_lshrrev_b32_e32 v14, 4, v0
	s_xor_b64 exec, exec, s[30:31]
	s_cbranch_execz .LBB274_268
; %bb.7:
	s_load_dwordx2 s[0:1], s[0:1], 0x10
	s_ashr_i32 s2, s12, 31
	v_bfe_u32 v8, v0, 1, 5
	v_lshlrev_b32_e32 v2, 4, v8
	v_mov_b32_e32 v3, 0
	s_waitcnt lgkmcnt(0)
	s_add_u32 s0, s0, s12
	s_addc_u32 s1, s1, s2
	v_lshl_add_u64 v[4:5], s[0:1], 0, v[2:3]
	s_sub_i32 s41, 1, s33
	v_lshlrev_b32_e32 v2, 2, v8
	s_lshl_b64 s[0:1], s[24:25], 2
	v_lshl_or_b32 v2, v1, 7, v2
	s_add_u32 s0, s22, s0
	v_add_u32_e32 v19, 0x90, v2
	v_and_b32_e32 v2, 60, v14
	s_addc_u32 s1, s23, s1
	s_mov_b32 s40, s13
	v_lshlrev_b32_e32 v6, 2, v7
	v_lshlrev_b32_e32 v17, 6, v7
	v_cmp_eq_u32_e32 vcc, 0, v7
	v_cmp_neq_f32_e64 s[2:3], s28, 0
	v_mov_b32_e32 v7, v3
	v_lshl_or_b32 v18, v1, 5, v8
	v_lshl_add_u64 v[8:9], s[0:1], 0, v[2:3]
	s_mov_b64 s[14:15], 0
	v_mov_b32_e32 v15, 0xff7fffff
	s_movk_i32 s42, 0x7f
	s_movk_i32 s43, 0x80
	s_mov_b32 s44, 0x8000
	v_mbcnt_hi_u32_b32 v16, -1, v10
	v_mov_b32_e32 v20, 0x1c00
	v_mov_b32_e32 v21, v1
	s_branch .LBB274_9
.LBB274_8:                              ;   in Loop: Header=BB274_9 Depth=1
	s_or_b64 exec, exec, s[34:35]
	v_add_u32_e32 v21, 2, v21
	v_cmp_le_i32_e64 s[0:1], s19, v21
	v_add_u32_e32 v18, 64, v18
	v_add_u32_e32 v19, 0x100, v19
	s_or_b64 s[14:15], s[0:1], s[14:15]
	v_lshl_add_u64 v[8:9], v[8:9], 0, 8
	s_andn2_b64 exec, exec, s[14:15]
	s_cbranch_execz .LBB274_267
.LBB274_9:                              ; =>This Inner Loop Header: Depth=1
	global_load_dword v2, v[8:9], off
                                        ; implicit-def: $sgpr38
	s_waitcnt vmcnt(0) lgkmcnt(0)
	v_mad_i64_i32 v[10:11], s[0:1], v2, s40, v[4:5]
	v_lshl_add_u64 v[10:11], v[10:11], 0, v[6:7]
	global_load_dword v12, v[10:11], off
	global_load_dword v22, v3, s[8:9]
	s_mov_b64 s[0:1], 0
	s_waitcnt vmcnt(1)
	v_cmp_gt_i16_sdwa s[34:35], v12, s42 src0_sel:BYTE_0 src1_sel:DWORD
	s_and_saveexec_b64 s[36:37], s[34:35]
	s_xor_b64 s[34:35], exec, s[36:37]
	s_cbranch_execnz .LBB274_139
; %bb.10:                               ;   in Loop: Header=BB274_9 Depth=1
	s_or_saveexec_b64 s[34:35], s[34:35]
	v_mov_b32_e32 v23, s38
	s_xor_b64 exec, exec, s[34:35]
	s_cbranch_execnz .LBB274_142
.LBB274_11:                             ;   in Loop: Header=BB274_9 Depth=1
	s_or_b64 exec, exec, s[34:35]
	s_and_saveexec_b64 s[34:35], s[0:1]
	s_cbranch_execz .LBB274_13
.LBB274_12:                             ;   in Loop: Header=BB274_9 Depth=1
	v_and_b32_e32 v2, 7, v12
	v_ffbh_u32_e32 v24, v2
	v_min_u32_e32 v26, 32, v24
	v_subrev_u32_e32 v24, 28, v26
	v_bfe_u32 v23, v12, 3, 4
	v_lshlrev_b64 v[24:25], v24, v[12:13]
	v_sub_u32_e32 v25, 29, v26
	v_cmp_eq_u32_e64 s[0:1], 0, v23
	v_and_b32_e32 v24, 7, v24
	s_nop 0
	v_cndmask_b32_e64 v23, v23, v25, s[0:1]
	v_cndmask_b32_e64 v2, v2, v24, s[0:1]
	v_lshlrev_b32_e32 v24, 8, v12
	v_lshl_add_u32 v23, v23, 10, v20
	v_and_or_b32 v23, v24, s44, v23
	v_lshl_or_b32 v2, v2, 7, v23
	v_cvt_f32_f16_e32 v23, v2
.LBB274_13:                             ;   in Loop: Header=BB274_9 Depth=1
	s_or_b64 exec, exec, s[34:35]
	v_lshrrev_b16_e32 v2, 8, v12
	v_cmp_lt_i16_e64 s[0:1], s42, v2
	s_mov_b64 s[34:35], 0
                                        ; implicit-def: $sgpr45
	s_and_saveexec_b64 s[36:37], s[0:1]
	s_xor_b64 s[36:37], exec, s[36:37]
	s_cbranch_execnz .LBB274_143
; %bb.14:                               ;   in Loop: Header=BB274_9 Depth=1
	s_or_saveexec_b64 s[36:37], s[36:37]
	v_mov_b32_e32 v24, s45
	s_xor_b64 exec, exec, s[36:37]
	s_cbranch_execnz .LBB274_146
.LBB274_15:                             ;   in Loop: Header=BB274_9 Depth=1
	s_or_b64 exec, exec, s[36:37]
	s_and_saveexec_b64 s[36:37], s[34:35]
	s_cbranch_execz .LBB274_17
.LBB274_16:                             ;   in Loop: Header=BB274_9 Depth=1
	v_and_b32_e32 v26, 7, v2
	v_ffbh_u32_e32 v24, v26
	v_min_u32_e32 v28, 32, v24
	v_subrev_u32_e32 v24, 28, v28
	v_bfe_u32 v27, v2, 3, 4
	v_lshlrev_b64 v[24:25], v24, v[2:3]
	v_sub_u32_e32 v25, 29, v28
	v_cmp_eq_u32_e64 s[0:1], 0, v27
	v_and_b32_e32 v24, 7, v24
	v_lshlrev_b32_e32 v2, 8, v2
	v_cndmask_b32_e64 v25, v27, v25, s[0:1]
	v_lshl_add_u32 v25, v25, 10, v20
	v_cndmask_b32_e64 v24, v26, v24, s[0:1]
	v_and_or_b32 v2, v2, s44, v25
	v_lshl_or_b32 v2, v24, 7, v2
	v_cvt_f32_f16_e32 v24, v2
.LBB274_17:                             ;   in Loop: Header=BB274_9 Depth=1
	s_or_b64 exec, exec, s[36:37]
	v_lshrrev_b32_e32 v2, 16, v12
	v_cmp_gt_i16_sdwa s[34:35], v2, s42 src0_sel:BYTE_0 src1_sel:DWORD
	s_mov_b64 s[0:1], 0
                                        ; implicit-def: $sgpr38
	s_and_saveexec_b64 s[36:37], s[34:35]
	s_xor_b64 s[34:35], exec, s[36:37]
	s_cbranch_execnz .LBB274_147
; %bb.18:                               ;   in Loop: Header=BB274_9 Depth=1
	s_or_saveexec_b64 s[34:35], s[34:35]
	v_mov_b32_e32 v25, s38
	s_xor_b64 exec, exec, s[34:35]
	s_cbranch_execnz .LBB274_150
.LBB274_19:                             ;   in Loop: Header=BB274_9 Depth=1
	s_or_b64 exec, exec, s[34:35]
	s_and_saveexec_b64 s[34:35], s[0:1]
	s_cbranch_execz .LBB274_21
.LBB274_20:                             ;   in Loop: Header=BB274_9 Depth=1
	v_bfe_u32 v25, v12, 16, 3
	v_ffbh_u32_e32 v26, v25
	v_min_u32_e32 v29, 32, v26
	v_subrev_u32_e32 v26, 28, v29
	v_bfe_u32 v28, v12, 19, 4
	v_lshlrev_b64 v[26:27], v26, v[2:3]
	v_sub_u32_e32 v27, 29, v29
	v_cmp_eq_u32_e64 s[0:1], 0, v28
	v_and_b32_e32 v26, 7, v26
	v_lshlrev_b32_e32 v2, 8, v2
	v_cndmask_b32_e64 v27, v28, v27, s[0:1]
	v_cndmask_b32_e64 v25, v25, v26, s[0:1]
	v_lshl_add_u32 v26, v27, 10, v20
	v_and_or_b32 v2, v2, s44, v26
	v_lshl_or_b32 v2, v25, 7, v2
	v_cvt_f32_f16_e32 v25, v2
.LBB274_21:                             ;   in Loop: Header=BB274_9 Depth=1
	s_or_b64 exec, exec, s[34:35]
	v_lshrrev_b32_e32 v2, 24, v12
	v_cmp_lt_i16_e64 s[0:1], s42, v2
	s_mov_b64 s[34:35], 0
                                        ; implicit-def: $sgpr45
	s_and_saveexec_b64 s[36:37], s[0:1]
	s_xor_b64 s[36:37], exec, s[36:37]
	s_cbranch_execnz .LBB274_151
; %bb.22:                               ;   in Loop: Header=BB274_9 Depth=1
	s_or_saveexec_b64 s[36:37], s[36:37]
	v_mov_b32_e32 v26, s45
	s_xor_b64 exec, exec, s[36:37]
	s_cbranch_execnz .LBB274_154
.LBB274_23:                             ;   in Loop: Header=BB274_9 Depth=1
	s_or_b64 exec, exec, s[36:37]
	s_and_saveexec_b64 s[36:37], s[34:35]
	s_cbranch_execz .LBB274_25
.LBB274_24:                             ;   in Loop: Header=BB274_9 Depth=1
	v_bfe_u32 v28, v12, 24, 3
	v_ffbh_u32_e32 v26, v28
	v_min_u32_e32 v29, 32, v26
	v_subrev_u32_e32 v26, 28, v29
	v_bfe_u32 v12, v12, 27, 4
	v_lshlrev_b64 v[26:27], v26, v[2:3]
	v_sub_u32_e32 v27, 29, v29
	v_cmp_eq_u32_e64 s[0:1], 0, v12
	v_and_b32_e32 v26, 7, v26
	v_lshlrev_b32_e32 v2, 8, v2
	v_cndmask_b32_e64 v12, v12, v27, s[0:1]
	v_lshl_add_u32 v12, v12, 10, v20
	v_cndmask_b32_e64 v26, v28, v26, s[0:1]
	v_and_or_b32 v2, v2, s44, v12
	v_lshl_or_b32 v2, v26, 7, v2
	v_cvt_f32_f16_e32 v26, v2
.LBB274_25:                             ;   in Loop: Header=BB274_9 Depth=1
	s_or_b64 exec, exec, s[36:37]
	global_load_dword v12, v[10:11], off offset:8
	s_mov_b64 s[0:1], 0
                                        ; implicit-def: $sgpr38
	s_waitcnt vmcnt(0)
	v_cmp_gt_i16_sdwa s[34:35], v12, s42 src0_sel:BYTE_0 src1_sel:DWORD
	s_and_saveexec_b64 s[36:37], s[34:35]
	s_xor_b64 s[34:35], exec, s[36:37]
	s_cbranch_execnz .LBB274_155
; %bb.26:                               ;   in Loop: Header=BB274_9 Depth=1
	s_or_saveexec_b64 s[34:35], s[34:35]
	v_mov_b32_e32 v27, s38
	s_xor_b64 exec, exec, s[34:35]
	s_cbranch_execnz .LBB274_158
.LBB274_27:                             ;   in Loop: Header=BB274_9 Depth=1
	s_or_b64 exec, exec, s[34:35]
	s_and_saveexec_b64 s[34:35], s[0:1]
	s_cbranch_execz .LBB274_29
.LBB274_28:                             ;   in Loop: Header=BB274_9 Depth=1
	v_and_b32_e32 v2, 7, v12
	v_ffbh_u32_e32 v28, v2
	v_min_u32_e32 v30, 32, v28
	v_subrev_u32_e32 v28, 28, v30
	v_bfe_u32 v27, v12, 3, 4
	v_lshlrev_b64 v[28:29], v28, v[12:13]
	v_sub_u32_e32 v29, 29, v30
	v_cmp_eq_u32_e64 s[0:1], 0, v27
	v_and_b32_e32 v28, 7, v28
	s_nop 0
	v_cndmask_b32_e64 v27, v27, v29, s[0:1]
	v_cndmask_b32_e64 v2, v2, v28, s[0:1]
	v_lshlrev_b32_e32 v28, 8, v12
	v_lshl_add_u32 v27, v27, 10, v20
	v_and_or_b32 v27, v28, s44, v27
	v_lshl_or_b32 v2, v2, 7, v27
	v_cvt_f32_f16_e32 v27, v2
.LBB274_29:                             ;   in Loop: Header=BB274_9 Depth=1
	s_or_b64 exec, exec, s[34:35]
	v_lshrrev_b16_e32 v2, 8, v12
	v_cmp_lt_i16_e64 s[0:1], s42, v2
	s_mov_b64 s[34:35], 0
                                        ; implicit-def: $sgpr45
	s_and_saveexec_b64 s[36:37], s[0:1]
	s_xor_b64 s[36:37], exec, s[36:37]
	s_cbranch_execnz .LBB274_159
; %bb.30:                               ;   in Loop: Header=BB274_9 Depth=1
	s_or_saveexec_b64 s[36:37], s[36:37]
	v_mov_b32_e32 v28, s45
	s_xor_b64 exec, exec, s[36:37]
	s_cbranch_execnz .LBB274_162
.LBB274_31:                             ;   in Loop: Header=BB274_9 Depth=1
	s_or_b64 exec, exec, s[36:37]
	s_and_saveexec_b64 s[36:37], s[34:35]
	s_cbranch_execz .LBB274_33
.LBB274_32:                             ;   in Loop: Header=BB274_9 Depth=1
	v_and_b32_e32 v30, 7, v2
	v_ffbh_u32_e32 v28, v30
	v_min_u32_e32 v32, 32, v28
	v_subrev_u32_e32 v28, 28, v32
	v_bfe_u32 v31, v2, 3, 4
	v_lshlrev_b64 v[28:29], v28, v[2:3]
	v_sub_u32_e32 v29, 29, v32
	v_cmp_eq_u32_e64 s[0:1], 0, v31
	v_and_b32_e32 v28, 7, v28
	v_lshlrev_b32_e32 v2, 8, v2
	v_cndmask_b32_e64 v29, v31, v29, s[0:1]
	v_lshl_add_u32 v29, v29, 10, v20
	v_cndmask_b32_e64 v28, v30, v28, s[0:1]
	v_and_or_b32 v2, v2, s44, v29
	v_lshl_or_b32 v2, v28, 7, v2
	v_cvt_f32_f16_e32 v28, v2
.LBB274_33:                             ;   in Loop: Header=BB274_9 Depth=1
	s_or_b64 exec, exec, s[36:37]
	v_lshrrev_b32_e32 v2, 16, v12
	v_cmp_gt_i16_sdwa s[34:35], v2, s42 src0_sel:BYTE_0 src1_sel:DWORD
	s_mov_b64 s[0:1], 0
                                        ; implicit-def: $sgpr38
	s_and_saveexec_b64 s[36:37], s[34:35]
	s_xor_b64 s[34:35], exec, s[36:37]
	s_cbranch_execnz .LBB274_163
; %bb.34:                               ;   in Loop: Header=BB274_9 Depth=1
	s_or_saveexec_b64 s[34:35], s[34:35]
	v_mov_b32_e32 v29, s38
	s_xor_b64 exec, exec, s[34:35]
	s_cbranch_execnz .LBB274_166
.LBB274_35:                             ;   in Loop: Header=BB274_9 Depth=1
	s_or_b64 exec, exec, s[34:35]
	s_and_saveexec_b64 s[34:35], s[0:1]
	s_cbranch_execz .LBB274_37
.LBB274_36:                             ;   in Loop: Header=BB274_9 Depth=1
	v_bfe_u32 v29, v12, 16, 3
	v_ffbh_u32_e32 v30, v29
	v_min_u32_e32 v33, 32, v30
	v_subrev_u32_e32 v30, 28, v33
	v_bfe_u32 v32, v12, 19, 4
	v_lshlrev_b64 v[30:31], v30, v[2:3]
	v_sub_u32_e32 v31, 29, v33
	v_cmp_eq_u32_e64 s[0:1], 0, v32
	v_and_b32_e32 v30, 7, v30
	v_lshlrev_b32_e32 v2, 8, v2
	v_cndmask_b32_e64 v31, v32, v31, s[0:1]
	v_cndmask_b32_e64 v29, v29, v30, s[0:1]
	v_lshl_add_u32 v30, v31, 10, v20
	v_and_or_b32 v2, v2, s44, v30
	v_lshl_or_b32 v2, v29, 7, v2
	v_cvt_f32_f16_e32 v29, v2
.LBB274_37:                             ;   in Loop: Header=BB274_9 Depth=1
	s_or_b64 exec, exec, s[34:35]
	v_lshrrev_b32_e32 v2, 24, v12
	v_cmp_lt_i16_e64 s[0:1], s42, v2
	s_mov_b64 s[34:35], 0
                                        ; implicit-def: $sgpr45
	s_and_saveexec_b64 s[36:37], s[0:1]
	s_xor_b64 s[36:37], exec, s[36:37]
	s_cbranch_execnz .LBB274_167
; %bb.38:                               ;   in Loop: Header=BB274_9 Depth=1
	s_or_saveexec_b64 s[36:37], s[36:37]
	v_mov_b32_e32 v30, s45
	s_xor_b64 exec, exec, s[36:37]
	s_cbranch_execnz .LBB274_170
.LBB274_39:                             ;   in Loop: Header=BB274_9 Depth=1
	s_or_b64 exec, exec, s[36:37]
	s_and_saveexec_b64 s[36:37], s[34:35]
	s_cbranch_execz .LBB274_41
.LBB274_40:                             ;   in Loop: Header=BB274_9 Depth=1
	v_bfe_u32 v32, v12, 24, 3
	v_ffbh_u32_e32 v30, v32
	v_min_u32_e32 v33, 32, v30
	v_subrev_u32_e32 v30, 28, v33
	v_bfe_u32 v12, v12, 27, 4
	v_lshlrev_b64 v[30:31], v30, v[2:3]
	v_sub_u32_e32 v31, 29, v33
	v_cmp_eq_u32_e64 s[0:1], 0, v12
	v_and_b32_e32 v30, 7, v30
	v_lshlrev_b32_e32 v2, 8, v2
	v_cndmask_b32_e64 v12, v12, v31, s[0:1]
	v_lshl_add_u32 v12, v12, 10, v20
	v_cndmask_b32_e64 v30, v32, v30, s[0:1]
	v_and_or_b32 v2, v2, s44, v12
	v_lshl_or_b32 v2, v30, 7, v2
	v_cvt_f32_f16_e32 v30, v2
.LBB274_41:                             ;   in Loop: Header=BB274_9 Depth=1
	s_or_b64 exec, exec, s[36:37]
	global_load_dword v12, v[10:11], off offset:512
	s_mov_b64 s[0:1], 0
                                        ; implicit-def: $sgpr38
	s_waitcnt vmcnt(0)
	v_cmp_gt_i16_sdwa s[34:35], v12, s42 src0_sel:BYTE_0 src1_sel:DWORD
	s_and_saveexec_b64 s[36:37], s[34:35]
	s_xor_b64 s[34:35], exec, s[36:37]
	s_cbranch_execnz .LBB274_171
; %bb.42:                               ;   in Loop: Header=BB274_9 Depth=1
	s_or_saveexec_b64 s[34:35], s[34:35]
	v_mov_b32_e32 v31, s38
	s_xor_b64 exec, exec, s[34:35]
	s_cbranch_execnz .LBB274_174
.LBB274_43:                             ;   in Loop: Header=BB274_9 Depth=1
	s_or_b64 exec, exec, s[34:35]
	s_and_saveexec_b64 s[34:35], s[0:1]
	s_cbranch_execz .LBB274_45
.LBB274_44:                             ;   in Loop: Header=BB274_9 Depth=1
	v_and_b32_e32 v2, 7, v12
	v_ffbh_u32_e32 v32, v2
	v_min_u32_e32 v34, 32, v32
	v_subrev_u32_e32 v32, 28, v34
	v_bfe_u32 v31, v12, 3, 4
	v_lshlrev_b64 v[32:33], v32, v[12:13]
	v_sub_u32_e32 v33, 29, v34
	v_cmp_eq_u32_e64 s[0:1], 0, v31
	v_and_b32_e32 v32, 7, v32
	s_nop 0
	v_cndmask_b32_e64 v31, v31, v33, s[0:1]
	v_cndmask_b32_e64 v2, v2, v32, s[0:1]
	v_lshlrev_b32_e32 v32, 8, v12
	v_lshl_add_u32 v31, v31, 10, v20
	v_and_or_b32 v31, v32, s44, v31
	v_lshl_or_b32 v2, v2, 7, v31
	v_cvt_f32_f16_e32 v31, v2
.LBB274_45:                             ;   in Loop: Header=BB274_9 Depth=1
	s_or_b64 exec, exec, s[34:35]
	v_lshrrev_b16_e32 v2, 8, v12
	v_cmp_lt_i16_e64 s[0:1], s42, v2
	s_mov_b64 s[34:35], 0
                                        ; implicit-def: $sgpr45
	s_and_saveexec_b64 s[36:37], s[0:1]
	s_xor_b64 s[36:37], exec, s[36:37]
	s_cbranch_execnz .LBB274_175
; %bb.46:                               ;   in Loop: Header=BB274_9 Depth=1
	s_or_saveexec_b64 s[36:37], s[36:37]
	v_mov_b32_e32 v32, s45
	s_xor_b64 exec, exec, s[36:37]
	s_cbranch_execnz .LBB274_178
.LBB274_47:                             ;   in Loop: Header=BB274_9 Depth=1
	s_or_b64 exec, exec, s[36:37]
	s_and_saveexec_b64 s[36:37], s[34:35]
	s_cbranch_execz .LBB274_49
.LBB274_48:                             ;   in Loop: Header=BB274_9 Depth=1
	v_and_b32_e32 v34, 7, v2
	v_ffbh_u32_e32 v32, v34
	v_min_u32_e32 v36, 32, v32
	v_subrev_u32_e32 v32, 28, v36
	v_bfe_u32 v35, v2, 3, 4
	v_lshlrev_b64 v[32:33], v32, v[2:3]
	v_sub_u32_e32 v33, 29, v36
	v_cmp_eq_u32_e64 s[0:1], 0, v35
	v_and_b32_e32 v32, 7, v32
	v_lshlrev_b32_e32 v2, 8, v2
	v_cndmask_b32_e64 v33, v35, v33, s[0:1]
	v_lshl_add_u32 v33, v33, 10, v20
	v_cndmask_b32_e64 v32, v34, v32, s[0:1]
	v_and_or_b32 v2, v2, s44, v33
	v_lshl_or_b32 v2, v32, 7, v2
	v_cvt_f32_f16_e32 v32, v2
.LBB274_49:                             ;   in Loop: Header=BB274_9 Depth=1
	s_or_b64 exec, exec, s[36:37]
	v_lshrrev_b32_e32 v2, 16, v12
	v_cmp_gt_i16_sdwa s[34:35], v2, s42 src0_sel:BYTE_0 src1_sel:DWORD
	s_mov_b64 s[0:1], 0
                                        ; implicit-def: $sgpr38
	s_and_saveexec_b64 s[36:37], s[34:35]
	s_xor_b64 s[34:35], exec, s[36:37]
	s_cbranch_execnz .LBB274_179
; %bb.50:                               ;   in Loop: Header=BB274_9 Depth=1
	s_or_saveexec_b64 s[34:35], s[34:35]
	v_mov_b32_e32 v33, s38
	s_xor_b64 exec, exec, s[34:35]
	s_cbranch_execnz .LBB274_182
.LBB274_51:                             ;   in Loop: Header=BB274_9 Depth=1
	s_or_b64 exec, exec, s[34:35]
	s_and_saveexec_b64 s[34:35], s[0:1]
	s_cbranch_execz .LBB274_53
.LBB274_52:                             ;   in Loop: Header=BB274_9 Depth=1
	v_bfe_u32 v33, v12, 16, 3
	v_ffbh_u32_e32 v34, v33
	v_min_u32_e32 v37, 32, v34
	v_subrev_u32_e32 v34, 28, v37
	v_bfe_u32 v36, v12, 19, 4
	v_lshlrev_b64 v[34:35], v34, v[2:3]
	v_sub_u32_e32 v35, 29, v37
	v_cmp_eq_u32_e64 s[0:1], 0, v36
	v_and_b32_e32 v34, 7, v34
	v_lshlrev_b32_e32 v2, 8, v2
	v_cndmask_b32_e64 v35, v36, v35, s[0:1]
	v_cndmask_b32_e64 v33, v33, v34, s[0:1]
	v_lshl_add_u32 v34, v35, 10, v20
	v_and_or_b32 v2, v2, s44, v34
	v_lshl_or_b32 v2, v33, 7, v2
	v_cvt_f32_f16_e32 v33, v2
.LBB274_53:                             ;   in Loop: Header=BB274_9 Depth=1
	s_or_b64 exec, exec, s[34:35]
	v_lshrrev_b32_e32 v2, 24, v12
	v_cmp_lt_i16_e64 s[0:1], s42, v2
	s_mov_b64 s[34:35], 0
                                        ; implicit-def: $sgpr45
	s_and_saveexec_b64 s[36:37], s[0:1]
	s_xor_b64 s[36:37], exec, s[36:37]
	s_cbranch_execnz .LBB274_183
; %bb.54:                               ;   in Loop: Header=BB274_9 Depth=1
	s_or_saveexec_b64 s[36:37], s[36:37]
	v_mov_b32_e32 v34, s45
	s_xor_b64 exec, exec, s[36:37]
	s_cbranch_execnz .LBB274_186
.LBB274_55:                             ;   in Loop: Header=BB274_9 Depth=1
	s_or_b64 exec, exec, s[36:37]
	s_and_saveexec_b64 s[36:37], s[34:35]
	s_cbranch_execz .LBB274_57
.LBB274_56:                             ;   in Loop: Header=BB274_9 Depth=1
	v_bfe_u32 v36, v12, 24, 3
	v_ffbh_u32_e32 v34, v36
	v_min_u32_e32 v37, 32, v34
	v_subrev_u32_e32 v34, 28, v37
	v_bfe_u32 v12, v12, 27, 4
	v_lshlrev_b64 v[34:35], v34, v[2:3]
	v_sub_u32_e32 v35, 29, v37
	v_cmp_eq_u32_e64 s[0:1], 0, v12
	v_and_b32_e32 v34, 7, v34
	v_lshlrev_b32_e32 v2, 8, v2
	v_cndmask_b32_e64 v12, v12, v35, s[0:1]
	v_lshl_add_u32 v12, v12, 10, v20
	v_cndmask_b32_e64 v34, v36, v34, s[0:1]
	v_and_or_b32 v2, v2, s44, v12
	v_lshl_or_b32 v2, v34, 7, v2
	v_cvt_f32_f16_e32 v34, v2
.LBB274_57:                             ;   in Loop: Header=BB274_9 Depth=1
	s_or_b64 exec, exec, s[36:37]
	global_load_dword v12, v[10:11], off offset:520
	s_mov_b64 s[0:1], 0
                                        ; implicit-def: $sgpr38
	s_waitcnt vmcnt(0)
	v_cmp_gt_i16_sdwa s[34:35], v12, s42 src0_sel:BYTE_0 src1_sel:DWORD
	s_and_saveexec_b64 s[36:37], s[34:35]
	s_xor_b64 s[34:35], exec, s[36:37]
	s_cbranch_execnz .LBB274_187
; %bb.58:                               ;   in Loop: Header=BB274_9 Depth=1
	s_or_saveexec_b64 s[34:35], s[34:35]
	v_mov_b32_e32 v35, s38
	s_xor_b64 exec, exec, s[34:35]
	s_cbranch_execnz .LBB274_190
.LBB274_59:                             ;   in Loop: Header=BB274_9 Depth=1
	s_or_b64 exec, exec, s[34:35]
	s_and_saveexec_b64 s[34:35], s[0:1]
	s_cbranch_execz .LBB274_61
.LBB274_60:                             ;   in Loop: Header=BB274_9 Depth=1
	v_and_b32_e32 v2, 7, v12
	v_ffbh_u32_e32 v36, v2
	v_min_u32_e32 v38, 32, v36
	v_subrev_u32_e32 v36, 28, v38
	v_bfe_u32 v35, v12, 3, 4
	v_lshlrev_b64 v[36:37], v36, v[12:13]
	v_sub_u32_e32 v37, 29, v38
	v_cmp_eq_u32_e64 s[0:1], 0, v35
	v_and_b32_e32 v36, 7, v36
	s_nop 0
	v_cndmask_b32_e64 v35, v35, v37, s[0:1]
	v_cndmask_b32_e64 v2, v2, v36, s[0:1]
	v_lshlrev_b32_e32 v36, 8, v12
	v_lshl_add_u32 v35, v35, 10, v20
	v_and_or_b32 v35, v36, s44, v35
	v_lshl_or_b32 v2, v2, 7, v35
	v_cvt_f32_f16_e32 v35, v2
.LBB274_61:                             ;   in Loop: Header=BB274_9 Depth=1
	s_or_b64 exec, exec, s[34:35]
	v_lshrrev_b16_e32 v2, 8, v12
	v_cmp_lt_i16_e64 s[0:1], s42, v2
	s_mov_b64 s[34:35], 0
                                        ; implicit-def: $sgpr45
	s_and_saveexec_b64 s[36:37], s[0:1]
	s_xor_b64 s[36:37], exec, s[36:37]
	s_cbranch_execnz .LBB274_191
; %bb.62:                               ;   in Loop: Header=BB274_9 Depth=1
	s_or_saveexec_b64 s[36:37], s[36:37]
	v_mov_b32_e32 v36, s45
	s_xor_b64 exec, exec, s[36:37]
	s_cbranch_execnz .LBB274_194
.LBB274_63:                             ;   in Loop: Header=BB274_9 Depth=1
	s_or_b64 exec, exec, s[36:37]
	s_and_saveexec_b64 s[36:37], s[34:35]
	s_cbranch_execz .LBB274_65
.LBB274_64:                             ;   in Loop: Header=BB274_9 Depth=1
	v_and_b32_e32 v38, 7, v2
	v_ffbh_u32_e32 v36, v38
	v_min_u32_e32 v40, 32, v36
	v_subrev_u32_e32 v36, 28, v40
	v_bfe_u32 v39, v2, 3, 4
	v_lshlrev_b64 v[36:37], v36, v[2:3]
	v_sub_u32_e32 v37, 29, v40
	v_cmp_eq_u32_e64 s[0:1], 0, v39
	v_and_b32_e32 v36, 7, v36
	v_lshlrev_b32_e32 v2, 8, v2
	v_cndmask_b32_e64 v37, v39, v37, s[0:1]
	v_lshl_add_u32 v37, v37, 10, v20
	v_cndmask_b32_e64 v36, v38, v36, s[0:1]
	v_and_or_b32 v2, v2, s44, v37
	v_lshl_or_b32 v2, v36, 7, v2
	v_cvt_f32_f16_e32 v36, v2
.LBB274_65:                             ;   in Loop: Header=BB274_9 Depth=1
	s_or_b64 exec, exec, s[36:37]
	v_lshrrev_b32_e32 v2, 16, v12
	v_cmp_gt_i16_sdwa s[34:35], v2, s42 src0_sel:BYTE_0 src1_sel:DWORD
	s_mov_b64 s[0:1], 0
                                        ; implicit-def: $sgpr38
	s_and_saveexec_b64 s[36:37], s[34:35]
	s_xor_b64 s[34:35], exec, s[36:37]
	s_cbranch_execnz .LBB274_195
; %bb.66:                               ;   in Loop: Header=BB274_9 Depth=1
	s_or_saveexec_b64 s[34:35], s[34:35]
	v_mov_b32_e32 v37, s38
	s_xor_b64 exec, exec, s[34:35]
	s_cbranch_execnz .LBB274_198
.LBB274_67:                             ;   in Loop: Header=BB274_9 Depth=1
	s_or_b64 exec, exec, s[34:35]
	s_and_saveexec_b64 s[34:35], s[0:1]
	s_cbranch_execz .LBB274_69
.LBB274_68:                             ;   in Loop: Header=BB274_9 Depth=1
	v_bfe_u32 v37, v12, 16, 3
	v_ffbh_u32_e32 v38, v37
	v_min_u32_e32 v41, 32, v38
	v_subrev_u32_e32 v38, 28, v41
	v_bfe_u32 v40, v12, 19, 4
	v_lshlrev_b64 v[38:39], v38, v[2:3]
	v_sub_u32_e32 v39, 29, v41
	v_cmp_eq_u32_e64 s[0:1], 0, v40
	v_and_b32_e32 v38, 7, v38
	v_lshlrev_b32_e32 v2, 8, v2
	v_cndmask_b32_e64 v39, v40, v39, s[0:1]
	v_cndmask_b32_e64 v37, v37, v38, s[0:1]
	v_lshl_add_u32 v38, v39, 10, v20
	v_and_or_b32 v2, v2, s44, v38
	v_lshl_or_b32 v2, v37, 7, v2
	v_cvt_f32_f16_e32 v37, v2
.LBB274_69:                             ;   in Loop: Header=BB274_9 Depth=1
	s_or_b64 exec, exec, s[34:35]
	v_lshrrev_b32_e32 v2, 24, v12
	v_cmp_lt_i16_e64 s[0:1], s42, v2
	s_mov_b64 s[34:35], 0
                                        ; implicit-def: $sgpr45
	s_and_saveexec_b64 s[36:37], s[0:1]
	s_xor_b64 s[36:37], exec, s[36:37]
	s_cbranch_execnz .LBB274_199
; %bb.70:                               ;   in Loop: Header=BB274_9 Depth=1
	s_or_saveexec_b64 s[36:37], s[36:37]
	v_mov_b32_e32 v38, s45
	s_xor_b64 exec, exec, s[36:37]
	s_cbranch_execnz .LBB274_202
.LBB274_71:                             ;   in Loop: Header=BB274_9 Depth=1
	s_or_b64 exec, exec, s[36:37]
	s_and_saveexec_b64 s[36:37], s[34:35]
	s_cbranch_execz .LBB274_73
.LBB274_72:                             ;   in Loop: Header=BB274_9 Depth=1
	v_bfe_u32 v40, v12, 24, 3
	v_ffbh_u32_e32 v38, v40
	v_min_u32_e32 v41, 32, v38
	v_subrev_u32_e32 v38, 28, v41
	v_bfe_u32 v12, v12, 27, 4
	v_lshlrev_b64 v[38:39], v38, v[2:3]
	v_sub_u32_e32 v39, 29, v41
	v_cmp_eq_u32_e64 s[0:1], 0, v12
	v_and_b32_e32 v38, 7, v38
	v_lshlrev_b32_e32 v2, 8, v2
	v_cndmask_b32_e64 v12, v12, v39, s[0:1]
	v_lshl_add_u32 v12, v12, 10, v20
	v_cndmask_b32_e64 v38, v40, v38, s[0:1]
	v_and_or_b32 v2, v2, s44, v12
	v_lshl_or_b32 v2, v38, 7, v2
	v_cvt_f32_f16_e32 v38, v2
.LBB274_73:                             ;   in Loop: Header=BB274_9 Depth=1
	s_or_b64 exec, exec, s[36:37]
	global_load_dword v12, v[10:11], off offset:1024
	s_mov_b64 s[0:1], 0
                                        ; implicit-def: $sgpr38
	s_waitcnt vmcnt(0)
	v_cmp_gt_i16_sdwa s[34:35], v12, s42 src0_sel:BYTE_0 src1_sel:DWORD
	s_and_saveexec_b64 s[36:37], s[34:35]
	s_xor_b64 s[34:35], exec, s[36:37]
	s_cbranch_execnz .LBB274_203
; %bb.74:                               ;   in Loop: Header=BB274_9 Depth=1
	s_or_saveexec_b64 s[34:35], s[34:35]
	v_mov_b32_e32 v39, s38
	s_xor_b64 exec, exec, s[34:35]
	s_cbranch_execnz .LBB274_206
.LBB274_75:                             ;   in Loop: Header=BB274_9 Depth=1
	s_or_b64 exec, exec, s[34:35]
	s_and_saveexec_b64 s[34:35], s[0:1]
	s_cbranch_execz .LBB274_77
.LBB274_76:                             ;   in Loop: Header=BB274_9 Depth=1
	v_and_b32_e32 v2, 7, v12
	v_ffbh_u32_e32 v40, v2
	v_min_u32_e32 v42, 32, v40
	v_subrev_u32_e32 v40, 28, v42
	v_bfe_u32 v39, v12, 3, 4
	v_lshlrev_b64 v[40:41], v40, v[12:13]
	v_sub_u32_e32 v41, 29, v42
	v_cmp_eq_u32_e64 s[0:1], 0, v39
	v_and_b32_e32 v40, 7, v40
	s_nop 0
	v_cndmask_b32_e64 v39, v39, v41, s[0:1]
	v_cndmask_b32_e64 v2, v2, v40, s[0:1]
	v_lshlrev_b32_e32 v40, 8, v12
	v_lshl_add_u32 v39, v39, 10, v20
	v_and_or_b32 v39, v40, s44, v39
	v_lshl_or_b32 v2, v2, 7, v39
	v_cvt_f32_f16_e32 v39, v2
.LBB274_77:                             ;   in Loop: Header=BB274_9 Depth=1
	s_or_b64 exec, exec, s[34:35]
	v_lshrrev_b16_e32 v2, 8, v12
	v_cmp_lt_i16_e64 s[0:1], s42, v2
	s_mov_b64 s[34:35], 0
                                        ; implicit-def: $sgpr45
	s_and_saveexec_b64 s[36:37], s[0:1]
	s_xor_b64 s[36:37], exec, s[36:37]
	s_cbranch_execnz .LBB274_207
; %bb.78:                               ;   in Loop: Header=BB274_9 Depth=1
	s_or_saveexec_b64 s[36:37], s[36:37]
	v_mov_b32_e32 v40, s45
	s_xor_b64 exec, exec, s[36:37]
	s_cbranch_execnz .LBB274_210
.LBB274_79:                             ;   in Loop: Header=BB274_9 Depth=1
	s_or_b64 exec, exec, s[36:37]
	s_and_saveexec_b64 s[36:37], s[34:35]
	s_cbranch_execz .LBB274_81
.LBB274_80:                             ;   in Loop: Header=BB274_9 Depth=1
	v_and_b32_e32 v42, 7, v2
	v_ffbh_u32_e32 v40, v42
	v_min_u32_e32 v44, 32, v40
	v_subrev_u32_e32 v40, 28, v44
	v_bfe_u32 v43, v2, 3, 4
	v_lshlrev_b64 v[40:41], v40, v[2:3]
	v_sub_u32_e32 v41, 29, v44
	v_cmp_eq_u32_e64 s[0:1], 0, v43
	v_and_b32_e32 v40, 7, v40
	v_lshlrev_b32_e32 v2, 8, v2
	v_cndmask_b32_e64 v41, v43, v41, s[0:1]
	v_lshl_add_u32 v41, v41, 10, v20
	v_cndmask_b32_e64 v40, v42, v40, s[0:1]
	v_and_or_b32 v2, v2, s44, v41
	v_lshl_or_b32 v2, v40, 7, v2
	v_cvt_f32_f16_e32 v40, v2
.LBB274_81:                             ;   in Loop: Header=BB274_9 Depth=1
	s_or_b64 exec, exec, s[36:37]
	v_lshrrev_b32_e32 v2, 16, v12
	v_cmp_gt_i16_sdwa s[34:35], v2, s42 src0_sel:BYTE_0 src1_sel:DWORD
	s_mov_b64 s[0:1], 0
                                        ; implicit-def: $sgpr38
	s_and_saveexec_b64 s[36:37], s[34:35]
	s_xor_b64 s[34:35], exec, s[36:37]
	s_cbranch_execnz .LBB274_211
; %bb.82:                               ;   in Loop: Header=BB274_9 Depth=1
	s_or_saveexec_b64 s[34:35], s[34:35]
	v_mov_b32_e32 v41, s38
	s_xor_b64 exec, exec, s[34:35]
	s_cbranch_execnz .LBB274_214
.LBB274_83:                             ;   in Loop: Header=BB274_9 Depth=1
	s_or_b64 exec, exec, s[34:35]
	s_and_saveexec_b64 s[34:35], s[0:1]
	s_cbranch_execz .LBB274_85
.LBB274_84:                             ;   in Loop: Header=BB274_9 Depth=1
	v_bfe_u32 v41, v12, 16, 3
	v_ffbh_u32_e32 v42, v41
	v_min_u32_e32 v45, 32, v42
	v_subrev_u32_e32 v42, 28, v45
	v_bfe_u32 v44, v12, 19, 4
	v_lshlrev_b64 v[42:43], v42, v[2:3]
	v_sub_u32_e32 v43, 29, v45
	v_cmp_eq_u32_e64 s[0:1], 0, v44
	v_and_b32_e32 v42, 7, v42
	v_lshlrev_b32_e32 v2, 8, v2
	v_cndmask_b32_e64 v43, v44, v43, s[0:1]
	v_cndmask_b32_e64 v41, v41, v42, s[0:1]
	v_lshl_add_u32 v42, v43, 10, v20
	v_and_or_b32 v2, v2, s44, v42
	v_lshl_or_b32 v2, v41, 7, v2
	v_cvt_f32_f16_e32 v41, v2
.LBB274_85:                             ;   in Loop: Header=BB274_9 Depth=1
	s_or_b64 exec, exec, s[34:35]
	v_lshrrev_b32_e32 v2, 24, v12
	v_cmp_lt_i16_e64 s[0:1], s42, v2
	s_mov_b64 s[34:35], 0
                                        ; implicit-def: $sgpr45
	s_and_saveexec_b64 s[36:37], s[0:1]
	s_xor_b64 s[36:37], exec, s[36:37]
	s_cbranch_execnz .LBB274_215
; %bb.86:                               ;   in Loop: Header=BB274_9 Depth=1
	s_or_saveexec_b64 s[36:37], s[36:37]
	v_mov_b32_e32 v42, s45
	s_xor_b64 exec, exec, s[36:37]
	s_cbranch_execnz .LBB274_218
.LBB274_87:                             ;   in Loop: Header=BB274_9 Depth=1
	s_or_b64 exec, exec, s[36:37]
	s_and_saveexec_b64 s[36:37], s[34:35]
	s_cbranch_execz .LBB274_89
.LBB274_88:                             ;   in Loop: Header=BB274_9 Depth=1
	v_bfe_u32 v44, v12, 24, 3
	v_ffbh_u32_e32 v42, v44
	v_min_u32_e32 v45, 32, v42
	v_subrev_u32_e32 v42, 28, v45
	v_bfe_u32 v12, v12, 27, 4
	v_lshlrev_b64 v[42:43], v42, v[2:3]
	v_sub_u32_e32 v43, 29, v45
	v_cmp_eq_u32_e64 s[0:1], 0, v12
	v_and_b32_e32 v42, 7, v42
	v_lshlrev_b32_e32 v2, 8, v2
	v_cndmask_b32_e64 v12, v12, v43, s[0:1]
	v_lshl_add_u32 v12, v12, 10, v20
	v_cndmask_b32_e64 v42, v44, v42, s[0:1]
	v_and_or_b32 v2, v2, s44, v12
	v_lshl_or_b32 v2, v42, 7, v2
	v_cvt_f32_f16_e32 v42, v2
.LBB274_89:                             ;   in Loop: Header=BB274_9 Depth=1
	s_or_b64 exec, exec, s[36:37]
	global_load_dword v12, v[10:11], off offset:1032
	s_mov_b64 s[0:1], 0
                                        ; implicit-def: $sgpr38
	s_waitcnt vmcnt(0)
	v_cmp_gt_i16_sdwa s[34:35], v12, s42 src0_sel:BYTE_0 src1_sel:DWORD
	s_and_saveexec_b64 s[36:37], s[34:35]
	s_xor_b64 s[34:35], exec, s[36:37]
	s_cbranch_execnz .LBB274_219
; %bb.90:                               ;   in Loop: Header=BB274_9 Depth=1
	s_or_saveexec_b64 s[34:35], s[34:35]
	v_mov_b32_e32 v43, s38
	s_xor_b64 exec, exec, s[34:35]
	s_cbranch_execnz .LBB274_222
.LBB274_91:                             ;   in Loop: Header=BB274_9 Depth=1
	s_or_b64 exec, exec, s[34:35]
	s_and_saveexec_b64 s[34:35], s[0:1]
	s_cbranch_execz .LBB274_93
.LBB274_92:                             ;   in Loop: Header=BB274_9 Depth=1
	v_and_b32_e32 v2, 7, v12
	v_ffbh_u32_e32 v44, v2
	v_min_u32_e32 v46, 32, v44
	v_subrev_u32_e32 v44, 28, v46
	v_bfe_u32 v43, v12, 3, 4
	v_lshlrev_b64 v[44:45], v44, v[12:13]
	v_sub_u32_e32 v45, 29, v46
	v_cmp_eq_u32_e64 s[0:1], 0, v43
	v_and_b32_e32 v44, 7, v44
	s_nop 0
	v_cndmask_b32_e64 v43, v43, v45, s[0:1]
	v_cndmask_b32_e64 v2, v2, v44, s[0:1]
	v_lshlrev_b32_e32 v44, 8, v12
	v_lshl_add_u32 v43, v43, 10, v20
	v_and_or_b32 v43, v44, s44, v43
	v_lshl_or_b32 v2, v2, 7, v43
	v_cvt_f32_f16_e32 v43, v2
.LBB274_93:                             ;   in Loop: Header=BB274_9 Depth=1
	s_or_b64 exec, exec, s[34:35]
	v_lshrrev_b16_e32 v2, 8, v12
	v_cmp_lt_i16_e64 s[0:1], s42, v2
	s_mov_b64 s[34:35], 0
                                        ; implicit-def: $sgpr45
	s_and_saveexec_b64 s[36:37], s[0:1]
	s_xor_b64 s[36:37], exec, s[36:37]
	s_cbranch_execnz .LBB274_223
; %bb.94:                               ;   in Loop: Header=BB274_9 Depth=1
	s_or_saveexec_b64 s[36:37], s[36:37]
	v_mov_b32_e32 v44, s45
	s_xor_b64 exec, exec, s[36:37]
	s_cbranch_execnz .LBB274_226
.LBB274_95:                             ;   in Loop: Header=BB274_9 Depth=1
	s_or_b64 exec, exec, s[36:37]
	s_and_saveexec_b64 s[36:37], s[34:35]
	s_cbranch_execz .LBB274_97
.LBB274_96:                             ;   in Loop: Header=BB274_9 Depth=1
	v_and_b32_e32 v46, 7, v2
	v_ffbh_u32_e32 v44, v46
	v_min_u32_e32 v48, 32, v44
	v_subrev_u32_e32 v44, 28, v48
	v_bfe_u32 v47, v2, 3, 4
	v_lshlrev_b64 v[44:45], v44, v[2:3]
	v_sub_u32_e32 v45, 29, v48
	v_cmp_eq_u32_e64 s[0:1], 0, v47
	v_and_b32_e32 v44, 7, v44
	v_lshlrev_b32_e32 v2, 8, v2
	v_cndmask_b32_e64 v45, v47, v45, s[0:1]
	v_lshl_add_u32 v45, v45, 10, v20
	v_cndmask_b32_e64 v44, v46, v44, s[0:1]
	v_and_or_b32 v2, v2, s44, v45
	v_lshl_or_b32 v2, v44, 7, v2
	v_cvt_f32_f16_e32 v44, v2
.LBB274_97:                             ;   in Loop: Header=BB274_9 Depth=1
	s_or_b64 exec, exec, s[36:37]
	v_lshrrev_b32_e32 v2, 16, v12
	v_cmp_gt_i16_sdwa s[34:35], v2, s42 src0_sel:BYTE_0 src1_sel:DWORD
	s_mov_b64 s[0:1], 0
                                        ; implicit-def: $sgpr38
	s_and_saveexec_b64 s[36:37], s[34:35]
	s_xor_b64 s[34:35], exec, s[36:37]
	s_cbranch_execnz .LBB274_227
; %bb.98:                               ;   in Loop: Header=BB274_9 Depth=1
	s_or_saveexec_b64 s[34:35], s[34:35]
	v_mov_b32_e32 v45, s38
	s_xor_b64 exec, exec, s[34:35]
	s_cbranch_execnz .LBB274_230
.LBB274_99:                             ;   in Loop: Header=BB274_9 Depth=1
	s_or_b64 exec, exec, s[34:35]
	s_and_saveexec_b64 s[34:35], s[0:1]
	s_cbranch_execz .LBB274_101
.LBB274_100:                            ;   in Loop: Header=BB274_9 Depth=1
	v_bfe_u32 v45, v12, 16, 3
	v_ffbh_u32_e32 v46, v45
	v_min_u32_e32 v49, 32, v46
	v_subrev_u32_e32 v46, 28, v49
	v_bfe_u32 v48, v12, 19, 4
	v_lshlrev_b64 v[46:47], v46, v[2:3]
	v_sub_u32_e32 v47, 29, v49
	v_cmp_eq_u32_e64 s[0:1], 0, v48
	v_and_b32_e32 v46, 7, v46
	v_lshlrev_b32_e32 v2, 8, v2
	v_cndmask_b32_e64 v47, v48, v47, s[0:1]
	v_cndmask_b32_e64 v45, v45, v46, s[0:1]
	v_lshl_add_u32 v46, v47, 10, v20
	v_and_or_b32 v2, v2, s44, v46
	v_lshl_or_b32 v2, v45, 7, v2
	v_cvt_f32_f16_e32 v45, v2
.LBB274_101:                            ;   in Loop: Header=BB274_9 Depth=1
	s_or_b64 exec, exec, s[34:35]
	v_lshrrev_b32_e32 v2, 24, v12
	v_cmp_lt_i16_e64 s[0:1], s42, v2
	s_mov_b64 s[34:35], 0
                                        ; implicit-def: $sgpr45
	s_and_saveexec_b64 s[36:37], s[0:1]
	s_xor_b64 s[36:37], exec, s[36:37]
	s_cbranch_execnz .LBB274_231
; %bb.102:                              ;   in Loop: Header=BB274_9 Depth=1
	s_or_saveexec_b64 s[36:37], s[36:37]
	v_mov_b32_e32 v46, s45
	s_xor_b64 exec, exec, s[36:37]
	s_cbranch_execnz .LBB274_234
.LBB274_103:                            ;   in Loop: Header=BB274_9 Depth=1
	s_or_b64 exec, exec, s[36:37]
	s_and_saveexec_b64 s[36:37], s[34:35]
	s_cbranch_execz .LBB274_105
.LBB274_104:                            ;   in Loop: Header=BB274_9 Depth=1
	v_bfe_u32 v48, v12, 24, 3
	v_ffbh_u32_e32 v46, v48
	v_min_u32_e32 v49, 32, v46
	v_subrev_u32_e32 v46, 28, v49
	v_bfe_u32 v12, v12, 27, 4
	v_lshlrev_b64 v[46:47], v46, v[2:3]
	v_sub_u32_e32 v47, 29, v49
	v_cmp_eq_u32_e64 s[0:1], 0, v12
	v_and_b32_e32 v46, 7, v46
	v_lshlrev_b32_e32 v2, 8, v2
	v_cndmask_b32_e64 v12, v12, v47, s[0:1]
	v_lshl_add_u32 v12, v12, 10, v20
	v_cndmask_b32_e64 v46, v48, v46, s[0:1]
	v_and_or_b32 v2, v2, s44, v12
	v_lshl_or_b32 v2, v46, 7, v2
	v_cvt_f32_f16_e32 v46, v2
.LBB274_105:                            ;   in Loop: Header=BB274_9 Depth=1
	s_or_b64 exec, exec, s[36:37]
	global_load_dword v12, v[10:11], off offset:1536
	s_mov_b64 s[0:1], 0
                                        ; implicit-def: $sgpr38
	s_waitcnt vmcnt(0)
	v_cmp_gt_i16_sdwa s[34:35], v12, s42 src0_sel:BYTE_0 src1_sel:DWORD
	s_and_saveexec_b64 s[36:37], s[34:35]
	s_xor_b64 s[34:35], exec, s[36:37]
	s_cbranch_execnz .LBB274_235
; %bb.106:                              ;   in Loop: Header=BB274_9 Depth=1
	s_or_saveexec_b64 s[34:35], s[34:35]
	v_mov_b32_e32 v47, s38
	s_xor_b64 exec, exec, s[34:35]
	s_cbranch_execnz .LBB274_238
.LBB274_107:                            ;   in Loop: Header=BB274_9 Depth=1
	s_or_b64 exec, exec, s[34:35]
	s_and_saveexec_b64 s[34:35], s[0:1]
	s_cbranch_execz .LBB274_109
.LBB274_108:                            ;   in Loop: Header=BB274_9 Depth=1
	v_and_b32_e32 v2, 7, v12
	v_ffbh_u32_e32 v48, v2
	v_min_u32_e32 v50, 32, v48
	v_subrev_u32_e32 v48, 28, v50
	v_bfe_u32 v47, v12, 3, 4
	v_lshlrev_b64 v[48:49], v48, v[12:13]
	v_sub_u32_e32 v49, 29, v50
	v_cmp_eq_u32_e64 s[0:1], 0, v47
	v_and_b32_e32 v48, 7, v48
	s_nop 0
	v_cndmask_b32_e64 v47, v47, v49, s[0:1]
	v_cndmask_b32_e64 v2, v2, v48, s[0:1]
	v_lshlrev_b32_e32 v48, 8, v12
	v_lshl_add_u32 v47, v47, 10, v20
	v_and_or_b32 v47, v48, s44, v47
	v_lshl_or_b32 v2, v2, 7, v47
	v_cvt_f32_f16_e32 v47, v2
.LBB274_109:                            ;   in Loop: Header=BB274_9 Depth=1
	s_or_b64 exec, exec, s[34:35]
	v_lshrrev_b16_e32 v2, 8, v12
	v_cmp_lt_i16_e64 s[0:1], s42, v2
	s_mov_b64 s[34:35], 0
                                        ; implicit-def: $sgpr45
	s_and_saveexec_b64 s[36:37], s[0:1]
	s_xor_b64 s[36:37], exec, s[36:37]
	s_cbranch_execnz .LBB274_239
; %bb.110:                              ;   in Loop: Header=BB274_9 Depth=1
	s_or_saveexec_b64 s[36:37], s[36:37]
	v_mov_b32_e32 v48, s45
	s_xor_b64 exec, exec, s[36:37]
	s_cbranch_execnz .LBB274_242
.LBB274_111:                            ;   in Loop: Header=BB274_9 Depth=1
	s_or_b64 exec, exec, s[36:37]
	s_and_saveexec_b64 s[36:37], s[34:35]
	s_cbranch_execz .LBB274_113
.LBB274_112:                            ;   in Loop: Header=BB274_9 Depth=1
	v_and_b32_e32 v50, 7, v2
	v_ffbh_u32_e32 v48, v50
	v_min_u32_e32 v52, 32, v48
	v_subrev_u32_e32 v48, 28, v52
	v_bfe_u32 v51, v2, 3, 4
	v_lshlrev_b64 v[48:49], v48, v[2:3]
	v_sub_u32_e32 v49, 29, v52
	v_cmp_eq_u32_e64 s[0:1], 0, v51
	v_and_b32_e32 v48, 7, v48
	v_lshlrev_b32_e32 v2, 8, v2
	v_cndmask_b32_e64 v49, v51, v49, s[0:1]
	v_lshl_add_u32 v49, v49, 10, v20
	v_cndmask_b32_e64 v48, v50, v48, s[0:1]
	v_and_or_b32 v2, v2, s44, v49
	v_lshl_or_b32 v2, v48, 7, v2
	v_cvt_f32_f16_e32 v48, v2
.LBB274_113:                            ;   in Loop: Header=BB274_9 Depth=1
	s_or_b64 exec, exec, s[36:37]
	v_lshrrev_b32_e32 v2, 16, v12
	v_cmp_gt_i16_sdwa s[34:35], v2, s42 src0_sel:BYTE_0 src1_sel:DWORD
	s_mov_b64 s[0:1], 0
                                        ; implicit-def: $sgpr38
	s_and_saveexec_b64 s[36:37], s[34:35]
	s_xor_b64 s[34:35], exec, s[36:37]
	s_cbranch_execnz .LBB274_243
; %bb.114:                              ;   in Loop: Header=BB274_9 Depth=1
	s_or_saveexec_b64 s[34:35], s[34:35]
	v_mov_b32_e32 v49, s38
	s_xor_b64 exec, exec, s[34:35]
	s_cbranch_execnz .LBB274_246
.LBB274_115:                            ;   in Loop: Header=BB274_9 Depth=1
	s_or_b64 exec, exec, s[34:35]
	s_and_saveexec_b64 s[34:35], s[0:1]
	s_cbranch_execz .LBB274_117
.LBB274_116:                            ;   in Loop: Header=BB274_9 Depth=1
	v_bfe_u32 v49, v12, 16, 3
	v_ffbh_u32_e32 v50, v49
	v_min_u32_e32 v53, 32, v50
	v_subrev_u32_e32 v50, 28, v53
	v_bfe_u32 v52, v12, 19, 4
	v_lshlrev_b64 v[50:51], v50, v[2:3]
	v_sub_u32_e32 v51, 29, v53
	v_cmp_eq_u32_e64 s[0:1], 0, v52
	v_and_b32_e32 v50, 7, v50
	v_lshlrev_b32_e32 v2, 8, v2
	v_cndmask_b32_e64 v51, v52, v51, s[0:1]
	v_cndmask_b32_e64 v49, v49, v50, s[0:1]
	v_lshl_add_u32 v50, v51, 10, v20
	v_and_or_b32 v2, v2, s44, v50
	v_lshl_or_b32 v2, v49, 7, v2
	v_cvt_f32_f16_e32 v49, v2
.LBB274_117:                            ;   in Loop: Header=BB274_9 Depth=1
	s_or_b64 exec, exec, s[34:35]
	v_lshrrev_b32_e32 v2, 24, v12
	v_cmp_lt_i16_e64 s[0:1], s42, v2
	s_mov_b64 s[34:35], 0
                                        ; implicit-def: $sgpr45
	s_and_saveexec_b64 s[36:37], s[0:1]
	s_xor_b64 s[36:37], exec, s[36:37]
	s_cbranch_execnz .LBB274_247
; %bb.118:                              ;   in Loop: Header=BB274_9 Depth=1
	s_or_saveexec_b64 s[36:37], s[36:37]
	v_mov_b32_e32 v50, s45
	s_xor_b64 exec, exec, s[36:37]
	s_cbranch_execnz .LBB274_250
.LBB274_119:                            ;   in Loop: Header=BB274_9 Depth=1
	s_or_b64 exec, exec, s[36:37]
	s_and_saveexec_b64 s[36:37], s[34:35]
	s_cbranch_execz .LBB274_121
.LBB274_120:                            ;   in Loop: Header=BB274_9 Depth=1
	v_bfe_u32 v52, v12, 24, 3
	v_ffbh_u32_e32 v50, v52
	v_min_u32_e32 v53, 32, v50
	v_subrev_u32_e32 v50, 28, v53
	v_bfe_u32 v12, v12, 27, 4
	v_lshlrev_b64 v[50:51], v50, v[2:3]
	v_sub_u32_e32 v51, 29, v53
	v_cmp_eq_u32_e64 s[0:1], 0, v12
	v_and_b32_e32 v50, 7, v50
	v_lshlrev_b32_e32 v2, 8, v2
	v_cndmask_b32_e64 v12, v12, v51, s[0:1]
	v_lshl_add_u32 v12, v12, 10, v20
	v_cndmask_b32_e64 v50, v52, v50, s[0:1]
	v_and_or_b32 v2, v2, s44, v12
	v_lshl_or_b32 v2, v50, 7, v2
	v_cvt_f32_f16_e32 v50, v2
.LBB274_121:                            ;   in Loop: Header=BB274_9 Depth=1
	s_or_b64 exec, exec, s[36:37]
	global_load_dword v10, v[10:11], off offset:1544
	s_mov_b64 s[0:1], 0
                                        ; implicit-def: $sgpr38
	s_waitcnt vmcnt(0)
	v_cmp_gt_i16_sdwa s[34:35], v10, s42 src0_sel:BYTE_0 src1_sel:DWORD
	s_and_saveexec_b64 s[36:37], s[34:35]
	s_xor_b64 s[34:35], exec, s[36:37]
	s_cbranch_execnz .LBB274_251
; %bb.122:                              ;   in Loop: Header=BB274_9 Depth=1
	s_or_saveexec_b64 s[34:35], s[34:35]
	v_mov_b32_e32 v11, s38
	s_xor_b64 exec, exec, s[34:35]
	s_cbranch_execnz .LBB274_254
.LBB274_123:                            ;   in Loop: Header=BB274_9 Depth=1
	s_or_b64 exec, exec, s[34:35]
	s_and_saveexec_b64 s[34:35], s[0:1]
	s_cbranch_execz .LBB274_125
.LBB274_124:                            ;   in Loop: Header=BB274_9 Depth=1
	v_and_b32_e32 v2, 7, v10
	v_ffbh_u32_e32 v12, v2
	v_bfe_u32 v11, v10, 3, 4
	v_min_u32_e32 v12, 32, v12
	v_subrev_u32_e32 v51, 28, v12
	v_sub_u32_e32 v12, 29, v12
	v_cmp_eq_u32_e64 s[0:1], 0, v11
	v_lshlrev_b64 v[52:53], v51, v[10:11]
	v_and_b32_e32 v51, 7, v52
	v_cndmask_b32_e64 v11, v11, v12, s[0:1]
	v_lshlrev_b32_e32 v12, 8, v10
	v_lshl_add_u32 v11, v11, 10, v20
	v_cndmask_b32_e64 v2, v2, v51, s[0:1]
	v_and_or_b32 v11, v12, s44, v11
	v_lshl_or_b32 v2, v2, 7, v11
	v_cvt_f32_f16_e32 v11, v2
.LBB274_125:                            ;   in Loop: Header=BB274_9 Depth=1
	s_or_b64 exec, exec, s[34:35]
	v_lshrrev_b16_e32 v2, 8, v10
	v_cmp_lt_i16_e64 s[0:1], s42, v2
	s_mov_b64 s[34:35], 0
                                        ; implicit-def: $sgpr45
	s_and_saveexec_b64 s[36:37], s[0:1]
	s_xor_b64 s[36:37], exec, s[36:37]
	s_cbranch_execnz .LBB274_255
; %bb.126:                              ;   in Loop: Header=BB274_9 Depth=1
	s_or_saveexec_b64 s[36:37], s[36:37]
	v_mov_b32_e32 v12, s45
	s_xor_b64 exec, exec, s[36:37]
	s_cbranch_execnz .LBB274_258
.LBB274_127:                            ;   in Loop: Header=BB274_9 Depth=1
	s_or_b64 exec, exec, s[36:37]
	s_and_saveexec_b64 s[36:37], s[34:35]
	s_cbranch_execz .LBB274_129
.LBB274_128:                            ;   in Loop: Header=BB274_9 Depth=1
	v_and_b32_e32 v12, 7, v2
	v_ffbh_u32_e32 v52, v12
	v_min_u32_e32 v54, 32, v52
	v_subrev_u32_e32 v52, 28, v54
	v_bfe_u32 v51, v2, 3, 4
	v_lshlrev_b64 v[52:53], v52, v[2:3]
	v_sub_u32_e32 v53, 29, v54
	v_cmp_eq_u32_e64 s[0:1], 0, v51
	v_and_b32_e32 v52, 7, v52
	v_lshlrev_b32_e32 v2, 8, v2
	v_cndmask_b32_e64 v51, v51, v53, s[0:1]
	v_lshl_add_u32 v51, v51, 10, v20
	v_cndmask_b32_e64 v12, v12, v52, s[0:1]
	v_and_or_b32 v2, v2, s44, v51
	v_lshl_or_b32 v2, v12, 7, v2
	v_cvt_f32_f16_e32 v12, v2
.LBB274_129:                            ;   in Loop: Header=BB274_9 Depth=1
	s_or_b64 exec, exec, s[36:37]
	v_lshrrev_b32_e32 v2, 16, v10
	v_cmp_gt_i16_sdwa s[34:35], v2, s42 src0_sel:BYTE_0 src1_sel:DWORD
	s_mov_b64 s[0:1], 0
                                        ; implicit-def: $sgpr38
	s_and_saveexec_b64 s[36:37], s[34:35]
	s_xor_b64 s[34:35], exec, s[36:37]
	s_cbranch_execnz .LBB274_259
; %bb.130:                              ;   in Loop: Header=BB274_9 Depth=1
	s_or_saveexec_b64 s[34:35], s[34:35]
	v_mov_b32_e32 v51, s38
	s_xor_b64 exec, exec, s[34:35]
	s_cbranch_execnz .LBB274_262
.LBB274_131:                            ;   in Loop: Header=BB274_9 Depth=1
	s_or_b64 exec, exec, s[34:35]
	s_and_saveexec_b64 s[34:35], s[0:1]
	s_cbranch_execz .LBB274_133
.LBB274_132:                            ;   in Loop: Header=BB274_9 Depth=1
	v_bfe_u32 v51, v10, 16, 3
	v_ffbh_u32_e32 v52, v51
	v_min_u32_e32 v55, 32, v52
	v_subrev_u32_e32 v52, 28, v55
	v_bfe_u32 v54, v10, 19, 4
	v_lshlrev_b64 v[52:53], v52, v[2:3]
	v_sub_u32_e32 v53, 29, v55
	v_cmp_eq_u32_e64 s[0:1], 0, v54
	v_and_b32_e32 v52, 7, v52
	v_lshlrev_b32_e32 v2, 8, v2
	v_cndmask_b32_e64 v53, v54, v53, s[0:1]
	v_cndmask_b32_e64 v51, v51, v52, s[0:1]
	v_lshl_add_u32 v52, v53, 10, v20
	v_and_or_b32 v2, v2, s44, v52
	v_lshl_or_b32 v2, v51, 7, v2
	v_cvt_f32_f16_e32 v51, v2
.LBB274_133:                            ;   in Loop: Header=BB274_9 Depth=1
	s_or_b64 exec, exec, s[34:35]
	v_lshrrev_b32_e32 v2, 24, v10
	v_cmp_lt_i16_e64 s[0:1], s42, v2
	s_mov_b64 s[34:35], 0
                                        ; implicit-def: $sgpr45
	s_and_saveexec_b64 s[36:37], s[0:1]
	s_xor_b64 s[36:37], exec, s[36:37]
	s_cbranch_execnz .LBB274_263
; %bb.134:                              ;   in Loop: Header=BB274_9 Depth=1
	s_or_saveexec_b64 s[36:37], s[36:37]
	v_mov_b32_e32 v52, s45
	s_xor_b64 exec, exec, s[36:37]
	s_cbranch_execnz .LBB274_266
.LBB274_135:                            ;   in Loop: Header=BB274_9 Depth=1
	s_or_b64 exec, exec, s[36:37]
	s_and_saveexec_b64 s[36:37], s[34:35]
	s_cbranch_execz .LBB274_137
.LBB274_136:                            ;   in Loop: Header=BB274_9 Depth=1
	v_bfe_u32 v54, v10, 24, 3
	v_ffbh_u32_e32 v52, v54
	v_min_u32_e32 v55, 32, v52
	v_subrev_u32_e32 v52, 28, v55
	v_bfe_u32 v10, v10, 27, 4
	v_lshlrev_b64 v[52:53], v52, v[2:3]
	v_sub_u32_e32 v53, 29, v55
	v_cmp_eq_u32_e64 s[0:1], 0, v10
	v_and_b32_e32 v52, 7, v52
	v_lshlrev_b32_e32 v2, 8, v2
	v_cndmask_b32_e64 v10, v10, v53, s[0:1]
	v_lshl_add_u32 v10, v10, 10, v20
	v_cndmask_b32_e64 v52, v54, v52, s[0:1]
	v_and_or_b32 v2, v2, s44, v10
	v_lshl_or_b32 v2, v52, 7, v2
	v_cvt_f32_f16_e32 v52, v2
.LBB274_137:                            ;   in Loop: Header=BB274_9 Depth=1
	s_or_b64 exec, exec, s[36:37]
	v_fma_mixlo_f16 v2, v22, v48, 0
	v_fma_mixlo_f16 v48, v22, v49, 0
	;; [unrolled: 1-line block ×5, first 2 shown]
	ds_read_b64 v[28:29], v17
	v_fma_mixlo_f16 v24, v22, v24, 0
	v_fma_mixlo_f16 v23, v22, v23, 0
	v_and_b32_e32 v23, 0xffff, v23
	v_and_b32_e32 v24, 0xffff, v24
	s_waitcnt lgkmcnt(0)
	v_lshrrev_b32_e32 v53, 16, v28
	v_and_b32_e32 v28, 0xffff, v28
	v_fma_mixlo_f16 v25, v22, v25, 0
	;;#ASMSTART
	v_cvt_f32_f16 v28, v28;
	;;#ASMEND
	;;#ASMSTART
	v_cvt_f32_f16 v53, v53;
	;;#ASMEND
	;; [unrolled: 3-line block ×4, first 2 shown]
	v_lshrrev_b32_e32 v24, 16, v29
	v_and_b32_e32 v29, 0xffff, v29
	v_fma_mixlo_f16 v26, v22, v26, 0
	;;#ASMSTART
	v_cvt_f32_f16 v29, v29;
	;;#ASMEND
	;;#ASMSTART
	v_cvt_f32_f16 v55, v24;
	;;#ASMEND
	v_and_b32_e32 v24, 0xffff, v25
	;;#ASMSTART
	v_cvt_f32_f16 v56, v24;
	;;#ASMEND
	v_and_b32_e32 v24, 0xffff, v26
	;;#ASMSTART
	v_cvt_f32_f16 v26, v24;
	;;#ASMEND
	ds_read_b64 v[24:25], v17 offset:8
	v_fma_mixlo_f16 v27, v22, v27, 0
	v_fma_mixlo_f16 v57, v22, v11, 0
	v_and_b32_e32 v27, 0xffff, v27
	v_and_b32_e32 v10, 0xffff, v10
	s_waitcnt lgkmcnt(0)
	v_lshrrev_b32_e32 v11, 16, v24
	v_and_b32_e32 v24, 0xffff, v24
	;;#ASMSTART
	v_cvt_f32_f16 v24, v24;
	;;#ASMEND
	;;#ASMSTART
	v_cvt_f32_f16 v11, v11;
	;;#ASMEND
	;; [unrolled: 3-line block ×4, first 2 shown]
	v_fma_mixlo_f16 v30, v22, v30, 0
	v_mul_f32_e32 v24, v24, v27
	v_fmac_f32_e32 v24, v28, v23
	v_mul_f32_e32 v23, v11, v10
	v_lshrrev_b32_e32 v10, 16, v25
	v_and_b32_e32 v11, 0xffff, v25
	;;#ASMSTART
	v_cvt_f32_f16 v25, v11;
	;;#ASMEND
	;;#ASMSTART
	v_cvt_f32_f16 v27, v10;
	;;#ASMEND
	v_and_b32_e32 v10, 0xffff, v50
	;;#ASMSTART
	v_cvt_f32_f16 v28, v10;
	;;#ASMEND
	v_and_b32_e32 v10, 0xffff, v30
	;;#ASMSTART
	v_cvt_f32_f16 v30, v10;
	;;#ASMEND
	ds_read_b64 v[10:11], v17 offset:16
	v_mul_f32_e32 v27, v27, v30
	v_fma_mixlo_f16 v31, v22, v31, 0
	v_fmac_f32_e32 v27, v55, v26
	v_fma_mixlo_f16 v32, v22, v32, 0
	s_waitcnt lgkmcnt(0)
	v_lshrrev_b32_e32 v26, 16, v10
	v_and_b32_e32 v10, 0xffff, v10
	v_mul_f32_e32 v25, v25, v28
	;;#ASMSTART
	v_cvt_f32_f16 v28, v10;
	;;#ASMEND
	v_and_b32_e32 v10, 0xffff, v31
	v_fmac_f32_e32 v25, v29, v56
	;;#ASMSTART
	v_cvt_f32_f16 v26, v26;
	;;#ASMEND
	;;#ASMSTART
	v_cvt_f32_f16 v29, v10;
	;;#ASMEND
	v_and_b32_e32 v10, 0xffff, v32
	v_fma_mixlo_f16 v33, v22, v33, 0
	;;#ASMSTART
	v_cvt_f32_f16 v30, v10;
	;;#ASMEND
	v_lshrrev_b32_e32 v10, 16, v11
	v_fma_mixlo_f16 v34, v22, v34, 0
	v_and_b32_e32 v11, 0xffff, v11
	;;#ASMSTART
	v_cvt_f32_f16 v31, v11;
	;;#ASMEND
	;;#ASMSTART
	v_cvt_f32_f16 v32, v10;
	;;#ASMEND
	v_and_b32_e32 v10, 0xffff, v33
	;;#ASMSTART
	v_cvt_f32_f16 v33, v10;
	;;#ASMEND
	v_and_b32_e32 v10, 0xffff, v34
	;;#ASMSTART
	v_cvt_f32_f16 v34, v10;
	;;#ASMEND
	ds_read_b64 v[10:11], v17 offset:24
	v_fmac_f32_e32 v23, v53, v54
	v_fma_mixlo_f16 v35, v22, v35, 0
	v_fmac_f32_e32 v23, v26, v30
	v_fma_mixlo_f16 v36, v22, v36, 0
	s_waitcnt lgkmcnt(0)
	v_lshrrev_b32_e32 v26, 16, v10
	v_and_b32_e32 v10, 0xffff, v10
	v_fmac_f32_e32 v24, v28, v29
	;;#ASMSTART
	v_cvt_f32_f16 v28, v10;
	;;#ASMEND
	v_and_b32_e32 v10, 0xffff, v35
	;;#ASMSTART
	v_cvt_f32_f16 v26, v26;
	;;#ASMEND
	;;#ASMSTART
	v_cvt_f32_f16 v29, v10;
	;;#ASMEND
	v_and_b32_e32 v10, 0xffff, v36
	v_fma_mixlo_f16 v37, v22, v37, 0
	;;#ASMSTART
	v_cvt_f32_f16 v30, v10;
	;;#ASMEND
	v_lshrrev_b32_e32 v10, 16, v11
	v_fma_mixlo_f16 v38, v22, v38, 0
	v_fmac_f32_e32 v25, v31, v33
	v_fmac_f32_e32 v27, v32, v34
	v_and_b32_e32 v11, 0xffff, v11
	;;#ASMSTART
	v_cvt_f32_f16 v31, v11;
	;;#ASMEND
	;;#ASMSTART
	v_cvt_f32_f16 v32, v10;
	;;#ASMEND
	v_and_b32_e32 v10, 0xffff, v37
	;;#ASMSTART
	v_cvt_f32_f16 v33, v10;
	;;#ASMEND
	v_and_b32_e32 v10, 0xffff, v38
	;;#ASMSTART
	v_cvt_f32_f16 v34, v10;
	;;#ASMEND
	ds_read_b64 v[10:11], v17 offset:32
	v_fma_mixlo_f16 v39, v22, v39, 0
	v_fmac_f32_e32 v23, v26, v30
	v_fma_mixlo_f16 v40, v22, v40, 0
	v_fmac_f32_e32 v24, v28, v29
	s_waitcnt lgkmcnt(0)
	v_lshrrev_b32_e32 v26, 16, v10
	v_and_b32_e32 v10, 0xffff, v10
	;;#ASMSTART
	v_cvt_f32_f16 v28, v10;
	;;#ASMEND
	v_and_b32_e32 v10, 0xffff, v39
	;;#ASMSTART
	v_cvt_f32_f16 v26, v26;
	;;#ASMEND
	;;#ASMSTART
	v_cvt_f32_f16 v29, v10;
	;;#ASMEND
	v_and_b32_e32 v10, 0xffff, v40
	v_fma_mixlo_f16 v41, v22, v41, 0
	;;#ASMSTART
	v_cvt_f32_f16 v30, v10;
	;;#ASMEND
	v_lshrrev_b32_e32 v10, 16, v11
	v_fma_mixlo_f16 v42, v22, v42, 0
	v_fmac_f32_e32 v25, v31, v33
	v_fmac_f32_e32 v27, v32, v34
	v_and_b32_e32 v11, 0xffff, v11
	;;#ASMSTART
	v_cvt_f32_f16 v31, v11;
	;;#ASMEND
	;;#ASMSTART
	v_cvt_f32_f16 v32, v10;
	;;#ASMEND
	v_and_b32_e32 v10, 0xffff, v41
	;;#ASMSTART
	v_cvt_f32_f16 v33, v10;
	;;#ASMEND
	v_and_b32_e32 v10, 0xffff, v42
	;;#ASMSTART
	v_cvt_f32_f16 v34, v10;
	;;#ASMEND
	ds_read_b64 v[10:11], v17 offset:40
	v_fma_mixlo_f16 v43, v22, v43, 0
	v_fmac_f32_e32 v23, v26, v30
	v_fma_mixlo_f16 v44, v22, v44, 0
	v_fmac_f32_e32 v24, v28, v29
	s_waitcnt lgkmcnt(0)
	v_lshrrev_b32_e32 v26, 16, v10
	v_and_b32_e32 v10, 0xffff, v10
	;;#ASMSTART
	v_cvt_f32_f16 v28, v10;
	;;#ASMEND
	v_and_b32_e32 v10, 0xffff, v43
	;;#ASMSTART
	v_cvt_f32_f16 v26, v26;
	;;#ASMEND
	;;#ASMSTART
	v_cvt_f32_f16 v29, v10;
	;;#ASMEND
	v_and_b32_e32 v10, 0xffff, v44
	v_fma_mixlo_f16 v45, v22, v45, 0
	;;#ASMSTART
	v_cvt_f32_f16 v30, v10;
	;;#ASMEND
	v_lshrrev_b32_e32 v10, 16, v11
	v_fma_mixlo_f16 v46, v22, v46, 0
	v_fmac_f32_e32 v25, v31, v33
	v_fmac_f32_e32 v27, v32, v34
	v_and_b32_e32 v11, 0xffff, v11
	;;#ASMSTART
	v_cvt_f32_f16 v31, v11;
	;;#ASMEND
	;;#ASMSTART
	v_cvt_f32_f16 v32, v10;
	;;#ASMEND
	v_and_b32_e32 v10, 0xffff, v45
	;;#ASMSTART
	v_cvt_f32_f16 v33, v10;
	;;#ASMEND
	v_and_b32_e32 v10, 0xffff, v46
	;;#ASMSTART
	v_cvt_f32_f16 v34, v10;
	;;#ASMEND
	ds_read_b64 v[10:11], v17 offset:48
	v_fma_mixlo_f16 v47, v22, v47, 0
	v_fmac_f32_e32 v23, v26, v30
	v_fmac_f32_e32 v24, v28, v29
	v_and_b32_e32 v2, 0xffff, v2
	s_waitcnt lgkmcnt(0)
	v_lshrrev_b32_e32 v26, 16, v10
	v_and_b32_e32 v10, 0xffff, v10
	;;#ASMSTART
	v_cvt_f32_f16 v28, v10;
	;;#ASMEND
	v_and_b32_e32 v10, 0xffff, v47
	;;#ASMSTART
	v_cvt_f32_f16 v26, v26;
	;;#ASMEND
	;;#ASMSTART
	v_cvt_f32_f16 v29, v10;
	;;#ASMEND
	v_lshrrev_b32_e32 v10, 16, v11
	v_fmac_f32_e32 v25, v31, v33
	;;#ASMSTART
	v_cvt_f32_f16 v2, v2;
	;;#ASMEND
	v_and_b32_e32 v11, 0xffff, v11
	;;#ASMSTART
	v_cvt_f32_f16 v30, v11;
	;;#ASMEND
	;;#ASMSTART
	v_cvt_f32_f16 v31, v10;
	;;#ASMEND
	v_and_b32_e32 v10, 0xffff, v48
	v_fmac_f32_e32 v27, v32, v34
	;;#ASMSTART
	v_cvt_f32_f16 v32, v10;
	;;#ASMEND
	v_and_b32_e32 v10, 0xffff, v49
	;;#ASMSTART
	v_cvt_f32_f16 v33, v10;
	;;#ASMEND
	ds_read_b64 v[10:11], v17 offset:56
	v_fma_mixlo_f16 v12, v22, v12, 0
	v_fmac_f32_e32 v23, v26, v2
	v_fmac_f32_e32 v24, v28, v29
	v_and_b32_e32 v26, 0xffff, v57
	s_waitcnt lgkmcnt(0)
	v_lshrrev_b32_e32 v2, 16, v10
	v_and_b32_e32 v10, 0xffff, v10
	;;#ASMSTART
	v_cvt_f32_f16 v10, v10;
	;;#ASMEND
	;;#ASMSTART
	v_cvt_f32_f16 v2, v2;
	;;#ASMEND
	v_and_b32_e32 v12, 0xffff, v12
	v_fma_mixlo_f16 v51, v22, v51, 0
	v_fma_mixlo_f16 v22, v22, v52, 0
	;;#ASMSTART
	v_cvt_f32_f16 v26, v26;
	;;#ASMEND
	;;#ASMSTART
	v_cvt_f32_f16 v12, v12;
	;;#ASMEND
	v_fmac_f32_e32 v25, v30, v32
	v_fmac_f32_e32 v24, v10, v26
	;; [unrolled: 1-line block ×3, first 2 shown]
	v_lshrrev_b32_e32 v2, 16, v11
	v_and_b32_e32 v10, 0xffff, v11
	v_fmac_f32_e32 v27, v31, v33
	;;#ASMSTART
	v_cvt_f32_f16 v10, v10;
	;;#ASMEND
	;;#ASMSTART
	v_cvt_f32_f16 v2, v2;
	;;#ASMEND
	v_and_b32_e32 v11, 0xffff, v51
	v_and_b32_e32 v12, 0xffff, v22
	;;#ASMSTART
	v_cvt_f32_f16 v11, v11;
	;;#ASMEND
	;;#ASMSTART
	v_cvt_f32_f16 v12, v12;
	;;#ASMEND
	s_nop 0
	v_fmac_f32_e32 v25, v10, v11
	v_fmac_f32_e32 v27, v2, v12
	v_add_f32_e32 v2, v24, v23
	v_add_f32_e32 v2, v2, v25
	;; [unrolled: 1-line block ×3, first 2 shown]
	v_and_b32_e32 v2, 64, v16
	v_xor_b32_e32 v11, 1, v16
	v_add_u32_e32 v2, 64, v2
	v_cmp_lt_i32_e64 s[0:1], v11, v2
	s_nop 1
	v_cndmask_b32_e64 v11, v16, v11, s[0:1]
	v_lshlrev_b32_e32 v11, 2, v11
	ds_bpermute_b32 v11, v11, v10
	s_and_saveexec_b64 s[34:35], vcc
	s_cbranch_execz .LBB274_8
; %bb.138:                              ;   in Loop: Header=BB274_9 Depth=1
	v_add_u32_e32 v12, s41, v18
	v_cvt_f32_i32_e32 v12, v12
	s_waitcnt lgkmcnt(0)
	v_add_f32_e32 v10, v10, v11
	v_cmp_gt_i32_e64 s[0:1], s33, v18
	v_max_f32_e32 v11, v15, v15
	v_mul_f32_e32 v12, s28, v12
	v_cndmask_b32_e64 v12, 0, v12, s[2:3]
	v_fmac_f32_e32 v12, s29, v10
	v_cndmask_b32_e64 v10, 0, v12, s[0:1]
	ds_write_b32 v19, v10
	v_max_f32_e32 v10, v11, v12
	v_cndmask_b32_e64 v15, v15, v10, s[0:1]
	s_branch .LBB274_8
.LBB274_139:                            ;   in Loop: Header=BB274_9 Depth=1
	v_cmp_eq_u16_sdwa s[46:47], v12, s43 src0_sel:BYTE_0 src1_sel:DWORD
	s_mov_b64 s[0:1], -1
                                        ; implicit-def: $sgpr38
	s_and_saveexec_b64 s[36:37], s[46:47]
; %bb.140:                              ;   in Loop: Header=BB274_9 Depth=1
	s_mov_b32 s38, 0x7fc02000
	s_xor_b64 s[0:1], exec, -1
; %bb.141:                              ;   in Loop: Header=BB274_9 Depth=1
	s_or_b64 exec, exec, s[36:37]
	s_and_b64 s[0:1], s[0:1], exec
	s_or_saveexec_b64 s[34:35], s[34:35]
	v_mov_b32_e32 v23, s38
	s_xor_b64 exec, exec, s[34:35]
	s_cbranch_execz .LBB274_11
.LBB274_142:                            ;   in Loop: Header=BB274_9 Depth=1
	v_cmp_ne_u16_sdwa s[36:37], v12, v3 src0_sel:BYTE_0 src1_sel:DWORD
	s_andn2_b64 s[0:1], s[0:1], exec
	s_and_b64 s[36:37], s[36:37], exec
	v_mov_b32_e32 v23, 0
	s_or_b64 s[0:1], s[0:1], s[36:37]
	s_or_b64 exec, exec, s[34:35]
	s_and_saveexec_b64 s[34:35], s[0:1]
	s_cbranch_execnz .LBB274_12
	s_branch .LBB274_13
.LBB274_143:                            ;   in Loop: Header=BB274_9 Depth=1
	v_cmp_eq_u16_e64 s[0:1], s43, v2
	s_mov_b64 s[34:35], -1
                                        ; implicit-def: $sgpr45
	s_and_saveexec_b64 s[38:39], s[0:1]
; %bb.144:                              ;   in Loop: Header=BB274_9 Depth=1
	s_mov_b32 s45, 0x7fc02000
	s_xor_b64 s[34:35], exec, -1
; %bb.145:                              ;   in Loop: Header=BB274_9 Depth=1
	s_or_b64 exec, exec, s[38:39]
	s_and_b64 s[34:35], s[34:35], exec
	s_or_saveexec_b64 s[36:37], s[36:37]
	v_mov_b32_e32 v24, s45
	s_xor_b64 exec, exec, s[36:37]
	s_cbranch_execz .LBB274_15
.LBB274_146:                            ;   in Loop: Header=BB274_9 Depth=1
	v_cmp_ne_u16_e64 s[0:1], 0, v2
	s_andn2_b64 s[34:35], s[34:35], exec
	s_and_b64 s[0:1], s[0:1], exec
	v_mov_b32_e32 v24, 0
	s_or_b64 s[34:35], s[34:35], s[0:1]
	s_or_b64 exec, exec, s[36:37]
	s_and_saveexec_b64 s[36:37], s[34:35]
	s_cbranch_execnz .LBB274_16
	s_branch .LBB274_17
.LBB274_147:                            ;   in Loop: Header=BB274_9 Depth=1
	v_cmp_eq_u16_sdwa s[46:47], v2, s43 src0_sel:BYTE_0 src1_sel:DWORD
	s_mov_b64 s[0:1], -1
                                        ; implicit-def: $sgpr38
	s_and_saveexec_b64 s[36:37], s[46:47]
; %bb.148:                              ;   in Loop: Header=BB274_9 Depth=1
	s_mov_b32 s38, 0x7fc02000
	s_xor_b64 s[0:1], exec, -1
; %bb.149:                              ;   in Loop: Header=BB274_9 Depth=1
	s_or_b64 exec, exec, s[36:37]
	s_and_b64 s[0:1], s[0:1], exec
	s_or_saveexec_b64 s[34:35], s[34:35]
	v_mov_b32_e32 v25, s38
	s_xor_b64 exec, exec, s[34:35]
	s_cbranch_execz .LBB274_19
.LBB274_150:                            ;   in Loop: Header=BB274_9 Depth=1
	v_cmp_ne_u16_sdwa s[36:37], v2, v3 src0_sel:BYTE_0 src1_sel:DWORD
	s_andn2_b64 s[0:1], s[0:1], exec
	s_and_b64 s[36:37], s[36:37], exec
	v_mov_b32_e32 v25, 0
	s_or_b64 s[0:1], s[0:1], s[36:37]
	s_or_b64 exec, exec, s[34:35]
	s_and_saveexec_b64 s[34:35], s[0:1]
	s_cbranch_execnz .LBB274_20
	s_branch .LBB274_21
.LBB274_151:                            ;   in Loop: Header=BB274_9 Depth=1
	v_cmp_eq_u16_e64 s[0:1], s43, v2
	s_mov_b64 s[34:35], -1
                                        ; implicit-def: $sgpr45
	s_and_saveexec_b64 s[38:39], s[0:1]
; %bb.152:                              ;   in Loop: Header=BB274_9 Depth=1
	s_mov_b32 s45, 0x7fc02000
	s_xor_b64 s[34:35], exec, -1
; %bb.153:                              ;   in Loop: Header=BB274_9 Depth=1
	s_or_b64 exec, exec, s[38:39]
	s_and_b64 s[34:35], s[34:35], exec
	s_or_saveexec_b64 s[36:37], s[36:37]
	v_mov_b32_e32 v26, s45
	s_xor_b64 exec, exec, s[36:37]
	s_cbranch_execz .LBB274_23
.LBB274_154:                            ;   in Loop: Header=BB274_9 Depth=1
	v_cmp_ne_u16_e64 s[0:1], 0, v2
	s_andn2_b64 s[34:35], s[34:35], exec
	s_and_b64 s[0:1], s[0:1], exec
	v_mov_b32_e32 v26, 0
	s_or_b64 s[34:35], s[34:35], s[0:1]
	s_or_b64 exec, exec, s[36:37]
	s_and_saveexec_b64 s[36:37], s[34:35]
	s_cbranch_execnz .LBB274_24
	s_branch .LBB274_25
.LBB274_155:                            ;   in Loop: Header=BB274_9 Depth=1
	v_cmp_eq_u16_sdwa s[46:47], v12, s43 src0_sel:BYTE_0 src1_sel:DWORD
	s_mov_b64 s[0:1], -1
                                        ; implicit-def: $sgpr38
	s_and_saveexec_b64 s[36:37], s[46:47]
; %bb.156:                              ;   in Loop: Header=BB274_9 Depth=1
	s_mov_b32 s38, 0x7fc02000
	s_xor_b64 s[0:1], exec, -1
; %bb.157:                              ;   in Loop: Header=BB274_9 Depth=1
	s_or_b64 exec, exec, s[36:37]
	s_and_b64 s[0:1], s[0:1], exec
	s_or_saveexec_b64 s[34:35], s[34:35]
	v_mov_b32_e32 v27, s38
	s_xor_b64 exec, exec, s[34:35]
	s_cbranch_execz .LBB274_27
.LBB274_158:                            ;   in Loop: Header=BB274_9 Depth=1
	v_cmp_ne_u16_sdwa s[36:37], v12, v3 src0_sel:BYTE_0 src1_sel:DWORD
	s_andn2_b64 s[0:1], s[0:1], exec
	s_and_b64 s[36:37], s[36:37], exec
	v_mov_b32_e32 v27, 0
	s_or_b64 s[0:1], s[0:1], s[36:37]
	s_or_b64 exec, exec, s[34:35]
	s_and_saveexec_b64 s[34:35], s[0:1]
	s_cbranch_execnz .LBB274_28
	s_branch .LBB274_29
.LBB274_159:                            ;   in Loop: Header=BB274_9 Depth=1
	v_cmp_eq_u16_e64 s[0:1], s43, v2
	s_mov_b64 s[34:35], -1
                                        ; implicit-def: $sgpr45
	s_and_saveexec_b64 s[38:39], s[0:1]
; %bb.160:                              ;   in Loop: Header=BB274_9 Depth=1
	s_mov_b32 s45, 0x7fc02000
	s_xor_b64 s[34:35], exec, -1
; %bb.161:                              ;   in Loop: Header=BB274_9 Depth=1
	s_or_b64 exec, exec, s[38:39]
	s_and_b64 s[34:35], s[34:35], exec
	s_or_saveexec_b64 s[36:37], s[36:37]
	v_mov_b32_e32 v28, s45
	s_xor_b64 exec, exec, s[36:37]
	s_cbranch_execz .LBB274_31
.LBB274_162:                            ;   in Loop: Header=BB274_9 Depth=1
	v_cmp_ne_u16_e64 s[0:1], 0, v2
	s_andn2_b64 s[34:35], s[34:35], exec
	s_and_b64 s[0:1], s[0:1], exec
	v_mov_b32_e32 v28, 0
	s_or_b64 s[34:35], s[34:35], s[0:1]
	s_or_b64 exec, exec, s[36:37]
	s_and_saveexec_b64 s[36:37], s[34:35]
	s_cbranch_execnz .LBB274_32
	s_branch .LBB274_33
.LBB274_163:                            ;   in Loop: Header=BB274_9 Depth=1
	v_cmp_eq_u16_sdwa s[46:47], v2, s43 src0_sel:BYTE_0 src1_sel:DWORD
	s_mov_b64 s[0:1], -1
                                        ; implicit-def: $sgpr38
	s_and_saveexec_b64 s[36:37], s[46:47]
; %bb.164:                              ;   in Loop: Header=BB274_9 Depth=1
	s_mov_b32 s38, 0x7fc02000
	s_xor_b64 s[0:1], exec, -1
; %bb.165:                              ;   in Loop: Header=BB274_9 Depth=1
	s_or_b64 exec, exec, s[36:37]
	s_and_b64 s[0:1], s[0:1], exec
	s_or_saveexec_b64 s[34:35], s[34:35]
	v_mov_b32_e32 v29, s38
	s_xor_b64 exec, exec, s[34:35]
	s_cbranch_execz .LBB274_35
.LBB274_166:                            ;   in Loop: Header=BB274_9 Depth=1
	v_cmp_ne_u16_sdwa s[36:37], v2, v3 src0_sel:BYTE_0 src1_sel:DWORD
	s_andn2_b64 s[0:1], s[0:1], exec
	s_and_b64 s[36:37], s[36:37], exec
	v_mov_b32_e32 v29, 0
	s_or_b64 s[0:1], s[0:1], s[36:37]
	s_or_b64 exec, exec, s[34:35]
	s_and_saveexec_b64 s[34:35], s[0:1]
	s_cbranch_execnz .LBB274_36
	s_branch .LBB274_37
.LBB274_167:                            ;   in Loop: Header=BB274_9 Depth=1
	v_cmp_eq_u16_e64 s[0:1], s43, v2
	s_mov_b64 s[34:35], -1
                                        ; implicit-def: $sgpr45
	s_and_saveexec_b64 s[38:39], s[0:1]
; %bb.168:                              ;   in Loop: Header=BB274_9 Depth=1
	s_mov_b32 s45, 0x7fc02000
	s_xor_b64 s[34:35], exec, -1
; %bb.169:                              ;   in Loop: Header=BB274_9 Depth=1
	s_or_b64 exec, exec, s[38:39]
	s_and_b64 s[34:35], s[34:35], exec
	s_or_saveexec_b64 s[36:37], s[36:37]
	v_mov_b32_e32 v30, s45
	s_xor_b64 exec, exec, s[36:37]
	s_cbranch_execz .LBB274_39
.LBB274_170:                            ;   in Loop: Header=BB274_9 Depth=1
	v_cmp_ne_u16_e64 s[0:1], 0, v2
	s_andn2_b64 s[34:35], s[34:35], exec
	s_and_b64 s[0:1], s[0:1], exec
	v_mov_b32_e32 v30, 0
	s_or_b64 s[34:35], s[34:35], s[0:1]
	s_or_b64 exec, exec, s[36:37]
	s_and_saveexec_b64 s[36:37], s[34:35]
	s_cbranch_execnz .LBB274_40
	s_branch .LBB274_41
.LBB274_171:                            ;   in Loop: Header=BB274_9 Depth=1
	v_cmp_eq_u16_sdwa s[46:47], v12, s43 src0_sel:BYTE_0 src1_sel:DWORD
	s_mov_b64 s[0:1], -1
                                        ; implicit-def: $sgpr38
	s_and_saveexec_b64 s[36:37], s[46:47]
; %bb.172:                              ;   in Loop: Header=BB274_9 Depth=1
	s_mov_b32 s38, 0x7fc02000
	s_xor_b64 s[0:1], exec, -1
; %bb.173:                              ;   in Loop: Header=BB274_9 Depth=1
	s_or_b64 exec, exec, s[36:37]
	s_and_b64 s[0:1], s[0:1], exec
	s_or_saveexec_b64 s[34:35], s[34:35]
	v_mov_b32_e32 v31, s38
	s_xor_b64 exec, exec, s[34:35]
	s_cbranch_execz .LBB274_43
.LBB274_174:                            ;   in Loop: Header=BB274_9 Depth=1
	v_cmp_ne_u16_sdwa s[36:37], v12, v3 src0_sel:BYTE_0 src1_sel:DWORD
	s_andn2_b64 s[0:1], s[0:1], exec
	s_and_b64 s[36:37], s[36:37], exec
	v_mov_b32_e32 v31, 0
	s_or_b64 s[0:1], s[0:1], s[36:37]
	s_or_b64 exec, exec, s[34:35]
	s_and_saveexec_b64 s[34:35], s[0:1]
	s_cbranch_execnz .LBB274_44
	s_branch .LBB274_45
.LBB274_175:                            ;   in Loop: Header=BB274_9 Depth=1
	v_cmp_eq_u16_e64 s[0:1], s43, v2
	s_mov_b64 s[34:35], -1
                                        ; implicit-def: $sgpr45
	s_and_saveexec_b64 s[38:39], s[0:1]
; %bb.176:                              ;   in Loop: Header=BB274_9 Depth=1
	s_mov_b32 s45, 0x7fc02000
	s_xor_b64 s[34:35], exec, -1
; %bb.177:                              ;   in Loop: Header=BB274_9 Depth=1
	s_or_b64 exec, exec, s[38:39]
	s_and_b64 s[34:35], s[34:35], exec
	s_or_saveexec_b64 s[36:37], s[36:37]
	v_mov_b32_e32 v32, s45
	s_xor_b64 exec, exec, s[36:37]
	s_cbranch_execz .LBB274_47
.LBB274_178:                            ;   in Loop: Header=BB274_9 Depth=1
	v_cmp_ne_u16_e64 s[0:1], 0, v2
	s_andn2_b64 s[34:35], s[34:35], exec
	s_and_b64 s[0:1], s[0:1], exec
	v_mov_b32_e32 v32, 0
	s_or_b64 s[34:35], s[34:35], s[0:1]
	s_or_b64 exec, exec, s[36:37]
	s_and_saveexec_b64 s[36:37], s[34:35]
	s_cbranch_execnz .LBB274_48
	s_branch .LBB274_49
.LBB274_179:                            ;   in Loop: Header=BB274_9 Depth=1
	v_cmp_eq_u16_sdwa s[46:47], v2, s43 src0_sel:BYTE_0 src1_sel:DWORD
	s_mov_b64 s[0:1], -1
                                        ; implicit-def: $sgpr38
	s_and_saveexec_b64 s[36:37], s[46:47]
; %bb.180:                              ;   in Loop: Header=BB274_9 Depth=1
	s_mov_b32 s38, 0x7fc02000
	s_xor_b64 s[0:1], exec, -1
; %bb.181:                              ;   in Loop: Header=BB274_9 Depth=1
	s_or_b64 exec, exec, s[36:37]
	s_and_b64 s[0:1], s[0:1], exec
	s_or_saveexec_b64 s[34:35], s[34:35]
	v_mov_b32_e32 v33, s38
	s_xor_b64 exec, exec, s[34:35]
	s_cbranch_execz .LBB274_51
.LBB274_182:                            ;   in Loop: Header=BB274_9 Depth=1
	v_cmp_ne_u16_sdwa s[36:37], v2, v3 src0_sel:BYTE_0 src1_sel:DWORD
	s_andn2_b64 s[0:1], s[0:1], exec
	s_and_b64 s[36:37], s[36:37], exec
	v_mov_b32_e32 v33, 0
	s_or_b64 s[0:1], s[0:1], s[36:37]
	s_or_b64 exec, exec, s[34:35]
	s_and_saveexec_b64 s[34:35], s[0:1]
	s_cbranch_execnz .LBB274_52
	s_branch .LBB274_53
.LBB274_183:                            ;   in Loop: Header=BB274_9 Depth=1
	v_cmp_eq_u16_e64 s[0:1], s43, v2
	s_mov_b64 s[34:35], -1
                                        ; implicit-def: $sgpr45
	s_and_saveexec_b64 s[38:39], s[0:1]
; %bb.184:                              ;   in Loop: Header=BB274_9 Depth=1
	s_mov_b32 s45, 0x7fc02000
	s_xor_b64 s[34:35], exec, -1
; %bb.185:                              ;   in Loop: Header=BB274_9 Depth=1
	s_or_b64 exec, exec, s[38:39]
	s_and_b64 s[34:35], s[34:35], exec
	s_or_saveexec_b64 s[36:37], s[36:37]
	v_mov_b32_e32 v34, s45
	s_xor_b64 exec, exec, s[36:37]
	s_cbranch_execz .LBB274_55
.LBB274_186:                            ;   in Loop: Header=BB274_9 Depth=1
	v_cmp_ne_u16_e64 s[0:1], 0, v2
	s_andn2_b64 s[34:35], s[34:35], exec
	s_and_b64 s[0:1], s[0:1], exec
	v_mov_b32_e32 v34, 0
	s_or_b64 s[34:35], s[34:35], s[0:1]
	s_or_b64 exec, exec, s[36:37]
	s_and_saveexec_b64 s[36:37], s[34:35]
	s_cbranch_execnz .LBB274_56
	s_branch .LBB274_57
.LBB274_187:                            ;   in Loop: Header=BB274_9 Depth=1
	v_cmp_eq_u16_sdwa s[46:47], v12, s43 src0_sel:BYTE_0 src1_sel:DWORD
	s_mov_b64 s[0:1], -1
                                        ; implicit-def: $sgpr38
	s_and_saveexec_b64 s[36:37], s[46:47]
; %bb.188:                              ;   in Loop: Header=BB274_9 Depth=1
	s_mov_b32 s38, 0x7fc02000
	s_xor_b64 s[0:1], exec, -1
; %bb.189:                              ;   in Loop: Header=BB274_9 Depth=1
	s_or_b64 exec, exec, s[36:37]
	s_and_b64 s[0:1], s[0:1], exec
	s_or_saveexec_b64 s[34:35], s[34:35]
	v_mov_b32_e32 v35, s38
	s_xor_b64 exec, exec, s[34:35]
	s_cbranch_execz .LBB274_59
.LBB274_190:                            ;   in Loop: Header=BB274_9 Depth=1
	v_cmp_ne_u16_sdwa s[36:37], v12, v3 src0_sel:BYTE_0 src1_sel:DWORD
	s_andn2_b64 s[0:1], s[0:1], exec
	s_and_b64 s[36:37], s[36:37], exec
	v_mov_b32_e32 v35, 0
	s_or_b64 s[0:1], s[0:1], s[36:37]
	s_or_b64 exec, exec, s[34:35]
	s_and_saveexec_b64 s[34:35], s[0:1]
	s_cbranch_execnz .LBB274_60
	s_branch .LBB274_61
.LBB274_191:                            ;   in Loop: Header=BB274_9 Depth=1
	v_cmp_eq_u16_e64 s[0:1], s43, v2
	s_mov_b64 s[34:35], -1
                                        ; implicit-def: $sgpr45
	s_and_saveexec_b64 s[38:39], s[0:1]
; %bb.192:                              ;   in Loop: Header=BB274_9 Depth=1
	s_mov_b32 s45, 0x7fc02000
	s_xor_b64 s[34:35], exec, -1
; %bb.193:                              ;   in Loop: Header=BB274_9 Depth=1
	s_or_b64 exec, exec, s[38:39]
	s_and_b64 s[34:35], s[34:35], exec
	s_or_saveexec_b64 s[36:37], s[36:37]
	v_mov_b32_e32 v36, s45
	s_xor_b64 exec, exec, s[36:37]
	s_cbranch_execz .LBB274_63
.LBB274_194:                            ;   in Loop: Header=BB274_9 Depth=1
	v_cmp_ne_u16_e64 s[0:1], 0, v2
	s_andn2_b64 s[34:35], s[34:35], exec
	s_and_b64 s[0:1], s[0:1], exec
	v_mov_b32_e32 v36, 0
	s_or_b64 s[34:35], s[34:35], s[0:1]
	s_or_b64 exec, exec, s[36:37]
	s_and_saveexec_b64 s[36:37], s[34:35]
	s_cbranch_execnz .LBB274_64
	s_branch .LBB274_65
.LBB274_195:                            ;   in Loop: Header=BB274_9 Depth=1
	v_cmp_eq_u16_sdwa s[46:47], v2, s43 src0_sel:BYTE_0 src1_sel:DWORD
	s_mov_b64 s[0:1], -1
                                        ; implicit-def: $sgpr38
	s_and_saveexec_b64 s[36:37], s[46:47]
; %bb.196:                              ;   in Loop: Header=BB274_9 Depth=1
	s_mov_b32 s38, 0x7fc02000
	s_xor_b64 s[0:1], exec, -1
; %bb.197:                              ;   in Loop: Header=BB274_9 Depth=1
	s_or_b64 exec, exec, s[36:37]
	s_and_b64 s[0:1], s[0:1], exec
	s_or_saveexec_b64 s[34:35], s[34:35]
	v_mov_b32_e32 v37, s38
	s_xor_b64 exec, exec, s[34:35]
	s_cbranch_execz .LBB274_67
.LBB274_198:                            ;   in Loop: Header=BB274_9 Depth=1
	v_cmp_ne_u16_sdwa s[36:37], v2, v3 src0_sel:BYTE_0 src1_sel:DWORD
	s_andn2_b64 s[0:1], s[0:1], exec
	s_and_b64 s[36:37], s[36:37], exec
	v_mov_b32_e32 v37, 0
	s_or_b64 s[0:1], s[0:1], s[36:37]
	s_or_b64 exec, exec, s[34:35]
	s_and_saveexec_b64 s[34:35], s[0:1]
	s_cbranch_execnz .LBB274_68
	s_branch .LBB274_69
.LBB274_199:                            ;   in Loop: Header=BB274_9 Depth=1
	v_cmp_eq_u16_e64 s[0:1], s43, v2
	s_mov_b64 s[34:35], -1
                                        ; implicit-def: $sgpr45
	s_and_saveexec_b64 s[38:39], s[0:1]
; %bb.200:                              ;   in Loop: Header=BB274_9 Depth=1
	s_mov_b32 s45, 0x7fc02000
	s_xor_b64 s[34:35], exec, -1
; %bb.201:                              ;   in Loop: Header=BB274_9 Depth=1
	s_or_b64 exec, exec, s[38:39]
	s_and_b64 s[34:35], s[34:35], exec
	s_or_saveexec_b64 s[36:37], s[36:37]
	v_mov_b32_e32 v38, s45
	s_xor_b64 exec, exec, s[36:37]
	s_cbranch_execz .LBB274_71
.LBB274_202:                            ;   in Loop: Header=BB274_9 Depth=1
	v_cmp_ne_u16_e64 s[0:1], 0, v2
	s_andn2_b64 s[34:35], s[34:35], exec
	s_and_b64 s[0:1], s[0:1], exec
	v_mov_b32_e32 v38, 0
	s_or_b64 s[34:35], s[34:35], s[0:1]
	s_or_b64 exec, exec, s[36:37]
	s_and_saveexec_b64 s[36:37], s[34:35]
	s_cbranch_execnz .LBB274_72
	s_branch .LBB274_73
.LBB274_203:                            ;   in Loop: Header=BB274_9 Depth=1
	v_cmp_eq_u16_sdwa s[46:47], v12, s43 src0_sel:BYTE_0 src1_sel:DWORD
	s_mov_b64 s[0:1], -1
                                        ; implicit-def: $sgpr38
	s_and_saveexec_b64 s[36:37], s[46:47]
; %bb.204:                              ;   in Loop: Header=BB274_9 Depth=1
	s_mov_b32 s38, 0x7fc02000
	s_xor_b64 s[0:1], exec, -1
; %bb.205:                              ;   in Loop: Header=BB274_9 Depth=1
	s_or_b64 exec, exec, s[36:37]
	s_and_b64 s[0:1], s[0:1], exec
	s_or_saveexec_b64 s[34:35], s[34:35]
	v_mov_b32_e32 v39, s38
	s_xor_b64 exec, exec, s[34:35]
	s_cbranch_execz .LBB274_75
.LBB274_206:                            ;   in Loop: Header=BB274_9 Depth=1
	v_cmp_ne_u16_sdwa s[36:37], v12, v3 src0_sel:BYTE_0 src1_sel:DWORD
	s_andn2_b64 s[0:1], s[0:1], exec
	s_and_b64 s[36:37], s[36:37], exec
	v_mov_b32_e32 v39, 0
	s_or_b64 s[0:1], s[0:1], s[36:37]
	s_or_b64 exec, exec, s[34:35]
	s_and_saveexec_b64 s[34:35], s[0:1]
	s_cbranch_execnz .LBB274_76
	s_branch .LBB274_77
.LBB274_207:                            ;   in Loop: Header=BB274_9 Depth=1
	v_cmp_eq_u16_e64 s[0:1], s43, v2
	s_mov_b64 s[34:35], -1
                                        ; implicit-def: $sgpr45
	s_and_saveexec_b64 s[38:39], s[0:1]
; %bb.208:                              ;   in Loop: Header=BB274_9 Depth=1
	s_mov_b32 s45, 0x7fc02000
	s_xor_b64 s[34:35], exec, -1
; %bb.209:                              ;   in Loop: Header=BB274_9 Depth=1
	s_or_b64 exec, exec, s[38:39]
	s_and_b64 s[34:35], s[34:35], exec
	s_or_saveexec_b64 s[36:37], s[36:37]
	v_mov_b32_e32 v40, s45
	s_xor_b64 exec, exec, s[36:37]
	s_cbranch_execz .LBB274_79
.LBB274_210:                            ;   in Loop: Header=BB274_9 Depth=1
	v_cmp_ne_u16_e64 s[0:1], 0, v2
	s_andn2_b64 s[34:35], s[34:35], exec
	s_and_b64 s[0:1], s[0:1], exec
	v_mov_b32_e32 v40, 0
	s_or_b64 s[34:35], s[34:35], s[0:1]
	s_or_b64 exec, exec, s[36:37]
	s_and_saveexec_b64 s[36:37], s[34:35]
	s_cbranch_execnz .LBB274_80
	s_branch .LBB274_81
.LBB274_211:                            ;   in Loop: Header=BB274_9 Depth=1
	v_cmp_eq_u16_sdwa s[46:47], v2, s43 src0_sel:BYTE_0 src1_sel:DWORD
	s_mov_b64 s[0:1], -1
                                        ; implicit-def: $sgpr38
	s_and_saveexec_b64 s[36:37], s[46:47]
; %bb.212:                              ;   in Loop: Header=BB274_9 Depth=1
	s_mov_b32 s38, 0x7fc02000
	s_xor_b64 s[0:1], exec, -1
; %bb.213:                              ;   in Loop: Header=BB274_9 Depth=1
	s_or_b64 exec, exec, s[36:37]
	s_and_b64 s[0:1], s[0:1], exec
	s_or_saveexec_b64 s[34:35], s[34:35]
	v_mov_b32_e32 v41, s38
	s_xor_b64 exec, exec, s[34:35]
	s_cbranch_execz .LBB274_83
.LBB274_214:                            ;   in Loop: Header=BB274_9 Depth=1
	v_cmp_ne_u16_sdwa s[36:37], v2, v3 src0_sel:BYTE_0 src1_sel:DWORD
	s_andn2_b64 s[0:1], s[0:1], exec
	s_and_b64 s[36:37], s[36:37], exec
	v_mov_b32_e32 v41, 0
	s_or_b64 s[0:1], s[0:1], s[36:37]
	s_or_b64 exec, exec, s[34:35]
	s_and_saveexec_b64 s[34:35], s[0:1]
	s_cbranch_execnz .LBB274_84
	s_branch .LBB274_85
.LBB274_215:                            ;   in Loop: Header=BB274_9 Depth=1
	v_cmp_eq_u16_e64 s[0:1], s43, v2
	s_mov_b64 s[34:35], -1
                                        ; implicit-def: $sgpr45
	s_and_saveexec_b64 s[38:39], s[0:1]
; %bb.216:                              ;   in Loop: Header=BB274_9 Depth=1
	s_mov_b32 s45, 0x7fc02000
	s_xor_b64 s[34:35], exec, -1
; %bb.217:                              ;   in Loop: Header=BB274_9 Depth=1
	s_or_b64 exec, exec, s[38:39]
	s_and_b64 s[34:35], s[34:35], exec
	s_or_saveexec_b64 s[36:37], s[36:37]
	v_mov_b32_e32 v42, s45
	s_xor_b64 exec, exec, s[36:37]
	s_cbranch_execz .LBB274_87
.LBB274_218:                            ;   in Loop: Header=BB274_9 Depth=1
	v_cmp_ne_u16_e64 s[0:1], 0, v2
	s_andn2_b64 s[34:35], s[34:35], exec
	s_and_b64 s[0:1], s[0:1], exec
	v_mov_b32_e32 v42, 0
	s_or_b64 s[34:35], s[34:35], s[0:1]
	s_or_b64 exec, exec, s[36:37]
	s_and_saveexec_b64 s[36:37], s[34:35]
	s_cbranch_execnz .LBB274_88
	s_branch .LBB274_89
.LBB274_219:                            ;   in Loop: Header=BB274_9 Depth=1
	v_cmp_eq_u16_sdwa s[46:47], v12, s43 src0_sel:BYTE_0 src1_sel:DWORD
	s_mov_b64 s[0:1], -1
                                        ; implicit-def: $sgpr38
	s_and_saveexec_b64 s[36:37], s[46:47]
; %bb.220:                              ;   in Loop: Header=BB274_9 Depth=1
	s_mov_b32 s38, 0x7fc02000
	s_xor_b64 s[0:1], exec, -1
; %bb.221:                              ;   in Loop: Header=BB274_9 Depth=1
	s_or_b64 exec, exec, s[36:37]
	s_and_b64 s[0:1], s[0:1], exec
	s_or_saveexec_b64 s[34:35], s[34:35]
	v_mov_b32_e32 v43, s38
	s_xor_b64 exec, exec, s[34:35]
	s_cbranch_execz .LBB274_91
.LBB274_222:                            ;   in Loop: Header=BB274_9 Depth=1
	v_cmp_ne_u16_sdwa s[36:37], v12, v3 src0_sel:BYTE_0 src1_sel:DWORD
	s_andn2_b64 s[0:1], s[0:1], exec
	s_and_b64 s[36:37], s[36:37], exec
	v_mov_b32_e32 v43, 0
	s_or_b64 s[0:1], s[0:1], s[36:37]
	s_or_b64 exec, exec, s[34:35]
	s_and_saveexec_b64 s[34:35], s[0:1]
	s_cbranch_execnz .LBB274_92
	s_branch .LBB274_93
.LBB274_223:                            ;   in Loop: Header=BB274_9 Depth=1
	v_cmp_eq_u16_e64 s[0:1], s43, v2
	s_mov_b64 s[34:35], -1
                                        ; implicit-def: $sgpr45
	s_and_saveexec_b64 s[38:39], s[0:1]
; %bb.224:                              ;   in Loop: Header=BB274_9 Depth=1
	s_mov_b32 s45, 0x7fc02000
	s_xor_b64 s[34:35], exec, -1
; %bb.225:                              ;   in Loop: Header=BB274_9 Depth=1
	s_or_b64 exec, exec, s[38:39]
	s_and_b64 s[34:35], s[34:35], exec
	s_or_saveexec_b64 s[36:37], s[36:37]
	v_mov_b32_e32 v44, s45
	s_xor_b64 exec, exec, s[36:37]
	s_cbranch_execz .LBB274_95
.LBB274_226:                            ;   in Loop: Header=BB274_9 Depth=1
	v_cmp_ne_u16_e64 s[0:1], 0, v2
	s_andn2_b64 s[34:35], s[34:35], exec
	s_and_b64 s[0:1], s[0:1], exec
	v_mov_b32_e32 v44, 0
	s_or_b64 s[34:35], s[34:35], s[0:1]
	s_or_b64 exec, exec, s[36:37]
	s_and_saveexec_b64 s[36:37], s[34:35]
	s_cbranch_execnz .LBB274_96
	s_branch .LBB274_97
.LBB274_227:                            ;   in Loop: Header=BB274_9 Depth=1
	v_cmp_eq_u16_sdwa s[46:47], v2, s43 src0_sel:BYTE_0 src1_sel:DWORD
	s_mov_b64 s[0:1], -1
                                        ; implicit-def: $sgpr38
	s_and_saveexec_b64 s[36:37], s[46:47]
; %bb.228:                              ;   in Loop: Header=BB274_9 Depth=1
	s_mov_b32 s38, 0x7fc02000
	s_xor_b64 s[0:1], exec, -1
; %bb.229:                              ;   in Loop: Header=BB274_9 Depth=1
	s_or_b64 exec, exec, s[36:37]
	s_and_b64 s[0:1], s[0:1], exec
	s_or_saveexec_b64 s[34:35], s[34:35]
	v_mov_b32_e32 v45, s38
	s_xor_b64 exec, exec, s[34:35]
	s_cbranch_execz .LBB274_99
.LBB274_230:                            ;   in Loop: Header=BB274_9 Depth=1
	v_cmp_ne_u16_sdwa s[36:37], v2, v3 src0_sel:BYTE_0 src1_sel:DWORD
	s_andn2_b64 s[0:1], s[0:1], exec
	s_and_b64 s[36:37], s[36:37], exec
	v_mov_b32_e32 v45, 0
	s_or_b64 s[0:1], s[0:1], s[36:37]
	s_or_b64 exec, exec, s[34:35]
	s_and_saveexec_b64 s[34:35], s[0:1]
	s_cbranch_execnz .LBB274_100
	s_branch .LBB274_101
.LBB274_231:                            ;   in Loop: Header=BB274_9 Depth=1
	v_cmp_eq_u16_e64 s[0:1], s43, v2
	s_mov_b64 s[34:35], -1
                                        ; implicit-def: $sgpr45
	s_and_saveexec_b64 s[38:39], s[0:1]
; %bb.232:                              ;   in Loop: Header=BB274_9 Depth=1
	s_mov_b32 s45, 0x7fc02000
	s_xor_b64 s[34:35], exec, -1
; %bb.233:                              ;   in Loop: Header=BB274_9 Depth=1
	s_or_b64 exec, exec, s[38:39]
	s_and_b64 s[34:35], s[34:35], exec
	s_or_saveexec_b64 s[36:37], s[36:37]
	v_mov_b32_e32 v46, s45
	s_xor_b64 exec, exec, s[36:37]
	s_cbranch_execz .LBB274_103
.LBB274_234:                            ;   in Loop: Header=BB274_9 Depth=1
	v_cmp_ne_u16_e64 s[0:1], 0, v2
	s_andn2_b64 s[34:35], s[34:35], exec
	s_and_b64 s[0:1], s[0:1], exec
	v_mov_b32_e32 v46, 0
	s_or_b64 s[34:35], s[34:35], s[0:1]
	s_or_b64 exec, exec, s[36:37]
	s_and_saveexec_b64 s[36:37], s[34:35]
	s_cbranch_execnz .LBB274_104
	s_branch .LBB274_105
.LBB274_235:                            ;   in Loop: Header=BB274_9 Depth=1
	v_cmp_eq_u16_sdwa s[46:47], v12, s43 src0_sel:BYTE_0 src1_sel:DWORD
	s_mov_b64 s[0:1], -1
                                        ; implicit-def: $sgpr38
	s_and_saveexec_b64 s[36:37], s[46:47]
; %bb.236:                              ;   in Loop: Header=BB274_9 Depth=1
	s_mov_b32 s38, 0x7fc02000
	s_xor_b64 s[0:1], exec, -1
; %bb.237:                              ;   in Loop: Header=BB274_9 Depth=1
	s_or_b64 exec, exec, s[36:37]
	s_and_b64 s[0:1], s[0:1], exec
	s_or_saveexec_b64 s[34:35], s[34:35]
	v_mov_b32_e32 v47, s38
	s_xor_b64 exec, exec, s[34:35]
	s_cbranch_execz .LBB274_107
.LBB274_238:                            ;   in Loop: Header=BB274_9 Depth=1
	v_cmp_ne_u16_sdwa s[36:37], v12, v3 src0_sel:BYTE_0 src1_sel:DWORD
	s_andn2_b64 s[0:1], s[0:1], exec
	s_and_b64 s[36:37], s[36:37], exec
	v_mov_b32_e32 v47, 0
	s_or_b64 s[0:1], s[0:1], s[36:37]
	s_or_b64 exec, exec, s[34:35]
	s_and_saveexec_b64 s[34:35], s[0:1]
	s_cbranch_execnz .LBB274_108
	s_branch .LBB274_109
.LBB274_239:                            ;   in Loop: Header=BB274_9 Depth=1
	v_cmp_eq_u16_e64 s[0:1], s43, v2
	s_mov_b64 s[34:35], -1
                                        ; implicit-def: $sgpr45
	s_and_saveexec_b64 s[38:39], s[0:1]
; %bb.240:                              ;   in Loop: Header=BB274_9 Depth=1
	s_mov_b32 s45, 0x7fc02000
	s_xor_b64 s[34:35], exec, -1
; %bb.241:                              ;   in Loop: Header=BB274_9 Depth=1
	s_or_b64 exec, exec, s[38:39]
	s_and_b64 s[34:35], s[34:35], exec
	s_or_saveexec_b64 s[36:37], s[36:37]
	v_mov_b32_e32 v48, s45
	s_xor_b64 exec, exec, s[36:37]
	s_cbranch_execz .LBB274_111
.LBB274_242:                            ;   in Loop: Header=BB274_9 Depth=1
	v_cmp_ne_u16_e64 s[0:1], 0, v2
	s_andn2_b64 s[34:35], s[34:35], exec
	s_and_b64 s[0:1], s[0:1], exec
	v_mov_b32_e32 v48, 0
	s_or_b64 s[34:35], s[34:35], s[0:1]
	s_or_b64 exec, exec, s[36:37]
	s_and_saveexec_b64 s[36:37], s[34:35]
	s_cbranch_execnz .LBB274_112
	s_branch .LBB274_113
.LBB274_243:                            ;   in Loop: Header=BB274_9 Depth=1
	v_cmp_eq_u16_sdwa s[46:47], v2, s43 src0_sel:BYTE_0 src1_sel:DWORD
	s_mov_b64 s[0:1], -1
                                        ; implicit-def: $sgpr38
	s_and_saveexec_b64 s[36:37], s[46:47]
; %bb.244:                              ;   in Loop: Header=BB274_9 Depth=1
	s_mov_b32 s38, 0x7fc02000
	s_xor_b64 s[0:1], exec, -1
; %bb.245:                              ;   in Loop: Header=BB274_9 Depth=1
	s_or_b64 exec, exec, s[36:37]
	s_and_b64 s[0:1], s[0:1], exec
	s_or_saveexec_b64 s[34:35], s[34:35]
	v_mov_b32_e32 v49, s38
	s_xor_b64 exec, exec, s[34:35]
	s_cbranch_execz .LBB274_115
.LBB274_246:                            ;   in Loop: Header=BB274_9 Depth=1
	v_cmp_ne_u16_sdwa s[36:37], v2, v3 src0_sel:BYTE_0 src1_sel:DWORD
	s_andn2_b64 s[0:1], s[0:1], exec
	s_and_b64 s[36:37], s[36:37], exec
	v_mov_b32_e32 v49, 0
	s_or_b64 s[0:1], s[0:1], s[36:37]
	s_or_b64 exec, exec, s[34:35]
	s_and_saveexec_b64 s[34:35], s[0:1]
	s_cbranch_execnz .LBB274_116
	s_branch .LBB274_117
.LBB274_247:                            ;   in Loop: Header=BB274_9 Depth=1
	v_cmp_eq_u16_e64 s[0:1], s43, v2
	s_mov_b64 s[34:35], -1
                                        ; implicit-def: $sgpr45
	s_and_saveexec_b64 s[38:39], s[0:1]
; %bb.248:                              ;   in Loop: Header=BB274_9 Depth=1
	s_mov_b32 s45, 0x7fc02000
	s_xor_b64 s[34:35], exec, -1
; %bb.249:                              ;   in Loop: Header=BB274_9 Depth=1
	s_or_b64 exec, exec, s[38:39]
	s_and_b64 s[34:35], s[34:35], exec
	s_or_saveexec_b64 s[36:37], s[36:37]
	v_mov_b32_e32 v50, s45
	s_xor_b64 exec, exec, s[36:37]
	s_cbranch_execz .LBB274_119
.LBB274_250:                            ;   in Loop: Header=BB274_9 Depth=1
	v_cmp_ne_u16_e64 s[0:1], 0, v2
	s_andn2_b64 s[34:35], s[34:35], exec
	s_and_b64 s[0:1], s[0:1], exec
	v_mov_b32_e32 v50, 0
	s_or_b64 s[34:35], s[34:35], s[0:1]
	s_or_b64 exec, exec, s[36:37]
	s_and_saveexec_b64 s[36:37], s[34:35]
	s_cbranch_execnz .LBB274_120
	s_branch .LBB274_121
.LBB274_251:                            ;   in Loop: Header=BB274_9 Depth=1
	v_cmp_eq_u16_sdwa s[46:47], v10, s43 src0_sel:BYTE_0 src1_sel:DWORD
	s_mov_b64 s[0:1], -1
                                        ; implicit-def: $sgpr38
	s_and_saveexec_b64 s[36:37], s[46:47]
; %bb.252:                              ;   in Loop: Header=BB274_9 Depth=1
	s_mov_b32 s38, 0x7fc02000
	s_xor_b64 s[0:1], exec, -1
; %bb.253:                              ;   in Loop: Header=BB274_9 Depth=1
	s_or_b64 exec, exec, s[36:37]
	s_and_b64 s[0:1], s[0:1], exec
	s_or_saveexec_b64 s[34:35], s[34:35]
	v_mov_b32_e32 v11, s38
	s_xor_b64 exec, exec, s[34:35]
	s_cbranch_execz .LBB274_123
.LBB274_254:                            ;   in Loop: Header=BB274_9 Depth=1
	v_cmp_ne_u16_sdwa s[36:37], v10, v3 src0_sel:BYTE_0 src1_sel:DWORD
	s_andn2_b64 s[0:1], s[0:1], exec
	s_and_b64 s[36:37], s[36:37], exec
	v_mov_b32_e32 v11, 0
	s_or_b64 s[0:1], s[0:1], s[36:37]
	s_or_b64 exec, exec, s[34:35]
	s_and_saveexec_b64 s[34:35], s[0:1]
	s_cbranch_execnz .LBB274_124
	s_branch .LBB274_125
.LBB274_255:                            ;   in Loop: Header=BB274_9 Depth=1
	v_cmp_eq_u16_e64 s[0:1], s43, v2
	s_mov_b64 s[34:35], -1
                                        ; implicit-def: $sgpr45
	s_and_saveexec_b64 s[38:39], s[0:1]
; %bb.256:                              ;   in Loop: Header=BB274_9 Depth=1
	s_mov_b32 s45, 0x7fc02000
	s_xor_b64 s[34:35], exec, -1
; %bb.257:                              ;   in Loop: Header=BB274_9 Depth=1
	s_or_b64 exec, exec, s[38:39]
	s_and_b64 s[34:35], s[34:35], exec
	s_or_saveexec_b64 s[36:37], s[36:37]
	v_mov_b32_e32 v12, s45
	s_xor_b64 exec, exec, s[36:37]
	s_cbranch_execz .LBB274_127
.LBB274_258:                            ;   in Loop: Header=BB274_9 Depth=1
	v_cmp_ne_u16_e64 s[0:1], 0, v2
	s_andn2_b64 s[34:35], s[34:35], exec
	s_and_b64 s[0:1], s[0:1], exec
	v_mov_b32_e32 v12, 0
	s_or_b64 s[34:35], s[34:35], s[0:1]
	s_or_b64 exec, exec, s[36:37]
	s_and_saveexec_b64 s[36:37], s[34:35]
	s_cbranch_execnz .LBB274_128
	s_branch .LBB274_129
.LBB274_259:                            ;   in Loop: Header=BB274_9 Depth=1
	v_cmp_eq_u16_sdwa s[46:47], v2, s43 src0_sel:BYTE_0 src1_sel:DWORD
	s_mov_b64 s[0:1], -1
                                        ; implicit-def: $sgpr38
	s_and_saveexec_b64 s[36:37], s[46:47]
; %bb.260:                              ;   in Loop: Header=BB274_9 Depth=1
	s_mov_b32 s38, 0x7fc02000
	s_xor_b64 s[0:1], exec, -1
; %bb.261:                              ;   in Loop: Header=BB274_9 Depth=1
	s_or_b64 exec, exec, s[36:37]
	s_and_b64 s[0:1], s[0:1], exec
	s_or_saveexec_b64 s[34:35], s[34:35]
	v_mov_b32_e32 v51, s38
	s_xor_b64 exec, exec, s[34:35]
	s_cbranch_execz .LBB274_131
.LBB274_262:                            ;   in Loop: Header=BB274_9 Depth=1
	v_cmp_ne_u16_sdwa s[36:37], v2, v3 src0_sel:BYTE_0 src1_sel:DWORD
	s_andn2_b64 s[0:1], s[0:1], exec
	s_and_b64 s[36:37], s[36:37], exec
	v_mov_b32_e32 v51, 0
	s_or_b64 s[0:1], s[0:1], s[36:37]
	s_or_b64 exec, exec, s[34:35]
	s_and_saveexec_b64 s[34:35], s[0:1]
	s_cbranch_execnz .LBB274_132
	s_branch .LBB274_133
.LBB274_263:                            ;   in Loop: Header=BB274_9 Depth=1
	v_cmp_eq_u16_e64 s[0:1], s43, v2
	s_mov_b64 s[34:35], -1
                                        ; implicit-def: $sgpr45
	s_and_saveexec_b64 s[38:39], s[0:1]
; %bb.264:                              ;   in Loop: Header=BB274_9 Depth=1
	s_mov_b32 s45, 0x7fc02000
	s_xor_b64 s[34:35], exec, -1
; %bb.265:                              ;   in Loop: Header=BB274_9 Depth=1
	s_or_b64 exec, exec, s[38:39]
	s_and_b64 s[34:35], s[34:35], exec
	s_or_saveexec_b64 s[36:37], s[36:37]
	v_mov_b32_e32 v52, s45
	s_xor_b64 exec, exec, s[36:37]
	s_cbranch_execz .LBB274_135
.LBB274_266:                            ;   in Loop: Header=BB274_9 Depth=1
	v_cmp_ne_u16_e64 s[0:1], 0, v2
	s_andn2_b64 s[34:35], s[34:35], exec
	s_and_b64 s[0:1], s[0:1], exec
	v_mov_b32_e32 v52, 0
	s_or_b64 s[34:35], s[34:35], s[0:1]
	s_or_b64 exec, exec, s[36:37]
	s_and_saveexec_b64 s[36:37], s[34:35]
	s_cbranch_execnz .LBB274_136
	s_branch .LBB274_137
.LBB274_267:
	s_or_b64 exec, exec, s[14:15]
.LBB274_268:
	s_or_b64 exec, exec, s[30:31]
	v_xor_b32_e32 v3, 32, v16
	v_cmp_lt_i32_e32 vcc, v3, v2
	v_xor_b32_e32 v6, 16, v16
	v_max_f32_e32 v5, v15, v15
	v_cndmask_b32_e32 v3, v16, v3, vcc
	v_lshlrev_b32_e32 v3, 2, v3
	ds_bpermute_b32 v4, v3, v15
	v_cmp_lt_i32_e32 vcc, v6, v2
	v_xor_b32_e32 v7, 8, v16
	v_xor_b32_e32 v8, 4, v16
	;; [unrolled: 1-line block ×3, first 2 shown]
	s_waitcnt lgkmcnt(0)
	v_max_f32_e32 v4, v4, v4
	v_max_f32_e32 v5, v5, v4
	v_cndmask_b32_e32 v4, v16, v6, vcc
	v_lshlrev_b32_e32 v4, 2, v4
	ds_bpermute_b32 v6, v4, v5
	v_cmp_lt_i32_e32 vcc, v7, v2
	v_and_b32_e32 v15, 63, v0
	s_waitcnt lgkmcnt(0)
	v_max_f32_e32 v6, v6, v6
	v_max_f32_e32 v6, v5, v6
	v_cndmask_b32_e32 v5, v16, v7, vcc
	v_lshlrev_b32_e32 v5, 2, v5
	ds_bpermute_b32 v7, v5, v6
	v_cmp_lt_i32_e32 vcc, v8, v2
	s_waitcnt lgkmcnt(0)
	v_max_f32_e32 v7, v7, v7
	v_max_f32_e32 v7, v6, v7
	v_cndmask_b32_e32 v6, v16, v8, vcc
	v_lshlrev_b32_e32 v6, 2, v6
	ds_bpermute_b32 v8, v6, v7
	v_cmp_lt_i32_e32 vcc, v9, v2
	s_waitcnt lgkmcnt(0)
	v_max_f32_e32 v8, v8, v8
	v_max_f32_e32 v8, v7, v8
	v_cndmask_b32_e32 v7, v16, v9, vcc
	v_lshlrev_b32_e32 v22, 2, v7
	ds_bpermute_b32 v9, v22, v8
	v_cmp_eq_u32_e32 vcc, 0, v15
	v_lshlrev_b32_e32 v7, 2, v1
	s_and_saveexec_b64 s[0:1], vcc
	s_cbranch_execz .LBB274_270
; %bb.269:
	s_waitcnt lgkmcnt(0)
	v_max_f32_e32 v9, v9, v9
	v_max_f32_e32 v8, v8, v8
	;; [unrolled: 1-line block ×3, first 2 shown]
	ds_write_b32 v7, v8 offset:128
.LBB274_270:
	s_or_b64 exec, exec, s[0:1]
	v_cmp_gt_u32_e64 s[0:1], 2, v15
	s_waitcnt lgkmcnt(0)
	v_mov_b32_e32 v9, 0xff7fffff
	v_lshlrev_b32_e32 v8, 2, v15
	s_barrier
	s_and_saveexec_b64 s[2:3], s[0:1]
	s_cbranch_execz .LBB274_272
; %bb.271:
	ds_read_b32 v9, v8 offset:128
.LBB274_272:
	s_or_b64 exec, exec, s[2:3]
	v_xor_b32_e32 v10, 1, v16
	v_cmp_lt_i32_e64 s[2:3], v10, v2
	s_nop 1
	v_cndmask_b32_e64 v2, v16, v10, s[2:3]
	v_lshlrev_b32_e32 v23, 2, v2
	s_waitcnt lgkmcnt(0)
	ds_bpermute_b32 v2, v23, v9
	v_max_f32_e32 v9, v9, v9
	v_lshlrev_b32_e32 v10, 2, v16
	s_lshl_b32 s2, s19, 5
	s_min_i32 s30, s2, s33
	s_waitcnt lgkmcnt(0)
	v_max_f32_e32 v2, v2, v2
	v_max_f32_e32 v9, v9, v2
	v_and_b32_e32 v2, 0xffffff00, v10
	ds_bpermute_b32 v10, v2, v9
	v_cmp_gt_i32_e64 s[2:3], s30, v0
	v_mov_b32_e32 v9, 0
	s_and_saveexec_b64 s[14:15], s[2:3]
	s_cbranch_execz .LBB274_276
; %bb.273:
	v_mov_b32_e32 v9, 0x90
	v_lshl_add_u32 v11, v0, 2, v9
	s_mov_b64 s[28:29], 0
	v_mov_b32_e32 v9, 0
	v_mov_b32_e32 v12, v0
.LBB274_274:                            ; =>This Inner Loop Header: Depth=1
	ds_read_b32 v16, v11
	v_add_u32_e32 v12, 0x80, v12
	v_cmp_le_i32_e64 s[8:9], s30, v12
	s_or_b64 s[28:29], s[8:9], s[28:29]
	s_waitcnt lgkmcnt(0)
	v_sub_f32_e32 v16, v16, v10
	v_mul_f32_e32 v16, 0x3fb8aa3b, v16
	v_exp_f32_e32 v16, v16
	ds_write_b32 v11, v16
	v_add_f32_e32 v9, v9, v16
	v_add_u32_e32 v11, 0x200, v11
	s_andn2_b64 exec, exec, s[28:29]
	s_cbranch_execnz .LBB274_274
; %bb.275:
	s_or_b64 exec, exec, s[28:29]
.LBB274_276:
	s_or_b64 exec, exec, s[14:15]
	ds_bpermute_b32 v3, v3, v9
	s_waitcnt lgkmcnt(0)
	v_add_f32_e32 v3, v9, v3
	ds_bpermute_b32 v4, v4, v3
	s_waitcnt lgkmcnt(0)
	v_add_f32_e32 v3, v3, v4
	;; [unrolled: 3-line block ×6, first 2 shown]
	s_and_saveexec_b64 s[8:9], vcc
	s_cbranch_execz .LBB274_278
; %bb.277:
	ds_write_b32 v7, v3 offset:136
.LBB274_278:
	s_or_b64 exec, exec, s[8:9]
	s_waitcnt lgkmcnt(0)
	s_barrier
	s_and_saveexec_b64 s[8:9], s[0:1]
	s_cbranch_execz .LBB274_280
; %bb.279:
	ds_read_b32 v3, v8 offset:136
.LBB274_280:
	s_or_b64 exec, exec, s[8:9]
	s_waitcnt lgkmcnt(0)
	ds_bpermute_b32 v4, v23, v3
	s_waitcnt lgkmcnt(0)
	v_add_f32_e32 v3, v3, v4
	ds_bpermute_b32 v2, v2, v3
	s_and_saveexec_b64 s[0:1], s[2:3]
	s_cbranch_execz .LBB274_293
; %bb.281:
	s_waitcnt lgkmcnt(0)
	v_add_f32_e32 v2, 0x358637bd, v2
	v_div_scale_f32 v3, s[2:3], v2, v2, 1.0
	v_rcp_f32_e32 v4, v3
	v_div_scale_f32 v5, vcc, 1.0, v2, 1.0
	s_movk_i32 s2, 0x7f
	v_fma_f32 v6, -v3, v4, 1.0
	v_fmac_f32_e32 v4, v6, v4
	v_mul_f32_e32 v6, v5, v4
	v_fma_f32 v7, -v3, v6, v5
	v_fmac_f32_e32 v6, v7, v4
	v_fma_f32 v3, -v3, v6, v5
	v_div_fmas_f32 v3, v3, v4, v6
	v_xad_u32 v4, v0, -1, s30
	v_div_fixup_f32 v2, v3, v2, 1.0
	v_cmp_lt_u32_e32 vcc, s2, v4
	s_mov_b64 s[8:9], -1
	v_mov_b32_e32 v3, v0
	s_and_saveexec_b64 s[2:3], vcc
	s_cbranch_execz .LBB274_290
; %bb.282:
	v_lshrrev_b32_e32 v4, 7, v4
	v_add_u32_e32 v6, -1, v4
	v_lshrrev_b32_e32 v5, 1, v6
	v_mov_b32_e32 v3, v2
	v_add_u32_e32 v5, 1, v5
	v_cmp_lt_u32_e32 vcc, 13, v6
	v_mov_b32_e32 v8, 0
	s_and_saveexec_b64 s[8:9], vcc
	s_cbranch_execz .LBB274_286
; %bb.283:
	v_mov_b32_e32 v7, 0x90
	v_and_b32_e32 v6, -8, v5
	v_lshl_add_u32 v7, v0, 2, v7
	s_mov_b32 s28, 0
	s_mov_b64 s[14:15], 0
.LBB274_284:                            ; =>This Inner Loop Header: Depth=1
	ds_read2st64_b32 v[8:9], v7 offset1:2
	ds_read2st64_b32 v[10:11], v7 offset0:4 offset1:6
	ds_read2st64_b32 v[16:17], v7 offset0:8 offset1:10
	;; [unrolled: 1-line block ×3, first 2 shown]
	v_add_u32_e32 v6, -8, v6
	s_waitcnt lgkmcnt(3)
	v_pk_mul_f32 v[8:9], v[2:3], v[8:9]
	s_waitcnt lgkmcnt(2)
	v_pk_mul_f32 v[10:11], v[2:3], v[10:11]
	ds_write2st64_b32 v7, v8, v9 offset1:2
	ds_write2st64_b32 v7, v10, v11 offset0:4 offset1:6
	ds_read2st64_b32 v[10:11], v7 offset0:16 offset1:18
	s_waitcnt lgkmcnt(4)
	v_pk_mul_f32 v[8:9], v[2:3], v[16:17]
	ds_write2st64_b32 v7, v8, v9 offset0:8 offset1:10
	s_waitcnt lgkmcnt(4)
	v_pk_mul_f32 v[8:9], v[2:3], v[18:19]
	ds_write2st64_b32 v7, v8, v9 offset0:12 offset1:14
	ds_read2st64_b32 v[8:9], v7 offset0:20 offset1:22
	s_waitcnt lgkmcnt(3)
	v_pk_mul_f32 v[10:11], v[2:3], v[10:11]
	ds_read2st64_b32 v[16:17], v7 offset0:24 offset1:26
	ds_write2st64_b32 v7, v10, v11 offset0:16 offset1:18
	ds_read2st64_b32 v[10:11], v7 offset0:28 offset1:30
	s_waitcnt lgkmcnt(3)
	v_pk_mul_f32 v[8:9], v[2:3], v[8:9]
	ds_write2st64_b32 v7, v8, v9 offset0:20 offset1:22
	s_waitcnt lgkmcnt(3)
	v_pk_mul_f32 v[8:9], v[2:3], v[16:17]
	ds_write2st64_b32 v7, v8, v9 offset0:24 offset1:26
	s_waitcnt lgkmcnt(2)
	v_pk_mul_f32 v[8:9], v[2:3], v[10:11]
	s_add_i32 s28, s28, 16
	v_cmp_eq_u32_e32 vcc, 0, v6
	ds_write2st64_b32 v7, v8, v9 offset0:28 offset1:30
	v_add_u32_e32 v7, 0x2000, v7
	s_or_b64 s[14:15], vcc, s[14:15]
	v_mov_b32_e32 v8, s28
	s_andn2_b64 exec, exec, s[14:15]
	s_cbranch_execnz .LBB274_284
; %bb.285:
	s_or_b64 exec, exec, s[14:15]
.LBB274_286:
	s_or_b64 exec, exec, s[8:9]
	v_and_b32_e32 v5, 7, v5
	v_cmp_ne_u32_e32 vcc, 0, v5
	s_and_saveexec_b64 s[8:9], vcc
	s_cbranch_execz .LBB274_289
; %bb.287:
	v_lshlrev_b32_e32 v6, 9, v8
	v_lshlrev_b32_e32 v7, 2, v0
	s_movk_i32 s14, 0x90
	v_add3_u32 v6, v6, v7, s14
	s_mov_b64 s[14:15], 0
.LBB274_288:                            ; =>This Inner Loop Header: Depth=1
	ds_read2st64_b32 v[8:9], v6 offset1:2
	v_add_u32_e32 v5, -1, v5
	v_cmp_eq_u32_e32 vcc, 0, v5
	s_or_b64 s[14:15], vcc, s[14:15]
	s_waitcnt lgkmcnt(0)
	v_pk_mul_f32 v[8:9], v[2:3], v[8:9]
	ds_write2st64_b32 v6, v8, v9 offset1:2
	v_add_u32_e32 v6, 0x400, v6
	s_andn2_b64 exec, exec, s[14:15]
	s_cbranch_execnz .LBB274_288
.LBB274_289:
	s_or_b64 exec, exec, s[8:9]
	v_add_u32_e32 v4, 1, v4
	v_and_b32_e32 v5, 0x3fffffe, v4
	v_cmp_ne_u32_e32 vcc, v4, v5
	v_lshl_add_u32 v3, v5, 7, v0
	s_orn2_b64 s[8:9], vcc, exec
.LBB274_290:
	s_or_b64 exec, exec, s[2:3]
	s_and_b64 exec, exec, s[8:9]
	s_cbranch_execz .LBB274_293
; %bb.291:
	v_mov_b32_e32 v4, 0x90
	v_lshl_add_u32 v4, v3, 2, v4
	s_mov_b64 s[2:3], 0
.LBB274_292:                            ; =>This Inner Loop Header: Depth=1
	ds_read_b32 v5, v4
	v_add_u32_e32 v3, 0x80, v3
	v_cmp_le_i32_e32 vcc, s30, v3
	s_or_b64 s[2:3], vcc, s[2:3]
	s_waitcnt lgkmcnt(0)
	v_mul_f32_e32 v5, v2, v5
	ds_write_b32 v4, v5
	v_add_u32_e32 v4, 0x200, v4
	s_andn2_b64 exec, exec, s[2:3]
	s_cbranch_execnz .LBB274_292
.LBB274_293:
	s_or_b64 exec, exec, s[0:1]
	v_mov_b32_e32 v3, 0
	v_and_b32_e32 v24, 3, v0
	s_waitcnt lgkmcnt(0)
	v_mov_b32_e32 v2, 0
	v_mov_b32_e32 v5, 0
	;; [unrolled: 1-line block ×3, first 2 shown]
	s_barrier
	s_and_saveexec_b64 s[2:3], s[6:7]
	s_cbranch_execz .LBB274_561
; %bb.294:
	s_ashr_i32 s1, s12, 31
	s_add_u32 s0, s26, s12
	s_addc_u32 s1, s27, s1
	v_and_b32_e32 v6, 0x1f8, v13
	v_mov_b32_e32 v7, 0
	v_and_b32_e32 v2, 24, v13
	s_add_i32 s26, s19, -1
	v_lshl_add_u64 v[8:9], s[0:1], 0, v[6:7]
	s_lshl_b64 s[0:1], s[24:25], 2
	v_lshl_or_b32 v25, v1, 5, v2
	v_lshlrev_b32_e32 v2, 5, v24
	s_add_u32 s0, s22, s0
	v_lshl_or_b32 v2, v1, 7, v2
	v_and_b32_e32 v6, 60, v14
	s_addc_u32 s1, s23, s1
	s_mov_b32 s28, s13
	s_mov_b32 s27, s33
	v_add_u32_e32 v26, 0x90, v2
	v_lshl_add_u64 v[10:11], s[0:1], 0, v[6:7]
	s_mov_b64 s[6:7], 0
	s_movk_i32 s22, 0x7f
	s_movk_i32 s23, 0x80
	s_mov_b32 s24, 0x8000
	s_movk_i32 s25, 0x380
	s_mov_b32 s29, 0x3020706
	s_mov_b32 s30, 0x1000504
	;; [unrolled: 1-line block ×3, first 2 shown]
	v_mov_b32_e32 v27, 0x1c00
	v_mov_b32_e32 v4, 0
	;; [unrolled: 1-line block ×5, first 2 shown]
	s_branch .LBB274_296
.LBB274_295:                            ;   in Loop: Header=BB274_296 Depth=1
	s_or_b64 exec, exec, s[0:1]
	;;#ASMSTART
	v_pk_mul_f16 v12, v35, v12;

	;;#ASMEND
	;;#ASMSTART
	v_pk_mul_f16 v6, v36, v6;

	;;#ASMEND
	;; [unrolled: 4-line block ×4, first 2 shown]
	v_add_f32_e32 v16, v39, v40
	;;#ASMSTART
	v_pk_add_f16 v6, v12, v6;

	;;#ASMEND
	v_add_f32_e32 v4, v4, v16
	;;#ASMSTART
	v_pk_add_f16 v6, v6, v13;

	;;#ASMEND
	;; [unrolled: 5-line block ×3, first 2 shown]
	v_add_u32_e32 v1, 2, v1
	v_lshrrev_b32_e32 v12, 16, v6
	v_and_b32_e32 v6, 0xffff, v6
	;;#ASMSTART
	v_cvt_f32_f16 v6, v6;
	;;#ASMEND
	v_add_f32_e32 v5, v5, v16
	v_add_f32_e32 v16, v20, v21
	;;#ASMSTART
	v_cvt_f32_f16 v12, v12;
	;;#ASMEND
	v_cmp_le_i32_e32 vcc, s19, v1
	v_add_f32_e32 v6, v6, v12
	v_add_f32_e32 v2, v2, v16
	;; [unrolled: 1-line block ×3, first 2 shown]
	v_add_u32_e32 v25, 64, v25
	v_add_u32_e32 v26, 0x100, v26
	s_or_b64 s[6:7], vcc, s[6:7]
	v_lshl_add_u64 v[10:11], v[10:11], 0, 8
	s_andn2_b64 exec, exec, s[6:7]
	s_cbranch_execz .LBB274_560
.LBB274_296:                            ; =>This Inner Loop Header: Depth=1
	ds_read2_b64 v[16:19], v26 offset1:1
	ds_read2_b64 v[28:31], v26 offset0:2 offset1:3
                                        ; implicit-def: $sgpr14
	s_waitcnt lgkmcnt(1)
	;;#ASMSTART
	v_cvt_f16_f32 v35, v16;

	;;#ASMEND
	;;#ASMSTART
	v_cvt_f16_f32 v36, v17;

	;;#ASMEND
	;; [unrolled: 4-line block ×4, first 2 shown]
	s_waitcnt lgkmcnt(0)
	;;#ASMSTART
	v_cvt_f16_f32 v39, v28;

	;;#ASMEND
	;;#ASMSTART
	v_cvt_f16_f32 v40, v29;

	;;#ASMEND
	;; [unrolled: 4-line block ×4, first 2 shown]
	global_load_dword v6, v[10:11], off
	s_waitcnt vmcnt(0)
	v_mad_i64_i32 v[12:13], s[0:1], v6, s28, v[8:9]
	global_load_dwordx2 v[16:17], v[12:13], off
	global_load_dword v14, v7, s[10:11]
	s_mov_b64 s[0:1], 0
	s_waitcnt vmcnt(1)
	v_cmp_gt_i16_sdwa s[8:9], v16, s22 src0_sel:BYTE_0 src1_sel:DWORD
	s_and_saveexec_b64 s[12:13], s[8:9]
	s_xor_b64 s[8:9], exec, s[12:13]
	s_cbranch_execnz .LBB274_432
; %bb.297:                              ;   in Loop: Header=BB274_296 Depth=1
	s_or_saveexec_b64 s[8:9], s[8:9]
	v_mov_b32_e32 v18, s14
	s_xor_b64 exec, exec, s[8:9]
	s_cbranch_execnz .LBB274_435
.LBB274_298:                            ;   in Loop: Header=BB274_296 Depth=1
	s_or_b64 exec, exec, s[8:9]
	s_and_saveexec_b64 s[8:9], s[0:1]
	s_cbranch_execz .LBB274_300
.LBB274_299:                            ;   in Loop: Header=BB274_296 Depth=1
	v_and_b32_e32 v6, 7, v16
	v_ffbh_u32_e32 v6, v6
	v_bfe_u32 v18, v16, 3, 4
	v_min_u32_e32 v6, 32, v6
	v_subrev_u32_e32 v19, 28, v6
	v_sub_u32_e32 v6, 29, v6
	v_cmp_eq_u32_e32 vcc, 0, v18
	s_nop 1
	v_cndmask_b32_e32 v6, v18, v6, vcc
	v_cndmask_b32_e32 v18, 0, v19, vcc
	v_lshlrev_b64 v[18:19], v18, v[16:17]
	v_lshlrev_b32_e32 v19, 8, v16
	v_lshl_add_u32 v6, v6, 10, v27
	v_lshlrev_b32_e32 v18, 7, v18
	v_and_or_b32 v6, v19, s24, v6
	v_and_or_b32 v6, v18, s25, v6
	v_cvt_f32_f16_e32 v18, v6
.LBB274_300:                            ;   in Loop: Header=BB274_296 Depth=1
	s_or_b64 exec, exec, s[8:9]
	v_lshrrev_b16_e32 v6, 8, v16
	v_cmp_lt_i16_e32 vcc, s22, v6
	s_mov_b64 s[0:1], 0
                                        ; implicit-def: $sgpr14
	s_and_saveexec_b64 s[8:9], vcc
	s_xor_b64 s[8:9], exec, s[8:9]
	s_cbranch_execnz .LBB274_436
; %bb.301:                              ;   in Loop: Header=BB274_296 Depth=1
	s_or_saveexec_b64 s[8:9], s[8:9]
	v_mov_b32_e32 v20, s14
	s_xor_b64 exec, exec, s[8:9]
	s_cbranch_execnz .LBB274_439
.LBB274_302:                            ;   in Loop: Header=BB274_296 Depth=1
	s_or_b64 exec, exec, s[8:9]
	s_and_saveexec_b64 s[8:9], s[0:1]
	s_cbranch_execz .LBB274_304
.LBB274_303:                            ;   in Loop: Header=BB274_296 Depth=1
	v_and_b32_e32 v19, 7, v6
	v_ffbh_u32_e32 v20, v19
	v_min_u32_e32 v29, 32, v20
	v_subrev_u32_e32 v20, 28, v29
	v_bfe_u32 v28, v6, 3, 4
	v_lshlrev_b64 v[20:21], v20, v[6:7]
	v_sub_u32_e32 v21, 29, v29
	v_cmp_eq_u32_e32 vcc, 0, v28
	v_and_b32_e32 v20, 7, v20
	v_lshlrev_b32_e32 v6, 8, v6
	v_cndmask_b32_e32 v21, v28, v21, vcc
	v_cndmask_b32_e32 v19, v19, v20, vcc
	v_lshl_add_u32 v20, v21, 10, v27
	v_and_or_b32 v6, v6, s24, v20
	v_lshl_or_b32 v6, v19, 7, v6
	v_cvt_f32_f16_e32 v20, v6
.LBB274_304:                            ;   in Loop: Header=BB274_296 Depth=1
	s_or_b64 exec, exec, s[8:9]
	v_lshrrev_b32_e32 v6, 16, v16
	v_cmp_gt_i16_sdwa s[8:9], v6, s22 src0_sel:BYTE_0 src1_sel:DWORD
	s_mov_b64 s[0:1], 0
                                        ; implicit-def: $sgpr14
	s_and_saveexec_b64 s[12:13], s[8:9]
	s_xor_b64 s[8:9], exec, s[12:13]
	s_cbranch_execnz .LBB274_440
; %bb.305:                              ;   in Loop: Header=BB274_296 Depth=1
	s_or_saveexec_b64 s[8:9], s[8:9]
	v_mov_b32_e32 v19, s14
	s_xor_b64 exec, exec, s[8:9]
	s_cbranch_execnz .LBB274_443
.LBB274_306:                            ;   in Loop: Header=BB274_296 Depth=1
	s_or_b64 exec, exec, s[8:9]
	s_and_saveexec_b64 s[8:9], s[0:1]
	s_cbranch_execz .LBB274_308
.LBB274_307:                            ;   in Loop: Header=BB274_296 Depth=1
	v_bfe_u32 v19, v16, 16, 3
	v_ffbh_u32_e32 v28, v19
	v_min_u32_e32 v30, 32, v28
	v_subrev_u32_e32 v28, 28, v30
	v_bfe_u32 v21, v16, 19, 4
	v_lshlrev_b64 v[28:29], v28, v[6:7]
	v_sub_u32_e32 v29, 29, v30
	v_cmp_eq_u32_e32 vcc, 0, v21
	v_and_b32_e32 v28, 7, v28
	v_lshlrev_b32_e32 v6, 8, v6
	v_cndmask_b32_e32 v21, v21, v29, vcc
	v_lshl_add_u32 v21, v21, 10, v27
	v_cndmask_b32_e32 v19, v19, v28, vcc
	v_and_or_b32 v6, v6, s24, v21
	v_lshl_or_b32 v6, v19, 7, v6
	v_cvt_f32_f16_e32 v19, v6
.LBB274_308:                            ;   in Loop: Header=BB274_296 Depth=1
	s_or_b64 exec, exec, s[8:9]
	v_lshrrev_b32_e32 v6, 24, v16
	v_cmp_lt_i16_e32 vcc, s22, v6
	s_mov_b64 s[0:1], 0
                                        ; implicit-def: $sgpr14
	s_and_saveexec_b64 s[8:9], vcc
	s_xor_b64 s[8:9], exec, s[8:9]
	s_cbranch_execnz .LBB274_444
; %bb.309:                              ;   in Loop: Header=BB274_296 Depth=1
	s_or_saveexec_b64 s[8:9], s[8:9]
	v_mov_b32_e32 v21, s14
	s_xor_b64 exec, exec, s[8:9]
	s_cbranch_execnz .LBB274_447
.LBB274_310:                            ;   in Loop: Header=BB274_296 Depth=1
	s_or_b64 exec, exec, s[8:9]
	s_and_saveexec_b64 s[8:9], s[0:1]
	s_cbranch_execz .LBB274_312
.LBB274_311:                            ;   in Loop: Header=BB274_296 Depth=1
	v_bfe_u32 v21, v16, 24, 3
	v_ffbh_u32_e32 v28, v21
	v_min_u32_e32 v30, 32, v28
	v_subrev_u32_e32 v28, 28, v30
	v_bfe_u32 v16, v16, 27, 4
	v_lshlrev_b64 v[28:29], v28, v[6:7]
	v_sub_u32_e32 v29, 29, v30
	v_cmp_eq_u32_e32 vcc, 0, v16
	v_and_b32_e32 v28, 7, v28
	v_lshlrev_b32_e32 v6, 8, v6
	v_cndmask_b32_e32 v16, v16, v29, vcc
	v_lshl_add_u32 v16, v16, 10, v27
	v_cndmask_b32_e32 v21, v21, v28, vcc
	v_and_or_b32 v6, v6, s24, v16
	v_lshl_or_b32 v6, v21, 7, v6
	v_cvt_f32_f16_e32 v21, v6
.LBB274_312:                            ;   in Loop: Header=BB274_296 Depth=1
	s_or_b64 exec, exec, s[8:9]
	v_cmp_gt_i16_sdwa s[8:9], v17, s22 src0_sel:BYTE_0 src1_sel:DWORD
	s_mov_b64 s[0:1], 0
                                        ; implicit-def: $sgpr14
	s_and_saveexec_b64 s[12:13], s[8:9]
	s_xor_b64 s[8:9], exec, s[12:13]
	s_cbranch_execnz .LBB274_448
; %bb.313:                              ;   in Loop: Header=BB274_296 Depth=1
	s_or_saveexec_b64 s[8:9], s[8:9]
	v_mov_b32_e32 v16, s14
	s_xor_b64 exec, exec, s[8:9]
	s_cbranch_execnz .LBB274_451
.LBB274_314:                            ;   in Loop: Header=BB274_296 Depth=1
	s_or_b64 exec, exec, s[8:9]
	v_mov_b32_e32 v6, v17
	s_and_saveexec_b64 s[8:9], s[0:1]
	s_cbranch_execz .LBB274_316
.LBB274_315:                            ;   in Loop: Header=BB274_296 Depth=1
	v_and_b32_e32 v16, 7, v17
	v_ffbh_u32_e32 v16, v16
	v_bfe_u32 v28, v17, 3, 4
	v_min_u32_e32 v16, 32, v16
	v_subrev_u32_e32 v29, 28, v16
	v_sub_u32_e32 v16, 29, v16
	v_cmp_eq_u32_e32 vcc, 0, v28
	s_nop 1
	v_cndmask_b32_e32 v16, v28, v16, vcc
	v_cndmask_b32_e32 v28, 0, v29, vcc
	v_lshlrev_b64 v[28:29], v28, v[6:7]
	v_lshlrev_b32_e32 v29, 8, v17
	v_lshl_add_u32 v16, v16, 10, v27
	v_lshlrev_b32_e32 v28, 7, v28
	v_and_or_b32 v16, v29, s24, v16
	v_and_or_b32 v16, v28, s25, v16
	v_cvt_f32_f16_e32 v16, v16
.LBB274_316:                            ;   in Loop: Header=BB274_296 Depth=1
	s_or_b64 exec, exec, s[8:9]
	v_lshrrev_b16_e32 v6, 8, v6
	v_cmp_lt_i16_e32 vcc, s22, v6
	s_mov_b64 s[0:1], 0
                                        ; implicit-def: $sgpr14
	s_and_saveexec_b64 s[8:9], vcc
	s_xor_b64 s[8:9], exec, s[8:9]
	s_cbranch_execnz .LBB274_452
; %bb.317:                              ;   in Loop: Header=BB274_296 Depth=1
	s_or_saveexec_b64 s[8:9], s[8:9]
	v_mov_b32_e32 v28, s14
	s_xor_b64 exec, exec, s[8:9]
	s_cbranch_execnz .LBB274_455
.LBB274_318:                            ;   in Loop: Header=BB274_296 Depth=1
	s_or_b64 exec, exec, s[8:9]
	s_and_saveexec_b64 s[8:9], s[0:1]
	s_cbranch_execz .LBB274_320
.LBB274_319:                            ;   in Loop: Header=BB274_296 Depth=1
	v_and_b32_e32 v30, 7, v6
	v_ffbh_u32_e32 v28, v30
	v_min_u32_e32 v32, 32, v28
	v_subrev_u32_e32 v28, 28, v32
	v_bfe_u32 v31, v6, 3, 4
	v_lshlrev_b64 v[28:29], v28, v[6:7]
	v_sub_u32_e32 v29, 29, v32
	v_cmp_eq_u32_e32 vcc, 0, v31
	v_and_b32_e32 v28, 7, v28
	v_lshlrev_b32_e32 v6, 8, v6
	v_cndmask_b32_e32 v29, v31, v29, vcc
	v_lshl_add_u32 v29, v29, 10, v27
	v_cndmask_b32_e32 v28, v30, v28, vcc
	v_and_or_b32 v6, v6, s24, v29
	v_lshl_or_b32 v6, v28, 7, v6
	v_cvt_f32_f16_e32 v28, v6
.LBB274_320:                            ;   in Loop: Header=BB274_296 Depth=1
	s_or_b64 exec, exec, s[8:9]
	v_lshrrev_b32_e32 v6, 16, v17
	v_cmp_gt_i16_sdwa s[8:9], v6, s22 src0_sel:BYTE_0 src1_sel:DWORD
	s_mov_b64 s[0:1], 0
                                        ; implicit-def: $sgpr14
	s_and_saveexec_b64 s[12:13], s[8:9]
	s_xor_b64 s[8:9], exec, s[12:13]
	s_cbranch_execnz .LBB274_456
; %bb.321:                              ;   in Loop: Header=BB274_296 Depth=1
	s_or_saveexec_b64 s[8:9], s[8:9]
	v_mov_b32_e32 v29, s14
	s_xor_b64 exec, exec, s[8:9]
	s_cbranch_execnz .LBB274_459
.LBB274_322:                            ;   in Loop: Header=BB274_296 Depth=1
	s_or_b64 exec, exec, s[8:9]
	s_and_saveexec_b64 s[8:9], s[0:1]
	s_cbranch_execz .LBB274_324
.LBB274_323:                            ;   in Loop: Header=BB274_296 Depth=1
	v_bfe_u32 v29, v17, 16, 3
	v_ffbh_u32_e32 v30, v29
	v_min_u32_e32 v33, 32, v30
	v_subrev_u32_e32 v30, 28, v33
	v_bfe_u32 v32, v17, 19, 4
	v_lshlrev_b64 v[30:31], v30, v[6:7]
	v_sub_u32_e32 v31, 29, v33
	v_cmp_eq_u32_e32 vcc, 0, v32
	v_and_b32_e32 v30, 7, v30
	v_lshlrev_b32_e32 v6, 8, v6
	v_cndmask_b32_e32 v31, v32, v31, vcc
	v_cndmask_b32_e32 v29, v29, v30, vcc
	v_lshl_add_u32 v30, v31, 10, v27
	v_and_or_b32 v6, v6, s24, v30
	v_lshl_or_b32 v6, v29, 7, v6
	v_cvt_f32_f16_e32 v29, v6
.LBB274_324:                            ;   in Loop: Header=BB274_296 Depth=1
	s_or_b64 exec, exec, s[8:9]
	v_lshrrev_b32_e32 v6, 24, v17
	v_cmp_lt_i16_e32 vcc, s22, v6
	s_mov_b64 s[0:1], 0
                                        ; implicit-def: $sgpr14
	s_and_saveexec_b64 s[8:9], vcc
	s_xor_b64 s[8:9], exec, s[8:9]
	s_cbranch_execnz .LBB274_460
; %bb.325:                              ;   in Loop: Header=BB274_296 Depth=1
	s_or_saveexec_b64 s[8:9], s[8:9]
	v_mov_b32_e32 v30, s14
	s_xor_b64 exec, exec, s[8:9]
	s_cbranch_execnz .LBB274_463
.LBB274_326:                            ;   in Loop: Header=BB274_296 Depth=1
	s_or_b64 exec, exec, s[8:9]
	s_and_saveexec_b64 s[8:9], s[0:1]
	s_cbranch_execz .LBB274_328
.LBB274_327:                            ;   in Loop: Header=BB274_296 Depth=1
	v_bfe_u32 v32, v17, 24, 3
	v_ffbh_u32_e32 v30, v32
	v_min_u32_e32 v33, 32, v30
	v_subrev_u32_e32 v30, 28, v33
	v_bfe_u32 v17, v17, 27, 4
	v_lshlrev_b64 v[30:31], v30, v[6:7]
	v_sub_u32_e32 v31, 29, v33
	v_cmp_eq_u32_e32 vcc, 0, v17
	v_and_b32_e32 v30, 7, v30
	v_lshlrev_b32_e32 v6, 8, v6
	v_cndmask_b32_e32 v17, v17, v31, vcc
	v_lshl_add_u32 v17, v17, 10, v27
	v_cndmask_b32_e32 v30, v32, v30, vcc
	v_and_or_b32 v6, v6, s24, v17
	v_lshl_or_b32 v6, v30, 7, v6
	v_cvt_f32_f16_e32 v30, v6
.LBB274_328:                            ;   in Loop: Header=BB274_296 Depth=1
	s_or_b64 exec, exec, s[8:9]
	s_waitcnt vmcnt(0)
	v_pk_mul_f32 v[20:21], v[14:15], v[20:21] op_sel_hi:[0,1]
	v_pk_mul_f32 v[18:19], v[14:15], v[18:19] op_sel_hi:[0,1]
	v_cvt_f16_f32_e32 v6, v21
	v_cvt_f16_f32_e32 v17, v20
	;; [unrolled: 1-line block ×4, first 2 shown]
	v_fma_mixlo_f16 v16, v14, v16, 0
	v_pack_b32_f16 v17, v17, v6
	v_cmp_eq_u32_e32 vcc, s26, v1
	v_pack_b32_f16 v18, v18, v19
	v_perm_b32 v6, v18, v17, s29
	v_perm_b32 v17, v18, v17, s30
	v_fma_mixlo_f16 v18, v14, v28, 0
	v_lshlrev_b32_e32 v18, 16, v18
	v_or_b32_sdwa v16, v18, v16 dst_sel:DWORD dst_unused:UNUSED_PAD src0_sel:DWORD src1_sel:WORD_0
	v_fma_mixlo_f16 v18, v14, v29, 0
	v_fma_mixlo_f16 v14, v14, v30, 0
	v_lshlrev_b32_e32 v14, 16, v14
	v_or_b32_sdwa v14, v14, v18 dst_sel:DWORD dst_unused:UNUSED_PAD src0_sel:DWORD src1_sel:WORD_0
	v_add_u32_e32 v34, 1, v25
	v_or_b32_e32 v33, 3, v25
	v_or_b32_e32 v32, 2, v25
	;; [unrolled: 1-line block ×6, first 2 shown]
	s_and_saveexec_b64 s[8:9], vcc
	s_cbranch_execz .LBB274_330
; %bb.329:                              ;   in Loop: Header=BB274_296 Depth=1
	v_lshrrev_b32_e32 v19, 16, v17
	v_cmp_gt_i32_e64 s[0:1], s27, v34
	v_lshrrev_b32_e32 v14, 16, v14
	s_nop 0
	v_cndmask_b32_e64 v19, 0, v19, s[0:1]
	v_cmp_gt_i32_e64 s[0:1], s33, v25
	s_nop 1
	v_cndmask_b32_e64 v17, 0, v17, s[0:1]
	v_perm_b32 v17, v19, v17, s31
	v_lshrrev_b32_e32 v19, 16, v6
	v_cmp_gt_i32_e64 s[0:1], s27, v33
	s_nop 1
	v_cndmask_b32_e64 v19, 0, v19, s[0:1]
	v_cmp_gt_i32_e64 s[0:1], s33, v32
	s_nop 1
	v_cndmask_b32_e64 v6, 0, v6, s[0:1]
	v_perm_b32 v6, v19, v6, s31
	v_lshrrev_b32_e32 v19, 16, v16
	v_cmp_gt_i32_e64 s[0:1], s27, v31
	s_nop 1
	v_cndmask_b32_e64 v19, 0, v19, s[0:1]
	v_cmp_gt_i32_e64 s[0:1], s33, v30
	s_nop 1
	v_cndmask_b32_e64 v16, 0, v16, s[0:1]
	v_cmp_gt_i32_e64 s[0:1], s27, v29
	v_perm_b32 v16, v19, v16, s31
	s_nop 0
	v_cndmask_b32_e64 v14, 0, v14, s[0:1]
	v_cmp_gt_i32_e64 s[0:1], s33, v28
	s_nop 1
	v_cndmask_b32_e64 v18, 0, v18, s[0:1]
	v_perm_b32 v14, v14, v18, s31
.LBB274_330:                            ;   in Loop: Header=BB274_296 Depth=1
	s_or_b64 exec, exec, s[8:9]
	v_and_b32_e32 v18, 0xffff, v35
	v_lshl_or_b32 v35, v36, 16, v18
	v_and_b32_e32 v18, 0xffff, v37
	v_lshl_or_b32 v36, v38, 16, v18
	;; [unrolled: 2-line block ×3, first 2 shown]
	v_and_b32_e32 v18, 0xffff, v41
	;;#ASMSTART
	v_pk_mul_f16 v17, v35, v17;

	;;#ASMEND
	;;#ASMSTART
	v_pk_mul_f16 v6, v36, v6;

	;;#ASMEND
	v_lshl_or_b32 v38, v42, 16, v18
	;;#ASMSTART
	v_pk_mul_f16 v16, v37, v16;

	;;#ASMEND
	;;#ASMSTART
	v_pk_mul_f16 v14, v38, v14;

	;;#ASMEND
	;;#ASMSTART
	v_pk_add_f16 v6, v17, v6;

	;;#ASMEND
	s_mov_b64 s[0:1], 0
	;;#ASMSTART
	v_pk_add_f16 v6, v6, v16;

	;;#ASMEND
                                        ; implicit-def: $sgpr14
	s_nop 0
	;;#ASMSTART
	v_pk_add_f16 v6, v6, v14;

	;;#ASMEND
	s_nop 0
	v_lshrrev_b32_e32 v14, 16, v6
	v_and_b32_e32 v6, 0xffff, v6
	;;#ASMSTART
	v_cvt_f32_f16 v39, v6;
	;;#ASMEND
	;;#ASMSTART
	v_cvt_f32_f16 v40, v14;
	;;#ASMEND
	global_load_dwordx2 v[16:17], v[12:13], off offset:512
	global_load_dword v14, v7, s[10:11]
	s_waitcnt vmcnt(1)
	v_cmp_gt_i16_sdwa s[8:9], v16, s22 src0_sel:BYTE_0 src1_sel:DWORD
	s_and_saveexec_b64 s[12:13], s[8:9]
	s_xor_b64 s[8:9], exec, s[12:13]
	s_cbranch_execnz .LBB274_464
; %bb.331:                              ;   in Loop: Header=BB274_296 Depth=1
	s_or_saveexec_b64 s[8:9], s[8:9]
	v_mov_b32_e32 v18, s14
	s_xor_b64 exec, exec, s[8:9]
	s_cbranch_execnz .LBB274_467
.LBB274_332:                            ;   in Loop: Header=BB274_296 Depth=1
	s_or_b64 exec, exec, s[8:9]
	s_and_saveexec_b64 s[8:9], s[0:1]
	s_cbranch_execz .LBB274_334
.LBB274_333:                            ;   in Loop: Header=BB274_296 Depth=1
	v_and_b32_e32 v6, 7, v16
	v_ffbh_u32_e32 v6, v6
	v_bfe_u32 v18, v16, 3, 4
	v_min_u32_e32 v6, 32, v6
	v_subrev_u32_e32 v19, 28, v6
	v_sub_u32_e32 v6, 29, v6
	v_cmp_eq_u32_e64 s[0:1], 0, v18
	s_nop 1
	v_cndmask_b32_e64 v6, v18, v6, s[0:1]
	v_cndmask_b32_e64 v18, 0, v19, s[0:1]
	v_lshlrev_b64 v[18:19], v18, v[16:17]
	v_lshlrev_b32_e32 v19, 8, v16
	v_lshl_add_u32 v6, v6, 10, v27
	v_lshlrev_b32_e32 v18, 7, v18
	v_and_or_b32 v6, v19, s24, v6
	v_and_or_b32 v6, v18, s25, v6
	v_cvt_f32_f16_e32 v18, v6
.LBB274_334:                            ;   in Loop: Header=BB274_296 Depth=1
	s_or_b64 exec, exec, s[8:9]
	v_lshrrev_b16_e32 v6, 8, v16
	v_cmp_lt_i16_e64 s[0:1], s22, v6
	s_mov_b64 s[8:9], 0
                                        ; implicit-def: $sgpr34
	s_and_saveexec_b64 s[12:13], s[0:1]
	s_xor_b64 s[12:13], exec, s[12:13]
	s_cbranch_execnz .LBB274_468
; %bb.335:                              ;   in Loop: Header=BB274_296 Depth=1
	s_or_saveexec_b64 s[12:13], s[12:13]
	v_mov_b32_e32 v20, s34
	s_xor_b64 exec, exec, s[12:13]
	s_cbranch_execnz .LBB274_471
.LBB274_336:                            ;   in Loop: Header=BB274_296 Depth=1
	s_or_b64 exec, exec, s[12:13]
	s_and_saveexec_b64 s[12:13], s[8:9]
	s_cbranch_execz .LBB274_338
.LBB274_337:                            ;   in Loop: Header=BB274_296 Depth=1
	v_and_b32_e32 v19, 7, v6
	v_ffbh_u32_e32 v20, v19
	v_min_u32_e32 v42, 32, v20
	v_subrev_u32_e32 v20, 28, v42
	v_bfe_u32 v41, v6, 3, 4
	v_lshlrev_b64 v[20:21], v20, v[6:7]
	v_sub_u32_e32 v21, 29, v42
	v_cmp_eq_u32_e64 s[0:1], 0, v41
	v_and_b32_e32 v20, 7, v20
	v_lshlrev_b32_e32 v6, 8, v6
	v_cndmask_b32_e64 v21, v41, v21, s[0:1]
	v_cndmask_b32_e64 v19, v19, v20, s[0:1]
	v_lshl_add_u32 v20, v21, 10, v27
	v_and_or_b32 v6, v6, s24, v20
	v_lshl_or_b32 v6, v19, 7, v6
	v_cvt_f32_f16_e32 v20, v6
.LBB274_338:                            ;   in Loop: Header=BB274_296 Depth=1
	s_or_b64 exec, exec, s[12:13]
	v_lshrrev_b32_e32 v6, 16, v16
	v_cmp_gt_i16_sdwa s[8:9], v6, s22 src0_sel:BYTE_0 src1_sel:DWORD
	s_mov_b64 s[0:1], 0
                                        ; implicit-def: $sgpr14
	s_and_saveexec_b64 s[12:13], s[8:9]
	s_xor_b64 s[8:9], exec, s[12:13]
	s_cbranch_execnz .LBB274_472
; %bb.339:                              ;   in Loop: Header=BB274_296 Depth=1
	s_or_saveexec_b64 s[8:9], s[8:9]
	v_mov_b32_e32 v19, s14
	s_xor_b64 exec, exec, s[8:9]
	s_cbranch_execnz .LBB274_475
.LBB274_340:                            ;   in Loop: Header=BB274_296 Depth=1
	s_or_b64 exec, exec, s[8:9]
	s_and_saveexec_b64 s[8:9], s[0:1]
	s_cbranch_execz .LBB274_342
.LBB274_341:                            ;   in Loop: Header=BB274_296 Depth=1
	v_bfe_u32 v19, v16, 16, 3
	v_ffbh_u32_e32 v41, v19
	v_bfe_u32 v21, v16, 19, 4
	v_min_u32_e32 v41, 32, v41
	v_subrev_u32_e32 v42, 28, v41
	v_sub_u32_e32 v41, 29, v41
	v_cmp_eq_u32_e64 s[0:1], 0, v21
	v_lshlrev_b64 v[42:43], v42, v[6:7]
	v_and_b32_e32 v42, 7, v42
	v_cndmask_b32_e64 v21, v21, v41, s[0:1]
	v_lshlrev_b32_e32 v6, 8, v6
	v_lshl_add_u32 v21, v21, 10, v27
	v_cndmask_b32_e64 v19, v19, v42, s[0:1]
	v_and_or_b32 v6, v6, s24, v21
	v_lshl_or_b32 v6, v19, 7, v6
	v_cvt_f32_f16_e32 v19, v6
.LBB274_342:                            ;   in Loop: Header=BB274_296 Depth=1
	s_or_b64 exec, exec, s[8:9]
	v_lshrrev_b32_e32 v6, 24, v16
	v_cmp_lt_i16_e64 s[0:1], s22, v6
	s_mov_b64 s[8:9], 0
                                        ; implicit-def: $sgpr34
	s_and_saveexec_b64 s[12:13], s[0:1]
	s_xor_b64 s[12:13], exec, s[12:13]
	s_cbranch_execnz .LBB274_476
; %bb.343:                              ;   in Loop: Header=BB274_296 Depth=1
	s_or_saveexec_b64 s[12:13], s[12:13]
	v_mov_b32_e32 v21, s34
	s_xor_b64 exec, exec, s[12:13]
	s_cbranch_execnz .LBB274_479
.LBB274_344:                            ;   in Loop: Header=BB274_296 Depth=1
	s_or_b64 exec, exec, s[12:13]
	s_and_saveexec_b64 s[12:13], s[8:9]
	s_cbranch_execz .LBB274_346
.LBB274_345:                            ;   in Loop: Header=BB274_296 Depth=1
	v_bfe_u32 v21, v16, 24, 3
	v_ffbh_u32_e32 v41, v21
	v_bfe_u32 v16, v16, 27, 4
	v_min_u32_e32 v41, 32, v41
	v_subrev_u32_e32 v42, 28, v41
	v_sub_u32_e32 v41, 29, v41
	v_cmp_eq_u32_e64 s[0:1], 0, v16
	v_lshlrev_b64 v[42:43], v42, v[6:7]
	v_and_b32_e32 v42, 7, v42
	v_cndmask_b32_e64 v16, v16, v41, s[0:1]
	v_lshlrev_b32_e32 v6, 8, v6
	v_lshl_add_u32 v16, v16, 10, v27
	v_cndmask_b32_e64 v21, v21, v42, s[0:1]
	v_and_or_b32 v6, v6, s24, v16
	v_lshl_or_b32 v6, v21, 7, v6
	v_cvt_f32_f16_e32 v21, v6
.LBB274_346:                            ;   in Loop: Header=BB274_296 Depth=1
	s_or_b64 exec, exec, s[12:13]
	v_cmp_gt_i16_sdwa s[8:9], v17, s22 src0_sel:BYTE_0 src1_sel:DWORD
	s_mov_b64 s[0:1], 0
                                        ; implicit-def: $sgpr14
	s_and_saveexec_b64 s[12:13], s[8:9]
	s_xor_b64 s[8:9], exec, s[12:13]
	s_cbranch_execnz .LBB274_480
; %bb.347:                              ;   in Loop: Header=BB274_296 Depth=1
	s_or_saveexec_b64 s[8:9], s[8:9]
	v_mov_b32_e32 v16, s14
	s_xor_b64 exec, exec, s[8:9]
	s_cbranch_execnz .LBB274_483
.LBB274_348:                            ;   in Loop: Header=BB274_296 Depth=1
	s_or_b64 exec, exec, s[8:9]
	v_mov_b32_e32 v6, v17
	s_and_saveexec_b64 s[8:9], s[0:1]
	s_cbranch_execz .LBB274_350
.LBB274_349:                            ;   in Loop: Header=BB274_296 Depth=1
	v_and_b32_e32 v16, 7, v17
	v_ffbh_u32_e32 v16, v16
	v_bfe_u32 v41, v17, 3, 4
	v_min_u32_e32 v16, 32, v16
	v_subrev_u32_e32 v42, 28, v16
	v_sub_u32_e32 v16, 29, v16
	v_cmp_eq_u32_e64 s[0:1], 0, v41
	s_nop 1
	v_cndmask_b32_e64 v16, v41, v16, s[0:1]
	v_cndmask_b32_e64 v41, 0, v42, s[0:1]
	v_lshlrev_b64 v[42:43], v41, v[6:7]
	v_lshlrev_b32_e32 v41, 7, v42
	v_lshlrev_b32_e32 v42, 8, v17
	v_lshl_add_u32 v16, v16, 10, v27
	v_and_or_b32 v16, v42, s24, v16
	v_and_or_b32 v16, v41, s25, v16
	v_cvt_f32_f16_e32 v16, v16
.LBB274_350:                            ;   in Loop: Header=BB274_296 Depth=1
	s_or_b64 exec, exec, s[8:9]
	v_lshrrev_b16_e32 v6, 8, v6
	v_cmp_lt_i16_e64 s[0:1], s22, v6
	s_mov_b64 s[8:9], 0
                                        ; implicit-def: $sgpr34
	s_and_saveexec_b64 s[12:13], s[0:1]
	s_xor_b64 s[12:13], exec, s[12:13]
	s_cbranch_execnz .LBB274_484
; %bb.351:                              ;   in Loop: Header=BB274_296 Depth=1
	s_or_saveexec_b64 s[12:13], s[12:13]
	v_mov_b32_e32 v41, s34
	s_xor_b64 exec, exec, s[12:13]
	s_cbranch_execnz .LBB274_487
.LBB274_352:                            ;   in Loop: Header=BB274_296 Depth=1
	s_or_b64 exec, exec, s[12:13]
	s_and_saveexec_b64 s[12:13], s[8:9]
	s_cbranch_execz .LBB274_354
.LBB274_353:                            ;   in Loop: Header=BB274_296 Depth=1
	v_and_b32_e32 v41, 7, v6
	v_ffbh_u32_e32 v42, v41
	v_min_u32_e32 v45, 32, v42
	v_subrev_u32_e32 v42, 28, v45
	v_bfe_u32 v44, v6, 3, 4
	v_lshlrev_b64 v[42:43], v42, v[6:7]
	v_sub_u32_e32 v43, 29, v45
	v_cmp_eq_u32_e64 s[0:1], 0, v44
	v_and_b32_e32 v42, 7, v42
	v_lshlrev_b32_e32 v6, 8, v6
	v_cndmask_b32_e64 v43, v44, v43, s[0:1]
	v_cndmask_b32_e64 v41, v41, v42, s[0:1]
	v_lshl_add_u32 v42, v43, 10, v27
	v_and_or_b32 v6, v6, s24, v42
	v_lshl_or_b32 v6, v41, 7, v6
	v_cvt_f32_f16_e32 v41, v6
.LBB274_354:                            ;   in Loop: Header=BB274_296 Depth=1
	s_or_b64 exec, exec, s[12:13]
	v_lshrrev_b32_e32 v6, 16, v17
	v_cmp_gt_i16_sdwa s[8:9], v6, s22 src0_sel:BYTE_0 src1_sel:DWORD
	s_mov_b64 s[0:1], 0
                                        ; implicit-def: $sgpr14
	s_and_saveexec_b64 s[12:13], s[8:9]
	s_xor_b64 s[8:9], exec, s[12:13]
	s_cbranch_execnz .LBB274_488
; %bb.355:                              ;   in Loop: Header=BB274_296 Depth=1
	s_or_saveexec_b64 s[8:9], s[8:9]
	v_mov_b32_e32 v42, s14
	s_xor_b64 exec, exec, s[8:9]
	s_cbranch_execnz .LBB274_491
.LBB274_356:                            ;   in Loop: Header=BB274_296 Depth=1
	s_or_b64 exec, exec, s[8:9]
	s_and_saveexec_b64 s[8:9], s[0:1]
	s_cbranch_execz .LBB274_358
.LBB274_357:                            ;   in Loop: Header=BB274_296 Depth=1
	v_bfe_u32 v44, v17, 16, 3
	v_ffbh_u32_e32 v42, v44
	v_min_u32_e32 v46, 32, v42
	v_subrev_u32_e32 v42, 28, v46
	v_bfe_u32 v45, v17, 19, 4
	v_lshlrev_b64 v[42:43], v42, v[6:7]
	v_sub_u32_e32 v43, 29, v46
	v_cmp_eq_u32_e64 s[0:1], 0, v45
	v_and_b32_e32 v42, 7, v42
	v_lshlrev_b32_e32 v6, 8, v6
	v_cndmask_b32_e64 v43, v45, v43, s[0:1]
	v_lshl_add_u32 v43, v43, 10, v27
	v_cndmask_b32_e64 v42, v44, v42, s[0:1]
	v_and_or_b32 v6, v6, s24, v43
	v_lshl_or_b32 v6, v42, 7, v6
	v_cvt_f32_f16_e32 v42, v6
.LBB274_358:                            ;   in Loop: Header=BB274_296 Depth=1
	s_or_b64 exec, exec, s[8:9]
	v_lshrrev_b32_e32 v6, 24, v17
	v_cmp_lt_i16_e64 s[0:1], s22, v6
	s_mov_b64 s[8:9], 0
                                        ; implicit-def: $sgpr34
	s_and_saveexec_b64 s[12:13], s[0:1]
	s_xor_b64 s[12:13], exec, s[12:13]
	s_cbranch_execnz .LBB274_492
; %bb.359:                              ;   in Loop: Header=BB274_296 Depth=1
	s_or_saveexec_b64 s[12:13], s[12:13]
	v_mov_b32_e32 v43, s34
	s_xor_b64 exec, exec, s[12:13]
	s_cbranch_execnz .LBB274_495
.LBB274_360:                            ;   in Loop: Header=BB274_296 Depth=1
	s_or_b64 exec, exec, s[12:13]
	s_and_saveexec_b64 s[12:13], s[8:9]
	s_cbranch_execz .LBB274_362
.LBB274_361:                            ;   in Loop: Header=BB274_296 Depth=1
	v_bfe_u32 v43, v17, 24, 3
	v_ffbh_u32_e32 v44, v43
	v_min_u32_e32 v46, 32, v44
	v_subrev_u32_e32 v44, 28, v46
	v_bfe_u32 v17, v17, 27, 4
	v_lshlrev_b64 v[44:45], v44, v[6:7]
	v_sub_u32_e32 v45, 29, v46
	v_cmp_eq_u32_e64 s[0:1], 0, v17
	v_and_b32_e32 v44, 7, v44
	v_lshlrev_b32_e32 v6, 8, v6
	v_cndmask_b32_e64 v17, v17, v45, s[0:1]
	v_lshl_add_u32 v17, v17, 10, v27
	v_cndmask_b32_e64 v43, v43, v44, s[0:1]
	v_and_or_b32 v6, v6, s24, v17
	v_lshl_or_b32 v6, v43, 7, v6
	v_cvt_f32_f16_e32 v43, v6
.LBB274_362:                            ;   in Loop: Header=BB274_296 Depth=1
	s_or_b64 exec, exec, s[12:13]
	s_waitcnt vmcnt(0)
	v_pk_mul_f32 v[20:21], v[14:15], v[20:21] op_sel_hi:[0,1]
	v_pk_mul_f32 v[18:19], v[14:15], v[18:19] op_sel_hi:[0,1]
	v_cvt_f16_f32_e32 v6, v21
	v_cvt_f16_f32_e32 v17, v20
	;; [unrolled: 1-line block ×4, first 2 shown]
	v_fma_mixlo_f16 v16, v14, v16, 0
	v_pack_b32_f16 v17, v17, v6
	v_pack_b32_f16 v18, v18, v19
	v_perm_b32 v6, v18, v17, s29
	v_perm_b32 v17, v18, v17, s30
	v_fma_mixlo_f16 v18, v14, v41, 0
	v_lshlrev_b32_e32 v18, 16, v18
	v_or_b32_sdwa v16, v18, v16 dst_sel:DWORD dst_unused:UNUSED_PAD src0_sel:DWORD src1_sel:WORD_0
	v_fma_mixlo_f16 v18, v14, v42, 0
	v_fma_mixlo_f16 v14, v14, v43, 0
	v_lshlrev_b32_e32 v14, 16, v14
	v_or_b32_sdwa v14, v14, v18 dst_sel:DWORD dst_unused:UNUSED_PAD src0_sel:DWORD src1_sel:WORD_0
	s_and_saveexec_b64 s[8:9], vcc
	s_cbranch_execz .LBB274_364
; %bb.363:                              ;   in Loop: Header=BB274_296 Depth=1
	v_lshrrev_b32_e32 v19, 16, v17
	v_cmp_gt_i32_e64 s[0:1], s27, v34
	v_lshrrev_b32_e32 v14, 16, v14
	s_nop 0
	v_cndmask_b32_e64 v19, 0, v19, s[0:1]
	v_cmp_gt_i32_e64 s[0:1], s33, v25
	s_nop 1
	v_cndmask_b32_e64 v17, 0, v17, s[0:1]
	v_perm_b32 v17, v19, v17, s31
	v_lshrrev_b32_e32 v19, 16, v6
	v_cmp_gt_i32_e64 s[0:1], s27, v33
	s_nop 1
	v_cndmask_b32_e64 v19, 0, v19, s[0:1]
	v_cmp_gt_i32_e64 s[0:1], s33, v32
	s_nop 1
	v_cndmask_b32_e64 v6, 0, v6, s[0:1]
	v_perm_b32 v6, v19, v6, s31
	v_lshrrev_b32_e32 v19, 16, v16
	v_cmp_gt_i32_e64 s[0:1], s27, v31
	s_nop 1
	v_cndmask_b32_e64 v19, 0, v19, s[0:1]
	v_cmp_gt_i32_e64 s[0:1], s33, v30
	s_nop 1
	v_cndmask_b32_e64 v16, 0, v16, s[0:1]
	v_cmp_gt_i32_e64 s[0:1], s27, v29
	v_perm_b32 v16, v19, v16, s31
	s_nop 0
	v_cndmask_b32_e64 v14, 0, v14, s[0:1]
	v_cmp_gt_i32_e64 s[0:1], s33, v28
	s_nop 1
	v_cndmask_b32_e64 v18, 0, v18, s[0:1]
	v_perm_b32 v14, v14, v18, s31
.LBB274_364:                            ;   in Loop: Header=BB274_296 Depth=1
	s_or_b64 exec, exec, s[8:9]
	;;#ASMSTART
	v_pk_mul_f16 v17, v35, v17;

	;;#ASMEND
	;;#ASMSTART
	v_pk_mul_f16 v6, v36, v6;

	;;#ASMEND
	;; [unrolled: 4-line block ×4, first 2 shown]
	s_mov_b64 s[0:1], 0
	;;#ASMSTART
	v_pk_add_f16 v6, v17, v6;

	;;#ASMEND
                                        ; implicit-def: $sgpr14
	s_nop 0
	;;#ASMSTART
	v_pk_add_f16 v6, v6, v16;

	;;#ASMEND
	s_nop 0
	;;#ASMSTART
	v_pk_add_f16 v6, v6, v14;

	;;#ASMEND
	s_nop 0
	v_lshrrev_b32_e32 v14, 16, v6
	v_and_b32_e32 v6, 0xffff, v6
	;;#ASMSTART
	v_cvt_f32_f16 v41, v6;
	;;#ASMEND
	;;#ASMSTART
	v_cvt_f32_f16 v42, v14;
	;;#ASMEND
	global_load_dwordx2 v[16:17], v[12:13], off offset:1024
	global_load_dword v14, v7, s[10:11]
	s_waitcnt vmcnt(1)
	v_cmp_gt_i16_sdwa s[8:9], v16, s22 src0_sel:BYTE_0 src1_sel:DWORD
	s_and_saveexec_b64 s[12:13], s[8:9]
	s_xor_b64 s[8:9], exec, s[12:13]
	s_cbranch_execnz .LBB274_496
; %bb.365:                              ;   in Loop: Header=BB274_296 Depth=1
	s_or_saveexec_b64 s[8:9], s[8:9]
	v_mov_b32_e32 v18, s14
	s_xor_b64 exec, exec, s[8:9]
	s_cbranch_execnz .LBB274_499
.LBB274_366:                            ;   in Loop: Header=BB274_296 Depth=1
	s_or_b64 exec, exec, s[8:9]
	s_and_saveexec_b64 s[8:9], s[0:1]
	s_cbranch_execz .LBB274_368
.LBB274_367:                            ;   in Loop: Header=BB274_296 Depth=1
	v_and_b32_e32 v6, 7, v16
	v_ffbh_u32_e32 v6, v6
	v_bfe_u32 v18, v16, 3, 4
	v_min_u32_e32 v6, 32, v6
	v_subrev_u32_e32 v19, 28, v6
	v_sub_u32_e32 v6, 29, v6
	v_cmp_eq_u32_e64 s[0:1], 0, v18
	s_nop 1
	v_cndmask_b32_e64 v6, v18, v6, s[0:1]
	v_cndmask_b32_e64 v18, 0, v19, s[0:1]
	v_lshlrev_b64 v[18:19], v18, v[16:17]
	v_lshlrev_b32_e32 v19, 8, v16
	v_lshl_add_u32 v6, v6, 10, v27
	v_lshlrev_b32_e32 v18, 7, v18
	v_and_or_b32 v6, v19, s24, v6
	v_and_or_b32 v6, v18, s25, v6
	v_cvt_f32_f16_e32 v18, v6
.LBB274_368:                            ;   in Loop: Header=BB274_296 Depth=1
	s_or_b64 exec, exec, s[8:9]
	v_lshrrev_b16_e32 v6, 8, v16
	v_cmp_lt_i16_e64 s[0:1], s22, v6
	s_mov_b64 s[8:9], 0
                                        ; implicit-def: $sgpr34
	s_and_saveexec_b64 s[12:13], s[0:1]
	s_xor_b64 s[12:13], exec, s[12:13]
	s_cbranch_execnz .LBB274_500
; %bb.369:                              ;   in Loop: Header=BB274_296 Depth=1
	s_or_saveexec_b64 s[12:13], s[12:13]
	v_mov_b32_e32 v20, s34
	s_xor_b64 exec, exec, s[12:13]
	s_cbranch_execnz .LBB274_503
.LBB274_370:                            ;   in Loop: Header=BB274_296 Depth=1
	s_or_b64 exec, exec, s[12:13]
	s_and_saveexec_b64 s[12:13], s[8:9]
	s_cbranch_execz .LBB274_372
.LBB274_371:                            ;   in Loop: Header=BB274_296 Depth=1
	v_and_b32_e32 v19, 7, v6
	v_ffbh_u32_e32 v20, v19
	v_min_u32_e32 v44, 32, v20
	v_subrev_u32_e32 v20, 28, v44
	v_bfe_u32 v43, v6, 3, 4
	v_lshlrev_b64 v[20:21], v20, v[6:7]
	v_sub_u32_e32 v21, 29, v44
	v_cmp_eq_u32_e64 s[0:1], 0, v43
	v_and_b32_e32 v20, 7, v20
	v_lshlrev_b32_e32 v6, 8, v6
	v_cndmask_b32_e64 v21, v43, v21, s[0:1]
	v_cndmask_b32_e64 v19, v19, v20, s[0:1]
	v_lshl_add_u32 v20, v21, 10, v27
	v_and_or_b32 v6, v6, s24, v20
	v_lshl_or_b32 v6, v19, 7, v6
	v_cvt_f32_f16_e32 v20, v6
.LBB274_372:                            ;   in Loop: Header=BB274_296 Depth=1
	s_or_b64 exec, exec, s[12:13]
	v_lshrrev_b32_e32 v6, 16, v16
	v_cmp_gt_i16_sdwa s[8:9], v6, s22 src0_sel:BYTE_0 src1_sel:DWORD
	s_mov_b64 s[0:1], 0
                                        ; implicit-def: $sgpr14
	s_and_saveexec_b64 s[12:13], s[8:9]
	s_xor_b64 s[8:9], exec, s[12:13]
	s_cbranch_execnz .LBB274_504
; %bb.373:                              ;   in Loop: Header=BB274_296 Depth=1
	s_or_saveexec_b64 s[8:9], s[8:9]
	v_mov_b32_e32 v19, s14
	s_xor_b64 exec, exec, s[8:9]
	s_cbranch_execnz .LBB274_507
.LBB274_374:                            ;   in Loop: Header=BB274_296 Depth=1
	s_or_b64 exec, exec, s[8:9]
	s_and_saveexec_b64 s[8:9], s[0:1]
	s_cbranch_execz .LBB274_376
.LBB274_375:                            ;   in Loop: Header=BB274_296 Depth=1
	v_bfe_u32 v19, v16, 16, 3
	v_ffbh_u32_e32 v43, v19
	v_bfe_u32 v21, v16, 19, 4
	v_min_u32_e32 v43, 32, v43
	v_subrev_u32_e32 v44, 28, v43
	v_sub_u32_e32 v43, 29, v43
	v_cmp_eq_u32_e64 s[0:1], 0, v21
	v_lshlrev_b64 v[44:45], v44, v[6:7]
	v_and_b32_e32 v44, 7, v44
	v_cndmask_b32_e64 v21, v21, v43, s[0:1]
	v_lshlrev_b32_e32 v6, 8, v6
	v_lshl_add_u32 v21, v21, 10, v27
	v_cndmask_b32_e64 v19, v19, v44, s[0:1]
	v_and_or_b32 v6, v6, s24, v21
	v_lshl_or_b32 v6, v19, 7, v6
	v_cvt_f32_f16_e32 v19, v6
.LBB274_376:                            ;   in Loop: Header=BB274_296 Depth=1
	s_or_b64 exec, exec, s[8:9]
	v_lshrrev_b32_e32 v6, 24, v16
	v_cmp_lt_i16_e64 s[0:1], s22, v6
	s_mov_b64 s[8:9], 0
                                        ; implicit-def: $sgpr34
	s_and_saveexec_b64 s[12:13], s[0:1]
	s_xor_b64 s[12:13], exec, s[12:13]
	s_cbranch_execnz .LBB274_508
; %bb.377:                              ;   in Loop: Header=BB274_296 Depth=1
	s_or_saveexec_b64 s[12:13], s[12:13]
	v_mov_b32_e32 v21, s34
	s_xor_b64 exec, exec, s[12:13]
	s_cbranch_execnz .LBB274_511
.LBB274_378:                            ;   in Loop: Header=BB274_296 Depth=1
	s_or_b64 exec, exec, s[12:13]
	s_and_saveexec_b64 s[12:13], s[8:9]
	s_cbranch_execz .LBB274_380
.LBB274_379:                            ;   in Loop: Header=BB274_296 Depth=1
	v_bfe_u32 v21, v16, 24, 3
	v_ffbh_u32_e32 v43, v21
	v_bfe_u32 v16, v16, 27, 4
	v_min_u32_e32 v43, 32, v43
	v_subrev_u32_e32 v44, 28, v43
	v_sub_u32_e32 v43, 29, v43
	v_cmp_eq_u32_e64 s[0:1], 0, v16
	v_lshlrev_b64 v[44:45], v44, v[6:7]
	v_and_b32_e32 v44, 7, v44
	v_cndmask_b32_e64 v16, v16, v43, s[0:1]
	v_lshlrev_b32_e32 v6, 8, v6
	v_lshl_add_u32 v16, v16, 10, v27
	v_cndmask_b32_e64 v21, v21, v44, s[0:1]
	v_and_or_b32 v6, v6, s24, v16
	v_lshl_or_b32 v6, v21, 7, v6
	v_cvt_f32_f16_e32 v21, v6
.LBB274_380:                            ;   in Loop: Header=BB274_296 Depth=1
	s_or_b64 exec, exec, s[12:13]
	v_cmp_gt_i16_sdwa s[8:9], v17, s22 src0_sel:BYTE_0 src1_sel:DWORD
	s_mov_b64 s[0:1], 0
                                        ; implicit-def: $sgpr14
	s_and_saveexec_b64 s[12:13], s[8:9]
	s_xor_b64 s[8:9], exec, s[12:13]
	s_cbranch_execnz .LBB274_512
; %bb.381:                              ;   in Loop: Header=BB274_296 Depth=1
	s_or_saveexec_b64 s[8:9], s[8:9]
	v_mov_b32_e32 v16, s14
	s_xor_b64 exec, exec, s[8:9]
	s_cbranch_execnz .LBB274_515
.LBB274_382:                            ;   in Loop: Header=BB274_296 Depth=1
	s_or_b64 exec, exec, s[8:9]
	v_mov_b32_e32 v6, v17
	s_and_saveexec_b64 s[8:9], s[0:1]
	s_cbranch_execz .LBB274_384
.LBB274_383:                            ;   in Loop: Header=BB274_296 Depth=1
	v_and_b32_e32 v16, 7, v17
	v_ffbh_u32_e32 v16, v16
	v_bfe_u32 v43, v17, 3, 4
	v_min_u32_e32 v16, 32, v16
	v_subrev_u32_e32 v44, 28, v16
	v_sub_u32_e32 v16, 29, v16
	v_cmp_eq_u32_e64 s[0:1], 0, v43
	s_nop 1
	v_cndmask_b32_e64 v16, v43, v16, s[0:1]
	v_cndmask_b32_e64 v43, 0, v44, s[0:1]
	v_lshlrev_b64 v[44:45], v43, v[6:7]
	v_lshlrev_b32_e32 v43, 7, v44
	v_lshlrev_b32_e32 v44, 8, v17
	v_lshl_add_u32 v16, v16, 10, v27
	v_and_or_b32 v16, v44, s24, v16
	v_and_or_b32 v16, v43, s25, v16
	v_cvt_f32_f16_e32 v16, v16
.LBB274_384:                            ;   in Loop: Header=BB274_296 Depth=1
	s_or_b64 exec, exec, s[8:9]
	v_lshrrev_b16_e32 v6, 8, v6
	v_cmp_lt_i16_e64 s[0:1], s22, v6
	s_mov_b64 s[8:9], 0
                                        ; implicit-def: $sgpr34
	s_and_saveexec_b64 s[12:13], s[0:1]
	s_xor_b64 s[12:13], exec, s[12:13]
	s_cbranch_execnz .LBB274_516
; %bb.385:                              ;   in Loop: Header=BB274_296 Depth=1
	s_or_saveexec_b64 s[12:13], s[12:13]
	v_mov_b32_e32 v43, s34
	s_xor_b64 exec, exec, s[12:13]
	s_cbranch_execnz .LBB274_519
.LBB274_386:                            ;   in Loop: Header=BB274_296 Depth=1
	s_or_b64 exec, exec, s[12:13]
	s_and_saveexec_b64 s[12:13], s[8:9]
	s_cbranch_execz .LBB274_388
.LBB274_387:                            ;   in Loop: Header=BB274_296 Depth=1
	v_and_b32_e32 v43, 7, v6
	v_ffbh_u32_e32 v44, v43
	v_min_u32_e32 v47, 32, v44
	v_subrev_u32_e32 v44, 28, v47
	v_bfe_u32 v46, v6, 3, 4
	v_lshlrev_b64 v[44:45], v44, v[6:7]
	v_sub_u32_e32 v45, 29, v47
	v_cmp_eq_u32_e64 s[0:1], 0, v46
	v_and_b32_e32 v44, 7, v44
	v_lshlrev_b32_e32 v6, 8, v6
	v_cndmask_b32_e64 v45, v46, v45, s[0:1]
	v_cndmask_b32_e64 v43, v43, v44, s[0:1]
	v_lshl_add_u32 v44, v45, 10, v27
	v_and_or_b32 v6, v6, s24, v44
	v_lshl_or_b32 v6, v43, 7, v6
	v_cvt_f32_f16_e32 v43, v6
.LBB274_388:                            ;   in Loop: Header=BB274_296 Depth=1
	s_or_b64 exec, exec, s[12:13]
	v_lshrrev_b32_e32 v6, 16, v17
	v_cmp_gt_i16_sdwa s[8:9], v6, s22 src0_sel:BYTE_0 src1_sel:DWORD
	s_mov_b64 s[0:1], 0
                                        ; implicit-def: $sgpr14
	s_and_saveexec_b64 s[12:13], s[8:9]
	s_xor_b64 s[8:9], exec, s[12:13]
	s_cbranch_execnz .LBB274_520
; %bb.389:                              ;   in Loop: Header=BB274_296 Depth=1
	s_or_saveexec_b64 s[8:9], s[8:9]
	v_mov_b32_e32 v44, s14
	s_xor_b64 exec, exec, s[8:9]
	s_cbranch_execnz .LBB274_523
.LBB274_390:                            ;   in Loop: Header=BB274_296 Depth=1
	s_or_b64 exec, exec, s[8:9]
	s_and_saveexec_b64 s[8:9], s[0:1]
	s_cbranch_execz .LBB274_392
.LBB274_391:                            ;   in Loop: Header=BB274_296 Depth=1
	v_bfe_u32 v46, v17, 16, 3
	v_ffbh_u32_e32 v44, v46
	v_min_u32_e32 v48, 32, v44
	v_subrev_u32_e32 v44, 28, v48
	v_bfe_u32 v47, v17, 19, 4
	v_lshlrev_b64 v[44:45], v44, v[6:7]
	v_sub_u32_e32 v45, 29, v48
	v_cmp_eq_u32_e64 s[0:1], 0, v47
	v_and_b32_e32 v44, 7, v44
	v_lshlrev_b32_e32 v6, 8, v6
	v_cndmask_b32_e64 v45, v47, v45, s[0:1]
	v_lshl_add_u32 v45, v45, 10, v27
	v_cndmask_b32_e64 v44, v46, v44, s[0:1]
	v_and_or_b32 v6, v6, s24, v45
	v_lshl_or_b32 v6, v44, 7, v6
	v_cvt_f32_f16_e32 v44, v6
.LBB274_392:                            ;   in Loop: Header=BB274_296 Depth=1
	s_or_b64 exec, exec, s[8:9]
	v_lshrrev_b32_e32 v6, 24, v17
	v_cmp_lt_i16_e64 s[0:1], s22, v6
	s_mov_b64 s[8:9], 0
                                        ; implicit-def: $sgpr34
	s_and_saveexec_b64 s[12:13], s[0:1]
	s_xor_b64 s[12:13], exec, s[12:13]
	s_cbranch_execnz .LBB274_524
; %bb.393:                              ;   in Loop: Header=BB274_296 Depth=1
	s_or_saveexec_b64 s[12:13], s[12:13]
	v_mov_b32_e32 v45, s34
	s_xor_b64 exec, exec, s[12:13]
	s_cbranch_execnz .LBB274_527
.LBB274_394:                            ;   in Loop: Header=BB274_296 Depth=1
	s_or_b64 exec, exec, s[12:13]
	s_and_saveexec_b64 s[12:13], s[8:9]
	s_cbranch_execz .LBB274_396
.LBB274_395:                            ;   in Loop: Header=BB274_296 Depth=1
	v_bfe_u32 v45, v17, 24, 3
	v_ffbh_u32_e32 v46, v45
	v_min_u32_e32 v48, 32, v46
	v_subrev_u32_e32 v46, 28, v48
	v_bfe_u32 v17, v17, 27, 4
	v_lshlrev_b64 v[46:47], v46, v[6:7]
	v_sub_u32_e32 v47, 29, v48
	v_cmp_eq_u32_e64 s[0:1], 0, v17
	v_and_b32_e32 v46, 7, v46
	v_lshlrev_b32_e32 v6, 8, v6
	v_cndmask_b32_e64 v17, v17, v47, s[0:1]
	v_lshl_add_u32 v17, v17, 10, v27
	v_cndmask_b32_e64 v45, v45, v46, s[0:1]
	v_and_or_b32 v6, v6, s24, v17
	v_lshl_or_b32 v6, v45, 7, v6
	v_cvt_f32_f16_e32 v45, v6
.LBB274_396:                            ;   in Loop: Header=BB274_296 Depth=1
	s_or_b64 exec, exec, s[12:13]
	s_waitcnt vmcnt(0)
	v_pk_mul_f32 v[20:21], v[14:15], v[20:21] op_sel_hi:[0,1]
	v_pk_mul_f32 v[18:19], v[14:15], v[18:19] op_sel_hi:[0,1]
	v_cvt_f16_f32_e32 v6, v21
	v_cvt_f16_f32_e32 v17, v20
	;; [unrolled: 1-line block ×4, first 2 shown]
	v_fma_mixlo_f16 v16, v14, v16, 0
	v_pack_b32_f16 v17, v17, v6
	v_pack_b32_f16 v18, v18, v19
	v_perm_b32 v6, v18, v17, s29
	v_perm_b32 v17, v18, v17, s30
	v_fma_mixlo_f16 v18, v14, v43, 0
	v_lshlrev_b32_e32 v18, 16, v18
	v_or_b32_sdwa v16, v18, v16 dst_sel:DWORD dst_unused:UNUSED_PAD src0_sel:DWORD src1_sel:WORD_0
	v_fma_mixlo_f16 v18, v14, v44, 0
	v_fma_mixlo_f16 v14, v14, v45, 0
	v_lshlrev_b32_e32 v14, 16, v14
	v_or_b32_sdwa v14, v14, v18 dst_sel:DWORD dst_unused:UNUSED_PAD src0_sel:DWORD src1_sel:WORD_0
	s_and_saveexec_b64 s[8:9], vcc
	s_cbranch_execz .LBB274_398
; %bb.397:                              ;   in Loop: Header=BB274_296 Depth=1
	v_lshrrev_b32_e32 v19, 16, v17
	v_cmp_gt_i32_e64 s[0:1], s27, v34
	v_lshrrev_b32_e32 v14, 16, v14
	s_nop 0
	v_cndmask_b32_e64 v19, 0, v19, s[0:1]
	v_cmp_gt_i32_e64 s[0:1], s33, v25
	s_nop 1
	v_cndmask_b32_e64 v17, 0, v17, s[0:1]
	v_perm_b32 v17, v19, v17, s31
	v_lshrrev_b32_e32 v19, 16, v6
	v_cmp_gt_i32_e64 s[0:1], s27, v33
	s_nop 1
	v_cndmask_b32_e64 v19, 0, v19, s[0:1]
	v_cmp_gt_i32_e64 s[0:1], s33, v32
	s_nop 1
	v_cndmask_b32_e64 v6, 0, v6, s[0:1]
	v_perm_b32 v6, v19, v6, s31
	v_lshrrev_b32_e32 v19, 16, v16
	v_cmp_gt_i32_e64 s[0:1], s27, v31
	s_nop 1
	v_cndmask_b32_e64 v19, 0, v19, s[0:1]
	v_cmp_gt_i32_e64 s[0:1], s33, v30
	s_nop 1
	v_cndmask_b32_e64 v16, 0, v16, s[0:1]
	v_cmp_gt_i32_e64 s[0:1], s27, v29
	v_perm_b32 v16, v19, v16, s31
	s_nop 0
	v_cndmask_b32_e64 v14, 0, v14, s[0:1]
	v_cmp_gt_i32_e64 s[0:1], s33, v28
	s_nop 1
	v_cndmask_b32_e64 v18, 0, v18, s[0:1]
	v_perm_b32 v14, v14, v18, s31
.LBB274_398:                            ;   in Loop: Header=BB274_296 Depth=1
	s_or_b64 exec, exec, s[8:9]
	;;#ASMSTART
	v_pk_mul_f16 v17, v35, v17;

	;;#ASMEND
	;;#ASMSTART
	v_pk_mul_f16 v6, v36, v6;

	;;#ASMEND
	;; [unrolled: 4-line block ×4, first 2 shown]
	s_mov_b64 s[0:1], 0
	;;#ASMSTART
	v_pk_add_f16 v6, v17, v6;

	;;#ASMEND
                                        ; implicit-def: $sgpr14
	s_nop 0
	;;#ASMSTART
	v_pk_add_f16 v6, v6, v16;

	;;#ASMEND
	s_nop 0
	;;#ASMSTART
	v_pk_add_f16 v6, v6, v14;

	;;#ASMEND
	s_nop 0
	v_lshrrev_b32_e32 v14, 16, v6
	v_and_b32_e32 v6, 0xffff, v6
	;;#ASMSTART
	v_cvt_f32_f16 v20, v6;
	;;#ASMEND
	;;#ASMSTART
	v_cvt_f32_f16 v21, v14;
	;;#ASMEND
	global_load_dwordx2 v[16:17], v[12:13], off offset:1536
	global_load_dword v14, v7, s[10:11]
	s_waitcnt vmcnt(1)
	v_cmp_gt_i16_sdwa s[8:9], v16, s22 src0_sel:BYTE_0 src1_sel:DWORD
	s_and_saveexec_b64 s[12:13], s[8:9]
	s_xor_b64 s[8:9], exec, s[12:13]
	s_cbranch_execnz .LBB274_528
; %bb.399:                              ;   in Loop: Header=BB274_296 Depth=1
	s_or_saveexec_b64 s[8:9], s[8:9]
	v_mov_b32_e32 v12, s14
	s_xor_b64 exec, exec, s[8:9]
	s_cbranch_execnz .LBB274_531
.LBB274_400:                            ;   in Loop: Header=BB274_296 Depth=1
	s_or_b64 exec, exec, s[8:9]
	s_and_saveexec_b64 s[8:9], s[0:1]
	s_cbranch_execz .LBB274_402
.LBB274_401:                            ;   in Loop: Header=BB274_296 Depth=1
	v_and_b32_e32 v6, 7, v16
	v_ffbh_u32_e32 v6, v6
	v_bfe_u32 v12, v16, 3, 4
	v_min_u32_e32 v6, 32, v6
	v_subrev_u32_e32 v13, 28, v6
	v_sub_u32_e32 v6, 29, v6
	v_cmp_eq_u32_e64 s[0:1], 0, v12
	s_nop 1
	v_cndmask_b32_e64 v6, v12, v6, s[0:1]
	v_cndmask_b32_e64 v12, 0, v13, s[0:1]
	v_lshlrev_b64 v[12:13], v12, v[16:17]
	v_lshlrev_b32_e32 v13, 8, v16
	v_lshl_add_u32 v6, v6, 10, v27
	v_lshlrev_b32_e32 v12, 7, v12
	v_and_or_b32 v6, v13, s24, v6
	v_and_or_b32 v6, v12, s25, v6
	v_cvt_f32_f16_e32 v12, v6
.LBB274_402:                            ;   in Loop: Header=BB274_296 Depth=1
	s_or_b64 exec, exec, s[8:9]
	v_lshrrev_b16_e32 v6, 8, v16
	v_cmp_lt_i16_e64 s[0:1], s22, v6
	s_mov_b64 s[8:9], 0
                                        ; implicit-def: $sgpr34
	s_and_saveexec_b64 s[12:13], s[0:1]
	s_xor_b64 s[12:13], exec, s[12:13]
	s_cbranch_execnz .LBB274_532
; %bb.403:                              ;   in Loop: Header=BB274_296 Depth=1
	s_or_saveexec_b64 s[12:13], s[12:13]
	v_mov_b32_e32 v18, s34
	s_xor_b64 exec, exec, s[12:13]
	s_cbranch_execnz .LBB274_535
.LBB274_404:                            ;   in Loop: Header=BB274_296 Depth=1
	s_or_b64 exec, exec, s[12:13]
	s_and_saveexec_b64 s[12:13], s[8:9]
	s_cbranch_execz .LBB274_406
.LBB274_405:                            ;   in Loop: Header=BB274_296 Depth=1
	v_and_b32_e32 v13, 7, v6
	v_ffbh_u32_e32 v18, v13
	v_min_u32_e32 v44, 32, v18
	v_subrev_u32_e32 v18, 28, v44
	v_bfe_u32 v43, v6, 3, 4
	v_lshlrev_b64 v[18:19], v18, v[6:7]
	v_sub_u32_e32 v19, 29, v44
	v_cmp_eq_u32_e64 s[0:1], 0, v43
	v_and_b32_e32 v18, 7, v18
	v_lshlrev_b32_e32 v6, 8, v6
	v_cndmask_b32_e64 v19, v43, v19, s[0:1]
	v_cndmask_b32_e64 v13, v13, v18, s[0:1]
	v_lshl_add_u32 v18, v19, 10, v27
	v_and_or_b32 v6, v6, s24, v18
	v_lshl_or_b32 v6, v13, 7, v6
	v_cvt_f32_f16_e32 v18, v6
.LBB274_406:                            ;   in Loop: Header=BB274_296 Depth=1
	s_or_b64 exec, exec, s[12:13]
	v_lshrrev_b32_e32 v6, 16, v16
	v_cmp_gt_i16_sdwa s[8:9], v6, s22 src0_sel:BYTE_0 src1_sel:DWORD
	s_mov_b64 s[0:1], 0
                                        ; implicit-def: $sgpr14
	s_and_saveexec_b64 s[12:13], s[8:9]
	s_xor_b64 s[8:9], exec, s[12:13]
	s_cbranch_execnz .LBB274_536
; %bb.407:                              ;   in Loop: Header=BB274_296 Depth=1
	s_or_saveexec_b64 s[8:9], s[8:9]
	v_mov_b32_e32 v13, s14
	s_xor_b64 exec, exec, s[8:9]
	s_cbranch_execnz .LBB274_539
.LBB274_408:                            ;   in Loop: Header=BB274_296 Depth=1
	s_or_b64 exec, exec, s[8:9]
	s_and_saveexec_b64 s[8:9], s[0:1]
	s_cbranch_execz .LBB274_410
.LBB274_409:                            ;   in Loop: Header=BB274_296 Depth=1
	v_bfe_u32 v13, v16, 16, 3
	v_ffbh_u32_e32 v43, v13
	v_bfe_u32 v19, v16, 19, 4
	v_min_u32_e32 v43, 32, v43
	v_subrev_u32_e32 v44, 28, v43
	v_sub_u32_e32 v43, 29, v43
	v_cmp_eq_u32_e64 s[0:1], 0, v19
	v_lshlrev_b64 v[44:45], v44, v[6:7]
	v_and_b32_e32 v44, 7, v44
	v_cndmask_b32_e64 v19, v19, v43, s[0:1]
	v_lshlrev_b32_e32 v6, 8, v6
	v_lshl_add_u32 v19, v19, 10, v27
	v_cndmask_b32_e64 v13, v13, v44, s[0:1]
	v_and_or_b32 v6, v6, s24, v19
	v_lshl_or_b32 v6, v13, 7, v6
	v_cvt_f32_f16_e32 v13, v6
.LBB274_410:                            ;   in Loop: Header=BB274_296 Depth=1
	s_or_b64 exec, exec, s[8:9]
	v_lshrrev_b32_e32 v6, 24, v16
	v_cmp_lt_i16_e64 s[0:1], s22, v6
	s_mov_b64 s[8:9], 0
                                        ; implicit-def: $sgpr34
	s_and_saveexec_b64 s[12:13], s[0:1]
	s_xor_b64 s[12:13], exec, s[12:13]
	s_cbranch_execnz .LBB274_540
; %bb.411:                              ;   in Loop: Header=BB274_296 Depth=1
	s_or_saveexec_b64 s[12:13], s[12:13]
	v_mov_b32_e32 v19, s34
	s_xor_b64 exec, exec, s[12:13]
	s_cbranch_execnz .LBB274_543
.LBB274_412:                            ;   in Loop: Header=BB274_296 Depth=1
	s_or_b64 exec, exec, s[12:13]
	s_and_saveexec_b64 s[12:13], s[8:9]
	s_cbranch_execz .LBB274_414
.LBB274_413:                            ;   in Loop: Header=BB274_296 Depth=1
	v_bfe_u32 v19, v16, 24, 3
	v_ffbh_u32_e32 v43, v19
	v_bfe_u32 v16, v16, 27, 4
	v_min_u32_e32 v43, 32, v43
	v_subrev_u32_e32 v44, 28, v43
	v_sub_u32_e32 v43, 29, v43
	v_cmp_eq_u32_e64 s[0:1], 0, v16
	v_lshlrev_b64 v[44:45], v44, v[6:7]
	v_and_b32_e32 v44, 7, v44
	v_cndmask_b32_e64 v16, v16, v43, s[0:1]
	v_lshlrev_b32_e32 v6, 8, v6
	v_lshl_add_u32 v16, v16, 10, v27
	v_cndmask_b32_e64 v19, v19, v44, s[0:1]
	v_and_or_b32 v6, v6, s24, v16
	v_lshl_or_b32 v6, v19, 7, v6
	v_cvt_f32_f16_e32 v19, v6
.LBB274_414:                            ;   in Loop: Header=BB274_296 Depth=1
	s_or_b64 exec, exec, s[12:13]
	v_cmp_gt_i16_sdwa s[8:9], v17, s22 src0_sel:BYTE_0 src1_sel:DWORD
	s_mov_b64 s[0:1], 0
                                        ; implicit-def: $sgpr14
	s_and_saveexec_b64 s[12:13], s[8:9]
	s_xor_b64 s[8:9], exec, s[12:13]
	s_cbranch_execnz .LBB274_544
; %bb.415:                              ;   in Loop: Header=BB274_296 Depth=1
	s_or_saveexec_b64 s[8:9], s[8:9]
	v_mov_b32_e32 v16, s14
	s_xor_b64 exec, exec, s[8:9]
	s_cbranch_execnz .LBB274_547
.LBB274_416:                            ;   in Loop: Header=BB274_296 Depth=1
	s_or_b64 exec, exec, s[8:9]
	v_mov_b32_e32 v6, v17
	s_and_saveexec_b64 s[8:9], s[0:1]
	s_cbranch_execz .LBB274_418
.LBB274_417:                            ;   in Loop: Header=BB274_296 Depth=1
	v_and_b32_e32 v16, 7, v17
	v_ffbh_u32_e32 v16, v16
	v_bfe_u32 v43, v17, 3, 4
	v_min_u32_e32 v16, 32, v16
	v_subrev_u32_e32 v44, 28, v16
	v_sub_u32_e32 v16, 29, v16
	v_cmp_eq_u32_e64 s[0:1], 0, v43
	s_nop 1
	v_cndmask_b32_e64 v16, v43, v16, s[0:1]
	v_cndmask_b32_e64 v43, 0, v44, s[0:1]
	v_lshlrev_b64 v[44:45], v43, v[6:7]
	v_lshlrev_b32_e32 v43, 7, v44
	v_lshlrev_b32_e32 v44, 8, v17
	v_lshl_add_u32 v16, v16, 10, v27
	v_and_or_b32 v16, v44, s24, v16
	v_and_or_b32 v16, v43, s25, v16
	v_cvt_f32_f16_e32 v16, v16
.LBB274_418:                            ;   in Loop: Header=BB274_296 Depth=1
	s_or_b64 exec, exec, s[8:9]
	v_lshrrev_b16_e32 v6, 8, v6
	v_cmp_lt_i16_e64 s[0:1], s22, v6
	s_mov_b64 s[8:9], 0
                                        ; implicit-def: $sgpr34
	s_and_saveexec_b64 s[12:13], s[0:1]
	s_xor_b64 s[12:13], exec, s[12:13]
	s_cbranch_execnz .LBB274_548
; %bb.419:                              ;   in Loop: Header=BB274_296 Depth=1
	s_or_saveexec_b64 s[12:13], s[12:13]
	v_mov_b32_e32 v43, s34
	s_xor_b64 exec, exec, s[12:13]
	s_cbranch_execnz .LBB274_551
.LBB274_420:                            ;   in Loop: Header=BB274_296 Depth=1
	s_or_b64 exec, exec, s[12:13]
	s_and_saveexec_b64 s[12:13], s[8:9]
	s_cbranch_execz .LBB274_422
.LBB274_421:                            ;   in Loop: Header=BB274_296 Depth=1
	v_and_b32_e32 v43, 7, v6
	v_ffbh_u32_e32 v44, v43
	v_min_u32_e32 v47, 32, v44
	v_subrev_u32_e32 v44, 28, v47
	v_bfe_u32 v46, v6, 3, 4
	v_lshlrev_b64 v[44:45], v44, v[6:7]
	v_sub_u32_e32 v45, 29, v47
	v_cmp_eq_u32_e64 s[0:1], 0, v46
	v_and_b32_e32 v44, 7, v44
	v_lshlrev_b32_e32 v6, 8, v6
	v_cndmask_b32_e64 v45, v46, v45, s[0:1]
	v_cndmask_b32_e64 v43, v43, v44, s[0:1]
	v_lshl_add_u32 v44, v45, 10, v27
	v_and_or_b32 v6, v6, s24, v44
	v_lshl_or_b32 v6, v43, 7, v6
	v_cvt_f32_f16_e32 v43, v6
.LBB274_422:                            ;   in Loop: Header=BB274_296 Depth=1
	s_or_b64 exec, exec, s[12:13]
	v_lshrrev_b32_e32 v6, 16, v17
	v_cmp_gt_i16_sdwa s[8:9], v6, s22 src0_sel:BYTE_0 src1_sel:DWORD
	s_mov_b64 s[0:1], 0
                                        ; implicit-def: $sgpr14
	s_and_saveexec_b64 s[12:13], s[8:9]
	s_xor_b64 s[8:9], exec, s[12:13]
	s_cbranch_execnz .LBB274_552
; %bb.423:                              ;   in Loop: Header=BB274_296 Depth=1
	s_or_saveexec_b64 s[8:9], s[8:9]
	v_mov_b32_e32 v44, s14
	s_xor_b64 exec, exec, s[8:9]
	s_cbranch_execnz .LBB274_555
.LBB274_424:                            ;   in Loop: Header=BB274_296 Depth=1
	s_or_b64 exec, exec, s[8:9]
	s_and_saveexec_b64 s[8:9], s[0:1]
	s_cbranch_execz .LBB274_426
.LBB274_425:                            ;   in Loop: Header=BB274_296 Depth=1
	v_bfe_u32 v46, v17, 16, 3
	v_ffbh_u32_e32 v44, v46
	v_min_u32_e32 v48, 32, v44
	v_subrev_u32_e32 v44, 28, v48
	v_bfe_u32 v47, v17, 19, 4
	v_lshlrev_b64 v[44:45], v44, v[6:7]
	v_sub_u32_e32 v45, 29, v48
	v_cmp_eq_u32_e64 s[0:1], 0, v47
	v_and_b32_e32 v44, 7, v44
	v_lshlrev_b32_e32 v6, 8, v6
	v_cndmask_b32_e64 v45, v47, v45, s[0:1]
	v_lshl_add_u32 v45, v45, 10, v27
	v_cndmask_b32_e64 v44, v46, v44, s[0:1]
	v_and_or_b32 v6, v6, s24, v45
	v_lshl_or_b32 v6, v44, 7, v6
	v_cvt_f32_f16_e32 v44, v6
.LBB274_426:                            ;   in Loop: Header=BB274_296 Depth=1
	s_or_b64 exec, exec, s[8:9]
	v_lshrrev_b32_e32 v6, 24, v17
	v_cmp_lt_i16_e64 s[0:1], s22, v6
	s_mov_b64 s[8:9], 0
                                        ; implicit-def: $sgpr34
	s_and_saveexec_b64 s[12:13], s[0:1]
	s_xor_b64 s[12:13], exec, s[12:13]
	s_cbranch_execnz .LBB274_556
; %bb.427:                              ;   in Loop: Header=BB274_296 Depth=1
	s_or_saveexec_b64 s[12:13], s[12:13]
	v_mov_b32_e32 v45, s34
	s_xor_b64 exec, exec, s[12:13]
	s_cbranch_execnz .LBB274_559
.LBB274_428:                            ;   in Loop: Header=BB274_296 Depth=1
	s_or_b64 exec, exec, s[12:13]
	s_and_saveexec_b64 s[12:13], s[8:9]
	s_cbranch_execz .LBB274_430
.LBB274_429:                            ;   in Loop: Header=BB274_296 Depth=1
	v_bfe_u32 v45, v17, 24, 3
	v_ffbh_u32_e32 v46, v45
	v_min_u32_e32 v48, 32, v46
	v_subrev_u32_e32 v46, 28, v48
	v_bfe_u32 v17, v17, 27, 4
	v_lshlrev_b64 v[46:47], v46, v[6:7]
	v_sub_u32_e32 v47, 29, v48
	v_cmp_eq_u32_e64 s[0:1], 0, v17
	v_and_b32_e32 v46, 7, v46
	v_lshlrev_b32_e32 v6, 8, v6
	v_cndmask_b32_e64 v17, v17, v47, s[0:1]
	v_lshl_add_u32 v17, v17, 10, v27
	v_cndmask_b32_e64 v45, v45, v46, s[0:1]
	v_and_or_b32 v6, v6, s24, v17
	v_lshl_or_b32 v6, v45, 7, v6
	v_cvt_f32_f16_e32 v45, v6
.LBB274_430:                            ;   in Loop: Header=BB274_296 Depth=1
	s_or_b64 exec, exec, s[12:13]
	s_waitcnt vmcnt(0)
	v_pk_mul_f32 v[12:13], v[14:15], v[12:13] op_sel_hi:[0,1]
	v_cvt_f16_f32_e32 v13, v13
	v_cvt_f16_f32_e32 v12, v12
	v_pk_mul_f32 v[18:19], v[14:15], v[18:19] op_sel_hi:[0,1]
	v_cvt_f16_f32_e32 v6, v19
	v_cvt_f16_f32_e32 v17, v18
	v_pack_b32_f16 v12, v12, v13
	v_fma_mixlo_f16 v13, v14, v43, 0
	v_lshlrev_b32_e32 v13, 16, v13
	v_fma_mixlo_f16 v16, v14, v16, 0
	v_or_b32_sdwa v13, v13, v16 dst_sel:DWORD dst_unused:UNUSED_PAD src0_sel:DWORD src1_sel:WORD_0
	v_fma_mixlo_f16 v16, v14, v44, 0
	v_fma_mixlo_f16 v14, v14, v45, 0
	v_pack_b32_f16 v17, v17, v6
	v_lshlrev_b32_e32 v14, 16, v14
	v_perm_b32 v6, v12, v17, s29
	v_perm_b32 v12, v12, v17, s30
	v_or_b32_sdwa v14, v14, v16 dst_sel:DWORD dst_unused:UNUSED_PAD src0_sel:DWORD src1_sel:WORD_0
	s_and_saveexec_b64 s[0:1], vcc
	s_cbranch_execz .LBB274_295
; %bb.431:                              ;   in Loop: Header=BB274_296 Depth=1
	v_lshrrev_b32_e32 v17, 16, v12
	v_cmp_gt_i32_e32 vcc, s27, v34
	v_lshrrev_b32_e32 v14, 16, v14
	s_nop 0
	v_cndmask_b32_e32 v17, 0, v17, vcc
	v_cmp_gt_i32_e32 vcc, s33, v25
	s_nop 1
	v_cndmask_b32_e32 v12, 0, v12, vcc
	v_perm_b32 v12, v17, v12, s31
	v_lshrrev_b32_e32 v17, 16, v6
	v_cmp_gt_i32_e32 vcc, s27, v33
	s_nop 1
	v_cndmask_b32_e32 v17, 0, v17, vcc
	v_cmp_gt_i32_e32 vcc, s33, v32
	s_nop 1
	v_cndmask_b32_e32 v6, 0, v6, vcc
	v_perm_b32 v6, v17, v6, s31
	v_lshrrev_b32_e32 v17, 16, v13
	v_cmp_gt_i32_e32 vcc, s27, v31
	s_nop 1
	v_cndmask_b32_e32 v17, 0, v17, vcc
	v_cmp_gt_i32_e32 vcc, s33, v30
	s_nop 1
	v_cndmask_b32_e32 v13, 0, v13, vcc
	v_cmp_gt_i32_e32 vcc, s27, v29
	v_perm_b32 v13, v17, v13, s31
	s_nop 0
	v_cndmask_b32_e32 v14, 0, v14, vcc
	v_cmp_gt_i32_e32 vcc, s33, v28
	s_nop 1
	v_cndmask_b32_e32 v16, 0, v16, vcc
	v_perm_b32 v14, v14, v16, s31
	s_branch .LBB274_295
.LBB274_432:                            ;   in Loop: Header=BB274_296 Depth=1
	v_cmp_eq_u16_sdwa s[34:35], v16, s23 src0_sel:BYTE_0 src1_sel:DWORD
	s_mov_b64 s[0:1], -1
                                        ; implicit-def: $sgpr14
	s_and_saveexec_b64 s[12:13], s[34:35]
; %bb.433:                              ;   in Loop: Header=BB274_296 Depth=1
	s_mov_b32 s14, 0x7fc02000
	s_xor_b64 s[0:1], exec, -1
; %bb.434:                              ;   in Loop: Header=BB274_296 Depth=1
	s_or_b64 exec, exec, s[12:13]
	s_and_b64 s[0:1], s[0:1], exec
	s_or_saveexec_b64 s[8:9], s[8:9]
	v_mov_b32_e32 v18, s14
	s_xor_b64 exec, exec, s[8:9]
	s_cbranch_execz .LBB274_298
.LBB274_435:                            ;   in Loop: Header=BB274_296 Depth=1
	v_cmp_ne_u16_sdwa s[12:13], v16, v7 src0_sel:BYTE_0 src1_sel:DWORD
	s_andn2_b64 s[0:1], s[0:1], exec
	s_and_b64 s[12:13], s[12:13], exec
	v_mov_b32_e32 v18, 0
	s_or_b64 s[0:1], s[0:1], s[12:13]
	s_or_b64 exec, exec, s[8:9]
	s_and_saveexec_b64 s[8:9], s[0:1]
	s_cbranch_execnz .LBB274_299
	s_branch .LBB274_300
.LBB274_436:                            ;   in Loop: Header=BB274_296 Depth=1
	v_cmp_eq_u16_e32 vcc, s23, v6
	s_mov_b64 s[0:1], -1
                                        ; implicit-def: $sgpr14
	s_and_saveexec_b64 s[12:13], vcc
; %bb.437:                              ;   in Loop: Header=BB274_296 Depth=1
	s_mov_b32 s14, 0x7fc02000
	s_xor_b64 s[0:1], exec, -1
; %bb.438:                              ;   in Loop: Header=BB274_296 Depth=1
	s_or_b64 exec, exec, s[12:13]
	s_and_b64 s[0:1], s[0:1], exec
	s_or_saveexec_b64 s[8:9], s[8:9]
	v_mov_b32_e32 v20, s14
	s_xor_b64 exec, exec, s[8:9]
	s_cbranch_execz .LBB274_302
.LBB274_439:                            ;   in Loop: Header=BB274_296 Depth=1
	v_cmp_ne_u16_e32 vcc, 0, v6
	s_andn2_b64 s[0:1], s[0:1], exec
	s_and_b64 s[12:13], vcc, exec
	v_mov_b32_e32 v20, 0
	s_or_b64 s[0:1], s[0:1], s[12:13]
	s_or_b64 exec, exec, s[8:9]
	s_and_saveexec_b64 s[8:9], s[0:1]
	s_cbranch_execnz .LBB274_303
	s_branch .LBB274_304
.LBB274_440:                            ;   in Loop: Header=BB274_296 Depth=1
	v_cmp_eq_u16_sdwa s[34:35], v6, s23 src0_sel:BYTE_0 src1_sel:DWORD
	s_mov_b64 s[0:1], -1
                                        ; implicit-def: $sgpr14
	s_and_saveexec_b64 s[12:13], s[34:35]
; %bb.441:                              ;   in Loop: Header=BB274_296 Depth=1
	s_mov_b32 s14, 0x7fc02000
	s_xor_b64 s[0:1], exec, -1
; %bb.442:                              ;   in Loop: Header=BB274_296 Depth=1
	s_or_b64 exec, exec, s[12:13]
	s_and_b64 s[0:1], s[0:1], exec
	s_or_saveexec_b64 s[8:9], s[8:9]
	v_mov_b32_e32 v19, s14
	s_xor_b64 exec, exec, s[8:9]
	s_cbranch_execz .LBB274_306
.LBB274_443:                            ;   in Loop: Header=BB274_296 Depth=1
	v_cmp_ne_u16_sdwa s[12:13], v6, v7 src0_sel:BYTE_0 src1_sel:DWORD
	s_andn2_b64 s[0:1], s[0:1], exec
	s_and_b64 s[12:13], s[12:13], exec
	v_mov_b32_e32 v19, 0
	s_or_b64 s[0:1], s[0:1], s[12:13]
	s_or_b64 exec, exec, s[8:9]
	s_and_saveexec_b64 s[8:9], s[0:1]
	s_cbranch_execnz .LBB274_307
	s_branch .LBB274_308
.LBB274_444:                            ;   in Loop: Header=BB274_296 Depth=1
	v_cmp_eq_u16_e32 vcc, s23, v6
	s_mov_b64 s[0:1], -1
                                        ; implicit-def: $sgpr14
	s_and_saveexec_b64 s[12:13], vcc
; %bb.445:                              ;   in Loop: Header=BB274_296 Depth=1
	s_mov_b32 s14, 0x7fc02000
	s_xor_b64 s[0:1], exec, -1
; %bb.446:                              ;   in Loop: Header=BB274_296 Depth=1
	s_or_b64 exec, exec, s[12:13]
	s_and_b64 s[0:1], s[0:1], exec
	s_or_saveexec_b64 s[8:9], s[8:9]
	v_mov_b32_e32 v21, s14
	s_xor_b64 exec, exec, s[8:9]
	s_cbranch_execz .LBB274_310
.LBB274_447:                            ;   in Loop: Header=BB274_296 Depth=1
	v_cmp_ne_u16_e32 vcc, 0, v6
	s_andn2_b64 s[0:1], s[0:1], exec
	s_and_b64 s[12:13], vcc, exec
	v_mov_b32_e32 v21, 0
	s_or_b64 s[0:1], s[0:1], s[12:13]
	s_or_b64 exec, exec, s[8:9]
	s_and_saveexec_b64 s[8:9], s[0:1]
	s_cbranch_execnz .LBB274_311
	s_branch .LBB274_312
.LBB274_448:                            ;   in Loop: Header=BB274_296 Depth=1
	v_cmp_eq_u16_sdwa s[34:35], v17, s23 src0_sel:BYTE_0 src1_sel:DWORD
	s_mov_b64 s[0:1], -1
                                        ; implicit-def: $sgpr14
	s_and_saveexec_b64 s[12:13], s[34:35]
; %bb.449:                              ;   in Loop: Header=BB274_296 Depth=1
	s_mov_b32 s14, 0x7fc02000
	s_xor_b64 s[0:1], exec, -1
; %bb.450:                              ;   in Loop: Header=BB274_296 Depth=1
	s_or_b64 exec, exec, s[12:13]
	s_and_b64 s[0:1], s[0:1], exec
	s_or_saveexec_b64 s[8:9], s[8:9]
	v_mov_b32_e32 v16, s14
	s_xor_b64 exec, exec, s[8:9]
	s_cbranch_execz .LBB274_314
.LBB274_451:                            ;   in Loop: Header=BB274_296 Depth=1
	v_cmp_ne_u16_sdwa s[12:13], v17, v7 src0_sel:BYTE_0 src1_sel:DWORD
	s_andn2_b64 s[0:1], s[0:1], exec
	s_and_b64 s[12:13], s[12:13], exec
	v_mov_b32_e32 v16, 0
	s_or_b64 s[0:1], s[0:1], s[12:13]
	s_or_b64 exec, exec, s[8:9]
	v_mov_b32_e32 v6, v17
	s_and_saveexec_b64 s[8:9], s[0:1]
	s_cbranch_execnz .LBB274_315
	s_branch .LBB274_316
.LBB274_452:                            ;   in Loop: Header=BB274_296 Depth=1
	v_cmp_eq_u16_e32 vcc, s23, v6
	s_mov_b64 s[0:1], -1
                                        ; implicit-def: $sgpr14
	s_and_saveexec_b64 s[12:13], vcc
; %bb.453:                              ;   in Loop: Header=BB274_296 Depth=1
	s_mov_b32 s14, 0x7fc02000
	s_xor_b64 s[0:1], exec, -1
; %bb.454:                              ;   in Loop: Header=BB274_296 Depth=1
	s_or_b64 exec, exec, s[12:13]
	s_and_b64 s[0:1], s[0:1], exec
	s_or_saveexec_b64 s[8:9], s[8:9]
	v_mov_b32_e32 v28, s14
	s_xor_b64 exec, exec, s[8:9]
	s_cbranch_execz .LBB274_318
.LBB274_455:                            ;   in Loop: Header=BB274_296 Depth=1
	v_cmp_ne_u16_e32 vcc, 0, v6
	s_andn2_b64 s[0:1], s[0:1], exec
	s_and_b64 s[12:13], vcc, exec
	v_mov_b32_e32 v28, 0
	s_or_b64 s[0:1], s[0:1], s[12:13]
	s_or_b64 exec, exec, s[8:9]
	s_and_saveexec_b64 s[8:9], s[0:1]
	s_cbranch_execnz .LBB274_319
	s_branch .LBB274_320
.LBB274_456:                            ;   in Loop: Header=BB274_296 Depth=1
	v_cmp_eq_u16_sdwa s[34:35], v6, s23 src0_sel:BYTE_0 src1_sel:DWORD
	s_mov_b64 s[0:1], -1
                                        ; implicit-def: $sgpr14
	s_and_saveexec_b64 s[12:13], s[34:35]
; %bb.457:                              ;   in Loop: Header=BB274_296 Depth=1
	s_mov_b32 s14, 0x7fc02000
	s_xor_b64 s[0:1], exec, -1
; %bb.458:                              ;   in Loop: Header=BB274_296 Depth=1
	s_or_b64 exec, exec, s[12:13]
	s_and_b64 s[0:1], s[0:1], exec
	s_or_saveexec_b64 s[8:9], s[8:9]
	v_mov_b32_e32 v29, s14
	s_xor_b64 exec, exec, s[8:9]
	s_cbranch_execz .LBB274_322
.LBB274_459:                            ;   in Loop: Header=BB274_296 Depth=1
	v_cmp_ne_u16_sdwa s[12:13], v6, v7 src0_sel:BYTE_0 src1_sel:DWORD
	s_andn2_b64 s[0:1], s[0:1], exec
	s_and_b64 s[12:13], s[12:13], exec
	v_mov_b32_e32 v29, 0
	s_or_b64 s[0:1], s[0:1], s[12:13]
	s_or_b64 exec, exec, s[8:9]
	s_and_saveexec_b64 s[8:9], s[0:1]
	s_cbranch_execnz .LBB274_323
	s_branch .LBB274_324
.LBB274_460:                            ;   in Loop: Header=BB274_296 Depth=1
	v_cmp_eq_u16_e32 vcc, s23, v6
	s_mov_b64 s[0:1], -1
                                        ; implicit-def: $sgpr14
	s_and_saveexec_b64 s[12:13], vcc
; %bb.461:                              ;   in Loop: Header=BB274_296 Depth=1
	s_mov_b32 s14, 0x7fc02000
	s_xor_b64 s[0:1], exec, -1
; %bb.462:                              ;   in Loop: Header=BB274_296 Depth=1
	s_or_b64 exec, exec, s[12:13]
	s_and_b64 s[0:1], s[0:1], exec
	s_or_saveexec_b64 s[8:9], s[8:9]
	v_mov_b32_e32 v30, s14
	s_xor_b64 exec, exec, s[8:9]
	s_cbranch_execz .LBB274_326
.LBB274_463:                            ;   in Loop: Header=BB274_296 Depth=1
	v_cmp_ne_u16_e32 vcc, 0, v6
	s_andn2_b64 s[0:1], s[0:1], exec
	s_and_b64 s[12:13], vcc, exec
	v_mov_b32_e32 v30, 0
	s_or_b64 s[0:1], s[0:1], s[12:13]
	s_or_b64 exec, exec, s[8:9]
	s_and_saveexec_b64 s[8:9], s[0:1]
	s_cbranch_execnz .LBB274_327
	s_branch .LBB274_328
.LBB274_464:                            ;   in Loop: Header=BB274_296 Depth=1
	v_cmp_eq_u16_sdwa s[34:35], v16, s23 src0_sel:BYTE_0 src1_sel:DWORD
	s_mov_b64 s[0:1], -1
                                        ; implicit-def: $sgpr14
	s_and_saveexec_b64 s[12:13], s[34:35]
; %bb.465:                              ;   in Loop: Header=BB274_296 Depth=1
	s_mov_b32 s14, 0x7fc02000
	s_xor_b64 s[0:1], exec, -1
; %bb.466:                              ;   in Loop: Header=BB274_296 Depth=1
	s_or_b64 exec, exec, s[12:13]
	s_and_b64 s[0:1], s[0:1], exec
	s_or_saveexec_b64 s[8:9], s[8:9]
	v_mov_b32_e32 v18, s14
	s_xor_b64 exec, exec, s[8:9]
	s_cbranch_execz .LBB274_332
.LBB274_467:                            ;   in Loop: Header=BB274_296 Depth=1
	v_cmp_ne_u16_sdwa s[12:13], v16, v7 src0_sel:BYTE_0 src1_sel:DWORD
	s_andn2_b64 s[0:1], s[0:1], exec
	s_and_b64 s[12:13], s[12:13], exec
	v_mov_b32_e32 v18, 0
	s_or_b64 s[0:1], s[0:1], s[12:13]
	s_or_b64 exec, exec, s[8:9]
	s_and_saveexec_b64 s[8:9], s[0:1]
	s_cbranch_execnz .LBB274_333
	s_branch .LBB274_334
.LBB274_468:                            ;   in Loop: Header=BB274_296 Depth=1
	v_cmp_eq_u16_e64 s[0:1], s23, v6
	s_mov_b64 s[8:9], -1
                                        ; implicit-def: $sgpr34
	s_and_saveexec_b64 s[14:15], s[0:1]
; %bb.469:                              ;   in Loop: Header=BB274_296 Depth=1
	s_mov_b32 s34, 0x7fc02000
	s_xor_b64 s[8:9], exec, -1
; %bb.470:                              ;   in Loop: Header=BB274_296 Depth=1
	s_or_b64 exec, exec, s[14:15]
	s_and_b64 s[8:9], s[8:9], exec
	s_or_saveexec_b64 s[12:13], s[12:13]
	v_mov_b32_e32 v20, s34
	s_xor_b64 exec, exec, s[12:13]
	s_cbranch_execz .LBB274_336
.LBB274_471:                            ;   in Loop: Header=BB274_296 Depth=1
	v_cmp_ne_u16_e64 s[0:1], 0, v6
	s_andn2_b64 s[8:9], s[8:9], exec
	s_and_b64 s[0:1], s[0:1], exec
	v_mov_b32_e32 v20, 0
	s_or_b64 s[8:9], s[8:9], s[0:1]
	s_or_b64 exec, exec, s[12:13]
	s_and_saveexec_b64 s[12:13], s[8:9]
	s_cbranch_execnz .LBB274_337
	s_branch .LBB274_338
.LBB274_472:                            ;   in Loop: Header=BB274_296 Depth=1
	v_cmp_eq_u16_sdwa s[34:35], v6, s23 src0_sel:BYTE_0 src1_sel:DWORD
	s_mov_b64 s[0:1], -1
                                        ; implicit-def: $sgpr14
	s_and_saveexec_b64 s[12:13], s[34:35]
; %bb.473:                              ;   in Loop: Header=BB274_296 Depth=1
	s_mov_b32 s14, 0x7fc02000
	s_xor_b64 s[0:1], exec, -1
; %bb.474:                              ;   in Loop: Header=BB274_296 Depth=1
	s_or_b64 exec, exec, s[12:13]
	s_and_b64 s[0:1], s[0:1], exec
	s_or_saveexec_b64 s[8:9], s[8:9]
	v_mov_b32_e32 v19, s14
	s_xor_b64 exec, exec, s[8:9]
	s_cbranch_execz .LBB274_340
.LBB274_475:                            ;   in Loop: Header=BB274_296 Depth=1
	v_cmp_ne_u16_sdwa s[12:13], v6, v7 src0_sel:BYTE_0 src1_sel:DWORD
	s_andn2_b64 s[0:1], s[0:1], exec
	s_and_b64 s[12:13], s[12:13], exec
	v_mov_b32_e32 v19, 0
	s_or_b64 s[0:1], s[0:1], s[12:13]
	s_or_b64 exec, exec, s[8:9]
	s_and_saveexec_b64 s[8:9], s[0:1]
	s_cbranch_execnz .LBB274_341
	s_branch .LBB274_342
.LBB274_476:                            ;   in Loop: Header=BB274_296 Depth=1
	v_cmp_eq_u16_e64 s[0:1], s23, v6
	s_mov_b64 s[8:9], -1
                                        ; implicit-def: $sgpr34
	s_and_saveexec_b64 s[14:15], s[0:1]
; %bb.477:                              ;   in Loop: Header=BB274_296 Depth=1
	s_mov_b32 s34, 0x7fc02000
	s_xor_b64 s[8:9], exec, -1
; %bb.478:                              ;   in Loop: Header=BB274_296 Depth=1
	s_or_b64 exec, exec, s[14:15]
	s_and_b64 s[8:9], s[8:9], exec
	s_or_saveexec_b64 s[12:13], s[12:13]
	v_mov_b32_e32 v21, s34
	s_xor_b64 exec, exec, s[12:13]
	s_cbranch_execz .LBB274_344
.LBB274_479:                            ;   in Loop: Header=BB274_296 Depth=1
	v_cmp_ne_u16_e64 s[0:1], 0, v6
	s_andn2_b64 s[8:9], s[8:9], exec
	s_and_b64 s[0:1], s[0:1], exec
	v_mov_b32_e32 v21, 0
	s_or_b64 s[8:9], s[8:9], s[0:1]
	s_or_b64 exec, exec, s[12:13]
	s_and_saveexec_b64 s[12:13], s[8:9]
	s_cbranch_execnz .LBB274_345
	s_branch .LBB274_346
.LBB274_480:                            ;   in Loop: Header=BB274_296 Depth=1
	v_cmp_eq_u16_sdwa s[34:35], v17, s23 src0_sel:BYTE_0 src1_sel:DWORD
	s_mov_b64 s[0:1], -1
                                        ; implicit-def: $sgpr14
	s_and_saveexec_b64 s[12:13], s[34:35]
; %bb.481:                              ;   in Loop: Header=BB274_296 Depth=1
	s_mov_b32 s14, 0x7fc02000
	s_xor_b64 s[0:1], exec, -1
; %bb.482:                              ;   in Loop: Header=BB274_296 Depth=1
	s_or_b64 exec, exec, s[12:13]
	s_and_b64 s[0:1], s[0:1], exec
	s_or_saveexec_b64 s[8:9], s[8:9]
	v_mov_b32_e32 v16, s14
	s_xor_b64 exec, exec, s[8:9]
	s_cbranch_execz .LBB274_348
.LBB274_483:                            ;   in Loop: Header=BB274_296 Depth=1
	v_cmp_ne_u16_sdwa s[12:13], v17, v7 src0_sel:BYTE_0 src1_sel:DWORD
	s_andn2_b64 s[0:1], s[0:1], exec
	s_and_b64 s[12:13], s[12:13], exec
	v_mov_b32_e32 v16, 0
	s_or_b64 s[0:1], s[0:1], s[12:13]
	s_or_b64 exec, exec, s[8:9]
	v_mov_b32_e32 v6, v17
	s_and_saveexec_b64 s[8:9], s[0:1]
	s_cbranch_execnz .LBB274_349
	s_branch .LBB274_350
.LBB274_484:                            ;   in Loop: Header=BB274_296 Depth=1
	v_cmp_eq_u16_e64 s[0:1], s23, v6
	s_mov_b64 s[8:9], -1
                                        ; implicit-def: $sgpr34
	s_and_saveexec_b64 s[14:15], s[0:1]
; %bb.485:                              ;   in Loop: Header=BB274_296 Depth=1
	s_mov_b32 s34, 0x7fc02000
	s_xor_b64 s[8:9], exec, -1
; %bb.486:                              ;   in Loop: Header=BB274_296 Depth=1
	s_or_b64 exec, exec, s[14:15]
	s_and_b64 s[8:9], s[8:9], exec
	s_or_saveexec_b64 s[12:13], s[12:13]
	v_mov_b32_e32 v41, s34
	s_xor_b64 exec, exec, s[12:13]
	s_cbranch_execz .LBB274_352
.LBB274_487:                            ;   in Loop: Header=BB274_296 Depth=1
	v_cmp_ne_u16_e64 s[0:1], 0, v6
	s_andn2_b64 s[8:9], s[8:9], exec
	s_and_b64 s[0:1], s[0:1], exec
	v_mov_b32_e32 v41, 0
	s_or_b64 s[8:9], s[8:9], s[0:1]
	s_or_b64 exec, exec, s[12:13]
	s_and_saveexec_b64 s[12:13], s[8:9]
	s_cbranch_execnz .LBB274_353
	s_branch .LBB274_354
.LBB274_488:                            ;   in Loop: Header=BB274_296 Depth=1
	v_cmp_eq_u16_sdwa s[34:35], v6, s23 src0_sel:BYTE_0 src1_sel:DWORD
	s_mov_b64 s[0:1], -1
                                        ; implicit-def: $sgpr14
	s_and_saveexec_b64 s[12:13], s[34:35]
; %bb.489:                              ;   in Loop: Header=BB274_296 Depth=1
	s_mov_b32 s14, 0x7fc02000
	s_xor_b64 s[0:1], exec, -1
; %bb.490:                              ;   in Loop: Header=BB274_296 Depth=1
	s_or_b64 exec, exec, s[12:13]
	s_and_b64 s[0:1], s[0:1], exec
	s_or_saveexec_b64 s[8:9], s[8:9]
	v_mov_b32_e32 v42, s14
	s_xor_b64 exec, exec, s[8:9]
	s_cbranch_execz .LBB274_356
.LBB274_491:                            ;   in Loop: Header=BB274_296 Depth=1
	v_cmp_ne_u16_sdwa s[12:13], v6, v7 src0_sel:BYTE_0 src1_sel:DWORD
	s_andn2_b64 s[0:1], s[0:1], exec
	s_and_b64 s[12:13], s[12:13], exec
	v_mov_b32_e32 v42, 0
	s_or_b64 s[0:1], s[0:1], s[12:13]
	s_or_b64 exec, exec, s[8:9]
	s_and_saveexec_b64 s[8:9], s[0:1]
	s_cbranch_execnz .LBB274_357
	s_branch .LBB274_358
.LBB274_492:                            ;   in Loop: Header=BB274_296 Depth=1
	v_cmp_eq_u16_e64 s[0:1], s23, v6
	s_mov_b64 s[8:9], -1
                                        ; implicit-def: $sgpr34
	s_and_saveexec_b64 s[14:15], s[0:1]
; %bb.493:                              ;   in Loop: Header=BB274_296 Depth=1
	s_mov_b32 s34, 0x7fc02000
	s_xor_b64 s[8:9], exec, -1
; %bb.494:                              ;   in Loop: Header=BB274_296 Depth=1
	s_or_b64 exec, exec, s[14:15]
	s_and_b64 s[8:9], s[8:9], exec
	s_or_saveexec_b64 s[12:13], s[12:13]
	v_mov_b32_e32 v43, s34
	s_xor_b64 exec, exec, s[12:13]
	s_cbranch_execz .LBB274_360
.LBB274_495:                            ;   in Loop: Header=BB274_296 Depth=1
	v_cmp_ne_u16_e64 s[0:1], 0, v6
	s_andn2_b64 s[8:9], s[8:9], exec
	s_and_b64 s[0:1], s[0:1], exec
	v_mov_b32_e32 v43, 0
	s_or_b64 s[8:9], s[8:9], s[0:1]
	s_or_b64 exec, exec, s[12:13]
	s_and_saveexec_b64 s[12:13], s[8:9]
	s_cbranch_execnz .LBB274_361
	s_branch .LBB274_362
.LBB274_496:                            ;   in Loop: Header=BB274_296 Depth=1
	v_cmp_eq_u16_sdwa s[34:35], v16, s23 src0_sel:BYTE_0 src1_sel:DWORD
	s_mov_b64 s[0:1], -1
                                        ; implicit-def: $sgpr14
	s_and_saveexec_b64 s[12:13], s[34:35]
; %bb.497:                              ;   in Loop: Header=BB274_296 Depth=1
	s_mov_b32 s14, 0x7fc02000
	s_xor_b64 s[0:1], exec, -1
; %bb.498:                              ;   in Loop: Header=BB274_296 Depth=1
	s_or_b64 exec, exec, s[12:13]
	s_and_b64 s[0:1], s[0:1], exec
	s_or_saveexec_b64 s[8:9], s[8:9]
	v_mov_b32_e32 v18, s14
	s_xor_b64 exec, exec, s[8:9]
	s_cbranch_execz .LBB274_366
.LBB274_499:                            ;   in Loop: Header=BB274_296 Depth=1
	v_cmp_ne_u16_sdwa s[12:13], v16, v7 src0_sel:BYTE_0 src1_sel:DWORD
	s_andn2_b64 s[0:1], s[0:1], exec
	s_and_b64 s[12:13], s[12:13], exec
	v_mov_b32_e32 v18, 0
	s_or_b64 s[0:1], s[0:1], s[12:13]
	s_or_b64 exec, exec, s[8:9]
	s_and_saveexec_b64 s[8:9], s[0:1]
	s_cbranch_execnz .LBB274_367
	s_branch .LBB274_368
.LBB274_500:                            ;   in Loop: Header=BB274_296 Depth=1
	v_cmp_eq_u16_e64 s[0:1], s23, v6
	s_mov_b64 s[8:9], -1
                                        ; implicit-def: $sgpr34
	s_and_saveexec_b64 s[14:15], s[0:1]
; %bb.501:                              ;   in Loop: Header=BB274_296 Depth=1
	s_mov_b32 s34, 0x7fc02000
	s_xor_b64 s[8:9], exec, -1
; %bb.502:                              ;   in Loop: Header=BB274_296 Depth=1
	s_or_b64 exec, exec, s[14:15]
	s_and_b64 s[8:9], s[8:9], exec
	s_or_saveexec_b64 s[12:13], s[12:13]
	v_mov_b32_e32 v20, s34
	s_xor_b64 exec, exec, s[12:13]
	s_cbranch_execz .LBB274_370
.LBB274_503:                            ;   in Loop: Header=BB274_296 Depth=1
	v_cmp_ne_u16_e64 s[0:1], 0, v6
	s_andn2_b64 s[8:9], s[8:9], exec
	s_and_b64 s[0:1], s[0:1], exec
	v_mov_b32_e32 v20, 0
	s_or_b64 s[8:9], s[8:9], s[0:1]
	s_or_b64 exec, exec, s[12:13]
	s_and_saveexec_b64 s[12:13], s[8:9]
	s_cbranch_execnz .LBB274_371
	s_branch .LBB274_372
.LBB274_504:                            ;   in Loop: Header=BB274_296 Depth=1
	v_cmp_eq_u16_sdwa s[34:35], v6, s23 src0_sel:BYTE_0 src1_sel:DWORD
	s_mov_b64 s[0:1], -1
                                        ; implicit-def: $sgpr14
	s_and_saveexec_b64 s[12:13], s[34:35]
; %bb.505:                              ;   in Loop: Header=BB274_296 Depth=1
	s_mov_b32 s14, 0x7fc02000
	s_xor_b64 s[0:1], exec, -1
; %bb.506:                              ;   in Loop: Header=BB274_296 Depth=1
	s_or_b64 exec, exec, s[12:13]
	s_and_b64 s[0:1], s[0:1], exec
	s_or_saveexec_b64 s[8:9], s[8:9]
	v_mov_b32_e32 v19, s14
	s_xor_b64 exec, exec, s[8:9]
	s_cbranch_execz .LBB274_374
.LBB274_507:                            ;   in Loop: Header=BB274_296 Depth=1
	v_cmp_ne_u16_sdwa s[12:13], v6, v7 src0_sel:BYTE_0 src1_sel:DWORD
	s_andn2_b64 s[0:1], s[0:1], exec
	s_and_b64 s[12:13], s[12:13], exec
	v_mov_b32_e32 v19, 0
	s_or_b64 s[0:1], s[0:1], s[12:13]
	s_or_b64 exec, exec, s[8:9]
	s_and_saveexec_b64 s[8:9], s[0:1]
	s_cbranch_execnz .LBB274_375
	s_branch .LBB274_376
.LBB274_508:                            ;   in Loop: Header=BB274_296 Depth=1
	v_cmp_eq_u16_e64 s[0:1], s23, v6
	s_mov_b64 s[8:9], -1
                                        ; implicit-def: $sgpr34
	s_and_saveexec_b64 s[14:15], s[0:1]
; %bb.509:                              ;   in Loop: Header=BB274_296 Depth=1
	s_mov_b32 s34, 0x7fc02000
	s_xor_b64 s[8:9], exec, -1
; %bb.510:                              ;   in Loop: Header=BB274_296 Depth=1
	s_or_b64 exec, exec, s[14:15]
	s_and_b64 s[8:9], s[8:9], exec
	s_or_saveexec_b64 s[12:13], s[12:13]
	v_mov_b32_e32 v21, s34
	s_xor_b64 exec, exec, s[12:13]
	s_cbranch_execz .LBB274_378
.LBB274_511:                            ;   in Loop: Header=BB274_296 Depth=1
	v_cmp_ne_u16_e64 s[0:1], 0, v6
	s_andn2_b64 s[8:9], s[8:9], exec
	s_and_b64 s[0:1], s[0:1], exec
	v_mov_b32_e32 v21, 0
	s_or_b64 s[8:9], s[8:9], s[0:1]
	s_or_b64 exec, exec, s[12:13]
	s_and_saveexec_b64 s[12:13], s[8:9]
	s_cbranch_execnz .LBB274_379
	s_branch .LBB274_380
.LBB274_512:                            ;   in Loop: Header=BB274_296 Depth=1
	v_cmp_eq_u16_sdwa s[34:35], v17, s23 src0_sel:BYTE_0 src1_sel:DWORD
	s_mov_b64 s[0:1], -1
                                        ; implicit-def: $sgpr14
	s_and_saveexec_b64 s[12:13], s[34:35]
; %bb.513:                              ;   in Loop: Header=BB274_296 Depth=1
	s_mov_b32 s14, 0x7fc02000
	s_xor_b64 s[0:1], exec, -1
; %bb.514:                              ;   in Loop: Header=BB274_296 Depth=1
	s_or_b64 exec, exec, s[12:13]
	s_and_b64 s[0:1], s[0:1], exec
	s_or_saveexec_b64 s[8:9], s[8:9]
	v_mov_b32_e32 v16, s14
	s_xor_b64 exec, exec, s[8:9]
	s_cbranch_execz .LBB274_382
.LBB274_515:                            ;   in Loop: Header=BB274_296 Depth=1
	v_cmp_ne_u16_sdwa s[12:13], v17, v7 src0_sel:BYTE_0 src1_sel:DWORD
	s_andn2_b64 s[0:1], s[0:1], exec
	s_and_b64 s[12:13], s[12:13], exec
	v_mov_b32_e32 v16, 0
	s_or_b64 s[0:1], s[0:1], s[12:13]
	s_or_b64 exec, exec, s[8:9]
	v_mov_b32_e32 v6, v17
	s_and_saveexec_b64 s[8:9], s[0:1]
	s_cbranch_execnz .LBB274_383
	s_branch .LBB274_384
.LBB274_516:                            ;   in Loop: Header=BB274_296 Depth=1
	v_cmp_eq_u16_e64 s[0:1], s23, v6
	s_mov_b64 s[8:9], -1
                                        ; implicit-def: $sgpr34
	s_and_saveexec_b64 s[14:15], s[0:1]
; %bb.517:                              ;   in Loop: Header=BB274_296 Depth=1
	s_mov_b32 s34, 0x7fc02000
	s_xor_b64 s[8:9], exec, -1
; %bb.518:                              ;   in Loop: Header=BB274_296 Depth=1
	s_or_b64 exec, exec, s[14:15]
	s_and_b64 s[8:9], s[8:9], exec
	s_or_saveexec_b64 s[12:13], s[12:13]
	v_mov_b32_e32 v43, s34
	s_xor_b64 exec, exec, s[12:13]
	s_cbranch_execz .LBB274_386
.LBB274_519:                            ;   in Loop: Header=BB274_296 Depth=1
	v_cmp_ne_u16_e64 s[0:1], 0, v6
	s_andn2_b64 s[8:9], s[8:9], exec
	s_and_b64 s[0:1], s[0:1], exec
	v_mov_b32_e32 v43, 0
	s_or_b64 s[8:9], s[8:9], s[0:1]
	s_or_b64 exec, exec, s[12:13]
	s_and_saveexec_b64 s[12:13], s[8:9]
	s_cbranch_execnz .LBB274_387
	s_branch .LBB274_388
.LBB274_520:                            ;   in Loop: Header=BB274_296 Depth=1
	v_cmp_eq_u16_sdwa s[34:35], v6, s23 src0_sel:BYTE_0 src1_sel:DWORD
	s_mov_b64 s[0:1], -1
                                        ; implicit-def: $sgpr14
	s_and_saveexec_b64 s[12:13], s[34:35]
; %bb.521:                              ;   in Loop: Header=BB274_296 Depth=1
	s_mov_b32 s14, 0x7fc02000
	s_xor_b64 s[0:1], exec, -1
; %bb.522:                              ;   in Loop: Header=BB274_296 Depth=1
	s_or_b64 exec, exec, s[12:13]
	s_and_b64 s[0:1], s[0:1], exec
	s_or_saveexec_b64 s[8:9], s[8:9]
	v_mov_b32_e32 v44, s14
	s_xor_b64 exec, exec, s[8:9]
	s_cbranch_execz .LBB274_390
.LBB274_523:                            ;   in Loop: Header=BB274_296 Depth=1
	v_cmp_ne_u16_sdwa s[12:13], v6, v7 src0_sel:BYTE_0 src1_sel:DWORD
	s_andn2_b64 s[0:1], s[0:1], exec
	s_and_b64 s[12:13], s[12:13], exec
	v_mov_b32_e32 v44, 0
	s_or_b64 s[0:1], s[0:1], s[12:13]
	s_or_b64 exec, exec, s[8:9]
	s_and_saveexec_b64 s[8:9], s[0:1]
	s_cbranch_execnz .LBB274_391
	s_branch .LBB274_392
.LBB274_524:                            ;   in Loop: Header=BB274_296 Depth=1
	v_cmp_eq_u16_e64 s[0:1], s23, v6
	s_mov_b64 s[8:9], -1
                                        ; implicit-def: $sgpr34
	s_and_saveexec_b64 s[14:15], s[0:1]
; %bb.525:                              ;   in Loop: Header=BB274_296 Depth=1
	s_mov_b32 s34, 0x7fc02000
	s_xor_b64 s[8:9], exec, -1
; %bb.526:                              ;   in Loop: Header=BB274_296 Depth=1
	s_or_b64 exec, exec, s[14:15]
	s_and_b64 s[8:9], s[8:9], exec
	s_or_saveexec_b64 s[12:13], s[12:13]
	v_mov_b32_e32 v45, s34
	s_xor_b64 exec, exec, s[12:13]
	s_cbranch_execz .LBB274_394
.LBB274_527:                            ;   in Loop: Header=BB274_296 Depth=1
	v_cmp_ne_u16_e64 s[0:1], 0, v6
	s_andn2_b64 s[8:9], s[8:9], exec
	s_and_b64 s[0:1], s[0:1], exec
	v_mov_b32_e32 v45, 0
	s_or_b64 s[8:9], s[8:9], s[0:1]
	s_or_b64 exec, exec, s[12:13]
	s_and_saveexec_b64 s[12:13], s[8:9]
	s_cbranch_execnz .LBB274_395
	s_branch .LBB274_396
.LBB274_528:                            ;   in Loop: Header=BB274_296 Depth=1
	v_cmp_eq_u16_sdwa s[34:35], v16, s23 src0_sel:BYTE_0 src1_sel:DWORD
	s_mov_b64 s[0:1], -1
                                        ; implicit-def: $sgpr14
	s_and_saveexec_b64 s[12:13], s[34:35]
; %bb.529:                              ;   in Loop: Header=BB274_296 Depth=1
	s_mov_b32 s14, 0x7fc02000
	s_xor_b64 s[0:1], exec, -1
; %bb.530:                              ;   in Loop: Header=BB274_296 Depth=1
	s_or_b64 exec, exec, s[12:13]
	s_and_b64 s[0:1], s[0:1], exec
	s_or_saveexec_b64 s[8:9], s[8:9]
	v_mov_b32_e32 v12, s14
	s_xor_b64 exec, exec, s[8:9]
	s_cbranch_execz .LBB274_400
.LBB274_531:                            ;   in Loop: Header=BB274_296 Depth=1
	v_cmp_ne_u16_sdwa s[12:13], v16, v7 src0_sel:BYTE_0 src1_sel:DWORD
	s_andn2_b64 s[0:1], s[0:1], exec
	s_and_b64 s[12:13], s[12:13], exec
	v_mov_b32_e32 v12, 0
	s_or_b64 s[0:1], s[0:1], s[12:13]
	s_or_b64 exec, exec, s[8:9]
	s_and_saveexec_b64 s[8:9], s[0:1]
	s_cbranch_execnz .LBB274_401
	s_branch .LBB274_402
.LBB274_532:                            ;   in Loop: Header=BB274_296 Depth=1
	v_cmp_eq_u16_e64 s[0:1], s23, v6
	s_mov_b64 s[8:9], -1
                                        ; implicit-def: $sgpr34
	s_and_saveexec_b64 s[14:15], s[0:1]
; %bb.533:                              ;   in Loop: Header=BB274_296 Depth=1
	s_mov_b32 s34, 0x7fc02000
	s_xor_b64 s[8:9], exec, -1
; %bb.534:                              ;   in Loop: Header=BB274_296 Depth=1
	s_or_b64 exec, exec, s[14:15]
	s_and_b64 s[8:9], s[8:9], exec
	s_or_saveexec_b64 s[12:13], s[12:13]
	v_mov_b32_e32 v18, s34
	s_xor_b64 exec, exec, s[12:13]
	s_cbranch_execz .LBB274_404
.LBB274_535:                            ;   in Loop: Header=BB274_296 Depth=1
	v_cmp_ne_u16_e64 s[0:1], 0, v6
	s_andn2_b64 s[8:9], s[8:9], exec
	s_and_b64 s[0:1], s[0:1], exec
	v_mov_b32_e32 v18, 0
	s_or_b64 s[8:9], s[8:9], s[0:1]
	s_or_b64 exec, exec, s[12:13]
	s_and_saveexec_b64 s[12:13], s[8:9]
	s_cbranch_execnz .LBB274_405
	s_branch .LBB274_406
.LBB274_536:                            ;   in Loop: Header=BB274_296 Depth=1
	v_cmp_eq_u16_sdwa s[34:35], v6, s23 src0_sel:BYTE_0 src1_sel:DWORD
	s_mov_b64 s[0:1], -1
                                        ; implicit-def: $sgpr14
	s_and_saveexec_b64 s[12:13], s[34:35]
; %bb.537:                              ;   in Loop: Header=BB274_296 Depth=1
	s_mov_b32 s14, 0x7fc02000
	s_xor_b64 s[0:1], exec, -1
; %bb.538:                              ;   in Loop: Header=BB274_296 Depth=1
	s_or_b64 exec, exec, s[12:13]
	s_and_b64 s[0:1], s[0:1], exec
	s_or_saveexec_b64 s[8:9], s[8:9]
	v_mov_b32_e32 v13, s14
	s_xor_b64 exec, exec, s[8:9]
	s_cbranch_execz .LBB274_408
.LBB274_539:                            ;   in Loop: Header=BB274_296 Depth=1
	v_cmp_ne_u16_sdwa s[12:13], v6, v7 src0_sel:BYTE_0 src1_sel:DWORD
	s_andn2_b64 s[0:1], s[0:1], exec
	s_and_b64 s[12:13], s[12:13], exec
	v_mov_b32_e32 v13, 0
	s_or_b64 s[0:1], s[0:1], s[12:13]
	s_or_b64 exec, exec, s[8:9]
	s_and_saveexec_b64 s[8:9], s[0:1]
	s_cbranch_execnz .LBB274_409
	s_branch .LBB274_410
.LBB274_540:                            ;   in Loop: Header=BB274_296 Depth=1
	v_cmp_eq_u16_e64 s[0:1], s23, v6
	s_mov_b64 s[8:9], -1
                                        ; implicit-def: $sgpr34
	s_and_saveexec_b64 s[14:15], s[0:1]
; %bb.541:                              ;   in Loop: Header=BB274_296 Depth=1
	s_mov_b32 s34, 0x7fc02000
	s_xor_b64 s[8:9], exec, -1
; %bb.542:                              ;   in Loop: Header=BB274_296 Depth=1
	s_or_b64 exec, exec, s[14:15]
	s_and_b64 s[8:9], s[8:9], exec
	s_or_saveexec_b64 s[12:13], s[12:13]
	v_mov_b32_e32 v19, s34
	s_xor_b64 exec, exec, s[12:13]
	s_cbranch_execz .LBB274_412
.LBB274_543:                            ;   in Loop: Header=BB274_296 Depth=1
	v_cmp_ne_u16_e64 s[0:1], 0, v6
	s_andn2_b64 s[8:9], s[8:9], exec
	s_and_b64 s[0:1], s[0:1], exec
	v_mov_b32_e32 v19, 0
	s_or_b64 s[8:9], s[8:9], s[0:1]
	s_or_b64 exec, exec, s[12:13]
	s_and_saveexec_b64 s[12:13], s[8:9]
	s_cbranch_execnz .LBB274_413
	s_branch .LBB274_414
.LBB274_544:                            ;   in Loop: Header=BB274_296 Depth=1
	v_cmp_eq_u16_sdwa s[34:35], v17, s23 src0_sel:BYTE_0 src1_sel:DWORD
	s_mov_b64 s[0:1], -1
                                        ; implicit-def: $sgpr14
	s_and_saveexec_b64 s[12:13], s[34:35]
; %bb.545:                              ;   in Loop: Header=BB274_296 Depth=1
	s_mov_b32 s14, 0x7fc02000
	s_xor_b64 s[0:1], exec, -1
; %bb.546:                              ;   in Loop: Header=BB274_296 Depth=1
	s_or_b64 exec, exec, s[12:13]
	s_and_b64 s[0:1], s[0:1], exec
	s_or_saveexec_b64 s[8:9], s[8:9]
	v_mov_b32_e32 v16, s14
	s_xor_b64 exec, exec, s[8:9]
	s_cbranch_execz .LBB274_416
.LBB274_547:                            ;   in Loop: Header=BB274_296 Depth=1
	v_cmp_ne_u16_sdwa s[12:13], v17, v7 src0_sel:BYTE_0 src1_sel:DWORD
	s_andn2_b64 s[0:1], s[0:1], exec
	s_and_b64 s[12:13], s[12:13], exec
	v_mov_b32_e32 v16, 0
	s_or_b64 s[0:1], s[0:1], s[12:13]
	s_or_b64 exec, exec, s[8:9]
	v_mov_b32_e32 v6, v17
	s_and_saveexec_b64 s[8:9], s[0:1]
	s_cbranch_execnz .LBB274_417
	s_branch .LBB274_418
.LBB274_548:                            ;   in Loop: Header=BB274_296 Depth=1
	v_cmp_eq_u16_e64 s[0:1], s23, v6
	s_mov_b64 s[8:9], -1
                                        ; implicit-def: $sgpr34
	s_and_saveexec_b64 s[14:15], s[0:1]
; %bb.549:                              ;   in Loop: Header=BB274_296 Depth=1
	s_mov_b32 s34, 0x7fc02000
	s_xor_b64 s[8:9], exec, -1
; %bb.550:                              ;   in Loop: Header=BB274_296 Depth=1
	s_or_b64 exec, exec, s[14:15]
	s_and_b64 s[8:9], s[8:9], exec
	s_or_saveexec_b64 s[12:13], s[12:13]
	v_mov_b32_e32 v43, s34
	s_xor_b64 exec, exec, s[12:13]
	s_cbranch_execz .LBB274_420
.LBB274_551:                            ;   in Loop: Header=BB274_296 Depth=1
	v_cmp_ne_u16_e64 s[0:1], 0, v6
	s_andn2_b64 s[8:9], s[8:9], exec
	s_and_b64 s[0:1], s[0:1], exec
	v_mov_b32_e32 v43, 0
	s_or_b64 s[8:9], s[8:9], s[0:1]
	s_or_b64 exec, exec, s[12:13]
	s_and_saveexec_b64 s[12:13], s[8:9]
	s_cbranch_execnz .LBB274_421
	s_branch .LBB274_422
.LBB274_552:                            ;   in Loop: Header=BB274_296 Depth=1
	v_cmp_eq_u16_sdwa s[34:35], v6, s23 src0_sel:BYTE_0 src1_sel:DWORD
	s_mov_b64 s[0:1], -1
                                        ; implicit-def: $sgpr14
	s_and_saveexec_b64 s[12:13], s[34:35]
; %bb.553:                              ;   in Loop: Header=BB274_296 Depth=1
	s_mov_b32 s14, 0x7fc02000
	s_xor_b64 s[0:1], exec, -1
; %bb.554:                              ;   in Loop: Header=BB274_296 Depth=1
	s_or_b64 exec, exec, s[12:13]
	s_and_b64 s[0:1], s[0:1], exec
	s_or_saveexec_b64 s[8:9], s[8:9]
	v_mov_b32_e32 v44, s14
	s_xor_b64 exec, exec, s[8:9]
	s_cbranch_execz .LBB274_424
.LBB274_555:                            ;   in Loop: Header=BB274_296 Depth=1
	v_cmp_ne_u16_sdwa s[12:13], v6, v7 src0_sel:BYTE_0 src1_sel:DWORD
	s_andn2_b64 s[0:1], s[0:1], exec
	s_and_b64 s[12:13], s[12:13], exec
	v_mov_b32_e32 v44, 0
	s_or_b64 s[0:1], s[0:1], s[12:13]
	s_or_b64 exec, exec, s[8:9]
	s_and_saveexec_b64 s[8:9], s[0:1]
	s_cbranch_execnz .LBB274_425
	s_branch .LBB274_426
.LBB274_556:                            ;   in Loop: Header=BB274_296 Depth=1
	v_cmp_eq_u16_e64 s[0:1], s23, v6
	s_mov_b64 s[8:9], -1
                                        ; implicit-def: $sgpr34
	s_and_saveexec_b64 s[14:15], s[0:1]
; %bb.557:                              ;   in Loop: Header=BB274_296 Depth=1
	s_mov_b32 s34, 0x7fc02000
	s_xor_b64 s[8:9], exec, -1
; %bb.558:                              ;   in Loop: Header=BB274_296 Depth=1
	s_or_b64 exec, exec, s[14:15]
	s_and_b64 s[8:9], s[8:9], exec
	s_or_saveexec_b64 s[12:13], s[12:13]
	v_mov_b32_e32 v45, s34
	s_xor_b64 exec, exec, s[12:13]
	s_cbranch_execz .LBB274_428
.LBB274_559:                            ;   in Loop: Header=BB274_296 Depth=1
	v_cmp_ne_u16_e64 s[0:1], 0, v6
	s_andn2_b64 s[8:9], s[8:9], exec
	s_and_b64 s[0:1], s[0:1], exec
	v_mov_b32_e32 v45, 0
	s_or_b64 s[8:9], s[8:9], s[0:1]
	s_or_b64 exec, exec, s[12:13]
	s_and_saveexec_b64 s[12:13], s[8:9]
	s_cbranch_execnz .LBB274_429
	s_branch .LBB274_430
.LBB274_560:
	s_or_b64 exec, exec, s[6:7]
.LBB274_561:
	s_or_b64 exec, exec, s[2:3]
	ds_bpermute_b32 v6, v22, v4
	ds_bpermute_b32 v7, v22, v5
	ds_bpermute_b32 v8, v22, v2
	ds_bpermute_b32 v9, v22, v3
	v_and_b32_e32 v1, 0x3c3, v0
	v_cmp_eq_u32_e32 vcc, 64, v1
	s_waitcnt lgkmcnt(2)
	v_pk_add_f32 v[4:5], v[4:5], v[6:7]
	ds_bpermute_b32 v6, v23, v4
	s_waitcnt lgkmcnt(1)
	v_pk_add_f32 v[2:3], v[2:3], v[8:9]
	ds_bpermute_b32 v7, v23, v5
	ds_bpermute_b32 v8, v23, v2
	;; [unrolled: 1-line block ×3, first 2 shown]
	s_waitcnt lgkmcnt(0)
	s_barrier
	v_pk_add_f32 v[4:5], v[4:5], v[6:7]
	v_pk_add_f32 v[2:3], v[2:3], v[8:9]
	s_and_saveexec_b64 s[0:1], vcc
	s_cbranch_execz .LBB274_563
; %bb.562:
	v_add_u32_e32 v6, 0x90, v15
	ds_write2_b32 v6, v4, v5 offset1:16
	ds_write2_b32 v6, v2, v3 offset0:32 offset1:48
.LBB274_563:
	s_or_b64 exec, exec, s[0:1]
	v_cmp_gt_u32_e32 vcc, 64, v0
	s_waitcnt lgkmcnt(0)
	s_barrier
	s_and_saveexec_b64 s[0:1], vcc
	s_cbranch_execz .LBB274_570
; %bb.564:
	v_cmp_eq_u32_e32 vcc, 0, v24
	v_lshrrev_b32_e32 v6, 2, v0
	s_and_saveexec_b64 s[2:3], vcc
	s_cbranch_execnz .LBB274_573
; %bb.565:
	s_or_b64 exec, exec, s[2:3]
	s_and_saveexec_b64 s[2:3], vcc
	s_cbranch_execnz .LBB274_574
.LBB274_566:
	s_or_b64 exec, exec, s[2:3]
	s_and_saveexec_b64 s[2:3], vcc
	s_cbranch_execnz .LBB274_575
.LBB274_567:
	s_or_b64 exec, exec, s[2:3]
	s_and_saveexec_b64 s[2:3], vcc
	s_cbranch_execz .LBB274_569
.LBB274_568:
	v_mov_b32_e32 v7, 0x90
	v_lshl_add_u32 v6, v6, 2, v7
	ds_read_b32 v6, v6 offset:192
	s_waitcnt lgkmcnt(0)
	v_add_f32_e32 v3, v3, v6
.LBB274_569:
	s_or_b64 exec, exec, s[2:3]
.LBB274_570:
	s_or_b64 exec, exec, s[0:1]
	v_cmp_eq_u32_e32 vcc, 0, v1
	s_barrier
	s_and_saveexec_b64 s[0:1], vcc
	s_cbranch_execz .LBB274_572
; %bb.571:
	s_mul_i32 s0, s16, s17
	s_mul_i32 s0, s0, s5
	s_lshl_b32 s0, s0, 6
	s_ashr_i32 s1, s0, 31
	s_lshl_b64 s[0:1], s[0:1], 1
	s_add_u32 s2, s20, s0
	s_mul_i32 s0, s17, s18
	s_addc_u32 s3, s21, s1
	s_ashr_i32 s1, s0, 31
	s_lshl_b64 s[0:1], s[0:1], 1
	s_add_u32 s2, s2, s0
	s_addc_u32 s3, s3, s1
	s_lshl_b32 s0, s4, 6
	s_ashr_i32 s1, s0, 31
	s_lshl_b64 s[0:1], s[0:1], 1
	s_add_u32 s0, s2, s0
	s_addc_u32 s1, s3, s1
	v_lshrrev_b32_e32 v0, 1, v0
	;;#ASMSTART
	v_cvt_f16_f32 v1, v4;

	;;#ASMEND
	global_store_short v0, v1, s[0:1]
	;;#ASMSTART
	v_cvt_f16_f32 v1, v5;

	;;#ASMEND
	global_store_short v0, v1, s[0:1] offset:32
	;;#ASMSTART
	v_cvt_f16_f32 v1, v2;

	;;#ASMEND
	global_store_short v0, v1, s[0:1] offset:64
	;; [unrolled: 5-line block ×3, first 2 shown]
.LBB274_572:
	s_endpgm
.LBB274_573:
	v_mov_b32_e32 v7, 0x90
	v_lshl_add_u32 v7, v6, 2, v7
	ds_read_b32 v7, v7
	s_waitcnt lgkmcnt(0)
	v_add_f32_e32 v4, v4, v7
	s_or_b64 exec, exec, s[2:3]
	s_and_saveexec_b64 s[2:3], vcc
	s_cbranch_execz .LBB274_566
.LBB274_574:
	v_mov_b32_e32 v7, 0x90
	v_lshl_add_u32 v7, v6, 2, v7
	ds_read_b32 v7, v7 offset:64
	s_waitcnt lgkmcnt(0)
	v_add_f32_e32 v5, v5, v7
	s_or_b64 exec, exec, s[2:3]
	s_and_saveexec_b64 s[2:3], vcc
	s_cbranch_execz .LBB274_567
.LBB274_575:
	v_mov_b32_e32 v7, 0x90
	v_lshl_add_u32 v7, v6, 2, v7
	ds_read_b32 v7, v7 offset:128
	s_waitcnt lgkmcnt(0)
	v_add_f32_e32 v2, v2, v7
	s_or_b64 exec, exec, s[2:3]
	s_and_saveexec_b64 s[2:3], vcc
	s_cbranch_execnz .LBB274_568
	s_branch .LBB274_569
	.section	.rodata,"a",@progbits
	.p2align	6, 0x0
	.amdhsa_kernel _ZN4vllm25paged_attention_v1_kernelIthLi64ELi32ELi128ELNS_18Fp8KVCacheDataTypeE1ELb0EEEvPT_PKS2_PKT0_S8_ifPKiSA_iPKfiiiSC_SC_iiiii
		.amdhsa_group_segment_fixed_size 144
		.amdhsa_private_segment_fixed_size 0
		.amdhsa_kernarg_size 384
		.amdhsa_user_sgpr_count 2
		.amdhsa_user_sgpr_dispatch_ptr 0
		.amdhsa_user_sgpr_queue_ptr 0
		.amdhsa_user_sgpr_kernarg_segment_ptr 1
		.amdhsa_user_sgpr_dispatch_id 0
		.amdhsa_user_sgpr_kernarg_preload_length 0
		.amdhsa_user_sgpr_kernarg_preload_offset 0
		.amdhsa_user_sgpr_private_segment_size 0
		.amdhsa_uses_dynamic_stack 0
		.amdhsa_enable_private_segment 0
		.amdhsa_system_sgpr_workgroup_id_x 1
		.amdhsa_system_sgpr_workgroup_id_y 1
		.amdhsa_system_sgpr_workgroup_id_z 1
		.amdhsa_system_sgpr_workgroup_info 0
		.amdhsa_system_vgpr_workitem_id 0
		.amdhsa_next_free_vgpr 58
		.amdhsa_next_free_sgpr 48
		.amdhsa_accum_offset 60
		.amdhsa_reserve_vcc 1
		.amdhsa_float_round_mode_32 0
		.amdhsa_float_round_mode_16_64 0
		.amdhsa_float_denorm_mode_32 3
		.amdhsa_float_denorm_mode_16_64 3
		.amdhsa_dx10_clamp 1
		.amdhsa_ieee_mode 1
		.amdhsa_fp16_overflow 0
		.amdhsa_tg_split 0
		.amdhsa_exception_fp_ieee_invalid_op 0
		.amdhsa_exception_fp_denorm_src 0
		.amdhsa_exception_fp_ieee_div_zero 0
		.amdhsa_exception_fp_ieee_overflow 0
		.amdhsa_exception_fp_ieee_underflow 0
		.amdhsa_exception_fp_ieee_inexact 0
		.amdhsa_exception_int_div_zero 0
	.end_amdhsa_kernel
	.section	.text._ZN4vllm25paged_attention_v1_kernelIthLi64ELi32ELi128ELNS_18Fp8KVCacheDataTypeE1ELb0EEEvPT_PKS2_PKT0_S8_ifPKiSA_iPKfiiiSC_SC_iiiii,"axG",@progbits,_ZN4vllm25paged_attention_v1_kernelIthLi64ELi32ELi128ELNS_18Fp8KVCacheDataTypeE1ELb0EEEvPT_PKS2_PKT0_S8_ifPKiSA_iPKfiiiSC_SC_iiiii,comdat
.Lfunc_end274:
	.size	_ZN4vllm25paged_attention_v1_kernelIthLi64ELi32ELi128ELNS_18Fp8KVCacheDataTypeE1ELb0EEEvPT_PKS2_PKT0_S8_ifPKiSA_iPKfiiiSC_SC_iiiii, .Lfunc_end274-_ZN4vllm25paged_attention_v1_kernelIthLi64ELi32ELi128ELNS_18Fp8KVCacheDataTypeE1ELb0EEEvPT_PKS2_PKT0_S8_ifPKiSA_iPKfiiiSC_SC_iiiii
                                        ; -- End function
	.section	.AMDGPU.csdata,"",@progbits
; Kernel info:
; codeLenInByte = 22628
; NumSgprs: 54
; NumVgprs: 58
; NumAgprs: 0
; TotalNumVgprs: 58
; ScratchSize: 0
; MemoryBound: 0
; FloatMode: 240
; IeeeMode: 1
; LDSByteSize: 144 bytes/workgroup (compile time only)
; SGPRBlocks: 6
; VGPRBlocks: 7
; NumSGPRsForWavesPerEU: 54
; NumVGPRsForWavesPerEU: 58
; AccumOffset: 60
; Occupancy: 8
; WaveLimiterHint : 1
; COMPUTE_PGM_RSRC2:SCRATCH_EN: 0
; COMPUTE_PGM_RSRC2:USER_SGPR: 2
; COMPUTE_PGM_RSRC2:TRAP_HANDLER: 0
; COMPUTE_PGM_RSRC2:TGID_X_EN: 1
; COMPUTE_PGM_RSRC2:TGID_Y_EN: 1
; COMPUTE_PGM_RSRC2:TGID_Z_EN: 1
; COMPUTE_PGM_RSRC2:TIDIG_COMP_CNT: 0
; COMPUTE_PGM_RSRC3_GFX90A:ACCUM_OFFSET: 14
; COMPUTE_PGM_RSRC3_GFX90A:TG_SPLIT: 0
	.section	.text._ZN4vllm25paged_attention_v1_kernelIthLi80ELi32ELi128ELNS_18Fp8KVCacheDataTypeE1ELb0EEEvPT_PKS2_PKT0_S8_ifPKiSA_iPKfiiiSC_SC_iiiii,"axG",@progbits,_ZN4vllm25paged_attention_v1_kernelIthLi80ELi32ELi128ELNS_18Fp8KVCacheDataTypeE1ELb0EEEvPT_PKS2_PKT0_S8_ifPKiSA_iPKfiiiSC_SC_iiiii,comdat
	.protected	_ZN4vllm25paged_attention_v1_kernelIthLi80ELi32ELi128ELNS_18Fp8KVCacheDataTypeE1ELb0EEEvPT_PKS2_PKT0_S8_ifPKiSA_iPKfiiiSC_SC_iiiii ; -- Begin function _ZN4vllm25paged_attention_v1_kernelIthLi80ELi32ELi128ELNS_18Fp8KVCacheDataTypeE1ELb0EEEvPT_PKS2_PKT0_S8_ifPKiSA_iPKfiiiSC_SC_iiiii
	.globl	_ZN4vllm25paged_attention_v1_kernelIthLi80ELi32ELi128ELNS_18Fp8KVCacheDataTypeE1ELb0EEEvPT_PKS2_PKT0_S8_ifPKiSA_iPKfiiiSC_SC_iiiii
	.p2align	8
	.type	_ZN4vllm25paged_attention_v1_kernelIthLi80ELi32ELi128ELNS_18Fp8KVCacheDataTypeE1ELb0EEEvPT_PKS2_PKT0_S8_ifPKiSA_iPKfiiiSC_SC_iiiii,@function
_ZN4vllm25paged_attention_v1_kernelIthLi80ELi32ELi128ELNS_18Fp8KVCacheDataTypeE1ELb0EEEvPT_PKS2_PKT0_S8_ifPKiSA_iPKfiiiSC_SC_iiiii: ; @_ZN4vllm25paged_attention_v1_kernelIthLi80ELi32ELi128ELNS_18Fp8KVCacheDataTypeE1ELb0EEEvPT_PKS2_PKT0_S8_ifPKiSA_iPKfiiiSC_SC_iiiii
; %bb.0:
	s_load_dword s5, s[0:1], 0x80
	s_load_dwordx2 s[6:7], s[0:1], 0x30
	s_load_dwordx2 s[28:29], s[0:1], 0x20
	s_mov_b32 s16, s3
	s_ashr_i32 s17, s3, 31
	s_lshl_b64 s[8:9], s[16:17], 2
	s_waitcnt lgkmcnt(0)
	s_add_u32 s6, s6, s8
	s_addc_u32 s7, s7, s9
	s_abs_i32 s3, s28
	v_cvt_f32_u32_e32 v1, s3
	s_sub_i32 s10, 0, s3
	s_abs_i32 s9, s5
	s_xor_b32 s8, s5, s28
	v_rcp_iflag_f32_e32 v1, v1
	s_ashr_i32 s8, s8, 31
	s_mov_b32 s28, 0
	v_mul_f32_e32 v1, 0x4f7ffffe, v1
	v_cvt_u32_f32_e32 v1, v1
	s_nop 0
	v_readfirstlane_b32 s11, v1
	s_mul_i32 s10, s10, s11
	s_mul_hi_u32 s10, s11, s10
	s_add_i32 s11, s11, s10
	s_mul_hi_u32 s10, s9, s11
	s_mul_i32 s11, s10, s3
	s_sub_i32 s9, s9, s11
	s_add_i32 s11, s10, 1
	s_sub_i32 s12, s9, s3
	s_cmp_ge_u32 s9, s3
	s_cselect_b32 s10, s11, s10
	s_cselect_b32 s9, s12, s9
	s_add_i32 s11, s10, 1
	s_cmp_ge_u32 s9, s3
	s_cselect_b32 s3, s11, s10
	s_xor_b32 s3, s3, s8
	s_sub_i32 s12, s3, s8
	s_abs_i32 s10, s12
	v_cvt_f32_u32_e32 v1, s10
	s_load_dwordx2 s[8:9], s[0:1], 0x40
	s_sub_i32 s3, 0, s10
	s_abs_i32 s11, s2
	v_rcp_iflag_f32_e32 v1, v1
	s_nop 0
	v_mul_f32_e32 v1, 0x4f7ffffe, v1
	v_cvt_u32_f32_e32 v1, v1
	s_nop 0
	v_readfirstlane_b32 s13, v1
	s_mul_i32 s3, s3, s13
	s_mul_hi_u32 s3, s13, s3
	s_add_i32 s13, s13, s3
	s_waitcnt lgkmcnt(0)
	s_cmp_eq_u64 s[8:9], 0
	s_mul_hi_u32 s17, s11, s13
	s_cbranch_scc1 .LBB275_2
; %bb.1:
	s_ashr_i32 s3, s2, 31
	s_lshl_b64 s[14:15], s[2:3], 2
	s_add_u32 s8, s8, s14
	s_addc_u32 s9, s9, s15
	s_load_dword s28, s[8:9], 0x0
.LBB275_2:
	s_load_dword s33, s[6:7], 0x0
	s_ashr_i32 s7, s12, 31
	s_load_dwordx4 s[12:15], s[0:1], 0x48
	s_ashr_i32 s6, s2, 31
	v_and_b32_e32 v7, 1, v0
	s_movk_i32 s8, 0x50
	s_mul_i32 s18, s2, 0x50
	v_cmp_gt_u32_e32 vcc, 20, v0
	v_lshlrev_b32_e32 v13, 3, v0
	s_and_saveexec_b64 s[2:3], vcc
	s_cbranch_execz .LBB275_4
; %bb.3:
	s_load_dwordx2 s[20:21], s[0:1], 0x8
	s_waitcnt lgkmcnt(0)
	s_mul_i32 s22, s16, s12
	s_ashr_i32 s23, s22, 31
	s_lshl_b64 s[22:23], s[22:23], 1
	v_lshlrev_b32_e32 v1, 2, v0
	s_add_u32 s9, s20, s22
	s_addc_u32 s12, s21, s23
	s_ashr_i32 s19, s18, 31
	s_lshl_b64 s[20:21], s[18:19], 1
	s_add_u32 s20, s9, s20
	s_addc_u32 s21, s12, s21
	global_load_dwordx2 v[2:3], v13, s[20:21]
	v_and_b32_e32 v1, 0xff8, v1
	v_mad_u32_u24 v1, v7, s8, v1
	s_waitcnt vmcnt(0)
	ds_write_b64 v1, v[2:3]
.LBB275_4:
	s_or_b64 exec, exec, s[2:3]
	s_waitcnt lgkmcnt(0)
	s_add_i32 s3, s33, 31
	s_ashr_i32 s8, s3, 31
	s_lshr_b32 s8, s8, 27
	s_add_i32 s3, s3, s8
	s_ashr_i32 s19, s3, 5
	s_xor_b32 s3, s6, s7
	s_mul_i32 s6, s17, s10
	s_sub_i32 s6, s11, s6
	s_add_i32 s7, s17, 1
	s_sub_i32 s8, s6, s10
	s_load_dwordx2 s[22:23], s[0:1], 0x28
	s_load_dword s2, s[0:1], 0x38
	s_cmp_ge_u32 s6, s10
	s_cselect_b32 s7, s7, s17
	s_cselect_b32 s6, s8, s6
	s_add_i32 s8, s7, 1
	s_cmp_ge_u32 s6, s10
	s_cselect_b32 s6, s8, s7
	v_lshrrev_b32_e32 v1, 6, v0
	s_xor_b32 s6, s6, s3
	s_waitcnt lgkmcnt(0)
	s_mul_i32 s24, s16, s2
	s_sub_i32 s12, s6, s3
	s_ashr_i32 s25, s24, 31
	v_cmp_gt_i32_e64 s[6:7], s19, v1
	v_cmp_le_i32_e32 vcc, s19, v1
	v_mbcnt_lo_u32_b32 v10, -1, 0
	s_barrier
	s_waitcnt lgkmcnt(0)
                                        ; implicit-def: $sgpr15
                                        ; implicit-def: $vgpr16
                                        ; implicit-def: $vgpr2
	s_and_saveexec_b64 s[2:3], vcc
	s_xor_b64 s[2:3], exec, s[2:3]
; %bb.5:
	v_mbcnt_hi_u32_b32 v16, -1, v10
	v_and_b32_e32 v2, 64, v16
	v_add_u32_e32 v2, 64, v2
	s_mov_b32 s15, 0xff7fffff
                                        ; implicit-def: $vgpr7
                                        ; implicit-def: $vgpr10
; %bb.6:
	s_or_saveexec_b64 s[30:31], s[2:3]
	s_load_dwordx2 s[20:21], s[0:1], 0x0
	s_load_dwordx2 s[26:27], s[0:1], 0x18
	s_load_dword s17, s[0:1], 0x88
	s_load_dwordx4 s[8:11], s[0:1], 0x58
	v_mov_b32_e32 v15, s15
	s_mul_i32 s12, s12, s14
	v_lshrrev_b32_e32 v14, 4, v0
	s_xor_b64 exec, exec, s[30:31]
	s_cbranch_execz .LBB275_332
; %bb.7:
	s_load_dwordx2 s[0:1], s[0:1], 0x10
	s_ashr_i32 s2, s12, 31
	v_bfe_u32 v8, v0, 1, 5
	v_lshlrev_b32_e32 v2, 4, v8
	v_mov_b32_e32 v3, 0
	s_waitcnt lgkmcnt(0)
	s_add_u32 s0, s0, s12
	s_addc_u32 s1, s1, s2
	v_lshl_add_u64 v[4:5], s[0:1], 0, v[2:3]
	s_sub_i32 s41, 1, s33
	v_lshlrev_b32_e32 v2, 2, v8
	s_lshl_b64 s[0:1], s[24:25], 2
	v_lshl_or_b32 v2, v1, 7, v2
	s_add_u32 s0, s22, s0
	v_add_u32_e32 v19, 0xb0, v2
	v_and_b32_e32 v2, 60, v14
	s_addc_u32 s1, s23, s1
	s_mov_b32 s40, s13
	v_lshlrev_b32_e32 v6, 2, v7
	v_mul_u32_u24_e32 v17, 0x50, v7
	v_cmp_eq_u32_e32 vcc, 0, v7
	v_cmp_neq_f32_e64 s[2:3], s28, 0
	v_mov_b32_e32 v7, v3
	v_lshl_or_b32 v18, v1, 5, v8
	v_lshl_add_u64 v[8:9], s[0:1], 0, v[2:3]
	s_mov_b64 s[14:15], 0
	v_mov_b32_e32 v15, 0xff7fffff
	s_movk_i32 s42, 0x7f
	s_movk_i32 s43, 0x80
	s_mov_b32 s44, 0x8000
	v_mbcnt_hi_u32_b32 v16, -1, v10
	v_mov_b32_e32 v20, 0x1c00
	v_mov_b32_e32 v21, v1
	s_branch .LBB275_9
.LBB275_8:                              ;   in Loop: Header=BB275_9 Depth=1
	s_or_b64 exec, exec, s[34:35]
	v_add_u32_e32 v21, 2, v21
	v_cmp_le_i32_e64 s[0:1], s19, v21
	v_add_u32_e32 v18, 64, v18
	v_add_u32_e32 v19, 0x100, v19
	s_or_b64 s[14:15], s[0:1], s[14:15]
	v_lshl_add_u64 v[8:9], v[8:9], 0, 8
	s_andn2_b64 exec, exec, s[14:15]
	s_cbranch_execz .LBB275_331
.LBB275_9:                              ; =>This Inner Loop Header: Depth=1
	global_load_dword v2, v[8:9], off
                                        ; implicit-def: $sgpr38
	s_waitcnt vmcnt(0) lgkmcnt(0)
	v_mad_i64_i32 v[10:11], s[0:1], v2, s40, v[4:5]
	v_lshl_add_u64 v[10:11], v[10:11], 0, v[6:7]
	global_load_dword v12, v[10:11], off
	global_load_dword v22, v3, s[8:9]
	s_mov_b64 s[0:1], 0
	s_waitcnt vmcnt(1)
	v_cmp_gt_i16_sdwa s[34:35], v12, s42 src0_sel:BYTE_0 src1_sel:DWORD
	s_and_saveexec_b64 s[36:37], s[34:35]
	s_xor_b64 s[34:35], exec, s[36:37]
	s_cbranch_execnz .LBB275_171
; %bb.10:                               ;   in Loop: Header=BB275_9 Depth=1
	s_or_saveexec_b64 s[34:35], s[34:35]
	v_mov_b32_e32 v23, s38
	s_xor_b64 exec, exec, s[34:35]
	s_cbranch_execnz .LBB275_174
.LBB275_11:                             ;   in Loop: Header=BB275_9 Depth=1
	s_or_b64 exec, exec, s[34:35]
	s_and_saveexec_b64 s[34:35], s[0:1]
	s_cbranch_execz .LBB275_13
.LBB275_12:                             ;   in Loop: Header=BB275_9 Depth=1
	v_and_b32_e32 v2, 7, v12
	v_ffbh_u32_e32 v24, v2
	v_min_u32_e32 v26, 32, v24
	v_subrev_u32_e32 v24, 28, v26
	v_bfe_u32 v23, v12, 3, 4
	v_lshlrev_b64 v[24:25], v24, v[12:13]
	v_sub_u32_e32 v25, 29, v26
	v_cmp_eq_u32_e64 s[0:1], 0, v23
	v_and_b32_e32 v24, 7, v24
	s_nop 0
	v_cndmask_b32_e64 v23, v23, v25, s[0:1]
	v_cndmask_b32_e64 v2, v2, v24, s[0:1]
	v_lshlrev_b32_e32 v24, 8, v12
	v_lshl_add_u32 v23, v23, 10, v20
	v_and_or_b32 v23, v24, s44, v23
	v_lshl_or_b32 v2, v2, 7, v23
	v_cvt_f32_f16_e32 v23, v2
.LBB275_13:                             ;   in Loop: Header=BB275_9 Depth=1
	s_or_b64 exec, exec, s[34:35]
	v_lshrrev_b16_e32 v2, 8, v12
	v_cmp_lt_i16_e64 s[0:1], s42, v2
	s_mov_b64 s[34:35], 0
                                        ; implicit-def: $sgpr45
	s_and_saveexec_b64 s[36:37], s[0:1]
	s_xor_b64 s[36:37], exec, s[36:37]
	s_cbranch_execnz .LBB275_175
; %bb.14:                               ;   in Loop: Header=BB275_9 Depth=1
	s_or_saveexec_b64 s[36:37], s[36:37]
	v_mov_b32_e32 v24, s45
	s_xor_b64 exec, exec, s[36:37]
	s_cbranch_execnz .LBB275_178
.LBB275_15:                             ;   in Loop: Header=BB275_9 Depth=1
	s_or_b64 exec, exec, s[36:37]
	s_and_saveexec_b64 s[36:37], s[34:35]
	s_cbranch_execz .LBB275_17
.LBB275_16:                             ;   in Loop: Header=BB275_9 Depth=1
	v_and_b32_e32 v26, 7, v2
	v_ffbh_u32_e32 v24, v26
	v_min_u32_e32 v28, 32, v24
	v_subrev_u32_e32 v24, 28, v28
	v_bfe_u32 v27, v2, 3, 4
	v_lshlrev_b64 v[24:25], v24, v[2:3]
	v_sub_u32_e32 v25, 29, v28
	v_cmp_eq_u32_e64 s[0:1], 0, v27
	v_and_b32_e32 v24, 7, v24
	v_lshlrev_b32_e32 v2, 8, v2
	v_cndmask_b32_e64 v25, v27, v25, s[0:1]
	v_lshl_add_u32 v25, v25, 10, v20
	v_cndmask_b32_e64 v24, v26, v24, s[0:1]
	v_and_or_b32 v2, v2, s44, v25
	v_lshl_or_b32 v2, v24, 7, v2
	v_cvt_f32_f16_e32 v24, v2
.LBB275_17:                             ;   in Loop: Header=BB275_9 Depth=1
	s_or_b64 exec, exec, s[36:37]
	v_lshrrev_b32_e32 v2, 16, v12
	v_cmp_gt_i16_sdwa s[34:35], v2, s42 src0_sel:BYTE_0 src1_sel:DWORD
	s_mov_b64 s[0:1], 0
                                        ; implicit-def: $sgpr38
	s_and_saveexec_b64 s[36:37], s[34:35]
	s_xor_b64 s[34:35], exec, s[36:37]
	s_cbranch_execnz .LBB275_179
; %bb.18:                               ;   in Loop: Header=BB275_9 Depth=1
	s_or_saveexec_b64 s[34:35], s[34:35]
	v_mov_b32_e32 v25, s38
	s_xor_b64 exec, exec, s[34:35]
	s_cbranch_execnz .LBB275_182
.LBB275_19:                             ;   in Loop: Header=BB275_9 Depth=1
	s_or_b64 exec, exec, s[34:35]
	s_and_saveexec_b64 s[34:35], s[0:1]
	s_cbranch_execz .LBB275_21
.LBB275_20:                             ;   in Loop: Header=BB275_9 Depth=1
	v_bfe_u32 v25, v12, 16, 3
	v_ffbh_u32_e32 v26, v25
	v_min_u32_e32 v29, 32, v26
	v_subrev_u32_e32 v26, 28, v29
	v_bfe_u32 v28, v12, 19, 4
	v_lshlrev_b64 v[26:27], v26, v[2:3]
	v_sub_u32_e32 v27, 29, v29
	v_cmp_eq_u32_e64 s[0:1], 0, v28
	v_and_b32_e32 v26, 7, v26
	v_lshlrev_b32_e32 v2, 8, v2
	v_cndmask_b32_e64 v27, v28, v27, s[0:1]
	v_cndmask_b32_e64 v25, v25, v26, s[0:1]
	v_lshl_add_u32 v26, v27, 10, v20
	v_and_or_b32 v2, v2, s44, v26
	v_lshl_or_b32 v2, v25, 7, v2
	v_cvt_f32_f16_e32 v25, v2
.LBB275_21:                             ;   in Loop: Header=BB275_9 Depth=1
	s_or_b64 exec, exec, s[34:35]
	v_lshrrev_b32_e32 v2, 24, v12
	v_cmp_lt_i16_e64 s[0:1], s42, v2
	s_mov_b64 s[34:35], 0
                                        ; implicit-def: $sgpr45
	s_and_saveexec_b64 s[36:37], s[0:1]
	s_xor_b64 s[36:37], exec, s[36:37]
	s_cbranch_execnz .LBB275_183
; %bb.22:                               ;   in Loop: Header=BB275_9 Depth=1
	s_or_saveexec_b64 s[36:37], s[36:37]
	v_mov_b32_e32 v26, s45
	s_xor_b64 exec, exec, s[36:37]
	s_cbranch_execnz .LBB275_186
.LBB275_23:                             ;   in Loop: Header=BB275_9 Depth=1
	s_or_b64 exec, exec, s[36:37]
	s_and_saveexec_b64 s[36:37], s[34:35]
	s_cbranch_execz .LBB275_25
.LBB275_24:                             ;   in Loop: Header=BB275_9 Depth=1
	v_bfe_u32 v28, v12, 24, 3
	v_ffbh_u32_e32 v26, v28
	v_min_u32_e32 v29, 32, v26
	v_subrev_u32_e32 v26, 28, v29
	v_bfe_u32 v12, v12, 27, 4
	v_lshlrev_b64 v[26:27], v26, v[2:3]
	v_sub_u32_e32 v27, 29, v29
	v_cmp_eq_u32_e64 s[0:1], 0, v12
	v_and_b32_e32 v26, 7, v26
	v_lshlrev_b32_e32 v2, 8, v2
	v_cndmask_b32_e64 v12, v12, v27, s[0:1]
	v_lshl_add_u32 v12, v12, 10, v20
	v_cndmask_b32_e64 v26, v28, v26, s[0:1]
	v_and_or_b32 v2, v2, s44, v12
	v_lshl_or_b32 v2, v26, 7, v2
	v_cvt_f32_f16_e32 v26, v2
.LBB275_25:                             ;   in Loop: Header=BB275_9 Depth=1
	s_or_b64 exec, exec, s[36:37]
	global_load_dword v12, v[10:11], off offset:8
	s_mov_b64 s[0:1], 0
                                        ; implicit-def: $sgpr38
	s_waitcnt vmcnt(0)
	v_cmp_gt_i16_sdwa s[34:35], v12, s42 src0_sel:BYTE_0 src1_sel:DWORD
	s_and_saveexec_b64 s[36:37], s[34:35]
	s_xor_b64 s[34:35], exec, s[36:37]
	s_cbranch_execnz .LBB275_187
; %bb.26:                               ;   in Loop: Header=BB275_9 Depth=1
	s_or_saveexec_b64 s[34:35], s[34:35]
	v_mov_b32_e32 v27, s38
	s_xor_b64 exec, exec, s[34:35]
	s_cbranch_execnz .LBB275_190
.LBB275_27:                             ;   in Loop: Header=BB275_9 Depth=1
	s_or_b64 exec, exec, s[34:35]
	s_and_saveexec_b64 s[34:35], s[0:1]
	s_cbranch_execz .LBB275_29
.LBB275_28:                             ;   in Loop: Header=BB275_9 Depth=1
	v_and_b32_e32 v2, 7, v12
	v_ffbh_u32_e32 v28, v2
	v_min_u32_e32 v30, 32, v28
	v_subrev_u32_e32 v28, 28, v30
	v_bfe_u32 v27, v12, 3, 4
	v_lshlrev_b64 v[28:29], v28, v[12:13]
	v_sub_u32_e32 v29, 29, v30
	v_cmp_eq_u32_e64 s[0:1], 0, v27
	v_and_b32_e32 v28, 7, v28
	s_nop 0
	v_cndmask_b32_e64 v27, v27, v29, s[0:1]
	v_cndmask_b32_e64 v2, v2, v28, s[0:1]
	v_lshlrev_b32_e32 v28, 8, v12
	v_lshl_add_u32 v27, v27, 10, v20
	v_and_or_b32 v27, v28, s44, v27
	v_lshl_or_b32 v2, v2, 7, v27
	v_cvt_f32_f16_e32 v27, v2
.LBB275_29:                             ;   in Loop: Header=BB275_9 Depth=1
	s_or_b64 exec, exec, s[34:35]
	v_lshrrev_b16_e32 v2, 8, v12
	v_cmp_lt_i16_e64 s[0:1], s42, v2
	s_mov_b64 s[34:35], 0
                                        ; implicit-def: $sgpr45
	s_and_saveexec_b64 s[36:37], s[0:1]
	s_xor_b64 s[36:37], exec, s[36:37]
	s_cbranch_execnz .LBB275_191
; %bb.30:                               ;   in Loop: Header=BB275_9 Depth=1
	s_or_saveexec_b64 s[36:37], s[36:37]
	v_mov_b32_e32 v28, s45
	s_xor_b64 exec, exec, s[36:37]
	s_cbranch_execnz .LBB275_194
.LBB275_31:                             ;   in Loop: Header=BB275_9 Depth=1
	s_or_b64 exec, exec, s[36:37]
	s_and_saveexec_b64 s[36:37], s[34:35]
	s_cbranch_execz .LBB275_33
.LBB275_32:                             ;   in Loop: Header=BB275_9 Depth=1
	v_and_b32_e32 v30, 7, v2
	v_ffbh_u32_e32 v28, v30
	v_min_u32_e32 v32, 32, v28
	v_subrev_u32_e32 v28, 28, v32
	v_bfe_u32 v31, v2, 3, 4
	v_lshlrev_b64 v[28:29], v28, v[2:3]
	v_sub_u32_e32 v29, 29, v32
	v_cmp_eq_u32_e64 s[0:1], 0, v31
	v_and_b32_e32 v28, 7, v28
	v_lshlrev_b32_e32 v2, 8, v2
	v_cndmask_b32_e64 v29, v31, v29, s[0:1]
	v_lshl_add_u32 v29, v29, 10, v20
	v_cndmask_b32_e64 v28, v30, v28, s[0:1]
	v_and_or_b32 v2, v2, s44, v29
	v_lshl_or_b32 v2, v28, 7, v2
	v_cvt_f32_f16_e32 v28, v2
.LBB275_33:                             ;   in Loop: Header=BB275_9 Depth=1
	s_or_b64 exec, exec, s[36:37]
	v_lshrrev_b32_e32 v2, 16, v12
	v_cmp_gt_i16_sdwa s[34:35], v2, s42 src0_sel:BYTE_0 src1_sel:DWORD
	s_mov_b64 s[0:1], 0
                                        ; implicit-def: $sgpr38
	s_and_saveexec_b64 s[36:37], s[34:35]
	s_xor_b64 s[34:35], exec, s[36:37]
	s_cbranch_execnz .LBB275_195
; %bb.34:                               ;   in Loop: Header=BB275_9 Depth=1
	s_or_saveexec_b64 s[34:35], s[34:35]
	v_mov_b32_e32 v29, s38
	s_xor_b64 exec, exec, s[34:35]
	s_cbranch_execnz .LBB275_198
.LBB275_35:                             ;   in Loop: Header=BB275_9 Depth=1
	s_or_b64 exec, exec, s[34:35]
	s_and_saveexec_b64 s[34:35], s[0:1]
	s_cbranch_execz .LBB275_37
.LBB275_36:                             ;   in Loop: Header=BB275_9 Depth=1
	v_bfe_u32 v29, v12, 16, 3
	v_ffbh_u32_e32 v30, v29
	v_min_u32_e32 v33, 32, v30
	v_subrev_u32_e32 v30, 28, v33
	v_bfe_u32 v32, v12, 19, 4
	v_lshlrev_b64 v[30:31], v30, v[2:3]
	v_sub_u32_e32 v31, 29, v33
	v_cmp_eq_u32_e64 s[0:1], 0, v32
	v_and_b32_e32 v30, 7, v30
	v_lshlrev_b32_e32 v2, 8, v2
	v_cndmask_b32_e64 v31, v32, v31, s[0:1]
	v_cndmask_b32_e64 v29, v29, v30, s[0:1]
	v_lshl_add_u32 v30, v31, 10, v20
	v_and_or_b32 v2, v2, s44, v30
	v_lshl_or_b32 v2, v29, 7, v2
	v_cvt_f32_f16_e32 v29, v2
.LBB275_37:                             ;   in Loop: Header=BB275_9 Depth=1
	s_or_b64 exec, exec, s[34:35]
	v_lshrrev_b32_e32 v2, 24, v12
	v_cmp_lt_i16_e64 s[0:1], s42, v2
	s_mov_b64 s[34:35], 0
                                        ; implicit-def: $sgpr45
	s_and_saveexec_b64 s[36:37], s[0:1]
	s_xor_b64 s[36:37], exec, s[36:37]
	s_cbranch_execnz .LBB275_199
; %bb.38:                               ;   in Loop: Header=BB275_9 Depth=1
	s_or_saveexec_b64 s[36:37], s[36:37]
	v_mov_b32_e32 v30, s45
	s_xor_b64 exec, exec, s[36:37]
	s_cbranch_execnz .LBB275_202
.LBB275_39:                             ;   in Loop: Header=BB275_9 Depth=1
	s_or_b64 exec, exec, s[36:37]
	s_and_saveexec_b64 s[36:37], s[34:35]
	s_cbranch_execz .LBB275_41
.LBB275_40:                             ;   in Loop: Header=BB275_9 Depth=1
	v_bfe_u32 v32, v12, 24, 3
	v_ffbh_u32_e32 v30, v32
	v_min_u32_e32 v33, 32, v30
	v_subrev_u32_e32 v30, 28, v33
	v_bfe_u32 v12, v12, 27, 4
	v_lshlrev_b64 v[30:31], v30, v[2:3]
	v_sub_u32_e32 v31, 29, v33
	v_cmp_eq_u32_e64 s[0:1], 0, v12
	v_and_b32_e32 v30, 7, v30
	v_lshlrev_b32_e32 v2, 8, v2
	v_cndmask_b32_e64 v12, v12, v31, s[0:1]
	v_lshl_add_u32 v12, v12, 10, v20
	v_cndmask_b32_e64 v30, v32, v30, s[0:1]
	v_and_or_b32 v2, v2, s44, v12
	v_lshl_or_b32 v2, v30, 7, v2
	v_cvt_f32_f16_e32 v30, v2
.LBB275_41:                             ;   in Loop: Header=BB275_9 Depth=1
	s_or_b64 exec, exec, s[36:37]
	global_load_dword v12, v[10:11], off offset:512
	s_mov_b64 s[0:1], 0
                                        ; implicit-def: $sgpr38
	s_waitcnt vmcnt(0)
	v_cmp_gt_i16_sdwa s[34:35], v12, s42 src0_sel:BYTE_0 src1_sel:DWORD
	s_and_saveexec_b64 s[36:37], s[34:35]
	s_xor_b64 s[34:35], exec, s[36:37]
	s_cbranch_execnz .LBB275_203
; %bb.42:                               ;   in Loop: Header=BB275_9 Depth=1
	s_or_saveexec_b64 s[34:35], s[34:35]
	v_mov_b32_e32 v31, s38
	s_xor_b64 exec, exec, s[34:35]
	s_cbranch_execnz .LBB275_206
.LBB275_43:                             ;   in Loop: Header=BB275_9 Depth=1
	s_or_b64 exec, exec, s[34:35]
	s_and_saveexec_b64 s[34:35], s[0:1]
	s_cbranch_execz .LBB275_45
.LBB275_44:                             ;   in Loop: Header=BB275_9 Depth=1
	v_and_b32_e32 v2, 7, v12
	v_ffbh_u32_e32 v32, v2
	v_min_u32_e32 v34, 32, v32
	v_subrev_u32_e32 v32, 28, v34
	v_bfe_u32 v31, v12, 3, 4
	v_lshlrev_b64 v[32:33], v32, v[12:13]
	v_sub_u32_e32 v33, 29, v34
	v_cmp_eq_u32_e64 s[0:1], 0, v31
	v_and_b32_e32 v32, 7, v32
	s_nop 0
	v_cndmask_b32_e64 v31, v31, v33, s[0:1]
	v_cndmask_b32_e64 v2, v2, v32, s[0:1]
	v_lshlrev_b32_e32 v32, 8, v12
	v_lshl_add_u32 v31, v31, 10, v20
	v_and_or_b32 v31, v32, s44, v31
	v_lshl_or_b32 v2, v2, 7, v31
	v_cvt_f32_f16_e32 v31, v2
.LBB275_45:                             ;   in Loop: Header=BB275_9 Depth=1
	s_or_b64 exec, exec, s[34:35]
	v_lshrrev_b16_e32 v2, 8, v12
	v_cmp_lt_i16_e64 s[0:1], s42, v2
	s_mov_b64 s[34:35], 0
                                        ; implicit-def: $sgpr45
	s_and_saveexec_b64 s[36:37], s[0:1]
	s_xor_b64 s[36:37], exec, s[36:37]
	s_cbranch_execnz .LBB275_207
; %bb.46:                               ;   in Loop: Header=BB275_9 Depth=1
	s_or_saveexec_b64 s[36:37], s[36:37]
	v_mov_b32_e32 v32, s45
	s_xor_b64 exec, exec, s[36:37]
	s_cbranch_execnz .LBB275_210
.LBB275_47:                             ;   in Loop: Header=BB275_9 Depth=1
	s_or_b64 exec, exec, s[36:37]
	s_and_saveexec_b64 s[36:37], s[34:35]
	s_cbranch_execz .LBB275_49
.LBB275_48:                             ;   in Loop: Header=BB275_9 Depth=1
	v_and_b32_e32 v34, 7, v2
	v_ffbh_u32_e32 v32, v34
	v_min_u32_e32 v36, 32, v32
	v_subrev_u32_e32 v32, 28, v36
	v_bfe_u32 v35, v2, 3, 4
	v_lshlrev_b64 v[32:33], v32, v[2:3]
	v_sub_u32_e32 v33, 29, v36
	v_cmp_eq_u32_e64 s[0:1], 0, v35
	v_and_b32_e32 v32, 7, v32
	v_lshlrev_b32_e32 v2, 8, v2
	v_cndmask_b32_e64 v33, v35, v33, s[0:1]
	v_lshl_add_u32 v33, v33, 10, v20
	v_cndmask_b32_e64 v32, v34, v32, s[0:1]
	v_and_or_b32 v2, v2, s44, v33
	v_lshl_or_b32 v2, v32, 7, v2
	v_cvt_f32_f16_e32 v32, v2
.LBB275_49:                             ;   in Loop: Header=BB275_9 Depth=1
	s_or_b64 exec, exec, s[36:37]
	v_lshrrev_b32_e32 v2, 16, v12
	v_cmp_gt_i16_sdwa s[34:35], v2, s42 src0_sel:BYTE_0 src1_sel:DWORD
	s_mov_b64 s[0:1], 0
                                        ; implicit-def: $sgpr38
	s_and_saveexec_b64 s[36:37], s[34:35]
	s_xor_b64 s[34:35], exec, s[36:37]
	s_cbranch_execnz .LBB275_211
; %bb.50:                               ;   in Loop: Header=BB275_9 Depth=1
	s_or_saveexec_b64 s[34:35], s[34:35]
	v_mov_b32_e32 v33, s38
	s_xor_b64 exec, exec, s[34:35]
	s_cbranch_execnz .LBB275_214
.LBB275_51:                             ;   in Loop: Header=BB275_9 Depth=1
	s_or_b64 exec, exec, s[34:35]
	s_and_saveexec_b64 s[34:35], s[0:1]
	s_cbranch_execz .LBB275_53
.LBB275_52:                             ;   in Loop: Header=BB275_9 Depth=1
	v_bfe_u32 v33, v12, 16, 3
	v_ffbh_u32_e32 v34, v33
	v_min_u32_e32 v37, 32, v34
	v_subrev_u32_e32 v34, 28, v37
	v_bfe_u32 v36, v12, 19, 4
	v_lshlrev_b64 v[34:35], v34, v[2:3]
	v_sub_u32_e32 v35, 29, v37
	v_cmp_eq_u32_e64 s[0:1], 0, v36
	v_and_b32_e32 v34, 7, v34
	v_lshlrev_b32_e32 v2, 8, v2
	v_cndmask_b32_e64 v35, v36, v35, s[0:1]
	v_cndmask_b32_e64 v33, v33, v34, s[0:1]
	v_lshl_add_u32 v34, v35, 10, v20
	v_and_or_b32 v2, v2, s44, v34
	v_lshl_or_b32 v2, v33, 7, v2
	v_cvt_f32_f16_e32 v33, v2
.LBB275_53:                             ;   in Loop: Header=BB275_9 Depth=1
	s_or_b64 exec, exec, s[34:35]
	v_lshrrev_b32_e32 v2, 24, v12
	v_cmp_lt_i16_e64 s[0:1], s42, v2
	s_mov_b64 s[34:35], 0
                                        ; implicit-def: $sgpr45
	s_and_saveexec_b64 s[36:37], s[0:1]
	s_xor_b64 s[36:37], exec, s[36:37]
	s_cbranch_execnz .LBB275_215
; %bb.54:                               ;   in Loop: Header=BB275_9 Depth=1
	s_or_saveexec_b64 s[36:37], s[36:37]
	v_mov_b32_e32 v34, s45
	s_xor_b64 exec, exec, s[36:37]
	s_cbranch_execnz .LBB275_218
.LBB275_55:                             ;   in Loop: Header=BB275_9 Depth=1
	s_or_b64 exec, exec, s[36:37]
	s_and_saveexec_b64 s[36:37], s[34:35]
	s_cbranch_execz .LBB275_57
.LBB275_56:                             ;   in Loop: Header=BB275_9 Depth=1
	v_bfe_u32 v36, v12, 24, 3
	v_ffbh_u32_e32 v34, v36
	v_min_u32_e32 v37, 32, v34
	v_subrev_u32_e32 v34, 28, v37
	v_bfe_u32 v12, v12, 27, 4
	v_lshlrev_b64 v[34:35], v34, v[2:3]
	v_sub_u32_e32 v35, 29, v37
	v_cmp_eq_u32_e64 s[0:1], 0, v12
	v_and_b32_e32 v34, 7, v34
	v_lshlrev_b32_e32 v2, 8, v2
	v_cndmask_b32_e64 v12, v12, v35, s[0:1]
	v_lshl_add_u32 v12, v12, 10, v20
	v_cndmask_b32_e64 v34, v36, v34, s[0:1]
	v_and_or_b32 v2, v2, s44, v12
	v_lshl_or_b32 v2, v34, 7, v2
	v_cvt_f32_f16_e32 v34, v2
.LBB275_57:                             ;   in Loop: Header=BB275_9 Depth=1
	s_or_b64 exec, exec, s[36:37]
	global_load_dword v12, v[10:11], off offset:520
	s_mov_b64 s[0:1], 0
                                        ; implicit-def: $sgpr38
	s_waitcnt vmcnt(0)
	v_cmp_gt_i16_sdwa s[34:35], v12, s42 src0_sel:BYTE_0 src1_sel:DWORD
	s_and_saveexec_b64 s[36:37], s[34:35]
	s_xor_b64 s[34:35], exec, s[36:37]
	s_cbranch_execnz .LBB275_219
; %bb.58:                               ;   in Loop: Header=BB275_9 Depth=1
	s_or_saveexec_b64 s[34:35], s[34:35]
	v_mov_b32_e32 v35, s38
	s_xor_b64 exec, exec, s[34:35]
	s_cbranch_execnz .LBB275_222
.LBB275_59:                             ;   in Loop: Header=BB275_9 Depth=1
	s_or_b64 exec, exec, s[34:35]
	s_and_saveexec_b64 s[34:35], s[0:1]
	s_cbranch_execz .LBB275_61
.LBB275_60:                             ;   in Loop: Header=BB275_9 Depth=1
	v_and_b32_e32 v2, 7, v12
	v_ffbh_u32_e32 v36, v2
	v_min_u32_e32 v38, 32, v36
	v_subrev_u32_e32 v36, 28, v38
	v_bfe_u32 v35, v12, 3, 4
	v_lshlrev_b64 v[36:37], v36, v[12:13]
	v_sub_u32_e32 v37, 29, v38
	v_cmp_eq_u32_e64 s[0:1], 0, v35
	v_and_b32_e32 v36, 7, v36
	s_nop 0
	v_cndmask_b32_e64 v35, v35, v37, s[0:1]
	v_cndmask_b32_e64 v2, v2, v36, s[0:1]
	v_lshlrev_b32_e32 v36, 8, v12
	v_lshl_add_u32 v35, v35, 10, v20
	v_and_or_b32 v35, v36, s44, v35
	v_lshl_or_b32 v2, v2, 7, v35
	v_cvt_f32_f16_e32 v35, v2
.LBB275_61:                             ;   in Loop: Header=BB275_9 Depth=1
	s_or_b64 exec, exec, s[34:35]
	v_lshrrev_b16_e32 v2, 8, v12
	v_cmp_lt_i16_e64 s[0:1], s42, v2
	s_mov_b64 s[34:35], 0
                                        ; implicit-def: $sgpr45
	s_and_saveexec_b64 s[36:37], s[0:1]
	s_xor_b64 s[36:37], exec, s[36:37]
	s_cbranch_execnz .LBB275_223
; %bb.62:                               ;   in Loop: Header=BB275_9 Depth=1
	s_or_saveexec_b64 s[36:37], s[36:37]
	v_mov_b32_e32 v36, s45
	s_xor_b64 exec, exec, s[36:37]
	s_cbranch_execnz .LBB275_226
.LBB275_63:                             ;   in Loop: Header=BB275_9 Depth=1
	s_or_b64 exec, exec, s[36:37]
	s_and_saveexec_b64 s[36:37], s[34:35]
	s_cbranch_execz .LBB275_65
.LBB275_64:                             ;   in Loop: Header=BB275_9 Depth=1
	v_and_b32_e32 v38, 7, v2
	v_ffbh_u32_e32 v36, v38
	v_min_u32_e32 v40, 32, v36
	v_subrev_u32_e32 v36, 28, v40
	v_bfe_u32 v39, v2, 3, 4
	v_lshlrev_b64 v[36:37], v36, v[2:3]
	v_sub_u32_e32 v37, 29, v40
	v_cmp_eq_u32_e64 s[0:1], 0, v39
	v_and_b32_e32 v36, 7, v36
	v_lshlrev_b32_e32 v2, 8, v2
	v_cndmask_b32_e64 v37, v39, v37, s[0:1]
	v_lshl_add_u32 v37, v37, 10, v20
	v_cndmask_b32_e64 v36, v38, v36, s[0:1]
	v_and_or_b32 v2, v2, s44, v37
	v_lshl_or_b32 v2, v36, 7, v2
	v_cvt_f32_f16_e32 v36, v2
.LBB275_65:                             ;   in Loop: Header=BB275_9 Depth=1
	s_or_b64 exec, exec, s[36:37]
	v_lshrrev_b32_e32 v2, 16, v12
	v_cmp_gt_i16_sdwa s[34:35], v2, s42 src0_sel:BYTE_0 src1_sel:DWORD
	s_mov_b64 s[0:1], 0
                                        ; implicit-def: $sgpr38
	s_and_saveexec_b64 s[36:37], s[34:35]
	s_xor_b64 s[34:35], exec, s[36:37]
	s_cbranch_execnz .LBB275_227
; %bb.66:                               ;   in Loop: Header=BB275_9 Depth=1
	s_or_saveexec_b64 s[34:35], s[34:35]
	v_mov_b32_e32 v37, s38
	s_xor_b64 exec, exec, s[34:35]
	s_cbranch_execnz .LBB275_230
.LBB275_67:                             ;   in Loop: Header=BB275_9 Depth=1
	s_or_b64 exec, exec, s[34:35]
	s_and_saveexec_b64 s[34:35], s[0:1]
	s_cbranch_execz .LBB275_69
.LBB275_68:                             ;   in Loop: Header=BB275_9 Depth=1
	v_bfe_u32 v37, v12, 16, 3
	v_ffbh_u32_e32 v38, v37
	v_min_u32_e32 v41, 32, v38
	v_subrev_u32_e32 v38, 28, v41
	v_bfe_u32 v40, v12, 19, 4
	v_lshlrev_b64 v[38:39], v38, v[2:3]
	v_sub_u32_e32 v39, 29, v41
	v_cmp_eq_u32_e64 s[0:1], 0, v40
	v_and_b32_e32 v38, 7, v38
	v_lshlrev_b32_e32 v2, 8, v2
	v_cndmask_b32_e64 v39, v40, v39, s[0:1]
	v_cndmask_b32_e64 v37, v37, v38, s[0:1]
	v_lshl_add_u32 v38, v39, 10, v20
	v_and_or_b32 v2, v2, s44, v38
	v_lshl_or_b32 v2, v37, 7, v2
	v_cvt_f32_f16_e32 v37, v2
.LBB275_69:                             ;   in Loop: Header=BB275_9 Depth=1
	s_or_b64 exec, exec, s[34:35]
	v_lshrrev_b32_e32 v2, 24, v12
	v_cmp_lt_i16_e64 s[0:1], s42, v2
	s_mov_b64 s[34:35], 0
                                        ; implicit-def: $sgpr45
	s_and_saveexec_b64 s[36:37], s[0:1]
	s_xor_b64 s[36:37], exec, s[36:37]
	s_cbranch_execnz .LBB275_231
; %bb.70:                               ;   in Loop: Header=BB275_9 Depth=1
	s_or_saveexec_b64 s[36:37], s[36:37]
	v_mov_b32_e32 v38, s45
	s_xor_b64 exec, exec, s[36:37]
	s_cbranch_execnz .LBB275_234
.LBB275_71:                             ;   in Loop: Header=BB275_9 Depth=1
	s_or_b64 exec, exec, s[36:37]
	s_and_saveexec_b64 s[36:37], s[34:35]
	s_cbranch_execz .LBB275_73
.LBB275_72:                             ;   in Loop: Header=BB275_9 Depth=1
	v_bfe_u32 v40, v12, 24, 3
	v_ffbh_u32_e32 v38, v40
	v_min_u32_e32 v41, 32, v38
	v_subrev_u32_e32 v38, 28, v41
	v_bfe_u32 v12, v12, 27, 4
	v_lshlrev_b64 v[38:39], v38, v[2:3]
	v_sub_u32_e32 v39, 29, v41
	v_cmp_eq_u32_e64 s[0:1], 0, v12
	v_and_b32_e32 v38, 7, v38
	v_lshlrev_b32_e32 v2, 8, v2
	v_cndmask_b32_e64 v12, v12, v39, s[0:1]
	v_lshl_add_u32 v12, v12, 10, v20
	v_cndmask_b32_e64 v38, v40, v38, s[0:1]
	v_and_or_b32 v2, v2, s44, v12
	v_lshl_or_b32 v2, v38, 7, v2
	v_cvt_f32_f16_e32 v38, v2
.LBB275_73:                             ;   in Loop: Header=BB275_9 Depth=1
	s_or_b64 exec, exec, s[36:37]
	global_load_dword v12, v[10:11], off offset:1024
	s_mov_b64 s[0:1], 0
                                        ; implicit-def: $sgpr38
	s_waitcnt vmcnt(0)
	v_cmp_gt_i16_sdwa s[34:35], v12, s42 src0_sel:BYTE_0 src1_sel:DWORD
	s_and_saveexec_b64 s[36:37], s[34:35]
	s_xor_b64 s[34:35], exec, s[36:37]
	s_cbranch_execnz .LBB275_235
; %bb.74:                               ;   in Loop: Header=BB275_9 Depth=1
	s_or_saveexec_b64 s[34:35], s[34:35]
	v_mov_b32_e32 v39, s38
	s_xor_b64 exec, exec, s[34:35]
	s_cbranch_execnz .LBB275_238
.LBB275_75:                             ;   in Loop: Header=BB275_9 Depth=1
	s_or_b64 exec, exec, s[34:35]
	s_and_saveexec_b64 s[34:35], s[0:1]
	s_cbranch_execz .LBB275_77
.LBB275_76:                             ;   in Loop: Header=BB275_9 Depth=1
	v_and_b32_e32 v2, 7, v12
	v_ffbh_u32_e32 v40, v2
	v_min_u32_e32 v42, 32, v40
	v_subrev_u32_e32 v40, 28, v42
	v_bfe_u32 v39, v12, 3, 4
	v_lshlrev_b64 v[40:41], v40, v[12:13]
	v_sub_u32_e32 v41, 29, v42
	v_cmp_eq_u32_e64 s[0:1], 0, v39
	v_and_b32_e32 v40, 7, v40
	s_nop 0
	v_cndmask_b32_e64 v39, v39, v41, s[0:1]
	v_cndmask_b32_e64 v2, v2, v40, s[0:1]
	v_lshlrev_b32_e32 v40, 8, v12
	v_lshl_add_u32 v39, v39, 10, v20
	v_and_or_b32 v39, v40, s44, v39
	v_lshl_or_b32 v2, v2, 7, v39
	v_cvt_f32_f16_e32 v39, v2
.LBB275_77:                             ;   in Loop: Header=BB275_9 Depth=1
	s_or_b64 exec, exec, s[34:35]
	v_lshrrev_b16_e32 v2, 8, v12
	v_cmp_lt_i16_e64 s[0:1], s42, v2
	s_mov_b64 s[34:35], 0
                                        ; implicit-def: $sgpr45
	s_and_saveexec_b64 s[36:37], s[0:1]
	s_xor_b64 s[36:37], exec, s[36:37]
	s_cbranch_execnz .LBB275_239
; %bb.78:                               ;   in Loop: Header=BB275_9 Depth=1
	s_or_saveexec_b64 s[36:37], s[36:37]
	v_mov_b32_e32 v40, s45
	s_xor_b64 exec, exec, s[36:37]
	s_cbranch_execnz .LBB275_242
.LBB275_79:                             ;   in Loop: Header=BB275_9 Depth=1
	s_or_b64 exec, exec, s[36:37]
	s_and_saveexec_b64 s[36:37], s[34:35]
	s_cbranch_execz .LBB275_81
.LBB275_80:                             ;   in Loop: Header=BB275_9 Depth=1
	v_and_b32_e32 v42, 7, v2
	v_ffbh_u32_e32 v40, v42
	v_min_u32_e32 v44, 32, v40
	v_subrev_u32_e32 v40, 28, v44
	v_bfe_u32 v43, v2, 3, 4
	v_lshlrev_b64 v[40:41], v40, v[2:3]
	v_sub_u32_e32 v41, 29, v44
	v_cmp_eq_u32_e64 s[0:1], 0, v43
	v_and_b32_e32 v40, 7, v40
	v_lshlrev_b32_e32 v2, 8, v2
	v_cndmask_b32_e64 v41, v43, v41, s[0:1]
	v_lshl_add_u32 v41, v41, 10, v20
	v_cndmask_b32_e64 v40, v42, v40, s[0:1]
	v_and_or_b32 v2, v2, s44, v41
	v_lshl_or_b32 v2, v40, 7, v2
	v_cvt_f32_f16_e32 v40, v2
.LBB275_81:                             ;   in Loop: Header=BB275_9 Depth=1
	s_or_b64 exec, exec, s[36:37]
	v_lshrrev_b32_e32 v2, 16, v12
	v_cmp_gt_i16_sdwa s[34:35], v2, s42 src0_sel:BYTE_0 src1_sel:DWORD
	s_mov_b64 s[0:1], 0
                                        ; implicit-def: $sgpr38
	s_and_saveexec_b64 s[36:37], s[34:35]
	s_xor_b64 s[34:35], exec, s[36:37]
	s_cbranch_execnz .LBB275_243
; %bb.82:                               ;   in Loop: Header=BB275_9 Depth=1
	s_or_saveexec_b64 s[34:35], s[34:35]
	v_mov_b32_e32 v41, s38
	s_xor_b64 exec, exec, s[34:35]
	s_cbranch_execnz .LBB275_246
.LBB275_83:                             ;   in Loop: Header=BB275_9 Depth=1
	s_or_b64 exec, exec, s[34:35]
	s_and_saveexec_b64 s[34:35], s[0:1]
	s_cbranch_execz .LBB275_85
.LBB275_84:                             ;   in Loop: Header=BB275_9 Depth=1
	v_bfe_u32 v41, v12, 16, 3
	v_ffbh_u32_e32 v42, v41
	v_min_u32_e32 v45, 32, v42
	v_subrev_u32_e32 v42, 28, v45
	v_bfe_u32 v44, v12, 19, 4
	v_lshlrev_b64 v[42:43], v42, v[2:3]
	v_sub_u32_e32 v43, 29, v45
	v_cmp_eq_u32_e64 s[0:1], 0, v44
	v_and_b32_e32 v42, 7, v42
	v_lshlrev_b32_e32 v2, 8, v2
	v_cndmask_b32_e64 v43, v44, v43, s[0:1]
	v_cndmask_b32_e64 v41, v41, v42, s[0:1]
	v_lshl_add_u32 v42, v43, 10, v20
	v_and_or_b32 v2, v2, s44, v42
	v_lshl_or_b32 v2, v41, 7, v2
	v_cvt_f32_f16_e32 v41, v2
.LBB275_85:                             ;   in Loop: Header=BB275_9 Depth=1
	s_or_b64 exec, exec, s[34:35]
	v_lshrrev_b32_e32 v2, 24, v12
	v_cmp_lt_i16_e64 s[0:1], s42, v2
	s_mov_b64 s[34:35], 0
                                        ; implicit-def: $sgpr45
	s_and_saveexec_b64 s[36:37], s[0:1]
	s_xor_b64 s[36:37], exec, s[36:37]
	s_cbranch_execnz .LBB275_247
; %bb.86:                               ;   in Loop: Header=BB275_9 Depth=1
	s_or_saveexec_b64 s[36:37], s[36:37]
	v_mov_b32_e32 v42, s45
	s_xor_b64 exec, exec, s[36:37]
	s_cbranch_execnz .LBB275_250
.LBB275_87:                             ;   in Loop: Header=BB275_9 Depth=1
	s_or_b64 exec, exec, s[36:37]
	s_and_saveexec_b64 s[36:37], s[34:35]
	s_cbranch_execz .LBB275_89
.LBB275_88:                             ;   in Loop: Header=BB275_9 Depth=1
	v_bfe_u32 v44, v12, 24, 3
	v_ffbh_u32_e32 v42, v44
	v_min_u32_e32 v45, 32, v42
	v_subrev_u32_e32 v42, 28, v45
	v_bfe_u32 v12, v12, 27, 4
	v_lshlrev_b64 v[42:43], v42, v[2:3]
	v_sub_u32_e32 v43, 29, v45
	v_cmp_eq_u32_e64 s[0:1], 0, v12
	v_and_b32_e32 v42, 7, v42
	v_lshlrev_b32_e32 v2, 8, v2
	v_cndmask_b32_e64 v12, v12, v43, s[0:1]
	v_lshl_add_u32 v12, v12, 10, v20
	v_cndmask_b32_e64 v42, v44, v42, s[0:1]
	v_and_or_b32 v2, v2, s44, v12
	v_lshl_or_b32 v2, v42, 7, v2
	v_cvt_f32_f16_e32 v42, v2
.LBB275_89:                             ;   in Loop: Header=BB275_9 Depth=1
	s_or_b64 exec, exec, s[36:37]
	global_load_dword v12, v[10:11], off offset:1032
	s_mov_b64 s[0:1], 0
                                        ; implicit-def: $sgpr38
	s_waitcnt vmcnt(0)
	v_cmp_gt_i16_sdwa s[34:35], v12, s42 src0_sel:BYTE_0 src1_sel:DWORD
	s_and_saveexec_b64 s[36:37], s[34:35]
	s_xor_b64 s[34:35], exec, s[36:37]
	s_cbranch_execnz .LBB275_251
; %bb.90:                               ;   in Loop: Header=BB275_9 Depth=1
	s_or_saveexec_b64 s[34:35], s[34:35]
	v_mov_b32_e32 v43, s38
	s_xor_b64 exec, exec, s[34:35]
	s_cbranch_execnz .LBB275_254
.LBB275_91:                             ;   in Loop: Header=BB275_9 Depth=1
	s_or_b64 exec, exec, s[34:35]
	s_and_saveexec_b64 s[34:35], s[0:1]
	s_cbranch_execz .LBB275_93
.LBB275_92:                             ;   in Loop: Header=BB275_9 Depth=1
	v_and_b32_e32 v2, 7, v12
	v_ffbh_u32_e32 v44, v2
	v_min_u32_e32 v46, 32, v44
	v_subrev_u32_e32 v44, 28, v46
	v_bfe_u32 v43, v12, 3, 4
	v_lshlrev_b64 v[44:45], v44, v[12:13]
	v_sub_u32_e32 v45, 29, v46
	v_cmp_eq_u32_e64 s[0:1], 0, v43
	v_and_b32_e32 v44, 7, v44
	s_nop 0
	v_cndmask_b32_e64 v43, v43, v45, s[0:1]
	v_cndmask_b32_e64 v2, v2, v44, s[0:1]
	v_lshlrev_b32_e32 v44, 8, v12
	v_lshl_add_u32 v43, v43, 10, v20
	v_and_or_b32 v43, v44, s44, v43
	v_lshl_or_b32 v2, v2, 7, v43
	v_cvt_f32_f16_e32 v43, v2
.LBB275_93:                             ;   in Loop: Header=BB275_9 Depth=1
	s_or_b64 exec, exec, s[34:35]
	v_lshrrev_b16_e32 v2, 8, v12
	v_cmp_lt_i16_e64 s[0:1], s42, v2
	s_mov_b64 s[34:35], 0
                                        ; implicit-def: $sgpr45
	s_and_saveexec_b64 s[36:37], s[0:1]
	s_xor_b64 s[36:37], exec, s[36:37]
	s_cbranch_execnz .LBB275_255
; %bb.94:                               ;   in Loop: Header=BB275_9 Depth=1
	s_or_saveexec_b64 s[36:37], s[36:37]
	v_mov_b32_e32 v44, s45
	s_xor_b64 exec, exec, s[36:37]
	s_cbranch_execnz .LBB275_258
.LBB275_95:                             ;   in Loop: Header=BB275_9 Depth=1
	s_or_b64 exec, exec, s[36:37]
	s_and_saveexec_b64 s[36:37], s[34:35]
	s_cbranch_execz .LBB275_97
.LBB275_96:                             ;   in Loop: Header=BB275_9 Depth=1
	v_and_b32_e32 v46, 7, v2
	v_ffbh_u32_e32 v44, v46
	v_min_u32_e32 v48, 32, v44
	v_subrev_u32_e32 v44, 28, v48
	v_bfe_u32 v47, v2, 3, 4
	v_lshlrev_b64 v[44:45], v44, v[2:3]
	v_sub_u32_e32 v45, 29, v48
	v_cmp_eq_u32_e64 s[0:1], 0, v47
	v_and_b32_e32 v44, 7, v44
	v_lshlrev_b32_e32 v2, 8, v2
	v_cndmask_b32_e64 v45, v47, v45, s[0:1]
	v_lshl_add_u32 v45, v45, 10, v20
	v_cndmask_b32_e64 v44, v46, v44, s[0:1]
	v_and_or_b32 v2, v2, s44, v45
	v_lshl_or_b32 v2, v44, 7, v2
	v_cvt_f32_f16_e32 v44, v2
.LBB275_97:                             ;   in Loop: Header=BB275_9 Depth=1
	s_or_b64 exec, exec, s[36:37]
	v_lshrrev_b32_e32 v2, 16, v12
	v_cmp_gt_i16_sdwa s[34:35], v2, s42 src0_sel:BYTE_0 src1_sel:DWORD
	s_mov_b64 s[0:1], 0
                                        ; implicit-def: $sgpr38
	s_and_saveexec_b64 s[36:37], s[34:35]
	s_xor_b64 s[34:35], exec, s[36:37]
	s_cbranch_execnz .LBB275_259
; %bb.98:                               ;   in Loop: Header=BB275_9 Depth=1
	s_or_saveexec_b64 s[34:35], s[34:35]
	v_mov_b32_e32 v45, s38
	s_xor_b64 exec, exec, s[34:35]
	s_cbranch_execnz .LBB275_262
.LBB275_99:                             ;   in Loop: Header=BB275_9 Depth=1
	s_or_b64 exec, exec, s[34:35]
	s_and_saveexec_b64 s[34:35], s[0:1]
	s_cbranch_execz .LBB275_101
.LBB275_100:                            ;   in Loop: Header=BB275_9 Depth=1
	v_bfe_u32 v45, v12, 16, 3
	v_ffbh_u32_e32 v46, v45
	v_min_u32_e32 v49, 32, v46
	v_subrev_u32_e32 v46, 28, v49
	v_bfe_u32 v48, v12, 19, 4
	v_lshlrev_b64 v[46:47], v46, v[2:3]
	v_sub_u32_e32 v47, 29, v49
	v_cmp_eq_u32_e64 s[0:1], 0, v48
	v_and_b32_e32 v46, 7, v46
	v_lshlrev_b32_e32 v2, 8, v2
	v_cndmask_b32_e64 v47, v48, v47, s[0:1]
	v_cndmask_b32_e64 v45, v45, v46, s[0:1]
	v_lshl_add_u32 v46, v47, 10, v20
	v_and_or_b32 v2, v2, s44, v46
	v_lshl_or_b32 v2, v45, 7, v2
	v_cvt_f32_f16_e32 v45, v2
.LBB275_101:                            ;   in Loop: Header=BB275_9 Depth=1
	s_or_b64 exec, exec, s[34:35]
	v_lshrrev_b32_e32 v2, 24, v12
	v_cmp_lt_i16_e64 s[0:1], s42, v2
	s_mov_b64 s[34:35], 0
                                        ; implicit-def: $sgpr45
	s_and_saveexec_b64 s[36:37], s[0:1]
	s_xor_b64 s[36:37], exec, s[36:37]
	s_cbranch_execnz .LBB275_263
; %bb.102:                              ;   in Loop: Header=BB275_9 Depth=1
	s_or_saveexec_b64 s[36:37], s[36:37]
	v_mov_b32_e32 v46, s45
	s_xor_b64 exec, exec, s[36:37]
	s_cbranch_execnz .LBB275_266
.LBB275_103:                            ;   in Loop: Header=BB275_9 Depth=1
	s_or_b64 exec, exec, s[36:37]
	s_and_saveexec_b64 s[36:37], s[34:35]
	s_cbranch_execz .LBB275_105
.LBB275_104:                            ;   in Loop: Header=BB275_9 Depth=1
	v_bfe_u32 v48, v12, 24, 3
	v_ffbh_u32_e32 v46, v48
	v_min_u32_e32 v49, 32, v46
	v_subrev_u32_e32 v46, 28, v49
	v_bfe_u32 v12, v12, 27, 4
	v_lshlrev_b64 v[46:47], v46, v[2:3]
	v_sub_u32_e32 v47, 29, v49
	v_cmp_eq_u32_e64 s[0:1], 0, v12
	v_and_b32_e32 v46, 7, v46
	v_lshlrev_b32_e32 v2, 8, v2
	v_cndmask_b32_e64 v12, v12, v47, s[0:1]
	v_lshl_add_u32 v12, v12, 10, v20
	v_cndmask_b32_e64 v46, v48, v46, s[0:1]
	v_and_or_b32 v2, v2, s44, v12
	v_lshl_or_b32 v2, v46, 7, v2
	v_cvt_f32_f16_e32 v46, v2
.LBB275_105:                            ;   in Loop: Header=BB275_9 Depth=1
	s_or_b64 exec, exec, s[36:37]
	global_load_dword v12, v[10:11], off offset:1536
	s_mov_b64 s[0:1], 0
                                        ; implicit-def: $sgpr38
	s_waitcnt vmcnt(0)
	v_cmp_gt_i16_sdwa s[34:35], v12, s42 src0_sel:BYTE_0 src1_sel:DWORD
	s_and_saveexec_b64 s[36:37], s[34:35]
	s_xor_b64 s[34:35], exec, s[36:37]
	s_cbranch_execnz .LBB275_267
; %bb.106:                              ;   in Loop: Header=BB275_9 Depth=1
	s_or_saveexec_b64 s[34:35], s[34:35]
	v_mov_b32_e32 v47, s38
	s_xor_b64 exec, exec, s[34:35]
	s_cbranch_execnz .LBB275_270
.LBB275_107:                            ;   in Loop: Header=BB275_9 Depth=1
	s_or_b64 exec, exec, s[34:35]
	s_and_saveexec_b64 s[34:35], s[0:1]
	s_cbranch_execz .LBB275_109
.LBB275_108:                            ;   in Loop: Header=BB275_9 Depth=1
	v_and_b32_e32 v2, 7, v12
	v_ffbh_u32_e32 v48, v2
	v_min_u32_e32 v50, 32, v48
	v_subrev_u32_e32 v48, 28, v50
	v_bfe_u32 v47, v12, 3, 4
	v_lshlrev_b64 v[48:49], v48, v[12:13]
	v_sub_u32_e32 v49, 29, v50
	v_cmp_eq_u32_e64 s[0:1], 0, v47
	v_and_b32_e32 v48, 7, v48
	s_nop 0
	v_cndmask_b32_e64 v47, v47, v49, s[0:1]
	v_cndmask_b32_e64 v2, v2, v48, s[0:1]
	v_lshlrev_b32_e32 v48, 8, v12
	v_lshl_add_u32 v47, v47, 10, v20
	v_and_or_b32 v47, v48, s44, v47
	v_lshl_or_b32 v2, v2, 7, v47
	v_cvt_f32_f16_e32 v47, v2
.LBB275_109:                            ;   in Loop: Header=BB275_9 Depth=1
	s_or_b64 exec, exec, s[34:35]
	v_lshrrev_b16_e32 v2, 8, v12
	v_cmp_lt_i16_e64 s[0:1], s42, v2
	s_mov_b64 s[34:35], 0
                                        ; implicit-def: $sgpr45
	s_and_saveexec_b64 s[36:37], s[0:1]
	s_xor_b64 s[36:37], exec, s[36:37]
	s_cbranch_execnz .LBB275_271
; %bb.110:                              ;   in Loop: Header=BB275_9 Depth=1
	s_or_saveexec_b64 s[36:37], s[36:37]
	v_mov_b32_e32 v48, s45
	s_xor_b64 exec, exec, s[36:37]
	s_cbranch_execnz .LBB275_274
.LBB275_111:                            ;   in Loop: Header=BB275_9 Depth=1
	s_or_b64 exec, exec, s[36:37]
	s_and_saveexec_b64 s[36:37], s[34:35]
	s_cbranch_execz .LBB275_113
.LBB275_112:                            ;   in Loop: Header=BB275_9 Depth=1
	v_and_b32_e32 v50, 7, v2
	v_ffbh_u32_e32 v48, v50
	v_min_u32_e32 v52, 32, v48
	v_subrev_u32_e32 v48, 28, v52
	v_bfe_u32 v51, v2, 3, 4
	v_lshlrev_b64 v[48:49], v48, v[2:3]
	v_sub_u32_e32 v49, 29, v52
	v_cmp_eq_u32_e64 s[0:1], 0, v51
	v_and_b32_e32 v48, 7, v48
	v_lshlrev_b32_e32 v2, 8, v2
	v_cndmask_b32_e64 v49, v51, v49, s[0:1]
	v_lshl_add_u32 v49, v49, 10, v20
	v_cndmask_b32_e64 v48, v50, v48, s[0:1]
	v_and_or_b32 v2, v2, s44, v49
	v_lshl_or_b32 v2, v48, 7, v2
	v_cvt_f32_f16_e32 v48, v2
.LBB275_113:                            ;   in Loop: Header=BB275_9 Depth=1
	s_or_b64 exec, exec, s[36:37]
	v_lshrrev_b32_e32 v2, 16, v12
	v_cmp_gt_i16_sdwa s[34:35], v2, s42 src0_sel:BYTE_0 src1_sel:DWORD
	s_mov_b64 s[0:1], 0
                                        ; implicit-def: $sgpr38
	s_and_saveexec_b64 s[36:37], s[34:35]
	s_xor_b64 s[34:35], exec, s[36:37]
	s_cbranch_execnz .LBB275_275
; %bb.114:                              ;   in Loop: Header=BB275_9 Depth=1
	s_or_saveexec_b64 s[34:35], s[34:35]
	v_mov_b32_e32 v49, s38
	s_xor_b64 exec, exec, s[34:35]
	s_cbranch_execnz .LBB275_278
.LBB275_115:                            ;   in Loop: Header=BB275_9 Depth=1
	s_or_b64 exec, exec, s[34:35]
	s_and_saveexec_b64 s[34:35], s[0:1]
	s_cbranch_execz .LBB275_117
.LBB275_116:                            ;   in Loop: Header=BB275_9 Depth=1
	v_bfe_u32 v49, v12, 16, 3
	v_ffbh_u32_e32 v50, v49
	v_min_u32_e32 v53, 32, v50
	v_subrev_u32_e32 v50, 28, v53
	v_bfe_u32 v52, v12, 19, 4
	v_lshlrev_b64 v[50:51], v50, v[2:3]
	v_sub_u32_e32 v51, 29, v53
	v_cmp_eq_u32_e64 s[0:1], 0, v52
	v_and_b32_e32 v50, 7, v50
	v_lshlrev_b32_e32 v2, 8, v2
	v_cndmask_b32_e64 v51, v52, v51, s[0:1]
	v_cndmask_b32_e64 v49, v49, v50, s[0:1]
	v_lshl_add_u32 v50, v51, 10, v20
	v_and_or_b32 v2, v2, s44, v50
	v_lshl_or_b32 v2, v49, 7, v2
	v_cvt_f32_f16_e32 v49, v2
.LBB275_117:                            ;   in Loop: Header=BB275_9 Depth=1
	s_or_b64 exec, exec, s[34:35]
	v_lshrrev_b32_e32 v2, 24, v12
	v_cmp_lt_i16_e64 s[0:1], s42, v2
	s_mov_b64 s[34:35], 0
                                        ; implicit-def: $sgpr45
	s_and_saveexec_b64 s[36:37], s[0:1]
	s_xor_b64 s[36:37], exec, s[36:37]
	s_cbranch_execnz .LBB275_279
; %bb.118:                              ;   in Loop: Header=BB275_9 Depth=1
	s_or_saveexec_b64 s[36:37], s[36:37]
	v_mov_b32_e32 v50, s45
	s_xor_b64 exec, exec, s[36:37]
	s_cbranch_execnz .LBB275_282
.LBB275_119:                            ;   in Loop: Header=BB275_9 Depth=1
	s_or_b64 exec, exec, s[36:37]
	s_and_saveexec_b64 s[36:37], s[34:35]
	s_cbranch_execz .LBB275_121
.LBB275_120:                            ;   in Loop: Header=BB275_9 Depth=1
	v_bfe_u32 v52, v12, 24, 3
	v_ffbh_u32_e32 v50, v52
	v_min_u32_e32 v53, 32, v50
	v_subrev_u32_e32 v50, 28, v53
	v_bfe_u32 v12, v12, 27, 4
	v_lshlrev_b64 v[50:51], v50, v[2:3]
	v_sub_u32_e32 v51, 29, v53
	v_cmp_eq_u32_e64 s[0:1], 0, v12
	v_and_b32_e32 v50, 7, v50
	v_lshlrev_b32_e32 v2, 8, v2
	v_cndmask_b32_e64 v12, v12, v51, s[0:1]
	v_lshl_add_u32 v12, v12, 10, v20
	v_cndmask_b32_e64 v50, v52, v50, s[0:1]
	v_and_or_b32 v2, v2, s44, v12
	v_lshl_or_b32 v2, v50, 7, v2
	v_cvt_f32_f16_e32 v50, v2
.LBB275_121:                            ;   in Loop: Header=BB275_9 Depth=1
	s_or_b64 exec, exec, s[36:37]
	global_load_dword v12, v[10:11], off offset:1544
	s_mov_b64 s[0:1], 0
                                        ; implicit-def: $sgpr38
	s_waitcnt vmcnt(0)
	v_cmp_gt_i16_sdwa s[34:35], v12, s42 src0_sel:BYTE_0 src1_sel:DWORD
	s_and_saveexec_b64 s[36:37], s[34:35]
	s_xor_b64 s[34:35], exec, s[36:37]
	s_cbranch_execnz .LBB275_283
; %bb.122:                              ;   in Loop: Header=BB275_9 Depth=1
	s_or_saveexec_b64 s[34:35], s[34:35]
	v_mov_b32_e32 v51, s38
	s_xor_b64 exec, exec, s[34:35]
	s_cbranch_execnz .LBB275_286
.LBB275_123:                            ;   in Loop: Header=BB275_9 Depth=1
	s_or_b64 exec, exec, s[34:35]
	s_and_saveexec_b64 s[34:35], s[0:1]
	s_cbranch_execz .LBB275_125
.LBB275_124:                            ;   in Loop: Header=BB275_9 Depth=1
	v_and_b32_e32 v2, 7, v12
	v_ffbh_u32_e32 v52, v2
	v_min_u32_e32 v54, 32, v52
	v_subrev_u32_e32 v52, 28, v54
	v_bfe_u32 v51, v12, 3, 4
	v_lshlrev_b64 v[52:53], v52, v[12:13]
	v_sub_u32_e32 v53, 29, v54
	v_cmp_eq_u32_e64 s[0:1], 0, v51
	v_and_b32_e32 v52, 7, v52
	s_nop 0
	v_cndmask_b32_e64 v51, v51, v53, s[0:1]
	v_cndmask_b32_e64 v2, v2, v52, s[0:1]
	v_lshlrev_b32_e32 v52, 8, v12
	v_lshl_add_u32 v51, v51, 10, v20
	v_and_or_b32 v51, v52, s44, v51
	v_lshl_or_b32 v2, v2, 7, v51
	v_cvt_f32_f16_e32 v51, v2
.LBB275_125:                            ;   in Loop: Header=BB275_9 Depth=1
	s_or_b64 exec, exec, s[34:35]
	v_lshrrev_b16_e32 v2, 8, v12
	v_cmp_lt_i16_e64 s[0:1], s42, v2
	s_mov_b64 s[34:35], 0
                                        ; implicit-def: $sgpr45
	s_and_saveexec_b64 s[36:37], s[0:1]
	s_xor_b64 s[36:37], exec, s[36:37]
	s_cbranch_execnz .LBB275_287
; %bb.126:                              ;   in Loop: Header=BB275_9 Depth=1
	s_or_saveexec_b64 s[36:37], s[36:37]
	v_mov_b32_e32 v52, s45
	s_xor_b64 exec, exec, s[36:37]
	s_cbranch_execnz .LBB275_290
.LBB275_127:                            ;   in Loop: Header=BB275_9 Depth=1
	s_or_b64 exec, exec, s[36:37]
	s_and_saveexec_b64 s[36:37], s[34:35]
	s_cbranch_execz .LBB275_129
.LBB275_128:                            ;   in Loop: Header=BB275_9 Depth=1
	v_and_b32_e32 v54, 7, v2
	v_ffbh_u32_e32 v52, v54
	v_min_u32_e32 v56, 32, v52
	v_subrev_u32_e32 v52, 28, v56
	v_bfe_u32 v55, v2, 3, 4
	v_lshlrev_b64 v[52:53], v52, v[2:3]
	v_sub_u32_e32 v53, 29, v56
	v_cmp_eq_u32_e64 s[0:1], 0, v55
	v_and_b32_e32 v52, 7, v52
	v_lshlrev_b32_e32 v2, 8, v2
	v_cndmask_b32_e64 v53, v55, v53, s[0:1]
	v_lshl_add_u32 v53, v53, 10, v20
	v_cndmask_b32_e64 v52, v54, v52, s[0:1]
	v_and_or_b32 v2, v2, s44, v53
	v_lshl_or_b32 v2, v52, 7, v2
	v_cvt_f32_f16_e32 v52, v2
.LBB275_129:                            ;   in Loop: Header=BB275_9 Depth=1
	s_or_b64 exec, exec, s[36:37]
	v_lshrrev_b32_e32 v2, 16, v12
	v_cmp_gt_i16_sdwa s[34:35], v2, s42 src0_sel:BYTE_0 src1_sel:DWORD
	s_mov_b64 s[0:1], 0
                                        ; implicit-def: $sgpr38
	s_and_saveexec_b64 s[36:37], s[34:35]
	s_xor_b64 s[34:35], exec, s[36:37]
	s_cbranch_execnz .LBB275_291
; %bb.130:                              ;   in Loop: Header=BB275_9 Depth=1
	s_or_saveexec_b64 s[34:35], s[34:35]
	v_mov_b32_e32 v53, s38
	s_xor_b64 exec, exec, s[34:35]
	s_cbranch_execnz .LBB275_294
.LBB275_131:                            ;   in Loop: Header=BB275_9 Depth=1
	s_or_b64 exec, exec, s[34:35]
	s_and_saveexec_b64 s[34:35], s[0:1]
	s_cbranch_execz .LBB275_133
.LBB275_132:                            ;   in Loop: Header=BB275_9 Depth=1
	v_bfe_u32 v53, v12, 16, 3
	v_ffbh_u32_e32 v54, v53
	v_min_u32_e32 v57, 32, v54
	v_subrev_u32_e32 v54, 28, v57
	v_bfe_u32 v56, v12, 19, 4
	v_lshlrev_b64 v[54:55], v54, v[2:3]
	v_sub_u32_e32 v55, 29, v57
	v_cmp_eq_u32_e64 s[0:1], 0, v56
	v_and_b32_e32 v54, 7, v54
	v_lshlrev_b32_e32 v2, 8, v2
	v_cndmask_b32_e64 v55, v56, v55, s[0:1]
	v_cndmask_b32_e64 v53, v53, v54, s[0:1]
	v_lshl_add_u32 v54, v55, 10, v20
	v_and_or_b32 v2, v2, s44, v54
	v_lshl_or_b32 v2, v53, 7, v2
	v_cvt_f32_f16_e32 v53, v2
.LBB275_133:                            ;   in Loop: Header=BB275_9 Depth=1
	s_or_b64 exec, exec, s[34:35]
	v_lshrrev_b32_e32 v2, 24, v12
	v_cmp_lt_i16_e64 s[0:1], s42, v2
	s_mov_b64 s[34:35], 0
                                        ; implicit-def: $sgpr45
	s_and_saveexec_b64 s[36:37], s[0:1]
	s_xor_b64 s[36:37], exec, s[36:37]
	s_cbranch_execnz .LBB275_295
; %bb.134:                              ;   in Loop: Header=BB275_9 Depth=1
	s_or_saveexec_b64 s[36:37], s[36:37]
	v_mov_b32_e32 v54, s45
	s_xor_b64 exec, exec, s[36:37]
	s_cbranch_execnz .LBB275_298
.LBB275_135:                            ;   in Loop: Header=BB275_9 Depth=1
	s_or_b64 exec, exec, s[36:37]
	s_and_saveexec_b64 s[36:37], s[34:35]
	s_cbranch_execz .LBB275_137
.LBB275_136:                            ;   in Loop: Header=BB275_9 Depth=1
	v_bfe_u32 v56, v12, 24, 3
	v_ffbh_u32_e32 v54, v56
	v_min_u32_e32 v57, 32, v54
	v_subrev_u32_e32 v54, 28, v57
	v_bfe_u32 v12, v12, 27, 4
	v_lshlrev_b64 v[54:55], v54, v[2:3]
	v_sub_u32_e32 v55, 29, v57
	v_cmp_eq_u32_e64 s[0:1], 0, v12
	v_and_b32_e32 v54, 7, v54
	v_lshlrev_b32_e32 v2, 8, v2
	v_cndmask_b32_e64 v12, v12, v55, s[0:1]
	v_lshl_add_u32 v12, v12, 10, v20
	v_cndmask_b32_e64 v54, v56, v54, s[0:1]
	v_and_or_b32 v2, v2, s44, v12
	v_lshl_or_b32 v2, v54, 7, v2
	v_cvt_f32_f16_e32 v54, v2
.LBB275_137:                            ;   in Loop: Header=BB275_9 Depth=1
	s_or_b64 exec, exec, s[36:37]
	global_load_dword v12, v[10:11], off offset:2048
	s_mov_b64 s[0:1], 0
                                        ; implicit-def: $sgpr38
	s_waitcnt vmcnt(0)
	v_cmp_gt_i16_sdwa s[34:35], v12, s42 src0_sel:BYTE_0 src1_sel:DWORD
	s_and_saveexec_b64 s[36:37], s[34:35]
	s_xor_b64 s[34:35], exec, s[36:37]
	s_cbranch_execnz .LBB275_299
; %bb.138:                              ;   in Loop: Header=BB275_9 Depth=1
	s_or_saveexec_b64 s[34:35], s[34:35]
	v_mov_b32_e32 v55, s38
	s_xor_b64 exec, exec, s[34:35]
	s_cbranch_execnz .LBB275_302
.LBB275_139:                            ;   in Loop: Header=BB275_9 Depth=1
	s_or_b64 exec, exec, s[34:35]
	s_and_saveexec_b64 s[34:35], s[0:1]
	s_cbranch_execz .LBB275_141
.LBB275_140:                            ;   in Loop: Header=BB275_9 Depth=1
	v_and_b32_e32 v2, 7, v12
	v_ffbh_u32_e32 v56, v2
	v_min_u32_e32 v58, 32, v56
	v_subrev_u32_e32 v56, 28, v58
	v_bfe_u32 v55, v12, 3, 4
	v_lshlrev_b64 v[56:57], v56, v[12:13]
	v_sub_u32_e32 v57, 29, v58
	v_cmp_eq_u32_e64 s[0:1], 0, v55
	v_and_b32_e32 v56, 7, v56
	s_nop 0
	v_cndmask_b32_e64 v55, v55, v57, s[0:1]
	v_cndmask_b32_e64 v2, v2, v56, s[0:1]
	v_lshlrev_b32_e32 v56, 8, v12
	v_lshl_add_u32 v55, v55, 10, v20
	v_and_or_b32 v55, v56, s44, v55
	v_lshl_or_b32 v2, v2, 7, v55
	v_cvt_f32_f16_e32 v55, v2
.LBB275_141:                            ;   in Loop: Header=BB275_9 Depth=1
	s_or_b64 exec, exec, s[34:35]
	v_lshrrev_b16_e32 v2, 8, v12
	v_cmp_lt_i16_e64 s[0:1], s42, v2
	s_mov_b64 s[34:35], 0
                                        ; implicit-def: $sgpr45
	s_and_saveexec_b64 s[36:37], s[0:1]
	s_xor_b64 s[36:37], exec, s[36:37]
	s_cbranch_execnz .LBB275_303
; %bb.142:                              ;   in Loop: Header=BB275_9 Depth=1
	s_or_saveexec_b64 s[36:37], s[36:37]
	v_mov_b32_e32 v56, s45
	s_xor_b64 exec, exec, s[36:37]
	s_cbranch_execnz .LBB275_306
.LBB275_143:                            ;   in Loop: Header=BB275_9 Depth=1
	s_or_b64 exec, exec, s[36:37]
	s_and_saveexec_b64 s[36:37], s[34:35]
	s_cbranch_execz .LBB275_145
.LBB275_144:                            ;   in Loop: Header=BB275_9 Depth=1
	v_and_b32_e32 v58, 7, v2
	v_ffbh_u32_e32 v56, v58
	v_min_u32_e32 v60, 32, v56
	v_subrev_u32_e32 v56, 28, v60
	v_bfe_u32 v59, v2, 3, 4
	v_lshlrev_b64 v[56:57], v56, v[2:3]
	v_sub_u32_e32 v57, 29, v60
	v_cmp_eq_u32_e64 s[0:1], 0, v59
	v_and_b32_e32 v56, 7, v56
	v_lshlrev_b32_e32 v2, 8, v2
	v_cndmask_b32_e64 v57, v59, v57, s[0:1]
	v_lshl_add_u32 v57, v57, 10, v20
	v_cndmask_b32_e64 v56, v58, v56, s[0:1]
	v_and_or_b32 v2, v2, s44, v57
	v_lshl_or_b32 v2, v56, 7, v2
	v_cvt_f32_f16_e32 v56, v2
.LBB275_145:                            ;   in Loop: Header=BB275_9 Depth=1
	s_or_b64 exec, exec, s[36:37]
	v_lshrrev_b32_e32 v2, 16, v12
	v_cmp_gt_i16_sdwa s[34:35], v2, s42 src0_sel:BYTE_0 src1_sel:DWORD
	s_mov_b64 s[0:1], 0
                                        ; implicit-def: $sgpr38
	s_and_saveexec_b64 s[36:37], s[34:35]
	s_xor_b64 s[34:35], exec, s[36:37]
	s_cbranch_execnz .LBB275_307
; %bb.146:                              ;   in Loop: Header=BB275_9 Depth=1
	s_or_saveexec_b64 s[34:35], s[34:35]
	v_mov_b32_e32 v57, s38
	s_xor_b64 exec, exec, s[34:35]
	s_cbranch_execnz .LBB275_310
.LBB275_147:                            ;   in Loop: Header=BB275_9 Depth=1
	s_or_b64 exec, exec, s[34:35]
	s_and_saveexec_b64 s[34:35], s[0:1]
	s_cbranch_execz .LBB275_149
.LBB275_148:                            ;   in Loop: Header=BB275_9 Depth=1
	v_bfe_u32 v57, v12, 16, 3
	v_ffbh_u32_e32 v58, v57
	v_min_u32_e32 v61, 32, v58
	v_subrev_u32_e32 v58, 28, v61
	v_bfe_u32 v60, v12, 19, 4
	v_lshlrev_b64 v[58:59], v58, v[2:3]
	v_sub_u32_e32 v59, 29, v61
	v_cmp_eq_u32_e64 s[0:1], 0, v60
	v_and_b32_e32 v58, 7, v58
	v_lshlrev_b32_e32 v2, 8, v2
	v_cndmask_b32_e64 v59, v60, v59, s[0:1]
	v_cndmask_b32_e64 v57, v57, v58, s[0:1]
	v_lshl_add_u32 v58, v59, 10, v20
	v_and_or_b32 v2, v2, s44, v58
	v_lshl_or_b32 v2, v57, 7, v2
	v_cvt_f32_f16_e32 v57, v2
.LBB275_149:                            ;   in Loop: Header=BB275_9 Depth=1
	s_or_b64 exec, exec, s[34:35]
	v_lshrrev_b32_e32 v2, 24, v12
	v_cmp_lt_i16_e64 s[0:1], s42, v2
	s_mov_b64 s[34:35], 0
                                        ; implicit-def: $sgpr45
	s_and_saveexec_b64 s[36:37], s[0:1]
	s_xor_b64 s[36:37], exec, s[36:37]
	s_cbranch_execnz .LBB275_311
; %bb.150:                              ;   in Loop: Header=BB275_9 Depth=1
	s_or_saveexec_b64 s[36:37], s[36:37]
	v_mov_b32_e32 v58, s45
	s_xor_b64 exec, exec, s[36:37]
	s_cbranch_execnz .LBB275_314
.LBB275_151:                            ;   in Loop: Header=BB275_9 Depth=1
	s_or_b64 exec, exec, s[36:37]
	s_and_saveexec_b64 s[36:37], s[34:35]
	s_cbranch_execz .LBB275_153
.LBB275_152:                            ;   in Loop: Header=BB275_9 Depth=1
	v_bfe_u32 v60, v12, 24, 3
	v_ffbh_u32_e32 v58, v60
	v_min_u32_e32 v61, 32, v58
	v_subrev_u32_e32 v58, 28, v61
	v_bfe_u32 v12, v12, 27, 4
	v_lshlrev_b64 v[58:59], v58, v[2:3]
	v_sub_u32_e32 v59, 29, v61
	v_cmp_eq_u32_e64 s[0:1], 0, v12
	v_and_b32_e32 v58, 7, v58
	v_lshlrev_b32_e32 v2, 8, v2
	v_cndmask_b32_e64 v12, v12, v59, s[0:1]
	v_lshl_add_u32 v12, v12, 10, v20
	v_cndmask_b32_e64 v58, v60, v58, s[0:1]
	v_and_or_b32 v2, v2, s44, v12
	v_lshl_or_b32 v2, v58, 7, v2
	v_cvt_f32_f16_e32 v58, v2
.LBB275_153:                            ;   in Loop: Header=BB275_9 Depth=1
	s_or_b64 exec, exec, s[36:37]
	global_load_dword v10, v[10:11], off offset:2056
	s_mov_b64 s[0:1], 0
                                        ; implicit-def: $sgpr38
	s_waitcnt vmcnt(0)
	v_cmp_gt_i16_sdwa s[34:35], v10, s42 src0_sel:BYTE_0 src1_sel:DWORD
	s_and_saveexec_b64 s[36:37], s[34:35]
	s_xor_b64 s[34:35], exec, s[36:37]
	s_cbranch_execnz .LBB275_315
; %bb.154:                              ;   in Loop: Header=BB275_9 Depth=1
	s_or_saveexec_b64 s[34:35], s[34:35]
	v_mov_b32_e32 v11, s38
	s_xor_b64 exec, exec, s[34:35]
	s_cbranch_execnz .LBB275_318
.LBB275_155:                            ;   in Loop: Header=BB275_9 Depth=1
	s_or_b64 exec, exec, s[34:35]
	s_and_saveexec_b64 s[34:35], s[0:1]
	s_cbranch_execz .LBB275_157
.LBB275_156:                            ;   in Loop: Header=BB275_9 Depth=1
	v_and_b32_e32 v2, 7, v10
	v_ffbh_u32_e32 v12, v2
	v_bfe_u32 v11, v10, 3, 4
	v_min_u32_e32 v12, 32, v12
	v_subrev_u32_e32 v59, 28, v12
	v_sub_u32_e32 v12, 29, v12
	v_cmp_eq_u32_e64 s[0:1], 0, v11
	v_lshlrev_b64 v[60:61], v59, v[10:11]
	v_and_b32_e32 v59, 7, v60
	v_cndmask_b32_e64 v11, v11, v12, s[0:1]
	v_lshlrev_b32_e32 v12, 8, v10
	v_lshl_add_u32 v11, v11, 10, v20
	v_cndmask_b32_e64 v2, v2, v59, s[0:1]
	v_and_or_b32 v11, v12, s44, v11
	v_lshl_or_b32 v2, v2, 7, v11
	v_cvt_f32_f16_e32 v11, v2
.LBB275_157:                            ;   in Loop: Header=BB275_9 Depth=1
	s_or_b64 exec, exec, s[34:35]
	v_lshrrev_b16_e32 v2, 8, v10
	v_cmp_lt_i16_e64 s[0:1], s42, v2
	s_mov_b64 s[34:35], 0
                                        ; implicit-def: $sgpr45
	s_and_saveexec_b64 s[36:37], s[0:1]
	s_xor_b64 s[36:37], exec, s[36:37]
	s_cbranch_execnz .LBB275_319
; %bb.158:                              ;   in Loop: Header=BB275_9 Depth=1
	s_or_saveexec_b64 s[36:37], s[36:37]
	v_mov_b32_e32 v59, s45
	s_xor_b64 exec, exec, s[36:37]
	s_cbranch_execnz .LBB275_322
.LBB275_159:                            ;   in Loop: Header=BB275_9 Depth=1
	s_or_b64 exec, exec, s[36:37]
	s_and_saveexec_b64 s[36:37], s[34:35]
	s_cbranch_execz .LBB275_161
.LBB275_160:                            ;   in Loop: Header=BB275_9 Depth=1
	v_and_b32_e32 v12, 7, v2
	v_ffbh_u32_e32 v60, v12
	v_min_u32_e32 v62, 32, v60
	v_subrev_u32_e32 v60, 28, v62
	v_bfe_u32 v59, v2, 3, 4
	v_lshlrev_b64 v[60:61], v60, v[2:3]
	v_sub_u32_e32 v61, 29, v62
	v_cmp_eq_u32_e64 s[0:1], 0, v59
	v_and_b32_e32 v60, 7, v60
	v_lshlrev_b32_e32 v2, 8, v2
	v_cndmask_b32_e64 v59, v59, v61, s[0:1]
	v_lshl_add_u32 v59, v59, 10, v20
	v_cndmask_b32_e64 v12, v12, v60, s[0:1]
	v_and_or_b32 v2, v2, s44, v59
	v_lshl_or_b32 v2, v12, 7, v2
	v_cvt_f32_f16_e32 v59, v2
.LBB275_161:                            ;   in Loop: Header=BB275_9 Depth=1
	s_or_b64 exec, exec, s[36:37]
	v_lshrrev_b32_e32 v2, 16, v10
	v_cmp_gt_i16_sdwa s[34:35], v2, s42 src0_sel:BYTE_0 src1_sel:DWORD
	s_mov_b64 s[0:1], 0
                                        ; implicit-def: $sgpr38
	s_and_saveexec_b64 s[36:37], s[34:35]
	s_xor_b64 s[34:35], exec, s[36:37]
	s_cbranch_execnz .LBB275_323
; %bb.162:                              ;   in Loop: Header=BB275_9 Depth=1
	s_or_saveexec_b64 s[34:35], s[34:35]
	v_mov_b32_e32 v60, s38
	s_xor_b64 exec, exec, s[34:35]
	s_cbranch_execnz .LBB275_326
.LBB275_163:                            ;   in Loop: Header=BB275_9 Depth=1
	s_or_b64 exec, exec, s[34:35]
	s_and_saveexec_b64 s[34:35], s[0:1]
	s_cbranch_execz .LBB275_165
.LBB275_164:                            ;   in Loop: Header=BB275_9 Depth=1
	v_bfe_u32 v12, v10, 16, 3
	v_ffbh_u32_e32 v60, v12
	v_min_u32_e32 v63, 32, v60
	v_subrev_u32_e32 v60, 28, v63
	v_bfe_u32 v62, v10, 19, 4
	v_lshlrev_b64 v[60:61], v60, v[2:3]
	v_sub_u32_e32 v61, 29, v63
	v_cmp_eq_u32_e64 s[0:1], 0, v62
	v_and_b32_e32 v60, 7, v60
	v_lshlrev_b32_e32 v2, 8, v2
	v_cndmask_b32_e64 v61, v62, v61, s[0:1]
	v_cndmask_b32_e64 v12, v12, v60, s[0:1]
	v_lshl_add_u32 v60, v61, 10, v20
	v_and_or_b32 v2, v2, s44, v60
	v_lshl_or_b32 v2, v12, 7, v2
	v_cvt_f32_f16_e32 v60, v2
.LBB275_165:                            ;   in Loop: Header=BB275_9 Depth=1
	s_or_b64 exec, exec, s[34:35]
	v_lshrrev_b32_e32 v2, 24, v10
	v_cmp_lt_i16_e64 s[0:1], s42, v2
	s_mov_b64 s[34:35], 0
                                        ; implicit-def: $sgpr45
	s_and_saveexec_b64 s[36:37], s[0:1]
	s_xor_b64 s[36:37], exec, s[36:37]
	s_cbranch_execnz .LBB275_327
; %bb.166:                              ;   in Loop: Header=BB275_9 Depth=1
	s_or_saveexec_b64 s[36:37], s[36:37]
	v_mov_b32_e32 v61, s45
	s_xor_b64 exec, exec, s[36:37]
	s_cbranch_execnz .LBB275_330
.LBB275_167:                            ;   in Loop: Header=BB275_9 Depth=1
	s_or_b64 exec, exec, s[36:37]
	s_and_saveexec_b64 s[36:37], s[34:35]
	s_cbranch_execz .LBB275_169
.LBB275_168:                            ;   in Loop: Header=BB275_9 Depth=1
	v_bfe_u32 v12, v10, 24, 3
	v_ffbh_u32_e32 v61, v12
	v_bfe_u32 v10, v10, 27, 4
	v_min_u32_e32 v61, 32, v61
	v_subrev_u32_e32 v62, 28, v61
	v_sub_u32_e32 v61, 29, v61
	v_cmp_eq_u32_e64 s[0:1], 0, v10
	v_lshlrev_b64 v[62:63], v62, v[2:3]
	v_and_b32_e32 v62, 7, v62
	v_cndmask_b32_e64 v10, v10, v61, s[0:1]
	v_lshlrev_b32_e32 v2, 8, v2
	v_lshl_add_u32 v10, v10, 10, v20
	v_cndmask_b32_e64 v12, v12, v62, s[0:1]
	v_and_or_b32 v2, v2, s44, v10
	v_lshl_or_b32 v2, v12, 7, v2
	v_cvt_f32_f16_e32 v61, v2
.LBB275_169:                            ;   in Loop: Header=BB275_9 Depth=1
	s_or_b64 exec, exec, s[36:37]
	v_fma_mixlo_f16 v12, v22, v56, 0
	v_fma_mixlo_f16 v10, v22, v57, 0
	;; [unrolled: 1-line block ×4, first 2 shown]
	ds_read_b64 v[28:29], v17
	v_fma_mixlo_f16 v24, v22, v24, 0
	v_fma_mixlo_f16 v23, v22, v23, 0
	;; [unrolled: 1-line block ×3, first 2 shown]
	v_and_b32_e32 v23, 0xffff, v23
	s_waitcnt lgkmcnt(0)
	v_lshrrev_b32_e32 v58, 16, v28
	v_and_b32_e32 v28, 0xffff, v28
	v_and_b32_e32 v24, 0xffff, v24
	v_fma_mixlo_f16 v25, v22, v25, 0
	;;#ASMSTART
	v_cvt_f32_f16 v28, v28;
	;;#ASMEND
	;;#ASMSTART
	v_cvt_f32_f16 v58, v58;
	;;#ASMEND
	;; [unrolled: 3-line block ×4, first 2 shown]
	v_lshrrev_b32_e32 v24, 16, v29
	v_and_b32_e32 v29, 0xffff, v29
	v_fma_mixlo_f16 v26, v22, v26, 0
	;;#ASMSTART
	v_cvt_f32_f16 v29, v29;
	;;#ASMEND
	;;#ASMSTART
	v_cvt_f32_f16 v63, v24;
	;;#ASMEND
	v_and_b32_e32 v24, 0xffff, v25
	;;#ASMSTART
	v_cvt_f32_f16 v64, v24;
	;;#ASMEND
	v_and_b32_e32 v24, 0xffff, v26
	;;#ASMSTART
	v_cvt_f32_f16 v26, v24;
	;;#ASMEND
	ds_read_b64 v[24:25], v17 offset:8
	v_fma_mixlo_f16 v27, v22, v27, 0
	v_fma_mixlo_f16 v55, v22, v55, 0
	;; [unrolled: 1-line block ×31, first 2 shown]
	s_waitcnt lgkmcnt(0)
	v_lshrrev_b32_e32 v11, 16, v24
	v_and_b32_e32 v22, 0xffff, v24
	v_and_b32_e32 v24, 0xffff, v27
	;;#ASMSTART
	v_cvt_f32_f16 v22, v22;
	;;#ASMEND
	;;#ASMSTART
	v_cvt_f32_f16 v11, v11;
	;;#ASMEND
	;; [unrolled: 3-line block ×3, first 2 shown]
	v_and_b32_e32 v27, 0xffff, v56
	;;#ASMSTART
	v_cvt_f32_f16 v27, v27;
	;;#ASMEND
	v_mul_f32_e32 v24, v22, v24
	v_and_b32_e32 v22, 0xffff, v25
	v_mul_f32_e32 v27, v11, v27
	v_lshrrev_b32_e32 v11, 16, v25
	;;#ASMSTART
	v_cvt_f32_f16 v25, v22;
	;;#ASMEND
	v_and_b32_e32 v22, 0xffff, v57
	v_fmac_f32_e32 v24, v28, v23
	;;#ASMSTART
	v_cvt_f32_f16 v11, v11;
	;;#ASMEND
	;;#ASMSTART
	v_cvt_f32_f16 v28, v22;
	;;#ASMEND
	v_and_b32_e32 v22, 0xffff, v30
	;;#ASMSTART
	v_cvt_f32_f16 v30, v22;
	;;#ASMEND
	ds_read_b64 v[22:23], v17 offset:16
	v_mul_f32_e32 v25, v25, v28
	v_mul_f32_e32 v28, v11, v30
	v_fmac_f32_e32 v28, v63, v26
	v_fmac_f32_e32 v25, v29, v64
	s_waitcnt lgkmcnt(0)
	v_lshrrev_b32_e32 v11, 16, v22
	v_and_b32_e32 v22, 0xffff, v22
	;;#ASMSTART
	v_cvt_f32_f16 v26, v22;
	;;#ASMEND
	v_and_b32_e32 v22, 0xffff, v31
	;;#ASMSTART
	v_cvt_f32_f16 v11, v11;
	;;#ASMEND
	;;#ASMSTART
	v_cvt_f32_f16 v29, v22;
	;;#ASMEND
	v_and_b32_e32 v22, 0xffff, v32
	;;#ASMSTART
	v_cvt_f32_f16 v30, v22;
	;;#ASMEND
	v_lshrrev_b32_e32 v22, 16, v23
	v_and_b32_e32 v23, 0xffff, v23
	;;#ASMSTART
	v_cvt_f32_f16 v31, v23;
	;;#ASMEND
	;;#ASMSTART
	v_cvt_f32_f16 v32, v22;
	;;#ASMEND
	v_and_b32_e32 v22, 0xffff, v33
	;;#ASMSTART
	v_cvt_f32_f16 v33, v22;
	;;#ASMEND
	v_and_b32_e32 v22, 0xffff, v34
	;;#ASMSTART
	v_cvt_f32_f16 v34, v22;
	;;#ASMEND
	ds_read_b64 v[22:23], v17 offset:24
	v_fmac_f32_e32 v27, v58, v62
	v_fmac_f32_e32 v27, v11, v30
	;; [unrolled: 1-line block ×4, first 2 shown]
	s_waitcnt lgkmcnt(0)
	v_lshrrev_b32_e32 v11, 16, v22
	v_and_b32_e32 v22, 0xffff, v22
	;;#ASMSTART
	v_cvt_f32_f16 v26, v22;
	;;#ASMEND
	v_and_b32_e32 v22, 0xffff, v35
	;;#ASMSTART
	v_cvt_f32_f16 v11, v11;
	;;#ASMEND
	;;#ASMSTART
	v_cvt_f32_f16 v29, v22;
	;;#ASMEND
	v_and_b32_e32 v22, 0xffff, v36
	;;#ASMSTART
	v_cvt_f32_f16 v30, v22;
	;;#ASMEND
	v_lshrrev_b32_e32 v22, 16, v23
	v_fmac_f32_e32 v28, v32, v34
	v_and_b32_e32 v23, 0xffff, v23
	;;#ASMSTART
	v_cvt_f32_f16 v31, v23;
	;;#ASMEND
	;;#ASMSTART
	v_cvt_f32_f16 v32, v22;
	;;#ASMEND
	v_and_b32_e32 v22, 0xffff, v37
	;;#ASMSTART
	v_cvt_f32_f16 v33, v22;
	;;#ASMEND
	v_and_b32_e32 v22, 0xffff, v38
	;;#ASMSTART
	v_cvt_f32_f16 v34, v22;
	;;#ASMEND
	ds_read_b64 v[22:23], v17 offset:32
	v_fmac_f32_e32 v27, v11, v30
	v_fmac_f32_e32 v24, v26, v29
	v_fmac_f32_e32 v25, v31, v33
	v_fmac_f32_e32 v28, v32, v34
	s_waitcnt lgkmcnt(0)
	v_lshrrev_b32_e32 v11, 16, v22
	v_and_b32_e32 v22, 0xffff, v22
	;;#ASMSTART
	v_cvt_f32_f16 v26, v22;
	;;#ASMEND
	v_and_b32_e32 v22, 0xffff, v39
	;;#ASMSTART
	v_cvt_f32_f16 v11, v11;
	;;#ASMEND
	;;#ASMSTART
	v_cvt_f32_f16 v29, v22;
	;;#ASMEND
	v_and_b32_e32 v22, 0xffff, v40
	;;#ASMSTART
	v_cvt_f32_f16 v30, v22;
	;;#ASMEND
	v_lshrrev_b32_e32 v22, 16, v23
	v_and_b32_e32 v23, 0xffff, v23
	;;#ASMSTART
	v_cvt_f32_f16 v31, v23;
	;;#ASMEND
	;;#ASMSTART
	v_cvt_f32_f16 v32, v22;
	;;#ASMEND
	v_and_b32_e32 v22, 0xffff, v41
	;;#ASMSTART
	v_cvt_f32_f16 v33, v22;
	;;#ASMEND
	v_and_b32_e32 v22, 0xffff, v42
	;;#ASMSTART
	v_cvt_f32_f16 v34, v22;
	;;#ASMEND
	ds_read_b64 v[22:23], v17 offset:40
	v_fmac_f32_e32 v27, v11, v30
	v_fmac_f32_e32 v24, v26, v29
	v_fmac_f32_e32 v25, v31, v33
	v_fmac_f32_e32 v28, v32, v34
	s_waitcnt lgkmcnt(0)
	v_lshrrev_b32_e32 v11, 16, v22
	v_and_b32_e32 v22, 0xffff, v22
	;;#ASMSTART
	v_cvt_f32_f16 v26, v22;
	;;#ASMEND
	v_and_b32_e32 v22, 0xffff, v43
	;;#ASMSTART
	v_cvt_f32_f16 v11, v11;
	;;#ASMEND
	;;#ASMSTART
	v_cvt_f32_f16 v29, v22;
	;;#ASMEND
	v_and_b32_e32 v22, 0xffff, v44
	;;#ASMSTART
	v_cvt_f32_f16 v30, v22;
	;;#ASMEND
	v_lshrrev_b32_e32 v22, 16, v23
	;; [unrolled: 38-line block ×4, first 2 shown]
	v_and_b32_e32 v23, 0xffff, v23
	;;#ASMSTART
	v_cvt_f32_f16 v31, v23;
	;;#ASMEND
	;;#ASMSTART
	v_cvt_f32_f16 v32, v22;
	;;#ASMEND
	v_and_b32_e32 v22, 0xffff, v53
	;;#ASMSTART
	v_cvt_f32_f16 v33, v22;
	;;#ASMEND
	v_and_b32_e32 v22, 0xffff, v54
	;;#ASMSTART
	v_cvt_f32_f16 v34, v22;
	;;#ASMEND
	ds_read_b64 v[22:23], v17 offset:64
	v_fmac_f32_e32 v27, v11, v30
	v_fmac_f32_e32 v24, v26, v29
	v_and_b32_e32 v10, 0xffff, v10
	v_and_b32_e32 v2, 0xffff, v2
	s_waitcnt lgkmcnt(0)
	v_lshrrev_b32_e32 v11, 16, v22
	v_and_b32_e32 v22, 0xffff, v22
	;;#ASMSTART
	v_cvt_f32_f16 v22, v22;
	;;#ASMEND
	;;#ASMSTART
	v_cvt_f32_f16 v26, v11;
	;;#ASMEND
	v_and_b32_e32 v11, 0xffff, v55
	;;#ASMSTART
	v_cvt_f32_f16 v29, v11;
	;;#ASMEND
	v_and_b32_e32 v11, 0xffff, v12
	;;#ASMSTART
	v_cvt_f32_f16 v12, v11;
	;;#ASMEND
	v_lshrrev_b32_e32 v11, 16, v23
	v_and_b32_e32 v23, 0xffff, v23
	v_fmac_f32_e32 v25, v31, v33
	;;#ASMSTART
	v_cvt_f32_f16 v23, v23;
	;;#ASMEND
	;;#ASMSTART
	v_cvt_f32_f16 v30, v11;
	;;#ASMEND
	;; [unrolled: 3-line block ×4, first 2 shown]
	ds_read_b64 v[10:11], v17 offset:72
	v_fmac_f32_e32 v28, v32, v34
	v_fmac_f32_e32 v28, v30, v2
	;; [unrolled: 1-line block ×4, first 2 shown]
	s_waitcnt lgkmcnt(0)
	v_lshrrev_b32_e32 v2, 16, v10
	v_and_b32_e32 v10, 0xffff, v10
	;;#ASMSTART
	v_cvt_f32_f16 v10, v10;
	;;#ASMEND
	;;#ASMSTART
	v_cvt_f32_f16 v2, v2;
	;;#ASMEND
	v_and_b32_e32 v12, 0xffff, v65
	v_and_b32_e32 v22, 0xffff, v59
	;;#ASMSTART
	v_cvt_f32_f16 v12, v12;
	;;#ASMEND
	;;#ASMSTART
	v_cvt_f32_f16 v22, v22;
	;;#ASMEND
	v_fmac_f32_e32 v25, v23, v31
	v_fmac_f32_e32 v24, v10, v12
	;; [unrolled: 1-line block ×3, first 2 shown]
	v_lshrrev_b32_e32 v2, 16, v11
	v_and_b32_e32 v10, 0xffff, v11
	;;#ASMSTART
	v_cvt_f32_f16 v10, v10;
	;;#ASMEND
	;;#ASMSTART
	v_cvt_f32_f16 v2, v2;
	;;#ASMEND
	v_and_b32_e32 v11, 0xffff, v60
	v_and_b32_e32 v12, 0xffff, v61
	;;#ASMSTART
	v_cvt_f32_f16 v11, v11;
	;;#ASMEND
	;;#ASMSTART
	v_cvt_f32_f16 v12, v12;
	;;#ASMEND
	s_nop 0
	v_fmac_f32_e32 v25, v10, v11
	v_fmac_f32_e32 v28, v2, v12
	v_add_f32_e32 v2, v24, v27
	v_add_f32_e32 v2, v2, v25
	;; [unrolled: 1-line block ×3, first 2 shown]
	v_and_b32_e32 v2, 64, v16
	v_xor_b32_e32 v11, 1, v16
	v_add_u32_e32 v2, 64, v2
	v_cmp_lt_i32_e64 s[0:1], v11, v2
	s_nop 1
	v_cndmask_b32_e64 v11, v16, v11, s[0:1]
	v_lshlrev_b32_e32 v11, 2, v11
	ds_bpermute_b32 v11, v11, v10
	s_and_saveexec_b64 s[34:35], vcc
	s_cbranch_execz .LBB275_8
; %bb.170:                              ;   in Loop: Header=BB275_9 Depth=1
	v_add_u32_e32 v12, s41, v18
	v_cvt_f32_i32_e32 v12, v12
	s_waitcnt lgkmcnt(0)
	v_add_f32_e32 v10, v10, v11
	v_cmp_gt_i32_e64 s[0:1], s33, v18
	v_max_f32_e32 v11, v15, v15
	v_mul_f32_e32 v12, s28, v12
	v_cndmask_b32_e64 v12, 0, v12, s[2:3]
	v_fmac_f32_e32 v12, s29, v10
	v_cndmask_b32_e64 v10, 0, v12, s[0:1]
	ds_write_b32 v19, v10
	v_max_f32_e32 v10, v11, v12
	v_cndmask_b32_e64 v15, v15, v10, s[0:1]
	s_branch .LBB275_8
.LBB275_171:                            ;   in Loop: Header=BB275_9 Depth=1
	v_cmp_eq_u16_sdwa s[46:47], v12, s43 src0_sel:BYTE_0 src1_sel:DWORD
	s_mov_b64 s[0:1], -1
                                        ; implicit-def: $sgpr38
	s_and_saveexec_b64 s[36:37], s[46:47]
; %bb.172:                              ;   in Loop: Header=BB275_9 Depth=1
	s_mov_b32 s38, 0x7fc02000
	s_xor_b64 s[0:1], exec, -1
; %bb.173:                              ;   in Loop: Header=BB275_9 Depth=1
	s_or_b64 exec, exec, s[36:37]
	s_and_b64 s[0:1], s[0:1], exec
	s_or_saveexec_b64 s[34:35], s[34:35]
	v_mov_b32_e32 v23, s38
	s_xor_b64 exec, exec, s[34:35]
	s_cbranch_execz .LBB275_11
.LBB275_174:                            ;   in Loop: Header=BB275_9 Depth=1
	v_cmp_ne_u16_sdwa s[36:37], v12, v3 src0_sel:BYTE_0 src1_sel:DWORD
	s_andn2_b64 s[0:1], s[0:1], exec
	s_and_b64 s[36:37], s[36:37], exec
	v_mov_b32_e32 v23, 0
	s_or_b64 s[0:1], s[0:1], s[36:37]
	s_or_b64 exec, exec, s[34:35]
	s_and_saveexec_b64 s[34:35], s[0:1]
	s_cbranch_execnz .LBB275_12
	s_branch .LBB275_13
.LBB275_175:                            ;   in Loop: Header=BB275_9 Depth=1
	v_cmp_eq_u16_e64 s[0:1], s43, v2
	s_mov_b64 s[34:35], -1
                                        ; implicit-def: $sgpr45
	s_and_saveexec_b64 s[38:39], s[0:1]
; %bb.176:                              ;   in Loop: Header=BB275_9 Depth=1
	s_mov_b32 s45, 0x7fc02000
	s_xor_b64 s[34:35], exec, -1
; %bb.177:                              ;   in Loop: Header=BB275_9 Depth=1
	s_or_b64 exec, exec, s[38:39]
	s_and_b64 s[34:35], s[34:35], exec
	s_or_saveexec_b64 s[36:37], s[36:37]
	v_mov_b32_e32 v24, s45
	s_xor_b64 exec, exec, s[36:37]
	s_cbranch_execz .LBB275_15
.LBB275_178:                            ;   in Loop: Header=BB275_9 Depth=1
	v_cmp_ne_u16_e64 s[0:1], 0, v2
	s_andn2_b64 s[34:35], s[34:35], exec
	s_and_b64 s[0:1], s[0:1], exec
	v_mov_b32_e32 v24, 0
	s_or_b64 s[34:35], s[34:35], s[0:1]
	s_or_b64 exec, exec, s[36:37]
	s_and_saveexec_b64 s[36:37], s[34:35]
	s_cbranch_execnz .LBB275_16
	s_branch .LBB275_17
.LBB275_179:                            ;   in Loop: Header=BB275_9 Depth=1
	v_cmp_eq_u16_sdwa s[46:47], v2, s43 src0_sel:BYTE_0 src1_sel:DWORD
	s_mov_b64 s[0:1], -1
                                        ; implicit-def: $sgpr38
	s_and_saveexec_b64 s[36:37], s[46:47]
; %bb.180:                              ;   in Loop: Header=BB275_9 Depth=1
	s_mov_b32 s38, 0x7fc02000
	s_xor_b64 s[0:1], exec, -1
; %bb.181:                              ;   in Loop: Header=BB275_9 Depth=1
	s_or_b64 exec, exec, s[36:37]
	s_and_b64 s[0:1], s[0:1], exec
	s_or_saveexec_b64 s[34:35], s[34:35]
	v_mov_b32_e32 v25, s38
	s_xor_b64 exec, exec, s[34:35]
	s_cbranch_execz .LBB275_19
.LBB275_182:                            ;   in Loop: Header=BB275_9 Depth=1
	v_cmp_ne_u16_sdwa s[36:37], v2, v3 src0_sel:BYTE_0 src1_sel:DWORD
	s_andn2_b64 s[0:1], s[0:1], exec
	s_and_b64 s[36:37], s[36:37], exec
	v_mov_b32_e32 v25, 0
	s_or_b64 s[0:1], s[0:1], s[36:37]
	s_or_b64 exec, exec, s[34:35]
	s_and_saveexec_b64 s[34:35], s[0:1]
	s_cbranch_execnz .LBB275_20
	s_branch .LBB275_21
.LBB275_183:                            ;   in Loop: Header=BB275_9 Depth=1
	v_cmp_eq_u16_e64 s[0:1], s43, v2
	s_mov_b64 s[34:35], -1
                                        ; implicit-def: $sgpr45
	s_and_saveexec_b64 s[38:39], s[0:1]
; %bb.184:                              ;   in Loop: Header=BB275_9 Depth=1
	s_mov_b32 s45, 0x7fc02000
	s_xor_b64 s[34:35], exec, -1
; %bb.185:                              ;   in Loop: Header=BB275_9 Depth=1
	s_or_b64 exec, exec, s[38:39]
	s_and_b64 s[34:35], s[34:35], exec
	s_or_saveexec_b64 s[36:37], s[36:37]
	v_mov_b32_e32 v26, s45
	s_xor_b64 exec, exec, s[36:37]
	s_cbranch_execz .LBB275_23
.LBB275_186:                            ;   in Loop: Header=BB275_9 Depth=1
	v_cmp_ne_u16_e64 s[0:1], 0, v2
	s_andn2_b64 s[34:35], s[34:35], exec
	s_and_b64 s[0:1], s[0:1], exec
	v_mov_b32_e32 v26, 0
	s_or_b64 s[34:35], s[34:35], s[0:1]
	s_or_b64 exec, exec, s[36:37]
	s_and_saveexec_b64 s[36:37], s[34:35]
	s_cbranch_execnz .LBB275_24
	s_branch .LBB275_25
.LBB275_187:                            ;   in Loop: Header=BB275_9 Depth=1
	v_cmp_eq_u16_sdwa s[46:47], v12, s43 src0_sel:BYTE_0 src1_sel:DWORD
	s_mov_b64 s[0:1], -1
                                        ; implicit-def: $sgpr38
	s_and_saveexec_b64 s[36:37], s[46:47]
; %bb.188:                              ;   in Loop: Header=BB275_9 Depth=1
	s_mov_b32 s38, 0x7fc02000
	s_xor_b64 s[0:1], exec, -1
; %bb.189:                              ;   in Loop: Header=BB275_9 Depth=1
	s_or_b64 exec, exec, s[36:37]
	s_and_b64 s[0:1], s[0:1], exec
	s_or_saveexec_b64 s[34:35], s[34:35]
	v_mov_b32_e32 v27, s38
	s_xor_b64 exec, exec, s[34:35]
	s_cbranch_execz .LBB275_27
.LBB275_190:                            ;   in Loop: Header=BB275_9 Depth=1
	v_cmp_ne_u16_sdwa s[36:37], v12, v3 src0_sel:BYTE_0 src1_sel:DWORD
	s_andn2_b64 s[0:1], s[0:1], exec
	s_and_b64 s[36:37], s[36:37], exec
	v_mov_b32_e32 v27, 0
	s_or_b64 s[0:1], s[0:1], s[36:37]
	s_or_b64 exec, exec, s[34:35]
	s_and_saveexec_b64 s[34:35], s[0:1]
	s_cbranch_execnz .LBB275_28
	s_branch .LBB275_29
.LBB275_191:                            ;   in Loop: Header=BB275_9 Depth=1
	v_cmp_eq_u16_e64 s[0:1], s43, v2
	s_mov_b64 s[34:35], -1
                                        ; implicit-def: $sgpr45
	s_and_saveexec_b64 s[38:39], s[0:1]
; %bb.192:                              ;   in Loop: Header=BB275_9 Depth=1
	s_mov_b32 s45, 0x7fc02000
	s_xor_b64 s[34:35], exec, -1
; %bb.193:                              ;   in Loop: Header=BB275_9 Depth=1
	s_or_b64 exec, exec, s[38:39]
	s_and_b64 s[34:35], s[34:35], exec
	s_or_saveexec_b64 s[36:37], s[36:37]
	v_mov_b32_e32 v28, s45
	s_xor_b64 exec, exec, s[36:37]
	s_cbranch_execz .LBB275_31
.LBB275_194:                            ;   in Loop: Header=BB275_9 Depth=1
	v_cmp_ne_u16_e64 s[0:1], 0, v2
	s_andn2_b64 s[34:35], s[34:35], exec
	s_and_b64 s[0:1], s[0:1], exec
	v_mov_b32_e32 v28, 0
	s_or_b64 s[34:35], s[34:35], s[0:1]
	s_or_b64 exec, exec, s[36:37]
	s_and_saveexec_b64 s[36:37], s[34:35]
	s_cbranch_execnz .LBB275_32
	s_branch .LBB275_33
.LBB275_195:                            ;   in Loop: Header=BB275_9 Depth=1
	v_cmp_eq_u16_sdwa s[46:47], v2, s43 src0_sel:BYTE_0 src1_sel:DWORD
	s_mov_b64 s[0:1], -1
                                        ; implicit-def: $sgpr38
	s_and_saveexec_b64 s[36:37], s[46:47]
; %bb.196:                              ;   in Loop: Header=BB275_9 Depth=1
	s_mov_b32 s38, 0x7fc02000
	s_xor_b64 s[0:1], exec, -1
; %bb.197:                              ;   in Loop: Header=BB275_9 Depth=1
	s_or_b64 exec, exec, s[36:37]
	s_and_b64 s[0:1], s[0:1], exec
	s_or_saveexec_b64 s[34:35], s[34:35]
	v_mov_b32_e32 v29, s38
	s_xor_b64 exec, exec, s[34:35]
	s_cbranch_execz .LBB275_35
.LBB275_198:                            ;   in Loop: Header=BB275_9 Depth=1
	v_cmp_ne_u16_sdwa s[36:37], v2, v3 src0_sel:BYTE_0 src1_sel:DWORD
	s_andn2_b64 s[0:1], s[0:1], exec
	s_and_b64 s[36:37], s[36:37], exec
	v_mov_b32_e32 v29, 0
	s_or_b64 s[0:1], s[0:1], s[36:37]
	s_or_b64 exec, exec, s[34:35]
	s_and_saveexec_b64 s[34:35], s[0:1]
	s_cbranch_execnz .LBB275_36
	s_branch .LBB275_37
.LBB275_199:                            ;   in Loop: Header=BB275_9 Depth=1
	v_cmp_eq_u16_e64 s[0:1], s43, v2
	s_mov_b64 s[34:35], -1
                                        ; implicit-def: $sgpr45
	s_and_saveexec_b64 s[38:39], s[0:1]
; %bb.200:                              ;   in Loop: Header=BB275_9 Depth=1
	s_mov_b32 s45, 0x7fc02000
	s_xor_b64 s[34:35], exec, -1
; %bb.201:                              ;   in Loop: Header=BB275_9 Depth=1
	s_or_b64 exec, exec, s[38:39]
	s_and_b64 s[34:35], s[34:35], exec
	s_or_saveexec_b64 s[36:37], s[36:37]
	v_mov_b32_e32 v30, s45
	s_xor_b64 exec, exec, s[36:37]
	s_cbranch_execz .LBB275_39
.LBB275_202:                            ;   in Loop: Header=BB275_9 Depth=1
	v_cmp_ne_u16_e64 s[0:1], 0, v2
	s_andn2_b64 s[34:35], s[34:35], exec
	s_and_b64 s[0:1], s[0:1], exec
	v_mov_b32_e32 v30, 0
	s_or_b64 s[34:35], s[34:35], s[0:1]
	s_or_b64 exec, exec, s[36:37]
	s_and_saveexec_b64 s[36:37], s[34:35]
	s_cbranch_execnz .LBB275_40
	s_branch .LBB275_41
.LBB275_203:                            ;   in Loop: Header=BB275_9 Depth=1
	v_cmp_eq_u16_sdwa s[46:47], v12, s43 src0_sel:BYTE_0 src1_sel:DWORD
	s_mov_b64 s[0:1], -1
                                        ; implicit-def: $sgpr38
	s_and_saveexec_b64 s[36:37], s[46:47]
; %bb.204:                              ;   in Loop: Header=BB275_9 Depth=1
	s_mov_b32 s38, 0x7fc02000
	s_xor_b64 s[0:1], exec, -1
; %bb.205:                              ;   in Loop: Header=BB275_9 Depth=1
	s_or_b64 exec, exec, s[36:37]
	s_and_b64 s[0:1], s[0:1], exec
	s_or_saveexec_b64 s[34:35], s[34:35]
	v_mov_b32_e32 v31, s38
	s_xor_b64 exec, exec, s[34:35]
	s_cbranch_execz .LBB275_43
.LBB275_206:                            ;   in Loop: Header=BB275_9 Depth=1
	v_cmp_ne_u16_sdwa s[36:37], v12, v3 src0_sel:BYTE_0 src1_sel:DWORD
	s_andn2_b64 s[0:1], s[0:1], exec
	s_and_b64 s[36:37], s[36:37], exec
	v_mov_b32_e32 v31, 0
	s_or_b64 s[0:1], s[0:1], s[36:37]
	s_or_b64 exec, exec, s[34:35]
	s_and_saveexec_b64 s[34:35], s[0:1]
	s_cbranch_execnz .LBB275_44
	s_branch .LBB275_45
.LBB275_207:                            ;   in Loop: Header=BB275_9 Depth=1
	v_cmp_eq_u16_e64 s[0:1], s43, v2
	s_mov_b64 s[34:35], -1
                                        ; implicit-def: $sgpr45
	s_and_saveexec_b64 s[38:39], s[0:1]
; %bb.208:                              ;   in Loop: Header=BB275_9 Depth=1
	s_mov_b32 s45, 0x7fc02000
	s_xor_b64 s[34:35], exec, -1
; %bb.209:                              ;   in Loop: Header=BB275_9 Depth=1
	s_or_b64 exec, exec, s[38:39]
	s_and_b64 s[34:35], s[34:35], exec
	s_or_saveexec_b64 s[36:37], s[36:37]
	v_mov_b32_e32 v32, s45
	s_xor_b64 exec, exec, s[36:37]
	s_cbranch_execz .LBB275_47
.LBB275_210:                            ;   in Loop: Header=BB275_9 Depth=1
	v_cmp_ne_u16_e64 s[0:1], 0, v2
	s_andn2_b64 s[34:35], s[34:35], exec
	s_and_b64 s[0:1], s[0:1], exec
	v_mov_b32_e32 v32, 0
	s_or_b64 s[34:35], s[34:35], s[0:1]
	s_or_b64 exec, exec, s[36:37]
	s_and_saveexec_b64 s[36:37], s[34:35]
	s_cbranch_execnz .LBB275_48
	s_branch .LBB275_49
.LBB275_211:                            ;   in Loop: Header=BB275_9 Depth=1
	v_cmp_eq_u16_sdwa s[46:47], v2, s43 src0_sel:BYTE_0 src1_sel:DWORD
	s_mov_b64 s[0:1], -1
                                        ; implicit-def: $sgpr38
	s_and_saveexec_b64 s[36:37], s[46:47]
; %bb.212:                              ;   in Loop: Header=BB275_9 Depth=1
	s_mov_b32 s38, 0x7fc02000
	s_xor_b64 s[0:1], exec, -1
; %bb.213:                              ;   in Loop: Header=BB275_9 Depth=1
	s_or_b64 exec, exec, s[36:37]
	s_and_b64 s[0:1], s[0:1], exec
	s_or_saveexec_b64 s[34:35], s[34:35]
	v_mov_b32_e32 v33, s38
	s_xor_b64 exec, exec, s[34:35]
	s_cbranch_execz .LBB275_51
.LBB275_214:                            ;   in Loop: Header=BB275_9 Depth=1
	v_cmp_ne_u16_sdwa s[36:37], v2, v3 src0_sel:BYTE_0 src1_sel:DWORD
	s_andn2_b64 s[0:1], s[0:1], exec
	s_and_b64 s[36:37], s[36:37], exec
	v_mov_b32_e32 v33, 0
	s_or_b64 s[0:1], s[0:1], s[36:37]
	s_or_b64 exec, exec, s[34:35]
	s_and_saveexec_b64 s[34:35], s[0:1]
	s_cbranch_execnz .LBB275_52
	s_branch .LBB275_53
.LBB275_215:                            ;   in Loop: Header=BB275_9 Depth=1
	v_cmp_eq_u16_e64 s[0:1], s43, v2
	s_mov_b64 s[34:35], -1
                                        ; implicit-def: $sgpr45
	s_and_saveexec_b64 s[38:39], s[0:1]
; %bb.216:                              ;   in Loop: Header=BB275_9 Depth=1
	s_mov_b32 s45, 0x7fc02000
	s_xor_b64 s[34:35], exec, -1
; %bb.217:                              ;   in Loop: Header=BB275_9 Depth=1
	s_or_b64 exec, exec, s[38:39]
	s_and_b64 s[34:35], s[34:35], exec
	s_or_saveexec_b64 s[36:37], s[36:37]
	v_mov_b32_e32 v34, s45
	s_xor_b64 exec, exec, s[36:37]
	s_cbranch_execz .LBB275_55
.LBB275_218:                            ;   in Loop: Header=BB275_9 Depth=1
	v_cmp_ne_u16_e64 s[0:1], 0, v2
	s_andn2_b64 s[34:35], s[34:35], exec
	s_and_b64 s[0:1], s[0:1], exec
	v_mov_b32_e32 v34, 0
	s_or_b64 s[34:35], s[34:35], s[0:1]
	s_or_b64 exec, exec, s[36:37]
	s_and_saveexec_b64 s[36:37], s[34:35]
	s_cbranch_execnz .LBB275_56
	s_branch .LBB275_57
.LBB275_219:                            ;   in Loop: Header=BB275_9 Depth=1
	v_cmp_eq_u16_sdwa s[46:47], v12, s43 src0_sel:BYTE_0 src1_sel:DWORD
	s_mov_b64 s[0:1], -1
                                        ; implicit-def: $sgpr38
	s_and_saveexec_b64 s[36:37], s[46:47]
; %bb.220:                              ;   in Loop: Header=BB275_9 Depth=1
	s_mov_b32 s38, 0x7fc02000
	s_xor_b64 s[0:1], exec, -1
; %bb.221:                              ;   in Loop: Header=BB275_9 Depth=1
	s_or_b64 exec, exec, s[36:37]
	s_and_b64 s[0:1], s[0:1], exec
	s_or_saveexec_b64 s[34:35], s[34:35]
	v_mov_b32_e32 v35, s38
	s_xor_b64 exec, exec, s[34:35]
	s_cbranch_execz .LBB275_59
.LBB275_222:                            ;   in Loop: Header=BB275_9 Depth=1
	v_cmp_ne_u16_sdwa s[36:37], v12, v3 src0_sel:BYTE_0 src1_sel:DWORD
	s_andn2_b64 s[0:1], s[0:1], exec
	s_and_b64 s[36:37], s[36:37], exec
	v_mov_b32_e32 v35, 0
	s_or_b64 s[0:1], s[0:1], s[36:37]
	s_or_b64 exec, exec, s[34:35]
	s_and_saveexec_b64 s[34:35], s[0:1]
	s_cbranch_execnz .LBB275_60
	s_branch .LBB275_61
.LBB275_223:                            ;   in Loop: Header=BB275_9 Depth=1
	v_cmp_eq_u16_e64 s[0:1], s43, v2
	s_mov_b64 s[34:35], -1
                                        ; implicit-def: $sgpr45
	s_and_saveexec_b64 s[38:39], s[0:1]
; %bb.224:                              ;   in Loop: Header=BB275_9 Depth=1
	s_mov_b32 s45, 0x7fc02000
	s_xor_b64 s[34:35], exec, -1
; %bb.225:                              ;   in Loop: Header=BB275_9 Depth=1
	s_or_b64 exec, exec, s[38:39]
	s_and_b64 s[34:35], s[34:35], exec
	s_or_saveexec_b64 s[36:37], s[36:37]
	v_mov_b32_e32 v36, s45
	s_xor_b64 exec, exec, s[36:37]
	s_cbranch_execz .LBB275_63
.LBB275_226:                            ;   in Loop: Header=BB275_9 Depth=1
	v_cmp_ne_u16_e64 s[0:1], 0, v2
	s_andn2_b64 s[34:35], s[34:35], exec
	s_and_b64 s[0:1], s[0:1], exec
	v_mov_b32_e32 v36, 0
	s_or_b64 s[34:35], s[34:35], s[0:1]
	s_or_b64 exec, exec, s[36:37]
	s_and_saveexec_b64 s[36:37], s[34:35]
	s_cbranch_execnz .LBB275_64
	s_branch .LBB275_65
.LBB275_227:                            ;   in Loop: Header=BB275_9 Depth=1
	v_cmp_eq_u16_sdwa s[46:47], v2, s43 src0_sel:BYTE_0 src1_sel:DWORD
	s_mov_b64 s[0:1], -1
                                        ; implicit-def: $sgpr38
	s_and_saveexec_b64 s[36:37], s[46:47]
; %bb.228:                              ;   in Loop: Header=BB275_9 Depth=1
	s_mov_b32 s38, 0x7fc02000
	s_xor_b64 s[0:1], exec, -1
; %bb.229:                              ;   in Loop: Header=BB275_9 Depth=1
	s_or_b64 exec, exec, s[36:37]
	s_and_b64 s[0:1], s[0:1], exec
	s_or_saveexec_b64 s[34:35], s[34:35]
	v_mov_b32_e32 v37, s38
	s_xor_b64 exec, exec, s[34:35]
	s_cbranch_execz .LBB275_67
.LBB275_230:                            ;   in Loop: Header=BB275_9 Depth=1
	v_cmp_ne_u16_sdwa s[36:37], v2, v3 src0_sel:BYTE_0 src1_sel:DWORD
	s_andn2_b64 s[0:1], s[0:1], exec
	s_and_b64 s[36:37], s[36:37], exec
	v_mov_b32_e32 v37, 0
	s_or_b64 s[0:1], s[0:1], s[36:37]
	s_or_b64 exec, exec, s[34:35]
	s_and_saveexec_b64 s[34:35], s[0:1]
	s_cbranch_execnz .LBB275_68
	s_branch .LBB275_69
.LBB275_231:                            ;   in Loop: Header=BB275_9 Depth=1
	v_cmp_eq_u16_e64 s[0:1], s43, v2
	s_mov_b64 s[34:35], -1
                                        ; implicit-def: $sgpr45
	s_and_saveexec_b64 s[38:39], s[0:1]
; %bb.232:                              ;   in Loop: Header=BB275_9 Depth=1
	s_mov_b32 s45, 0x7fc02000
	s_xor_b64 s[34:35], exec, -1
; %bb.233:                              ;   in Loop: Header=BB275_9 Depth=1
	s_or_b64 exec, exec, s[38:39]
	s_and_b64 s[34:35], s[34:35], exec
	s_or_saveexec_b64 s[36:37], s[36:37]
	v_mov_b32_e32 v38, s45
	s_xor_b64 exec, exec, s[36:37]
	s_cbranch_execz .LBB275_71
.LBB275_234:                            ;   in Loop: Header=BB275_9 Depth=1
	v_cmp_ne_u16_e64 s[0:1], 0, v2
	s_andn2_b64 s[34:35], s[34:35], exec
	s_and_b64 s[0:1], s[0:1], exec
	v_mov_b32_e32 v38, 0
	s_or_b64 s[34:35], s[34:35], s[0:1]
	s_or_b64 exec, exec, s[36:37]
	s_and_saveexec_b64 s[36:37], s[34:35]
	s_cbranch_execnz .LBB275_72
	s_branch .LBB275_73
.LBB275_235:                            ;   in Loop: Header=BB275_9 Depth=1
	v_cmp_eq_u16_sdwa s[46:47], v12, s43 src0_sel:BYTE_0 src1_sel:DWORD
	s_mov_b64 s[0:1], -1
                                        ; implicit-def: $sgpr38
	s_and_saveexec_b64 s[36:37], s[46:47]
; %bb.236:                              ;   in Loop: Header=BB275_9 Depth=1
	s_mov_b32 s38, 0x7fc02000
	s_xor_b64 s[0:1], exec, -1
; %bb.237:                              ;   in Loop: Header=BB275_9 Depth=1
	s_or_b64 exec, exec, s[36:37]
	s_and_b64 s[0:1], s[0:1], exec
	s_or_saveexec_b64 s[34:35], s[34:35]
	v_mov_b32_e32 v39, s38
	s_xor_b64 exec, exec, s[34:35]
	s_cbranch_execz .LBB275_75
.LBB275_238:                            ;   in Loop: Header=BB275_9 Depth=1
	v_cmp_ne_u16_sdwa s[36:37], v12, v3 src0_sel:BYTE_0 src1_sel:DWORD
	s_andn2_b64 s[0:1], s[0:1], exec
	s_and_b64 s[36:37], s[36:37], exec
	v_mov_b32_e32 v39, 0
	s_or_b64 s[0:1], s[0:1], s[36:37]
	s_or_b64 exec, exec, s[34:35]
	s_and_saveexec_b64 s[34:35], s[0:1]
	s_cbranch_execnz .LBB275_76
	s_branch .LBB275_77
.LBB275_239:                            ;   in Loop: Header=BB275_9 Depth=1
	v_cmp_eq_u16_e64 s[0:1], s43, v2
	s_mov_b64 s[34:35], -1
                                        ; implicit-def: $sgpr45
	s_and_saveexec_b64 s[38:39], s[0:1]
; %bb.240:                              ;   in Loop: Header=BB275_9 Depth=1
	s_mov_b32 s45, 0x7fc02000
	s_xor_b64 s[34:35], exec, -1
; %bb.241:                              ;   in Loop: Header=BB275_9 Depth=1
	s_or_b64 exec, exec, s[38:39]
	s_and_b64 s[34:35], s[34:35], exec
	s_or_saveexec_b64 s[36:37], s[36:37]
	v_mov_b32_e32 v40, s45
	s_xor_b64 exec, exec, s[36:37]
	s_cbranch_execz .LBB275_79
.LBB275_242:                            ;   in Loop: Header=BB275_9 Depth=1
	v_cmp_ne_u16_e64 s[0:1], 0, v2
	s_andn2_b64 s[34:35], s[34:35], exec
	s_and_b64 s[0:1], s[0:1], exec
	v_mov_b32_e32 v40, 0
	s_or_b64 s[34:35], s[34:35], s[0:1]
	s_or_b64 exec, exec, s[36:37]
	s_and_saveexec_b64 s[36:37], s[34:35]
	s_cbranch_execnz .LBB275_80
	s_branch .LBB275_81
.LBB275_243:                            ;   in Loop: Header=BB275_9 Depth=1
	v_cmp_eq_u16_sdwa s[46:47], v2, s43 src0_sel:BYTE_0 src1_sel:DWORD
	s_mov_b64 s[0:1], -1
                                        ; implicit-def: $sgpr38
	s_and_saveexec_b64 s[36:37], s[46:47]
; %bb.244:                              ;   in Loop: Header=BB275_9 Depth=1
	s_mov_b32 s38, 0x7fc02000
	s_xor_b64 s[0:1], exec, -1
; %bb.245:                              ;   in Loop: Header=BB275_9 Depth=1
	s_or_b64 exec, exec, s[36:37]
	s_and_b64 s[0:1], s[0:1], exec
	s_or_saveexec_b64 s[34:35], s[34:35]
	v_mov_b32_e32 v41, s38
	s_xor_b64 exec, exec, s[34:35]
	s_cbranch_execz .LBB275_83
.LBB275_246:                            ;   in Loop: Header=BB275_9 Depth=1
	v_cmp_ne_u16_sdwa s[36:37], v2, v3 src0_sel:BYTE_0 src1_sel:DWORD
	s_andn2_b64 s[0:1], s[0:1], exec
	s_and_b64 s[36:37], s[36:37], exec
	v_mov_b32_e32 v41, 0
	s_or_b64 s[0:1], s[0:1], s[36:37]
	s_or_b64 exec, exec, s[34:35]
	s_and_saveexec_b64 s[34:35], s[0:1]
	s_cbranch_execnz .LBB275_84
	s_branch .LBB275_85
.LBB275_247:                            ;   in Loop: Header=BB275_9 Depth=1
	v_cmp_eq_u16_e64 s[0:1], s43, v2
	s_mov_b64 s[34:35], -1
                                        ; implicit-def: $sgpr45
	s_and_saveexec_b64 s[38:39], s[0:1]
; %bb.248:                              ;   in Loop: Header=BB275_9 Depth=1
	s_mov_b32 s45, 0x7fc02000
	s_xor_b64 s[34:35], exec, -1
; %bb.249:                              ;   in Loop: Header=BB275_9 Depth=1
	s_or_b64 exec, exec, s[38:39]
	s_and_b64 s[34:35], s[34:35], exec
	s_or_saveexec_b64 s[36:37], s[36:37]
	v_mov_b32_e32 v42, s45
	s_xor_b64 exec, exec, s[36:37]
	s_cbranch_execz .LBB275_87
.LBB275_250:                            ;   in Loop: Header=BB275_9 Depth=1
	v_cmp_ne_u16_e64 s[0:1], 0, v2
	s_andn2_b64 s[34:35], s[34:35], exec
	s_and_b64 s[0:1], s[0:1], exec
	v_mov_b32_e32 v42, 0
	s_or_b64 s[34:35], s[34:35], s[0:1]
	s_or_b64 exec, exec, s[36:37]
	s_and_saveexec_b64 s[36:37], s[34:35]
	s_cbranch_execnz .LBB275_88
	s_branch .LBB275_89
.LBB275_251:                            ;   in Loop: Header=BB275_9 Depth=1
	v_cmp_eq_u16_sdwa s[46:47], v12, s43 src0_sel:BYTE_0 src1_sel:DWORD
	s_mov_b64 s[0:1], -1
                                        ; implicit-def: $sgpr38
	s_and_saveexec_b64 s[36:37], s[46:47]
; %bb.252:                              ;   in Loop: Header=BB275_9 Depth=1
	s_mov_b32 s38, 0x7fc02000
	s_xor_b64 s[0:1], exec, -1
; %bb.253:                              ;   in Loop: Header=BB275_9 Depth=1
	s_or_b64 exec, exec, s[36:37]
	s_and_b64 s[0:1], s[0:1], exec
	s_or_saveexec_b64 s[34:35], s[34:35]
	v_mov_b32_e32 v43, s38
	s_xor_b64 exec, exec, s[34:35]
	s_cbranch_execz .LBB275_91
.LBB275_254:                            ;   in Loop: Header=BB275_9 Depth=1
	v_cmp_ne_u16_sdwa s[36:37], v12, v3 src0_sel:BYTE_0 src1_sel:DWORD
	s_andn2_b64 s[0:1], s[0:1], exec
	s_and_b64 s[36:37], s[36:37], exec
	v_mov_b32_e32 v43, 0
	s_or_b64 s[0:1], s[0:1], s[36:37]
	s_or_b64 exec, exec, s[34:35]
	s_and_saveexec_b64 s[34:35], s[0:1]
	s_cbranch_execnz .LBB275_92
	s_branch .LBB275_93
.LBB275_255:                            ;   in Loop: Header=BB275_9 Depth=1
	v_cmp_eq_u16_e64 s[0:1], s43, v2
	s_mov_b64 s[34:35], -1
                                        ; implicit-def: $sgpr45
	s_and_saveexec_b64 s[38:39], s[0:1]
; %bb.256:                              ;   in Loop: Header=BB275_9 Depth=1
	s_mov_b32 s45, 0x7fc02000
	s_xor_b64 s[34:35], exec, -1
; %bb.257:                              ;   in Loop: Header=BB275_9 Depth=1
	s_or_b64 exec, exec, s[38:39]
	s_and_b64 s[34:35], s[34:35], exec
	s_or_saveexec_b64 s[36:37], s[36:37]
	v_mov_b32_e32 v44, s45
	s_xor_b64 exec, exec, s[36:37]
	s_cbranch_execz .LBB275_95
.LBB275_258:                            ;   in Loop: Header=BB275_9 Depth=1
	v_cmp_ne_u16_e64 s[0:1], 0, v2
	s_andn2_b64 s[34:35], s[34:35], exec
	s_and_b64 s[0:1], s[0:1], exec
	v_mov_b32_e32 v44, 0
	s_or_b64 s[34:35], s[34:35], s[0:1]
	s_or_b64 exec, exec, s[36:37]
	s_and_saveexec_b64 s[36:37], s[34:35]
	s_cbranch_execnz .LBB275_96
	s_branch .LBB275_97
.LBB275_259:                            ;   in Loop: Header=BB275_9 Depth=1
	v_cmp_eq_u16_sdwa s[46:47], v2, s43 src0_sel:BYTE_0 src1_sel:DWORD
	s_mov_b64 s[0:1], -1
                                        ; implicit-def: $sgpr38
	s_and_saveexec_b64 s[36:37], s[46:47]
; %bb.260:                              ;   in Loop: Header=BB275_9 Depth=1
	s_mov_b32 s38, 0x7fc02000
	s_xor_b64 s[0:1], exec, -1
; %bb.261:                              ;   in Loop: Header=BB275_9 Depth=1
	s_or_b64 exec, exec, s[36:37]
	s_and_b64 s[0:1], s[0:1], exec
	s_or_saveexec_b64 s[34:35], s[34:35]
	v_mov_b32_e32 v45, s38
	s_xor_b64 exec, exec, s[34:35]
	s_cbranch_execz .LBB275_99
.LBB275_262:                            ;   in Loop: Header=BB275_9 Depth=1
	v_cmp_ne_u16_sdwa s[36:37], v2, v3 src0_sel:BYTE_0 src1_sel:DWORD
	s_andn2_b64 s[0:1], s[0:1], exec
	s_and_b64 s[36:37], s[36:37], exec
	v_mov_b32_e32 v45, 0
	s_or_b64 s[0:1], s[0:1], s[36:37]
	s_or_b64 exec, exec, s[34:35]
	s_and_saveexec_b64 s[34:35], s[0:1]
	s_cbranch_execnz .LBB275_100
	s_branch .LBB275_101
.LBB275_263:                            ;   in Loop: Header=BB275_9 Depth=1
	v_cmp_eq_u16_e64 s[0:1], s43, v2
	s_mov_b64 s[34:35], -1
                                        ; implicit-def: $sgpr45
	s_and_saveexec_b64 s[38:39], s[0:1]
; %bb.264:                              ;   in Loop: Header=BB275_9 Depth=1
	s_mov_b32 s45, 0x7fc02000
	s_xor_b64 s[34:35], exec, -1
; %bb.265:                              ;   in Loop: Header=BB275_9 Depth=1
	s_or_b64 exec, exec, s[38:39]
	s_and_b64 s[34:35], s[34:35], exec
	s_or_saveexec_b64 s[36:37], s[36:37]
	v_mov_b32_e32 v46, s45
	s_xor_b64 exec, exec, s[36:37]
	s_cbranch_execz .LBB275_103
.LBB275_266:                            ;   in Loop: Header=BB275_9 Depth=1
	v_cmp_ne_u16_e64 s[0:1], 0, v2
	s_andn2_b64 s[34:35], s[34:35], exec
	s_and_b64 s[0:1], s[0:1], exec
	v_mov_b32_e32 v46, 0
	s_or_b64 s[34:35], s[34:35], s[0:1]
	s_or_b64 exec, exec, s[36:37]
	s_and_saveexec_b64 s[36:37], s[34:35]
	s_cbranch_execnz .LBB275_104
	s_branch .LBB275_105
.LBB275_267:                            ;   in Loop: Header=BB275_9 Depth=1
	v_cmp_eq_u16_sdwa s[46:47], v12, s43 src0_sel:BYTE_0 src1_sel:DWORD
	s_mov_b64 s[0:1], -1
                                        ; implicit-def: $sgpr38
	s_and_saveexec_b64 s[36:37], s[46:47]
; %bb.268:                              ;   in Loop: Header=BB275_9 Depth=1
	s_mov_b32 s38, 0x7fc02000
	s_xor_b64 s[0:1], exec, -1
; %bb.269:                              ;   in Loop: Header=BB275_9 Depth=1
	s_or_b64 exec, exec, s[36:37]
	s_and_b64 s[0:1], s[0:1], exec
	s_or_saveexec_b64 s[34:35], s[34:35]
	v_mov_b32_e32 v47, s38
	s_xor_b64 exec, exec, s[34:35]
	s_cbranch_execz .LBB275_107
.LBB275_270:                            ;   in Loop: Header=BB275_9 Depth=1
	v_cmp_ne_u16_sdwa s[36:37], v12, v3 src0_sel:BYTE_0 src1_sel:DWORD
	s_andn2_b64 s[0:1], s[0:1], exec
	s_and_b64 s[36:37], s[36:37], exec
	v_mov_b32_e32 v47, 0
	s_or_b64 s[0:1], s[0:1], s[36:37]
	s_or_b64 exec, exec, s[34:35]
	s_and_saveexec_b64 s[34:35], s[0:1]
	s_cbranch_execnz .LBB275_108
	s_branch .LBB275_109
.LBB275_271:                            ;   in Loop: Header=BB275_9 Depth=1
	v_cmp_eq_u16_e64 s[0:1], s43, v2
	s_mov_b64 s[34:35], -1
                                        ; implicit-def: $sgpr45
	s_and_saveexec_b64 s[38:39], s[0:1]
; %bb.272:                              ;   in Loop: Header=BB275_9 Depth=1
	s_mov_b32 s45, 0x7fc02000
	s_xor_b64 s[34:35], exec, -1
; %bb.273:                              ;   in Loop: Header=BB275_9 Depth=1
	s_or_b64 exec, exec, s[38:39]
	s_and_b64 s[34:35], s[34:35], exec
	s_or_saveexec_b64 s[36:37], s[36:37]
	v_mov_b32_e32 v48, s45
	s_xor_b64 exec, exec, s[36:37]
	s_cbranch_execz .LBB275_111
.LBB275_274:                            ;   in Loop: Header=BB275_9 Depth=1
	v_cmp_ne_u16_e64 s[0:1], 0, v2
	s_andn2_b64 s[34:35], s[34:35], exec
	s_and_b64 s[0:1], s[0:1], exec
	v_mov_b32_e32 v48, 0
	s_or_b64 s[34:35], s[34:35], s[0:1]
	s_or_b64 exec, exec, s[36:37]
	s_and_saveexec_b64 s[36:37], s[34:35]
	s_cbranch_execnz .LBB275_112
	s_branch .LBB275_113
.LBB275_275:                            ;   in Loop: Header=BB275_9 Depth=1
	v_cmp_eq_u16_sdwa s[46:47], v2, s43 src0_sel:BYTE_0 src1_sel:DWORD
	s_mov_b64 s[0:1], -1
                                        ; implicit-def: $sgpr38
	s_and_saveexec_b64 s[36:37], s[46:47]
; %bb.276:                              ;   in Loop: Header=BB275_9 Depth=1
	s_mov_b32 s38, 0x7fc02000
	s_xor_b64 s[0:1], exec, -1
; %bb.277:                              ;   in Loop: Header=BB275_9 Depth=1
	s_or_b64 exec, exec, s[36:37]
	s_and_b64 s[0:1], s[0:1], exec
	s_or_saveexec_b64 s[34:35], s[34:35]
	v_mov_b32_e32 v49, s38
	s_xor_b64 exec, exec, s[34:35]
	s_cbranch_execz .LBB275_115
.LBB275_278:                            ;   in Loop: Header=BB275_9 Depth=1
	v_cmp_ne_u16_sdwa s[36:37], v2, v3 src0_sel:BYTE_0 src1_sel:DWORD
	s_andn2_b64 s[0:1], s[0:1], exec
	s_and_b64 s[36:37], s[36:37], exec
	v_mov_b32_e32 v49, 0
	s_or_b64 s[0:1], s[0:1], s[36:37]
	s_or_b64 exec, exec, s[34:35]
	s_and_saveexec_b64 s[34:35], s[0:1]
	s_cbranch_execnz .LBB275_116
	s_branch .LBB275_117
.LBB275_279:                            ;   in Loop: Header=BB275_9 Depth=1
	v_cmp_eq_u16_e64 s[0:1], s43, v2
	s_mov_b64 s[34:35], -1
                                        ; implicit-def: $sgpr45
	s_and_saveexec_b64 s[38:39], s[0:1]
; %bb.280:                              ;   in Loop: Header=BB275_9 Depth=1
	s_mov_b32 s45, 0x7fc02000
	s_xor_b64 s[34:35], exec, -1
; %bb.281:                              ;   in Loop: Header=BB275_9 Depth=1
	s_or_b64 exec, exec, s[38:39]
	s_and_b64 s[34:35], s[34:35], exec
	s_or_saveexec_b64 s[36:37], s[36:37]
	v_mov_b32_e32 v50, s45
	s_xor_b64 exec, exec, s[36:37]
	s_cbranch_execz .LBB275_119
.LBB275_282:                            ;   in Loop: Header=BB275_9 Depth=1
	v_cmp_ne_u16_e64 s[0:1], 0, v2
	s_andn2_b64 s[34:35], s[34:35], exec
	s_and_b64 s[0:1], s[0:1], exec
	v_mov_b32_e32 v50, 0
	s_or_b64 s[34:35], s[34:35], s[0:1]
	s_or_b64 exec, exec, s[36:37]
	s_and_saveexec_b64 s[36:37], s[34:35]
	s_cbranch_execnz .LBB275_120
	s_branch .LBB275_121
.LBB275_283:                            ;   in Loop: Header=BB275_9 Depth=1
	v_cmp_eq_u16_sdwa s[46:47], v12, s43 src0_sel:BYTE_0 src1_sel:DWORD
	s_mov_b64 s[0:1], -1
                                        ; implicit-def: $sgpr38
	s_and_saveexec_b64 s[36:37], s[46:47]
; %bb.284:                              ;   in Loop: Header=BB275_9 Depth=1
	s_mov_b32 s38, 0x7fc02000
	s_xor_b64 s[0:1], exec, -1
; %bb.285:                              ;   in Loop: Header=BB275_9 Depth=1
	s_or_b64 exec, exec, s[36:37]
	s_and_b64 s[0:1], s[0:1], exec
	s_or_saveexec_b64 s[34:35], s[34:35]
	v_mov_b32_e32 v51, s38
	s_xor_b64 exec, exec, s[34:35]
	s_cbranch_execz .LBB275_123
.LBB275_286:                            ;   in Loop: Header=BB275_9 Depth=1
	v_cmp_ne_u16_sdwa s[36:37], v12, v3 src0_sel:BYTE_0 src1_sel:DWORD
	s_andn2_b64 s[0:1], s[0:1], exec
	s_and_b64 s[36:37], s[36:37], exec
	v_mov_b32_e32 v51, 0
	s_or_b64 s[0:1], s[0:1], s[36:37]
	s_or_b64 exec, exec, s[34:35]
	s_and_saveexec_b64 s[34:35], s[0:1]
	s_cbranch_execnz .LBB275_124
	s_branch .LBB275_125
.LBB275_287:                            ;   in Loop: Header=BB275_9 Depth=1
	v_cmp_eq_u16_e64 s[0:1], s43, v2
	s_mov_b64 s[34:35], -1
                                        ; implicit-def: $sgpr45
	s_and_saveexec_b64 s[38:39], s[0:1]
; %bb.288:                              ;   in Loop: Header=BB275_9 Depth=1
	s_mov_b32 s45, 0x7fc02000
	s_xor_b64 s[34:35], exec, -1
; %bb.289:                              ;   in Loop: Header=BB275_9 Depth=1
	s_or_b64 exec, exec, s[38:39]
	s_and_b64 s[34:35], s[34:35], exec
	s_or_saveexec_b64 s[36:37], s[36:37]
	v_mov_b32_e32 v52, s45
	s_xor_b64 exec, exec, s[36:37]
	s_cbranch_execz .LBB275_127
.LBB275_290:                            ;   in Loop: Header=BB275_9 Depth=1
	v_cmp_ne_u16_e64 s[0:1], 0, v2
	s_andn2_b64 s[34:35], s[34:35], exec
	s_and_b64 s[0:1], s[0:1], exec
	v_mov_b32_e32 v52, 0
	s_or_b64 s[34:35], s[34:35], s[0:1]
	s_or_b64 exec, exec, s[36:37]
	s_and_saveexec_b64 s[36:37], s[34:35]
	s_cbranch_execnz .LBB275_128
	s_branch .LBB275_129
.LBB275_291:                            ;   in Loop: Header=BB275_9 Depth=1
	v_cmp_eq_u16_sdwa s[46:47], v2, s43 src0_sel:BYTE_0 src1_sel:DWORD
	s_mov_b64 s[0:1], -1
                                        ; implicit-def: $sgpr38
	s_and_saveexec_b64 s[36:37], s[46:47]
; %bb.292:                              ;   in Loop: Header=BB275_9 Depth=1
	s_mov_b32 s38, 0x7fc02000
	s_xor_b64 s[0:1], exec, -1
; %bb.293:                              ;   in Loop: Header=BB275_9 Depth=1
	s_or_b64 exec, exec, s[36:37]
	s_and_b64 s[0:1], s[0:1], exec
	s_or_saveexec_b64 s[34:35], s[34:35]
	v_mov_b32_e32 v53, s38
	s_xor_b64 exec, exec, s[34:35]
	s_cbranch_execz .LBB275_131
.LBB275_294:                            ;   in Loop: Header=BB275_9 Depth=1
	v_cmp_ne_u16_sdwa s[36:37], v2, v3 src0_sel:BYTE_0 src1_sel:DWORD
	s_andn2_b64 s[0:1], s[0:1], exec
	s_and_b64 s[36:37], s[36:37], exec
	v_mov_b32_e32 v53, 0
	s_or_b64 s[0:1], s[0:1], s[36:37]
	s_or_b64 exec, exec, s[34:35]
	s_and_saveexec_b64 s[34:35], s[0:1]
	s_cbranch_execnz .LBB275_132
	s_branch .LBB275_133
.LBB275_295:                            ;   in Loop: Header=BB275_9 Depth=1
	v_cmp_eq_u16_e64 s[0:1], s43, v2
	s_mov_b64 s[34:35], -1
                                        ; implicit-def: $sgpr45
	s_and_saveexec_b64 s[38:39], s[0:1]
; %bb.296:                              ;   in Loop: Header=BB275_9 Depth=1
	s_mov_b32 s45, 0x7fc02000
	s_xor_b64 s[34:35], exec, -1
; %bb.297:                              ;   in Loop: Header=BB275_9 Depth=1
	s_or_b64 exec, exec, s[38:39]
	s_and_b64 s[34:35], s[34:35], exec
	s_or_saveexec_b64 s[36:37], s[36:37]
	v_mov_b32_e32 v54, s45
	s_xor_b64 exec, exec, s[36:37]
	s_cbranch_execz .LBB275_135
.LBB275_298:                            ;   in Loop: Header=BB275_9 Depth=1
	v_cmp_ne_u16_e64 s[0:1], 0, v2
	s_andn2_b64 s[34:35], s[34:35], exec
	s_and_b64 s[0:1], s[0:1], exec
	v_mov_b32_e32 v54, 0
	s_or_b64 s[34:35], s[34:35], s[0:1]
	s_or_b64 exec, exec, s[36:37]
	s_and_saveexec_b64 s[36:37], s[34:35]
	s_cbranch_execnz .LBB275_136
	s_branch .LBB275_137
.LBB275_299:                            ;   in Loop: Header=BB275_9 Depth=1
	v_cmp_eq_u16_sdwa s[46:47], v12, s43 src0_sel:BYTE_0 src1_sel:DWORD
	s_mov_b64 s[0:1], -1
                                        ; implicit-def: $sgpr38
	s_and_saveexec_b64 s[36:37], s[46:47]
; %bb.300:                              ;   in Loop: Header=BB275_9 Depth=1
	s_mov_b32 s38, 0x7fc02000
	s_xor_b64 s[0:1], exec, -1
; %bb.301:                              ;   in Loop: Header=BB275_9 Depth=1
	s_or_b64 exec, exec, s[36:37]
	s_and_b64 s[0:1], s[0:1], exec
	s_or_saveexec_b64 s[34:35], s[34:35]
	v_mov_b32_e32 v55, s38
	s_xor_b64 exec, exec, s[34:35]
	s_cbranch_execz .LBB275_139
.LBB275_302:                            ;   in Loop: Header=BB275_9 Depth=1
	v_cmp_ne_u16_sdwa s[36:37], v12, v3 src0_sel:BYTE_0 src1_sel:DWORD
	s_andn2_b64 s[0:1], s[0:1], exec
	s_and_b64 s[36:37], s[36:37], exec
	v_mov_b32_e32 v55, 0
	s_or_b64 s[0:1], s[0:1], s[36:37]
	s_or_b64 exec, exec, s[34:35]
	s_and_saveexec_b64 s[34:35], s[0:1]
	s_cbranch_execnz .LBB275_140
	s_branch .LBB275_141
.LBB275_303:                            ;   in Loop: Header=BB275_9 Depth=1
	v_cmp_eq_u16_e64 s[0:1], s43, v2
	s_mov_b64 s[34:35], -1
                                        ; implicit-def: $sgpr45
	s_and_saveexec_b64 s[38:39], s[0:1]
; %bb.304:                              ;   in Loop: Header=BB275_9 Depth=1
	s_mov_b32 s45, 0x7fc02000
	s_xor_b64 s[34:35], exec, -1
; %bb.305:                              ;   in Loop: Header=BB275_9 Depth=1
	s_or_b64 exec, exec, s[38:39]
	s_and_b64 s[34:35], s[34:35], exec
	s_or_saveexec_b64 s[36:37], s[36:37]
	v_mov_b32_e32 v56, s45
	s_xor_b64 exec, exec, s[36:37]
	s_cbranch_execz .LBB275_143
.LBB275_306:                            ;   in Loop: Header=BB275_9 Depth=1
	v_cmp_ne_u16_e64 s[0:1], 0, v2
	s_andn2_b64 s[34:35], s[34:35], exec
	s_and_b64 s[0:1], s[0:1], exec
	v_mov_b32_e32 v56, 0
	s_or_b64 s[34:35], s[34:35], s[0:1]
	s_or_b64 exec, exec, s[36:37]
	s_and_saveexec_b64 s[36:37], s[34:35]
	s_cbranch_execnz .LBB275_144
	s_branch .LBB275_145
.LBB275_307:                            ;   in Loop: Header=BB275_9 Depth=1
	v_cmp_eq_u16_sdwa s[46:47], v2, s43 src0_sel:BYTE_0 src1_sel:DWORD
	s_mov_b64 s[0:1], -1
                                        ; implicit-def: $sgpr38
	s_and_saveexec_b64 s[36:37], s[46:47]
; %bb.308:                              ;   in Loop: Header=BB275_9 Depth=1
	s_mov_b32 s38, 0x7fc02000
	s_xor_b64 s[0:1], exec, -1
; %bb.309:                              ;   in Loop: Header=BB275_9 Depth=1
	s_or_b64 exec, exec, s[36:37]
	s_and_b64 s[0:1], s[0:1], exec
	s_or_saveexec_b64 s[34:35], s[34:35]
	v_mov_b32_e32 v57, s38
	s_xor_b64 exec, exec, s[34:35]
	s_cbranch_execz .LBB275_147
.LBB275_310:                            ;   in Loop: Header=BB275_9 Depth=1
	v_cmp_ne_u16_sdwa s[36:37], v2, v3 src0_sel:BYTE_0 src1_sel:DWORD
	s_andn2_b64 s[0:1], s[0:1], exec
	s_and_b64 s[36:37], s[36:37], exec
	v_mov_b32_e32 v57, 0
	s_or_b64 s[0:1], s[0:1], s[36:37]
	s_or_b64 exec, exec, s[34:35]
	s_and_saveexec_b64 s[34:35], s[0:1]
	s_cbranch_execnz .LBB275_148
	s_branch .LBB275_149
.LBB275_311:                            ;   in Loop: Header=BB275_9 Depth=1
	v_cmp_eq_u16_e64 s[0:1], s43, v2
	s_mov_b64 s[34:35], -1
                                        ; implicit-def: $sgpr45
	s_and_saveexec_b64 s[38:39], s[0:1]
; %bb.312:                              ;   in Loop: Header=BB275_9 Depth=1
	s_mov_b32 s45, 0x7fc02000
	s_xor_b64 s[34:35], exec, -1
; %bb.313:                              ;   in Loop: Header=BB275_9 Depth=1
	s_or_b64 exec, exec, s[38:39]
	s_and_b64 s[34:35], s[34:35], exec
	s_or_saveexec_b64 s[36:37], s[36:37]
	v_mov_b32_e32 v58, s45
	s_xor_b64 exec, exec, s[36:37]
	s_cbranch_execz .LBB275_151
.LBB275_314:                            ;   in Loop: Header=BB275_9 Depth=1
	v_cmp_ne_u16_e64 s[0:1], 0, v2
	s_andn2_b64 s[34:35], s[34:35], exec
	s_and_b64 s[0:1], s[0:1], exec
	v_mov_b32_e32 v58, 0
	s_or_b64 s[34:35], s[34:35], s[0:1]
	s_or_b64 exec, exec, s[36:37]
	s_and_saveexec_b64 s[36:37], s[34:35]
	s_cbranch_execnz .LBB275_152
	s_branch .LBB275_153
.LBB275_315:                            ;   in Loop: Header=BB275_9 Depth=1
	v_cmp_eq_u16_sdwa s[46:47], v10, s43 src0_sel:BYTE_0 src1_sel:DWORD
	s_mov_b64 s[0:1], -1
                                        ; implicit-def: $sgpr38
	s_and_saveexec_b64 s[36:37], s[46:47]
; %bb.316:                              ;   in Loop: Header=BB275_9 Depth=1
	s_mov_b32 s38, 0x7fc02000
	s_xor_b64 s[0:1], exec, -1
; %bb.317:                              ;   in Loop: Header=BB275_9 Depth=1
	s_or_b64 exec, exec, s[36:37]
	s_and_b64 s[0:1], s[0:1], exec
	s_or_saveexec_b64 s[34:35], s[34:35]
	v_mov_b32_e32 v11, s38
	s_xor_b64 exec, exec, s[34:35]
	s_cbranch_execz .LBB275_155
.LBB275_318:                            ;   in Loop: Header=BB275_9 Depth=1
	v_cmp_ne_u16_sdwa s[36:37], v10, v3 src0_sel:BYTE_0 src1_sel:DWORD
	s_andn2_b64 s[0:1], s[0:1], exec
	s_and_b64 s[36:37], s[36:37], exec
	v_mov_b32_e32 v11, 0
	s_or_b64 s[0:1], s[0:1], s[36:37]
	s_or_b64 exec, exec, s[34:35]
	s_and_saveexec_b64 s[34:35], s[0:1]
	s_cbranch_execnz .LBB275_156
	s_branch .LBB275_157
.LBB275_319:                            ;   in Loop: Header=BB275_9 Depth=1
	v_cmp_eq_u16_e64 s[0:1], s43, v2
	s_mov_b64 s[34:35], -1
                                        ; implicit-def: $sgpr45
	s_and_saveexec_b64 s[38:39], s[0:1]
; %bb.320:                              ;   in Loop: Header=BB275_9 Depth=1
	s_mov_b32 s45, 0x7fc02000
	s_xor_b64 s[34:35], exec, -1
; %bb.321:                              ;   in Loop: Header=BB275_9 Depth=1
	s_or_b64 exec, exec, s[38:39]
	s_and_b64 s[34:35], s[34:35], exec
	s_or_saveexec_b64 s[36:37], s[36:37]
	v_mov_b32_e32 v59, s45
	s_xor_b64 exec, exec, s[36:37]
	s_cbranch_execz .LBB275_159
.LBB275_322:                            ;   in Loop: Header=BB275_9 Depth=1
	v_cmp_ne_u16_e64 s[0:1], 0, v2
	s_andn2_b64 s[34:35], s[34:35], exec
	s_and_b64 s[0:1], s[0:1], exec
	v_mov_b32_e32 v59, 0
	s_or_b64 s[34:35], s[34:35], s[0:1]
	s_or_b64 exec, exec, s[36:37]
	s_and_saveexec_b64 s[36:37], s[34:35]
	s_cbranch_execnz .LBB275_160
	s_branch .LBB275_161
.LBB275_323:                            ;   in Loop: Header=BB275_9 Depth=1
	v_cmp_eq_u16_sdwa s[46:47], v2, s43 src0_sel:BYTE_0 src1_sel:DWORD
	s_mov_b64 s[0:1], -1
                                        ; implicit-def: $sgpr38
	s_and_saveexec_b64 s[36:37], s[46:47]
; %bb.324:                              ;   in Loop: Header=BB275_9 Depth=1
	s_mov_b32 s38, 0x7fc02000
	s_xor_b64 s[0:1], exec, -1
; %bb.325:                              ;   in Loop: Header=BB275_9 Depth=1
	s_or_b64 exec, exec, s[36:37]
	s_and_b64 s[0:1], s[0:1], exec
	s_or_saveexec_b64 s[34:35], s[34:35]
	v_mov_b32_e32 v60, s38
	s_xor_b64 exec, exec, s[34:35]
	s_cbranch_execz .LBB275_163
.LBB275_326:                            ;   in Loop: Header=BB275_9 Depth=1
	v_cmp_ne_u16_sdwa s[36:37], v2, v3 src0_sel:BYTE_0 src1_sel:DWORD
	s_andn2_b64 s[0:1], s[0:1], exec
	s_and_b64 s[36:37], s[36:37], exec
	v_mov_b32_e32 v60, 0
	s_or_b64 s[0:1], s[0:1], s[36:37]
	s_or_b64 exec, exec, s[34:35]
	s_and_saveexec_b64 s[34:35], s[0:1]
	s_cbranch_execnz .LBB275_164
	s_branch .LBB275_165
.LBB275_327:                            ;   in Loop: Header=BB275_9 Depth=1
	v_cmp_eq_u16_e64 s[0:1], s43, v2
	s_mov_b64 s[34:35], -1
                                        ; implicit-def: $sgpr45
	s_and_saveexec_b64 s[38:39], s[0:1]
; %bb.328:                              ;   in Loop: Header=BB275_9 Depth=1
	s_mov_b32 s45, 0x7fc02000
	s_xor_b64 s[34:35], exec, -1
; %bb.329:                              ;   in Loop: Header=BB275_9 Depth=1
	s_or_b64 exec, exec, s[38:39]
	s_and_b64 s[34:35], s[34:35], exec
	s_or_saveexec_b64 s[36:37], s[36:37]
	v_mov_b32_e32 v61, s45
	s_xor_b64 exec, exec, s[36:37]
	s_cbranch_execz .LBB275_167
.LBB275_330:                            ;   in Loop: Header=BB275_9 Depth=1
	v_cmp_ne_u16_e64 s[0:1], 0, v2
	s_andn2_b64 s[34:35], s[34:35], exec
	s_and_b64 s[0:1], s[0:1], exec
	v_mov_b32_e32 v61, 0
	s_or_b64 s[34:35], s[34:35], s[0:1]
	s_or_b64 exec, exec, s[36:37]
	s_and_saveexec_b64 s[36:37], s[34:35]
	s_cbranch_execnz .LBB275_168
	s_branch .LBB275_169
.LBB275_331:
	s_or_b64 exec, exec, s[14:15]
.LBB275_332:
	s_or_b64 exec, exec, s[30:31]
	v_xor_b32_e32 v3, 32, v16
	v_cmp_lt_i32_e32 vcc, v3, v2
	v_xor_b32_e32 v6, 16, v16
	v_max_f32_e32 v5, v15, v15
	v_cndmask_b32_e32 v3, v16, v3, vcc
	v_lshlrev_b32_e32 v3, 2, v3
	ds_bpermute_b32 v4, v3, v15
	v_cmp_lt_i32_e32 vcc, v6, v2
	v_xor_b32_e32 v7, 8, v16
	v_xor_b32_e32 v8, 4, v16
	;; [unrolled: 1-line block ×3, first 2 shown]
	s_waitcnt lgkmcnt(0)
	v_max_f32_e32 v4, v4, v4
	v_max_f32_e32 v5, v5, v4
	v_cndmask_b32_e32 v4, v16, v6, vcc
	v_lshlrev_b32_e32 v4, 2, v4
	ds_bpermute_b32 v6, v4, v5
	v_cmp_lt_i32_e32 vcc, v7, v2
	v_and_b32_e32 v15, 63, v0
	s_waitcnt lgkmcnt(0)
	v_max_f32_e32 v6, v6, v6
	v_max_f32_e32 v6, v5, v6
	v_cndmask_b32_e32 v5, v16, v7, vcc
	v_lshlrev_b32_e32 v5, 2, v5
	ds_bpermute_b32 v7, v5, v6
	v_cmp_lt_i32_e32 vcc, v8, v2
	s_waitcnt lgkmcnt(0)
	v_max_f32_e32 v7, v7, v7
	v_max_f32_e32 v7, v6, v7
	v_cndmask_b32_e32 v6, v16, v8, vcc
	v_lshlrev_b32_e32 v6, 2, v6
	ds_bpermute_b32 v8, v6, v7
	v_cmp_lt_i32_e32 vcc, v9, v2
	s_waitcnt lgkmcnt(0)
	v_max_f32_e32 v8, v8, v8
	v_max_f32_e32 v8, v7, v8
	v_cndmask_b32_e32 v7, v16, v9, vcc
	v_lshlrev_b32_e32 v22, 2, v7
	ds_bpermute_b32 v9, v22, v8
	v_cmp_eq_u32_e32 vcc, 0, v15
	v_lshlrev_b32_e32 v7, 2, v1
	s_and_saveexec_b64 s[0:1], vcc
	s_cbranch_execz .LBB275_334
; %bb.333:
	s_waitcnt lgkmcnt(0)
	v_max_f32_e32 v9, v9, v9
	v_max_f32_e32 v8, v8, v8
	;; [unrolled: 1-line block ×3, first 2 shown]
	ds_write_b32 v7, v8 offset:160
.LBB275_334:
	s_or_b64 exec, exec, s[0:1]
	v_cmp_gt_u32_e64 s[0:1], 2, v15
	s_waitcnt lgkmcnt(0)
	v_mov_b32_e32 v9, 0xff7fffff
	v_lshlrev_b32_e32 v8, 2, v15
	s_barrier
	s_and_saveexec_b64 s[2:3], s[0:1]
	s_cbranch_execz .LBB275_336
; %bb.335:
	ds_read_b32 v9, v8 offset:160
.LBB275_336:
	s_or_b64 exec, exec, s[2:3]
	v_xor_b32_e32 v10, 1, v16
	v_cmp_lt_i32_e64 s[2:3], v10, v2
	s_nop 1
	v_cndmask_b32_e64 v2, v16, v10, s[2:3]
	v_lshlrev_b32_e32 v23, 2, v2
	s_waitcnt lgkmcnt(0)
	ds_bpermute_b32 v2, v23, v9
	v_max_f32_e32 v9, v9, v9
	v_lshlrev_b32_e32 v10, 2, v16
	s_lshl_b32 s2, s19, 5
	s_min_i32 s30, s2, s33
	s_waitcnt lgkmcnt(0)
	v_max_f32_e32 v2, v2, v2
	v_max_f32_e32 v9, v9, v2
	v_and_b32_e32 v2, 0xffffff00, v10
	ds_bpermute_b32 v10, v2, v9
	v_cmp_gt_i32_e64 s[2:3], s30, v0
	v_mov_b32_e32 v9, 0
	s_and_saveexec_b64 s[14:15], s[2:3]
	s_cbranch_execz .LBB275_340
; %bb.337:
	v_mov_b32_e32 v9, 0xb0
	v_lshl_add_u32 v11, v0, 2, v9
	s_mov_b64 s[28:29], 0
	v_mov_b32_e32 v9, 0
	v_mov_b32_e32 v12, v0
.LBB275_338:                            ; =>This Inner Loop Header: Depth=1
	ds_read_b32 v16, v11
	v_add_u32_e32 v12, 0x80, v12
	v_cmp_le_i32_e64 s[8:9], s30, v12
	s_or_b64 s[28:29], s[8:9], s[28:29]
	s_waitcnt lgkmcnt(0)
	v_sub_f32_e32 v16, v16, v10
	v_mul_f32_e32 v16, 0x3fb8aa3b, v16
	v_exp_f32_e32 v16, v16
	ds_write_b32 v11, v16
	v_add_f32_e32 v9, v9, v16
	v_add_u32_e32 v11, 0x200, v11
	s_andn2_b64 exec, exec, s[28:29]
	s_cbranch_execnz .LBB275_338
; %bb.339:
	s_or_b64 exec, exec, s[28:29]
.LBB275_340:
	s_or_b64 exec, exec, s[14:15]
	ds_bpermute_b32 v3, v3, v9
	s_waitcnt lgkmcnt(0)
	v_add_f32_e32 v3, v9, v3
	ds_bpermute_b32 v4, v4, v3
	s_waitcnt lgkmcnt(0)
	v_add_f32_e32 v3, v3, v4
	;; [unrolled: 3-line block ×6, first 2 shown]
	s_and_saveexec_b64 s[8:9], vcc
	s_cbranch_execz .LBB275_342
; %bb.341:
	ds_write_b32 v7, v3 offset:168
.LBB275_342:
	s_or_b64 exec, exec, s[8:9]
	s_waitcnt lgkmcnt(0)
	s_barrier
	s_and_saveexec_b64 s[8:9], s[0:1]
	s_cbranch_execz .LBB275_344
; %bb.343:
	ds_read_b32 v3, v8 offset:168
.LBB275_344:
	s_or_b64 exec, exec, s[8:9]
	s_waitcnt lgkmcnt(0)
	ds_bpermute_b32 v4, v23, v3
	s_waitcnt lgkmcnt(0)
	v_add_f32_e32 v3, v3, v4
	ds_bpermute_b32 v2, v2, v3
	s_and_saveexec_b64 s[0:1], s[2:3]
	s_cbranch_execz .LBB275_357
; %bb.345:
	s_waitcnt lgkmcnt(0)
	v_add_f32_e32 v2, 0x358637bd, v2
	v_div_scale_f32 v3, s[2:3], v2, v2, 1.0
	v_rcp_f32_e32 v4, v3
	v_div_scale_f32 v5, vcc, 1.0, v2, 1.0
	s_movk_i32 s2, 0x7f
	v_fma_f32 v6, -v3, v4, 1.0
	v_fmac_f32_e32 v4, v6, v4
	v_mul_f32_e32 v6, v5, v4
	v_fma_f32 v7, -v3, v6, v5
	v_fmac_f32_e32 v6, v7, v4
	v_fma_f32 v3, -v3, v6, v5
	v_div_fmas_f32 v3, v3, v4, v6
	v_xad_u32 v4, v0, -1, s30
	v_div_fixup_f32 v2, v3, v2, 1.0
	v_cmp_lt_u32_e32 vcc, s2, v4
	s_mov_b64 s[8:9], -1
	v_mov_b32_e32 v3, v0
	s_and_saveexec_b64 s[2:3], vcc
	s_cbranch_execz .LBB275_354
; %bb.346:
	v_lshrrev_b32_e32 v4, 7, v4
	v_add_u32_e32 v6, -1, v4
	v_lshrrev_b32_e32 v5, 1, v6
	v_mov_b32_e32 v3, v2
	v_add_u32_e32 v5, 1, v5
	v_cmp_lt_u32_e32 vcc, 13, v6
	v_mov_b32_e32 v8, 0
	s_and_saveexec_b64 s[8:9], vcc
	s_cbranch_execz .LBB275_350
; %bb.347:
	v_mov_b32_e32 v7, 0xb0
	v_and_b32_e32 v6, -8, v5
	v_lshl_add_u32 v7, v0, 2, v7
	s_mov_b32 s28, 0
	s_mov_b64 s[14:15], 0
.LBB275_348:                            ; =>This Inner Loop Header: Depth=1
	ds_read2st64_b32 v[8:9], v7 offset1:2
	ds_read2st64_b32 v[10:11], v7 offset0:4 offset1:6
	ds_read2st64_b32 v[16:17], v7 offset0:8 offset1:10
	;; [unrolled: 1-line block ×3, first 2 shown]
	v_add_u32_e32 v6, -8, v6
	s_waitcnt lgkmcnt(3)
	v_pk_mul_f32 v[8:9], v[2:3], v[8:9]
	s_waitcnt lgkmcnt(2)
	v_pk_mul_f32 v[10:11], v[2:3], v[10:11]
	ds_write2st64_b32 v7, v8, v9 offset1:2
	ds_write2st64_b32 v7, v10, v11 offset0:4 offset1:6
	ds_read2st64_b32 v[10:11], v7 offset0:16 offset1:18
	s_waitcnt lgkmcnt(4)
	v_pk_mul_f32 v[8:9], v[2:3], v[16:17]
	ds_write2st64_b32 v7, v8, v9 offset0:8 offset1:10
	s_waitcnt lgkmcnt(4)
	v_pk_mul_f32 v[8:9], v[2:3], v[18:19]
	ds_write2st64_b32 v7, v8, v9 offset0:12 offset1:14
	ds_read2st64_b32 v[8:9], v7 offset0:20 offset1:22
	s_waitcnt lgkmcnt(3)
	v_pk_mul_f32 v[10:11], v[2:3], v[10:11]
	ds_read2st64_b32 v[16:17], v7 offset0:24 offset1:26
	ds_write2st64_b32 v7, v10, v11 offset0:16 offset1:18
	ds_read2st64_b32 v[10:11], v7 offset0:28 offset1:30
	s_waitcnt lgkmcnt(3)
	v_pk_mul_f32 v[8:9], v[2:3], v[8:9]
	ds_write2st64_b32 v7, v8, v9 offset0:20 offset1:22
	s_waitcnt lgkmcnt(3)
	v_pk_mul_f32 v[8:9], v[2:3], v[16:17]
	ds_write2st64_b32 v7, v8, v9 offset0:24 offset1:26
	s_waitcnt lgkmcnt(2)
	v_pk_mul_f32 v[8:9], v[2:3], v[10:11]
	s_add_i32 s28, s28, 16
	v_cmp_eq_u32_e32 vcc, 0, v6
	ds_write2st64_b32 v7, v8, v9 offset0:28 offset1:30
	v_add_u32_e32 v7, 0x2000, v7
	s_or_b64 s[14:15], vcc, s[14:15]
	v_mov_b32_e32 v8, s28
	s_andn2_b64 exec, exec, s[14:15]
	s_cbranch_execnz .LBB275_348
; %bb.349:
	s_or_b64 exec, exec, s[14:15]
.LBB275_350:
	s_or_b64 exec, exec, s[8:9]
	v_and_b32_e32 v5, 7, v5
	v_cmp_ne_u32_e32 vcc, 0, v5
	s_and_saveexec_b64 s[8:9], vcc
	s_cbranch_execz .LBB275_353
; %bb.351:
	v_lshlrev_b32_e32 v6, 9, v8
	v_lshlrev_b32_e32 v7, 2, v0
	s_movk_i32 s14, 0xb0
	v_add3_u32 v6, v6, v7, s14
	s_mov_b64 s[14:15], 0
.LBB275_352:                            ; =>This Inner Loop Header: Depth=1
	ds_read2st64_b32 v[8:9], v6 offset1:2
	v_add_u32_e32 v5, -1, v5
	v_cmp_eq_u32_e32 vcc, 0, v5
	s_or_b64 s[14:15], vcc, s[14:15]
	s_waitcnt lgkmcnt(0)
	v_pk_mul_f32 v[8:9], v[2:3], v[8:9]
	ds_write2st64_b32 v6, v8, v9 offset1:2
	v_add_u32_e32 v6, 0x400, v6
	s_andn2_b64 exec, exec, s[14:15]
	s_cbranch_execnz .LBB275_352
.LBB275_353:
	s_or_b64 exec, exec, s[8:9]
	v_add_u32_e32 v4, 1, v4
	v_and_b32_e32 v5, 0x3fffffe, v4
	v_cmp_ne_u32_e32 vcc, v4, v5
	v_lshl_add_u32 v3, v5, 7, v0
	s_orn2_b64 s[8:9], vcc, exec
.LBB275_354:
	s_or_b64 exec, exec, s[2:3]
	s_and_b64 exec, exec, s[8:9]
	s_cbranch_execz .LBB275_357
; %bb.355:
	v_mov_b32_e32 v4, 0xb0
	v_lshl_add_u32 v4, v3, 2, v4
	s_mov_b64 s[2:3], 0
.LBB275_356:                            ; =>This Inner Loop Header: Depth=1
	ds_read_b32 v5, v4
	v_add_u32_e32 v3, 0x80, v3
	v_cmp_le_i32_e32 vcc, s30, v3
	s_or_b64 s[2:3], vcc, s[2:3]
	s_waitcnt lgkmcnt(0)
	v_mul_f32_e32 v5, v2, v5
	ds_write_b32 v4, v5
	v_add_u32_e32 v4, 0x200, v4
	s_andn2_b64 exec, exec, s[2:3]
	s_cbranch_execnz .LBB275_356
.LBB275_357:
	s_or_b64 exec, exec, s[0:1]
	v_mov_b32_e32 v25, 0
	v_and_b32_e32 v24, 3, v0
	v_mov_b32_e32 v3, 0
	s_waitcnt lgkmcnt(0)
	v_mov_b32_e32 v2, 0
	v_mov_b32_e32 v5, 0
	;; [unrolled: 1-line block ×3, first 2 shown]
	s_barrier
	s_and_saveexec_b64 s[2:3], s[6:7]
	s_cbranch_execz .LBB275_691
; %bb.358:
	s_ashr_i32 s1, s12, 31
	s_add_u32 s0, s26, s12
	s_addc_u32 s1, s27, s1
	v_and_b32_e32 v6, 0x1f8, v13
	v_mov_b32_e32 v7, 0
	v_and_b32_e32 v2, 24, v13
	s_add_i32 s26, s19, -1
	v_lshl_add_u64 v[8:9], s[0:1], 0, v[6:7]
	s_lshl_b64 s[0:1], s[24:25], 2
	v_lshl_or_b32 v26, v1, 5, v2
	v_lshlrev_b32_e32 v2, 5, v24
	s_add_u32 s0, s22, s0
	v_lshl_or_b32 v2, v1, 7, v2
	v_and_b32_e32 v6, 60, v14
	s_addc_u32 s1, s23, s1
	s_mov_b32 s28, s13
	s_mov_b32 s27, s33
	v_add_u32_e32 v27, 0xb0, v2
	v_lshl_add_u64 v[10:11], s[0:1], 0, v[6:7]
	s_mov_b64 s[6:7], 0
	s_movk_i32 s22, 0x7f
	s_movk_i32 s23, 0x80
	s_mov_b32 s24, 0x8000
	s_movk_i32 s25, 0x380
	s_mov_b32 s29, 0x3020706
	s_mov_b32 s30, 0x1000504
	;; [unrolled: 1-line block ×3, first 2 shown]
	v_mov_b32_e32 v28, 0x1c00
	v_mov_b32_e32 v4, 0
	;; [unrolled: 1-line block ×6, first 2 shown]
	s_branch .LBB275_360
.LBB275_359:                            ;   in Loop: Header=BB275_360 Depth=1
	s_or_b64 exec, exec, s[0:1]
	;;#ASMSTART
	v_pk_mul_f16 v12, v36, v12;

	;;#ASMEND
	;;#ASMSTART
	v_pk_mul_f16 v6, v37, v6;

	;;#ASMEND
	;; [unrolled: 4-line block ×4, first 2 shown]
	v_add_f32_e32 v16, v40, v41
	;;#ASMSTART
	v_pk_add_f16 v6, v12, v6;

	;;#ASMEND
	v_add_f32_e32 v4, v4, v16
	;;#ASMSTART
	v_pk_add_f16 v6, v6, v13;

	;;#ASMEND
	;; [unrolled: 5-line block ×3, first 2 shown]
	v_add_f32_e32 v5, v5, v16
	v_lshrrev_b32_e32 v12, 16, v6
	v_and_b32_e32 v6, 0xffff, v6
	v_add_f32_e32 v16, v44, v45
	;;#ASMSTART
	v_cvt_f32_f16 v6, v6;
	;;#ASMEND
	v_add_u32_e32 v1, 2, v1
	v_add_f32_e32 v2, v2, v16
	v_add_f32_e32 v16, v20, v21
	;;#ASMSTART
	v_cvt_f32_f16 v12, v12;
	;;#ASMEND
	v_cmp_le_i32_e32 vcc, s19, v1
	v_add_f32_e32 v6, v6, v12
	v_add_f32_e32 v3, v3, v16
	;; [unrolled: 1-line block ×3, first 2 shown]
	v_add_u32_e32 v26, 64, v26
	v_add_u32_e32 v27, 0x100, v27
	s_or_b64 s[6:7], vcc, s[6:7]
	v_lshl_add_u64 v[10:11], v[10:11], 0, 8
	s_andn2_b64 exec, exec, s[6:7]
	s_cbranch_execz .LBB275_690
.LBB275_360:                            ; =>This Inner Loop Header: Depth=1
	ds_read2_b64 v[16:19], v27 offset1:1
	ds_read2_b64 v[30:33], v27 offset0:2 offset1:3
                                        ; implicit-def: $sgpr14
	s_waitcnt lgkmcnt(1)
	;;#ASMSTART
	v_cvt_f16_f32 v36, v16;

	;;#ASMEND
	;;#ASMSTART
	v_cvt_f16_f32 v37, v17;

	;;#ASMEND
	;; [unrolled: 4-line block ×4, first 2 shown]
	s_waitcnt lgkmcnt(0)
	;;#ASMSTART
	v_cvt_f16_f32 v40, v30;

	;;#ASMEND
	;;#ASMSTART
	v_cvt_f16_f32 v41, v31;

	;;#ASMEND
	;; [unrolled: 4-line block ×4, first 2 shown]
	global_load_dword v6, v[10:11], off
	s_waitcnt vmcnt(0)
	v_mad_i64_i32 v[12:13], s[0:1], v6, s28, v[8:9]
	global_load_dwordx2 v[16:17], v[12:13], off
	global_load_dword v14, v7, s[10:11]
	s_mov_b64 s[0:1], 0
	s_waitcnt vmcnt(1)
	v_cmp_gt_i16_sdwa s[8:9], v16, s22 src0_sel:BYTE_0 src1_sel:DWORD
	s_and_saveexec_b64 s[12:13], s[8:9]
	s_xor_b64 s[8:9], exec, s[12:13]
	s_cbranch_execnz .LBB275_530
; %bb.361:                              ;   in Loop: Header=BB275_360 Depth=1
	s_or_saveexec_b64 s[8:9], s[8:9]
	v_mov_b32_e32 v18, s14
	s_xor_b64 exec, exec, s[8:9]
	s_cbranch_execnz .LBB275_533
.LBB275_362:                            ;   in Loop: Header=BB275_360 Depth=1
	s_or_b64 exec, exec, s[8:9]
	s_and_saveexec_b64 s[8:9], s[0:1]
	s_cbranch_execz .LBB275_364
.LBB275_363:                            ;   in Loop: Header=BB275_360 Depth=1
	v_and_b32_e32 v6, 7, v16
	v_ffbh_u32_e32 v6, v6
	v_bfe_u32 v18, v16, 3, 4
	v_min_u32_e32 v6, 32, v6
	v_subrev_u32_e32 v19, 28, v6
	v_sub_u32_e32 v6, 29, v6
	v_cmp_eq_u32_e32 vcc, 0, v18
	s_nop 1
	v_cndmask_b32_e32 v6, v18, v6, vcc
	v_cndmask_b32_e32 v18, 0, v19, vcc
	v_lshlrev_b64 v[18:19], v18, v[16:17]
	v_lshlrev_b32_e32 v19, 8, v16
	v_lshl_add_u32 v6, v6, 10, v28
	v_lshlrev_b32_e32 v18, 7, v18
	v_and_or_b32 v6, v19, s24, v6
	v_and_or_b32 v6, v18, s25, v6
	v_cvt_f32_f16_e32 v18, v6
.LBB275_364:                            ;   in Loop: Header=BB275_360 Depth=1
	s_or_b64 exec, exec, s[8:9]
	v_lshrrev_b16_e32 v6, 8, v16
	v_cmp_lt_i16_e32 vcc, s22, v6
	s_mov_b64 s[0:1], 0
                                        ; implicit-def: $sgpr14
	s_and_saveexec_b64 s[8:9], vcc
	s_xor_b64 s[8:9], exec, s[8:9]
	s_cbranch_execnz .LBB275_534
; %bb.365:                              ;   in Loop: Header=BB275_360 Depth=1
	s_or_saveexec_b64 s[8:9], s[8:9]
	v_mov_b32_e32 v20, s14
	s_xor_b64 exec, exec, s[8:9]
	s_cbranch_execnz .LBB275_537
.LBB275_366:                            ;   in Loop: Header=BB275_360 Depth=1
	s_or_b64 exec, exec, s[8:9]
	s_and_saveexec_b64 s[8:9], s[0:1]
	s_cbranch_execz .LBB275_368
.LBB275_367:                            ;   in Loop: Header=BB275_360 Depth=1
	v_and_b32_e32 v19, 7, v6
	v_ffbh_u32_e32 v20, v19
	v_min_u32_e32 v30, 32, v20
	v_subrev_u32_e32 v20, 28, v30
	v_bfe_u32 v29, v6, 3, 4
	v_lshlrev_b64 v[20:21], v20, v[6:7]
	v_sub_u32_e32 v21, 29, v30
	v_cmp_eq_u32_e32 vcc, 0, v29
	v_and_b32_e32 v20, 7, v20
	v_lshlrev_b32_e32 v6, 8, v6
	v_cndmask_b32_e32 v21, v29, v21, vcc
	v_cndmask_b32_e32 v19, v19, v20, vcc
	v_lshl_add_u32 v20, v21, 10, v28
	v_and_or_b32 v6, v6, s24, v20
	v_lshl_or_b32 v6, v19, 7, v6
	v_cvt_f32_f16_e32 v20, v6
.LBB275_368:                            ;   in Loop: Header=BB275_360 Depth=1
	s_or_b64 exec, exec, s[8:9]
	v_lshrrev_b32_e32 v6, 16, v16
	v_cmp_gt_i16_sdwa s[8:9], v6, s22 src0_sel:BYTE_0 src1_sel:DWORD
	s_mov_b64 s[0:1], 0
                                        ; implicit-def: $sgpr14
	s_and_saveexec_b64 s[12:13], s[8:9]
	s_xor_b64 s[8:9], exec, s[12:13]
	s_cbranch_execnz .LBB275_538
; %bb.369:                              ;   in Loop: Header=BB275_360 Depth=1
	s_or_saveexec_b64 s[8:9], s[8:9]
	v_mov_b32_e32 v19, s14
	s_xor_b64 exec, exec, s[8:9]
	s_cbranch_execnz .LBB275_541
.LBB275_370:                            ;   in Loop: Header=BB275_360 Depth=1
	s_or_b64 exec, exec, s[8:9]
	s_and_saveexec_b64 s[8:9], s[0:1]
	s_cbranch_execz .LBB275_372
.LBB275_371:                            ;   in Loop: Header=BB275_360 Depth=1
	v_bfe_u32 v19, v16, 16, 3
	v_ffbh_u32_e32 v29, v19
	v_bfe_u32 v21, v16, 19, 4
	v_min_u32_e32 v29, 32, v29
	v_subrev_u32_e32 v30, 28, v29
	v_sub_u32_e32 v29, 29, v29
	v_cmp_eq_u32_e32 vcc, 0, v21
	v_lshlrev_b64 v[30:31], v30, v[6:7]
	v_and_b32_e32 v30, 7, v30
	v_cndmask_b32_e32 v21, v21, v29, vcc
	v_lshlrev_b32_e32 v6, 8, v6
	v_lshl_add_u32 v21, v21, 10, v28
	v_cndmask_b32_e32 v19, v19, v30, vcc
	v_and_or_b32 v6, v6, s24, v21
	v_lshl_or_b32 v6, v19, 7, v6
	v_cvt_f32_f16_e32 v19, v6
.LBB275_372:                            ;   in Loop: Header=BB275_360 Depth=1
	s_or_b64 exec, exec, s[8:9]
	v_lshrrev_b32_e32 v6, 24, v16
	v_cmp_lt_i16_e32 vcc, s22, v6
	s_mov_b64 s[0:1], 0
                                        ; implicit-def: $sgpr14
	s_and_saveexec_b64 s[8:9], vcc
	s_xor_b64 s[8:9], exec, s[8:9]
	s_cbranch_execnz .LBB275_542
; %bb.373:                              ;   in Loop: Header=BB275_360 Depth=1
	s_or_saveexec_b64 s[8:9], s[8:9]
	v_mov_b32_e32 v21, s14
	s_xor_b64 exec, exec, s[8:9]
	s_cbranch_execnz .LBB275_545
.LBB275_374:                            ;   in Loop: Header=BB275_360 Depth=1
	s_or_b64 exec, exec, s[8:9]
	s_and_saveexec_b64 s[8:9], s[0:1]
	s_cbranch_execz .LBB275_376
.LBB275_375:                            ;   in Loop: Header=BB275_360 Depth=1
	v_bfe_u32 v21, v16, 24, 3
	v_ffbh_u32_e32 v29, v21
	v_bfe_u32 v16, v16, 27, 4
	v_min_u32_e32 v29, 32, v29
	v_subrev_u32_e32 v30, 28, v29
	v_sub_u32_e32 v29, 29, v29
	v_cmp_eq_u32_e32 vcc, 0, v16
	v_lshlrev_b64 v[30:31], v30, v[6:7]
	v_and_b32_e32 v30, 7, v30
	v_cndmask_b32_e32 v16, v16, v29, vcc
	v_lshlrev_b32_e32 v6, 8, v6
	v_lshl_add_u32 v16, v16, 10, v28
	v_cndmask_b32_e32 v21, v21, v30, vcc
	v_and_or_b32 v6, v6, s24, v16
	v_lshl_or_b32 v6, v21, 7, v6
	v_cvt_f32_f16_e32 v21, v6
.LBB275_376:                            ;   in Loop: Header=BB275_360 Depth=1
	s_or_b64 exec, exec, s[8:9]
	v_cmp_gt_i16_sdwa s[8:9], v17, s22 src0_sel:BYTE_0 src1_sel:DWORD
	s_mov_b64 s[0:1], 0
                                        ; implicit-def: $sgpr14
	s_and_saveexec_b64 s[12:13], s[8:9]
	s_xor_b64 s[8:9], exec, s[12:13]
	s_cbranch_execnz .LBB275_546
; %bb.377:                              ;   in Loop: Header=BB275_360 Depth=1
	s_or_saveexec_b64 s[8:9], s[8:9]
	v_mov_b32_e32 v16, s14
	s_xor_b64 exec, exec, s[8:9]
	s_cbranch_execnz .LBB275_549
.LBB275_378:                            ;   in Loop: Header=BB275_360 Depth=1
	s_or_b64 exec, exec, s[8:9]
	v_mov_b32_e32 v6, v17
	s_and_saveexec_b64 s[8:9], s[0:1]
	s_cbranch_execz .LBB275_380
.LBB275_379:                            ;   in Loop: Header=BB275_360 Depth=1
	v_and_b32_e32 v16, 7, v17
	v_ffbh_u32_e32 v16, v16
	v_bfe_u32 v29, v17, 3, 4
	v_min_u32_e32 v16, 32, v16
	v_subrev_u32_e32 v30, 28, v16
	v_sub_u32_e32 v16, 29, v16
	v_cmp_eq_u32_e32 vcc, 0, v29
	s_nop 1
	v_cndmask_b32_e32 v16, v29, v16, vcc
	v_cndmask_b32_e32 v29, 0, v30, vcc
	v_lshlrev_b64 v[30:31], v29, v[6:7]
	v_lshlrev_b32_e32 v29, 7, v30
	v_lshlrev_b32_e32 v30, 8, v17
	v_lshl_add_u32 v16, v16, 10, v28
	v_and_or_b32 v16, v30, s24, v16
	v_and_or_b32 v16, v29, s25, v16
	v_cvt_f32_f16_e32 v16, v16
.LBB275_380:                            ;   in Loop: Header=BB275_360 Depth=1
	s_or_b64 exec, exec, s[8:9]
	v_lshrrev_b16_e32 v6, 8, v6
	v_cmp_lt_i16_e32 vcc, s22, v6
	s_mov_b64 s[0:1], 0
                                        ; implicit-def: $sgpr14
	s_and_saveexec_b64 s[8:9], vcc
	s_xor_b64 s[8:9], exec, s[8:9]
	s_cbranch_execnz .LBB275_550
; %bb.381:                              ;   in Loop: Header=BB275_360 Depth=1
	s_or_saveexec_b64 s[8:9], s[8:9]
	v_mov_b32_e32 v29, s14
	s_xor_b64 exec, exec, s[8:9]
	s_cbranch_execnz .LBB275_553
.LBB275_382:                            ;   in Loop: Header=BB275_360 Depth=1
	s_or_b64 exec, exec, s[8:9]
	s_and_saveexec_b64 s[8:9], s[0:1]
	s_cbranch_execz .LBB275_384
.LBB275_383:                            ;   in Loop: Header=BB275_360 Depth=1
	v_and_b32_e32 v29, 7, v6
	v_ffbh_u32_e32 v30, v29
	v_min_u32_e32 v33, 32, v30
	v_subrev_u32_e32 v30, 28, v33
	v_bfe_u32 v32, v6, 3, 4
	v_lshlrev_b64 v[30:31], v30, v[6:7]
	v_sub_u32_e32 v31, 29, v33
	v_cmp_eq_u32_e32 vcc, 0, v32
	v_and_b32_e32 v30, 7, v30
	v_lshlrev_b32_e32 v6, 8, v6
	v_cndmask_b32_e32 v31, v32, v31, vcc
	v_cndmask_b32_e32 v29, v29, v30, vcc
	v_lshl_add_u32 v30, v31, 10, v28
	v_and_or_b32 v6, v6, s24, v30
	v_lshl_or_b32 v6, v29, 7, v6
	v_cvt_f32_f16_e32 v29, v6
.LBB275_384:                            ;   in Loop: Header=BB275_360 Depth=1
	s_or_b64 exec, exec, s[8:9]
	v_lshrrev_b32_e32 v6, 16, v17
	v_cmp_gt_i16_sdwa s[8:9], v6, s22 src0_sel:BYTE_0 src1_sel:DWORD
	s_mov_b64 s[0:1], 0
                                        ; implicit-def: $sgpr14
	s_and_saveexec_b64 s[12:13], s[8:9]
	s_xor_b64 s[8:9], exec, s[12:13]
	s_cbranch_execnz .LBB275_554
; %bb.385:                              ;   in Loop: Header=BB275_360 Depth=1
	s_or_saveexec_b64 s[8:9], s[8:9]
	v_mov_b32_e32 v30, s14
	s_xor_b64 exec, exec, s[8:9]
	s_cbranch_execnz .LBB275_557
.LBB275_386:                            ;   in Loop: Header=BB275_360 Depth=1
	s_or_b64 exec, exec, s[8:9]
	s_and_saveexec_b64 s[8:9], s[0:1]
	s_cbranch_execz .LBB275_388
.LBB275_387:                            ;   in Loop: Header=BB275_360 Depth=1
	v_bfe_u32 v32, v17, 16, 3
	v_ffbh_u32_e32 v30, v32
	v_min_u32_e32 v34, 32, v30
	v_subrev_u32_e32 v30, 28, v34
	v_bfe_u32 v33, v17, 19, 4
	v_lshlrev_b64 v[30:31], v30, v[6:7]
	v_sub_u32_e32 v31, 29, v34
	v_cmp_eq_u32_e32 vcc, 0, v33
	v_and_b32_e32 v30, 7, v30
	v_lshlrev_b32_e32 v6, 8, v6
	v_cndmask_b32_e32 v31, v33, v31, vcc
	v_lshl_add_u32 v31, v31, 10, v28
	v_cndmask_b32_e32 v30, v32, v30, vcc
	v_and_or_b32 v6, v6, s24, v31
	v_lshl_or_b32 v6, v30, 7, v6
	v_cvt_f32_f16_e32 v30, v6
.LBB275_388:                            ;   in Loop: Header=BB275_360 Depth=1
	s_or_b64 exec, exec, s[8:9]
	v_lshrrev_b32_e32 v6, 24, v17
	v_cmp_lt_i16_e32 vcc, s22, v6
	s_mov_b64 s[0:1], 0
                                        ; implicit-def: $sgpr14
	s_and_saveexec_b64 s[8:9], vcc
	s_xor_b64 s[8:9], exec, s[8:9]
	s_cbranch_execnz .LBB275_558
; %bb.389:                              ;   in Loop: Header=BB275_360 Depth=1
	s_or_saveexec_b64 s[8:9], s[8:9]
	v_mov_b32_e32 v31, s14
	s_xor_b64 exec, exec, s[8:9]
	s_cbranch_execnz .LBB275_561
.LBB275_390:                            ;   in Loop: Header=BB275_360 Depth=1
	s_or_b64 exec, exec, s[8:9]
	s_and_saveexec_b64 s[8:9], s[0:1]
	s_cbranch_execz .LBB275_392
.LBB275_391:                            ;   in Loop: Header=BB275_360 Depth=1
	v_bfe_u32 v31, v17, 24, 3
	v_ffbh_u32_e32 v32, v31
	v_min_u32_e32 v34, 32, v32
	v_subrev_u32_e32 v32, 28, v34
	v_bfe_u32 v17, v17, 27, 4
	v_lshlrev_b64 v[32:33], v32, v[6:7]
	v_sub_u32_e32 v33, 29, v34
	v_cmp_eq_u32_e32 vcc, 0, v17
	v_and_b32_e32 v32, 7, v32
	v_lshlrev_b32_e32 v6, 8, v6
	v_cndmask_b32_e32 v17, v17, v33, vcc
	v_lshl_add_u32 v17, v17, 10, v28
	v_cndmask_b32_e32 v31, v31, v32, vcc
	v_and_or_b32 v6, v6, s24, v17
	v_lshl_or_b32 v6, v31, 7, v6
	v_cvt_f32_f16_e32 v31, v6
.LBB275_392:                            ;   in Loop: Header=BB275_360 Depth=1
	s_or_b64 exec, exec, s[8:9]
	s_waitcnt vmcnt(0)
	v_pk_mul_f32 v[20:21], v[14:15], v[20:21] op_sel_hi:[0,1]
	v_pk_mul_f32 v[18:19], v[14:15], v[18:19] op_sel_hi:[0,1]
	v_cvt_f16_f32_e32 v6, v21
	v_cvt_f16_f32_e32 v17, v20
	;; [unrolled: 1-line block ×4, first 2 shown]
	v_fma_mixlo_f16 v16, v14, v16, 0
	v_pack_b32_f16 v17, v17, v6
	v_cmp_eq_u32_e32 vcc, s26, v1
	v_pack_b32_f16 v18, v18, v19
	v_perm_b32 v6, v18, v17, s29
	v_perm_b32 v17, v18, v17, s30
	v_fma_mixlo_f16 v18, v14, v29, 0
	v_lshlrev_b32_e32 v18, 16, v18
	v_or_b32_sdwa v16, v18, v16 dst_sel:DWORD dst_unused:UNUSED_PAD src0_sel:DWORD src1_sel:WORD_0
	v_fma_mixlo_f16 v18, v14, v30, 0
	v_fma_mixlo_f16 v14, v14, v31, 0
	v_lshlrev_b32_e32 v14, 16, v14
	v_or_b32_sdwa v14, v14, v18 dst_sel:DWORD dst_unused:UNUSED_PAD src0_sel:DWORD src1_sel:WORD_0
	v_add_u32_e32 v35, 1, v26
	v_or_b32_e32 v34, 3, v26
	v_or_b32_e32 v33, 2, v26
	;; [unrolled: 1-line block ×6, first 2 shown]
	s_and_saveexec_b64 s[8:9], vcc
	s_cbranch_execz .LBB275_394
; %bb.393:                              ;   in Loop: Header=BB275_360 Depth=1
	v_lshrrev_b32_e32 v19, 16, v17
	v_cmp_gt_i32_e64 s[0:1], s27, v35
	v_lshrrev_b32_e32 v14, 16, v14
	s_nop 0
	v_cndmask_b32_e64 v19, 0, v19, s[0:1]
	v_cmp_gt_i32_e64 s[0:1], s33, v26
	s_nop 1
	v_cndmask_b32_e64 v17, 0, v17, s[0:1]
	v_perm_b32 v17, v19, v17, s31
	v_lshrrev_b32_e32 v19, 16, v6
	v_cmp_gt_i32_e64 s[0:1], s27, v34
	s_nop 1
	v_cndmask_b32_e64 v19, 0, v19, s[0:1]
	v_cmp_gt_i32_e64 s[0:1], s33, v33
	s_nop 1
	v_cndmask_b32_e64 v6, 0, v6, s[0:1]
	v_perm_b32 v6, v19, v6, s31
	v_lshrrev_b32_e32 v19, 16, v16
	v_cmp_gt_i32_e64 s[0:1], s27, v32
	s_nop 1
	v_cndmask_b32_e64 v19, 0, v19, s[0:1]
	v_cmp_gt_i32_e64 s[0:1], s33, v31
	s_nop 1
	v_cndmask_b32_e64 v16, 0, v16, s[0:1]
	v_cmp_gt_i32_e64 s[0:1], s27, v30
	v_perm_b32 v16, v19, v16, s31
	s_nop 0
	v_cndmask_b32_e64 v14, 0, v14, s[0:1]
	v_cmp_gt_i32_e64 s[0:1], s33, v29
	s_nop 1
	v_cndmask_b32_e64 v18, 0, v18, s[0:1]
	v_perm_b32 v14, v14, v18, s31
.LBB275_394:                            ;   in Loop: Header=BB275_360 Depth=1
	s_or_b64 exec, exec, s[8:9]
	v_and_b32_e32 v18, 0xffff, v36
	v_lshl_or_b32 v36, v37, 16, v18
	v_and_b32_e32 v18, 0xffff, v38
	v_lshl_or_b32 v37, v39, 16, v18
	;; [unrolled: 2-line block ×3, first 2 shown]
	v_and_b32_e32 v18, 0xffff, v42
	;;#ASMSTART
	v_pk_mul_f16 v17, v36, v17;

	;;#ASMEND
	;;#ASMSTART
	v_pk_mul_f16 v6, v37, v6;

	;;#ASMEND
	v_lshl_or_b32 v39, v43, 16, v18
	;;#ASMSTART
	v_pk_mul_f16 v16, v38, v16;

	;;#ASMEND
	;;#ASMSTART
	v_pk_mul_f16 v14, v39, v14;

	;;#ASMEND
	;;#ASMSTART
	v_pk_add_f16 v6, v17, v6;

	;;#ASMEND
	s_mov_b64 s[0:1], 0
	;;#ASMSTART
	v_pk_add_f16 v6, v6, v16;

	;;#ASMEND
                                        ; implicit-def: $sgpr14
	s_nop 0
	;;#ASMSTART
	v_pk_add_f16 v6, v6, v14;

	;;#ASMEND
	s_nop 0
	v_lshrrev_b32_e32 v14, 16, v6
	v_and_b32_e32 v6, 0xffff, v6
	;;#ASMSTART
	v_cvt_f32_f16 v40, v6;
	;;#ASMEND
	;;#ASMSTART
	v_cvt_f32_f16 v41, v14;
	;;#ASMEND
	global_load_dwordx2 v[16:17], v[12:13], off offset:512
	global_load_dword v14, v7, s[10:11]
	s_waitcnt vmcnt(1)
	v_cmp_gt_i16_sdwa s[8:9], v16, s22 src0_sel:BYTE_0 src1_sel:DWORD
	s_and_saveexec_b64 s[12:13], s[8:9]
	s_xor_b64 s[8:9], exec, s[12:13]
	s_cbranch_execnz .LBB275_562
; %bb.395:                              ;   in Loop: Header=BB275_360 Depth=1
	s_or_saveexec_b64 s[8:9], s[8:9]
	v_mov_b32_e32 v18, s14
	s_xor_b64 exec, exec, s[8:9]
	s_cbranch_execnz .LBB275_565
.LBB275_396:                            ;   in Loop: Header=BB275_360 Depth=1
	s_or_b64 exec, exec, s[8:9]
	s_and_saveexec_b64 s[8:9], s[0:1]
	s_cbranch_execz .LBB275_398
.LBB275_397:                            ;   in Loop: Header=BB275_360 Depth=1
	v_and_b32_e32 v6, 7, v16
	v_ffbh_u32_e32 v6, v6
	v_bfe_u32 v18, v16, 3, 4
	v_min_u32_e32 v6, 32, v6
	v_subrev_u32_e32 v19, 28, v6
	v_sub_u32_e32 v6, 29, v6
	v_cmp_eq_u32_e64 s[0:1], 0, v18
	s_nop 1
	v_cndmask_b32_e64 v6, v18, v6, s[0:1]
	v_cndmask_b32_e64 v18, 0, v19, s[0:1]
	v_lshlrev_b64 v[18:19], v18, v[16:17]
	v_lshlrev_b32_e32 v19, 8, v16
	v_lshl_add_u32 v6, v6, 10, v28
	v_lshlrev_b32_e32 v18, 7, v18
	v_and_or_b32 v6, v19, s24, v6
	v_and_or_b32 v6, v18, s25, v6
	v_cvt_f32_f16_e32 v18, v6
.LBB275_398:                            ;   in Loop: Header=BB275_360 Depth=1
	s_or_b64 exec, exec, s[8:9]
	v_lshrrev_b16_e32 v6, 8, v16
	v_cmp_lt_i16_e64 s[0:1], s22, v6
	s_mov_b64 s[8:9], 0
                                        ; implicit-def: $sgpr34
	s_and_saveexec_b64 s[12:13], s[0:1]
	s_xor_b64 s[12:13], exec, s[12:13]
	s_cbranch_execnz .LBB275_566
; %bb.399:                              ;   in Loop: Header=BB275_360 Depth=1
	s_or_saveexec_b64 s[12:13], s[12:13]
	v_mov_b32_e32 v20, s34
	s_xor_b64 exec, exec, s[12:13]
	s_cbranch_execnz .LBB275_569
.LBB275_400:                            ;   in Loop: Header=BB275_360 Depth=1
	s_or_b64 exec, exec, s[12:13]
	s_and_saveexec_b64 s[12:13], s[8:9]
	s_cbranch_execz .LBB275_402
.LBB275_401:                            ;   in Loop: Header=BB275_360 Depth=1
	v_and_b32_e32 v19, 7, v6
	v_ffbh_u32_e32 v20, v19
	v_min_u32_e32 v43, 32, v20
	v_subrev_u32_e32 v20, 28, v43
	v_bfe_u32 v42, v6, 3, 4
	v_lshlrev_b64 v[20:21], v20, v[6:7]
	v_sub_u32_e32 v21, 29, v43
	v_cmp_eq_u32_e64 s[0:1], 0, v42
	v_and_b32_e32 v20, 7, v20
	v_lshlrev_b32_e32 v6, 8, v6
	v_cndmask_b32_e64 v21, v42, v21, s[0:1]
	v_cndmask_b32_e64 v19, v19, v20, s[0:1]
	v_lshl_add_u32 v20, v21, 10, v28
	v_and_or_b32 v6, v6, s24, v20
	v_lshl_or_b32 v6, v19, 7, v6
	v_cvt_f32_f16_e32 v20, v6
.LBB275_402:                            ;   in Loop: Header=BB275_360 Depth=1
	s_or_b64 exec, exec, s[12:13]
	v_lshrrev_b32_e32 v6, 16, v16
	v_cmp_gt_i16_sdwa s[8:9], v6, s22 src0_sel:BYTE_0 src1_sel:DWORD
	s_mov_b64 s[0:1], 0
                                        ; implicit-def: $sgpr14
	s_and_saveexec_b64 s[12:13], s[8:9]
	s_xor_b64 s[8:9], exec, s[12:13]
	s_cbranch_execnz .LBB275_570
; %bb.403:                              ;   in Loop: Header=BB275_360 Depth=1
	s_or_saveexec_b64 s[8:9], s[8:9]
	v_mov_b32_e32 v19, s14
	s_xor_b64 exec, exec, s[8:9]
	s_cbranch_execnz .LBB275_573
.LBB275_404:                            ;   in Loop: Header=BB275_360 Depth=1
	s_or_b64 exec, exec, s[8:9]
	s_and_saveexec_b64 s[8:9], s[0:1]
	s_cbranch_execz .LBB275_406
.LBB275_405:                            ;   in Loop: Header=BB275_360 Depth=1
	v_bfe_u32 v19, v16, 16, 3
	v_ffbh_u32_e32 v42, v19
	v_min_u32_e32 v44, 32, v42
	v_subrev_u32_e32 v42, 28, v44
	v_bfe_u32 v21, v16, 19, 4
	v_lshlrev_b64 v[42:43], v42, v[6:7]
	v_sub_u32_e32 v43, 29, v44
	v_cmp_eq_u32_e64 s[0:1], 0, v21
	v_and_b32_e32 v42, 7, v42
	v_lshlrev_b32_e32 v6, 8, v6
	v_cndmask_b32_e64 v21, v21, v43, s[0:1]
	v_lshl_add_u32 v21, v21, 10, v28
	v_cndmask_b32_e64 v19, v19, v42, s[0:1]
	v_and_or_b32 v6, v6, s24, v21
	v_lshl_or_b32 v6, v19, 7, v6
	v_cvt_f32_f16_e32 v19, v6
.LBB275_406:                            ;   in Loop: Header=BB275_360 Depth=1
	s_or_b64 exec, exec, s[8:9]
	v_lshrrev_b32_e32 v6, 24, v16
	v_cmp_lt_i16_e64 s[0:1], s22, v6
	s_mov_b64 s[8:9], 0
                                        ; implicit-def: $sgpr34
	s_and_saveexec_b64 s[12:13], s[0:1]
	s_xor_b64 s[12:13], exec, s[12:13]
	s_cbranch_execnz .LBB275_574
; %bb.407:                              ;   in Loop: Header=BB275_360 Depth=1
	s_or_saveexec_b64 s[12:13], s[12:13]
	v_mov_b32_e32 v21, s34
	s_xor_b64 exec, exec, s[12:13]
	s_cbranch_execnz .LBB275_577
.LBB275_408:                            ;   in Loop: Header=BB275_360 Depth=1
	s_or_b64 exec, exec, s[12:13]
	s_and_saveexec_b64 s[12:13], s[8:9]
	s_cbranch_execz .LBB275_410
.LBB275_409:                            ;   in Loop: Header=BB275_360 Depth=1
	v_bfe_u32 v21, v16, 24, 3
	v_ffbh_u32_e32 v42, v21
	v_min_u32_e32 v44, 32, v42
	v_subrev_u32_e32 v42, 28, v44
	v_bfe_u32 v16, v16, 27, 4
	v_lshlrev_b64 v[42:43], v42, v[6:7]
	v_sub_u32_e32 v43, 29, v44
	v_cmp_eq_u32_e64 s[0:1], 0, v16
	v_and_b32_e32 v42, 7, v42
	v_lshlrev_b32_e32 v6, 8, v6
	v_cndmask_b32_e64 v16, v16, v43, s[0:1]
	v_lshl_add_u32 v16, v16, 10, v28
	v_cndmask_b32_e64 v21, v21, v42, s[0:1]
	v_and_or_b32 v6, v6, s24, v16
	v_lshl_or_b32 v6, v21, 7, v6
	v_cvt_f32_f16_e32 v21, v6
.LBB275_410:                            ;   in Loop: Header=BB275_360 Depth=1
	s_or_b64 exec, exec, s[12:13]
	v_cmp_gt_i16_sdwa s[8:9], v17, s22 src0_sel:BYTE_0 src1_sel:DWORD
	s_mov_b64 s[0:1], 0
                                        ; implicit-def: $sgpr14
	s_and_saveexec_b64 s[12:13], s[8:9]
	s_xor_b64 s[8:9], exec, s[12:13]
	s_cbranch_execnz .LBB275_578
; %bb.411:                              ;   in Loop: Header=BB275_360 Depth=1
	s_or_saveexec_b64 s[8:9], s[8:9]
	v_mov_b32_e32 v16, s14
	s_xor_b64 exec, exec, s[8:9]
	s_cbranch_execnz .LBB275_581
.LBB275_412:                            ;   in Loop: Header=BB275_360 Depth=1
	s_or_b64 exec, exec, s[8:9]
	v_mov_b32_e32 v6, v17
	s_and_saveexec_b64 s[8:9], s[0:1]
	s_cbranch_execz .LBB275_414
.LBB275_413:                            ;   in Loop: Header=BB275_360 Depth=1
	v_and_b32_e32 v16, 7, v17
	v_ffbh_u32_e32 v16, v16
	v_bfe_u32 v42, v17, 3, 4
	v_min_u32_e32 v16, 32, v16
	v_subrev_u32_e32 v43, 28, v16
	v_sub_u32_e32 v16, 29, v16
	v_cmp_eq_u32_e64 s[0:1], 0, v42
	s_nop 1
	v_cndmask_b32_e64 v16, v42, v16, s[0:1]
	v_cndmask_b32_e64 v42, 0, v43, s[0:1]
	v_lshlrev_b64 v[42:43], v42, v[6:7]
	v_lshlrev_b32_e32 v43, 8, v17
	v_lshl_add_u32 v16, v16, 10, v28
	v_lshlrev_b32_e32 v42, 7, v42
	v_and_or_b32 v16, v43, s24, v16
	v_and_or_b32 v16, v42, s25, v16
	v_cvt_f32_f16_e32 v16, v16
.LBB275_414:                            ;   in Loop: Header=BB275_360 Depth=1
	s_or_b64 exec, exec, s[8:9]
	v_lshrrev_b16_e32 v6, 8, v6
	v_cmp_lt_i16_e64 s[0:1], s22, v6
	s_mov_b64 s[8:9], 0
                                        ; implicit-def: $sgpr34
	s_and_saveexec_b64 s[12:13], s[0:1]
	s_xor_b64 s[12:13], exec, s[12:13]
	s_cbranch_execnz .LBB275_582
; %bb.415:                              ;   in Loop: Header=BB275_360 Depth=1
	s_or_saveexec_b64 s[12:13], s[12:13]
	v_mov_b32_e32 v42, s34
	s_xor_b64 exec, exec, s[12:13]
	s_cbranch_execnz .LBB275_585
.LBB275_416:                            ;   in Loop: Header=BB275_360 Depth=1
	s_or_b64 exec, exec, s[12:13]
	s_and_saveexec_b64 s[12:13], s[8:9]
	s_cbranch_execz .LBB275_418
.LBB275_417:                            ;   in Loop: Header=BB275_360 Depth=1
	v_and_b32_e32 v44, 7, v6
	v_ffbh_u32_e32 v42, v44
	v_min_u32_e32 v46, 32, v42
	v_subrev_u32_e32 v42, 28, v46
	v_bfe_u32 v45, v6, 3, 4
	v_lshlrev_b64 v[42:43], v42, v[6:7]
	v_sub_u32_e32 v43, 29, v46
	v_cmp_eq_u32_e64 s[0:1], 0, v45
	v_and_b32_e32 v42, 7, v42
	v_lshlrev_b32_e32 v6, 8, v6
	v_cndmask_b32_e64 v43, v45, v43, s[0:1]
	v_lshl_add_u32 v43, v43, 10, v28
	v_cndmask_b32_e64 v42, v44, v42, s[0:1]
	v_and_or_b32 v6, v6, s24, v43
	v_lshl_or_b32 v6, v42, 7, v6
	v_cvt_f32_f16_e32 v42, v6
.LBB275_418:                            ;   in Loop: Header=BB275_360 Depth=1
	s_or_b64 exec, exec, s[12:13]
	v_lshrrev_b32_e32 v6, 16, v17
	v_cmp_gt_i16_sdwa s[8:9], v6, s22 src0_sel:BYTE_0 src1_sel:DWORD
	s_mov_b64 s[0:1], 0
                                        ; implicit-def: $sgpr14
	s_and_saveexec_b64 s[12:13], s[8:9]
	s_xor_b64 s[8:9], exec, s[12:13]
	s_cbranch_execnz .LBB275_586
; %bb.419:                              ;   in Loop: Header=BB275_360 Depth=1
	s_or_saveexec_b64 s[8:9], s[8:9]
	v_mov_b32_e32 v43, s14
	s_xor_b64 exec, exec, s[8:9]
	s_cbranch_execnz .LBB275_589
.LBB275_420:                            ;   in Loop: Header=BB275_360 Depth=1
	s_or_b64 exec, exec, s[8:9]
	s_and_saveexec_b64 s[8:9], s[0:1]
	s_cbranch_execz .LBB275_422
.LBB275_421:                            ;   in Loop: Header=BB275_360 Depth=1
	v_bfe_u32 v43, v17, 16, 3
	v_ffbh_u32_e32 v44, v43
	v_min_u32_e32 v47, 32, v44
	v_subrev_u32_e32 v44, 28, v47
	v_bfe_u32 v46, v17, 19, 4
	v_lshlrev_b64 v[44:45], v44, v[6:7]
	v_sub_u32_e32 v45, 29, v47
	v_cmp_eq_u32_e64 s[0:1], 0, v46
	v_and_b32_e32 v44, 7, v44
	v_lshlrev_b32_e32 v6, 8, v6
	v_cndmask_b32_e64 v45, v46, v45, s[0:1]
	v_cndmask_b32_e64 v43, v43, v44, s[0:1]
	v_lshl_add_u32 v44, v45, 10, v28
	v_and_or_b32 v6, v6, s24, v44
	v_lshl_or_b32 v6, v43, 7, v6
	v_cvt_f32_f16_e32 v43, v6
.LBB275_422:                            ;   in Loop: Header=BB275_360 Depth=1
	s_or_b64 exec, exec, s[8:9]
	v_lshrrev_b32_e32 v6, 24, v17
	v_cmp_lt_i16_e64 s[0:1], s22, v6
	s_mov_b64 s[8:9], 0
                                        ; implicit-def: $sgpr34
	s_and_saveexec_b64 s[12:13], s[0:1]
	s_xor_b64 s[12:13], exec, s[12:13]
	s_cbranch_execnz .LBB275_590
; %bb.423:                              ;   in Loop: Header=BB275_360 Depth=1
	s_or_saveexec_b64 s[12:13], s[12:13]
	v_mov_b32_e32 v44, s34
	s_xor_b64 exec, exec, s[12:13]
	s_cbranch_execnz .LBB275_593
.LBB275_424:                            ;   in Loop: Header=BB275_360 Depth=1
	s_or_b64 exec, exec, s[12:13]
	s_and_saveexec_b64 s[12:13], s[8:9]
	s_cbranch_execz .LBB275_426
.LBB275_425:                            ;   in Loop: Header=BB275_360 Depth=1
	v_bfe_u32 v46, v17, 24, 3
	v_ffbh_u32_e32 v44, v46
	v_min_u32_e32 v47, 32, v44
	v_subrev_u32_e32 v44, 28, v47
	v_bfe_u32 v17, v17, 27, 4
	v_lshlrev_b64 v[44:45], v44, v[6:7]
	v_sub_u32_e32 v45, 29, v47
	v_cmp_eq_u32_e64 s[0:1], 0, v17
	v_and_b32_e32 v44, 7, v44
	v_lshlrev_b32_e32 v6, 8, v6
	v_cndmask_b32_e64 v17, v17, v45, s[0:1]
	v_lshl_add_u32 v17, v17, 10, v28
	v_cndmask_b32_e64 v44, v46, v44, s[0:1]
	v_and_or_b32 v6, v6, s24, v17
	v_lshl_or_b32 v6, v44, 7, v6
	v_cvt_f32_f16_e32 v44, v6
.LBB275_426:                            ;   in Loop: Header=BB275_360 Depth=1
	s_or_b64 exec, exec, s[12:13]
	s_waitcnt vmcnt(0)
	v_pk_mul_f32 v[20:21], v[14:15], v[20:21] op_sel_hi:[0,1]
	v_pk_mul_f32 v[18:19], v[14:15], v[18:19] op_sel_hi:[0,1]
	v_cvt_f16_f32_e32 v6, v21
	v_cvt_f16_f32_e32 v17, v20
	;; [unrolled: 1-line block ×4, first 2 shown]
	v_fma_mixlo_f16 v16, v14, v16, 0
	v_pack_b32_f16 v17, v17, v6
	v_pack_b32_f16 v18, v18, v19
	v_perm_b32 v6, v18, v17, s29
	v_perm_b32 v17, v18, v17, s30
	v_fma_mixlo_f16 v18, v14, v42, 0
	v_lshlrev_b32_e32 v18, 16, v18
	v_or_b32_sdwa v16, v18, v16 dst_sel:DWORD dst_unused:UNUSED_PAD src0_sel:DWORD src1_sel:WORD_0
	v_fma_mixlo_f16 v18, v14, v43, 0
	v_fma_mixlo_f16 v14, v14, v44, 0
	v_lshlrev_b32_e32 v14, 16, v14
	v_or_b32_sdwa v14, v14, v18 dst_sel:DWORD dst_unused:UNUSED_PAD src0_sel:DWORD src1_sel:WORD_0
	s_and_saveexec_b64 s[8:9], vcc
	s_cbranch_execz .LBB275_428
; %bb.427:                              ;   in Loop: Header=BB275_360 Depth=1
	v_lshrrev_b32_e32 v19, 16, v17
	v_cmp_gt_i32_e64 s[0:1], s27, v35
	v_lshrrev_b32_e32 v14, 16, v14
	s_nop 0
	v_cndmask_b32_e64 v19, 0, v19, s[0:1]
	v_cmp_gt_i32_e64 s[0:1], s33, v26
	s_nop 1
	v_cndmask_b32_e64 v17, 0, v17, s[0:1]
	v_perm_b32 v17, v19, v17, s31
	v_lshrrev_b32_e32 v19, 16, v6
	v_cmp_gt_i32_e64 s[0:1], s27, v34
	s_nop 1
	v_cndmask_b32_e64 v19, 0, v19, s[0:1]
	v_cmp_gt_i32_e64 s[0:1], s33, v33
	s_nop 1
	v_cndmask_b32_e64 v6, 0, v6, s[0:1]
	v_perm_b32 v6, v19, v6, s31
	v_lshrrev_b32_e32 v19, 16, v16
	v_cmp_gt_i32_e64 s[0:1], s27, v32
	s_nop 1
	v_cndmask_b32_e64 v19, 0, v19, s[0:1]
	v_cmp_gt_i32_e64 s[0:1], s33, v31
	s_nop 1
	v_cndmask_b32_e64 v16, 0, v16, s[0:1]
	v_cmp_gt_i32_e64 s[0:1], s27, v30
	v_perm_b32 v16, v19, v16, s31
	s_nop 0
	v_cndmask_b32_e64 v14, 0, v14, s[0:1]
	v_cmp_gt_i32_e64 s[0:1], s33, v29
	s_nop 1
	v_cndmask_b32_e64 v18, 0, v18, s[0:1]
	v_perm_b32 v14, v14, v18, s31
.LBB275_428:                            ;   in Loop: Header=BB275_360 Depth=1
	s_or_b64 exec, exec, s[8:9]
	;;#ASMSTART
	v_pk_mul_f16 v17, v36, v17;

	;;#ASMEND
	;;#ASMSTART
	v_pk_mul_f16 v6, v37, v6;

	;;#ASMEND
	;; [unrolled: 4-line block ×4, first 2 shown]
	s_mov_b64 s[0:1], 0
	;;#ASMSTART
	v_pk_add_f16 v6, v17, v6;

	;;#ASMEND
                                        ; implicit-def: $sgpr14
	s_nop 0
	;;#ASMSTART
	v_pk_add_f16 v6, v6, v16;

	;;#ASMEND
	s_nop 0
	;;#ASMSTART
	v_pk_add_f16 v6, v6, v14;

	;;#ASMEND
	s_nop 0
	v_lshrrev_b32_e32 v14, 16, v6
	v_and_b32_e32 v6, 0xffff, v6
	;;#ASMSTART
	v_cvt_f32_f16 v42, v6;
	;;#ASMEND
	;;#ASMSTART
	v_cvt_f32_f16 v43, v14;
	;;#ASMEND
	global_load_dwordx2 v[16:17], v[12:13], off offset:1024
	global_load_dword v14, v7, s[10:11]
	s_waitcnt vmcnt(1)
	v_cmp_gt_i16_sdwa s[8:9], v16, s22 src0_sel:BYTE_0 src1_sel:DWORD
	s_and_saveexec_b64 s[12:13], s[8:9]
	s_xor_b64 s[8:9], exec, s[12:13]
	s_cbranch_execnz .LBB275_594
; %bb.429:                              ;   in Loop: Header=BB275_360 Depth=1
	s_or_saveexec_b64 s[8:9], s[8:9]
	v_mov_b32_e32 v18, s14
	s_xor_b64 exec, exec, s[8:9]
	s_cbranch_execnz .LBB275_597
.LBB275_430:                            ;   in Loop: Header=BB275_360 Depth=1
	s_or_b64 exec, exec, s[8:9]
	s_and_saveexec_b64 s[8:9], s[0:1]
	s_cbranch_execz .LBB275_432
.LBB275_431:                            ;   in Loop: Header=BB275_360 Depth=1
	v_and_b32_e32 v6, 7, v16
	v_ffbh_u32_e32 v6, v6
	v_bfe_u32 v18, v16, 3, 4
	v_min_u32_e32 v6, 32, v6
	v_subrev_u32_e32 v19, 28, v6
	v_sub_u32_e32 v6, 29, v6
	v_cmp_eq_u32_e64 s[0:1], 0, v18
	s_nop 1
	v_cndmask_b32_e64 v6, v18, v6, s[0:1]
	v_cndmask_b32_e64 v18, 0, v19, s[0:1]
	v_lshlrev_b64 v[18:19], v18, v[16:17]
	v_lshlrev_b32_e32 v19, 8, v16
	v_lshl_add_u32 v6, v6, 10, v28
	v_lshlrev_b32_e32 v18, 7, v18
	v_and_or_b32 v6, v19, s24, v6
	v_and_or_b32 v6, v18, s25, v6
	v_cvt_f32_f16_e32 v18, v6
.LBB275_432:                            ;   in Loop: Header=BB275_360 Depth=1
	s_or_b64 exec, exec, s[8:9]
	v_lshrrev_b16_e32 v6, 8, v16
	v_cmp_lt_i16_e64 s[0:1], s22, v6
	s_mov_b64 s[8:9], 0
                                        ; implicit-def: $sgpr34
	s_and_saveexec_b64 s[12:13], s[0:1]
	s_xor_b64 s[12:13], exec, s[12:13]
	s_cbranch_execnz .LBB275_598
; %bb.433:                              ;   in Loop: Header=BB275_360 Depth=1
	s_or_saveexec_b64 s[12:13], s[12:13]
	v_mov_b32_e32 v20, s34
	s_xor_b64 exec, exec, s[12:13]
	s_cbranch_execnz .LBB275_601
.LBB275_434:                            ;   in Loop: Header=BB275_360 Depth=1
	s_or_b64 exec, exec, s[12:13]
	s_and_saveexec_b64 s[12:13], s[8:9]
	s_cbranch_execz .LBB275_436
.LBB275_435:                            ;   in Loop: Header=BB275_360 Depth=1
	v_and_b32_e32 v19, 7, v6
	v_ffbh_u32_e32 v20, v19
	v_min_u32_e32 v45, 32, v20
	v_subrev_u32_e32 v20, 28, v45
	v_bfe_u32 v44, v6, 3, 4
	v_lshlrev_b64 v[20:21], v20, v[6:7]
	v_sub_u32_e32 v21, 29, v45
	v_cmp_eq_u32_e64 s[0:1], 0, v44
	v_and_b32_e32 v20, 7, v20
	v_lshlrev_b32_e32 v6, 8, v6
	v_cndmask_b32_e64 v21, v44, v21, s[0:1]
	v_cndmask_b32_e64 v19, v19, v20, s[0:1]
	v_lshl_add_u32 v20, v21, 10, v28
	v_and_or_b32 v6, v6, s24, v20
	v_lshl_or_b32 v6, v19, 7, v6
	v_cvt_f32_f16_e32 v20, v6
.LBB275_436:                            ;   in Loop: Header=BB275_360 Depth=1
	s_or_b64 exec, exec, s[12:13]
	v_lshrrev_b32_e32 v6, 16, v16
	v_cmp_gt_i16_sdwa s[8:9], v6, s22 src0_sel:BYTE_0 src1_sel:DWORD
	s_mov_b64 s[0:1], 0
                                        ; implicit-def: $sgpr14
	s_and_saveexec_b64 s[12:13], s[8:9]
	s_xor_b64 s[8:9], exec, s[12:13]
	s_cbranch_execnz .LBB275_602
; %bb.437:                              ;   in Loop: Header=BB275_360 Depth=1
	s_or_saveexec_b64 s[8:9], s[8:9]
	v_mov_b32_e32 v19, s14
	s_xor_b64 exec, exec, s[8:9]
	s_cbranch_execnz .LBB275_605
.LBB275_438:                            ;   in Loop: Header=BB275_360 Depth=1
	s_or_b64 exec, exec, s[8:9]
	s_and_saveexec_b64 s[8:9], s[0:1]
	s_cbranch_execz .LBB275_440
.LBB275_439:                            ;   in Loop: Header=BB275_360 Depth=1
	v_bfe_u32 v19, v16, 16, 3
	v_ffbh_u32_e32 v44, v19
	v_min_u32_e32 v46, 32, v44
	v_subrev_u32_e32 v44, 28, v46
	v_bfe_u32 v21, v16, 19, 4
	v_lshlrev_b64 v[44:45], v44, v[6:7]
	v_sub_u32_e32 v45, 29, v46
	v_cmp_eq_u32_e64 s[0:1], 0, v21
	v_and_b32_e32 v44, 7, v44
	v_lshlrev_b32_e32 v6, 8, v6
	v_cndmask_b32_e64 v21, v21, v45, s[0:1]
	v_lshl_add_u32 v21, v21, 10, v28
	v_cndmask_b32_e64 v19, v19, v44, s[0:1]
	v_and_or_b32 v6, v6, s24, v21
	v_lshl_or_b32 v6, v19, 7, v6
	v_cvt_f32_f16_e32 v19, v6
.LBB275_440:                            ;   in Loop: Header=BB275_360 Depth=1
	s_or_b64 exec, exec, s[8:9]
	v_lshrrev_b32_e32 v6, 24, v16
	v_cmp_lt_i16_e64 s[0:1], s22, v6
	s_mov_b64 s[8:9], 0
                                        ; implicit-def: $sgpr34
	s_and_saveexec_b64 s[12:13], s[0:1]
	s_xor_b64 s[12:13], exec, s[12:13]
	s_cbranch_execnz .LBB275_606
; %bb.441:                              ;   in Loop: Header=BB275_360 Depth=1
	s_or_saveexec_b64 s[12:13], s[12:13]
	v_mov_b32_e32 v21, s34
	s_xor_b64 exec, exec, s[12:13]
	s_cbranch_execnz .LBB275_609
.LBB275_442:                            ;   in Loop: Header=BB275_360 Depth=1
	s_or_b64 exec, exec, s[12:13]
	s_and_saveexec_b64 s[12:13], s[8:9]
	s_cbranch_execz .LBB275_444
.LBB275_443:                            ;   in Loop: Header=BB275_360 Depth=1
	v_bfe_u32 v21, v16, 24, 3
	v_ffbh_u32_e32 v44, v21
	v_min_u32_e32 v46, 32, v44
	v_subrev_u32_e32 v44, 28, v46
	v_bfe_u32 v16, v16, 27, 4
	v_lshlrev_b64 v[44:45], v44, v[6:7]
	v_sub_u32_e32 v45, 29, v46
	v_cmp_eq_u32_e64 s[0:1], 0, v16
	v_and_b32_e32 v44, 7, v44
	v_lshlrev_b32_e32 v6, 8, v6
	v_cndmask_b32_e64 v16, v16, v45, s[0:1]
	v_lshl_add_u32 v16, v16, 10, v28
	v_cndmask_b32_e64 v21, v21, v44, s[0:1]
	v_and_or_b32 v6, v6, s24, v16
	v_lshl_or_b32 v6, v21, 7, v6
	v_cvt_f32_f16_e32 v21, v6
.LBB275_444:                            ;   in Loop: Header=BB275_360 Depth=1
	s_or_b64 exec, exec, s[12:13]
	v_cmp_gt_i16_sdwa s[8:9], v17, s22 src0_sel:BYTE_0 src1_sel:DWORD
	s_mov_b64 s[0:1], 0
                                        ; implicit-def: $sgpr14
	s_and_saveexec_b64 s[12:13], s[8:9]
	s_xor_b64 s[8:9], exec, s[12:13]
	s_cbranch_execnz .LBB275_610
; %bb.445:                              ;   in Loop: Header=BB275_360 Depth=1
	s_or_saveexec_b64 s[8:9], s[8:9]
	v_mov_b32_e32 v16, s14
	s_xor_b64 exec, exec, s[8:9]
	s_cbranch_execnz .LBB275_613
.LBB275_446:                            ;   in Loop: Header=BB275_360 Depth=1
	s_or_b64 exec, exec, s[8:9]
	v_mov_b32_e32 v6, v17
	s_and_saveexec_b64 s[8:9], s[0:1]
	s_cbranch_execz .LBB275_448
.LBB275_447:                            ;   in Loop: Header=BB275_360 Depth=1
	v_and_b32_e32 v16, 7, v17
	v_ffbh_u32_e32 v16, v16
	v_bfe_u32 v44, v17, 3, 4
	v_min_u32_e32 v16, 32, v16
	v_subrev_u32_e32 v45, 28, v16
	v_sub_u32_e32 v16, 29, v16
	v_cmp_eq_u32_e64 s[0:1], 0, v44
	s_nop 1
	v_cndmask_b32_e64 v16, v44, v16, s[0:1]
	v_cndmask_b32_e64 v44, 0, v45, s[0:1]
	v_lshlrev_b64 v[44:45], v44, v[6:7]
	v_lshlrev_b32_e32 v45, 8, v17
	v_lshl_add_u32 v16, v16, 10, v28
	v_lshlrev_b32_e32 v44, 7, v44
	v_and_or_b32 v16, v45, s24, v16
	v_and_or_b32 v16, v44, s25, v16
	v_cvt_f32_f16_e32 v16, v16
.LBB275_448:                            ;   in Loop: Header=BB275_360 Depth=1
	s_or_b64 exec, exec, s[8:9]
	v_lshrrev_b16_e32 v6, 8, v6
	v_cmp_lt_i16_e64 s[0:1], s22, v6
	s_mov_b64 s[8:9], 0
                                        ; implicit-def: $sgpr34
	s_and_saveexec_b64 s[12:13], s[0:1]
	s_xor_b64 s[12:13], exec, s[12:13]
	s_cbranch_execnz .LBB275_614
; %bb.449:                              ;   in Loop: Header=BB275_360 Depth=1
	s_or_saveexec_b64 s[12:13], s[12:13]
	v_mov_b32_e32 v44, s34
	s_xor_b64 exec, exec, s[12:13]
	s_cbranch_execnz .LBB275_617
.LBB275_450:                            ;   in Loop: Header=BB275_360 Depth=1
	s_or_b64 exec, exec, s[12:13]
	s_and_saveexec_b64 s[12:13], s[8:9]
	s_cbranch_execz .LBB275_452
.LBB275_451:                            ;   in Loop: Header=BB275_360 Depth=1
	v_and_b32_e32 v46, 7, v6
	v_ffbh_u32_e32 v44, v46
	v_min_u32_e32 v48, 32, v44
	v_subrev_u32_e32 v44, 28, v48
	v_bfe_u32 v47, v6, 3, 4
	v_lshlrev_b64 v[44:45], v44, v[6:7]
	v_sub_u32_e32 v45, 29, v48
	v_cmp_eq_u32_e64 s[0:1], 0, v47
	v_and_b32_e32 v44, 7, v44
	v_lshlrev_b32_e32 v6, 8, v6
	v_cndmask_b32_e64 v45, v47, v45, s[0:1]
	v_lshl_add_u32 v45, v45, 10, v28
	v_cndmask_b32_e64 v44, v46, v44, s[0:1]
	v_and_or_b32 v6, v6, s24, v45
	v_lshl_or_b32 v6, v44, 7, v6
	v_cvt_f32_f16_e32 v44, v6
.LBB275_452:                            ;   in Loop: Header=BB275_360 Depth=1
	s_or_b64 exec, exec, s[12:13]
	v_lshrrev_b32_e32 v6, 16, v17
	v_cmp_gt_i16_sdwa s[8:9], v6, s22 src0_sel:BYTE_0 src1_sel:DWORD
	s_mov_b64 s[0:1], 0
                                        ; implicit-def: $sgpr14
	s_and_saveexec_b64 s[12:13], s[8:9]
	s_xor_b64 s[8:9], exec, s[12:13]
	s_cbranch_execnz .LBB275_618
; %bb.453:                              ;   in Loop: Header=BB275_360 Depth=1
	s_or_saveexec_b64 s[8:9], s[8:9]
	v_mov_b32_e32 v45, s14
	s_xor_b64 exec, exec, s[8:9]
	s_cbranch_execnz .LBB275_621
.LBB275_454:                            ;   in Loop: Header=BB275_360 Depth=1
	s_or_b64 exec, exec, s[8:9]
	s_and_saveexec_b64 s[8:9], s[0:1]
	s_cbranch_execz .LBB275_456
.LBB275_455:                            ;   in Loop: Header=BB275_360 Depth=1
	v_bfe_u32 v45, v17, 16, 3
	v_ffbh_u32_e32 v46, v45
	v_min_u32_e32 v49, 32, v46
	v_subrev_u32_e32 v46, 28, v49
	v_bfe_u32 v48, v17, 19, 4
	v_lshlrev_b64 v[46:47], v46, v[6:7]
	v_sub_u32_e32 v47, 29, v49
	v_cmp_eq_u32_e64 s[0:1], 0, v48
	v_and_b32_e32 v46, 7, v46
	v_lshlrev_b32_e32 v6, 8, v6
	v_cndmask_b32_e64 v47, v48, v47, s[0:1]
	v_cndmask_b32_e64 v45, v45, v46, s[0:1]
	v_lshl_add_u32 v46, v47, 10, v28
	v_and_or_b32 v6, v6, s24, v46
	v_lshl_or_b32 v6, v45, 7, v6
	v_cvt_f32_f16_e32 v45, v6
.LBB275_456:                            ;   in Loop: Header=BB275_360 Depth=1
	s_or_b64 exec, exec, s[8:9]
	v_lshrrev_b32_e32 v6, 24, v17
	v_cmp_lt_i16_e64 s[0:1], s22, v6
	s_mov_b64 s[8:9], 0
                                        ; implicit-def: $sgpr34
	s_and_saveexec_b64 s[12:13], s[0:1]
	s_xor_b64 s[12:13], exec, s[12:13]
	s_cbranch_execnz .LBB275_622
; %bb.457:                              ;   in Loop: Header=BB275_360 Depth=1
	s_or_saveexec_b64 s[12:13], s[12:13]
	v_mov_b32_e32 v46, s34
	s_xor_b64 exec, exec, s[12:13]
	s_cbranch_execnz .LBB275_625
.LBB275_458:                            ;   in Loop: Header=BB275_360 Depth=1
	s_or_b64 exec, exec, s[12:13]
	s_and_saveexec_b64 s[12:13], s[8:9]
	s_cbranch_execz .LBB275_460
.LBB275_459:                            ;   in Loop: Header=BB275_360 Depth=1
	v_bfe_u32 v48, v17, 24, 3
	v_ffbh_u32_e32 v46, v48
	v_min_u32_e32 v49, 32, v46
	v_subrev_u32_e32 v46, 28, v49
	v_bfe_u32 v17, v17, 27, 4
	v_lshlrev_b64 v[46:47], v46, v[6:7]
	v_sub_u32_e32 v47, 29, v49
	v_cmp_eq_u32_e64 s[0:1], 0, v17
	v_and_b32_e32 v46, 7, v46
	v_lshlrev_b32_e32 v6, 8, v6
	v_cndmask_b32_e64 v17, v17, v47, s[0:1]
	v_lshl_add_u32 v17, v17, 10, v28
	v_cndmask_b32_e64 v46, v48, v46, s[0:1]
	v_and_or_b32 v6, v6, s24, v17
	v_lshl_or_b32 v6, v46, 7, v6
	v_cvt_f32_f16_e32 v46, v6
.LBB275_460:                            ;   in Loop: Header=BB275_360 Depth=1
	s_or_b64 exec, exec, s[12:13]
	s_waitcnt vmcnt(0)
	v_pk_mul_f32 v[20:21], v[14:15], v[20:21] op_sel_hi:[0,1]
	v_pk_mul_f32 v[18:19], v[14:15], v[18:19] op_sel_hi:[0,1]
	v_cvt_f16_f32_e32 v6, v21
	v_cvt_f16_f32_e32 v17, v20
	;; [unrolled: 1-line block ×4, first 2 shown]
	v_fma_mixlo_f16 v16, v14, v16, 0
	v_pack_b32_f16 v17, v17, v6
	v_pack_b32_f16 v18, v18, v19
	v_perm_b32 v6, v18, v17, s29
	v_perm_b32 v17, v18, v17, s30
	v_fma_mixlo_f16 v18, v14, v44, 0
	v_lshlrev_b32_e32 v18, 16, v18
	v_or_b32_sdwa v16, v18, v16 dst_sel:DWORD dst_unused:UNUSED_PAD src0_sel:DWORD src1_sel:WORD_0
	v_fma_mixlo_f16 v18, v14, v45, 0
	v_fma_mixlo_f16 v14, v14, v46, 0
	v_lshlrev_b32_e32 v14, 16, v14
	v_or_b32_sdwa v14, v14, v18 dst_sel:DWORD dst_unused:UNUSED_PAD src0_sel:DWORD src1_sel:WORD_0
	s_and_saveexec_b64 s[8:9], vcc
	s_cbranch_execz .LBB275_462
; %bb.461:                              ;   in Loop: Header=BB275_360 Depth=1
	v_lshrrev_b32_e32 v19, 16, v17
	v_cmp_gt_i32_e64 s[0:1], s27, v35
	v_lshrrev_b32_e32 v14, 16, v14
	s_nop 0
	v_cndmask_b32_e64 v19, 0, v19, s[0:1]
	v_cmp_gt_i32_e64 s[0:1], s33, v26
	s_nop 1
	v_cndmask_b32_e64 v17, 0, v17, s[0:1]
	v_perm_b32 v17, v19, v17, s31
	v_lshrrev_b32_e32 v19, 16, v6
	v_cmp_gt_i32_e64 s[0:1], s27, v34
	s_nop 1
	v_cndmask_b32_e64 v19, 0, v19, s[0:1]
	v_cmp_gt_i32_e64 s[0:1], s33, v33
	s_nop 1
	v_cndmask_b32_e64 v6, 0, v6, s[0:1]
	v_perm_b32 v6, v19, v6, s31
	v_lshrrev_b32_e32 v19, 16, v16
	v_cmp_gt_i32_e64 s[0:1], s27, v32
	s_nop 1
	v_cndmask_b32_e64 v19, 0, v19, s[0:1]
	v_cmp_gt_i32_e64 s[0:1], s33, v31
	s_nop 1
	v_cndmask_b32_e64 v16, 0, v16, s[0:1]
	v_cmp_gt_i32_e64 s[0:1], s27, v30
	v_perm_b32 v16, v19, v16, s31
	s_nop 0
	v_cndmask_b32_e64 v14, 0, v14, s[0:1]
	v_cmp_gt_i32_e64 s[0:1], s33, v29
	s_nop 1
	v_cndmask_b32_e64 v18, 0, v18, s[0:1]
	v_perm_b32 v14, v14, v18, s31
.LBB275_462:                            ;   in Loop: Header=BB275_360 Depth=1
	s_or_b64 exec, exec, s[8:9]
	;;#ASMSTART
	v_pk_mul_f16 v17, v36, v17;

	;;#ASMEND
	;;#ASMSTART
	v_pk_mul_f16 v6, v37, v6;

	;;#ASMEND
	;; [unrolled: 4-line block ×4, first 2 shown]
	s_mov_b64 s[0:1], 0
	;;#ASMSTART
	v_pk_add_f16 v6, v17, v6;

	;;#ASMEND
                                        ; implicit-def: $sgpr14
	s_nop 0
	;;#ASMSTART
	v_pk_add_f16 v6, v6, v16;

	;;#ASMEND
	s_nop 0
	;;#ASMSTART
	v_pk_add_f16 v6, v6, v14;

	;;#ASMEND
	s_nop 0
	v_lshrrev_b32_e32 v14, 16, v6
	v_and_b32_e32 v6, 0xffff, v6
	;;#ASMSTART
	v_cvt_f32_f16 v44, v6;
	;;#ASMEND
	;;#ASMSTART
	v_cvt_f32_f16 v45, v14;
	;;#ASMEND
	global_load_dwordx2 v[16:17], v[12:13], off offset:1536
	global_load_dword v14, v7, s[10:11]
	s_waitcnt vmcnt(1)
	v_cmp_gt_i16_sdwa s[8:9], v16, s22 src0_sel:BYTE_0 src1_sel:DWORD
	s_and_saveexec_b64 s[12:13], s[8:9]
	s_xor_b64 s[8:9], exec, s[12:13]
	s_cbranch_execnz .LBB275_626
; %bb.463:                              ;   in Loop: Header=BB275_360 Depth=1
	s_or_saveexec_b64 s[8:9], s[8:9]
	v_mov_b32_e32 v18, s14
	s_xor_b64 exec, exec, s[8:9]
	s_cbranch_execnz .LBB275_629
.LBB275_464:                            ;   in Loop: Header=BB275_360 Depth=1
	s_or_b64 exec, exec, s[8:9]
	s_and_saveexec_b64 s[8:9], s[0:1]
	s_cbranch_execz .LBB275_466
.LBB275_465:                            ;   in Loop: Header=BB275_360 Depth=1
	v_and_b32_e32 v6, 7, v16
	v_ffbh_u32_e32 v6, v6
	v_bfe_u32 v18, v16, 3, 4
	v_min_u32_e32 v6, 32, v6
	v_subrev_u32_e32 v19, 28, v6
	v_sub_u32_e32 v6, 29, v6
	v_cmp_eq_u32_e64 s[0:1], 0, v18
	s_nop 1
	v_cndmask_b32_e64 v6, v18, v6, s[0:1]
	v_cndmask_b32_e64 v18, 0, v19, s[0:1]
	v_lshlrev_b64 v[18:19], v18, v[16:17]
	v_lshlrev_b32_e32 v19, 8, v16
	v_lshl_add_u32 v6, v6, 10, v28
	v_lshlrev_b32_e32 v18, 7, v18
	v_and_or_b32 v6, v19, s24, v6
	v_and_or_b32 v6, v18, s25, v6
	v_cvt_f32_f16_e32 v18, v6
.LBB275_466:                            ;   in Loop: Header=BB275_360 Depth=1
	s_or_b64 exec, exec, s[8:9]
	v_lshrrev_b16_e32 v6, 8, v16
	v_cmp_lt_i16_e64 s[0:1], s22, v6
	s_mov_b64 s[8:9], 0
                                        ; implicit-def: $sgpr34
	s_and_saveexec_b64 s[12:13], s[0:1]
	s_xor_b64 s[12:13], exec, s[12:13]
	s_cbranch_execnz .LBB275_630
; %bb.467:                              ;   in Loop: Header=BB275_360 Depth=1
	s_or_saveexec_b64 s[12:13], s[12:13]
	v_mov_b32_e32 v20, s34
	s_xor_b64 exec, exec, s[12:13]
	s_cbranch_execnz .LBB275_633
.LBB275_468:                            ;   in Loop: Header=BB275_360 Depth=1
	s_or_b64 exec, exec, s[12:13]
	s_and_saveexec_b64 s[12:13], s[8:9]
	s_cbranch_execz .LBB275_470
.LBB275_469:                            ;   in Loop: Header=BB275_360 Depth=1
	v_and_b32_e32 v19, 7, v6
	v_ffbh_u32_e32 v20, v19
	v_min_u32_e32 v47, 32, v20
	v_subrev_u32_e32 v20, 28, v47
	v_bfe_u32 v46, v6, 3, 4
	v_lshlrev_b64 v[20:21], v20, v[6:7]
	v_sub_u32_e32 v21, 29, v47
	v_cmp_eq_u32_e64 s[0:1], 0, v46
	v_and_b32_e32 v20, 7, v20
	v_lshlrev_b32_e32 v6, 8, v6
	v_cndmask_b32_e64 v21, v46, v21, s[0:1]
	v_cndmask_b32_e64 v19, v19, v20, s[0:1]
	v_lshl_add_u32 v20, v21, 10, v28
	v_and_or_b32 v6, v6, s24, v20
	v_lshl_or_b32 v6, v19, 7, v6
	v_cvt_f32_f16_e32 v20, v6
.LBB275_470:                            ;   in Loop: Header=BB275_360 Depth=1
	s_or_b64 exec, exec, s[12:13]
	v_lshrrev_b32_e32 v6, 16, v16
	v_cmp_gt_i16_sdwa s[8:9], v6, s22 src0_sel:BYTE_0 src1_sel:DWORD
	s_mov_b64 s[0:1], 0
                                        ; implicit-def: $sgpr14
	s_and_saveexec_b64 s[12:13], s[8:9]
	s_xor_b64 s[8:9], exec, s[12:13]
	s_cbranch_execnz .LBB275_634
; %bb.471:                              ;   in Loop: Header=BB275_360 Depth=1
	s_or_saveexec_b64 s[8:9], s[8:9]
	v_mov_b32_e32 v19, s14
	s_xor_b64 exec, exec, s[8:9]
	s_cbranch_execnz .LBB275_637
.LBB275_472:                            ;   in Loop: Header=BB275_360 Depth=1
	s_or_b64 exec, exec, s[8:9]
	s_and_saveexec_b64 s[8:9], s[0:1]
	s_cbranch_execz .LBB275_474
.LBB275_473:                            ;   in Loop: Header=BB275_360 Depth=1
	v_bfe_u32 v19, v16, 16, 3
	v_ffbh_u32_e32 v46, v19
	v_min_u32_e32 v48, 32, v46
	v_subrev_u32_e32 v46, 28, v48
	v_bfe_u32 v21, v16, 19, 4
	v_lshlrev_b64 v[46:47], v46, v[6:7]
	v_sub_u32_e32 v47, 29, v48
	v_cmp_eq_u32_e64 s[0:1], 0, v21
	v_and_b32_e32 v46, 7, v46
	v_lshlrev_b32_e32 v6, 8, v6
	v_cndmask_b32_e64 v21, v21, v47, s[0:1]
	v_lshl_add_u32 v21, v21, 10, v28
	v_cndmask_b32_e64 v19, v19, v46, s[0:1]
	v_and_or_b32 v6, v6, s24, v21
	v_lshl_or_b32 v6, v19, 7, v6
	v_cvt_f32_f16_e32 v19, v6
.LBB275_474:                            ;   in Loop: Header=BB275_360 Depth=1
	s_or_b64 exec, exec, s[8:9]
	v_lshrrev_b32_e32 v6, 24, v16
	v_cmp_lt_i16_e64 s[0:1], s22, v6
	s_mov_b64 s[8:9], 0
                                        ; implicit-def: $sgpr34
	s_and_saveexec_b64 s[12:13], s[0:1]
	s_xor_b64 s[12:13], exec, s[12:13]
	s_cbranch_execnz .LBB275_638
; %bb.475:                              ;   in Loop: Header=BB275_360 Depth=1
	s_or_saveexec_b64 s[12:13], s[12:13]
	v_mov_b32_e32 v21, s34
	s_xor_b64 exec, exec, s[12:13]
	s_cbranch_execnz .LBB275_641
.LBB275_476:                            ;   in Loop: Header=BB275_360 Depth=1
	s_or_b64 exec, exec, s[12:13]
	s_and_saveexec_b64 s[12:13], s[8:9]
	s_cbranch_execz .LBB275_478
.LBB275_477:                            ;   in Loop: Header=BB275_360 Depth=1
	v_bfe_u32 v21, v16, 24, 3
	v_ffbh_u32_e32 v46, v21
	v_min_u32_e32 v48, 32, v46
	v_subrev_u32_e32 v46, 28, v48
	v_bfe_u32 v16, v16, 27, 4
	v_lshlrev_b64 v[46:47], v46, v[6:7]
	v_sub_u32_e32 v47, 29, v48
	v_cmp_eq_u32_e64 s[0:1], 0, v16
	v_and_b32_e32 v46, 7, v46
	v_lshlrev_b32_e32 v6, 8, v6
	v_cndmask_b32_e64 v16, v16, v47, s[0:1]
	v_lshl_add_u32 v16, v16, 10, v28
	v_cndmask_b32_e64 v21, v21, v46, s[0:1]
	v_and_or_b32 v6, v6, s24, v16
	v_lshl_or_b32 v6, v21, 7, v6
	v_cvt_f32_f16_e32 v21, v6
.LBB275_478:                            ;   in Loop: Header=BB275_360 Depth=1
	s_or_b64 exec, exec, s[12:13]
	v_cmp_gt_i16_sdwa s[8:9], v17, s22 src0_sel:BYTE_0 src1_sel:DWORD
	s_mov_b64 s[0:1], 0
                                        ; implicit-def: $sgpr14
	s_and_saveexec_b64 s[12:13], s[8:9]
	s_xor_b64 s[8:9], exec, s[12:13]
	s_cbranch_execnz .LBB275_642
; %bb.479:                              ;   in Loop: Header=BB275_360 Depth=1
	s_or_saveexec_b64 s[8:9], s[8:9]
	v_mov_b32_e32 v16, s14
	s_xor_b64 exec, exec, s[8:9]
	s_cbranch_execnz .LBB275_645
.LBB275_480:                            ;   in Loop: Header=BB275_360 Depth=1
	s_or_b64 exec, exec, s[8:9]
	v_mov_b32_e32 v6, v17
	s_and_saveexec_b64 s[8:9], s[0:1]
	s_cbranch_execz .LBB275_482
.LBB275_481:                            ;   in Loop: Header=BB275_360 Depth=1
	v_and_b32_e32 v16, 7, v17
	v_ffbh_u32_e32 v16, v16
	v_bfe_u32 v46, v17, 3, 4
	v_min_u32_e32 v16, 32, v16
	v_subrev_u32_e32 v47, 28, v16
	v_sub_u32_e32 v16, 29, v16
	v_cmp_eq_u32_e64 s[0:1], 0, v46
	s_nop 1
	v_cndmask_b32_e64 v16, v46, v16, s[0:1]
	v_cndmask_b32_e64 v46, 0, v47, s[0:1]
	v_lshlrev_b64 v[46:47], v46, v[6:7]
	v_lshlrev_b32_e32 v47, 8, v17
	v_lshl_add_u32 v16, v16, 10, v28
	v_lshlrev_b32_e32 v46, 7, v46
	v_and_or_b32 v16, v47, s24, v16
	v_and_or_b32 v16, v46, s25, v16
	v_cvt_f32_f16_e32 v16, v16
.LBB275_482:                            ;   in Loop: Header=BB275_360 Depth=1
	s_or_b64 exec, exec, s[8:9]
	v_lshrrev_b16_e32 v6, 8, v6
	v_cmp_lt_i16_e64 s[0:1], s22, v6
	s_mov_b64 s[8:9], 0
                                        ; implicit-def: $sgpr34
	s_and_saveexec_b64 s[12:13], s[0:1]
	s_xor_b64 s[12:13], exec, s[12:13]
	s_cbranch_execnz .LBB275_646
; %bb.483:                              ;   in Loop: Header=BB275_360 Depth=1
	s_or_saveexec_b64 s[12:13], s[12:13]
	v_mov_b32_e32 v46, s34
	s_xor_b64 exec, exec, s[12:13]
	s_cbranch_execnz .LBB275_649
.LBB275_484:                            ;   in Loop: Header=BB275_360 Depth=1
	s_or_b64 exec, exec, s[12:13]
	s_and_saveexec_b64 s[12:13], s[8:9]
	s_cbranch_execz .LBB275_486
.LBB275_485:                            ;   in Loop: Header=BB275_360 Depth=1
	v_and_b32_e32 v48, 7, v6
	v_ffbh_u32_e32 v46, v48
	v_min_u32_e32 v50, 32, v46
	v_subrev_u32_e32 v46, 28, v50
	v_bfe_u32 v49, v6, 3, 4
	v_lshlrev_b64 v[46:47], v46, v[6:7]
	v_sub_u32_e32 v47, 29, v50
	v_cmp_eq_u32_e64 s[0:1], 0, v49
	v_and_b32_e32 v46, 7, v46
	v_lshlrev_b32_e32 v6, 8, v6
	v_cndmask_b32_e64 v47, v49, v47, s[0:1]
	v_lshl_add_u32 v47, v47, 10, v28
	v_cndmask_b32_e64 v46, v48, v46, s[0:1]
	v_and_or_b32 v6, v6, s24, v47
	v_lshl_or_b32 v6, v46, 7, v6
	v_cvt_f32_f16_e32 v46, v6
.LBB275_486:                            ;   in Loop: Header=BB275_360 Depth=1
	s_or_b64 exec, exec, s[12:13]
	v_lshrrev_b32_e32 v6, 16, v17
	v_cmp_gt_i16_sdwa s[8:9], v6, s22 src0_sel:BYTE_0 src1_sel:DWORD
	s_mov_b64 s[0:1], 0
                                        ; implicit-def: $sgpr14
	s_and_saveexec_b64 s[12:13], s[8:9]
	s_xor_b64 s[8:9], exec, s[12:13]
	s_cbranch_execnz .LBB275_650
; %bb.487:                              ;   in Loop: Header=BB275_360 Depth=1
	s_or_saveexec_b64 s[8:9], s[8:9]
	v_mov_b32_e32 v47, s14
	s_xor_b64 exec, exec, s[8:9]
	s_cbranch_execnz .LBB275_653
.LBB275_488:                            ;   in Loop: Header=BB275_360 Depth=1
	s_or_b64 exec, exec, s[8:9]
	s_and_saveexec_b64 s[8:9], s[0:1]
	s_cbranch_execz .LBB275_490
.LBB275_489:                            ;   in Loop: Header=BB275_360 Depth=1
	v_bfe_u32 v47, v17, 16, 3
	v_ffbh_u32_e32 v48, v47
	v_min_u32_e32 v51, 32, v48
	v_subrev_u32_e32 v48, 28, v51
	v_bfe_u32 v50, v17, 19, 4
	v_lshlrev_b64 v[48:49], v48, v[6:7]
	v_sub_u32_e32 v49, 29, v51
	v_cmp_eq_u32_e64 s[0:1], 0, v50
	v_and_b32_e32 v48, 7, v48
	v_lshlrev_b32_e32 v6, 8, v6
	v_cndmask_b32_e64 v49, v50, v49, s[0:1]
	v_cndmask_b32_e64 v47, v47, v48, s[0:1]
	v_lshl_add_u32 v48, v49, 10, v28
	v_and_or_b32 v6, v6, s24, v48
	v_lshl_or_b32 v6, v47, 7, v6
	v_cvt_f32_f16_e32 v47, v6
.LBB275_490:                            ;   in Loop: Header=BB275_360 Depth=1
	s_or_b64 exec, exec, s[8:9]
	v_lshrrev_b32_e32 v6, 24, v17
	v_cmp_lt_i16_e64 s[0:1], s22, v6
	s_mov_b64 s[8:9], 0
                                        ; implicit-def: $sgpr34
	s_and_saveexec_b64 s[12:13], s[0:1]
	s_xor_b64 s[12:13], exec, s[12:13]
	s_cbranch_execnz .LBB275_654
; %bb.491:                              ;   in Loop: Header=BB275_360 Depth=1
	s_or_saveexec_b64 s[12:13], s[12:13]
	v_mov_b32_e32 v48, s34
	s_xor_b64 exec, exec, s[12:13]
	s_cbranch_execnz .LBB275_657
.LBB275_492:                            ;   in Loop: Header=BB275_360 Depth=1
	s_or_b64 exec, exec, s[12:13]
	s_and_saveexec_b64 s[12:13], s[8:9]
	s_cbranch_execz .LBB275_494
.LBB275_493:                            ;   in Loop: Header=BB275_360 Depth=1
	v_bfe_u32 v50, v17, 24, 3
	v_ffbh_u32_e32 v48, v50
	v_min_u32_e32 v51, 32, v48
	v_subrev_u32_e32 v48, 28, v51
	v_bfe_u32 v17, v17, 27, 4
	v_lshlrev_b64 v[48:49], v48, v[6:7]
	v_sub_u32_e32 v49, 29, v51
	v_cmp_eq_u32_e64 s[0:1], 0, v17
	v_and_b32_e32 v48, 7, v48
	v_lshlrev_b32_e32 v6, 8, v6
	v_cndmask_b32_e64 v17, v17, v49, s[0:1]
	v_lshl_add_u32 v17, v17, 10, v28
	v_cndmask_b32_e64 v48, v50, v48, s[0:1]
	v_and_or_b32 v6, v6, s24, v17
	v_lshl_or_b32 v6, v48, 7, v6
	v_cvt_f32_f16_e32 v48, v6
.LBB275_494:                            ;   in Loop: Header=BB275_360 Depth=1
	s_or_b64 exec, exec, s[12:13]
	s_waitcnt vmcnt(0)
	v_pk_mul_f32 v[20:21], v[14:15], v[20:21] op_sel_hi:[0,1]
	v_pk_mul_f32 v[18:19], v[14:15], v[18:19] op_sel_hi:[0,1]
	v_cvt_f16_f32_e32 v6, v21
	v_cvt_f16_f32_e32 v17, v20
	v_cvt_f16_f32_e32 v19, v19
	v_cvt_f16_f32_e32 v18, v18
	v_fma_mixlo_f16 v16, v14, v16, 0
	v_pack_b32_f16 v17, v17, v6
	v_pack_b32_f16 v18, v18, v19
	v_perm_b32 v6, v18, v17, s29
	v_perm_b32 v17, v18, v17, s30
	v_fma_mixlo_f16 v18, v14, v46, 0
	v_lshlrev_b32_e32 v18, 16, v18
	v_or_b32_sdwa v16, v18, v16 dst_sel:DWORD dst_unused:UNUSED_PAD src0_sel:DWORD src1_sel:WORD_0
	v_fma_mixlo_f16 v18, v14, v47, 0
	v_fma_mixlo_f16 v14, v14, v48, 0
	v_lshlrev_b32_e32 v14, 16, v14
	v_or_b32_sdwa v14, v14, v18 dst_sel:DWORD dst_unused:UNUSED_PAD src0_sel:DWORD src1_sel:WORD_0
	s_and_saveexec_b64 s[8:9], vcc
	s_cbranch_execz .LBB275_496
; %bb.495:                              ;   in Loop: Header=BB275_360 Depth=1
	v_lshrrev_b32_e32 v19, 16, v17
	v_cmp_gt_i32_e64 s[0:1], s27, v35
	v_lshrrev_b32_e32 v14, 16, v14
	s_nop 0
	v_cndmask_b32_e64 v19, 0, v19, s[0:1]
	v_cmp_gt_i32_e64 s[0:1], s33, v26
	s_nop 1
	v_cndmask_b32_e64 v17, 0, v17, s[0:1]
	v_perm_b32 v17, v19, v17, s31
	v_lshrrev_b32_e32 v19, 16, v6
	v_cmp_gt_i32_e64 s[0:1], s27, v34
	s_nop 1
	v_cndmask_b32_e64 v19, 0, v19, s[0:1]
	v_cmp_gt_i32_e64 s[0:1], s33, v33
	s_nop 1
	v_cndmask_b32_e64 v6, 0, v6, s[0:1]
	v_perm_b32 v6, v19, v6, s31
	v_lshrrev_b32_e32 v19, 16, v16
	v_cmp_gt_i32_e64 s[0:1], s27, v32
	s_nop 1
	v_cndmask_b32_e64 v19, 0, v19, s[0:1]
	v_cmp_gt_i32_e64 s[0:1], s33, v31
	s_nop 1
	v_cndmask_b32_e64 v16, 0, v16, s[0:1]
	v_cmp_gt_i32_e64 s[0:1], s27, v30
	v_perm_b32 v16, v19, v16, s31
	s_nop 0
	v_cndmask_b32_e64 v14, 0, v14, s[0:1]
	v_cmp_gt_i32_e64 s[0:1], s33, v29
	s_nop 1
	v_cndmask_b32_e64 v18, 0, v18, s[0:1]
	v_perm_b32 v14, v14, v18, s31
.LBB275_496:                            ;   in Loop: Header=BB275_360 Depth=1
	s_or_b64 exec, exec, s[8:9]
	;;#ASMSTART
	v_pk_mul_f16 v17, v36, v17;

	;;#ASMEND
	;;#ASMSTART
	v_pk_mul_f16 v6, v37, v6;

	;;#ASMEND
	;; [unrolled: 4-line block ×4, first 2 shown]
	s_mov_b64 s[0:1], 0
	;;#ASMSTART
	v_pk_add_f16 v6, v17, v6;

	;;#ASMEND
                                        ; implicit-def: $sgpr14
	s_nop 0
	;;#ASMSTART
	v_pk_add_f16 v6, v6, v16;

	;;#ASMEND
	s_nop 0
	;;#ASMSTART
	v_pk_add_f16 v6, v6, v14;

	;;#ASMEND
	s_nop 0
	v_lshrrev_b32_e32 v14, 16, v6
	v_and_b32_e32 v6, 0xffff, v6
	;;#ASMSTART
	v_cvt_f32_f16 v20, v6;
	;;#ASMEND
	;;#ASMSTART
	v_cvt_f32_f16 v21, v14;
	;;#ASMEND
	global_load_dwordx2 v[16:17], v[12:13], off offset:2048
	global_load_dword v14, v7, s[10:11]
	s_waitcnt vmcnt(1)
	v_cmp_gt_i16_sdwa s[8:9], v16, s22 src0_sel:BYTE_0 src1_sel:DWORD
	s_and_saveexec_b64 s[12:13], s[8:9]
	s_xor_b64 s[8:9], exec, s[12:13]
	s_cbranch_execnz .LBB275_658
; %bb.497:                              ;   in Loop: Header=BB275_360 Depth=1
	s_or_saveexec_b64 s[8:9], s[8:9]
	v_mov_b32_e32 v12, s14
	s_xor_b64 exec, exec, s[8:9]
	s_cbranch_execnz .LBB275_661
.LBB275_498:                            ;   in Loop: Header=BB275_360 Depth=1
	s_or_b64 exec, exec, s[8:9]
	s_and_saveexec_b64 s[8:9], s[0:1]
	s_cbranch_execz .LBB275_500
.LBB275_499:                            ;   in Loop: Header=BB275_360 Depth=1
	v_and_b32_e32 v6, 7, v16
	v_ffbh_u32_e32 v6, v6
	v_bfe_u32 v12, v16, 3, 4
	v_min_u32_e32 v6, 32, v6
	v_subrev_u32_e32 v13, 28, v6
	v_sub_u32_e32 v6, 29, v6
	v_cmp_eq_u32_e64 s[0:1], 0, v12
	s_nop 1
	v_cndmask_b32_e64 v6, v12, v6, s[0:1]
	v_cndmask_b32_e64 v12, 0, v13, s[0:1]
	v_lshlrev_b64 v[12:13], v12, v[16:17]
	v_lshlrev_b32_e32 v13, 8, v16
	v_lshl_add_u32 v6, v6, 10, v28
	v_lshlrev_b32_e32 v12, 7, v12
	v_and_or_b32 v6, v13, s24, v6
	v_and_or_b32 v6, v12, s25, v6
	v_cvt_f32_f16_e32 v12, v6
.LBB275_500:                            ;   in Loop: Header=BB275_360 Depth=1
	s_or_b64 exec, exec, s[8:9]
	v_lshrrev_b16_e32 v6, 8, v16
	v_cmp_lt_i16_e64 s[0:1], s22, v6
	s_mov_b64 s[8:9], 0
                                        ; implicit-def: $sgpr34
	s_and_saveexec_b64 s[12:13], s[0:1]
	s_xor_b64 s[12:13], exec, s[12:13]
	s_cbranch_execnz .LBB275_662
; %bb.501:                              ;   in Loop: Header=BB275_360 Depth=1
	s_or_saveexec_b64 s[12:13], s[12:13]
	v_mov_b32_e32 v18, s34
	s_xor_b64 exec, exec, s[12:13]
	s_cbranch_execnz .LBB275_665
.LBB275_502:                            ;   in Loop: Header=BB275_360 Depth=1
	s_or_b64 exec, exec, s[12:13]
	s_and_saveexec_b64 s[12:13], s[8:9]
	s_cbranch_execz .LBB275_504
.LBB275_503:                            ;   in Loop: Header=BB275_360 Depth=1
	v_and_b32_e32 v13, 7, v6
	v_ffbh_u32_e32 v18, v13
	v_min_u32_e32 v47, 32, v18
	v_subrev_u32_e32 v18, 28, v47
	v_bfe_u32 v46, v6, 3, 4
	v_lshlrev_b64 v[18:19], v18, v[6:7]
	v_sub_u32_e32 v19, 29, v47
	v_cmp_eq_u32_e64 s[0:1], 0, v46
	v_and_b32_e32 v18, 7, v18
	v_lshlrev_b32_e32 v6, 8, v6
	v_cndmask_b32_e64 v19, v46, v19, s[0:1]
	v_cndmask_b32_e64 v13, v13, v18, s[0:1]
	v_lshl_add_u32 v18, v19, 10, v28
	v_and_or_b32 v6, v6, s24, v18
	v_lshl_or_b32 v6, v13, 7, v6
	v_cvt_f32_f16_e32 v18, v6
.LBB275_504:                            ;   in Loop: Header=BB275_360 Depth=1
	s_or_b64 exec, exec, s[12:13]
	v_lshrrev_b32_e32 v6, 16, v16
	v_cmp_gt_i16_sdwa s[8:9], v6, s22 src0_sel:BYTE_0 src1_sel:DWORD
	s_mov_b64 s[0:1], 0
                                        ; implicit-def: $sgpr14
	s_and_saveexec_b64 s[12:13], s[8:9]
	s_xor_b64 s[8:9], exec, s[12:13]
	s_cbranch_execnz .LBB275_666
; %bb.505:                              ;   in Loop: Header=BB275_360 Depth=1
	s_or_saveexec_b64 s[8:9], s[8:9]
	v_mov_b32_e32 v13, s14
	s_xor_b64 exec, exec, s[8:9]
	s_cbranch_execnz .LBB275_669
.LBB275_506:                            ;   in Loop: Header=BB275_360 Depth=1
	s_or_b64 exec, exec, s[8:9]
	s_and_saveexec_b64 s[8:9], s[0:1]
	s_cbranch_execz .LBB275_508
.LBB275_507:                            ;   in Loop: Header=BB275_360 Depth=1
	v_bfe_u32 v13, v16, 16, 3
	v_ffbh_u32_e32 v46, v13
	v_min_u32_e32 v48, 32, v46
	v_subrev_u32_e32 v46, 28, v48
	v_bfe_u32 v19, v16, 19, 4
	v_lshlrev_b64 v[46:47], v46, v[6:7]
	v_sub_u32_e32 v47, 29, v48
	v_cmp_eq_u32_e64 s[0:1], 0, v19
	v_and_b32_e32 v46, 7, v46
	v_lshlrev_b32_e32 v6, 8, v6
	v_cndmask_b32_e64 v19, v19, v47, s[0:1]
	v_lshl_add_u32 v19, v19, 10, v28
	v_cndmask_b32_e64 v13, v13, v46, s[0:1]
	v_and_or_b32 v6, v6, s24, v19
	v_lshl_or_b32 v6, v13, 7, v6
	v_cvt_f32_f16_e32 v13, v6
.LBB275_508:                            ;   in Loop: Header=BB275_360 Depth=1
	s_or_b64 exec, exec, s[8:9]
	v_lshrrev_b32_e32 v6, 24, v16
	v_cmp_lt_i16_e64 s[0:1], s22, v6
	s_mov_b64 s[8:9], 0
                                        ; implicit-def: $sgpr34
	s_and_saveexec_b64 s[12:13], s[0:1]
	s_xor_b64 s[12:13], exec, s[12:13]
	s_cbranch_execnz .LBB275_670
; %bb.509:                              ;   in Loop: Header=BB275_360 Depth=1
	s_or_saveexec_b64 s[12:13], s[12:13]
	v_mov_b32_e32 v19, s34
	s_xor_b64 exec, exec, s[12:13]
	s_cbranch_execnz .LBB275_673
.LBB275_510:                            ;   in Loop: Header=BB275_360 Depth=1
	s_or_b64 exec, exec, s[12:13]
	s_and_saveexec_b64 s[12:13], s[8:9]
	s_cbranch_execz .LBB275_512
.LBB275_511:                            ;   in Loop: Header=BB275_360 Depth=1
	v_bfe_u32 v19, v16, 24, 3
	v_ffbh_u32_e32 v46, v19
	v_min_u32_e32 v48, 32, v46
	v_subrev_u32_e32 v46, 28, v48
	v_bfe_u32 v16, v16, 27, 4
	v_lshlrev_b64 v[46:47], v46, v[6:7]
	v_sub_u32_e32 v47, 29, v48
	v_cmp_eq_u32_e64 s[0:1], 0, v16
	v_and_b32_e32 v46, 7, v46
	v_lshlrev_b32_e32 v6, 8, v6
	v_cndmask_b32_e64 v16, v16, v47, s[0:1]
	v_lshl_add_u32 v16, v16, 10, v28
	v_cndmask_b32_e64 v19, v19, v46, s[0:1]
	v_and_or_b32 v6, v6, s24, v16
	v_lshl_or_b32 v6, v19, 7, v6
	v_cvt_f32_f16_e32 v19, v6
.LBB275_512:                            ;   in Loop: Header=BB275_360 Depth=1
	s_or_b64 exec, exec, s[12:13]
	v_cmp_gt_i16_sdwa s[8:9], v17, s22 src0_sel:BYTE_0 src1_sel:DWORD
	s_mov_b64 s[0:1], 0
                                        ; implicit-def: $sgpr14
	s_and_saveexec_b64 s[12:13], s[8:9]
	s_xor_b64 s[8:9], exec, s[12:13]
	s_cbranch_execnz .LBB275_674
; %bb.513:                              ;   in Loop: Header=BB275_360 Depth=1
	s_or_saveexec_b64 s[8:9], s[8:9]
	v_mov_b32_e32 v16, s14
	s_xor_b64 exec, exec, s[8:9]
	s_cbranch_execnz .LBB275_677
.LBB275_514:                            ;   in Loop: Header=BB275_360 Depth=1
	s_or_b64 exec, exec, s[8:9]
	v_mov_b32_e32 v6, v17
	s_and_saveexec_b64 s[8:9], s[0:1]
	s_cbranch_execz .LBB275_516
.LBB275_515:                            ;   in Loop: Header=BB275_360 Depth=1
	v_and_b32_e32 v16, 7, v17
	v_ffbh_u32_e32 v16, v16
	v_bfe_u32 v46, v17, 3, 4
	v_min_u32_e32 v16, 32, v16
	v_subrev_u32_e32 v47, 28, v16
	v_sub_u32_e32 v16, 29, v16
	v_cmp_eq_u32_e64 s[0:1], 0, v46
	s_nop 1
	v_cndmask_b32_e64 v16, v46, v16, s[0:1]
	v_cndmask_b32_e64 v46, 0, v47, s[0:1]
	v_lshlrev_b64 v[46:47], v46, v[6:7]
	v_lshlrev_b32_e32 v47, 8, v17
	v_lshl_add_u32 v16, v16, 10, v28
	v_lshlrev_b32_e32 v46, 7, v46
	v_and_or_b32 v16, v47, s24, v16
	v_and_or_b32 v16, v46, s25, v16
	v_cvt_f32_f16_e32 v16, v16
.LBB275_516:                            ;   in Loop: Header=BB275_360 Depth=1
	s_or_b64 exec, exec, s[8:9]
	v_lshrrev_b16_e32 v6, 8, v6
	v_cmp_lt_i16_e64 s[0:1], s22, v6
	s_mov_b64 s[8:9], 0
                                        ; implicit-def: $sgpr34
	s_and_saveexec_b64 s[12:13], s[0:1]
	s_xor_b64 s[12:13], exec, s[12:13]
	s_cbranch_execnz .LBB275_678
; %bb.517:                              ;   in Loop: Header=BB275_360 Depth=1
	s_or_saveexec_b64 s[12:13], s[12:13]
	v_mov_b32_e32 v46, s34
	s_xor_b64 exec, exec, s[12:13]
	s_cbranch_execnz .LBB275_681
.LBB275_518:                            ;   in Loop: Header=BB275_360 Depth=1
	s_or_b64 exec, exec, s[12:13]
	s_and_saveexec_b64 s[12:13], s[8:9]
	s_cbranch_execz .LBB275_520
.LBB275_519:                            ;   in Loop: Header=BB275_360 Depth=1
	v_and_b32_e32 v48, 7, v6
	v_ffbh_u32_e32 v46, v48
	v_min_u32_e32 v50, 32, v46
	v_subrev_u32_e32 v46, 28, v50
	v_bfe_u32 v49, v6, 3, 4
	v_lshlrev_b64 v[46:47], v46, v[6:7]
	v_sub_u32_e32 v47, 29, v50
	v_cmp_eq_u32_e64 s[0:1], 0, v49
	v_and_b32_e32 v46, 7, v46
	v_lshlrev_b32_e32 v6, 8, v6
	v_cndmask_b32_e64 v47, v49, v47, s[0:1]
	v_lshl_add_u32 v47, v47, 10, v28
	v_cndmask_b32_e64 v46, v48, v46, s[0:1]
	v_and_or_b32 v6, v6, s24, v47
	v_lshl_or_b32 v6, v46, 7, v6
	v_cvt_f32_f16_e32 v46, v6
.LBB275_520:                            ;   in Loop: Header=BB275_360 Depth=1
	s_or_b64 exec, exec, s[12:13]
	v_lshrrev_b32_e32 v6, 16, v17
	v_cmp_gt_i16_sdwa s[8:9], v6, s22 src0_sel:BYTE_0 src1_sel:DWORD
	s_mov_b64 s[0:1], 0
                                        ; implicit-def: $sgpr14
	s_and_saveexec_b64 s[12:13], s[8:9]
	s_xor_b64 s[8:9], exec, s[12:13]
	s_cbranch_execnz .LBB275_682
; %bb.521:                              ;   in Loop: Header=BB275_360 Depth=1
	s_or_saveexec_b64 s[8:9], s[8:9]
	v_mov_b32_e32 v47, s14
	s_xor_b64 exec, exec, s[8:9]
	s_cbranch_execnz .LBB275_685
.LBB275_522:                            ;   in Loop: Header=BB275_360 Depth=1
	s_or_b64 exec, exec, s[8:9]
	s_and_saveexec_b64 s[8:9], s[0:1]
	s_cbranch_execz .LBB275_524
.LBB275_523:                            ;   in Loop: Header=BB275_360 Depth=1
	v_bfe_u32 v47, v17, 16, 3
	v_ffbh_u32_e32 v48, v47
	v_min_u32_e32 v51, 32, v48
	v_subrev_u32_e32 v48, 28, v51
	v_bfe_u32 v50, v17, 19, 4
	v_lshlrev_b64 v[48:49], v48, v[6:7]
	v_sub_u32_e32 v49, 29, v51
	v_cmp_eq_u32_e64 s[0:1], 0, v50
	v_and_b32_e32 v48, 7, v48
	v_lshlrev_b32_e32 v6, 8, v6
	v_cndmask_b32_e64 v49, v50, v49, s[0:1]
	v_cndmask_b32_e64 v47, v47, v48, s[0:1]
	v_lshl_add_u32 v48, v49, 10, v28
	v_and_or_b32 v6, v6, s24, v48
	v_lshl_or_b32 v6, v47, 7, v6
	v_cvt_f32_f16_e32 v47, v6
.LBB275_524:                            ;   in Loop: Header=BB275_360 Depth=1
	s_or_b64 exec, exec, s[8:9]
	v_lshrrev_b32_e32 v6, 24, v17
	v_cmp_lt_i16_e64 s[0:1], s22, v6
	s_mov_b64 s[8:9], 0
                                        ; implicit-def: $sgpr34
	s_and_saveexec_b64 s[12:13], s[0:1]
	s_xor_b64 s[12:13], exec, s[12:13]
	s_cbranch_execnz .LBB275_686
; %bb.525:                              ;   in Loop: Header=BB275_360 Depth=1
	s_or_saveexec_b64 s[12:13], s[12:13]
	v_mov_b32_e32 v48, s34
	s_xor_b64 exec, exec, s[12:13]
	s_cbranch_execnz .LBB275_689
.LBB275_526:                            ;   in Loop: Header=BB275_360 Depth=1
	s_or_b64 exec, exec, s[12:13]
	s_and_saveexec_b64 s[12:13], s[8:9]
	s_cbranch_execz .LBB275_528
.LBB275_527:                            ;   in Loop: Header=BB275_360 Depth=1
	v_bfe_u32 v50, v17, 24, 3
	v_ffbh_u32_e32 v48, v50
	v_min_u32_e32 v51, 32, v48
	v_subrev_u32_e32 v48, 28, v51
	v_bfe_u32 v17, v17, 27, 4
	v_lshlrev_b64 v[48:49], v48, v[6:7]
	v_sub_u32_e32 v49, 29, v51
	v_cmp_eq_u32_e64 s[0:1], 0, v17
	v_and_b32_e32 v48, 7, v48
	v_lshlrev_b32_e32 v6, 8, v6
	v_cndmask_b32_e64 v17, v17, v49, s[0:1]
	v_lshl_add_u32 v17, v17, 10, v28
	v_cndmask_b32_e64 v48, v50, v48, s[0:1]
	v_and_or_b32 v6, v6, s24, v17
	v_lshl_or_b32 v6, v48, 7, v6
	v_cvt_f32_f16_e32 v48, v6
.LBB275_528:                            ;   in Loop: Header=BB275_360 Depth=1
	s_or_b64 exec, exec, s[12:13]
	s_waitcnt vmcnt(0)
	v_pk_mul_f32 v[12:13], v[14:15], v[12:13] op_sel_hi:[0,1]
	v_cvt_f16_f32_e32 v13, v13
	v_cvt_f16_f32_e32 v12, v12
	v_pk_mul_f32 v[18:19], v[14:15], v[18:19] op_sel_hi:[0,1]
	v_cvt_f16_f32_e32 v6, v19
	v_cvt_f16_f32_e32 v17, v18
	v_pack_b32_f16 v12, v12, v13
	v_fma_mixlo_f16 v13, v14, v46, 0
	v_lshlrev_b32_e32 v13, 16, v13
	v_fma_mixlo_f16 v16, v14, v16, 0
	v_or_b32_sdwa v13, v13, v16 dst_sel:DWORD dst_unused:UNUSED_PAD src0_sel:DWORD src1_sel:WORD_0
	v_fma_mixlo_f16 v16, v14, v47, 0
	v_fma_mixlo_f16 v14, v14, v48, 0
	v_pack_b32_f16 v17, v17, v6
	v_lshlrev_b32_e32 v14, 16, v14
	v_perm_b32 v6, v12, v17, s29
	v_perm_b32 v12, v12, v17, s30
	v_or_b32_sdwa v14, v14, v16 dst_sel:DWORD dst_unused:UNUSED_PAD src0_sel:DWORD src1_sel:WORD_0
	s_and_saveexec_b64 s[0:1], vcc
	s_cbranch_execz .LBB275_359
; %bb.529:                              ;   in Loop: Header=BB275_360 Depth=1
	v_lshrrev_b32_e32 v17, 16, v12
	v_cmp_gt_i32_e32 vcc, s27, v35
	v_lshrrev_b32_e32 v14, 16, v14
	s_nop 0
	v_cndmask_b32_e32 v17, 0, v17, vcc
	v_cmp_gt_i32_e32 vcc, s33, v26
	s_nop 1
	v_cndmask_b32_e32 v12, 0, v12, vcc
	v_perm_b32 v12, v17, v12, s31
	v_lshrrev_b32_e32 v17, 16, v6
	v_cmp_gt_i32_e32 vcc, s27, v34
	s_nop 1
	v_cndmask_b32_e32 v17, 0, v17, vcc
	v_cmp_gt_i32_e32 vcc, s33, v33
	s_nop 1
	v_cndmask_b32_e32 v6, 0, v6, vcc
	v_perm_b32 v6, v17, v6, s31
	v_lshrrev_b32_e32 v17, 16, v13
	v_cmp_gt_i32_e32 vcc, s27, v32
	s_nop 1
	v_cndmask_b32_e32 v17, 0, v17, vcc
	v_cmp_gt_i32_e32 vcc, s33, v31
	s_nop 1
	v_cndmask_b32_e32 v13, 0, v13, vcc
	v_cmp_gt_i32_e32 vcc, s27, v30
	v_perm_b32 v13, v17, v13, s31
	s_nop 0
	v_cndmask_b32_e32 v14, 0, v14, vcc
	v_cmp_gt_i32_e32 vcc, s33, v29
	s_nop 1
	v_cndmask_b32_e32 v16, 0, v16, vcc
	v_perm_b32 v14, v14, v16, s31
	s_branch .LBB275_359
.LBB275_530:                            ;   in Loop: Header=BB275_360 Depth=1
	v_cmp_eq_u16_sdwa s[34:35], v16, s23 src0_sel:BYTE_0 src1_sel:DWORD
	s_mov_b64 s[0:1], -1
                                        ; implicit-def: $sgpr14
	s_and_saveexec_b64 s[12:13], s[34:35]
; %bb.531:                              ;   in Loop: Header=BB275_360 Depth=1
	s_mov_b32 s14, 0x7fc02000
	s_xor_b64 s[0:1], exec, -1
; %bb.532:                              ;   in Loop: Header=BB275_360 Depth=1
	s_or_b64 exec, exec, s[12:13]
	s_and_b64 s[0:1], s[0:1], exec
	s_or_saveexec_b64 s[8:9], s[8:9]
	v_mov_b32_e32 v18, s14
	s_xor_b64 exec, exec, s[8:9]
	s_cbranch_execz .LBB275_362
.LBB275_533:                            ;   in Loop: Header=BB275_360 Depth=1
	v_cmp_ne_u16_sdwa s[12:13], v16, v7 src0_sel:BYTE_0 src1_sel:DWORD
	s_andn2_b64 s[0:1], s[0:1], exec
	s_and_b64 s[12:13], s[12:13], exec
	v_mov_b32_e32 v18, 0
	s_or_b64 s[0:1], s[0:1], s[12:13]
	s_or_b64 exec, exec, s[8:9]
	s_and_saveexec_b64 s[8:9], s[0:1]
	s_cbranch_execnz .LBB275_363
	s_branch .LBB275_364
.LBB275_534:                            ;   in Loop: Header=BB275_360 Depth=1
	v_cmp_eq_u16_e32 vcc, s23, v6
	s_mov_b64 s[0:1], -1
                                        ; implicit-def: $sgpr14
	s_and_saveexec_b64 s[12:13], vcc
; %bb.535:                              ;   in Loop: Header=BB275_360 Depth=1
	s_mov_b32 s14, 0x7fc02000
	s_xor_b64 s[0:1], exec, -1
; %bb.536:                              ;   in Loop: Header=BB275_360 Depth=1
	s_or_b64 exec, exec, s[12:13]
	s_and_b64 s[0:1], s[0:1], exec
	s_or_saveexec_b64 s[8:9], s[8:9]
	v_mov_b32_e32 v20, s14
	s_xor_b64 exec, exec, s[8:9]
	s_cbranch_execz .LBB275_366
.LBB275_537:                            ;   in Loop: Header=BB275_360 Depth=1
	v_cmp_ne_u16_e32 vcc, 0, v6
	s_andn2_b64 s[0:1], s[0:1], exec
	s_and_b64 s[12:13], vcc, exec
	v_mov_b32_e32 v20, 0
	s_or_b64 s[0:1], s[0:1], s[12:13]
	s_or_b64 exec, exec, s[8:9]
	s_and_saveexec_b64 s[8:9], s[0:1]
	s_cbranch_execnz .LBB275_367
	s_branch .LBB275_368
.LBB275_538:                            ;   in Loop: Header=BB275_360 Depth=1
	v_cmp_eq_u16_sdwa s[34:35], v6, s23 src0_sel:BYTE_0 src1_sel:DWORD
	s_mov_b64 s[0:1], -1
                                        ; implicit-def: $sgpr14
	s_and_saveexec_b64 s[12:13], s[34:35]
; %bb.539:                              ;   in Loop: Header=BB275_360 Depth=1
	s_mov_b32 s14, 0x7fc02000
	s_xor_b64 s[0:1], exec, -1
; %bb.540:                              ;   in Loop: Header=BB275_360 Depth=1
	s_or_b64 exec, exec, s[12:13]
	s_and_b64 s[0:1], s[0:1], exec
	s_or_saveexec_b64 s[8:9], s[8:9]
	v_mov_b32_e32 v19, s14
	s_xor_b64 exec, exec, s[8:9]
	s_cbranch_execz .LBB275_370
.LBB275_541:                            ;   in Loop: Header=BB275_360 Depth=1
	v_cmp_ne_u16_sdwa s[12:13], v6, v7 src0_sel:BYTE_0 src1_sel:DWORD
	s_andn2_b64 s[0:1], s[0:1], exec
	s_and_b64 s[12:13], s[12:13], exec
	v_mov_b32_e32 v19, 0
	s_or_b64 s[0:1], s[0:1], s[12:13]
	s_or_b64 exec, exec, s[8:9]
	s_and_saveexec_b64 s[8:9], s[0:1]
	s_cbranch_execnz .LBB275_371
	s_branch .LBB275_372
.LBB275_542:                            ;   in Loop: Header=BB275_360 Depth=1
	v_cmp_eq_u16_e32 vcc, s23, v6
	s_mov_b64 s[0:1], -1
                                        ; implicit-def: $sgpr14
	s_and_saveexec_b64 s[12:13], vcc
; %bb.543:                              ;   in Loop: Header=BB275_360 Depth=1
	s_mov_b32 s14, 0x7fc02000
	s_xor_b64 s[0:1], exec, -1
; %bb.544:                              ;   in Loop: Header=BB275_360 Depth=1
	s_or_b64 exec, exec, s[12:13]
	s_and_b64 s[0:1], s[0:1], exec
	s_or_saveexec_b64 s[8:9], s[8:9]
	v_mov_b32_e32 v21, s14
	s_xor_b64 exec, exec, s[8:9]
	s_cbranch_execz .LBB275_374
.LBB275_545:                            ;   in Loop: Header=BB275_360 Depth=1
	v_cmp_ne_u16_e32 vcc, 0, v6
	s_andn2_b64 s[0:1], s[0:1], exec
	s_and_b64 s[12:13], vcc, exec
	v_mov_b32_e32 v21, 0
	s_or_b64 s[0:1], s[0:1], s[12:13]
	s_or_b64 exec, exec, s[8:9]
	s_and_saveexec_b64 s[8:9], s[0:1]
	s_cbranch_execnz .LBB275_375
	s_branch .LBB275_376
.LBB275_546:                            ;   in Loop: Header=BB275_360 Depth=1
	v_cmp_eq_u16_sdwa s[34:35], v17, s23 src0_sel:BYTE_0 src1_sel:DWORD
	s_mov_b64 s[0:1], -1
                                        ; implicit-def: $sgpr14
	s_and_saveexec_b64 s[12:13], s[34:35]
; %bb.547:                              ;   in Loop: Header=BB275_360 Depth=1
	s_mov_b32 s14, 0x7fc02000
	s_xor_b64 s[0:1], exec, -1
; %bb.548:                              ;   in Loop: Header=BB275_360 Depth=1
	s_or_b64 exec, exec, s[12:13]
	s_and_b64 s[0:1], s[0:1], exec
	s_or_saveexec_b64 s[8:9], s[8:9]
	v_mov_b32_e32 v16, s14
	s_xor_b64 exec, exec, s[8:9]
	s_cbranch_execz .LBB275_378
.LBB275_549:                            ;   in Loop: Header=BB275_360 Depth=1
	v_cmp_ne_u16_sdwa s[12:13], v17, v7 src0_sel:BYTE_0 src1_sel:DWORD
	s_andn2_b64 s[0:1], s[0:1], exec
	s_and_b64 s[12:13], s[12:13], exec
	v_mov_b32_e32 v16, 0
	s_or_b64 s[0:1], s[0:1], s[12:13]
	s_or_b64 exec, exec, s[8:9]
	v_mov_b32_e32 v6, v17
	s_and_saveexec_b64 s[8:9], s[0:1]
	s_cbranch_execnz .LBB275_379
	s_branch .LBB275_380
.LBB275_550:                            ;   in Loop: Header=BB275_360 Depth=1
	v_cmp_eq_u16_e32 vcc, s23, v6
	s_mov_b64 s[0:1], -1
                                        ; implicit-def: $sgpr14
	s_and_saveexec_b64 s[12:13], vcc
; %bb.551:                              ;   in Loop: Header=BB275_360 Depth=1
	s_mov_b32 s14, 0x7fc02000
	s_xor_b64 s[0:1], exec, -1
; %bb.552:                              ;   in Loop: Header=BB275_360 Depth=1
	s_or_b64 exec, exec, s[12:13]
	s_and_b64 s[0:1], s[0:1], exec
	s_or_saveexec_b64 s[8:9], s[8:9]
	v_mov_b32_e32 v29, s14
	s_xor_b64 exec, exec, s[8:9]
	s_cbranch_execz .LBB275_382
.LBB275_553:                            ;   in Loop: Header=BB275_360 Depth=1
	v_cmp_ne_u16_e32 vcc, 0, v6
	s_andn2_b64 s[0:1], s[0:1], exec
	s_and_b64 s[12:13], vcc, exec
	v_mov_b32_e32 v29, 0
	s_or_b64 s[0:1], s[0:1], s[12:13]
	s_or_b64 exec, exec, s[8:9]
	s_and_saveexec_b64 s[8:9], s[0:1]
	s_cbranch_execnz .LBB275_383
	s_branch .LBB275_384
.LBB275_554:                            ;   in Loop: Header=BB275_360 Depth=1
	v_cmp_eq_u16_sdwa s[34:35], v6, s23 src0_sel:BYTE_0 src1_sel:DWORD
	s_mov_b64 s[0:1], -1
                                        ; implicit-def: $sgpr14
	s_and_saveexec_b64 s[12:13], s[34:35]
; %bb.555:                              ;   in Loop: Header=BB275_360 Depth=1
	s_mov_b32 s14, 0x7fc02000
	s_xor_b64 s[0:1], exec, -1
; %bb.556:                              ;   in Loop: Header=BB275_360 Depth=1
	s_or_b64 exec, exec, s[12:13]
	s_and_b64 s[0:1], s[0:1], exec
	s_or_saveexec_b64 s[8:9], s[8:9]
	v_mov_b32_e32 v30, s14
	s_xor_b64 exec, exec, s[8:9]
	s_cbranch_execz .LBB275_386
.LBB275_557:                            ;   in Loop: Header=BB275_360 Depth=1
	v_cmp_ne_u16_sdwa s[12:13], v6, v7 src0_sel:BYTE_0 src1_sel:DWORD
	s_andn2_b64 s[0:1], s[0:1], exec
	s_and_b64 s[12:13], s[12:13], exec
	v_mov_b32_e32 v30, 0
	s_or_b64 s[0:1], s[0:1], s[12:13]
	s_or_b64 exec, exec, s[8:9]
	s_and_saveexec_b64 s[8:9], s[0:1]
	s_cbranch_execnz .LBB275_387
	s_branch .LBB275_388
.LBB275_558:                            ;   in Loop: Header=BB275_360 Depth=1
	v_cmp_eq_u16_e32 vcc, s23, v6
	s_mov_b64 s[0:1], -1
                                        ; implicit-def: $sgpr14
	s_and_saveexec_b64 s[12:13], vcc
; %bb.559:                              ;   in Loop: Header=BB275_360 Depth=1
	s_mov_b32 s14, 0x7fc02000
	s_xor_b64 s[0:1], exec, -1
; %bb.560:                              ;   in Loop: Header=BB275_360 Depth=1
	s_or_b64 exec, exec, s[12:13]
	s_and_b64 s[0:1], s[0:1], exec
	s_or_saveexec_b64 s[8:9], s[8:9]
	v_mov_b32_e32 v31, s14
	s_xor_b64 exec, exec, s[8:9]
	s_cbranch_execz .LBB275_390
.LBB275_561:                            ;   in Loop: Header=BB275_360 Depth=1
	v_cmp_ne_u16_e32 vcc, 0, v6
	s_andn2_b64 s[0:1], s[0:1], exec
	s_and_b64 s[12:13], vcc, exec
	v_mov_b32_e32 v31, 0
	s_or_b64 s[0:1], s[0:1], s[12:13]
	s_or_b64 exec, exec, s[8:9]
	s_and_saveexec_b64 s[8:9], s[0:1]
	s_cbranch_execnz .LBB275_391
	s_branch .LBB275_392
.LBB275_562:                            ;   in Loop: Header=BB275_360 Depth=1
	v_cmp_eq_u16_sdwa s[34:35], v16, s23 src0_sel:BYTE_0 src1_sel:DWORD
	s_mov_b64 s[0:1], -1
                                        ; implicit-def: $sgpr14
	s_and_saveexec_b64 s[12:13], s[34:35]
; %bb.563:                              ;   in Loop: Header=BB275_360 Depth=1
	s_mov_b32 s14, 0x7fc02000
	s_xor_b64 s[0:1], exec, -1
; %bb.564:                              ;   in Loop: Header=BB275_360 Depth=1
	s_or_b64 exec, exec, s[12:13]
	s_and_b64 s[0:1], s[0:1], exec
	s_or_saveexec_b64 s[8:9], s[8:9]
	v_mov_b32_e32 v18, s14
	s_xor_b64 exec, exec, s[8:9]
	s_cbranch_execz .LBB275_396
.LBB275_565:                            ;   in Loop: Header=BB275_360 Depth=1
	v_cmp_ne_u16_sdwa s[12:13], v16, v7 src0_sel:BYTE_0 src1_sel:DWORD
	s_andn2_b64 s[0:1], s[0:1], exec
	s_and_b64 s[12:13], s[12:13], exec
	v_mov_b32_e32 v18, 0
	s_or_b64 s[0:1], s[0:1], s[12:13]
	s_or_b64 exec, exec, s[8:9]
	s_and_saveexec_b64 s[8:9], s[0:1]
	s_cbranch_execnz .LBB275_397
	s_branch .LBB275_398
.LBB275_566:                            ;   in Loop: Header=BB275_360 Depth=1
	v_cmp_eq_u16_e64 s[0:1], s23, v6
	s_mov_b64 s[8:9], -1
                                        ; implicit-def: $sgpr34
	s_and_saveexec_b64 s[14:15], s[0:1]
; %bb.567:                              ;   in Loop: Header=BB275_360 Depth=1
	s_mov_b32 s34, 0x7fc02000
	s_xor_b64 s[8:9], exec, -1
; %bb.568:                              ;   in Loop: Header=BB275_360 Depth=1
	s_or_b64 exec, exec, s[14:15]
	s_and_b64 s[8:9], s[8:9], exec
	s_or_saveexec_b64 s[12:13], s[12:13]
	v_mov_b32_e32 v20, s34
	s_xor_b64 exec, exec, s[12:13]
	s_cbranch_execz .LBB275_400
.LBB275_569:                            ;   in Loop: Header=BB275_360 Depth=1
	v_cmp_ne_u16_e64 s[0:1], 0, v6
	s_andn2_b64 s[8:9], s[8:9], exec
	s_and_b64 s[0:1], s[0:1], exec
	v_mov_b32_e32 v20, 0
	s_or_b64 s[8:9], s[8:9], s[0:1]
	s_or_b64 exec, exec, s[12:13]
	s_and_saveexec_b64 s[12:13], s[8:9]
	s_cbranch_execnz .LBB275_401
	s_branch .LBB275_402
.LBB275_570:                            ;   in Loop: Header=BB275_360 Depth=1
	v_cmp_eq_u16_sdwa s[34:35], v6, s23 src0_sel:BYTE_0 src1_sel:DWORD
	s_mov_b64 s[0:1], -1
                                        ; implicit-def: $sgpr14
	s_and_saveexec_b64 s[12:13], s[34:35]
; %bb.571:                              ;   in Loop: Header=BB275_360 Depth=1
	s_mov_b32 s14, 0x7fc02000
	s_xor_b64 s[0:1], exec, -1
; %bb.572:                              ;   in Loop: Header=BB275_360 Depth=1
	s_or_b64 exec, exec, s[12:13]
	s_and_b64 s[0:1], s[0:1], exec
	s_or_saveexec_b64 s[8:9], s[8:9]
	v_mov_b32_e32 v19, s14
	s_xor_b64 exec, exec, s[8:9]
	s_cbranch_execz .LBB275_404
.LBB275_573:                            ;   in Loop: Header=BB275_360 Depth=1
	v_cmp_ne_u16_sdwa s[12:13], v6, v7 src0_sel:BYTE_0 src1_sel:DWORD
	s_andn2_b64 s[0:1], s[0:1], exec
	s_and_b64 s[12:13], s[12:13], exec
	v_mov_b32_e32 v19, 0
	s_or_b64 s[0:1], s[0:1], s[12:13]
	s_or_b64 exec, exec, s[8:9]
	s_and_saveexec_b64 s[8:9], s[0:1]
	s_cbranch_execnz .LBB275_405
	s_branch .LBB275_406
.LBB275_574:                            ;   in Loop: Header=BB275_360 Depth=1
	v_cmp_eq_u16_e64 s[0:1], s23, v6
	s_mov_b64 s[8:9], -1
                                        ; implicit-def: $sgpr34
	s_and_saveexec_b64 s[14:15], s[0:1]
; %bb.575:                              ;   in Loop: Header=BB275_360 Depth=1
	s_mov_b32 s34, 0x7fc02000
	s_xor_b64 s[8:9], exec, -1
; %bb.576:                              ;   in Loop: Header=BB275_360 Depth=1
	s_or_b64 exec, exec, s[14:15]
	s_and_b64 s[8:9], s[8:9], exec
	s_or_saveexec_b64 s[12:13], s[12:13]
	v_mov_b32_e32 v21, s34
	s_xor_b64 exec, exec, s[12:13]
	s_cbranch_execz .LBB275_408
.LBB275_577:                            ;   in Loop: Header=BB275_360 Depth=1
	v_cmp_ne_u16_e64 s[0:1], 0, v6
	s_andn2_b64 s[8:9], s[8:9], exec
	s_and_b64 s[0:1], s[0:1], exec
	v_mov_b32_e32 v21, 0
	s_or_b64 s[8:9], s[8:9], s[0:1]
	s_or_b64 exec, exec, s[12:13]
	s_and_saveexec_b64 s[12:13], s[8:9]
	s_cbranch_execnz .LBB275_409
	s_branch .LBB275_410
.LBB275_578:                            ;   in Loop: Header=BB275_360 Depth=1
	v_cmp_eq_u16_sdwa s[34:35], v17, s23 src0_sel:BYTE_0 src1_sel:DWORD
	s_mov_b64 s[0:1], -1
                                        ; implicit-def: $sgpr14
	s_and_saveexec_b64 s[12:13], s[34:35]
; %bb.579:                              ;   in Loop: Header=BB275_360 Depth=1
	s_mov_b32 s14, 0x7fc02000
	s_xor_b64 s[0:1], exec, -1
; %bb.580:                              ;   in Loop: Header=BB275_360 Depth=1
	s_or_b64 exec, exec, s[12:13]
	s_and_b64 s[0:1], s[0:1], exec
	s_or_saveexec_b64 s[8:9], s[8:9]
	v_mov_b32_e32 v16, s14
	s_xor_b64 exec, exec, s[8:9]
	s_cbranch_execz .LBB275_412
.LBB275_581:                            ;   in Loop: Header=BB275_360 Depth=1
	v_cmp_ne_u16_sdwa s[12:13], v17, v7 src0_sel:BYTE_0 src1_sel:DWORD
	s_andn2_b64 s[0:1], s[0:1], exec
	s_and_b64 s[12:13], s[12:13], exec
	v_mov_b32_e32 v16, 0
	s_or_b64 s[0:1], s[0:1], s[12:13]
	s_or_b64 exec, exec, s[8:9]
	v_mov_b32_e32 v6, v17
	s_and_saveexec_b64 s[8:9], s[0:1]
	s_cbranch_execnz .LBB275_413
	s_branch .LBB275_414
.LBB275_582:                            ;   in Loop: Header=BB275_360 Depth=1
	v_cmp_eq_u16_e64 s[0:1], s23, v6
	s_mov_b64 s[8:9], -1
                                        ; implicit-def: $sgpr34
	s_and_saveexec_b64 s[14:15], s[0:1]
; %bb.583:                              ;   in Loop: Header=BB275_360 Depth=1
	s_mov_b32 s34, 0x7fc02000
	s_xor_b64 s[8:9], exec, -1
; %bb.584:                              ;   in Loop: Header=BB275_360 Depth=1
	s_or_b64 exec, exec, s[14:15]
	s_and_b64 s[8:9], s[8:9], exec
	s_or_saveexec_b64 s[12:13], s[12:13]
	v_mov_b32_e32 v42, s34
	s_xor_b64 exec, exec, s[12:13]
	s_cbranch_execz .LBB275_416
.LBB275_585:                            ;   in Loop: Header=BB275_360 Depth=1
	v_cmp_ne_u16_e64 s[0:1], 0, v6
	s_andn2_b64 s[8:9], s[8:9], exec
	s_and_b64 s[0:1], s[0:1], exec
	v_mov_b32_e32 v42, 0
	s_or_b64 s[8:9], s[8:9], s[0:1]
	s_or_b64 exec, exec, s[12:13]
	s_and_saveexec_b64 s[12:13], s[8:9]
	s_cbranch_execnz .LBB275_417
	s_branch .LBB275_418
.LBB275_586:                            ;   in Loop: Header=BB275_360 Depth=1
	v_cmp_eq_u16_sdwa s[34:35], v6, s23 src0_sel:BYTE_0 src1_sel:DWORD
	s_mov_b64 s[0:1], -1
                                        ; implicit-def: $sgpr14
	s_and_saveexec_b64 s[12:13], s[34:35]
; %bb.587:                              ;   in Loop: Header=BB275_360 Depth=1
	s_mov_b32 s14, 0x7fc02000
	s_xor_b64 s[0:1], exec, -1
; %bb.588:                              ;   in Loop: Header=BB275_360 Depth=1
	s_or_b64 exec, exec, s[12:13]
	s_and_b64 s[0:1], s[0:1], exec
	s_or_saveexec_b64 s[8:9], s[8:9]
	v_mov_b32_e32 v43, s14
	s_xor_b64 exec, exec, s[8:9]
	s_cbranch_execz .LBB275_420
.LBB275_589:                            ;   in Loop: Header=BB275_360 Depth=1
	v_cmp_ne_u16_sdwa s[12:13], v6, v7 src0_sel:BYTE_0 src1_sel:DWORD
	s_andn2_b64 s[0:1], s[0:1], exec
	s_and_b64 s[12:13], s[12:13], exec
	v_mov_b32_e32 v43, 0
	s_or_b64 s[0:1], s[0:1], s[12:13]
	s_or_b64 exec, exec, s[8:9]
	s_and_saveexec_b64 s[8:9], s[0:1]
	s_cbranch_execnz .LBB275_421
	s_branch .LBB275_422
.LBB275_590:                            ;   in Loop: Header=BB275_360 Depth=1
	v_cmp_eq_u16_e64 s[0:1], s23, v6
	s_mov_b64 s[8:9], -1
                                        ; implicit-def: $sgpr34
	s_and_saveexec_b64 s[14:15], s[0:1]
; %bb.591:                              ;   in Loop: Header=BB275_360 Depth=1
	s_mov_b32 s34, 0x7fc02000
	s_xor_b64 s[8:9], exec, -1
; %bb.592:                              ;   in Loop: Header=BB275_360 Depth=1
	s_or_b64 exec, exec, s[14:15]
	s_and_b64 s[8:9], s[8:9], exec
	s_or_saveexec_b64 s[12:13], s[12:13]
	v_mov_b32_e32 v44, s34
	s_xor_b64 exec, exec, s[12:13]
	s_cbranch_execz .LBB275_424
.LBB275_593:                            ;   in Loop: Header=BB275_360 Depth=1
	v_cmp_ne_u16_e64 s[0:1], 0, v6
	s_andn2_b64 s[8:9], s[8:9], exec
	s_and_b64 s[0:1], s[0:1], exec
	v_mov_b32_e32 v44, 0
	s_or_b64 s[8:9], s[8:9], s[0:1]
	s_or_b64 exec, exec, s[12:13]
	s_and_saveexec_b64 s[12:13], s[8:9]
	s_cbranch_execnz .LBB275_425
	s_branch .LBB275_426
.LBB275_594:                            ;   in Loop: Header=BB275_360 Depth=1
	v_cmp_eq_u16_sdwa s[34:35], v16, s23 src0_sel:BYTE_0 src1_sel:DWORD
	s_mov_b64 s[0:1], -1
                                        ; implicit-def: $sgpr14
	s_and_saveexec_b64 s[12:13], s[34:35]
; %bb.595:                              ;   in Loop: Header=BB275_360 Depth=1
	s_mov_b32 s14, 0x7fc02000
	s_xor_b64 s[0:1], exec, -1
; %bb.596:                              ;   in Loop: Header=BB275_360 Depth=1
	s_or_b64 exec, exec, s[12:13]
	s_and_b64 s[0:1], s[0:1], exec
	s_or_saveexec_b64 s[8:9], s[8:9]
	v_mov_b32_e32 v18, s14
	s_xor_b64 exec, exec, s[8:9]
	s_cbranch_execz .LBB275_430
.LBB275_597:                            ;   in Loop: Header=BB275_360 Depth=1
	v_cmp_ne_u16_sdwa s[12:13], v16, v7 src0_sel:BYTE_0 src1_sel:DWORD
	s_andn2_b64 s[0:1], s[0:1], exec
	s_and_b64 s[12:13], s[12:13], exec
	v_mov_b32_e32 v18, 0
	s_or_b64 s[0:1], s[0:1], s[12:13]
	s_or_b64 exec, exec, s[8:9]
	s_and_saveexec_b64 s[8:9], s[0:1]
	s_cbranch_execnz .LBB275_431
	s_branch .LBB275_432
.LBB275_598:                            ;   in Loop: Header=BB275_360 Depth=1
	v_cmp_eq_u16_e64 s[0:1], s23, v6
	s_mov_b64 s[8:9], -1
                                        ; implicit-def: $sgpr34
	s_and_saveexec_b64 s[14:15], s[0:1]
; %bb.599:                              ;   in Loop: Header=BB275_360 Depth=1
	s_mov_b32 s34, 0x7fc02000
	s_xor_b64 s[8:9], exec, -1
; %bb.600:                              ;   in Loop: Header=BB275_360 Depth=1
	s_or_b64 exec, exec, s[14:15]
	s_and_b64 s[8:9], s[8:9], exec
	s_or_saveexec_b64 s[12:13], s[12:13]
	v_mov_b32_e32 v20, s34
	s_xor_b64 exec, exec, s[12:13]
	s_cbranch_execz .LBB275_434
.LBB275_601:                            ;   in Loop: Header=BB275_360 Depth=1
	v_cmp_ne_u16_e64 s[0:1], 0, v6
	s_andn2_b64 s[8:9], s[8:9], exec
	s_and_b64 s[0:1], s[0:1], exec
	v_mov_b32_e32 v20, 0
	s_or_b64 s[8:9], s[8:9], s[0:1]
	s_or_b64 exec, exec, s[12:13]
	s_and_saveexec_b64 s[12:13], s[8:9]
	s_cbranch_execnz .LBB275_435
	s_branch .LBB275_436
.LBB275_602:                            ;   in Loop: Header=BB275_360 Depth=1
	v_cmp_eq_u16_sdwa s[34:35], v6, s23 src0_sel:BYTE_0 src1_sel:DWORD
	s_mov_b64 s[0:1], -1
                                        ; implicit-def: $sgpr14
	s_and_saveexec_b64 s[12:13], s[34:35]
; %bb.603:                              ;   in Loop: Header=BB275_360 Depth=1
	s_mov_b32 s14, 0x7fc02000
	s_xor_b64 s[0:1], exec, -1
; %bb.604:                              ;   in Loop: Header=BB275_360 Depth=1
	s_or_b64 exec, exec, s[12:13]
	s_and_b64 s[0:1], s[0:1], exec
	s_or_saveexec_b64 s[8:9], s[8:9]
	v_mov_b32_e32 v19, s14
	s_xor_b64 exec, exec, s[8:9]
	s_cbranch_execz .LBB275_438
.LBB275_605:                            ;   in Loop: Header=BB275_360 Depth=1
	v_cmp_ne_u16_sdwa s[12:13], v6, v7 src0_sel:BYTE_0 src1_sel:DWORD
	s_andn2_b64 s[0:1], s[0:1], exec
	s_and_b64 s[12:13], s[12:13], exec
	v_mov_b32_e32 v19, 0
	s_or_b64 s[0:1], s[0:1], s[12:13]
	s_or_b64 exec, exec, s[8:9]
	s_and_saveexec_b64 s[8:9], s[0:1]
	s_cbranch_execnz .LBB275_439
	s_branch .LBB275_440
.LBB275_606:                            ;   in Loop: Header=BB275_360 Depth=1
	v_cmp_eq_u16_e64 s[0:1], s23, v6
	s_mov_b64 s[8:9], -1
                                        ; implicit-def: $sgpr34
	s_and_saveexec_b64 s[14:15], s[0:1]
; %bb.607:                              ;   in Loop: Header=BB275_360 Depth=1
	s_mov_b32 s34, 0x7fc02000
	s_xor_b64 s[8:9], exec, -1
; %bb.608:                              ;   in Loop: Header=BB275_360 Depth=1
	s_or_b64 exec, exec, s[14:15]
	s_and_b64 s[8:9], s[8:9], exec
	s_or_saveexec_b64 s[12:13], s[12:13]
	v_mov_b32_e32 v21, s34
	s_xor_b64 exec, exec, s[12:13]
	s_cbranch_execz .LBB275_442
.LBB275_609:                            ;   in Loop: Header=BB275_360 Depth=1
	v_cmp_ne_u16_e64 s[0:1], 0, v6
	s_andn2_b64 s[8:9], s[8:9], exec
	s_and_b64 s[0:1], s[0:1], exec
	v_mov_b32_e32 v21, 0
	s_or_b64 s[8:9], s[8:9], s[0:1]
	s_or_b64 exec, exec, s[12:13]
	s_and_saveexec_b64 s[12:13], s[8:9]
	s_cbranch_execnz .LBB275_443
	s_branch .LBB275_444
.LBB275_610:                            ;   in Loop: Header=BB275_360 Depth=1
	v_cmp_eq_u16_sdwa s[34:35], v17, s23 src0_sel:BYTE_0 src1_sel:DWORD
	s_mov_b64 s[0:1], -1
                                        ; implicit-def: $sgpr14
	s_and_saveexec_b64 s[12:13], s[34:35]
; %bb.611:                              ;   in Loop: Header=BB275_360 Depth=1
	s_mov_b32 s14, 0x7fc02000
	s_xor_b64 s[0:1], exec, -1
; %bb.612:                              ;   in Loop: Header=BB275_360 Depth=1
	s_or_b64 exec, exec, s[12:13]
	s_and_b64 s[0:1], s[0:1], exec
	s_or_saveexec_b64 s[8:9], s[8:9]
	v_mov_b32_e32 v16, s14
	s_xor_b64 exec, exec, s[8:9]
	s_cbranch_execz .LBB275_446
.LBB275_613:                            ;   in Loop: Header=BB275_360 Depth=1
	v_cmp_ne_u16_sdwa s[12:13], v17, v7 src0_sel:BYTE_0 src1_sel:DWORD
	s_andn2_b64 s[0:1], s[0:1], exec
	s_and_b64 s[12:13], s[12:13], exec
	v_mov_b32_e32 v16, 0
	s_or_b64 s[0:1], s[0:1], s[12:13]
	s_or_b64 exec, exec, s[8:9]
	v_mov_b32_e32 v6, v17
	s_and_saveexec_b64 s[8:9], s[0:1]
	s_cbranch_execnz .LBB275_447
	s_branch .LBB275_448
.LBB275_614:                            ;   in Loop: Header=BB275_360 Depth=1
	v_cmp_eq_u16_e64 s[0:1], s23, v6
	s_mov_b64 s[8:9], -1
                                        ; implicit-def: $sgpr34
	s_and_saveexec_b64 s[14:15], s[0:1]
; %bb.615:                              ;   in Loop: Header=BB275_360 Depth=1
	s_mov_b32 s34, 0x7fc02000
	s_xor_b64 s[8:9], exec, -1
; %bb.616:                              ;   in Loop: Header=BB275_360 Depth=1
	s_or_b64 exec, exec, s[14:15]
	s_and_b64 s[8:9], s[8:9], exec
	s_or_saveexec_b64 s[12:13], s[12:13]
	v_mov_b32_e32 v44, s34
	s_xor_b64 exec, exec, s[12:13]
	s_cbranch_execz .LBB275_450
.LBB275_617:                            ;   in Loop: Header=BB275_360 Depth=1
	v_cmp_ne_u16_e64 s[0:1], 0, v6
	s_andn2_b64 s[8:9], s[8:9], exec
	s_and_b64 s[0:1], s[0:1], exec
	v_mov_b32_e32 v44, 0
	s_or_b64 s[8:9], s[8:9], s[0:1]
	s_or_b64 exec, exec, s[12:13]
	s_and_saveexec_b64 s[12:13], s[8:9]
	s_cbranch_execnz .LBB275_451
	s_branch .LBB275_452
.LBB275_618:                            ;   in Loop: Header=BB275_360 Depth=1
	v_cmp_eq_u16_sdwa s[34:35], v6, s23 src0_sel:BYTE_0 src1_sel:DWORD
	s_mov_b64 s[0:1], -1
                                        ; implicit-def: $sgpr14
	s_and_saveexec_b64 s[12:13], s[34:35]
; %bb.619:                              ;   in Loop: Header=BB275_360 Depth=1
	s_mov_b32 s14, 0x7fc02000
	s_xor_b64 s[0:1], exec, -1
; %bb.620:                              ;   in Loop: Header=BB275_360 Depth=1
	s_or_b64 exec, exec, s[12:13]
	s_and_b64 s[0:1], s[0:1], exec
	s_or_saveexec_b64 s[8:9], s[8:9]
	v_mov_b32_e32 v45, s14
	s_xor_b64 exec, exec, s[8:9]
	s_cbranch_execz .LBB275_454
.LBB275_621:                            ;   in Loop: Header=BB275_360 Depth=1
	v_cmp_ne_u16_sdwa s[12:13], v6, v7 src0_sel:BYTE_0 src1_sel:DWORD
	s_andn2_b64 s[0:1], s[0:1], exec
	s_and_b64 s[12:13], s[12:13], exec
	v_mov_b32_e32 v45, 0
	s_or_b64 s[0:1], s[0:1], s[12:13]
	s_or_b64 exec, exec, s[8:9]
	s_and_saveexec_b64 s[8:9], s[0:1]
	s_cbranch_execnz .LBB275_455
	s_branch .LBB275_456
.LBB275_622:                            ;   in Loop: Header=BB275_360 Depth=1
	v_cmp_eq_u16_e64 s[0:1], s23, v6
	s_mov_b64 s[8:9], -1
                                        ; implicit-def: $sgpr34
	s_and_saveexec_b64 s[14:15], s[0:1]
; %bb.623:                              ;   in Loop: Header=BB275_360 Depth=1
	s_mov_b32 s34, 0x7fc02000
	s_xor_b64 s[8:9], exec, -1
; %bb.624:                              ;   in Loop: Header=BB275_360 Depth=1
	s_or_b64 exec, exec, s[14:15]
	s_and_b64 s[8:9], s[8:9], exec
	s_or_saveexec_b64 s[12:13], s[12:13]
	v_mov_b32_e32 v46, s34
	s_xor_b64 exec, exec, s[12:13]
	s_cbranch_execz .LBB275_458
.LBB275_625:                            ;   in Loop: Header=BB275_360 Depth=1
	v_cmp_ne_u16_e64 s[0:1], 0, v6
	s_andn2_b64 s[8:9], s[8:9], exec
	s_and_b64 s[0:1], s[0:1], exec
	v_mov_b32_e32 v46, 0
	s_or_b64 s[8:9], s[8:9], s[0:1]
	s_or_b64 exec, exec, s[12:13]
	s_and_saveexec_b64 s[12:13], s[8:9]
	s_cbranch_execnz .LBB275_459
	s_branch .LBB275_460
.LBB275_626:                            ;   in Loop: Header=BB275_360 Depth=1
	v_cmp_eq_u16_sdwa s[34:35], v16, s23 src0_sel:BYTE_0 src1_sel:DWORD
	s_mov_b64 s[0:1], -1
                                        ; implicit-def: $sgpr14
	s_and_saveexec_b64 s[12:13], s[34:35]
; %bb.627:                              ;   in Loop: Header=BB275_360 Depth=1
	s_mov_b32 s14, 0x7fc02000
	s_xor_b64 s[0:1], exec, -1
; %bb.628:                              ;   in Loop: Header=BB275_360 Depth=1
	s_or_b64 exec, exec, s[12:13]
	s_and_b64 s[0:1], s[0:1], exec
	s_or_saveexec_b64 s[8:9], s[8:9]
	v_mov_b32_e32 v18, s14
	s_xor_b64 exec, exec, s[8:9]
	s_cbranch_execz .LBB275_464
.LBB275_629:                            ;   in Loop: Header=BB275_360 Depth=1
	v_cmp_ne_u16_sdwa s[12:13], v16, v7 src0_sel:BYTE_0 src1_sel:DWORD
	s_andn2_b64 s[0:1], s[0:1], exec
	s_and_b64 s[12:13], s[12:13], exec
	v_mov_b32_e32 v18, 0
	s_or_b64 s[0:1], s[0:1], s[12:13]
	s_or_b64 exec, exec, s[8:9]
	s_and_saveexec_b64 s[8:9], s[0:1]
	s_cbranch_execnz .LBB275_465
	s_branch .LBB275_466
.LBB275_630:                            ;   in Loop: Header=BB275_360 Depth=1
	v_cmp_eq_u16_e64 s[0:1], s23, v6
	s_mov_b64 s[8:9], -1
                                        ; implicit-def: $sgpr34
	s_and_saveexec_b64 s[14:15], s[0:1]
; %bb.631:                              ;   in Loop: Header=BB275_360 Depth=1
	s_mov_b32 s34, 0x7fc02000
	s_xor_b64 s[8:9], exec, -1
; %bb.632:                              ;   in Loop: Header=BB275_360 Depth=1
	s_or_b64 exec, exec, s[14:15]
	s_and_b64 s[8:9], s[8:9], exec
	s_or_saveexec_b64 s[12:13], s[12:13]
	v_mov_b32_e32 v20, s34
	s_xor_b64 exec, exec, s[12:13]
	s_cbranch_execz .LBB275_468
.LBB275_633:                            ;   in Loop: Header=BB275_360 Depth=1
	v_cmp_ne_u16_e64 s[0:1], 0, v6
	s_andn2_b64 s[8:9], s[8:9], exec
	s_and_b64 s[0:1], s[0:1], exec
	v_mov_b32_e32 v20, 0
	s_or_b64 s[8:9], s[8:9], s[0:1]
	s_or_b64 exec, exec, s[12:13]
	s_and_saveexec_b64 s[12:13], s[8:9]
	s_cbranch_execnz .LBB275_469
	s_branch .LBB275_470
.LBB275_634:                            ;   in Loop: Header=BB275_360 Depth=1
	v_cmp_eq_u16_sdwa s[34:35], v6, s23 src0_sel:BYTE_0 src1_sel:DWORD
	s_mov_b64 s[0:1], -1
                                        ; implicit-def: $sgpr14
	s_and_saveexec_b64 s[12:13], s[34:35]
; %bb.635:                              ;   in Loop: Header=BB275_360 Depth=1
	s_mov_b32 s14, 0x7fc02000
	s_xor_b64 s[0:1], exec, -1
; %bb.636:                              ;   in Loop: Header=BB275_360 Depth=1
	s_or_b64 exec, exec, s[12:13]
	s_and_b64 s[0:1], s[0:1], exec
	s_or_saveexec_b64 s[8:9], s[8:9]
	v_mov_b32_e32 v19, s14
	s_xor_b64 exec, exec, s[8:9]
	s_cbranch_execz .LBB275_472
.LBB275_637:                            ;   in Loop: Header=BB275_360 Depth=1
	v_cmp_ne_u16_sdwa s[12:13], v6, v7 src0_sel:BYTE_0 src1_sel:DWORD
	s_andn2_b64 s[0:1], s[0:1], exec
	s_and_b64 s[12:13], s[12:13], exec
	v_mov_b32_e32 v19, 0
	s_or_b64 s[0:1], s[0:1], s[12:13]
	s_or_b64 exec, exec, s[8:9]
	s_and_saveexec_b64 s[8:9], s[0:1]
	s_cbranch_execnz .LBB275_473
	s_branch .LBB275_474
.LBB275_638:                            ;   in Loop: Header=BB275_360 Depth=1
	v_cmp_eq_u16_e64 s[0:1], s23, v6
	s_mov_b64 s[8:9], -1
                                        ; implicit-def: $sgpr34
	s_and_saveexec_b64 s[14:15], s[0:1]
; %bb.639:                              ;   in Loop: Header=BB275_360 Depth=1
	s_mov_b32 s34, 0x7fc02000
	s_xor_b64 s[8:9], exec, -1
; %bb.640:                              ;   in Loop: Header=BB275_360 Depth=1
	s_or_b64 exec, exec, s[14:15]
	s_and_b64 s[8:9], s[8:9], exec
	s_or_saveexec_b64 s[12:13], s[12:13]
	v_mov_b32_e32 v21, s34
	s_xor_b64 exec, exec, s[12:13]
	s_cbranch_execz .LBB275_476
.LBB275_641:                            ;   in Loop: Header=BB275_360 Depth=1
	v_cmp_ne_u16_e64 s[0:1], 0, v6
	s_andn2_b64 s[8:9], s[8:9], exec
	s_and_b64 s[0:1], s[0:1], exec
	v_mov_b32_e32 v21, 0
	s_or_b64 s[8:9], s[8:9], s[0:1]
	s_or_b64 exec, exec, s[12:13]
	s_and_saveexec_b64 s[12:13], s[8:9]
	s_cbranch_execnz .LBB275_477
	s_branch .LBB275_478
.LBB275_642:                            ;   in Loop: Header=BB275_360 Depth=1
	v_cmp_eq_u16_sdwa s[34:35], v17, s23 src0_sel:BYTE_0 src1_sel:DWORD
	s_mov_b64 s[0:1], -1
                                        ; implicit-def: $sgpr14
	s_and_saveexec_b64 s[12:13], s[34:35]
; %bb.643:                              ;   in Loop: Header=BB275_360 Depth=1
	s_mov_b32 s14, 0x7fc02000
	s_xor_b64 s[0:1], exec, -1
; %bb.644:                              ;   in Loop: Header=BB275_360 Depth=1
	s_or_b64 exec, exec, s[12:13]
	s_and_b64 s[0:1], s[0:1], exec
	s_or_saveexec_b64 s[8:9], s[8:9]
	v_mov_b32_e32 v16, s14
	s_xor_b64 exec, exec, s[8:9]
	s_cbranch_execz .LBB275_480
.LBB275_645:                            ;   in Loop: Header=BB275_360 Depth=1
	v_cmp_ne_u16_sdwa s[12:13], v17, v7 src0_sel:BYTE_0 src1_sel:DWORD
	s_andn2_b64 s[0:1], s[0:1], exec
	s_and_b64 s[12:13], s[12:13], exec
	v_mov_b32_e32 v16, 0
	s_or_b64 s[0:1], s[0:1], s[12:13]
	s_or_b64 exec, exec, s[8:9]
	v_mov_b32_e32 v6, v17
	s_and_saveexec_b64 s[8:9], s[0:1]
	s_cbranch_execnz .LBB275_481
	s_branch .LBB275_482
.LBB275_646:                            ;   in Loop: Header=BB275_360 Depth=1
	v_cmp_eq_u16_e64 s[0:1], s23, v6
	s_mov_b64 s[8:9], -1
                                        ; implicit-def: $sgpr34
	s_and_saveexec_b64 s[14:15], s[0:1]
; %bb.647:                              ;   in Loop: Header=BB275_360 Depth=1
	s_mov_b32 s34, 0x7fc02000
	s_xor_b64 s[8:9], exec, -1
; %bb.648:                              ;   in Loop: Header=BB275_360 Depth=1
	s_or_b64 exec, exec, s[14:15]
	s_and_b64 s[8:9], s[8:9], exec
	s_or_saveexec_b64 s[12:13], s[12:13]
	v_mov_b32_e32 v46, s34
	s_xor_b64 exec, exec, s[12:13]
	s_cbranch_execz .LBB275_484
.LBB275_649:                            ;   in Loop: Header=BB275_360 Depth=1
	v_cmp_ne_u16_e64 s[0:1], 0, v6
	s_andn2_b64 s[8:9], s[8:9], exec
	s_and_b64 s[0:1], s[0:1], exec
	v_mov_b32_e32 v46, 0
	s_or_b64 s[8:9], s[8:9], s[0:1]
	s_or_b64 exec, exec, s[12:13]
	s_and_saveexec_b64 s[12:13], s[8:9]
	s_cbranch_execnz .LBB275_485
	s_branch .LBB275_486
.LBB275_650:                            ;   in Loop: Header=BB275_360 Depth=1
	v_cmp_eq_u16_sdwa s[34:35], v6, s23 src0_sel:BYTE_0 src1_sel:DWORD
	s_mov_b64 s[0:1], -1
                                        ; implicit-def: $sgpr14
	s_and_saveexec_b64 s[12:13], s[34:35]
; %bb.651:                              ;   in Loop: Header=BB275_360 Depth=1
	s_mov_b32 s14, 0x7fc02000
	s_xor_b64 s[0:1], exec, -1
; %bb.652:                              ;   in Loop: Header=BB275_360 Depth=1
	s_or_b64 exec, exec, s[12:13]
	s_and_b64 s[0:1], s[0:1], exec
	s_or_saveexec_b64 s[8:9], s[8:9]
	v_mov_b32_e32 v47, s14
	s_xor_b64 exec, exec, s[8:9]
	s_cbranch_execz .LBB275_488
.LBB275_653:                            ;   in Loop: Header=BB275_360 Depth=1
	v_cmp_ne_u16_sdwa s[12:13], v6, v7 src0_sel:BYTE_0 src1_sel:DWORD
	s_andn2_b64 s[0:1], s[0:1], exec
	s_and_b64 s[12:13], s[12:13], exec
	v_mov_b32_e32 v47, 0
	s_or_b64 s[0:1], s[0:1], s[12:13]
	s_or_b64 exec, exec, s[8:9]
	s_and_saveexec_b64 s[8:9], s[0:1]
	s_cbranch_execnz .LBB275_489
	s_branch .LBB275_490
.LBB275_654:                            ;   in Loop: Header=BB275_360 Depth=1
	v_cmp_eq_u16_e64 s[0:1], s23, v6
	s_mov_b64 s[8:9], -1
                                        ; implicit-def: $sgpr34
	s_and_saveexec_b64 s[14:15], s[0:1]
; %bb.655:                              ;   in Loop: Header=BB275_360 Depth=1
	s_mov_b32 s34, 0x7fc02000
	s_xor_b64 s[8:9], exec, -1
; %bb.656:                              ;   in Loop: Header=BB275_360 Depth=1
	s_or_b64 exec, exec, s[14:15]
	s_and_b64 s[8:9], s[8:9], exec
	s_or_saveexec_b64 s[12:13], s[12:13]
	v_mov_b32_e32 v48, s34
	s_xor_b64 exec, exec, s[12:13]
	s_cbranch_execz .LBB275_492
.LBB275_657:                            ;   in Loop: Header=BB275_360 Depth=1
	v_cmp_ne_u16_e64 s[0:1], 0, v6
	s_andn2_b64 s[8:9], s[8:9], exec
	s_and_b64 s[0:1], s[0:1], exec
	v_mov_b32_e32 v48, 0
	s_or_b64 s[8:9], s[8:9], s[0:1]
	s_or_b64 exec, exec, s[12:13]
	s_and_saveexec_b64 s[12:13], s[8:9]
	s_cbranch_execnz .LBB275_493
	s_branch .LBB275_494
.LBB275_658:                            ;   in Loop: Header=BB275_360 Depth=1
	v_cmp_eq_u16_sdwa s[34:35], v16, s23 src0_sel:BYTE_0 src1_sel:DWORD
	s_mov_b64 s[0:1], -1
                                        ; implicit-def: $sgpr14
	s_and_saveexec_b64 s[12:13], s[34:35]
; %bb.659:                              ;   in Loop: Header=BB275_360 Depth=1
	s_mov_b32 s14, 0x7fc02000
	s_xor_b64 s[0:1], exec, -1
; %bb.660:                              ;   in Loop: Header=BB275_360 Depth=1
	s_or_b64 exec, exec, s[12:13]
	s_and_b64 s[0:1], s[0:1], exec
	s_or_saveexec_b64 s[8:9], s[8:9]
	v_mov_b32_e32 v12, s14
	s_xor_b64 exec, exec, s[8:9]
	s_cbranch_execz .LBB275_498
.LBB275_661:                            ;   in Loop: Header=BB275_360 Depth=1
	v_cmp_ne_u16_sdwa s[12:13], v16, v7 src0_sel:BYTE_0 src1_sel:DWORD
	s_andn2_b64 s[0:1], s[0:1], exec
	s_and_b64 s[12:13], s[12:13], exec
	v_mov_b32_e32 v12, 0
	s_or_b64 s[0:1], s[0:1], s[12:13]
	s_or_b64 exec, exec, s[8:9]
	s_and_saveexec_b64 s[8:9], s[0:1]
	s_cbranch_execnz .LBB275_499
	s_branch .LBB275_500
.LBB275_662:                            ;   in Loop: Header=BB275_360 Depth=1
	v_cmp_eq_u16_e64 s[0:1], s23, v6
	s_mov_b64 s[8:9], -1
                                        ; implicit-def: $sgpr34
	s_and_saveexec_b64 s[14:15], s[0:1]
; %bb.663:                              ;   in Loop: Header=BB275_360 Depth=1
	s_mov_b32 s34, 0x7fc02000
	s_xor_b64 s[8:9], exec, -1
; %bb.664:                              ;   in Loop: Header=BB275_360 Depth=1
	s_or_b64 exec, exec, s[14:15]
	s_and_b64 s[8:9], s[8:9], exec
	s_or_saveexec_b64 s[12:13], s[12:13]
	v_mov_b32_e32 v18, s34
	s_xor_b64 exec, exec, s[12:13]
	s_cbranch_execz .LBB275_502
.LBB275_665:                            ;   in Loop: Header=BB275_360 Depth=1
	v_cmp_ne_u16_e64 s[0:1], 0, v6
	s_andn2_b64 s[8:9], s[8:9], exec
	s_and_b64 s[0:1], s[0:1], exec
	v_mov_b32_e32 v18, 0
	s_or_b64 s[8:9], s[8:9], s[0:1]
	s_or_b64 exec, exec, s[12:13]
	s_and_saveexec_b64 s[12:13], s[8:9]
	s_cbranch_execnz .LBB275_503
	s_branch .LBB275_504
.LBB275_666:                            ;   in Loop: Header=BB275_360 Depth=1
	v_cmp_eq_u16_sdwa s[34:35], v6, s23 src0_sel:BYTE_0 src1_sel:DWORD
	s_mov_b64 s[0:1], -1
                                        ; implicit-def: $sgpr14
	s_and_saveexec_b64 s[12:13], s[34:35]
; %bb.667:                              ;   in Loop: Header=BB275_360 Depth=1
	s_mov_b32 s14, 0x7fc02000
	s_xor_b64 s[0:1], exec, -1
; %bb.668:                              ;   in Loop: Header=BB275_360 Depth=1
	s_or_b64 exec, exec, s[12:13]
	s_and_b64 s[0:1], s[0:1], exec
	s_or_saveexec_b64 s[8:9], s[8:9]
	v_mov_b32_e32 v13, s14
	s_xor_b64 exec, exec, s[8:9]
	s_cbranch_execz .LBB275_506
.LBB275_669:                            ;   in Loop: Header=BB275_360 Depth=1
	v_cmp_ne_u16_sdwa s[12:13], v6, v7 src0_sel:BYTE_0 src1_sel:DWORD
	s_andn2_b64 s[0:1], s[0:1], exec
	s_and_b64 s[12:13], s[12:13], exec
	v_mov_b32_e32 v13, 0
	s_or_b64 s[0:1], s[0:1], s[12:13]
	s_or_b64 exec, exec, s[8:9]
	s_and_saveexec_b64 s[8:9], s[0:1]
	s_cbranch_execnz .LBB275_507
	s_branch .LBB275_508
.LBB275_670:                            ;   in Loop: Header=BB275_360 Depth=1
	v_cmp_eq_u16_e64 s[0:1], s23, v6
	s_mov_b64 s[8:9], -1
                                        ; implicit-def: $sgpr34
	s_and_saveexec_b64 s[14:15], s[0:1]
; %bb.671:                              ;   in Loop: Header=BB275_360 Depth=1
	s_mov_b32 s34, 0x7fc02000
	s_xor_b64 s[8:9], exec, -1
; %bb.672:                              ;   in Loop: Header=BB275_360 Depth=1
	s_or_b64 exec, exec, s[14:15]
	s_and_b64 s[8:9], s[8:9], exec
	s_or_saveexec_b64 s[12:13], s[12:13]
	v_mov_b32_e32 v19, s34
	s_xor_b64 exec, exec, s[12:13]
	s_cbranch_execz .LBB275_510
.LBB275_673:                            ;   in Loop: Header=BB275_360 Depth=1
	v_cmp_ne_u16_e64 s[0:1], 0, v6
	s_andn2_b64 s[8:9], s[8:9], exec
	s_and_b64 s[0:1], s[0:1], exec
	v_mov_b32_e32 v19, 0
	s_or_b64 s[8:9], s[8:9], s[0:1]
	s_or_b64 exec, exec, s[12:13]
	s_and_saveexec_b64 s[12:13], s[8:9]
	s_cbranch_execnz .LBB275_511
	s_branch .LBB275_512
.LBB275_674:                            ;   in Loop: Header=BB275_360 Depth=1
	v_cmp_eq_u16_sdwa s[34:35], v17, s23 src0_sel:BYTE_0 src1_sel:DWORD
	s_mov_b64 s[0:1], -1
                                        ; implicit-def: $sgpr14
	s_and_saveexec_b64 s[12:13], s[34:35]
; %bb.675:                              ;   in Loop: Header=BB275_360 Depth=1
	s_mov_b32 s14, 0x7fc02000
	s_xor_b64 s[0:1], exec, -1
; %bb.676:                              ;   in Loop: Header=BB275_360 Depth=1
	s_or_b64 exec, exec, s[12:13]
	s_and_b64 s[0:1], s[0:1], exec
	s_or_saveexec_b64 s[8:9], s[8:9]
	v_mov_b32_e32 v16, s14
	s_xor_b64 exec, exec, s[8:9]
	s_cbranch_execz .LBB275_514
.LBB275_677:                            ;   in Loop: Header=BB275_360 Depth=1
	v_cmp_ne_u16_sdwa s[12:13], v17, v7 src0_sel:BYTE_0 src1_sel:DWORD
	s_andn2_b64 s[0:1], s[0:1], exec
	s_and_b64 s[12:13], s[12:13], exec
	v_mov_b32_e32 v16, 0
	s_or_b64 s[0:1], s[0:1], s[12:13]
	s_or_b64 exec, exec, s[8:9]
	v_mov_b32_e32 v6, v17
	s_and_saveexec_b64 s[8:9], s[0:1]
	s_cbranch_execnz .LBB275_515
	s_branch .LBB275_516
.LBB275_678:                            ;   in Loop: Header=BB275_360 Depth=1
	v_cmp_eq_u16_e64 s[0:1], s23, v6
	s_mov_b64 s[8:9], -1
                                        ; implicit-def: $sgpr34
	s_and_saveexec_b64 s[14:15], s[0:1]
; %bb.679:                              ;   in Loop: Header=BB275_360 Depth=1
	s_mov_b32 s34, 0x7fc02000
	s_xor_b64 s[8:9], exec, -1
; %bb.680:                              ;   in Loop: Header=BB275_360 Depth=1
	s_or_b64 exec, exec, s[14:15]
	s_and_b64 s[8:9], s[8:9], exec
	s_or_saveexec_b64 s[12:13], s[12:13]
	v_mov_b32_e32 v46, s34
	s_xor_b64 exec, exec, s[12:13]
	s_cbranch_execz .LBB275_518
.LBB275_681:                            ;   in Loop: Header=BB275_360 Depth=1
	v_cmp_ne_u16_e64 s[0:1], 0, v6
	s_andn2_b64 s[8:9], s[8:9], exec
	s_and_b64 s[0:1], s[0:1], exec
	v_mov_b32_e32 v46, 0
	s_or_b64 s[8:9], s[8:9], s[0:1]
	s_or_b64 exec, exec, s[12:13]
	s_and_saveexec_b64 s[12:13], s[8:9]
	s_cbranch_execnz .LBB275_519
	s_branch .LBB275_520
.LBB275_682:                            ;   in Loop: Header=BB275_360 Depth=1
	v_cmp_eq_u16_sdwa s[34:35], v6, s23 src0_sel:BYTE_0 src1_sel:DWORD
	s_mov_b64 s[0:1], -1
                                        ; implicit-def: $sgpr14
	s_and_saveexec_b64 s[12:13], s[34:35]
; %bb.683:                              ;   in Loop: Header=BB275_360 Depth=1
	s_mov_b32 s14, 0x7fc02000
	s_xor_b64 s[0:1], exec, -1
; %bb.684:                              ;   in Loop: Header=BB275_360 Depth=1
	s_or_b64 exec, exec, s[12:13]
	s_and_b64 s[0:1], s[0:1], exec
	s_or_saveexec_b64 s[8:9], s[8:9]
	v_mov_b32_e32 v47, s14
	s_xor_b64 exec, exec, s[8:9]
	s_cbranch_execz .LBB275_522
.LBB275_685:                            ;   in Loop: Header=BB275_360 Depth=1
	v_cmp_ne_u16_sdwa s[12:13], v6, v7 src0_sel:BYTE_0 src1_sel:DWORD
	s_andn2_b64 s[0:1], s[0:1], exec
	s_and_b64 s[12:13], s[12:13], exec
	v_mov_b32_e32 v47, 0
	s_or_b64 s[0:1], s[0:1], s[12:13]
	s_or_b64 exec, exec, s[8:9]
	s_and_saveexec_b64 s[8:9], s[0:1]
	s_cbranch_execnz .LBB275_523
	s_branch .LBB275_524
.LBB275_686:                            ;   in Loop: Header=BB275_360 Depth=1
	v_cmp_eq_u16_e64 s[0:1], s23, v6
	s_mov_b64 s[8:9], -1
                                        ; implicit-def: $sgpr34
	s_and_saveexec_b64 s[14:15], s[0:1]
; %bb.687:                              ;   in Loop: Header=BB275_360 Depth=1
	s_mov_b32 s34, 0x7fc02000
	s_xor_b64 s[8:9], exec, -1
; %bb.688:                              ;   in Loop: Header=BB275_360 Depth=1
	s_or_b64 exec, exec, s[14:15]
	s_and_b64 s[8:9], s[8:9], exec
	s_or_saveexec_b64 s[12:13], s[12:13]
	v_mov_b32_e32 v48, s34
	s_xor_b64 exec, exec, s[12:13]
	s_cbranch_execz .LBB275_526
.LBB275_689:                            ;   in Loop: Header=BB275_360 Depth=1
	v_cmp_ne_u16_e64 s[0:1], 0, v6
	s_andn2_b64 s[8:9], s[8:9], exec
	s_and_b64 s[0:1], s[0:1], exec
	v_mov_b32_e32 v48, 0
	s_or_b64 s[8:9], s[8:9], s[0:1]
	s_or_b64 exec, exec, s[12:13]
	s_and_saveexec_b64 s[12:13], s[8:9]
	s_cbranch_execnz .LBB275_527
	s_branch .LBB275_528
.LBB275_690:
	s_or_b64 exec, exec, s[6:7]
.LBB275_691:
	s_or_b64 exec, exec, s[2:3]
	ds_bpermute_b32 v6, v22, v4
	ds_bpermute_b32 v7, v22, v5
	;; [unrolled: 1-line block ×5, first 2 shown]
	s_waitcnt lgkmcnt(0)
	v_pk_add_f32 v[4:5], v[4:5], v[6:7]
	v_add_f32_e32 v1, v25, v1
	ds_bpermute_b32 v6, v23, v4
	ds_bpermute_b32 v7, v23, v5
	v_pk_add_f32 v[2:3], v[2:3], v[8:9]
	ds_bpermute_b32 v10, v23, v1
	ds_bpermute_b32 v8, v23, v2
	;; [unrolled: 1-line block ×3, first 2 shown]
	s_waitcnt lgkmcnt(3)
	v_pk_add_f32 v[6:7], v[4:5], v[6:7]
	s_barrier
	s_waitcnt lgkmcnt(2)
	v_add_f32_e32 v4, v1, v10
	v_and_b32_e32 v1, 0x3c3, v0
	s_waitcnt lgkmcnt(0)
	v_pk_add_f32 v[2:3], v[2:3], v[8:9]
	v_cmp_eq_u32_e32 vcc, 64, v1
	s_and_saveexec_b64 s[0:1], vcc
	s_cbranch_execz .LBB275_693
; %bb.692:
	v_add_u32_e32 v5, 0xb0, v15
	ds_write2_b32 v5, v6, v7 offset1:16
	ds_write2_b32 v5, v2, v3 offset0:32 offset1:48
	ds_write_b32 v5, v4 offset:256
.LBB275_693:
	s_or_b64 exec, exec, s[0:1]
	v_cmp_gt_u32_e32 vcc, 64, v0
	s_waitcnt lgkmcnt(0)
	s_barrier
	s_and_saveexec_b64 s[0:1], vcc
	s_cbranch_execz .LBB275_701
; %bb.694:
	v_cmp_eq_u32_e32 vcc, 0, v24
	v_lshrrev_b32_e32 v5, 2, v0
	s_and_saveexec_b64 s[2:3], vcc
	s_cbranch_execnz .LBB275_704
; %bb.695:
	s_or_b64 exec, exec, s[2:3]
	s_and_saveexec_b64 s[2:3], vcc
	s_cbranch_execnz .LBB275_705
.LBB275_696:
	s_or_b64 exec, exec, s[2:3]
	s_and_saveexec_b64 s[2:3], vcc
	s_cbranch_execnz .LBB275_706
.LBB275_697:
	s_or_b64 exec, exec, s[2:3]
	s_and_saveexec_b64 s[2:3], vcc
	s_cbranch_execnz .LBB275_707
.LBB275_698:
	s_or_b64 exec, exec, s[2:3]
	s_and_saveexec_b64 s[2:3], vcc
	s_cbranch_execz .LBB275_700
.LBB275_699:
	v_mov_b32_e32 v8, 0xb0
	v_lshl_add_u32 v5, v5, 2, v8
	ds_read_b32 v5, v5 offset:256
	s_waitcnt lgkmcnt(0)
	v_add_f32_e32 v4, v4, v5
.LBB275_700:
	s_or_b64 exec, exec, s[2:3]
.LBB275_701:
	s_or_b64 exec, exec, s[0:1]
	v_cmp_eq_u32_e32 vcc, 0, v1
	s_barrier
	s_and_saveexec_b64 s[0:1], vcc
	s_cbranch_execz .LBB275_703
; %bb.702:
	s_mul_i32 s0, s16, s17
	s_mul_i32 s0, s0, s5
	s_mulk_i32 s0, 0x50
	s_ashr_i32 s1, s0, 31
	s_lshl_b64 s[0:1], s[0:1], 1
	s_add_u32 s2, s20, s0
	s_mul_i32 s0, s17, s18
	s_addc_u32 s3, s21, s1
	s_ashr_i32 s1, s0, 31
	s_lshl_b64 s[0:1], s[0:1], 1
	s_add_u32 s2, s2, s0
	s_mul_i32 s0, s4, 0x50
	s_addc_u32 s3, s3, s1
	s_ashr_i32 s1, s0, 31
	s_lshl_b64 s[0:1], s[0:1], 1
	s_add_u32 s0, s2, s0
	s_addc_u32 s1, s3, s1
	v_lshrrev_b32_e32 v0, 1, v0
	;;#ASMSTART
	v_cvt_f16_f32 v1, v6;

	;;#ASMEND
	global_store_short v0, v1, s[0:1]
	;;#ASMSTART
	v_cvt_f16_f32 v1, v7;

	;;#ASMEND
	global_store_short v0, v1, s[0:1] offset:32
	;;#ASMSTART
	v_cvt_f16_f32 v1, v2;

	;;#ASMEND
	global_store_short v0, v1, s[0:1] offset:64
	;; [unrolled: 5-line block ×4, first 2 shown]
.LBB275_703:
	s_endpgm
.LBB275_704:
	v_mov_b32_e32 v8, 0xb0
	v_lshl_add_u32 v8, v5, 2, v8
	ds_read_b32 v8, v8
	s_waitcnt lgkmcnt(0)
	v_add_f32_e32 v6, v6, v8
	s_or_b64 exec, exec, s[2:3]
	s_and_saveexec_b64 s[2:3], vcc
	s_cbranch_execz .LBB275_696
.LBB275_705:
	v_mov_b32_e32 v8, 0xb0
	v_lshl_add_u32 v8, v5, 2, v8
	ds_read_b32 v8, v8 offset:64
	s_waitcnt lgkmcnt(0)
	v_add_f32_e32 v7, v7, v8
	s_or_b64 exec, exec, s[2:3]
	s_and_saveexec_b64 s[2:3], vcc
	s_cbranch_execz .LBB275_697
.LBB275_706:
	v_mov_b32_e32 v8, 0xb0
	v_lshl_add_u32 v8, v5, 2, v8
	ds_read_b32 v8, v8 offset:128
	s_waitcnt lgkmcnt(0)
	v_add_f32_e32 v2, v2, v8
	s_or_b64 exec, exec, s[2:3]
	s_and_saveexec_b64 s[2:3], vcc
	s_cbranch_execz .LBB275_698
.LBB275_707:
	v_mov_b32_e32 v8, 0xb0
	v_lshl_add_u32 v8, v5, 2, v8
	ds_read_b32 v8, v8 offset:192
	s_waitcnt lgkmcnt(0)
	v_add_f32_e32 v3, v3, v8
	s_or_b64 exec, exec, s[2:3]
	s_and_saveexec_b64 s[2:3], vcc
	s_cbranch_execnz .LBB275_699
	s_branch .LBB275_700
	.section	.rodata,"a",@progbits
	.p2align	6, 0x0
	.amdhsa_kernel _ZN4vllm25paged_attention_v1_kernelIthLi80ELi32ELi128ELNS_18Fp8KVCacheDataTypeE1ELb0EEEvPT_PKS2_PKT0_S8_ifPKiSA_iPKfiiiSC_SC_iiiii
		.amdhsa_group_segment_fixed_size 176
		.amdhsa_private_segment_fixed_size 0
		.amdhsa_kernarg_size 384
		.amdhsa_user_sgpr_count 2
		.amdhsa_user_sgpr_dispatch_ptr 0
		.amdhsa_user_sgpr_queue_ptr 0
		.amdhsa_user_sgpr_kernarg_segment_ptr 1
		.amdhsa_user_sgpr_dispatch_id 0
		.amdhsa_user_sgpr_kernarg_preload_length 0
		.amdhsa_user_sgpr_kernarg_preload_offset 0
		.amdhsa_user_sgpr_private_segment_size 0
		.amdhsa_uses_dynamic_stack 0
		.amdhsa_enable_private_segment 0
		.amdhsa_system_sgpr_workgroup_id_x 1
		.amdhsa_system_sgpr_workgroup_id_y 1
		.amdhsa_system_sgpr_workgroup_id_z 1
		.amdhsa_system_sgpr_workgroup_info 0
		.amdhsa_system_vgpr_workitem_id 0
		.amdhsa_next_free_vgpr 66
		.amdhsa_next_free_sgpr 48
		.amdhsa_accum_offset 68
		.amdhsa_reserve_vcc 1
		.amdhsa_float_round_mode_32 0
		.amdhsa_float_round_mode_16_64 0
		.amdhsa_float_denorm_mode_32 3
		.amdhsa_float_denorm_mode_16_64 3
		.amdhsa_dx10_clamp 1
		.amdhsa_ieee_mode 1
		.amdhsa_fp16_overflow 0
		.amdhsa_tg_split 0
		.amdhsa_exception_fp_ieee_invalid_op 0
		.amdhsa_exception_fp_denorm_src 0
		.amdhsa_exception_fp_ieee_div_zero 0
		.amdhsa_exception_fp_ieee_overflow 0
		.amdhsa_exception_fp_ieee_underflow 0
		.amdhsa_exception_fp_ieee_inexact 0
		.amdhsa_exception_int_div_zero 0
	.end_amdhsa_kernel
	.section	.text._ZN4vllm25paged_attention_v1_kernelIthLi80ELi32ELi128ELNS_18Fp8KVCacheDataTypeE1ELb0EEEvPT_PKS2_PKT0_S8_ifPKiSA_iPKfiiiSC_SC_iiiii,"axG",@progbits,_ZN4vllm25paged_attention_v1_kernelIthLi80ELi32ELi128ELNS_18Fp8KVCacheDataTypeE1ELb0EEEvPT_PKS2_PKT0_S8_ifPKiSA_iPKfiiiSC_SC_iiiii,comdat
.Lfunc_end275:
	.size	_ZN4vllm25paged_attention_v1_kernelIthLi80ELi32ELi128ELNS_18Fp8KVCacheDataTypeE1ELb0EEEvPT_PKS2_PKT0_S8_ifPKiSA_iPKfiiiSC_SC_iiiii, .Lfunc_end275-_ZN4vllm25paged_attention_v1_kernelIthLi80ELi32ELi128ELNS_18Fp8KVCacheDataTypeE1ELb0EEEvPT_PKS2_PKT0_S8_ifPKiSA_iPKfiiiSC_SC_iiiii
                                        ; -- End function
	.section	.AMDGPU.csdata,"",@progbits
; Kernel info:
; codeLenInByte = 27620
; NumSgprs: 54
; NumVgprs: 66
; NumAgprs: 0
; TotalNumVgprs: 66
; ScratchSize: 0
; MemoryBound: 0
; FloatMode: 240
; IeeeMode: 1
; LDSByteSize: 176 bytes/workgroup (compile time only)
; SGPRBlocks: 6
; VGPRBlocks: 8
; NumSGPRsForWavesPerEU: 54
; NumVGPRsForWavesPerEU: 66
; AccumOffset: 68
; Occupancy: 7
; WaveLimiterHint : 1
; COMPUTE_PGM_RSRC2:SCRATCH_EN: 0
; COMPUTE_PGM_RSRC2:USER_SGPR: 2
; COMPUTE_PGM_RSRC2:TRAP_HANDLER: 0
; COMPUTE_PGM_RSRC2:TGID_X_EN: 1
; COMPUTE_PGM_RSRC2:TGID_Y_EN: 1
; COMPUTE_PGM_RSRC2:TGID_Z_EN: 1
; COMPUTE_PGM_RSRC2:TIDIG_COMP_CNT: 0
; COMPUTE_PGM_RSRC3_GFX90A:ACCUM_OFFSET: 16
; COMPUTE_PGM_RSRC3_GFX90A:TG_SPLIT: 0
	.text
	.p2align	2                               ; -- Begin function _ZN4vllm22paged_attention_kernelIthLi96ELi32ELi128ELNS_18Fp8KVCacheDataTypeE1ELb0ELi0EEEvPfS2_PT_PKS3_PKT0_S9_ifPKiSB_iPKfiiiSD_SD_iiiii
	.type	_ZN4vllm22paged_attention_kernelIthLi96ELi32ELi128ELNS_18Fp8KVCacheDataTypeE1ELb0ELi0EEEvPfS2_PT_PKS3_PKT0_S9_ifPKiSB_iPKfiiiSD_SD_iiiii,@function
_ZN4vllm22paged_attention_kernelIthLi96ELi32ELi128ELNS_18Fp8KVCacheDataTypeE1ELb0ELi0EEEvPfS2_PT_PKS3_PKT0_S9_ifPKiSB_iPKfiiiSD_SD_iiiii: ; @_ZN4vllm22paged_attention_kernelIthLi96ELi32ELi128ELNS_18Fp8KVCacheDataTypeE1ELb0ELi0EEEvPfS2_PT_PKS3_PKT0_S9_ifPKiSB_iPKfiiiSD_SD_iiiii
; %bb.0:
	s_waitcnt vmcnt(0) expcnt(0) lgkmcnt(0)
	scratch_store_dword off, v40, s32 offset:64 ; 4-byte Folded Spill
	scratch_store_dword off, v41, s32 offset:60 ; 4-byte Folded Spill
	;; [unrolled: 1-line block ×16, first 2 shown]
	scratch_store_dword off, a32, s32       ; 4-byte Folded Spill
	s_mov_b32 s10, s13
	v_accvgpr_write_b32 a0, v0
	s_ashr_i32 s11, s13, 31
	v_accvgpr_write_b32 a1, v1
	v_lshl_add_u64 v[0:1], s[10:11], 2, v[12:13]
	flat_load_dword a8, v[0:1]
	v_sub_u32_e32 v0, 0, v8
	v_max_i32_e32 v0, v8, v0
	v_cvt_f32_u32_e32 v1, v0
	s_load_dword s0, s[8:9], 0x10
	s_load_dword s2, s[8:9], 0x0
	v_accvgpr_write_b32 a4, v22
	v_accvgpr_write_b32 a5, v23
	v_rcp_iflag_f32_e32 v1, v1
	s_waitcnt lgkmcnt(0)
	s_lshr_b32 s0, s0, 16
	s_cmp_lg_u32 s0, 0
	v_mov_b32_e32 v23, v7
	v_mul_f32_e32 v1, 0x4f7ffffe, v1
	v_cvt_u32_f32_e32 v1, v1
	s_cselect_b64 s[0:1], -1, 0
	v_sub_u32_e32 v7, 0, v0
	s_cmp_lg_u64 s[0:1], 0
	v_mul_lo_u32 v7, v7, v1
	s_addc_u32 s11, s2, 0
	v_mul_hi_u32 v7, v1, v7
	s_abs_i32 s0, s11
	v_add_u32_e32 v1, v1, v7
	v_mul_hi_u32 v1, s0, v1
	v_mul_lo_u32 v7, v1, v0
	v_sub_u32_e32 v7, s0, v7
	v_mov_b32_e32 v22, v6
	v_xor_b32_e32 v6, s11, v8
	v_add_u32_e32 v8, 1, v1
	v_cmp_ge_u32_e32 vcc, v7, v0
	v_ashrrev_i32_e32 v6, 31, v6
	v_mov_b32_e32 v25, v16
	v_cndmask_b32_e32 v1, v1, v8, vcc
	v_sub_u32_e32 v8, v7, v0
	v_cndmask_b32_e32 v7, v7, v8, vcc
	v_add_u32_e32 v8, 1, v1
	v_cmp_ge_u32_e32 vcc, v7, v0
	v_mov_b32_e32 v24, v15
	v_accvgpr_write_b32 a20, v20
	v_cndmask_b32_e32 v0, v1, v8, vcc
	v_xor_b32_e32 v0, v0, v6
	v_sub_u32_e32 v1, v0, v6
	v_sub_u32_e32 v0, 0, v1
	v_max_i32_e32 v0, v1, v0
	v_cvt_f32_u32_e32 v6, v0
	v_sub_u32_e32 v7, 0, v0
	s_abs_i32 s2, s12
	v_accvgpr_write_b32 a21, v21
	v_rcp_iflag_f32_e32 v6, v6
	v_accvgpr_write_b32 a6, v18
	v_accvgpr_write_b32 a15, v9
	s_mov_b32 s16, s15
	v_mul_f32_e32 v6, 0x4f7ffffe, v6
	v_cvt_u32_f32_e32 v6, v6
	v_cmp_ne_u64_e32 vcc, 0, v[24:25]
	v_mul_lo_u32 v7, v7, v6
	v_mul_hi_u32 v7, v6, v7
	v_add_u32_e32 v6, v6, v7
	v_mad_u64_u32 v[26:27], s[0:1], s2, v6, 0
	v_mov_b32_e32 v6, 0
	scratch_store_dword off, v6, s32 offset:72 ; 4-byte Folded Spill
	s_and_saveexec_b64 s[0:1], vcc
	s_cbranch_execz .LBB276_2
; %bb.1:
	s_ashr_i32 s13, s12, 31
	v_lshl_add_u64 v[6:7], s[12:13], 2, v[24:25]
	flat_load_dword v6, v[6:7]
	s_waitcnt vmcnt(0) lgkmcnt(0)
	scratch_store_dword off, v6, s32 offset:72 ; 4-byte Folded Spill
.LBB276_2:
	s_or_b64 exec, exec, s[0:1]
	v_and_b32_e32 v18, 0x3ff, v31
	s_ashr_i32 s3, s12, 31
	v_ashrrev_i32_e32 v6, 31, v1
	v_and_b32_e32 v1, 1, v18
	s_movk_i32 s4, 0x60
	s_mulk_i32 s12, 0x60
	v_cmp_gt_u32_e32 vcc, 24, v18
	v_lshlrev_b32_e32 v24, 3, v18
	s_and_saveexec_b64 s[0:1], vcc
	s_cbranch_execz .LBB276_4
; %bb.3:
	v_mul_lo_u32 v8, s10, v17
	v_ashrrev_i32_e32 v9, 31, v8
	v_lshl_add_u64 v[2:3], v[8:9], 1, v[2:3]
	s_ashr_i32 s13, s12, 31
	v_lshl_add_u64 v[2:3], s[12:13], 1, v[2:3]
	v_mov_b32_e32 v25, 0
	v_lshl_add_u64 v[2:3], v[2:3], 0, v[24:25]
	flat_load_dwordx2 v[2:3], v[2:3]
	v_lshlrev_b32_e32 v7, 2, v18
	v_and_b32_e32 v7, 0xff8, v7
	v_mad_u32_u24 v7, v1, s4, v7
	s_waitcnt vmcnt(0) lgkmcnt(0)
	ds_write_b64 v7, v[2:3]
.LBB276_4:
	s_or_b64 exec, exec, s[0:1]
	s_waitcnt vmcnt(0)
	v_accvgpr_read_b32 v2, a8
	v_add_u32_e32 v2, 31, v2
	v_ashrrev_i32_e32 v3, 31, v2
	v_lshrrev_b32_e32 v3, 27, v3
	v_add_u32_e32 v2, v2, v3
	v_mul_lo_u32 v3, v27, v0
	v_sub_u32_e32 v3, s2, v3
	v_ashrrev_i32_e32 v8, 5, v2
	v_xor_b32_e32 v2, s3, v6
	v_add_u32_e32 v6, 1, v27
	v_cmp_ge_u32_e32 vcc, v3, v0
	v_sub_u32_e32 v7, v3, v0
	v_lshrrev_b32_e32 v9, 6, v18
	v_cndmask_b32_e32 v6, v27, v6, vcc
	v_cndmask_b32_e32 v3, v3, v7, vcc
	v_add_u32_e32 v7, 1, v6
	v_cmp_ge_u32_e32 vcc, v3, v0
	v_mul_lo_u32 v26, s10, v14
	v_ashrrev_i32_e32 v27, 31, v26
	v_cndmask_b32_e32 v0, v6, v7, vcc
	v_xor_b32_e32 v0, v0, v2
	v_sub_u32_e32 v3, v0, v2
	v_cmp_lt_i32_e64 s[0:1], v9, v8
	v_accvgpr_write_b32 a3, v8
	v_accvgpr_write_b32 a7, v9
	v_cmp_ge_i32_e32 vcc, v9, v8
	v_mbcnt_lo_u32_b32 v2, -1, 0
	s_waitcnt lgkmcnt(0)
	s_barrier
	s_waitcnt lgkmcnt(0)
                                        ; implicit-def: $sgpr4
                                        ; implicit-def: $agpr22
                                        ; implicit-def: $vgpr0
	s_and_saveexec_b64 s[2:3], vcc
	s_xor_b64 s[2:3], exec, s[2:3]
; %bb.5:
	v_mbcnt_hi_u32_b32 v0, -1, v2
	v_accvgpr_write_b32 a22, v0
	v_and_b32_e32 v0, 64, v0
	v_add_u32_e32 v0, 64, v0
	s_mov_b32 s4, 0xff7fffff
                                        ; implicit-def: $vgpr1
                                        ; kill: killed $vgpr1
                                        ; implicit-def: $agpr15
                                        ; implicit-def: $agpr20
                                        ; implicit-def: $vgpr4
                                        ; implicit-def: $vgpr1
                                        ; implicit-def: $vgpr2
; %bb.6:
	s_or_saveexec_b64 s[6:7], s[2:3]
	s_load_dword s15, s[8:9], 0x14
	s_load_dword s13, s[8:9], 0x8
	v_mul_lo_u32 v28, v3, v19
	v_mov_b32_e32 v6, s4
	v_ashrrev_i32_e32 v29, 31, v28
	v_lshrrev_b32_e32 v25, 4, v18
	s_xor_b64 exec, exec, s[6:7]
	s_cbranch_execz .LBB276_396
; %bb.7:
	v_mul_u32_u24_e32 v0, 0x60, v1
	v_accvgpr_write_b32 a23, v0
	scratch_load_dword v0, off, s32 offset:72 ; 4-byte Folded Reload
	v_bfe_u32 v3, v18, 1, 5
	v_lshl_add_u64 v[6:7], v[4:5], 0, v[28:29]
	v_lshlrev_b32_e32 v4, 4, v3
	v_mov_b32_e32 v5, 0
	v_lshl_add_u64 v[6:7], v[6:7], 0, v[4:5]
	v_accvgpr_write_b32 a25, v7
	v_and_b32_e32 v4, 60, v25
	v_accvgpr_write_b32 a24, v6
	v_lshlrev_b32_e32 v6, 2, v1
	v_cmp_eq_u32_e32 vcc, 0, v1
	v_accvgpr_read_b32 v49, a7
	s_ashr_i32 s17, s16, 31
	s_lshl_b64 s[4:5], s[16:17], 2
	v_mov_b32_e32 v7, v5
	s_getpc_b64 s[8:9]
	s_add_u32 s8, s8, llvm.amdgcn.dynlds.offset.table@rel32@lo+4
	s_addc_u32 s9, s9, llvm.amdgcn.dynlds.offset.table@rel32@hi+12
	v_accvgpr_write_b32 a12, v22
	v_accvgpr_write_b32 a18, v28
	;; [unrolled: 1-line block ×3, first 2 shown]
	s_add_u32 s8, s4, s8
	v_accvgpr_write_b32 a16, v26
	v_accvgpr_write_b32 a10, v10
	;; [unrolled: 1-line block ×7, first 2 shown]
	s_addc_u32 s9, s5, s9
	v_accvgpr_write_b32 a9, v25
	v_accvgpr_write_b32 a17, v27
	;; [unrolled: 1-line block ×3, first 2 shown]
	s_mov_b64 s[18:19], 0
	s_movk_i32 s17, 0x7f
	s_movk_i32 s26, 0x80
	s_mov_b32 s27, 0x8000
	v_mov_b32_e32 v48, 0x1c00
	s_waitcnt vmcnt(0)
	v_cmp_neq_f32_e64 s[2:3], 0, v0
	v_lshl_add_u64 v[0:1], v[26:27], 2, v[4:5]
	v_lshl_add_u64 v[0:1], v[10:11], 0, v[0:1]
	v_accvgpr_write_b32 a29, v1
	v_accvgpr_write_b32 a28, v0
	v_accvgpr_read_b32 v0, a8
	v_sub_u32_e32 v0, 1, v0
	v_accvgpr_write_b32 a30, v0
	v_lshl_or_b32 v0, v49, 5, v3
	v_accvgpr_write_b32 a31, v0
	v_lshlrev_b32_e32 v0, 2, v3
	v_lshl_or_b32 v0, v49, 7, v0
	v_accvgpr_write_b32 a32, v0
	v_mov_b32_e32 v0, 0xff7fffff
	scratch_store_dword off, v0, s32 offset:68 ; 4-byte Folded Spill
	v_mbcnt_hi_u32_b32 v0, -1, v2
	v_accvgpr_write_b32 a22, v0
	s_branch .LBB276_9
.LBB276_8:                              ;   in Loop: Header=BB276_9 Depth=1
	s_or_b64 exec, exec, s[20:21]
	v_accvgpr_read_b32 v1, a31
	s_waitcnt lgkmcnt(0)
	v_accvgpr_read_b32 v2, a28
	v_add_u32_e32 v1, 64, v1
	v_add_u32_e32 v49, 2, v49
	v_accvgpr_read_b32 v3, a29
	v_accvgpr_write_b32 a31, v1
	v_accvgpr_read_b32 v1, a3
	v_lshl_add_u64 v[2:3], v[2:3], 0, 8
	v_cmp_ge_i32_e64 s[4:5], v49, v1
	v_accvgpr_read_b32 v1, a32
	v_accvgpr_write_b32 a29, v3
	v_add_u32_e32 v1, 0x100, v1
	v_accvgpr_write_b32 a28, v2
	s_or_b64 s[18:19], s[4:5], s[18:19]
	v_accvgpr_write_b32 a32, v1
	s_andn2_b64 exec, exec, s[18:19]
	s_cbranch_execz .LBB276_395
.LBB276_9:                              ; =>This Inner Loop Header: Depth=1
	v_accvgpr_read_b32 v0, a28
	v_accvgpr_read_b32 v1, a29
	flat_load_dword v0, v[0:1]
	v_accvgpr_read_b32 v6, a24
	v_accvgpr_read_b32 v2, a6
	v_accvgpr_read_b32 v7, a25
                                        ; implicit-def: $sgpr24
	s_waitcnt vmcnt(0) lgkmcnt(0)
	v_mad_i64_i32 v[0:1], s[4:5], v0, v2, v[6:7]
	v_accvgpr_read_b32 v2, a26
	v_accvgpr_read_b32 v3, a27
	v_lshl_add_u64 v[30:31], v[0:1], 0, v[2:3]
	v_accvgpr_read_b32 v0, a20
	flat_load_dword v8, v[30:31]
	v_accvgpr_read_b32 v1, a21
	flat_load_dword v50, v[0:1]
	s_mov_b64 s[4:5], 0
	s_waitcnt vmcnt(0) lgkmcnt(0)
	v_cmp_gt_i16_sdwa s[20:21], v8, s17 src0_sel:BYTE_0 src1_sel:DWORD
	s_and_saveexec_b64 s[22:23], s[20:21]
	s_xor_b64 s[20:21], exec, s[22:23]
	s_cbranch_execnz .LBB276_203
; %bb.10:                               ;   in Loop: Header=BB276_9 Depth=1
	s_or_saveexec_b64 s[20:21], s[20:21]
	v_mov_b32_e32 v12, s24
	s_xor_b64 exec, exec, s[20:21]
	s_cbranch_execnz .LBB276_206
.LBB276_11:                             ;   in Loop: Header=BB276_9 Depth=1
	s_or_b64 exec, exec, s[20:21]
	s_and_saveexec_b64 s[20:21], s[4:5]
	s_cbranch_execz .LBB276_13
.LBB276_12:                             ;   in Loop: Header=BB276_9 Depth=1
	v_and_b32_e32 v2, 7, v8
	v_ffbh_u32_e32 v0, v2
	v_min_u32_e32 v4, 32, v0
	v_subrev_u32_e32 v0, 28, v4
	v_bfe_u32 v3, v8, 3, 4
	v_lshlrev_b64 v[0:1], v0, v[8:9]
	v_sub_u32_e32 v1, 29, v4
	v_cmp_eq_u32_e64 s[4:5], 0, v3
	v_and_b32_e32 v0, 7, v0
	s_nop 0
	v_cndmask_b32_e64 v1, v3, v1, s[4:5]
	v_cndmask_b32_e64 v0, v2, v0, s[4:5]
	v_lshlrev_b32_e32 v2, 8, v8
	v_lshl_add_u32 v1, v1, 10, v48
	v_and_or_b32 v1, v2, s27, v1
	v_lshl_or_b32 v0, v0, 7, v1
	v_cvt_f32_f16_e32 v12, v0
.LBB276_13:                             ;   in Loop: Header=BB276_9 Depth=1
	s_or_b64 exec, exec, s[20:21]
	v_lshrrev_b16_e32 v4, 8, v8
	v_cmp_lt_i16_e64 s[4:5], s17, v4
	s_mov_b64 s[20:21], 0
                                        ; implicit-def: $sgpr28
	s_and_saveexec_b64 s[22:23], s[4:5]
	s_xor_b64 s[22:23], exec, s[22:23]
	s_cbranch_execnz .LBB276_207
; %bb.14:                               ;   in Loop: Header=BB276_9 Depth=1
	s_or_saveexec_b64 s[22:23], s[22:23]
	v_mov_b32_e32 v19, s28
	s_xor_b64 exec, exec, s[22:23]
	s_cbranch_execnz .LBB276_210
.LBB276_15:                             ;   in Loop: Header=BB276_9 Depth=1
	s_or_b64 exec, exec, s[22:23]
	s_and_saveexec_b64 s[22:23], s[20:21]
	s_cbranch_execz .LBB276_17
.LBB276_16:                             ;   in Loop: Header=BB276_9 Depth=1
	v_and_b32_e32 v2, 7, v4
	v_ffbh_u32_e32 v0, v2
	v_min_u32_e32 v6, 32, v0
	v_subrev_u32_e32 v0, 28, v6
	v_bfe_u32 v3, v4, 3, 4
	v_lshlrev_b64 v[0:1], v0, v[4:5]
	v_sub_u32_e32 v1, 29, v6
	v_cmp_eq_u32_e64 s[4:5], 0, v3
	v_and_b32_e32 v0, 7, v0
	s_nop 0
	v_cndmask_b32_e64 v1, v3, v1, s[4:5]
	v_cndmask_b32_e64 v0, v2, v0, s[4:5]
	v_lshlrev_b32_e32 v2, 8, v4
	v_lshl_add_u32 v1, v1, 10, v48
	v_and_or_b32 v1, v2, s27, v1
	v_lshl_or_b32 v0, v0, 7, v1
	v_cvt_f32_f16_e32 v19, v0
.LBB276_17:                             ;   in Loop: Header=BB276_9 Depth=1
	s_or_b64 exec, exec, s[22:23]
	v_lshrrev_b32_e32 v4, 16, v8
	v_cmp_gt_i16_sdwa s[20:21], v4, s17 src0_sel:BYTE_0 src1_sel:DWORD
	s_mov_b64 s[4:5], 0
                                        ; implicit-def: $sgpr24
	s_and_saveexec_b64 s[22:23], s[20:21]
	s_xor_b64 s[20:21], exec, s[22:23]
	s_cbranch_execnz .LBB276_211
; %bb.18:                               ;   in Loop: Header=BB276_9 Depth=1
	s_or_saveexec_b64 s[20:21], s[20:21]
	v_mov_b32_e32 v28, s24
	s_xor_b64 exec, exec, s[20:21]
	s_cbranch_execnz .LBB276_214
.LBB276_19:                             ;   in Loop: Header=BB276_9 Depth=1
	s_or_b64 exec, exec, s[20:21]
	s_and_saveexec_b64 s[20:21], s[4:5]
	s_cbranch_execz .LBB276_21
.LBB276_20:                             ;   in Loop: Header=BB276_9 Depth=1
	v_bfe_u32 v2, v8, 16, 3
	v_ffbh_u32_e32 v0, v2
	v_min_u32_e32 v6, 32, v0
	v_subrev_u32_e32 v0, 28, v6
	v_bfe_u32 v3, v8, 19, 4
	v_lshlrev_b64 v[0:1], v0, v[4:5]
	v_sub_u32_e32 v1, 29, v6
	v_cmp_eq_u32_e64 s[4:5], 0, v3
	v_and_b32_e32 v0, 7, v0
	s_nop 0
	v_cndmask_b32_e64 v1, v3, v1, s[4:5]
	v_cndmask_b32_e64 v0, v2, v0, s[4:5]
	v_lshlrev_b32_e32 v2, 8, v4
	v_lshl_add_u32 v1, v1, 10, v48
	v_and_or_b32 v1, v2, s27, v1
	v_lshl_or_b32 v0, v0, 7, v1
	v_cvt_f32_f16_e32 v28, v0
.LBB276_21:                             ;   in Loop: Header=BB276_9 Depth=1
	s_or_b64 exec, exec, s[20:21]
	v_lshrrev_b32_e32 v4, 24, v8
	v_cmp_lt_i16_e64 s[4:5], s17, v4
	s_mov_b64 s[20:21], 0
                                        ; implicit-def: $sgpr28
	s_and_saveexec_b64 s[22:23], s[4:5]
	s_xor_b64 s[22:23], exec, s[22:23]
	s_cbranch_execnz .LBB276_215
; %bb.22:                               ;   in Loop: Header=BB276_9 Depth=1
	s_or_saveexec_b64 s[22:23], s[22:23]
	v_mov_b32_e32 v29, s28
	s_xor_b64 exec, exec, s[22:23]
	s_cbranch_execnz .LBB276_218
.LBB276_23:                             ;   in Loop: Header=BB276_9 Depth=1
	s_or_b64 exec, exec, s[22:23]
	s_and_saveexec_b64 s[22:23], s[20:21]
	s_cbranch_execz .LBB276_25
.LBB276_24:                             ;   in Loop: Header=BB276_9 Depth=1
	v_bfe_u32 v2, v8, 24, 3
	v_ffbh_u32_e32 v0, v2
	v_min_u32_e32 v6, 32, v0
	v_subrev_u32_e32 v0, 28, v6
	v_bfe_u32 v3, v8, 27, 4
	v_lshlrev_b64 v[0:1], v0, v[4:5]
	v_sub_u32_e32 v1, 29, v6
	v_cmp_eq_u32_e64 s[4:5], 0, v3
	v_and_b32_e32 v0, 7, v0
	s_nop 0
	v_cndmask_b32_e64 v1, v3, v1, s[4:5]
	v_cndmask_b32_e64 v0, v2, v0, s[4:5]
	v_lshlrev_b32_e32 v2, 8, v4
	v_lshl_add_u32 v1, v1, 10, v48
	v_and_or_b32 v1, v2, s27, v1
	v_lshl_or_b32 v0, v0, 7, v1
	v_cvt_f32_f16_e32 v29, v0
.LBB276_25:                             ;   in Loop: Header=BB276_9 Depth=1
	s_or_b64 exec, exec, s[22:23]
	flat_load_dword v8, v[30:31] offset:8
	s_mov_b64 s[4:5], 0
                                        ; implicit-def: $sgpr24
	s_waitcnt vmcnt(0) lgkmcnt(0)
	v_cmp_gt_i16_sdwa s[20:21], v8, s17 src0_sel:BYTE_0 src1_sel:DWORD
	s_and_saveexec_b64 s[22:23], s[20:21]
	s_xor_b64 s[20:21], exec, s[22:23]
	s_cbranch_execnz .LBB276_219
; %bb.26:                               ;   in Loop: Header=BB276_9 Depth=1
	s_or_saveexec_b64 s[20:21], s[20:21]
	v_mov_b32_e32 v34, s24
	s_xor_b64 exec, exec, s[20:21]
	s_cbranch_execnz .LBB276_222
.LBB276_27:                             ;   in Loop: Header=BB276_9 Depth=1
	s_or_b64 exec, exec, s[20:21]
	s_and_saveexec_b64 s[20:21], s[4:5]
	s_cbranch_execz .LBB276_29
.LBB276_28:                             ;   in Loop: Header=BB276_9 Depth=1
	v_and_b32_e32 v2, 7, v8
	v_ffbh_u32_e32 v0, v2
	v_min_u32_e32 v4, 32, v0
	v_subrev_u32_e32 v0, 28, v4
	v_bfe_u32 v3, v8, 3, 4
	v_lshlrev_b64 v[0:1], v0, v[8:9]
	v_sub_u32_e32 v1, 29, v4
	v_cmp_eq_u32_e64 s[4:5], 0, v3
	v_and_b32_e32 v0, 7, v0
	s_nop 0
	v_cndmask_b32_e64 v1, v3, v1, s[4:5]
	v_cndmask_b32_e64 v0, v2, v0, s[4:5]
	v_lshlrev_b32_e32 v2, 8, v8
	v_lshl_add_u32 v1, v1, 10, v48
	v_and_or_b32 v1, v2, s27, v1
	v_lshl_or_b32 v0, v0, 7, v1
	v_cvt_f32_f16_e32 v34, v0
.LBB276_29:                             ;   in Loop: Header=BB276_9 Depth=1
	s_or_b64 exec, exec, s[20:21]
	v_lshrrev_b16_e32 v4, 8, v8
	v_cmp_lt_i16_e64 s[4:5], s17, v4
	s_mov_b64 s[20:21], 0
                                        ; implicit-def: $sgpr28
	s_and_saveexec_b64 s[22:23], s[4:5]
	s_xor_b64 s[22:23], exec, s[22:23]
	s_cbranch_execnz .LBB276_223
; %bb.30:                               ;   in Loop: Header=BB276_9 Depth=1
	s_or_saveexec_b64 s[22:23], s[22:23]
	v_mov_b32_e32 v35, s28
	s_xor_b64 exec, exec, s[22:23]
	s_cbranch_execnz .LBB276_226
.LBB276_31:                             ;   in Loop: Header=BB276_9 Depth=1
	s_or_b64 exec, exec, s[22:23]
	s_and_saveexec_b64 s[22:23], s[20:21]
	s_cbranch_execz .LBB276_33
.LBB276_32:                             ;   in Loop: Header=BB276_9 Depth=1
	v_and_b32_e32 v2, 7, v4
	v_ffbh_u32_e32 v0, v2
	v_min_u32_e32 v6, 32, v0
	v_subrev_u32_e32 v0, 28, v6
	v_bfe_u32 v3, v4, 3, 4
	v_lshlrev_b64 v[0:1], v0, v[4:5]
	v_sub_u32_e32 v1, 29, v6
	v_cmp_eq_u32_e64 s[4:5], 0, v3
	v_and_b32_e32 v0, 7, v0
	s_nop 0
	v_cndmask_b32_e64 v1, v3, v1, s[4:5]
	v_cndmask_b32_e64 v0, v2, v0, s[4:5]
	v_lshlrev_b32_e32 v2, 8, v4
	v_lshl_add_u32 v1, v1, 10, v48
	v_and_or_b32 v1, v2, s27, v1
	v_lshl_or_b32 v0, v0, 7, v1
	v_cvt_f32_f16_e32 v35, v0
.LBB276_33:                             ;   in Loop: Header=BB276_9 Depth=1
	s_or_b64 exec, exec, s[22:23]
	v_lshrrev_b32_e32 v4, 16, v8
	v_cmp_gt_i16_sdwa s[20:21], v4, s17 src0_sel:BYTE_0 src1_sel:DWORD
	s_mov_b64 s[4:5], 0
                                        ; implicit-def: $sgpr24
	s_and_saveexec_b64 s[22:23], s[20:21]
	s_xor_b64 s[20:21], exec, s[22:23]
	s_cbranch_execnz .LBB276_227
; %bb.34:                               ;   in Loop: Header=BB276_9 Depth=1
	s_or_saveexec_b64 s[20:21], s[20:21]
	v_mov_b32_e32 v41, s24
	s_xor_b64 exec, exec, s[20:21]
	s_cbranch_execnz .LBB276_230
.LBB276_35:                             ;   in Loop: Header=BB276_9 Depth=1
	s_or_b64 exec, exec, s[20:21]
	s_and_saveexec_b64 s[20:21], s[4:5]
	s_cbranch_execz .LBB276_37
.LBB276_36:                             ;   in Loop: Header=BB276_9 Depth=1
	v_bfe_u32 v2, v8, 16, 3
	v_ffbh_u32_e32 v0, v2
	v_min_u32_e32 v6, 32, v0
	v_subrev_u32_e32 v0, 28, v6
	v_bfe_u32 v3, v8, 19, 4
	v_lshlrev_b64 v[0:1], v0, v[4:5]
	v_sub_u32_e32 v1, 29, v6
	v_cmp_eq_u32_e64 s[4:5], 0, v3
	v_and_b32_e32 v0, 7, v0
	s_nop 0
	v_cndmask_b32_e64 v1, v3, v1, s[4:5]
	v_cndmask_b32_e64 v0, v2, v0, s[4:5]
	v_lshlrev_b32_e32 v2, 8, v4
	v_lshl_add_u32 v1, v1, 10, v48
	v_and_or_b32 v1, v2, s27, v1
	v_lshl_or_b32 v0, v0, 7, v1
	v_cvt_f32_f16_e32 v41, v0
.LBB276_37:                             ;   in Loop: Header=BB276_9 Depth=1
	s_or_b64 exec, exec, s[20:21]
	v_lshrrev_b32_e32 v4, 24, v8
	v_cmp_lt_i16_e64 s[4:5], s17, v4
	s_mov_b64 s[20:21], 0
                                        ; implicit-def: $sgpr28
	s_and_saveexec_b64 s[22:23], s[4:5]
	s_xor_b64 s[22:23], exec, s[22:23]
	s_cbranch_execnz .LBB276_231
; %bb.38:                               ;   in Loop: Header=BB276_9 Depth=1
	s_or_saveexec_b64 s[22:23], s[22:23]
	v_mov_b32_e32 v42, s28
	s_xor_b64 exec, exec, s[22:23]
	s_cbranch_execnz .LBB276_234
.LBB276_39:                             ;   in Loop: Header=BB276_9 Depth=1
	s_or_b64 exec, exec, s[22:23]
	s_and_saveexec_b64 s[22:23], s[20:21]
	s_cbranch_execz .LBB276_41
.LBB276_40:                             ;   in Loop: Header=BB276_9 Depth=1
	v_bfe_u32 v2, v8, 24, 3
	v_ffbh_u32_e32 v0, v2
	v_min_u32_e32 v6, 32, v0
	v_subrev_u32_e32 v0, 28, v6
	v_bfe_u32 v3, v8, 27, 4
	v_lshlrev_b64 v[0:1], v0, v[4:5]
	v_sub_u32_e32 v1, 29, v6
	v_cmp_eq_u32_e64 s[4:5], 0, v3
	v_and_b32_e32 v0, 7, v0
	s_nop 0
	v_cndmask_b32_e64 v1, v3, v1, s[4:5]
	v_cndmask_b32_e64 v0, v2, v0, s[4:5]
	v_lshlrev_b32_e32 v2, 8, v4
	v_lshl_add_u32 v1, v1, 10, v48
	v_and_or_b32 v1, v2, s27, v1
	v_lshl_or_b32 v0, v0, 7, v1
	v_cvt_f32_f16_e32 v42, v0
.LBB276_41:                             ;   in Loop: Header=BB276_9 Depth=1
	s_or_b64 exec, exec, s[22:23]
	flat_load_dword v8, v[30:31] offset:512
	s_mov_b64 s[4:5], 0
                                        ; implicit-def: $sgpr24
	s_waitcnt vmcnt(0) lgkmcnt(0)
	v_cmp_gt_i16_sdwa s[20:21], v8, s17 src0_sel:BYTE_0 src1_sel:DWORD
	s_and_saveexec_b64 s[22:23], s[20:21]
	s_xor_b64 s[20:21], exec, s[22:23]
	s_cbranch_execnz .LBB276_235
; %bb.42:                               ;   in Loop: Header=BB276_9 Depth=1
	s_or_saveexec_b64 s[20:21], s[20:21]
	v_mov_b32_e32 v43, s24
	s_xor_b64 exec, exec, s[20:21]
	s_cbranch_execnz .LBB276_238
.LBB276_43:                             ;   in Loop: Header=BB276_9 Depth=1
	s_or_b64 exec, exec, s[20:21]
	s_and_saveexec_b64 s[20:21], s[4:5]
	s_cbranch_execz .LBB276_45
.LBB276_44:                             ;   in Loop: Header=BB276_9 Depth=1
	v_and_b32_e32 v2, 7, v8
	v_ffbh_u32_e32 v0, v2
	v_min_u32_e32 v4, 32, v0
	v_subrev_u32_e32 v0, 28, v4
	v_bfe_u32 v3, v8, 3, 4
	v_lshlrev_b64 v[0:1], v0, v[8:9]
	v_sub_u32_e32 v1, 29, v4
	v_cmp_eq_u32_e64 s[4:5], 0, v3
	v_and_b32_e32 v0, 7, v0
	s_nop 0
	v_cndmask_b32_e64 v1, v3, v1, s[4:5]
	v_cndmask_b32_e64 v0, v2, v0, s[4:5]
	v_lshlrev_b32_e32 v2, 8, v8
	v_lshl_add_u32 v1, v1, 10, v48
	v_and_or_b32 v1, v2, s27, v1
	v_lshl_or_b32 v0, v0, 7, v1
	v_cvt_f32_f16_e32 v43, v0
.LBB276_45:                             ;   in Loop: Header=BB276_9 Depth=1
	s_or_b64 exec, exec, s[20:21]
	v_lshrrev_b16_e32 v4, 8, v8
	v_cmp_lt_i16_e64 s[4:5], s17, v4
	s_mov_b64 s[20:21], 0
                                        ; implicit-def: $sgpr28
	s_and_saveexec_b64 s[22:23], s[4:5]
	s_xor_b64 s[22:23], exec, s[22:23]
	s_cbranch_execnz .LBB276_239
; %bb.46:                               ;   in Loop: Header=BB276_9 Depth=1
	s_or_saveexec_b64 s[22:23], s[22:23]
	v_mov_b32_e32 v44, s28
	s_xor_b64 exec, exec, s[22:23]
	s_cbranch_execnz .LBB276_242
.LBB276_47:                             ;   in Loop: Header=BB276_9 Depth=1
	s_or_b64 exec, exec, s[22:23]
	s_and_saveexec_b64 s[22:23], s[20:21]
	s_cbranch_execz .LBB276_49
.LBB276_48:                             ;   in Loop: Header=BB276_9 Depth=1
	v_and_b32_e32 v2, 7, v4
	v_ffbh_u32_e32 v0, v2
	v_min_u32_e32 v6, 32, v0
	v_subrev_u32_e32 v0, 28, v6
	v_bfe_u32 v3, v4, 3, 4
	v_lshlrev_b64 v[0:1], v0, v[4:5]
	v_sub_u32_e32 v1, 29, v6
	v_cmp_eq_u32_e64 s[4:5], 0, v3
	v_and_b32_e32 v0, 7, v0
	s_nop 0
	v_cndmask_b32_e64 v1, v3, v1, s[4:5]
	v_cndmask_b32_e64 v0, v2, v0, s[4:5]
	v_lshlrev_b32_e32 v2, 8, v4
	v_lshl_add_u32 v1, v1, 10, v48
	v_and_or_b32 v1, v2, s27, v1
	v_lshl_or_b32 v0, v0, 7, v1
	v_cvt_f32_f16_e32 v44, v0
.LBB276_49:                             ;   in Loop: Header=BB276_9 Depth=1
	s_or_b64 exec, exec, s[22:23]
	v_lshrrev_b32_e32 v4, 16, v8
	v_cmp_gt_i16_sdwa s[20:21], v4, s17 src0_sel:BYTE_0 src1_sel:DWORD
	s_mov_b64 s[4:5], 0
                                        ; implicit-def: $sgpr24
	s_and_saveexec_b64 s[22:23], s[20:21]
	s_xor_b64 s[20:21], exec, s[22:23]
	s_cbranch_execnz .LBB276_243
; %bb.50:                               ;   in Loop: Header=BB276_9 Depth=1
	s_or_saveexec_b64 s[20:21], s[20:21]
	v_mov_b32_e32 v45, s24
	s_xor_b64 exec, exec, s[20:21]
	s_cbranch_execnz .LBB276_246
.LBB276_51:                             ;   in Loop: Header=BB276_9 Depth=1
	s_or_b64 exec, exec, s[20:21]
	s_and_saveexec_b64 s[20:21], s[4:5]
	s_cbranch_execz .LBB276_53
.LBB276_52:                             ;   in Loop: Header=BB276_9 Depth=1
	v_bfe_u32 v2, v8, 16, 3
	v_ffbh_u32_e32 v0, v2
	v_min_u32_e32 v6, 32, v0
	v_subrev_u32_e32 v0, 28, v6
	v_bfe_u32 v3, v8, 19, 4
	v_lshlrev_b64 v[0:1], v0, v[4:5]
	v_sub_u32_e32 v1, 29, v6
	v_cmp_eq_u32_e64 s[4:5], 0, v3
	v_and_b32_e32 v0, 7, v0
	s_nop 0
	v_cndmask_b32_e64 v1, v3, v1, s[4:5]
	v_cndmask_b32_e64 v0, v2, v0, s[4:5]
	v_lshlrev_b32_e32 v2, 8, v4
	v_lshl_add_u32 v1, v1, 10, v48
	v_and_or_b32 v1, v2, s27, v1
	v_lshl_or_b32 v0, v0, 7, v1
	v_cvt_f32_f16_e32 v45, v0
.LBB276_53:                             ;   in Loop: Header=BB276_9 Depth=1
	s_or_b64 exec, exec, s[20:21]
	v_lshrrev_b32_e32 v4, 24, v8
	v_cmp_lt_i16_e64 s[4:5], s17, v4
	s_mov_b64 s[20:21], 0
                                        ; implicit-def: $sgpr28
	s_and_saveexec_b64 s[22:23], s[4:5]
	s_xor_b64 s[22:23], exec, s[22:23]
	s_cbranch_execnz .LBB276_247
; %bb.54:                               ;   in Loop: Header=BB276_9 Depth=1
	s_or_saveexec_b64 s[22:23], s[22:23]
	v_mov_b32_e32 v46, s28
	s_xor_b64 exec, exec, s[22:23]
	s_cbranch_execnz .LBB276_250
.LBB276_55:                             ;   in Loop: Header=BB276_9 Depth=1
	s_or_b64 exec, exec, s[22:23]
	s_and_saveexec_b64 s[22:23], s[20:21]
	s_cbranch_execz .LBB276_57
.LBB276_56:                             ;   in Loop: Header=BB276_9 Depth=1
	v_bfe_u32 v2, v8, 24, 3
	v_ffbh_u32_e32 v0, v2
	v_min_u32_e32 v6, 32, v0
	v_subrev_u32_e32 v0, 28, v6
	v_bfe_u32 v3, v8, 27, 4
	v_lshlrev_b64 v[0:1], v0, v[4:5]
	v_sub_u32_e32 v1, 29, v6
	v_cmp_eq_u32_e64 s[4:5], 0, v3
	v_and_b32_e32 v0, 7, v0
	s_nop 0
	v_cndmask_b32_e64 v1, v3, v1, s[4:5]
	v_cndmask_b32_e64 v0, v2, v0, s[4:5]
	v_lshlrev_b32_e32 v2, 8, v4
	v_lshl_add_u32 v1, v1, 10, v48
	v_and_or_b32 v1, v2, s27, v1
	v_lshl_or_b32 v0, v0, 7, v1
	v_cvt_f32_f16_e32 v46, v0
.LBB276_57:                             ;   in Loop: Header=BB276_9 Depth=1
	s_or_b64 exec, exec, s[22:23]
	flat_load_dword v8, v[30:31] offset:520
	s_mov_b64 s[4:5], 0
                                        ; implicit-def: $sgpr24
	s_waitcnt vmcnt(0) lgkmcnt(0)
	v_cmp_gt_i16_sdwa s[20:21], v8, s17 src0_sel:BYTE_0 src1_sel:DWORD
	s_and_saveexec_b64 s[22:23], s[20:21]
	s_xor_b64 s[20:21], exec, s[22:23]
	s_cbranch_execnz .LBB276_251
; %bb.58:                               ;   in Loop: Header=BB276_9 Depth=1
	s_or_saveexec_b64 s[20:21], s[20:21]
	v_mov_b32_e32 v47, s24
	s_xor_b64 exec, exec, s[20:21]
	s_cbranch_execnz .LBB276_254
.LBB276_59:                             ;   in Loop: Header=BB276_9 Depth=1
	s_or_b64 exec, exec, s[20:21]
	s_and_saveexec_b64 s[20:21], s[4:5]
	s_cbranch_execz .LBB276_61
.LBB276_60:                             ;   in Loop: Header=BB276_9 Depth=1
	v_and_b32_e32 v2, 7, v8
	v_ffbh_u32_e32 v0, v2
	v_min_u32_e32 v4, 32, v0
	v_subrev_u32_e32 v0, 28, v4
	v_bfe_u32 v3, v8, 3, 4
	v_lshlrev_b64 v[0:1], v0, v[8:9]
	v_sub_u32_e32 v1, 29, v4
	v_cmp_eq_u32_e64 s[4:5], 0, v3
	v_and_b32_e32 v0, 7, v0
	s_nop 0
	v_cndmask_b32_e64 v1, v3, v1, s[4:5]
	v_cndmask_b32_e64 v0, v2, v0, s[4:5]
	v_lshlrev_b32_e32 v2, 8, v8
	v_lshl_add_u32 v1, v1, 10, v48
	v_and_or_b32 v1, v2, s27, v1
	v_lshl_or_b32 v0, v0, 7, v1
	v_cvt_f32_f16_e32 v47, v0
.LBB276_61:                             ;   in Loop: Header=BB276_9 Depth=1
	s_or_b64 exec, exec, s[20:21]
	v_lshrrev_b16_e32 v4, 8, v8
	v_cmp_lt_i16_e64 s[4:5], s17, v4
	s_mov_b64 s[20:21], 0
                                        ; implicit-def: $sgpr28
	s_and_saveexec_b64 s[22:23], s[4:5]
	s_xor_b64 s[22:23], exec, s[22:23]
	s_cbranch_execnz .LBB276_255
; %bb.62:                               ;   in Loop: Header=BB276_9 Depth=1
	s_or_saveexec_b64 s[22:23], s[22:23]
	v_mov_b32_e32 v56, s28
	s_xor_b64 exec, exec, s[22:23]
	s_cbranch_execnz .LBB276_258
.LBB276_63:                             ;   in Loop: Header=BB276_9 Depth=1
	s_or_b64 exec, exec, s[22:23]
	s_and_saveexec_b64 s[22:23], s[20:21]
	s_cbranch_execz .LBB276_65
.LBB276_64:                             ;   in Loop: Header=BB276_9 Depth=1
	v_and_b32_e32 v2, 7, v4
	v_ffbh_u32_e32 v0, v2
	v_min_u32_e32 v6, 32, v0
	v_subrev_u32_e32 v0, 28, v6
	v_bfe_u32 v3, v4, 3, 4
	v_lshlrev_b64 v[0:1], v0, v[4:5]
	v_sub_u32_e32 v1, 29, v6
	v_cmp_eq_u32_e64 s[4:5], 0, v3
	v_and_b32_e32 v0, 7, v0
	s_nop 0
	v_cndmask_b32_e64 v1, v3, v1, s[4:5]
	v_cndmask_b32_e64 v0, v2, v0, s[4:5]
	v_lshlrev_b32_e32 v2, 8, v4
	v_lshl_add_u32 v1, v1, 10, v48
	v_and_or_b32 v1, v2, s27, v1
	v_lshl_or_b32 v0, v0, 7, v1
	v_cvt_f32_f16_e32 v56, v0
.LBB276_65:                             ;   in Loop: Header=BB276_9 Depth=1
	s_or_b64 exec, exec, s[22:23]
	v_lshrrev_b32_e32 v4, 16, v8
	v_cmp_gt_i16_sdwa s[20:21], v4, s17 src0_sel:BYTE_0 src1_sel:DWORD
	s_mov_b64 s[4:5], 0
                                        ; implicit-def: $sgpr24
	s_and_saveexec_b64 s[22:23], s[20:21]
	s_xor_b64 s[20:21], exec, s[22:23]
	s_cbranch_execnz .LBB276_259
; %bb.66:                               ;   in Loop: Header=BB276_9 Depth=1
	s_or_saveexec_b64 s[20:21], s[20:21]
	v_mov_b32_e32 v57, s24
	s_xor_b64 exec, exec, s[20:21]
	s_cbranch_execnz .LBB276_262
.LBB276_67:                             ;   in Loop: Header=BB276_9 Depth=1
	s_or_b64 exec, exec, s[20:21]
	s_and_saveexec_b64 s[20:21], s[4:5]
	s_cbranch_execz .LBB276_69
.LBB276_68:                             ;   in Loop: Header=BB276_9 Depth=1
	v_bfe_u32 v2, v8, 16, 3
	v_ffbh_u32_e32 v0, v2
	v_min_u32_e32 v6, 32, v0
	v_subrev_u32_e32 v0, 28, v6
	v_bfe_u32 v3, v8, 19, 4
	v_lshlrev_b64 v[0:1], v0, v[4:5]
	v_sub_u32_e32 v1, 29, v6
	v_cmp_eq_u32_e64 s[4:5], 0, v3
	v_and_b32_e32 v0, 7, v0
	s_nop 0
	v_cndmask_b32_e64 v1, v3, v1, s[4:5]
	v_cndmask_b32_e64 v0, v2, v0, s[4:5]
	v_lshlrev_b32_e32 v2, 8, v4
	v_lshl_add_u32 v1, v1, 10, v48
	v_and_or_b32 v1, v2, s27, v1
	v_lshl_or_b32 v0, v0, 7, v1
	v_cvt_f32_f16_e32 v57, v0
.LBB276_69:                             ;   in Loop: Header=BB276_9 Depth=1
	s_or_b64 exec, exec, s[20:21]
	v_lshrrev_b32_e32 v4, 24, v8
	v_cmp_lt_i16_e64 s[4:5], s17, v4
	s_mov_b64 s[20:21], 0
                                        ; implicit-def: $sgpr28
	s_and_saveexec_b64 s[22:23], s[4:5]
	s_xor_b64 s[22:23], exec, s[22:23]
	s_cbranch_execnz .LBB276_263
; %bb.70:                               ;   in Loop: Header=BB276_9 Depth=1
	s_or_saveexec_b64 s[22:23], s[22:23]
	v_mov_b32_e32 v58, s28
	s_xor_b64 exec, exec, s[22:23]
	s_cbranch_execnz .LBB276_266
.LBB276_71:                             ;   in Loop: Header=BB276_9 Depth=1
	s_or_b64 exec, exec, s[22:23]
	s_and_saveexec_b64 s[22:23], s[20:21]
	s_cbranch_execz .LBB276_73
.LBB276_72:                             ;   in Loop: Header=BB276_9 Depth=1
	v_bfe_u32 v2, v8, 24, 3
	v_ffbh_u32_e32 v0, v2
	v_min_u32_e32 v6, 32, v0
	v_subrev_u32_e32 v0, 28, v6
	v_bfe_u32 v3, v8, 27, 4
	v_lshlrev_b64 v[0:1], v0, v[4:5]
	v_sub_u32_e32 v1, 29, v6
	v_cmp_eq_u32_e64 s[4:5], 0, v3
	v_and_b32_e32 v0, 7, v0
	s_nop 0
	v_cndmask_b32_e64 v1, v3, v1, s[4:5]
	v_cndmask_b32_e64 v0, v2, v0, s[4:5]
	v_lshlrev_b32_e32 v2, 8, v4
	v_lshl_add_u32 v1, v1, 10, v48
	v_and_or_b32 v1, v2, s27, v1
	v_lshl_or_b32 v0, v0, 7, v1
	v_cvt_f32_f16_e32 v58, v0
.LBB276_73:                             ;   in Loop: Header=BB276_9 Depth=1
	s_or_b64 exec, exec, s[22:23]
	flat_load_dword v8, v[30:31] offset:1024
	s_mov_b64 s[4:5], 0
                                        ; implicit-def: $sgpr24
	s_waitcnt vmcnt(0) lgkmcnt(0)
	v_cmp_gt_i16_sdwa s[20:21], v8, s17 src0_sel:BYTE_0 src1_sel:DWORD
	s_and_saveexec_b64 s[22:23], s[20:21]
	s_xor_b64 s[20:21], exec, s[22:23]
	s_cbranch_execnz .LBB276_267
; %bb.74:                               ;   in Loop: Header=BB276_9 Depth=1
	s_or_saveexec_b64 s[20:21], s[20:21]
	v_mov_b32_e32 v59, s24
	s_xor_b64 exec, exec, s[20:21]
	s_cbranch_execnz .LBB276_270
.LBB276_75:                             ;   in Loop: Header=BB276_9 Depth=1
	s_or_b64 exec, exec, s[20:21]
	s_and_saveexec_b64 s[20:21], s[4:5]
	s_cbranch_execz .LBB276_77
.LBB276_76:                             ;   in Loop: Header=BB276_9 Depth=1
	v_and_b32_e32 v2, 7, v8
	v_ffbh_u32_e32 v0, v2
	v_min_u32_e32 v4, 32, v0
	v_subrev_u32_e32 v0, 28, v4
	v_bfe_u32 v3, v8, 3, 4
	v_lshlrev_b64 v[0:1], v0, v[8:9]
	v_sub_u32_e32 v1, 29, v4
	v_cmp_eq_u32_e64 s[4:5], 0, v3
	v_and_b32_e32 v0, 7, v0
	s_nop 0
	v_cndmask_b32_e64 v1, v3, v1, s[4:5]
	v_cndmask_b32_e64 v0, v2, v0, s[4:5]
	v_lshlrev_b32_e32 v2, 8, v8
	v_lshl_add_u32 v1, v1, 10, v48
	v_and_or_b32 v1, v2, s27, v1
	v_lshl_or_b32 v0, v0, 7, v1
	v_cvt_f32_f16_e32 v59, v0
.LBB276_77:                             ;   in Loop: Header=BB276_9 Depth=1
	s_or_b64 exec, exec, s[20:21]
	v_lshrrev_b16_e32 v4, 8, v8
	v_cmp_lt_i16_e64 s[4:5], s17, v4
	s_mov_b64 s[20:21], 0
                                        ; implicit-def: $sgpr28
	s_and_saveexec_b64 s[22:23], s[4:5]
	s_xor_b64 s[22:23], exec, s[22:23]
	s_cbranch_execnz .LBB276_271
; %bb.78:                               ;   in Loop: Header=BB276_9 Depth=1
	s_or_saveexec_b64 s[22:23], s[22:23]
	v_mov_b32_e32 v60, s28
	s_xor_b64 exec, exec, s[22:23]
	s_cbranch_execnz .LBB276_274
.LBB276_79:                             ;   in Loop: Header=BB276_9 Depth=1
	s_or_b64 exec, exec, s[22:23]
	s_and_saveexec_b64 s[22:23], s[20:21]
	s_cbranch_execz .LBB276_81
.LBB276_80:                             ;   in Loop: Header=BB276_9 Depth=1
	v_and_b32_e32 v2, 7, v4
	v_ffbh_u32_e32 v0, v2
	v_min_u32_e32 v6, 32, v0
	v_subrev_u32_e32 v0, 28, v6
	v_bfe_u32 v3, v4, 3, 4
	v_lshlrev_b64 v[0:1], v0, v[4:5]
	v_sub_u32_e32 v1, 29, v6
	v_cmp_eq_u32_e64 s[4:5], 0, v3
	v_and_b32_e32 v0, 7, v0
	s_nop 0
	v_cndmask_b32_e64 v1, v3, v1, s[4:5]
	v_cndmask_b32_e64 v0, v2, v0, s[4:5]
	v_lshlrev_b32_e32 v2, 8, v4
	v_lshl_add_u32 v1, v1, 10, v48
	v_and_or_b32 v1, v2, s27, v1
	v_lshl_or_b32 v0, v0, 7, v1
	v_cvt_f32_f16_e32 v60, v0
.LBB276_81:                             ;   in Loop: Header=BB276_9 Depth=1
	s_or_b64 exec, exec, s[22:23]
	v_lshrrev_b32_e32 v4, 16, v8
	v_cmp_gt_i16_sdwa s[20:21], v4, s17 src0_sel:BYTE_0 src1_sel:DWORD
	s_mov_b64 s[4:5], 0
                                        ; implicit-def: $sgpr24
	s_and_saveexec_b64 s[22:23], s[20:21]
	s_xor_b64 s[20:21], exec, s[22:23]
	s_cbranch_execnz .LBB276_275
; %bb.82:                               ;   in Loop: Header=BB276_9 Depth=1
	s_or_saveexec_b64 s[20:21], s[20:21]
	v_mov_b32_e32 v61, s24
	s_xor_b64 exec, exec, s[20:21]
	s_cbranch_execnz .LBB276_278
.LBB276_83:                             ;   in Loop: Header=BB276_9 Depth=1
	s_or_b64 exec, exec, s[20:21]
	s_and_saveexec_b64 s[20:21], s[4:5]
	s_cbranch_execz .LBB276_85
.LBB276_84:                             ;   in Loop: Header=BB276_9 Depth=1
	v_bfe_u32 v2, v8, 16, 3
	v_ffbh_u32_e32 v0, v2
	v_min_u32_e32 v6, 32, v0
	v_subrev_u32_e32 v0, 28, v6
	v_bfe_u32 v3, v8, 19, 4
	v_lshlrev_b64 v[0:1], v0, v[4:5]
	v_sub_u32_e32 v1, 29, v6
	v_cmp_eq_u32_e64 s[4:5], 0, v3
	v_and_b32_e32 v0, 7, v0
	s_nop 0
	v_cndmask_b32_e64 v1, v3, v1, s[4:5]
	v_cndmask_b32_e64 v0, v2, v0, s[4:5]
	v_lshlrev_b32_e32 v2, 8, v4
	v_lshl_add_u32 v1, v1, 10, v48
	v_and_or_b32 v1, v2, s27, v1
	v_lshl_or_b32 v0, v0, 7, v1
	v_cvt_f32_f16_e32 v61, v0
.LBB276_85:                             ;   in Loop: Header=BB276_9 Depth=1
	s_or_b64 exec, exec, s[20:21]
	v_lshrrev_b32_e32 v4, 24, v8
	v_cmp_lt_i16_e64 s[4:5], s17, v4
	s_mov_b64 s[20:21], 0
                                        ; implicit-def: $sgpr28
	s_and_saveexec_b64 s[22:23], s[4:5]
	s_xor_b64 s[22:23], exec, s[22:23]
	s_cbranch_execnz .LBB276_279
; %bb.86:                               ;   in Loop: Header=BB276_9 Depth=1
	s_or_saveexec_b64 s[22:23], s[22:23]
	v_mov_b32_e32 v62, s28
	s_xor_b64 exec, exec, s[22:23]
	s_cbranch_execnz .LBB276_282
.LBB276_87:                             ;   in Loop: Header=BB276_9 Depth=1
	s_or_b64 exec, exec, s[22:23]
	s_and_saveexec_b64 s[22:23], s[20:21]
	s_cbranch_execz .LBB276_89
.LBB276_88:                             ;   in Loop: Header=BB276_9 Depth=1
	v_bfe_u32 v2, v8, 24, 3
	v_ffbh_u32_e32 v0, v2
	v_min_u32_e32 v6, 32, v0
	v_subrev_u32_e32 v0, 28, v6
	v_bfe_u32 v3, v8, 27, 4
	v_lshlrev_b64 v[0:1], v0, v[4:5]
	v_sub_u32_e32 v1, 29, v6
	v_cmp_eq_u32_e64 s[4:5], 0, v3
	v_and_b32_e32 v0, 7, v0
	s_nop 0
	v_cndmask_b32_e64 v1, v3, v1, s[4:5]
	v_cndmask_b32_e64 v0, v2, v0, s[4:5]
	v_lshlrev_b32_e32 v2, 8, v4
	v_lshl_add_u32 v1, v1, 10, v48
	v_and_or_b32 v1, v2, s27, v1
	v_lshl_or_b32 v0, v0, 7, v1
	v_cvt_f32_f16_e32 v62, v0
.LBB276_89:                             ;   in Loop: Header=BB276_9 Depth=1
	s_or_b64 exec, exec, s[22:23]
	flat_load_dword v8, v[30:31] offset:1032
	s_mov_b64 s[4:5], 0
                                        ; implicit-def: $sgpr24
	s_waitcnt vmcnt(0) lgkmcnt(0)
	v_cmp_gt_i16_sdwa s[20:21], v8, s17 src0_sel:BYTE_0 src1_sel:DWORD
	s_and_saveexec_b64 s[22:23], s[20:21]
	s_xor_b64 s[20:21], exec, s[22:23]
	s_cbranch_execnz .LBB276_283
; %bb.90:                               ;   in Loop: Header=BB276_9 Depth=1
	s_or_saveexec_b64 s[20:21], s[20:21]
	v_mov_b32_e32 v63, s24
	s_xor_b64 exec, exec, s[20:21]
	s_cbranch_execnz .LBB276_286
.LBB276_91:                             ;   in Loop: Header=BB276_9 Depth=1
	s_or_b64 exec, exec, s[20:21]
	s_and_saveexec_b64 s[20:21], s[4:5]
	s_cbranch_execz .LBB276_93
.LBB276_92:                             ;   in Loop: Header=BB276_9 Depth=1
	v_and_b32_e32 v2, 7, v8
	v_ffbh_u32_e32 v0, v2
	v_min_u32_e32 v4, 32, v0
	v_subrev_u32_e32 v0, 28, v4
	v_bfe_u32 v3, v8, 3, 4
	v_lshlrev_b64 v[0:1], v0, v[8:9]
	v_sub_u32_e32 v1, 29, v4
	v_cmp_eq_u32_e64 s[4:5], 0, v3
	v_and_b32_e32 v0, 7, v0
	s_nop 0
	v_cndmask_b32_e64 v1, v3, v1, s[4:5]
	v_cndmask_b32_e64 v0, v2, v0, s[4:5]
	v_lshlrev_b32_e32 v2, 8, v8
	v_lshl_add_u32 v1, v1, 10, v48
	v_and_or_b32 v1, v2, s27, v1
	v_lshl_or_b32 v0, v0, 7, v1
	v_cvt_f32_f16_e32 v63, v0
.LBB276_93:                             ;   in Loop: Header=BB276_9 Depth=1
	s_or_b64 exec, exec, s[20:21]
	v_lshrrev_b16_e32 v4, 8, v8
	v_cmp_lt_i16_e64 s[4:5], s17, v4
	s_mov_b64 s[20:21], 0
                                        ; implicit-def: $sgpr28
	s_and_saveexec_b64 s[22:23], s[4:5]
	s_xor_b64 s[22:23], exec, s[22:23]
	s_cbranch_execnz .LBB276_287
; %bb.94:                               ;   in Loop: Header=BB276_9 Depth=1
	s_or_saveexec_b64 s[22:23], s[22:23]
	v_mov_b32_e32 v17, s28
	s_xor_b64 exec, exec, s[22:23]
	s_cbranch_execnz .LBB276_290
.LBB276_95:                             ;   in Loop: Header=BB276_9 Depth=1
	s_or_b64 exec, exec, s[22:23]
	s_and_saveexec_b64 s[22:23], s[20:21]
	s_cbranch_execz .LBB276_97
.LBB276_96:                             ;   in Loop: Header=BB276_9 Depth=1
	v_and_b32_e32 v2, 7, v4
	v_ffbh_u32_e32 v0, v2
	v_min_u32_e32 v6, 32, v0
	v_subrev_u32_e32 v0, 28, v6
	v_bfe_u32 v3, v4, 3, 4
	v_lshlrev_b64 v[0:1], v0, v[4:5]
	v_sub_u32_e32 v1, 29, v6
	v_cmp_eq_u32_e64 s[4:5], 0, v3
	v_and_b32_e32 v0, 7, v0
	s_nop 0
	v_cndmask_b32_e64 v1, v3, v1, s[4:5]
	v_cndmask_b32_e64 v0, v2, v0, s[4:5]
	v_lshlrev_b32_e32 v2, 8, v4
	v_lshl_add_u32 v1, v1, 10, v48
	v_and_or_b32 v1, v2, s27, v1
	v_lshl_or_b32 v0, v0, 7, v1
	v_cvt_f32_f16_e32 v17, v0
.LBB276_97:                             ;   in Loop: Header=BB276_9 Depth=1
	s_or_b64 exec, exec, s[22:23]
	v_lshrrev_b32_e32 v4, 16, v8
	v_cmp_gt_i16_sdwa s[20:21], v4, s17 src0_sel:BYTE_0 src1_sel:DWORD
	s_mov_b64 s[4:5], 0
                                        ; implicit-def: $sgpr24
	s_and_saveexec_b64 s[22:23], s[20:21]
	s_xor_b64 s[20:21], exec, s[22:23]
	s_cbranch_execnz .LBB276_291
; %bb.98:                               ;   in Loop: Header=BB276_9 Depth=1
	s_or_saveexec_b64 s[20:21], s[20:21]
	v_mov_b32_e32 v2, s24
	s_xor_b64 exec, exec, s[20:21]
	s_cbranch_execnz .LBB276_294
.LBB276_99:                             ;   in Loop: Header=BB276_9 Depth=1
	s_or_b64 exec, exec, s[20:21]
	s_and_saveexec_b64 s[20:21], s[4:5]
	s_cbranch_execz .LBB276_101
.LBB276_100:                            ;   in Loop: Header=BB276_9 Depth=1
	v_bfe_u32 v2, v8, 16, 3
	v_ffbh_u32_e32 v0, v2
	v_min_u32_e32 v6, 32, v0
	v_subrev_u32_e32 v0, 28, v6
	v_bfe_u32 v3, v8, 19, 4
	v_lshlrev_b64 v[0:1], v0, v[4:5]
	v_sub_u32_e32 v1, 29, v6
	v_cmp_eq_u32_e64 s[4:5], 0, v3
	v_and_b32_e32 v0, 7, v0
	s_nop 0
	v_cndmask_b32_e64 v1, v3, v1, s[4:5]
	v_cndmask_b32_e64 v0, v2, v0, s[4:5]
	v_lshlrev_b32_e32 v2, 8, v4
	v_lshl_add_u32 v1, v1, 10, v48
	v_and_or_b32 v1, v2, s27, v1
	v_lshl_or_b32 v0, v0, 7, v1
	v_cvt_f32_f16_e32 v2, v0
.LBB276_101:                            ;   in Loop: Header=BB276_9 Depth=1
	s_or_b64 exec, exec, s[20:21]
	v_lshrrev_b32_e32 v4, 24, v8
	v_cmp_lt_i16_e64 s[4:5], s17, v4
	s_mov_b64 s[20:21], 0
                                        ; implicit-def: $sgpr28
	s_and_saveexec_b64 s[22:23], s[4:5]
	s_xor_b64 s[22:23], exec, s[22:23]
	s_cbranch_execnz .LBB276_295
; %bb.102:                              ;   in Loop: Header=BB276_9 Depth=1
	s_or_saveexec_b64 s[22:23], s[22:23]
	v_mov_b32_e32 v3, s28
	s_xor_b64 exec, exec, s[22:23]
	s_cbranch_execnz .LBB276_298
.LBB276_103:                            ;   in Loop: Header=BB276_9 Depth=1
	s_or_b64 exec, exec, s[22:23]
	s_and_saveexec_b64 s[22:23], s[20:21]
	s_cbranch_execz .LBB276_105
.LBB276_104:                            ;   in Loop: Header=BB276_9 Depth=1
	v_bfe_u32 v3, v8, 24, 3
	v_ffbh_u32_e32 v0, v3
	v_min_u32_e32 v7, 32, v0
	v_subrev_u32_e32 v0, 28, v7
	v_bfe_u32 v6, v8, 27, 4
	v_lshlrev_b64 v[0:1], v0, v[4:5]
	v_sub_u32_e32 v1, 29, v7
	v_cmp_eq_u32_e64 s[4:5], 0, v6
	v_and_b32_e32 v0, 7, v0
	s_nop 0
	v_cndmask_b32_e64 v1, v6, v1, s[4:5]
	v_cndmask_b32_e64 v0, v3, v0, s[4:5]
	v_lshlrev_b32_e32 v3, 8, v4
	v_lshl_add_u32 v1, v1, 10, v48
	v_and_or_b32 v1, v3, s27, v1
	v_lshl_or_b32 v0, v0, 7, v1
	v_cvt_f32_f16_e32 v3, v0
.LBB276_105:                            ;   in Loop: Header=BB276_9 Depth=1
	s_or_b64 exec, exec, s[22:23]
	flat_load_dword v8, v[30:31] offset:1536
	s_mov_b64 s[4:5], 0
                                        ; implicit-def: $sgpr24
	s_waitcnt vmcnt(0) lgkmcnt(0)
	v_cmp_gt_i16_sdwa s[20:21], v8, s17 src0_sel:BYTE_0 src1_sel:DWORD
	s_and_saveexec_b64 s[22:23], s[20:21]
	s_xor_b64 s[20:21], exec, s[22:23]
	s_cbranch_execnz .LBB276_299
; %bb.106:                              ;   in Loop: Header=BB276_9 Depth=1
	s_or_saveexec_b64 s[20:21], s[20:21]
	v_mov_b32_e32 v0, s24
	s_xor_b64 exec, exec, s[20:21]
	s_cbranch_execnz .LBB276_302
.LBB276_107:                            ;   in Loop: Header=BB276_9 Depth=1
	s_or_b64 exec, exec, s[20:21]
	s_and_saveexec_b64 s[20:21], s[4:5]
	s_cbranch_execz .LBB276_109
.LBB276_108:                            ;   in Loop: Header=BB276_9 Depth=1
	v_and_b32_e32 v4, 7, v8
	v_ffbh_u32_e32 v0, v4
	v_min_u32_e32 v7, 32, v0
	v_subrev_u32_e32 v0, 28, v7
	v_bfe_u32 v6, v8, 3, 4
	v_lshlrev_b64 v[0:1], v0, v[8:9]
	v_sub_u32_e32 v1, 29, v7
	v_cmp_eq_u32_e64 s[4:5], 0, v6
	v_and_b32_e32 v0, 7, v0
	s_nop 0
	v_cndmask_b32_e64 v1, v6, v1, s[4:5]
	v_cndmask_b32_e64 v0, v4, v0, s[4:5]
	v_lshlrev_b32_e32 v4, 8, v8
	v_lshl_add_u32 v1, v1, 10, v48
	v_and_or_b32 v1, v4, s27, v1
	v_lshl_or_b32 v0, v0, 7, v1
	v_cvt_f32_f16_e32 v0, v0
.LBB276_109:                            ;   in Loop: Header=BB276_9 Depth=1
	s_or_b64 exec, exec, s[20:21]
	v_lshrrev_b16_e32 v4, 8, v8
	v_cmp_lt_i16_e64 s[4:5], s17, v4
	s_mov_b64 s[20:21], 0
                                        ; implicit-def: $sgpr28
	s_and_saveexec_b64 s[22:23], s[4:5]
	s_xor_b64 s[22:23], exec, s[22:23]
	s_cbranch_execnz .LBB276_303
; %bb.110:                              ;   in Loop: Header=BB276_9 Depth=1
	s_or_saveexec_b64 s[22:23], s[22:23]
	v_mov_b32_e32 v1, s28
	s_xor_b64 exec, exec, s[22:23]
	s_cbranch_execnz .LBB276_306
.LBB276_111:                            ;   in Loop: Header=BB276_9 Depth=1
	s_or_b64 exec, exec, s[22:23]
	s_and_saveexec_b64 s[22:23], s[20:21]
	s_cbranch_execz .LBB276_113
.LBB276_112:                            ;   in Loop: Header=BB276_9 Depth=1
	v_and_b32_e32 v1, 7, v4
	v_ffbh_u32_e32 v6, v1
	v_min_u32_e32 v10, 32, v6
	v_subrev_u32_e32 v6, 28, v10
	v_bfe_u32 v9, v4, 3, 4
	v_lshlrev_b64 v[6:7], v6, v[4:5]
	v_sub_u32_e32 v7, 29, v10
	v_cmp_eq_u32_e64 s[4:5], 0, v9
	v_and_b32_e32 v6, 7, v6
	v_lshlrev_b32_e32 v4, 8, v4
	v_cndmask_b32_e64 v7, v9, v7, s[4:5]
	v_cndmask_b32_e64 v1, v1, v6, s[4:5]
	v_lshl_add_u32 v6, v7, 10, v48
	v_and_or_b32 v4, v4, s27, v6
	v_lshl_or_b32 v1, v1, 7, v4
	v_cvt_f32_f16_e32 v1, v1
.LBB276_113:                            ;   in Loop: Header=BB276_9 Depth=1
	s_or_b64 exec, exec, s[22:23]
	v_lshrrev_b32_e32 v4, 16, v8
	v_cmp_gt_i16_sdwa s[20:21], v4, s17 src0_sel:BYTE_0 src1_sel:DWORD
	s_mov_b64 s[4:5], 0
                                        ; implicit-def: $sgpr24
	s_and_saveexec_b64 s[22:23], s[20:21]
	s_xor_b64 s[20:21], exec, s[22:23]
	s_cbranch_execnz .LBB276_307
; %bb.114:                              ;   in Loop: Header=BB276_9 Depth=1
	s_or_saveexec_b64 s[20:21], s[20:21]
	v_mov_b32_e32 v16, s24
	s_xor_b64 exec, exec, s[20:21]
	s_cbranch_execnz .LBB276_310
.LBB276_115:                            ;   in Loop: Header=BB276_9 Depth=1
	s_or_b64 exec, exec, s[20:21]
	s_and_saveexec_b64 s[20:21], s[4:5]
	s_cbranch_execz .LBB276_117
.LBB276_116:                            ;   in Loop: Header=BB276_9 Depth=1
	v_bfe_u32 v9, v8, 16, 3
	v_ffbh_u32_e32 v6, v9
	v_min_u32_e32 v11, 32, v6
	v_subrev_u32_e32 v6, 28, v11
	v_bfe_u32 v10, v8, 19, 4
	v_lshlrev_b64 v[6:7], v6, v[4:5]
	v_sub_u32_e32 v7, 29, v11
	v_cmp_eq_u32_e64 s[4:5], 0, v10
	v_and_b32_e32 v6, 7, v6
	v_lshlrev_b32_e32 v4, 8, v4
	v_cndmask_b32_e64 v7, v10, v7, s[4:5]
	v_lshl_add_u32 v7, v7, 10, v48
	v_cndmask_b32_e64 v6, v9, v6, s[4:5]
	v_and_or_b32 v4, v4, s27, v7
	v_lshl_or_b32 v4, v6, 7, v4
	v_cvt_f32_f16_e32 v16, v4
.LBB276_117:                            ;   in Loop: Header=BB276_9 Depth=1
	s_or_b64 exec, exec, s[20:21]
	v_lshrrev_b32_e32 v4, 24, v8
	v_cmp_lt_i16_e64 s[4:5], s17, v4
	s_mov_b64 s[20:21], 0
                                        ; implicit-def: $sgpr28
	s_and_saveexec_b64 s[22:23], s[4:5]
	s_xor_b64 s[22:23], exec, s[22:23]
	s_cbranch_execnz .LBB276_311
; %bb.118:                              ;   in Loop: Header=BB276_9 Depth=1
	s_or_saveexec_b64 s[22:23], s[22:23]
	v_mov_b32_e32 v7, s28
	s_xor_b64 exec, exec, s[22:23]
	s_cbranch_execnz .LBB276_314
.LBB276_119:                            ;   in Loop: Header=BB276_9 Depth=1
	s_or_b64 exec, exec, s[22:23]
	s_and_saveexec_b64 s[22:23], s[20:21]
	s_cbranch_execz .LBB276_121
.LBB276_120:                            ;   in Loop: Header=BB276_9 Depth=1
	v_bfe_u32 v9, v8, 24, 3
	v_ffbh_u32_e32 v6, v9
	v_min_u32_e32 v10, 32, v6
	v_subrev_u32_e32 v6, 28, v10
	v_bfe_u32 v8, v8, 27, 4
	v_lshlrev_b64 v[6:7], v6, v[4:5]
	v_sub_u32_e32 v7, 29, v10
	v_cmp_eq_u32_e64 s[4:5], 0, v8
	v_and_b32_e32 v6, 7, v6
	v_lshlrev_b32_e32 v4, 8, v4
	v_cndmask_b32_e64 v7, v8, v7, s[4:5]
	v_lshl_add_u32 v7, v7, 10, v48
	v_cndmask_b32_e64 v6, v9, v6, s[4:5]
	v_and_or_b32 v4, v4, s27, v7
	v_lshl_or_b32 v4, v6, 7, v4
	v_cvt_f32_f16_e32 v7, v4
.LBB276_121:                            ;   in Loop: Header=BB276_9 Depth=1
	s_or_b64 exec, exec, s[22:23]
	flat_load_dword v8, v[30:31] offset:1544
	s_mov_b64 s[4:5], 0
                                        ; implicit-def: $sgpr24
	s_waitcnt vmcnt(0) lgkmcnt(0)
	v_cmp_gt_i16_sdwa s[20:21], v8, s17 src0_sel:BYTE_0 src1_sel:DWORD
	s_and_saveexec_b64 s[22:23], s[20:21]
	s_xor_b64 s[20:21], exec, s[22:23]
	s_cbranch_execnz .LBB276_315
; %bb.122:                              ;   in Loop: Header=BB276_9 Depth=1
	s_or_saveexec_b64 s[20:21], s[20:21]
	v_mov_b32_e32 v6, s24
	s_xor_b64 exec, exec, s[20:21]
	s_cbranch_execnz .LBB276_318
.LBB276_123:                            ;   in Loop: Header=BB276_9 Depth=1
	s_or_b64 exec, exec, s[20:21]
	s_and_saveexec_b64 s[20:21], s[4:5]
	s_cbranch_execz .LBB276_125
.LBB276_124:                            ;   in Loop: Header=BB276_9 Depth=1
	v_and_b32_e32 v4, 7, v8
	v_ffbh_u32_e32 v9, v4
	v_min_u32_e32 v9, 32, v9
	v_bfe_u32 v6, v8, 3, 4
	v_subrev_u32_e32 v10, 28, v9
	v_lshlrev_b64 v[10:11], v10, v[8:9]
	v_sub_u32_e32 v9, 29, v9
	v_cmp_eq_u32_e64 s[4:5], 0, v6
	v_and_b32_e32 v10, 7, v10
	s_nop 0
	v_cndmask_b32_e64 v6, v6, v9, s[4:5]
	v_lshlrev_b32_e32 v9, 8, v8
	v_lshl_add_u32 v6, v6, 10, v48
	v_cndmask_b32_e64 v4, v4, v10, s[4:5]
	v_and_or_b32 v6, v9, s27, v6
	v_lshl_or_b32 v4, v4, 7, v6
	v_cvt_f32_f16_e32 v6, v4
.LBB276_125:                            ;   in Loop: Header=BB276_9 Depth=1
	s_or_b64 exec, exec, s[20:21]
	v_lshrrev_b16_e32 v4, 8, v8
	v_cmp_lt_i16_e64 s[4:5], s17, v4
	s_mov_b64 s[20:21], 0
                                        ; implicit-def: $sgpr28
	s_and_saveexec_b64 s[22:23], s[4:5]
	s_xor_b64 s[22:23], exec, s[22:23]
	s_cbranch_execnz .LBB276_319
; %bb.126:                              ;   in Loop: Header=BB276_9 Depth=1
	s_or_saveexec_b64 s[22:23], s[22:23]
	v_mov_b32_e32 v32, s28
	s_xor_b64 exec, exec, s[22:23]
	s_cbranch_execnz .LBB276_322
.LBB276_127:                            ;   in Loop: Header=BB276_9 Depth=1
	s_or_b64 exec, exec, s[22:23]
	s_and_saveexec_b64 s[22:23], s[20:21]
	s_cbranch_execz .LBB276_129
.LBB276_128:                            ;   in Loop: Header=BB276_9 Depth=1
	v_and_b32_e32 v9, 7, v4
	v_ffbh_u32_e32 v10, v9
	v_min_u32_e32 v14, 32, v10
	v_subrev_u32_e32 v10, 28, v14
	v_bfe_u32 v13, v4, 3, 4
	v_lshlrev_b64 v[10:11], v10, v[4:5]
	v_sub_u32_e32 v11, 29, v14
	v_cmp_eq_u32_e64 s[4:5], 0, v13
	v_and_b32_e32 v10, 7, v10
	v_lshlrev_b32_e32 v4, 8, v4
	v_cndmask_b32_e64 v11, v13, v11, s[4:5]
	v_cndmask_b32_e64 v9, v9, v10, s[4:5]
	v_lshl_add_u32 v10, v11, 10, v48
	v_and_or_b32 v4, v4, s27, v10
	v_lshl_or_b32 v4, v9, 7, v4
	v_cvt_f32_f16_e32 v32, v4
.LBB276_129:                            ;   in Loop: Header=BB276_9 Depth=1
	s_or_b64 exec, exec, s[22:23]
	v_lshrrev_b32_e32 v4, 16, v8
	v_cmp_gt_i16_sdwa s[20:21], v4, s17 src0_sel:BYTE_0 src1_sel:DWORD
	s_mov_b64 s[4:5], 0
                                        ; implicit-def: $sgpr24
	s_and_saveexec_b64 s[22:23], s[20:21]
	s_xor_b64 s[20:21], exec, s[22:23]
	s_cbranch_execnz .LBB276_323
; %bb.130:                              ;   in Loop: Header=BB276_9 Depth=1
	s_or_saveexec_b64 s[20:21], s[20:21]
	v_mov_b32_e32 v14, s24
	s_xor_b64 exec, exec, s[20:21]
	s_cbranch_execnz .LBB276_326
.LBB276_131:                            ;   in Loop: Header=BB276_9 Depth=1
	s_or_b64 exec, exec, s[20:21]
	s_and_saveexec_b64 s[20:21], s[4:5]
	s_cbranch_execz .LBB276_133
.LBB276_132:                            ;   in Loop: Header=BB276_9 Depth=1
	v_bfe_u32 v9, v8, 16, 3
	v_ffbh_u32_e32 v10, v9
	v_min_u32_e32 v14, 32, v10
	v_subrev_u32_e32 v10, 28, v14
	v_bfe_u32 v13, v8, 19, 4
	v_lshlrev_b64 v[10:11], v10, v[4:5]
	v_sub_u32_e32 v11, 29, v14
	v_cmp_eq_u32_e64 s[4:5], 0, v13
	v_and_b32_e32 v10, 7, v10
	v_lshlrev_b32_e32 v4, 8, v4
	v_cndmask_b32_e64 v11, v13, v11, s[4:5]
	v_cndmask_b32_e64 v9, v9, v10, s[4:5]
	v_lshl_add_u32 v10, v11, 10, v48
	v_and_or_b32 v4, v4, s27, v10
	v_lshl_or_b32 v4, v9, 7, v4
	v_cvt_f32_f16_e32 v14, v4
.LBB276_133:                            ;   in Loop: Header=BB276_9 Depth=1
	s_or_b64 exec, exec, s[20:21]
	v_lshrrev_b32_e32 v4, 24, v8
	v_cmp_lt_i16_e64 s[4:5], s17, v4
	s_mov_b64 s[20:21], 0
                                        ; implicit-def: $sgpr28
	s_and_saveexec_b64 s[22:23], s[4:5]
	s_xor_b64 s[22:23], exec, s[22:23]
	s_cbranch_execnz .LBB276_327
; %bb.134:                              ;   in Loop: Header=BB276_9 Depth=1
	s_or_saveexec_b64 s[22:23], s[22:23]
	v_mov_b32_e32 v15, s28
	s_xor_b64 exec, exec, s[22:23]
	s_cbranch_execnz .LBB276_330
.LBB276_135:                            ;   in Loop: Header=BB276_9 Depth=1
	s_or_b64 exec, exec, s[22:23]
	s_and_saveexec_b64 s[22:23], s[20:21]
	s_cbranch_execz .LBB276_137
.LBB276_136:                            ;   in Loop: Header=BB276_9 Depth=1
	v_bfe_u32 v10, v8, 24, 3
	v_bfe_u32 v11, v8, 27, 4
	v_ffbh_u32_e32 v8, v10
	v_min_u32_e32 v13, 32, v8
	v_subrev_u32_e32 v8, 28, v13
	v_lshlrev_b64 v[8:9], v8, v[4:5]
	v_sub_u32_e32 v9, 29, v13
	v_cmp_eq_u32_e64 s[4:5], 0, v11
	v_and_b32_e32 v8, 7, v8
	v_lshlrev_b32_e32 v4, 8, v4
	v_cndmask_b32_e64 v9, v11, v9, s[4:5]
	v_lshl_add_u32 v9, v9, 10, v48
	v_cndmask_b32_e64 v8, v10, v8, s[4:5]
	v_and_or_b32 v4, v4, s27, v9
	v_lshl_or_b32 v4, v8, 7, v4
	v_cvt_f32_f16_e32 v15, v4
.LBB276_137:                            ;   in Loop: Header=BB276_9 Depth=1
	s_or_b64 exec, exec, s[22:23]
	flat_load_dword v8, v[30:31] offset:2048
	s_mov_b64 s[4:5], 0
                                        ; implicit-def: $sgpr24
	s_waitcnt vmcnt(0) lgkmcnt(0)
	v_cmp_gt_i16_sdwa s[20:21], v8, s17 src0_sel:BYTE_0 src1_sel:DWORD
	s_and_saveexec_b64 s[22:23], s[20:21]
	s_xor_b64 s[20:21], exec, s[22:23]
	s_cbranch_execnz .LBB276_331
; %bb.138:                              ;   in Loop: Header=BB276_9 Depth=1
	s_or_saveexec_b64 s[20:21], s[20:21]
	v_mov_b32_e32 v10, s24
	s_xor_b64 exec, exec, s[20:21]
	s_cbranch_execnz .LBB276_334
.LBB276_139:                            ;   in Loop: Header=BB276_9 Depth=1
	s_or_b64 exec, exec, s[20:21]
	s_and_saveexec_b64 s[20:21], s[4:5]
	s_cbranch_execz .LBB276_141
.LBB276_140:                            ;   in Loop: Header=BB276_9 Depth=1
	v_and_b32_e32 v4, 7, v8
	v_ffbh_u32_e32 v10, v4
	v_min_u32_e32 v13, 32, v10
	v_bfe_u32 v9, v8, 3, 4
	v_subrev_u32_e32 v10, 28, v13
	v_lshlrev_b64 v[10:11], v10, v[8:9]
	v_sub_u32_e32 v11, 29, v13
	v_cmp_eq_u32_e64 s[4:5], 0, v9
	v_and_b32_e32 v10, 7, v10
	s_nop 0
	v_cndmask_b32_e64 v9, v9, v11, s[4:5]
	v_cndmask_b32_e64 v4, v4, v10, s[4:5]
	v_lshlrev_b32_e32 v10, 8, v8
	v_lshl_add_u32 v9, v9, 10, v48
	v_and_or_b32 v9, v10, s27, v9
	v_lshl_or_b32 v4, v4, 7, v9
	v_cvt_f32_f16_e32 v10, v4
.LBB276_141:                            ;   in Loop: Header=BB276_9 Depth=1
	s_or_b64 exec, exec, s[20:21]
	v_lshrrev_b16_e32 v4, 8, v8
	v_cmp_lt_i16_e64 s[4:5], s17, v4
	s_mov_b64 s[20:21], 0
                                        ; implicit-def: $sgpr28
	s_and_saveexec_b64 s[22:23], s[4:5]
	s_xor_b64 s[22:23], exec, s[22:23]
	s_cbranch_execnz .LBB276_335
; %bb.142:                              ;   in Loop: Header=BB276_9 Depth=1
	s_or_saveexec_b64 s[22:23], s[22:23]
	v_mov_b32_e32 v11, s28
	s_xor_b64 exec, exec, s[22:23]
	s_cbranch_execnz .LBB276_338
.LBB276_143:                            ;   in Loop: Header=BB276_9 Depth=1
	s_or_b64 exec, exec, s[22:23]
	s_and_saveexec_b64 s[22:23], s[20:21]
	s_cbranch_execz .LBB276_145
.LBB276_144:                            ;   in Loop: Header=BB276_9 Depth=1
	v_and_b32_e32 v9, 7, v4
	v_ffbh_u32_e32 v13, v9
	v_bfe_u32 v11, v4, 3, 4
	v_min_u32_e32 v13, 32, v13
	v_subrev_u32_e32 v18, 28, v13
	v_sub_u32_e32 v13, 29, v13
	v_cmp_eq_u32_e64 s[4:5], 0, v11
	v_lshlrev_b64 v[20:21], v18, v[4:5]
	v_and_b32_e32 v18, 7, v20
	v_cndmask_b32_e64 v11, v11, v13, s[4:5]
	v_lshlrev_b32_e32 v4, 8, v4
	v_lshl_add_u32 v11, v11, 10, v48
	v_cndmask_b32_e64 v9, v9, v18, s[4:5]
	v_and_or_b32 v4, v4, s27, v11
	v_lshl_or_b32 v4, v9, 7, v4
	v_cvt_f32_f16_e32 v11, v4
.LBB276_145:                            ;   in Loop: Header=BB276_9 Depth=1
	s_or_b64 exec, exec, s[22:23]
	v_lshrrev_b32_e32 v4, 16, v8
	v_cmp_gt_i16_sdwa s[20:21], v4, s17 src0_sel:BYTE_0 src1_sel:DWORD
	s_mov_b64 s[4:5], 0
                                        ; implicit-def: $sgpr24
	s_and_saveexec_b64 s[22:23], s[20:21]
	s_xor_b64 s[20:21], exec, s[22:23]
	s_cbranch_execnz .LBB276_339
; %bb.146:                              ;   in Loop: Header=BB276_9 Depth=1
	s_or_saveexec_b64 s[20:21], s[20:21]
	v_mov_b32_e32 v37, s24
	s_xor_b64 exec, exec, s[20:21]
	s_cbranch_execnz .LBB276_342
.LBB276_147:                            ;   in Loop: Header=BB276_9 Depth=1
	s_or_b64 exec, exec, s[20:21]
	s_and_saveexec_b64 s[20:21], s[4:5]
	s_cbranch_execz .LBB276_149
.LBB276_148:                            ;   in Loop: Header=BB276_9 Depth=1
	v_bfe_u32 v9, v8, 16, 3
	v_ffbh_u32_e32 v18, v9
	v_bfe_u32 v13, v8, 19, 4
	v_min_u32_e32 v18, 32, v18
	v_subrev_u32_e32 v20, 28, v18
	v_sub_u32_e32 v18, 29, v18
	v_cmp_eq_u32_e64 s[4:5], 0, v13
	v_lshlrev_b64 v[20:21], v20, v[4:5]
	v_and_b32_e32 v20, 7, v20
	v_cndmask_b32_e64 v13, v13, v18, s[4:5]
	v_lshlrev_b32_e32 v4, 8, v4
	v_lshl_add_u32 v13, v13, 10, v48
	v_cndmask_b32_e64 v9, v9, v20, s[4:5]
	v_and_or_b32 v4, v4, s27, v13
	v_lshl_or_b32 v4, v9, 7, v4
	v_cvt_f32_f16_e32 v37, v4
.LBB276_149:                            ;   in Loop: Header=BB276_9 Depth=1
	s_or_b64 exec, exec, s[20:21]
	v_lshrrev_b32_e32 v4, 24, v8
	v_cmp_lt_i16_e64 s[4:5], s17, v4
	s_mov_b64 s[20:21], 0
                                        ; implicit-def: $sgpr28
	s_and_saveexec_b64 s[22:23], s[4:5]
	s_xor_b64 s[22:23], exec, s[22:23]
	s_cbranch_execnz .LBB276_343
; %bb.150:                              ;   in Loop: Header=BB276_9 Depth=1
	s_or_saveexec_b64 s[22:23], s[22:23]
	v_mov_b32_e32 v33, s28
	s_xor_b64 exec, exec, s[22:23]
	s_cbranch_execnz .LBB276_346
.LBB276_151:                            ;   in Loop: Header=BB276_9 Depth=1
	s_or_b64 exec, exec, s[22:23]
	s_and_saveexec_b64 s[22:23], s[20:21]
	s_cbranch_execz .LBB276_153
.LBB276_152:                            ;   in Loop: Header=BB276_9 Depth=1
	v_bfe_u32 v13, v8, 24, 3
	v_bfe_u32 v18, v8, 27, 4
	v_ffbh_u32_e32 v8, v13
	v_min_u32_e32 v20, 32, v8
	v_subrev_u32_e32 v8, 28, v20
	v_lshlrev_b64 v[8:9], v8, v[4:5]
	v_sub_u32_e32 v9, 29, v20
	v_cmp_eq_u32_e64 s[4:5], 0, v18
	v_and_b32_e32 v8, 7, v8
	v_lshlrev_b32_e32 v4, 8, v4
	v_cndmask_b32_e64 v9, v18, v9, s[4:5]
	v_lshl_add_u32 v9, v9, 10, v48
	v_cndmask_b32_e64 v8, v13, v8, s[4:5]
	v_and_or_b32 v4, v4, s27, v9
	v_lshl_or_b32 v4, v8, 7, v4
	v_cvt_f32_f16_e32 v33, v4
.LBB276_153:                            ;   in Loop: Header=BB276_9 Depth=1
	s_or_b64 exec, exec, s[22:23]
	flat_load_dword v8, v[30:31] offset:2056
	s_mov_b64 s[4:5], 0
                                        ; implicit-def: $sgpr24
	s_waitcnt vmcnt(0) lgkmcnt(0)
	v_cmp_gt_i16_sdwa s[20:21], v8, s17 src0_sel:BYTE_0 src1_sel:DWORD
	s_and_saveexec_b64 s[22:23], s[20:21]
	s_xor_b64 s[20:21], exec, s[22:23]
	s_cbranch_execnz .LBB276_347
; %bb.154:                              ;   in Loop: Header=BB276_9 Depth=1
	s_or_saveexec_b64 s[20:21], s[20:21]
	v_mov_b32_e32 v13, s24
	s_xor_b64 exec, exec, s[20:21]
	s_cbranch_execnz .LBB276_350
.LBB276_155:                            ;   in Loop: Header=BB276_9 Depth=1
	s_or_b64 exec, exec, s[20:21]
	s_and_saveexec_b64 s[20:21], s[4:5]
	s_cbranch_execz .LBB276_157
.LBB276_156:                            ;   in Loop: Header=BB276_9 Depth=1
	v_and_b32_e32 v4, 7, v8
	v_ffbh_u32_e32 v13, v4
	v_bfe_u32 v9, v8, 3, 4
	v_min_u32_e32 v13, 32, v13
	v_subrev_u32_e32 v18, 28, v13
	v_sub_u32_e32 v13, 29, v13
	v_cmp_eq_u32_e64 s[4:5], 0, v9
	v_lshlrev_b64 v[20:21], v18, v[8:9]
	v_and_b32_e32 v18, 7, v20
	v_cndmask_b32_e64 v9, v9, v13, s[4:5]
	v_lshlrev_b32_e32 v13, 8, v8
	v_lshl_add_u32 v9, v9, 10, v48
	v_cndmask_b32_e64 v4, v4, v18, s[4:5]
	v_and_or_b32 v9, v13, s27, v9
	v_lshl_or_b32 v4, v4, 7, v9
	v_cvt_f32_f16_e32 v13, v4
.LBB276_157:                            ;   in Loop: Header=BB276_9 Depth=1
	s_or_b64 exec, exec, s[20:21]
	v_lshrrev_b16_e32 v4, 8, v8
	v_cmp_lt_i16_e64 s[4:5], s17, v4
	s_mov_b64 s[20:21], 0
                                        ; implicit-def: $sgpr28
	s_and_saveexec_b64 s[22:23], s[4:5]
	s_xor_b64 s[22:23], exec, s[22:23]
	s_cbranch_execnz .LBB276_351
; %bb.158:                              ;   in Loop: Header=BB276_9 Depth=1
	s_or_saveexec_b64 s[22:23], s[22:23]
	v_mov_b32_e32 v9, s28
	s_xor_b64 exec, exec, s[22:23]
	s_cbranch_execnz .LBB276_354
.LBB276_159:                            ;   in Loop: Header=BB276_9 Depth=1
	s_or_b64 exec, exec, s[22:23]
	s_and_saveexec_b64 s[22:23], s[20:21]
	s_cbranch_execz .LBB276_161
.LBB276_160:                            ;   in Loop: Header=BB276_9 Depth=1
	v_and_b32_e32 v9, 7, v4
	v_ffbh_u32_e32 v20, v9
	v_min_u32_e32 v22, 32, v20
	v_subrev_u32_e32 v20, 28, v22
	v_bfe_u32 v18, v4, 3, 4
	v_lshlrev_b64 v[20:21], v20, v[4:5]
	v_sub_u32_e32 v21, 29, v22
	v_cmp_eq_u32_e64 s[4:5], 0, v18
	v_and_b32_e32 v20, 7, v20
	v_lshlrev_b32_e32 v4, 8, v4
	v_cndmask_b32_e64 v18, v18, v21, s[4:5]
	v_lshl_add_u32 v18, v18, 10, v48
	v_cndmask_b32_e64 v9, v9, v20, s[4:5]
	v_and_or_b32 v4, v4, s27, v18
	v_lshl_or_b32 v4, v9, 7, v4
	v_cvt_f32_f16_e32 v9, v4
.LBB276_161:                            ;   in Loop: Header=BB276_9 Depth=1
	s_or_b64 exec, exec, s[22:23]
	v_lshrrev_b32_e32 v4, 16, v8
	v_cmp_gt_i16_sdwa s[20:21], v4, s17 src0_sel:BYTE_0 src1_sel:DWORD
	s_mov_b64 s[4:5], 0
                                        ; implicit-def: $sgpr24
	s_and_saveexec_b64 s[22:23], s[20:21]
	s_xor_b64 s[20:21], exec, s[22:23]
	s_cbranch_execnz .LBB276_355
; %bb.162:                              ;   in Loop: Header=BB276_9 Depth=1
	s_or_saveexec_b64 s[20:21], s[20:21]
	v_mov_b32_e32 v24, s24
	s_xor_b64 exec, exec, s[20:21]
	s_cbranch_execnz .LBB276_358
.LBB276_163:                            ;   in Loop: Header=BB276_9 Depth=1
	s_or_b64 exec, exec, s[20:21]
	s_and_saveexec_b64 s[20:21], s[4:5]
	s_cbranch_execz .LBB276_165
.LBB276_164:                            ;   in Loop: Header=BB276_9 Depth=1
	v_bfe_u32 v18, v8, 16, 3
	v_ffbh_u32_e32 v20, v18
	v_min_u32_e32 v23, 32, v20
	v_subrev_u32_e32 v20, 28, v23
	v_bfe_u32 v22, v8, 19, 4
	v_lshlrev_b64 v[20:21], v20, v[4:5]
	v_sub_u32_e32 v21, 29, v23
	v_cmp_eq_u32_e64 s[4:5], 0, v22
	v_and_b32_e32 v20, 7, v20
	v_lshlrev_b32_e32 v4, 8, v4
	v_cndmask_b32_e64 v21, v22, v21, s[4:5]
	v_cndmask_b32_e64 v18, v18, v20, s[4:5]
	v_lshl_add_u32 v20, v21, 10, v48
	v_and_or_b32 v4, v4, s27, v20
	v_lshl_or_b32 v4, v18, 7, v4
	v_cvt_f32_f16_e32 v24, v4
.LBB276_165:                            ;   in Loop: Header=BB276_9 Depth=1
	s_or_b64 exec, exec, s[20:21]
	v_lshrrev_b32_e32 v4, 24, v8
	v_cmp_lt_i16_e64 s[4:5], s17, v4
	s_mov_b64 s[20:21], 0
                                        ; implicit-def: $sgpr28
	s_and_saveexec_b64 s[22:23], s[4:5]
	s_xor_b64 s[22:23], exec, s[22:23]
	s_cbranch_execnz .LBB276_359
; %bb.166:                              ;   in Loop: Header=BB276_9 Depth=1
	s_or_saveexec_b64 s[22:23], s[22:23]
	v_mov_b32_e32 v25, s28
	s_xor_b64 exec, exec, s[22:23]
	s_cbranch_execnz .LBB276_362
.LBB276_167:                            ;   in Loop: Header=BB276_9 Depth=1
	s_or_b64 exec, exec, s[22:23]
	s_and_saveexec_b64 s[22:23], s[20:21]
	s_cbranch_execz .LBB276_169
.LBB276_168:                            ;   in Loop: Header=BB276_9 Depth=1
	v_bfe_u32 v18, v8, 24, 3
	v_ffbh_u32_e32 v20, v18
	v_min_u32_e32 v22, 32, v20
	v_subrev_u32_e32 v20, 28, v22
	v_bfe_u32 v8, v8, 27, 4
	v_lshlrev_b64 v[20:21], v20, v[4:5]
	v_sub_u32_e32 v21, 29, v22
	v_cmp_eq_u32_e64 s[4:5], 0, v8
	v_and_b32_e32 v20, 7, v20
	v_lshlrev_b32_e32 v4, 8, v4
	v_cndmask_b32_e64 v8, v8, v21, s[4:5]
	v_lshl_add_u32 v8, v8, 10, v48
	v_cndmask_b32_e64 v18, v18, v20, s[4:5]
	v_and_or_b32 v4, v4, s27, v8
	v_lshl_or_b32 v4, v18, 7, v4
	v_cvt_f32_f16_e32 v25, v4
.LBB276_169:                            ;   in Loop: Header=BB276_9 Depth=1
	s_or_b64 exec, exec, s[22:23]
	flat_load_dword v8, v[30:31] offset:2560
	s_mov_b64 s[4:5], 0
                                        ; implicit-def: $sgpr24
	s_waitcnt vmcnt(0) lgkmcnt(0)
	v_cmp_gt_i16_sdwa s[20:21], v8, s17 src0_sel:BYTE_0 src1_sel:DWORD
	s_and_saveexec_b64 s[22:23], s[20:21]
	s_xor_b64 s[20:21], exec, s[22:23]
	s_cbranch_execnz .LBB276_363
; %bb.170:                              ;   in Loop: Header=BB276_9 Depth=1
	s_or_saveexec_b64 s[20:21], s[20:21]
	v_mov_b32_e32 v26, s24
	s_xor_b64 exec, exec, s[20:21]
	s_cbranch_execnz .LBB276_366
.LBB276_171:                            ;   in Loop: Header=BB276_9 Depth=1
	s_or_b64 exec, exec, s[20:21]
	s_and_saveexec_b64 s[20:21], s[4:5]
	s_cbranch_execz .LBB276_173
.LBB276_172:                            ;   in Loop: Header=BB276_9 Depth=1
	v_and_b32_e32 v4, 7, v8
	v_ffbh_u32_e32 v20, v4
	v_min_u32_e32 v22, 32, v20
	v_subrev_u32_e32 v20, 28, v22
	v_bfe_u32 v18, v8, 3, 4
	v_lshlrev_b64 v[20:21], v20, v[8:9]
	v_sub_u32_e32 v21, 29, v22
	v_cmp_eq_u32_e64 s[4:5], 0, v18
	v_and_b32_e32 v20, 7, v20
	s_nop 0
	v_cndmask_b32_e64 v18, v18, v21, s[4:5]
	v_cndmask_b32_e64 v4, v4, v20, s[4:5]
	v_lshlrev_b32_e32 v20, 8, v8
	v_lshl_add_u32 v18, v18, 10, v48
	v_and_or_b32 v18, v20, s27, v18
	v_lshl_or_b32 v4, v4, 7, v18
	v_cvt_f32_f16_e32 v26, v4
.LBB276_173:                            ;   in Loop: Header=BB276_9 Depth=1
	s_or_b64 exec, exec, s[20:21]
	v_lshrrev_b16_e32 v4, 8, v8
	v_cmp_lt_i16_e64 s[4:5], s17, v4
	s_mov_b64 s[20:21], 0
                                        ; implicit-def: $sgpr28
	s_and_saveexec_b64 s[22:23], s[4:5]
	s_xor_b64 s[22:23], exec, s[22:23]
	s_cbranch_execnz .LBB276_367
; %bb.174:                              ;   in Loop: Header=BB276_9 Depth=1
	s_or_saveexec_b64 s[22:23], s[22:23]
	v_mov_b32_e32 v27, s28
	s_xor_b64 exec, exec, s[22:23]
	s_cbranch_execnz .LBB276_370
.LBB276_175:                            ;   in Loop: Header=BB276_9 Depth=1
	s_or_b64 exec, exec, s[22:23]
	s_and_saveexec_b64 s[22:23], s[20:21]
	s_cbranch_execz .LBB276_177
.LBB276_176:                            ;   in Loop: Header=BB276_9 Depth=1
	v_and_b32_e32 v18, 7, v4
	v_ffbh_u32_e32 v20, v18
	v_min_u32_e32 v23, 32, v20
	v_subrev_u32_e32 v20, 28, v23
	v_bfe_u32 v22, v4, 3, 4
	v_lshlrev_b64 v[20:21], v20, v[4:5]
	v_sub_u32_e32 v21, 29, v23
	v_cmp_eq_u32_e64 s[4:5], 0, v22
	v_and_b32_e32 v20, 7, v20
	v_lshlrev_b32_e32 v4, 8, v4
	v_cndmask_b32_e64 v21, v22, v21, s[4:5]
	v_cndmask_b32_e64 v18, v18, v20, s[4:5]
	v_lshl_add_u32 v20, v21, 10, v48
	v_and_or_b32 v4, v4, s27, v20
	v_lshl_or_b32 v4, v18, 7, v4
	v_cvt_f32_f16_e32 v27, v4
.LBB276_177:                            ;   in Loop: Header=BB276_9 Depth=1
	s_or_b64 exec, exec, s[22:23]
	v_lshrrev_b32_e32 v4, 16, v8
	v_cmp_gt_i16_sdwa s[20:21], v4, s17 src0_sel:BYTE_0 src1_sel:DWORD
	s_mov_b64 s[4:5], 0
                                        ; implicit-def: $sgpr24
	s_and_saveexec_b64 s[22:23], s[20:21]
	s_xor_b64 s[20:21], exec, s[22:23]
	s_cbranch_execnz .LBB276_371
; %bb.178:                              ;   in Loop: Header=BB276_9 Depth=1
	s_or_saveexec_b64 s[20:21], s[20:21]
	v_mov_b32_e32 v36, s24
	s_xor_b64 exec, exec, s[20:21]
	s_cbranch_execnz .LBB276_374
.LBB276_179:                            ;   in Loop: Header=BB276_9 Depth=1
	s_or_b64 exec, exec, s[20:21]
	s_and_saveexec_b64 s[20:21], s[4:5]
	s_cbranch_execz .LBB276_181
.LBB276_180:                            ;   in Loop: Header=BB276_9 Depth=1
	v_bfe_u32 v18, v8, 16, 3
	v_ffbh_u32_e32 v20, v18
	v_min_u32_e32 v23, 32, v20
	v_subrev_u32_e32 v20, 28, v23
	v_bfe_u32 v22, v8, 19, 4
	v_lshlrev_b64 v[20:21], v20, v[4:5]
	v_sub_u32_e32 v21, 29, v23
	v_cmp_eq_u32_e64 s[4:5], 0, v22
	v_and_b32_e32 v20, 7, v20
	v_lshlrev_b32_e32 v4, 8, v4
	v_cndmask_b32_e64 v21, v22, v21, s[4:5]
	v_cndmask_b32_e64 v18, v18, v20, s[4:5]
	v_lshl_add_u32 v20, v21, 10, v48
	v_and_or_b32 v4, v4, s27, v20
	v_lshl_or_b32 v4, v18, 7, v4
	v_cvt_f32_f16_e32 v36, v4
.LBB276_181:                            ;   in Loop: Header=BB276_9 Depth=1
	s_or_b64 exec, exec, s[20:21]
	v_lshrrev_b32_e32 v4, 24, v8
	v_cmp_lt_i16_e64 s[4:5], s17, v4
	s_mov_b64 s[20:21], 0
                                        ; implicit-def: $sgpr28
	s_and_saveexec_b64 s[22:23], s[4:5]
	s_xor_b64 s[22:23], exec, s[22:23]
	s_cbranch_execnz .LBB276_375
; %bb.182:                              ;   in Loop: Header=BB276_9 Depth=1
	s_or_saveexec_b64 s[22:23], s[22:23]
	v_mov_b32_e32 v18, s28
	s_xor_b64 exec, exec, s[22:23]
	s_cbranch_execnz .LBB276_378
.LBB276_183:                            ;   in Loop: Header=BB276_9 Depth=1
	s_or_b64 exec, exec, s[22:23]
	s_and_saveexec_b64 s[22:23], s[20:21]
	s_cbranch_execz .LBB276_185
.LBB276_184:                            ;   in Loop: Header=BB276_9 Depth=1
	v_bfe_u32 v18, v8, 24, 3
	v_ffbh_u32_e32 v20, v18
	v_min_u32_e32 v22, 32, v20
	v_subrev_u32_e32 v20, 28, v22
	v_bfe_u32 v8, v8, 27, 4
	v_lshlrev_b64 v[20:21], v20, v[4:5]
	v_sub_u32_e32 v21, 29, v22
	v_cmp_eq_u32_e64 s[4:5], 0, v8
	v_and_b32_e32 v20, 7, v20
	v_lshlrev_b32_e32 v4, 8, v4
	v_cndmask_b32_e64 v8, v8, v21, s[4:5]
	v_lshl_add_u32 v8, v8, 10, v48
	v_cndmask_b32_e64 v18, v18, v20, s[4:5]
	v_and_or_b32 v4, v4, s27, v8
	v_lshl_or_b32 v4, v18, 7, v4
	v_cvt_f32_f16_e32 v18, v4
.LBB276_185:                            ;   in Loop: Header=BB276_9 Depth=1
	s_or_b64 exec, exec, s[22:23]
	flat_load_dword v8, v[30:31] offset:2568
	s_mov_b64 s[4:5], 0
                                        ; implicit-def: $sgpr24
	s_waitcnt vmcnt(0) lgkmcnt(0)
	v_cmp_gt_i16_sdwa s[20:21], v8, s17 src0_sel:BYTE_0 src1_sel:DWORD
	s_and_saveexec_b64 s[22:23], s[20:21]
	s_xor_b64 s[20:21], exec, s[22:23]
	s_cbranch_execnz .LBB276_379
; %bb.186:                              ;   in Loop: Header=BB276_9 Depth=1
	s_or_saveexec_b64 s[20:21], s[20:21]
	v_mov_b32_e32 v21, s24
	s_xor_b64 exec, exec, s[20:21]
	s_cbranch_execnz .LBB276_382
.LBB276_187:                            ;   in Loop: Header=BB276_9 Depth=1
	s_or_b64 exec, exec, s[20:21]
	s_and_saveexec_b64 s[20:21], s[4:5]
	s_cbranch_execz .LBB276_189
.LBB276_188:                            ;   in Loop: Header=BB276_9 Depth=1
	v_and_b32_e32 v4, 7, v8
	v_ffbh_u32_e32 v20, v4
	v_min_u32_e32 v23, 32, v20
	v_subrev_u32_e32 v20, 28, v23
	v_bfe_u32 v22, v8, 3, 4
	v_lshlrev_b64 v[20:21], v20, v[8:9]
	v_sub_u32_e32 v21, 29, v23
	v_cmp_eq_u32_e64 s[4:5], 0, v22
	v_and_b32_e32 v20, 7, v20
	s_nop 0
	v_cndmask_b32_e64 v21, v22, v21, s[4:5]
	v_cndmask_b32_e64 v4, v4, v20, s[4:5]
	v_lshlrev_b32_e32 v20, 8, v8
	v_lshl_add_u32 v21, v21, 10, v48
	v_and_or_b32 v20, v20, s27, v21
	v_lshl_or_b32 v4, v4, 7, v20
	v_cvt_f32_f16_e32 v21, v4
.LBB276_189:                            ;   in Loop: Header=BB276_9 Depth=1
	s_or_b64 exec, exec, s[20:21]
	v_lshrrev_b16_e32 v4, 8, v8
	v_cmp_lt_i16_e64 s[4:5], s17, v4
	s_mov_b64 s[20:21], 0
                                        ; implicit-def: $sgpr28
	s_and_saveexec_b64 s[22:23], s[4:5]
	s_xor_b64 s[22:23], exec, s[22:23]
	s_cbranch_execnz .LBB276_383
; %bb.190:                              ;   in Loop: Header=BB276_9 Depth=1
	s_or_saveexec_b64 s[22:23], s[22:23]
	v_mov_b32_e32 v20, s28
	s_xor_b64 exec, exec, s[22:23]
	s_cbranch_execnz .LBB276_386
.LBB276_191:                            ;   in Loop: Header=BB276_9 Depth=1
	s_or_b64 exec, exec, s[22:23]
	s_and_saveexec_b64 s[22:23], s[20:21]
	s_cbranch_execz .LBB276_193
.LBB276_192:                            ;   in Loop: Header=BB276_9 Depth=1
	v_and_b32_e32 v20, 7, v4
	v_ffbh_u32_e32 v22, v20
	v_min_u32_e32 v31, 32, v22
	v_subrev_u32_e32 v22, 28, v31
	v_bfe_u32 v30, v4, 3, 4
	v_lshlrev_b64 v[22:23], v22, v[4:5]
	v_sub_u32_e32 v23, 29, v31
	v_cmp_eq_u32_e64 s[4:5], 0, v30
	v_and_b32_e32 v22, 7, v22
	v_lshlrev_b32_e32 v4, 8, v4
	v_cndmask_b32_e64 v23, v30, v23, s[4:5]
	v_cndmask_b32_e64 v20, v20, v22, s[4:5]
	v_lshl_add_u32 v22, v23, 10, v48
	v_and_or_b32 v4, v4, s27, v22
	v_lshl_or_b32 v4, v20, 7, v4
	v_cvt_f32_f16_e32 v20, v4
.LBB276_193:                            ;   in Loop: Header=BB276_9 Depth=1
	s_or_b64 exec, exec, s[22:23]
	v_lshrrev_b32_e32 v4, 16, v8
	v_cmp_gt_i16_sdwa s[20:21], v4, s17 src0_sel:BYTE_0 src1_sel:DWORD
	s_mov_b64 s[4:5], 0
                                        ; implicit-def: $sgpr24
	s_and_saveexec_b64 s[22:23], s[20:21]
	s_xor_b64 s[20:21], exec, s[22:23]
	s_cbranch_execnz .LBB276_387
; %bb.194:                              ;   in Loop: Header=BB276_9 Depth=1
	s_or_saveexec_b64 s[20:21], s[20:21]
	v_mov_b32_e32 v22, s24
	s_xor_b64 exec, exec, s[20:21]
	s_cbranch_execnz .LBB276_390
.LBB276_195:                            ;   in Loop: Header=BB276_9 Depth=1
	s_or_b64 exec, exec, s[20:21]
	s_and_saveexec_b64 s[20:21], s[4:5]
	s_cbranch_execz .LBB276_197
.LBB276_196:                            ;   in Loop: Header=BB276_9 Depth=1
	v_bfe_u32 v30, v8, 16, 3
	v_ffbh_u32_e32 v22, v30
	v_min_u32_e32 v51, 32, v22
	v_subrev_u32_e32 v22, 28, v51
	v_bfe_u32 v31, v8, 19, 4
	v_lshlrev_b64 v[22:23], v22, v[4:5]
	v_sub_u32_e32 v23, 29, v51
	v_cmp_eq_u32_e64 s[4:5], 0, v31
	v_and_b32_e32 v22, 7, v22
	v_lshlrev_b32_e32 v4, 8, v4
	v_cndmask_b32_e64 v23, v31, v23, s[4:5]
	v_lshl_add_u32 v23, v23, 10, v48
	v_cndmask_b32_e64 v22, v30, v22, s[4:5]
	v_and_or_b32 v4, v4, s27, v23
	v_lshl_or_b32 v4, v22, 7, v4
	v_cvt_f32_f16_e32 v22, v4
.LBB276_197:                            ;   in Loop: Header=BB276_9 Depth=1
	s_or_b64 exec, exec, s[20:21]
	v_lshrrev_b32_e32 v4, 24, v8
	v_cmp_lt_i16_e64 s[4:5], s17, v4
	s_mov_b64 s[20:21], 0
                                        ; implicit-def: $sgpr28
	s_and_saveexec_b64 s[22:23], s[4:5]
	s_xor_b64 s[22:23], exec, s[22:23]
	s_cbranch_execnz .LBB276_391
; %bb.198:                              ;   in Loop: Header=BB276_9 Depth=1
	s_or_saveexec_b64 s[22:23], s[22:23]
	v_mov_b32_e32 v40, s28
	s_xor_b64 exec, exec, s[22:23]
	s_cbranch_execnz .LBB276_394
.LBB276_199:                            ;   in Loop: Header=BB276_9 Depth=1
	s_or_b64 exec, exec, s[22:23]
	s_and_saveexec_b64 s[22:23], s[20:21]
	s_cbranch_execz .LBB276_201
.LBB276_200:                            ;   in Loop: Header=BB276_9 Depth=1
	v_bfe_u32 v23, v8, 24, 3
	v_ffbh_u32_e32 v30, v23
	v_min_u32_e32 v51, 32, v30
	v_subrev_u32_e32 v30, 28, v51
	v_bfe_u32 v8, v8, 27, 4
	v_lshlrev_b64 v[30:31], v30, v[4:5]
	v_sub_u32_e32 v31, 29, v51
	v_cmp_eq_u32_e64 s[4:5], 0, v8
	v_and_b32_e32 v30, 7, v30
	v_lshlrev_b32_e32 v4, 8, v4
	v_cndmask_b32_e64 v8, v8, v31, s[4:5]
	v_lshl_add_u32 v8, v8, 10, v48
	v_cndmask_b32_e64 v23, v23, v30, s[4:5]
	v_and_or_b32 v4, v4, s27, v8
	v_lshl_or_b32 v4, v23, 7, v4
	v_cvt_f32_f16_e32 v40, v4
.LBB276_201:                            ;   in Loop: Header=BB276_9 Depth=1
	s_or_b64 exec, exec, s[22:23]
	v_accvgpr_read_b32 v38, a23
	v_fma_mixlo_f16 v51, v50, v1, 0
	v_fma_mixlo_f16 v23, v50, v0, 0
	ds_read_b64 v[0:1], v38
	v_fma_mixlo_f16 v30, v50, v13, 0
	v_fma_mixlo_f16 v13, v50, v24, 0
	;; [unrolled: 1-line block ×10, first 2 shown]
	s_waitcnt lgkmcnt(0)
	v_lshrrev_b32_e32 v61, 16, v0
	v_and_b32_e32 v0, 0xffff, v0
	v_fma_mixlo_f16 v4, v50, v18, 0
	v_fma_mixlo_f16 v18, v50, v9, 0
	;; [unrolled: 1-line block ×8, first 2 shown]
	;;#ASMSTART
	v_cvt_f32_f16 v62, v0;
	;;#ASMEND
	v_and_b32_e32 v0, 0xffff, v7
	v_fma_mixlo_f16 v53, v50, v63, 0
	v_fma_mixlo_f16 v63, v50, v2, 0
	;; [unrolled: 1-line block ×3, first 2 shown]
	;;#ASMSTART
	v_cvt_f32_f16 v61, v61;
	;;#ASMEND
	;;#ASMSTART
	v_cvt_f32_f16 v35, v0;
	;;#ASMEND
	v_and_b32_e32 v0, 0xffff, v6
	v_fma_mixlo_f16 v8, v50, v36, 0
	v_fma_mixlo_f16 v36, v50, v10, 0
	;; [unrolled: 1-line block ×6, first 2 shown]
	;;#ASMSTART
	v_cvt_f32_f16 v34, v0;
	;;#ASMEND
	v_lshrrev_b32_e32 v0, 16, v1
	v_fma_mixlo_f16 v31, v50, v11, 0
	v_fma_mixlo_f16 v11, v50, v29, 0
	v_and_b32_e32 v1, 0xffff, v1
	;;#ASMSTART
	v_cvt_f32_f16 v12, v1;
	;;#ASMEND
	;;#ASMSTART
	v_cvt_f32_f16 v19, v0;
	;;#ASMEND
	v_and_b32_e32 v0, 0xffff, v10
	;;#ASMSTART
	v_cvt_f32_f16 v39, v0;
	;;#ASMEND
	v_and_b32_e32 v0, 0xffff, v11
	;;#ASMSTART
	v_cvt_f32_f16 v28, v0;
	;;#ASMEND
	ds_read_b64 v[10:11], v38 offset:8
	v_fma_mixlo_f16 v6, v50, v20, 0
	v_and_b32_e32 v3, 0xffff, v3
	v_and_b32_e32 v2, 0xffff, v2
	v_fma_mixlo_f16 v41, v50, v41, 0
	s_waitcnt lgkmcnt(0)
	v_lshrrev_b32_e32 v20, 16, v10
	v_and_b32_e32 v10, 0xffff, v10
	;;#ASMSTART
	v_cvt_f32_f16 v10, v10;
	;;#ASMEND
	v_fma_mixlo_f16 v42, v50, v42, 0
	v_fma_mixlo_f16 v7, v50, v21, 0
	;;#ASMSTART
	v_cvt_f32_f16 v20, v20;
	;;#ASMEND
	;;#ASMSTART
	v_cvt_f32_f16 v3, v3;
	;;#ASMEND
	;; [unrolled: 3-line block ×3, first 2 shown]
	v_fma_mixlo_f16 v1, v50, v22, 0
	v_mul_f32_e32 v2, v10, v3
	v_lshrrev_b32_e32 v10, 16, v11
	v_and_b32_e32 v11, 0xffff, v11
	v_mul_f32_e32 v3, v20, v21
	;;#ASMSTART
	v_cvt_f32_f16 v11, v11;
	;;#ASMEND
	;;#ASMSTART
	v_cvt_f32_f16 v22, v10;
	;;#ASMEND
	v_and_b32_e32 v10, 0xffff, v41
	v_and_b32_e32 v20, 0xffff, v42
	;;#ASMSTART
	v_cvt_f32_f16 v10, v10;
	;;#ASMEND
	;;#ASMSTART
	v_cvt_f32_f16 v29, v20;
	;;#ASMEND
	ds_read_b64 v[20:21], v38 offset:16
	v_fma_mixlo_f16 v43, v50, v43, 0
	v_mul_f32_e32 v10, v11, v10
	v_mul_f32_e32 v11, v22, v29
	v_fma_mixlo_f16 v44, v50, v44, 0
	v_fmac_f32_e32 v10, v12, v39
	v_fmac_f32_e32 v11, v19, v28
	s_waitcnt lgkmcnt(0)
	v_lshrrev_b32_e32 v12, 16, v20
	v_and_b32_e32 v19, 0xffff, v20
	v_and_b32_e32 v20, 0xffff, v43
	;;#ASMSTART
	v_cvt_f32_f16 v19, v19;
	;;#ASMEND
	;;#ASMSTART
	v_cvt_f32_f16 v12, v12;
	;;#ASMEND
	;; [unrolled: 3-line block ×3, first 2 shown]
	v_and_b32_e32 v20, 0xffff, v44
	v_fma_mixlo_f16 v45, v50, v45, 0
	;;#ASMSTART
	v_cvt_f32_f16 v28, v20;
	;;#ASMEND
	v_lshrrev_b32_e32 v20, 16, v21
	v_fma_mixlo_f16 v46, v50, v46, 0
	v_fmac_f32_e32 v3, v61, v34
	v_and_b32_e32 v21, 0xffff, v21
	;;#ASMSTART
	v_cvt_f32_f16 v29, v21;
	;;#ASMEND
	;;#ASMSTART
	v_cvt_f32_f16 v34, v20;
	;;#ASMEND
	v_and_b32_e32 v20, 0xffff, v45
	v_fmac_f32_e32 v2, v62, v35
	;;#ASMSTART
	v_cvt_f32_f16 v35, v20;
	;;#ASMEND
	v_and_b32_e32 v20, 0xffff, v46
	;;#ASMSTART
	v_cvt_f32_f16 v39, v20;
	;;#ASMEND
	ds_read_b64 v[20:21], v38 offset:24
	v_fma_mixlo_f16 v47, v50, v47, 0
	v_fma_mixlo_f16 v56, v50, v56, 0
	v_fmac_f32_e32 v2, v19, v22
	v_fmac_f32_e32 v3, v12, v28
	s_waitcnt lgkmcnt(0)
	v_lshrrev_b32_e32 v12, 16, v20
	v_and_b32_e32 v19, 0xffff, v20
	v_and_b32_e32 v20, 0xffff, v47
	;;#ASMSTART
	v_cvt_f32_f16 v19, v19;
	;;#ASMEND
	;;#ASMSTART
	v_cvt_f32_f16 v12, v12;
	;;#ASMEND
	;; [unrolled: 3-line block ×3, first 2 shown]
	v_and_b32_e32 v20, 0xffff, v56
	v_fma_mixlo_f16 v57, v50, v57, 0
	;;#ASMSTART
	v_cvt_f32_f16 v28, v20;
	;;#ASMEND
	v_lshrrev_b32_e32 v20, 16, v21
	v_fma_mixlo_f16 v58, v50, v58, 0
	v_fmac_f32_e32 v10, v29, v35
	v_fmac_f32_e32 v11, v34, v39
	v_and_b32_e32 v21, 0xffff, v21
	;;#ASMSTART
	v_cvt_f32_f16 v29, v21;
	;;#ASMEND
	;;#ASMSTART
	v_cvt_f32_f16 v34, v20;
	;;#ASMEND
	v_and_b32_e32 v20, 0xffff, v57
	;;#ASMSTART
	v_cvt_f32_f16 v35, v20;
	;;#ASMEND
	v_and_b32_e32 v20, 0xffff, v58
	;;#ASMSTART
	v_cvt_f32_f16 v39, v20;
	;;#ASMEND
	ds_read_b64 v[20:21], v38 offset:32
	v_fmac_f32_e32 v2, v19, v22
	v_fmac_f32_e32 v3, v12, v28
	;; [unrolled: 1-line block ×4, first 2 shown]
	s_waitcnt lgkmcnt(0)
	v_lshrrev_b32_e32 v12, 16, v20
	v_and_b32_e32 v19, 0xffff, v20
	v_and_b32_e32 v20, 0xffff, v55
	;;#ASMSTART
	v_cvt_f32_f16 v19, v19;
	;;#ASMEND
	;;#ASMSTART
	v_cvt_f32_f16 v12, v12;
	;;#ASMEND
	;; [unrolled: 3-line block ×3, first 2 shown]
	v_and_b32_e32 v20, 0xffff, v54
	;;#ASMSTART
	v_cvt_f32_f16 v28, v20;
	;;#ASMEND
	v_lshrrev_b32_e32 v20, 16, v21
	v_and_b32_e32 v21, 0xffff, v21
	;;#ASMSTART
	v_cvt_f32_f16 v29, v21;
	;;#ASMEND
	;;#ASMSTART
	v_cvt_f32_f16 v34, v20;
	;;#ASMEND
	v_and_b32_e32 v20, 0xffff, v60
	;;#ASMSTART
	v_cvt_f32_f16 v35, v20;
	;;#ASMEND
	v_and_b32_e32 v20, 0xffff, v59
	;;#ASMSTART
	v_cvt_f32_f16 v39, v20;
	;;#ASMEND
	ds_read_b64 v[20:21], v38 offset:40
	v_fmac_f32_e32 v2, v19, v22
	v_fmac_f32_e32 v3, v12, v28
	;; [unrolled: 1-line block ×4, first 2 shown]
	s_waitcnt lgkmcnt(0)
	v_lshrrev_b32_e32 v12, 16, v20
	v_and_b32_e32 v19, 0xffff, v20
	v_and_b32_e32 v20, 0xffff, v53
	;;#ASMSTART
	v_cvt_f32_f16 v19, v19;
	;;#ASMEND
	;;#ASMSTART
	v_cvt_f32_f16 v12, v12;
	;;#ASMEND
	;; [unrolled: 3-line block ×3, first 2 shown]
	v_and_b32_e32 v20, 0xffff, v52
	;;#ASMSTART
	v_cvt_f32_f16 v28, v20;
	;;#ASMEND
	v_lshrrev_b32_e32 v20, 16, v21
	v_and_b32_e32 v21, 0xffff, v21
	;;#ASMSTART
	v_cvt_f32_f16 v29, v21;
	;;#ASMEND
	;;#ASMSTART
	v_cvt_f32_f16 v34, v20;
	;;#ASMEND
	v_and_b32_e32 v20, 0xffff, v63
	v_and_b32_e32 v17, 0xffff, v17
	;;#ASMSTART
	v_cvt_f32_f16 v35, v20;
	;;#ASMEND
	;;#ASMSTART
	v_cvt_f32_f16 v17, v17;
	;;#ASMEND
	ds_read_b64 v[20:21], v38 offset:48
	v_fmac_f32_e32 v11, v34, v17
	v_fmac_f32_e32 v2, v19, v22
	;; [unrolled: 1-line block ×3, first 2 shown]
	v_fma_mixlo_f16 v16, v50, v16, 0
	s_waitcnt lgkmcnt(0)
	v_and_b32_e32 v17, 0xffff, v20
	v_lshrrev_b32_e32 v12, 16, v20
	;;#ASMSTART
	v_cvt_f32_f16 v19, v17;
	;;#ASMEND
	v_and_b32_e32 v17, 0xffff, v23
	;;#ASMSTART
	v_cvt_f32_f16 v12, v12;
	;;#ASMEND
	;;#ASMSTART
	v_cvt_f32_f16 v20, v17;
	;;#ASMEND
	v_and_b32_e32 v17, 0xffff, v51
	;;#ASMSTART
	v_cvt_f32_f16 v22, v17;
	;;#ASMEND
	v_lshrrev_b32_e32 v17, 16, v21
	v_and_b32_e32 v21, 0xffff, v21
	v_and_b32_e32 v16, 0xffff, v16
	;; [unrolled: 1-line block ×3, first 2 shown]
	;;#ASMSTART
	v_cvt_f32_f16 v21, v21;
	;;#ASMEND
	;;#ASMSTART
	v_cvt_f32_f16 v23, v17;
	;;#ASMEND
	;; [unrolled: 3-line block ×4, first 2 shown]
	ds_read_b64 v[16:17], v38 offset:56
	v_fmac_f32_e32 v11, v23, v15
	v_fmac_f32_e32 v3, v12, v22
	;; [unrolled: 1-line block ×4, first 2 shown]
	s_waitcnt lgkmcnt(0)
	v_and_b32_e32 v15, 0xffff, v16
	v_lshrrev_b32_e32 v12, 16, v16
	;;#ASMSTART
	v_cvt_f32_f16 v16, v15;
	;;#ASMEND
	v_and_b32_e32 v15, 0xffff, v37
	;;#ASMSTART
	v_cvt_f32_f16 v12, v12;
	;;#ASMEND
	;;#ASMSTART
	v_cvt_f32_f16 v19, v15;
	;;#ASMEND
	v_and_b32_e32 v15, 0xffff, v33
	;;#ASMSTART
	v_cvt_f32_f16 v20, v15;
	;;#ASMEND
	v_lshrrev_b32_e32 v15, 16, v17
	v_and_b32_e32 v17, 0xffff, v17
	v_fmac_f32_e32 v10, v21, v28
	;;#ASMSTART
	v_cvt_f32_f16 v17, v17;
	;;#ASMEND
	;;#ASMSTART
	v_cvt_f32_f16 v21, v15;
	;;#ASMEND
	v_and_b32_e32 v15, 0xffff, v32
	v_and_b32_e32 v14, 0xffff, v14
	;;#ASMSTART
	v_cvt_f32_f16 v22, v15;
	;;#ASMEND
	;;#ASMSTART
	v_cvt_f32_f16 v23, v14;
	;;#ASMEND
	ds_read_b64 v[14:15], v38 offset:64
	v_fmac_f32_e32 v3, v12, v20
	v_fmac_f32_e32 v2, v16, v19
	v_fmac_f32_e32 v10, v17, v22
	v_fmac_f32_e32 v11, v21, v23
	s_waitcnt lgkmcnt(0)
	v_lshrrev_b32_e32 v12, 16, v14
	v_and_b32_e32 v14, 0xffff, v14
	;;#ASMSTART
	v_cvt_f32_f16 v16, v14;
	;;#ASMEND
	v_and_b32_e32 v14, 0xffff, v36
	;;#ASMSTART
	v_cvt_f32_f16 v12, v12;
	;;#ASMEND
	;;#ASMSTART
	v_cvt_f32_f16 v17, v14;
	;;#ASMEND
	v_and_b32_e32 v14, 0xffff, v31
	;;#ASMSTART
	v_cvt_f32_f16 v19, v14;
	;;#ASMEND
	v_lshrrev_b32_e32 v14, 16, v15
	v_and_b32_e32 v15, 0xffff, v15
	;;#ASMSTART
	v_cvt_f32_f16 v20, v15;
	;;#ASMEND
	;;#ASMSTART
	v_cvt_f32_f16 v21, v14;
	;;#ASMEND
	v_and_b32_e32 v14, 0xffff, v25
	;;#ASMSTART
	v_cvt_f32_f16 v22, v14;
	;;#ASMEND
	v_and_b32_e32 v14, 0xffff, v24
	;;#ASMSTART
	v_cvt_f32_f16 v23, v14;
	;;#ASMEND
	ds_read_b64 v[14:15], v38 offset:72
	v_fmac_f32_e32 v3, v12, v19
	v_fmac_f32_e32 v2, v16, v17
	v_and_b32_e32 v13, 0xffff, v13
	v_and_b32_e32 v9, 0xffff, v9
	s_waitcnt lgkmcnt(0)
	v_lshrrev_b32_e32 v12, 16, v14
	v_and_b32_e32 v14, 0xffff, v14
	;;#ASMSTART
	v_cvt_f32_f16 v16, v14;
	;;#ASMEND
	v_and_b32_e32 v14, 0xffff, v30
	;;#ASMSTART
	v_cvt_f32_f16 v12, v12;
	;;#ASMEND
	;;#ASMSTART
	v_cvt_f32_f16 v17, v14;
	;;#ASMEND
	v_and_b32_e32 v14, 0xffff, v18
	;;#ASMSTART
	v_cvt_f32_f16 v18, v14;
	;;#ASMEND
	v_lshrrev_b32_e32 v14, 16, v15
	v_and_b32_e32 v15, 0xffff, v15
	v_fmac_f32_e32 v10, v20, v22
	;;#ASMSTART
	v_cvt_f32_f16 v19, v15;
	;;#ASMEND
	;;#ASMSTART
	v_cvt_f32_f16 v20, v14;
	;;#ASMEND
	;; [unrolled: 3-line block ×4, first 2 shown]
	ds_read_b64 v[14:15], v38 offset:80
	v_fmac_f32_e32 v11, v21, v23
	v_fma_mixlo_f16 v26, v50, v26, 0
	v_fmac_f32_e32 v3, v12, v18
	v_fmac_f32_e32 v11, v20, v9
	s_waitcnt lgkmcnt(0)
	v_lshrrev_b32_e32 v9, 16, v14
	v_and_b32_e32 v12, 0xffff, v14
	v_fma_mixlo_f16 v27, v50, v27, 0
	v_fmac_f32_e32 v10, v19, v13
	;;#ASMSTART
	v_cvt_f32_f16 v12, v12;
	;;#ASMEND
	;;#ASMSTART
	v_cvt_f32_f16 v13, v9;
	;;#ASMEND
	v_and_b32_e32 v9, 0xffff, v26
	;;#ASMSTART
	v_cvt_f32_f16 v14, v9;
	;;#ASMEND
	v_and_b32_e32 v9, 0xffff, v27
	v_fmac_f32_e32 v2, v16, v17
	;;#ASMSTART
	v_cvt_f32_f16 v16, v9;
	;;#ASMEND
	v_lshrrev_b32_e32 v9, 16, v15
	v_and_b32_e32 v15, 0xffff, v15
	v_and_b32_e32 v8, 0xffff, v8
	v_and_b32_e32 v4, 0xffff, v4
	;;#ASMSTART
	v_cvt_f32_f16 v15, v15;
	;;#ASMEND
	;;#ASMSTART
	v_cvt_f32_f16 v17, v9;
	;;#ASMEND
	;; [unrolled: 3-line block ×4, first 2 shown]
	ds_read_b64 v[8:9], v38 offset:88
	v_fmac_f32_e32 v11, v17, v4
	v_and_b32_e32 v7, 0xffff, v7
	v_and_b32_e32 v6, 0xffff, v6
	v_fma_mixlo_f16 v0, v50, v40, 0
	s_waitcnt lgkmcnt(0)
	v_lshrrev_b32_e32 v4, 16, v8
	v_and_b32_e32 v8, 0xffff, v8
	v_fmac_f32_e32 v3, v13, v16
	;;#ASMSTART
	v_cvt_f32_f16 v8, v8;
	;;#ASMEND
	;;#ASMSTART
	v_cvt_f32_f16 v4, v4;
	;;#ASMEND
	;; [unrolled: 3-line block ×4, first 2 shown]
	v_fmac_f32_e32 v2, v12, v14
	v_fmac_f32_e32 v3, v4, v6
	v_lshrrev_b32_e32 v4, 16, v9
	v_and_b32_e32 v6, 0xffff, v9
	v_and_b32_e32 v1, 0xffff, v1
	;; [unrolled: 1-line block ×3, first 2 shown]
	v_fmac_f32_e32 v10, v15, v18
	v_fmac_f32_e32 v2, v8, v7
	;;#ASMSTART
	v_cvt_f32_f16 v6, v6;
	;;#ASMEND
	;;#ASMSTART
	v_cvt_f32_f16 v4, v4;
	;;#ASMEND
	;; [unrolled: 3-line block ×4, first 2 shown]
	s_nop 0
	v_fmac_f32_e32 v10, v6, v1
	v_fmac_f32_e32 v11, v4, v0
	v_add_f32_e32 v0, v2, v3
	v_add_f32_e32 v0, v0, v10
	v_accvgpr_read_b32 v3, a22
	v_add_f32_e32 v1, v11, v0
	v_and_b32_e32 v0, 64, v3
	v_xor_b32_e32 v2, 1, v3
	v_add_u32_e32 v0, 64, v0
	v_cmp_lt_i32_e64 s[4:5], v2, v0
	s_nop 1
	v_cndmask_b32_e64 v2, v3, v2, s[4:5]
	v_lshlrev_b32_e32 v2, 2, v2
	ds_bpermute_b32 v2, v2, v1
	s_and_saveexec_b64 s[20:21], vcc
	s_cbranch_execz .LBB276_8
; %bb.202:                              ;   in Loop: Header=BB276_9 Depth=1
	s_waitcnt lgkmcnt(0)
	v_add_f32_e32 v1, v1, v2
	scratch_load_dword v2, off, s32 offset:72 ; 4-byte Folded Reload
	v_accvgpr_read_b32 v3, a30
	v_accvgpr_read_b32 v6, a31
	v_add_u32_e32 v3, v3, v6
	v_cvt_f32_i32_e32 v3, v3
	s_load_dword s4, s[8:9], 0x0
	v_accvgpr_read_b32 v4, a15
	s_waitcnt vmcnt(0)
	v_mul_f32_e32 v2, v2, v3
	v_cndmask_b32_e64 v2, 0, v2, s[2:3]
	v_accvgpr_read_b32 v3, a32
	v_fmac_f32_e32 v2, v1, v4
	v_accvgpr_read_b32 v4, a8
	s_waitcnt lgkmcnt(0)
	v_add_u32_e32 v3, s4, v3
	v_cmp_lt_i32_e64 s[4:5], v6, v4
	s_nop 1
	v_cndmask_b32_e64 v1, 0, v2, s[4:5]
	ds_write_b32 v3, v1
	scratch_load_dword v3, off, s32 offset:68 ; 4-byte Folded Reload
	s_waitcnt vmcnt(0)
	v_max_f32_e32 v1, v3, v3
	v_max_f32_e32 v1, v1, v2
	v_cndmask_b32_e64 v3, v3, v1, s[4:5]
	scratch_store_dword off, v3, s32 offset:68 ; 4-byte Folded Spill
	s_branch .LBB276_8
.LBB276_203:                            ;   in Loop: Header=BB276_9 Depth=1
	v_cmp_eq_u16_sdwa s[28:29], v8, s26 src0_sel:BYTE_0 src1_sel:DWORD
	s_mov_b64 s[4:5], -1
                                        ; implicit-def: $sgpr24
	s_and_saveexec_b64 s[22:23], s[28:29]
; %bb.204:                              ;   in Loop: Header=BB276_9 Depth=1
	s_mov_b32 s24, 0x7fc02000
	s_xor_b64 s[4:5], exec, -1
; %bb.205:                              ;   in Loop: Header=BB276_9 Depth=1
	s_or_b64 exec, exec, s[22:23]
	s_and_b64 s[4:5], s[4:5], exec
	s_or_saveexec_b64 s[20:21], s[20:21]
	v_mov_b32_e32 v12, s24
	s_xor_b64 exec, exec, s[20:21]
	s_cbranch_execz .LBB276_11
.LBB276_206:                            ;   in Loop: Header=BB276_9 Depth=1
	v_cmp_ne_u16_sdwa s[22:23], v8, v5 src0_sel:BYTE_0 src1_sel:DWORD
	s_andn2_b64 s[4:5], s[4:5], exec
	s_and_b64 s[22:23], s[22:23], exec
	v_mov_b32_e32 v12, 0
	s_or_b64 s[4:5], s[4:5], s[22:23]
	s_or_b64 exec, exec, s[20:21]
	s_and_saveexec_b64 s[20:21], s[4:5]
	s_cbranch_execnz .LBB276_12
	s_branch .LBB276_13
.LBB276_207:                            ;   in Loop: Header=BB276_9 Depth=1
	v_cmp_eq_u16_e64 s[4:5], s26, v4
	s_mov_b64 s[20:21], -1
                                        ; implicit-def: $sgpr28
	s_and_saveexec_b64 s[24:25], s[4:5]
; %bb.208:                              ;   in Loop: Header=BB276_9 Depth=1
	s_mov_b32 s28, 0x7fc02000
	s_xor_b64 s[20:21], exec, -1
; %bb.209:                              ;   in Loop: Header=BB276_9 Depth=1
	s_or_b64 exec, exec, s[24:25]
	s_and_b64 s[20:21], s[20:21], exec
	s_or_saveexec_b64 s[22:23], s[22:23]
	v_mov_b32_e32 v19, s28
	s_xor_b64 exec, exec, s[22:23]
	s_cbranch_execz .LBB276_15
.LBB276_210:                            ;   in Loop: Header=BB276_9 Depth=1
	v_cmp_ne_u16_e64 s[4:5], 0, v4
	s_andn2_b64 s[20:21], s[20:21], exec
	s_and_b64 s[4:5], s[4:5], exec
	v_mov_b32_e32 v19, 0
	s_or_b64 s[20:21], s[20:21], s[4:5]
	s_or_b64 exec, exec, s[22:23]
	s_and_saveexec_b64 s[22:23], s[20:21]
	s_cbranch_execnz .LBB276_16
	s_branch .LBB276_17
.LBB276_211:                            ;   in Loop: Header=BB276_9 Depth=1
	v_cmp_eq_u16_sdwa s[28:29], v4, s26 src0_sel:BYTE_0 src1_sel:DWORD
	s_mov_b64 s[4:5], -1
                                        ; implicit-def: $sgpr24
	s_and_saveexec_b64 s[22:23], s[28:29]
; %bb.212:                              ;   in Loop: Header=BB276_9 Depth=1
	s_mov_b32 s24, 0x7fc02000
	s_xor_b64 s[4:5], exec, -1
; %bb.213:                              ;   in Loop: Header=BB276_9 Depth=1
	s_or_b64 exec, exec, s[22:23]
	s_and_b64 s[4:5], s[4:5], exec
	s_or_saveexec_b64 s[20:21], s[20:21]
	v_mov_b32_e32 v28, s24
	s_xor_b64 exec, exec, s[20:21]
	s_cbranch_execz .LBB276_19
.LBB276_214:                            ;   in Loop: Header=BB276_9 Depth=1
	v_cmp_ne_u16_sdwa s[22:23], v4, v5 src0_sel:BYTE_0 src1_sel:DWORD
	s_andn2_b64 s[4:5], s[4:5], exec
	s_and_b64 s[22:23], s[22:23], exec
	v_mov_b32_e32 v28, 0
	s_or_b64 s[4:5], s[4:5], s[22:23]
	s_or_b64 exec, exec, s[20:21]
	s_and_saveexec_b64 s[20:21], s[4:5]
	s_cbranch_execnz .LBB276_20
	s_branch .LBB276_21
.LBB276_215:                            ;   in Loop: Header=BB276_9 Depth=1
	v_cmp_eq_u16_e64 s[4:5], s26, v4
	s_mov_b64 s[20:21], -1
                                        ; implicit-def: $sgpr28
	s_and_saveexec_b64 s[24:25], s[4:5]
; %bb.216:                              ;   in Loop: Header=BB276_9 Depth=1
	s_mov_b32 s28, 0x7fc02000
	s_xor_b64 s[20:21], exec, -1
; %bb.217:                              ;   in Loop: Header=BB276_9 Depth=1
	s_or_b64 exec, exec, s[24:25]
	s_and_b64 s[20:21], s[20:21], exec
	s_or_saveexec_b64 s[22:23], s[22:23]
	v_mov_b32_e32 v29, s28
	s_xor_b64 exec, exec, s[22:23]
	s_cbranch_execz .LBB276_23
.LBB276_218:                            ;   in Loop: Header=BB276_9 Depth=1
	v_cmp_ne_u16_e64 s[4:5], 0, v4
	s_andn2_b64 s[20:21], s[20:21], exec
	s_and_b64 s[4:5], s[4:5], exec
	v_mov_b32_e32 v29, 0
	s_or_b64 s[20:21], s[20:21], s[4:5]
	s_or_b64 exec, exec, s[22:23]
	s_and_saveexec_b64 s[22:23], s[20:21]
	s_cbranch_execnz .LBB276_24
	s_branch .LBB276_25
.LBB276_219:                            ;   in Loop: Header=BB276_9 Depth=1
	v_cmp_eq_u16_sdwa s[28:29], v8, s26 src0_sel:BYTE_0 src1_sel:DWORD
	s_mov_b64 s[4:5], -1
                                        ; implicit-def: $sgpr24
	s_and_saveexec_b64 s[22:23], s[28:29]
; %bb.220:                              ;   in Loop: Header=BB276_9 Depth=1
	s_mov_b32 s24, 0x7fc02000
	s_xor_b64 s[4:5], exec, -1
; %bb.221:                              ;   in Loop: Header=BB276_9 Depth=1
	s_or_b64 exec, exec, s[22:23]
	s_and_b64 s[4:5], s[4:5], exec
	s_or_saveexec_b64 s[20:21], s[20:21]
	v_mov_b32_e32 v34, s24
	s_xor_b64 exec, exec, s[20:21]
	s_cbranch_execz .LBB276_27
.LBB276_222:                            ;   in Loop: Header=BB276_9 Depth=1
	v_cmp_ne_u16_sdwa s[22:23], v8, v5 src0_sel:BYTE_0 src1_sel:DWORD
	s_andn2_b64 s[4:5], s[4:5], exec
	s_and_b64 s[22:23], s[22:23], exec
	v_mov_b32_e32 v34, 0
	s_or_b64 s[4:5], s[4:5], s[22:23]
	s_or_b64 exec, exec, s[20:21]
	s_and_saveexec_b64 s[20:21], s[4:5]
	s_cbranch_execnz .LBB276_28
	s_branch .LBB276_29
.LBB276_223:                            ;   in Loop: Header=BB276_9 Depth=1
	v_cmp_eq_u16_e64 s[4:5], s26, v4
	s_mov_b64 s[20:21], -1
                                        ; implicit-def: $sgpr28
	s_and_saveexec_b64 s[24:25], s[4:5]
; %bb.224:                              ;   in Loop: Header=BB276_9 Depth=1
	s_mov_b32 s28, 0x7fc02000
	s_xor_b64 s[20:21], exec, -1
; %bb.225:                              ;   in Loop: Header=BB276_9 Depth=1
	s_or_b64 exec, exec, s[24:25]
	s_and_b64 s[20:21], s[20:21], exec
	s_or_saveexec_b64 s[22:23], s[22:23]
	v_mov_b32_e32 v35, s28
	s_xor_b64 exec, exec, s[22:23]
	s_cbranch_execz .LBB276_31
.LBB276_226:                            ;   in Loop: Header=BB276_9 Depth=1
	v_cmp_ne_u16_e64 s[4:5], 0, v4
	s_andn2_b64 s[20:21], s[20:21], exec
	s_and_b64 s[4:5], s[4:5], exec
	v_mov_b32_e32 v35, 0
	s_or_b64 s[20:21], s[20:21], s[4:5]
	s_or_b64 exec, exec, s[22:23]
	s_and_saveexec_b64 s[22:23], s[20:21]
	s_cbranch_execnz .LBB276_32
	s_branch .LBB276_33
.LBB276_227:                            ;   in Loop: Header=BB276_9 Depth=1
	v_cmp_eq_u16_sdwa s[28:29], v4, s26 src0_sel:BYTE_0 src1_sel:DWORD
	s_mov_b64 s[4:5], -1
                                        ; implicit-def: $sgpr24
	s_and_saveexec_b64 s[22:23], s[28:29]
; %bb.228:                              ;   in Loop: Header=BB276_9 Depth=1
	s_mov_b32 s24, 0x7fc02000
	s_xor_b64 s[4:5], exec, -1
; %bb.229:                              ;   in Loop: Header=BB276_9 Depth=1
	s_or_b64 exec, exec, s[22:23]
	s_and_b64 s[4:5], s[4:5], exec
	s_or_saveexec_b64 s[20:21], s[20:21]
	v_mov_b32_e32 v41, s24
	s_xor_b64 exec, exec, s[20:21]
	s_cbranch_execz .LBB276_35
.LBB276_230:                            ;   in Loop: Header=BB276_9 Depth=1
	v_cmp_ne_u16_sdwa s[22:23], v4, v5 src0_sel:BYTE_0 src1_sel:DWORD
	s_andn2_b64 s[4:5], s[4:5], exec
	s_and_b64 s[22:23], s[22:23], exec
	v_mov_b32_e32 v41, 0
	s_or_b64 s[4:5], s[4:5], s[22:23]
	s_or_b64 exec, exec, s[20:21]
	s_and_saveexec_b64 s[20:21], s[4:5]
	s_cbranch_execnz .LBB276_36
	s_branch .LBB276_37
.LBB276_231:                            ;   in Loop: Header=BB276_9 Depth=1
	v_cmp_eq_u16_e64 s[4:5], s26, v4
	s_mov_b64 s[20:21], -1
                                        ; implicit-def: $sgpr28
	s_and_saveexec_b64 s[24:25], s[4:5]
; %bb.232:                              ;   in Loop: Header=BB276_9 Depth=1
	s_mov_b32 s28, 0x7fc02000
	s_xor_b64 s[20:21], exec, -1
; %bb.233:                              ;   in Loop: Header=BB276_9 Depth=1
	s_or_b64 exec, exec, s[24:25]
	s_and_b64 s[20:21], s[20:21], exec
	s_or_saveexec_b64 s[22:23], s[22:23]
	v_mov_b32_e32 v42, s28
	s_xor_b64 exec, exec, s[22:23]
	s_cbranch_execz .LBB276_39
.LBB276_234:                            ;   in Loop: Header=BB276_9 Depth=1
	v_cmp_ne_u16_e64 s[4:5], 0, v4
	s_andn2_b64 s[20:21], s[20:21], exec
	s_and_b64 s[4:5], s[4:5], exec
	v_mov_b32_e32 v42, 0
	s_or_b64 s[20:21], s[20:21], s[4:5]
	s_or_b64 exec, exec, s[22:23]
	s_and_saveexec_b64 s[22:23], s[20:21]
	s_cbranch_execnz .LBB276_40
	s_branch .LBB276_41
.LBB276_235:                            ;   in Loop: Header=BB276_9 Depth=1
	v_cmp_eq_u16_sdwa s[28:29], v8, s26 src0_sel:BYTE_0 src1_sel:DWORD
	s_mov_b64 s[4:5], -1
                                        ; implicit-def: $sgpr24
	s_and_saveexec_b64 s[22:23], s[28:29]
; %bb.236:                              ;   in Loop: Header=BB276_9 Depth=1
	s_mov_b32 s24, 0x7fc02000
	s_xor_b64 s[4:5], exec, -1
; %bb.237:                              ;   in Loop: Header=BB276_9 Depth=1
	s_or_b64 exec, exec, s[22:23]
	s_and_b64 s[4:5], s[4:5], exec
	s_or_saveexec_b64 s[20:21], s[20:21]
	v_mov_b32_e32 v43, s24
	s_xor_b64 exec, exec, s[20:21]
	s_cbranch_execz .LBB276_43
.LBB276_238:                            ;   in Loop: Header=BB276_9 Depth=1
	v_cmp_ne_u16_sdwa s[22:23], v8, v5 src0_sel:BYTE_0 src1_sel:DWORD
	s_andn2_b64 s[4:5], s[4:5], exec
	s_and_b64 s[22:23], s[22:23], exec
	v_mov_b32_e32 v43, 0
	s_or_b64 s[4:5], s[4:5], s[22:23]
	s_or_b64 exec, exec, s[20:21]
	s_and_saveexec_b64 s[20:21], s[4:5]
	s_cbranch_execnz .LBB276_44
	s_branch .LBB276_45
.LBB276_239:                            ;   in Loop: Header=BB276_9 Depth=1
	v_cmp_eq_u16_e64 s[4:5], s26, v4
	s_mov_b64 s[20:21], -1
                                        ; implicit-def: $sgpr28
	s_and_saveexec_b64 s[24:25], s[4:5]
; %bb.240:                              ;   in Loop: Header=BB276_9 Depth=1
	s_mov_b32 s28, 0x7fc02000
	s_xor_b64 s[20:21], exec, -1
; %bb.241:                              ;   in Loop: Header=BB276_9 Depth=1
	s_or_b64 exec, exec, s[24:25]
	s_and_b64 s[20:21], s[20:21], exec
	s_or_saveexec_b64 s[22:23], s[22:23]
	v_mov_b32_e32 v44, s28
	s_xor_b64 exec, exec, s[22:23]
	s_cbranch_execz .LBB276_47
.LBB276_242:                            ;   in Loop: Header=BB276_9 Depth=1
	v_cmp_ne_u16_e64 s[4:5], 0, v4
	s_andn2_b64 s[20:21], s[20:21], exec
	s_and_b64 s[4:5], s[4:5], exec
	v_mov_b32_e32 v44, 0
	s_or_b64 s[20:21], s[20:21], s[4:5]
	s_or_b64 exec, exec, s[22:23]
	s_and_saveexec_b64 s[22:23], s[20:21]
	s_cbranch_execnz .LBB276_48
	s_branch .LBB276_49
.LBB276_243:                            ;   in Loop: Header=BB276_9 Depth=1
	v_cmp_eq_u16_sdwa s[28:29], v4, s26 src0_sel:BYTE_0 src1_sel:DWORD
	s_mov_b64 s[4:5], -1
                                        ; implicit-def: $sgpr24
	s_and_saveexec_b64 s[22:23], s[28:29]
; %bb.244:                              ;   in Loop: Header=BB276_9 Depth=1
	s_mov_b32 s24, 0x7fc02000
	s_xor_b64 s[4:5], exec, -1
; %bb.245:                              ;   in Loop: Header=BB276_9 Depth=1
	s_or_b64 exec, exec, s[22:23]
	s_and_b64 s[4:5], s[4:5], exec
	s_or_saveexec_b64 s[20:21], s[20:21]
	v_mov_b32_e32 v45, s24
	s_xor_b64 exec, exec, s[20:21]
	s_cbranch_execz .LBB276_51
.LBB276_246:                            ;   in Loop: Header=BB276_9 Depth=1
	v_cmp_ne_u16_sdwa s[22:23], v4, v5 src0_sel:BYTE_0 src1_sel:DWORD
	s_andn2_b64 s[4:5], s[4:5], exec
	s_and_b64 s[22:23], s[22:23], exec
	v_mov_b32_e32 v45, 0
	s_or_b64 s[4:5], s[4:5], s[22:23]
	s_or_b64 exec, exec, s[20:21]
	s_and_saveexec_b64 s[20:21], s[4:5]
	s_cbranch_execnz .LBB276_52
	s_branch .LBB276_53
.LBB276_247:                            ;   in Loop: Header=BB276_9 Depth=1
	v_cmp_eq_u16_e64 s[4:5], s26, v4
	s_mov_b64 s[20:21], -1
                                        ; implicit-def: $sgpr28
	s_and_saveexec_b64 s[24:25], s[4:5]
; %bb.248:                              ;   in Loop: Header=BB276_9 Depth=1
	s_mov_b32 s28, 0x7fc02000
	s_xor_b64 s[20:21], exec, -1
; %bb.249:                              ;   in Loop: Header=BB276_9 Depth=1
	s_or_b64 exec, exec, s[24:25]
	s_and_b64 s[20:21], s[20:21], exec
	s_or_saveexec_b64 s[22:23], s[22:23]
	v_mov_b32_e32 v46, s28
	s_xor_b64 exec, exec, s[22:23]
	s_cbranch_execz .LBB276_55
.LBB276_250:                            ;   in Loop: Header=BB276_9 Depth=1
	v_cmp_ne_u16_e64 s[4:5], 0, v4
	s_andn2_b64 s[20:21], s[20:21], exec
	s_and_b64 s[4:5], s[4:5], exec
	v_mov_b32_e32 v46, 0
	s_or_b64 s[20:21], s[20:21], s[4:5]
	s_or_b64 exec, exec, s[22:23]
	s_and_saveexec_b64 s[22:23], s[20:21]
	s_cbranch_execnz .LBB276_56
	s_branch .LBB276_57
.LBB276_251:                            ;   in Loop: Header=BB276_9 Depth=1
	v_cmp_eq_u16_sdwa s[28:29], v8, s26 src0_sel:BYTE_0 src1_sel:DWORD
	s_mov_b64 s[4:5], -1
                                        ; implicit-def: $sgpr24
	s_and_saveexec_b64 s[22:23], s[28:29]
; %bb.252:                              ;   in Loop: Header=BB276_9 Depth=1
	s_mov_b32 s24, 0x7fc02000
	s_xor_b64 s[4:5], exec, -1
; %bb.253:                              ;   in Loop: Header=BB276_9 Depth=1
	s_or_b64 exec, exec, s[22:23]
	s_and_b64 s[4:5], s[4:5], exec
	s_or_saveexec_b64 s[20:21], s[20:21]
	v_mov_b32_e32 v47, s24
	s_xor_b64 exec, exec, s[20:21]
	s_cbranch_execz .LBB276_59
.LBB276_254:                            ;   in Loop: Header=BB276_9 Depth=1
	v_cmp_ne_u16_sdwa s[22:23], v8, v5 src0_sel:BYTE_0 src1_sel:DWORD
	s_andn2_b64 s[4:5], s[4:5], exec
	s_and_b64 s[22:23], s[22:23], exec
	v_mov_b32_e32 v47, 0
	s_or_b64 s[4:5], s[4:5], s[22:23]
	s_or_b64 exec, exec, s[20:21]
	s_and_saveexec_b64 s[20:21], s[4:5]
	s_cbranch_execnz .LBB276_60
	s_branch .LBB276_61
.LBB276_255:                            ;   in Loop: Header=BB276_9 Depth=1
	v_cmp_eq_u16_e64 s[4:5], s26, v4
	s_mov_b64 s[20:21], -1
                                        ; implicit-def: $sgpr28
	s_and_saveexec_b64 s[24:25], s[4:5]
; %bb.256:                              ;   in Loop: Header=BB276_9 Depth=1
	s_mov_b32 s28, 0x7fc02000
	s_xor_b64 s[20:21], exec, -1
; %bb.257:                              ;   in Loop: Header=BB276_9 Depth=1
	s_or_b64 exec, exec, s[24:25]
	s_and_b64 s[20:21], s[20:21], exec
	s_or_saveexec_b64 s[22:23], s[22:23]
	v_mov_b32_e32 v56, s28
	s_xor_b64 exec, exec, s[22:23]
	s_cbranch_execz .LBB276_63
.LBB276_258:                            ;   in Loop: Header=BB276_9 Depth=1
	v_cmp_ne_u16_e64 s[4:5], 0, v4
	s_andn2_b64 s[20:21], s[20:21], exec
	s_and_b64 s[4:5], s[4:5], exec
	v_mov_b32_e32 v56, 0
	s_or_b64 s[20:21], s[20:21], s[4:5]
	s_or_b64 exec, exec, s[22:23]
	s_and_saveexec_b64 s[22:23], s[20:21]
	s_cbranch_execnz .LBB276_64
	s_branch .LBB276_65
.LBB276_259:                            ;   in Loop: Header=BB276_9 Depth=1
	v_cmp_eq_u16_sdwa s[28:29], v4, s26 src0_sel:BYTE_0 src1_sel:DWORD
	s_mov_b64 s[4:5], -1
                                        ; implicit-def: $sgpr24
	s_and_saveexec_b64 s[22:23], s[28:29]
; %bb.260:                              ;   in Loop: Header=BB276_9 Depth=1
	s_mov_b32 s24, 0x7fc02000
	s_xor_b64 s[4:5], exec, -1
; %bb.261:                              ;   in Loop: Header=BB276_9 Depth=1
	s_or_b64 exec, exec, s[22:23]
	s_and_b64 s[4:5], s[4:5], exec
	s_or_saveexec_b64 s[20:21], s[20:21]
	v_mov_b32_e32 v57, s24
	s_xor_b64 exec, exec, s[20:21]
	s_cbranch_execz .LBB276_67
.LBB276_262:                            ;   in Loop: Header=BB276_9 Depth=1
	v_cmp_ne_u16_sdwa s[22:23], v4, v5 src0_sel:BYTE_0 src1_sel:DWORD
	s_andn2_b64 s[4:5], s[4:5], exec
	s_and_b64 s[22:23], s[22:23], exec
	v_mov_b32_e32 v57, 0
	s_or_b64 s[4:5], s[4:5], s[22:23]
	s_or_b64 exec, exec, s[20:21]
	s_and_saveexec_b64 s[20:21], s[4:5]
	s_cbranch_execnz .LBB276_68
	s_branch .LBB276_69
.LBB276_263:                            ;   in Loop: Header=BB276_9 Depth=1
	v_cmp_eq_u16_e64 s[4:5], s26, v4
	s_mov_b64 s[20:21], -1
                                        ; implicit-def: $sgpr28
	s_and_saveexec_b64 s[24:25], s[4:5]
; %bb.264:                              ;   in Loop: Header=BB276_9 Depth=1
	s_mov_b32 s28, 0x7fc02000
	s_xor_b64 s[20:21], exec, -1
; %bb.265:                              ;   in Loop: Header=BB276_9 Depth=1
	s_or_b64 exec, exec, s[24:25]
	s_and_b64 s[20:21], s[20:21], exec
	s_or_saveexec_b64 s[22:23], s[22:23]
	v_mov_b32_e32 v58, s28
	s_xor_b64 exec, exec, s[22:23]
	s_cbranch_execz .LBB276_71
.LBB276_266:                            ;   in Loop: Header=BB276_9 Depth=1
	v_cmp_ne_u16_e64 s[4:5], 0, v4
	s_andn2_b64 s[20:21], s[20:21], exec
	s_and_b64 s[4:5], s[4:5], exec
	v_mov_b32_e32 v58, 0
	s_or_b64 s[20:21], s[20:21], s[4:5]
	s_or_b64 exec, exec, s[22:23]
	s_and_saveexec_b64 s[22:23], s[20:21]
	s_cbranch_execnz .LBB276_72
	s_branch .LBB276_73
.LBB276_267:                            ;   in Loop: Header=BB276_9 Depth=1
	v_cmp_eq_u16_sdwa s[28:29], v8, s26 src0_sel:BYTE_0 src1_sel:DWORD
	s_mov_b64 s[4:5], -1
                                        ; implicit-def: $sgpr24
	s_and_saveexec_b64 s[22:23], s[28:29]
; %bb.268:                              ;   in Loop: Header=BB276_9 Depth=1
	s_mov_b32 s24, 0x7fc02000
	s_xor_b64 s[4:5], exec, -1
; %bb.269:                              ;   in Loop: Header=BB276_9 Depth=1
	s_or_b64 exec, exec, s[22:23]
	s_and_b64 s[4:5], s[4:5], exec
	s_or_saveexec_b64 s[20:21], s[20:21]
	v_mov_b32_e32 v59, s24
	s_xor_b64 exec, exec, s[20:21]
	s_cbranch_execz .LBB276_75
.LBB276_270:                            ;   in Loop: Header=BB276_9 Depth=1
	v_cmp_ne_u16_sdwa s[22:23], v8, v5 src0_sel:BYTE_0 src1_sel:DWORD
	s_andn2_b64 s[4:5], s[4:5], exec
	s_and_b64 s[22:23], s[22:23], exec
	v_mov_b32_e32 v59, 0
	s_or_b64 s[4:5], s[4:5], s[22:23]
	s_or_b64 exec, exec, s[20:21]
	s_and_saveexec_b64 s[20:21], s[4:5]
	s_cbranch_execnz .LBB276_76
	s_branch .LBB276_77
.LBB276_271:                            ;   in Loop: Header=BB276_9 Depth=1
	v_cmp_eq_u16_e64 s[4:5], s26, v4
	s_mov_b64 s[20:21], -1
                                        ; implicit-def: $sgpr28
	s_and_saveexec_b64 s[24:25], s[4:5]
; %bb.272:                              ;   in Loop: Header=BB276_9 Depth=1
	s_mov_b32 s28, 0x7fc02000
	s_xor_b64 s[20:21], exec, -1
; %bb.273:                              ;   in Loop: Header=BB276_9 Depth=1
	s_or_b64 exec, exec, s[24:25]
	s_and_b64 s[20:21], s[20:21], exec
	s_or_saveexec_b64 s[22:23], s[22:23]
	v_mov_b32_e32 v60, s28
	s_xor_b64 exec, exec, s[22:23]
	s_cbranch_execz .LBB276_79
.LBB276_274:                            ;   in Loop: Header=BB276_9 Depth=1
	v_cmp_ne_u16_e64 s[4:5], 0, v4
	s_andn2_b64 s[20:21], s[20:21], exec
	s_and_b64 s[4:5], s[4:5], exec
	v_mov_b32_e32 v60, 0
	s_or_b64 s[20:21], s[20:21], s[4:5]
	s_or_b64 exec, exec, s[22:23]
	s_and_saveexec_b64 s[22:23], s[20:21]
	s_cbranch_execnz .LBB276_80
	s_branch .LBB276_81
.LBB276_275:                            ;   in Loop: Header=BB276_9 Depth=1
	v_cmp_eq_u16_sdwa s[28:29], v4, s26 src0_sel:BYTE_0 src1_sel:DWORD
	s_mov_b64 s[4:5], -1
                                        ; implicit-def: $sgpr24
	s_and_saveexec_b64 s[22:23], s[28:29]
; %bb.276:                              ;   in Loop: Header=BB276_9 Depth=1
	s_mov_b32 s24, 0x7fc02000
	s_xor_b64 s[4:5], exec, -1
; %bb.277:                              ;   in Loop: Header=BB276_9 Depth=1
	s_or_b64 exec, exec, s[22:23]
	s_and_b64 s[4:5], s[4:5], exec
	s_or_saveexec_b64 s[20:21], s[20:21]
	v_mov_b32_e32 v61, s24
	s_xor_b64 exec, exec, s[20:21]
	s_cbranch_execz .LBB276_83
.LBB276_278:                            ;   in Loop: Header=BB276_9 Depth=1
	v_cmp_ne_u16_sdwa s[22:23], v4, v5 src0_sel:BYTE_0 src1_sel:DWORD
	s_andn2_b64 s[4:5], s[4:5], exec
	s_and_b64 s[22:23], s[22:23], exec
	v_mov_b32_e32 v61, 0
	s_or_b64 s[4:5], s[4:5], s[22:23]
	s_or_b64 exec, exec, s[20:21]
	s_and_saveexec_b64 s[20:21], s[4:5]
	s_cbranch_execnz .LBB276_84
	s_branch .LBB276_85
.LBB276_279:                            ;   in Loop: Header=BB276_9 Depth=1
	v_cmp_eq_u16_e64 s[4:5], s26, v4
	s_mov_b64 s[20:21], -1
                                        ; implicit-def: $sgpr28
	s_and_saveexec_b64 s[24:25], s[4:5]
; %bb.280:                              ;   in Loop: Header=BB276_9 Depth=1
	s_mov_b32 s28, 0x7fc02000
	s_xor_b64 s[20:21], exec, -1
; %bb.281:                              ;   in Loop: Header=BB276_9 Depth=1
	s_or_b64 exec, exec, s[24:25]
	s_and_b64 s[20:21], s[20:21], exec
	s_or_saveexec_b64 s[22:23], s[22:23]
	v_mov_b32_e32 v62, s28
	s_xor_b64 exec, exec, s[22:23]
	s_cbranch_execz .LBB276_87
.LBB276_282:                            ;   in Loop: Header=BB276_9 Depth=1
	v_cmp_ne_u16_e64 s[4:5], 0, v4
	s_andn2_b64 s[20:21], s[20:21], exec
	s_and_b64 s[4:5], s[4:5], exec
	v_mov_b32_e32 v62, 0
	s_or_b64 s[20:21], s[20:21], s[4:5]
	s_or_b64 exec, exec, s[22:23]
	s_and_saveexec_b64 s[22:23], s[20:21]
	s_cbranch_execnz .LBB276_88
	s_branch .LBB276_89
.LBB276_283:                            ;   in Loop: Header=BB276_9 Depth=1
	v_cmp_eq_u16_sdwa s[28:29], v8, s26 src0_sel:BYTE_0 src1_sel:DWORD
	s_mov_b64 s[4:5], -1
                                        ; implicit-def: $sgpr24
	s_and_saveexec_b64 s[22:23], s[28:29]
; %bb.284:                              ;   in Loop: Header=BB276_9 Depth=1
	s_mov_b32 s24, 0x7fc02000
	s_xor_b64 s[4:5], exec, -1
; %bb.285:                              ;   in Loop: Header=BB276_9 Depth=1
	s_or_b64 exec, exec, s[22:23]
	s_and_b64 s[4:5], s[4:5], exec
	s_or_saveexec_b64 s[20:21], s[20:21]
	v_mov_b32_e32 v63, s24
	s_xor_b64 exec, exec, s[20:21]
	s_cbranch_execz .LBB276_91
.LBB276_286:                            ;   in Loop: Header=BB276_9 Depth=1
	v_cmp_ne_u16_sdwa s[22:23], v8, v5 src0_sel:BYTE_0 src1_sel:DWORD
	s_andn2_b64 s[4:5], s[4:5], exec
	s_and_b64 s[22:23], s[22:23], exec
	v_mov_b32_e32 v63, 0
	s_or_b64 s[4:5], s[4:5], s[22:23]
	s_or_b64 exec, exec, s[20:21]
	s_and_saveexec_b64 s[20:21], s[4:5]
	s_cbranch_execnz .LBB276_92
	s_branch .LBB276_93
.LBB276_287:                            ;   in Loop: Header=BB276_9 Depth=1
	v_cmp_eq_u16_e64 s[4:5], s26, v4
	s_mov_b64 s[20:21], -1
                                        ; implicit-def: $sgpr28
	s_and_saveexec_b64 s[24:25], s[4:5]
; %bb.288:                              ;   in Loop: Header=BB276_9 Depth=1
	s_mov_b32 s28, 0x7fc02000
	s_xor_b64 s[20:21], exec, -1
; %bb.289:                              ;   in Loop: Header=BB276_9 Depth=1
	s_or_b64 exec, exec, s[24:25]
	s_and_b64 s[20:21], s[20:21], exec
	s_or_saveexec_b64 s[22:23], s[22:23]
	v_mov_b32_e32 v17, s28
	s_xor_b64 exec, exec, s[22:23]
	s_cbranch_execz .LBB276_95
.LBB276_290:                            ;   in Loop: Header=BB276_9 Depth=1
	v_cmp_ne_u16_e64 s[4:5], 0, v4
	s_andn2_b64 s[20:21], s[20:21], exec
	s_and_b64 s[4:5], s[4:5], exec
	v_mov_b32_e32 v17, 0
	s_or_b64 s[20:21], s[20:21], s[4:5]
	s_or_b64 exec, exec, s[22:23]
	s_and_saveexec_b64 s[22:23], s[20:21]
	s_cbranch_execnz .LBB276_96
	s_branch .LBB276_97
.LBB276_291:                            ;   in Loop: Header=BB276_9 Depth=1
	v_cmp_eq_u16_sdwa s[28:29], v4, s26 src0_sel:BYTE_0 src1_sel:DWORD
	s_mov_b64 s[4:5], -1
                                        ; implicit-def: $sgpr24
	s_and_saveexec_b64 s[22:23], s[28:29]
; %bb.292:                              ;   in Loop: Header=BB276_9 Depth=1
	s_mov_b32 s24, 0x7fc02000
	s_xor_b64 s[4:5], exec, -1
; %bb.293:                              ;   in Loop: Header=BB276_9 Depth=1
	s_or_b64 exec, exec, s[22:23]
	s_and_b64 s[4:5], s[4:5], exec
	s_or_saveexec_b64 s[20:21], s[20:21]
	v_mov_b32_e32 v2, s24
	s_xor_b64 exec, exec, s[20:21]
	s_cbranch_execz .LBB276_99
.LBB276_294:                            ;   in Loop: Header=BB276_9 Depth=1
	v_cmp_ne_u16_sdwa s[22:23], v4, v5 src0_sel:BYTE_0 src1_sel:DWORD
	s_andn2_b64 s[4:5], s[4:5], exec
	s_and_b64 s[22:23], s[22:23], exec
	v_mov_b32_e32 v2, 0
	s_or_b64 s[4:5], s[4:5], s[22:23]
	s_or_b64 exec, exec, s[20:21]
	s_and_saveexec_b64 s[20:21], s[4:5]
	s_cbranch_execnz .LBB276_100
	s_branch .LBB276_101
.LBB276_295:                            ;   in Loop: Header=BB276_9 Depth=1
	v_cmp_eq_u16_e64 s[4:5], s26, v4
	s_mov_b64 s[20:21], -1
                                        ; implicit-def: $sgpr28
	s_and_saveexec_b64 s[24:25], s[4:5]
; %bb.296:                              ;   in Loop: Header=BB276_9 Depth=1
	s_mov_b32 s28, 0x7fc02000
	s_xor_b64 s[20:21], exec, -1
; %bb.297:                              ;   in Loop: Header=BB276_9 Depth=1
	s_or_b64 exec, exec, s[24:25]
	s_and_b64 s[20:21], s[20:21], exec
	s_or_saveexec_b64 s[22:23], s[22:23]
	v_mov_b32_e32 v3, s28
	s_xor_b64 exec, exec, s[22:23]
	s_cbranch_execz .LBB276_103
.LBB276_298:                            ;   in Loop: Header=BB276_9 Depth=1
	v_cmp_ne_u16_e64 s[4:5], 0, v4
	s_andn2_b64 s[20:21], s[20:21], exec
	s_and_b64 s[4:5], s[4:5], exec
	v_mov_b32_e32 v3, 0
	s_or_b64 s[20:21], s[20:21], s[4:5]
	s_or_b64 exec, exec, s[22:23]
	s_and_saveexec_b64 s[22:23], s[20:21]
	s_cbranch_execnz .LBB276_104
	s_branch .LBB276_105
.LBB276_299:                            ;   in Loop: Header=BB276_9 Depth=1
	v_cmp_eq_u16_sdwa s[28:29], v8, s26 src0_sel:BYTE_0 src1_sel:DWORD
	s_mov_b64 s[4:5], -1
                                        ; implicit-def: $sgpr24
	s_and_saveexec_b64 s[22:23], s[28:29]
; %bb.300:                              ;   in Loop: Header=BB276_9 Depth=1
	s_mov_b32 s24, 0x7fc02000
	s_xor_b64 s[4:5], exec, -1
; %bb.301:                              ;   in Loop: Header=BB276_9 Depth=1
	s_or_b64 exec, exec, s[22:23]
	s_and_b64 s[4:5], s[4:5], exec
	s_or_saveexec_b64 s[20:21], s[20:21]
	v_mov_b32_e32 v0, s24
	s_xor_b64 exec, exec, s[20:21]
	s_cbranch_execz .LBB276_107
.LBB276_302:                            ;   in Loop: Header=BB276_9 Depth=1
	v_cmp_ne_u16_sdwa s[22:23], v8, v5 src0_sel:BYTE_0 src1_sel:DWORD
	s_andn2_b64 s[4:5], s[4:5], exec
	s_and_b64 s[22:23], s[22:23], exec
	v_mov_b32_e32 v0, 0
	s_or_b64 s[4:5], s[4:5], s[22:23]
	s_or_b64 exec, exec, s[20:21]
	s_and_saveexec_b64 s[20:21], s[4:5]
	s_cbranch_execnz .LBB276_108
	s_branch .LBB276_109
.LBB276_303:                            ;   in Loop: Header=BB276_9 Depth=1
	v_cmp_eq_u16_e64 s[4:5], s26, v4
	s_mov_b64 s[20:21], -1
                                        ; implicit-def: $sgpr28
	s_and_saveexec_b64 s[24:25], s[4:5]
; %bb.304:                              ;   in Loop: Header=BB276_9 Depth=1
	s_mov_b32 s28, 0x7fc02000
	s_xor_b64 s[20:21], exec, -1
; %bb.305:                              ;   in Loop: Header=BB276_9 Depth=1
	s_or_b64 exec, exec, s[24:25]
	s_and_b64 s[20:21], s[20:21], exec
	s_or_saveexec_b64 s[22:23], s[22:23]
	v_mov_b32_e32 v1, s28
	s_xor_b64 exec, exec, s[22:23]
	s_cbranch_execz .LBB276_111
.LBB276_306:                            ;   in Loop: Header=BB276_9 Depth=1
	v_cmp_ne_u16_e64 s[4:5], 0, v4
	s_andn2_b64 s[20:21], s[20:21], exec
	s_and_b64 s[4:5], s[4:5], exec
	v_mov_b32_e32 v1, 0
	s_or_b64 s[20:21], s[20:21], s[4:5]
	s_or_b64 exec, exec, s[22:23]
	s_and_saveexec_b64 s[22:23], s[20:21]
	s_cbranch_execnz .LBB276_112
	s_branch .LBB276_113
.LBB276_307:                            ;   in Loop: Header=BB276_9 Depth=1
	v_cmp_eq_u16_sdwa s[28:29], v4, s26 src0_sel:BYTE_0 src1_sel:DWORD
	s_mov_b64 s[4:5], -1
                                        ; implicit-def: $sgpr24
	s_and_saveexec_b64 s[22:23], s[28:29]
; %bb.308:                              ;   in Loop: Header=BB276_9 Depth=1
	s_mov_b32 s24, 0x7fc02000
	s_xor_b64 s[4:5], exec, -1
; %bb.309:                              ;   in Loop: Header=BB276_9 Depth=1
	s_or_b64 exec, exec, s[22:23]
	s_and_b64 s[4:5], s[4:5], exec
	s_or_saveexec_b64 s[20:21], s[20:21]
	v_mov_b32_e32 v16, s24
	s_xor_b64 exec, exec, s[20:21]
	s_cbranch_execz .LBB276_115
.LBB276_310:                            ;   in Loop: Header=BB276_9 Depth=1
	v_cmp_ne_u16_sdwa s[22:23], v4, v5 src0_sel:BYTE_0 src1_sel:DWORD
	s_andn2_b64 s[4:5], s[4:5], exec
	s_and_b64 s[22:23], s[22:23], exec
	v_mov_b32_e32 v16, 0
	s_or_b64 s[4:5], s[4:5], s[22:23]
	s_or_b64 exec, exec, s[20:21]
	s_and_saveexec_b64 s[20:21], s[4:5]
	s_cbranch_execnz .LBB276_116
	s_branch .LBB276_117
.LBB276_311:                            ;   in Loop: Header=BB276_9 Depth=1
	v_cmp_eq_u16_e64 s[4:5], s26, v4
	s_mov_b64 s[20:21], -1
                                        ; implicit-def: $sgpr28
	s_and_saveexec_b64 s[24:25], s[4:5]
; %bb.312:                              ;   in Loop: Header=BB276_9 Depth=1
	s_mov_b32 s28, 0x7fc02000
	s_xor_b64 s[20:21], exec, -1
; %bb.313:                              ;   in Loop: Header=BB276_9 Depth=1
	s_or_b64 exec, exec, s[24:25]
	s_and_b64 s[20:21], s[20:21], exec
	s_or_saveexec_b64 s[22:23], s[22:23]
	v_mov_b32_e32 v7, s28
	s_xor_b64 exec, exec, s[22:23]
	s_cbranch_execz .LBB276_119
.LBB276_314:                            ;   in Loop: Header=BB276_9 Depth=1
	v_cmp_ne_u16_e64 s[4:5], 0, v4
	s_andn2_b64 s[20:21], s[20:21], exec
	s_and_b64 s[4:5], s[4:5], exec
	v_mov_b32_e32 v7, 0
	s_or_b64 s[20:21], s[20:21], s[4:5]
	s_or_b64 exec, exec, s[22:23]
	s_and_saveexec_b64 s[22:23], s[20:21]
	s_cbranch_execnz .LBB276_120
	s_branch .LBB276_121
.LBB276_315:                            ;   in Loop: Header=BB276_9 Depth=1
	v_cmp_eq_u16_sdwa s[28:29], v8, s26 src0_sel:BYTE_0 src1_sel:DWORD
	s_mov_b64 s[4:5], -1
                                        ; implicit-def: $sgpr24
	s_and_saveexec_b64 s[22:23], s[28:29]
; %bb.316:                              ;   in Loop: Header=BB276_9 Depth=1
	s_mov_b32 s24, 0x7fc02000
	s_xor_b64 s[4:5], exec, -1
; %bb.317:                              ;   in Loop: Header=BB276_9 Depth=1
	s_or_b64 exec, exec, s[22:23]
	s_and_b64 s[4:5], s[4:5], exec
	s_or_saveexec_b64 s[20:21], s[20:21]
	v_mov_b32_e32 v6, s24
	s_xor_b64 exec, exec, s[20:21]
	s_cbranch_execz .LBB276_123
.LBB276_318:                            ;   in Loop: Header=BB276_9 Depth=1
	v_cmp_ne_u16_sdwa s[22:23], v8, v5 src0_sel:BYTE_0 src1_sel:DWORD
	s_andn2_b64 s[4:5], s[4:5], exec
	s_and_b64 s[22:23], s[22:23], exec
	v_mov_b32_e32 v6, 0
	s_or_b64 s[4:5], s[4:5], s[22:23]
	s_or_b64 exec, exec, s[20:21]
	s_and_saveexec_b64 s[20:21], s[4:5]
	s_cbranch_execnz .LBB276_124
	s_branch .LBB276_125
.LBB276_319:                            ;   in Loop: Header=BB276_9 Depth=1
	v_cmp_eq_u16_e64 s[4:5], s26, v4
	s_mov_b64 s[20:21], -1
                                        ; implicit-def: $sgpr28
	s_and_saveexec_b64 s[24:25], s[4:5]
; %bb.320:                              ;   in Loop: Header=BB276_9 Depth=1
	s_mov_b32 s28, 0x7fc02000
	s_xor_b64 s[20:21], exec, -1
; %bb.321:                              ;   in Loop: Header=BB276_9 Depth=1
	s_or_b64 exec, exec, s[24:25]
	s_and_b64 s[20:21], s[20:21], exec
	s_or_saveexec_b64 s[22:23], s[22:23]
	v_mov_b32_e32 v32, s28
	s_xor_b64 exec, exec, s[22:23]
	s_cbranch_execz .LBB276_127
.LBB276_322:                            ;   in Loop: Header=BB276_9 Depth=1
	v_cmp_ne_u16_e64 s[4:5], 0, v4
	s_andn2_b64 s[20:21], s[20:21], exec
	s_and_b64 s[4:5], s[4:5], exec
	v_mov_b32_e32 v32, 0
	s_or_b64 s[20:21], s[20:21], s[4:5]
	s_or_b64 exec, exec, s[22:23]
	s_and_saveexec_b64 s[22:23], s[20:21]
	s_cbranch_execnz .LBB276_128
	s_branch .LBB276_129
.LBB276_323:                            ;   in Loop: Header=BB276_9 Depth=1
	v_cmp_eq_u16_sdwa s[28:29], v4, s26 src0_sel:BYTE_0 src1_sel:DWORD
	s_mov_b64 s[4:5], -1
                                        ; implicit-def: $sgpr24
	s_and_saveexec_b64 s[22:23], s[28:29]
; %bb.324:                              ;   in Loop: Header=BB276_9 Depth=1
	s_mov_b32 s24, 0x7fc02000
	s_xor_b64 s[4:5], exec, -1
; %bb.325:                              ;   in Loop: Header=BB276_9 Depth=1
	s_or_b64 exec, exec, s[22:23]
	s_and_b64 s[4:5], s[4:5], exec
	s_or_saveexec_b64 s[20:21], s[20:21]
	v_mov_b32_e32 v14, s24
	s_xor_b64 exec, exec, s[20:21]
	s_cbranch_execz .LBB276_131
.LBB276_326:                            ;   in Loop: Header=BB276_9 Depth=1
	v_cmp_ne_u16_sdwa s[22:23], v4, v5 src0_sel:BYTE_0 src1_sel:DWORD
	s_andn2_b64 s[4:5], s[4:5], exec
	s_and_b64 s[22:23], s[22:23], exec
	v_mov_b32_e32 v14, 0
	s_or_b64 s[4:5], s[4:5], s[22:23]
	s_or_b64 exec, exec, s[20:21]
	s_and_saveexec_b64 s[20:21], s[4:5]
	s_cbranch_execnz .LBB276_132
	s_branch .LBB276_133
.LBB276_327:                            ;   in Loop: Header=BB276_9 Depth=1
	v_cmp_eq_u16_e64 s[4:5], s26, v4
	s_mov_b64 s[20:21], -1
                                        ; implicit-def: $sgpr28
	s_and_saveexec_b64 s[24:25], s[4:5]
; %bb.328:                              ;   in Loop: Header=BB276_9 Depth=1
	s_mov_b32 s28, 0x7fc02000
	s_xor_b64 s[20:21], exec, -1
; %bb.329:                              ;   in Loop: Header=BB276_9 Depth=1
	s_or_b64 exec, exec, s[24:25]
	s_and_b64 s[20:21], s[20:21], exec
	s_or_saveexec_b64 s[22:23], s[22:23]
	v_mov_b32_e32 v15, s28
	s_xor_b64 exec, exec, s[22:23]
	s_cbranch_execz .LBB276_135
.LBB276_330:                            ;   in Loop: Header=BB276_9 Depth=1
	v_cmp_ne_u16_e64 s[4:5], 0, v4
	s_andn2_b64 s[20:21], s[20:21], exec
	s_and_b64 s[4:5], s[4:5], exec
	v_mov_b32_e32 v15, 0
	s_or_b64 s[20:21], s[20:21], s[4:5]
	s_or_b64 exec, exec, s[22:23]
	s_and_saveexec_b64 s[22:23], s[20:21]
	s_cbranch_execnz .LBB276_136
	s_branch .LBB276_137
.LBB276_331:                            ;   in Loop: Header=BB276_9 Depth=1
	v_cmp_eq_u16_sdwa s[28:29], v8, s26 src0_sel:BYTE_0 src1_sel:DWORD
	s_mov_b64 s[4:5], -1
                                        ; implicit-def: $sgpr24
	s_and_saveexec_b64 s[22:23], s[28:29]
; %bb.332:                              ;   in Loop: Header=BB276_9 Depth=1
	s_mov_b32 s24, 0x7fc02000
	s_xor_b64 s[4:5], exec, -1
; %bb.333:                              ;   in Loop: Header=BB276_9 Depth=1
	s_or_b64 exec, exec, s[22:23]
	s_and_b64 s[4:5], s[4:5], exec
	s_or_saveexec_b64 s[20:21], s[20:21]
	v_mov_b32_e32 v10, s24
	s_xor_b64 exec, exec, s[20:21]
	s_cbranch_execz .LBB276_139
.LBB276_334:                            ;   in Loop: Header=BB276_9 Depth=1
	v_cmp_ne_u16_sdwa s[22:23], v8, v5 src0_sel:BYTE_0 src1_sel:DWORD
	s_andn2_b64 s[4:5], s[4:5], exec
	s_and_b64 s[22:23], s[22:23], exec
	v_mov_b32_e32 v10, 0
	s_or_b64 s[4:5], s[4:5], s[22:23]
	s_or_b64 exec, exec, s[20:21]
	s_and_saveexec_b64 s[20:21], s[4:5]
	s_cbranch_execnz .LBB276_140
	s_branch .LBB276_141
.LBB276_335:                            ;   in Loop: Header=BB276_9 Depth=1
	v_cmp_eq_u16_e64 s[4:5], s26, v4
	s_mov_b64 s[20:21], -1
                                        ; implicit-def: $sgpr28
	s_and_saveexec_b64 s[24:25], s[4:5]
; %bb.336:                              ;   in Loop: Header=BB276_9 Depth=1
	s_mov_b32 s28, 0x7fc02000
	s_xor_b64 s[20:21], exec, -1
; %bb.337:                              ;   in Loop: Header=BB276_9 Depth=1
	s_or_b64 exec, exec, s[24:25]
	s_and_b64 s[20:21], s[20:21], exec
	s_or_saveexec_b64 s[22:23], s[22:23]
	v_mov_b32_e32 v11, s28
	s_xor_b64 exec, exec, s[22:23]
	s_cbranch_execz .LBB276_143
.LBB276_338:                            ;   in Loop: Header=BB276_9 Depth=1
	v_cmp_ne_u16_e64 s[4:5], 0, v4
	s_andn2_b64 s[20:21], s[20:21], exec
	s_and_b64 s[4:5], s[4:5], exec
	v_mov_b32_e32 v11, 0
	s_or_b64 s[20:21], s[20:21], s[4:5]
	s_or_b64 exec, exec, s[22:23]
	s_and_saveexec_b64 s[22:23], s[20:21]
	s_cbranch_execnz .LBB276_144
	s_branch .LBB276_145
.LBB276_339:                            ;   in Loop: Header=BB276_9 Depth=1
	v_cmp_eq_u16_sdwa s[28:29], v4, s26 src0_sel:BYTE_0 src1_sel:DWORD
	s_mov_b64 s[4:5], -1
                                        ; implicit-def: $sgpr24
	s_and_saveexec_b64 s[22:23], s[28:29]
; %bb.340:                              ;   in Loop: Header=BB276_9 Depth=1
	s_mov_b32 s24, 0x7fc02000
	s_xor_b64 s[4:5], exec, -1
; %bb.341:                              ;   in Loop: Header=BB276_9 Depth=1
	s_or_b64 exec, exec, s[22:23]
	s_and_b64 s[4:5], s[4:5], exec
	s_or_saveexec_b64 s[20:21], s[20:21]
	v_mov_b32_e32 v37, s24
	s_xor_b64 exec, exec, s[20:21]
	s_cbranch_execz .LBB276_147
.LBB276_342:                            ;   in Loop: Header=BB276_9 Depth=1
	v_cmp_ne_u16_sdwa s[22:23], v4, v5 src0_sel:BYTE_0 src1_sel:DWORD
	s_andn2_b64 s[4:5], s[4:5], exec
	s_and_b64 s[22:23], s[22:23], exec
	v_mov_b32_e32 v37, 0
	s_or_b64 s[4:5], s[4:5], s[22:23]
	s_or_b64 exec, exec, s[20:21]
	s_and_saveexec_b64 s[20:21], s[4:5]
	s_cbranch_execnz .LBB276_148
	s_branch .LBB276_149
.LBB276_343:                            ;   in Loop: Header=BB276_9 Depth=1
	v_cmp_eq_u16_e64 s[4:5], s26, v4
	s_mov_b64 s[20:21], -1
                                        ; implicit-def: $sgpr28
	s_and_saveexec_b64 s[24:25], s[4:5]
; %bb.344:                              ;   in Loop: Header=BB276_9 Depth=1
	s_mov_b32 s28, 0x7fc02000
	s_xor_b64 s[20:21], exec, -1
; %bb.345:                              ;   in Loop: Header=BB276_9 Depth=1
	s_or_b64 exec, exec, s[24:25]
	s_and_b64 s[20:21], s[20:21], exec
	s_or_saveexec_b64 s[22:23], s[22:23]
	v_mov_b32_e32 v33, s28
	s_xor_b64 exec, exec, s[22:23]
	s_cbranch_execz .LBB276_151
.LBB276_346:                            ;   in Loop: Header=BB276_9 Depth=1
	v_cmp_ne_u16_e64 s[4:5], 0, v4
	s_andn2_b64 s[20:21], s[20:21], exec
	s_and_b64 s[4:5], s[4:5], exec
	v_mov_b32_e32 v33, 0
	s_or_b64 s[20:21], s[20:21], s[4:5]
	s_or_b64 exec, exec, s[22:23]
	s_and_saveexec_b64 s[22:23], s[20:21]
	s_cbranch_execnz .LBB276_152
	s_branch .LBB276_153
.LBB276_347:                            ;   in Loop: Header=BB276_9 Depth=1
	v_cmp_eq_u16_sdwa s[28:29], v8, s26 src0_sel:BYTE_0 src1_sel:DWORD
	s_mov_b64 s[4:5], -1
                                        ; implicit-def: $sgpr24
	s_and_saveexec_b64 s[22:23], s[28:29]
; %bb.348:                              ;   in Loop: Header=BB276_9 Depth=1
	s_mov_b32 s24, 0x7fc02000
	s_xor_b64 s[4:5], exec, -1
; %bb.349:                              ;   in Loop: Header=BB276_9 Depth=1
	s_or_b64 exec, exec, s[22:23]
	s_and_b64 s[4:5], s[4:5], exec
	s_or_saveexec_b64 s[20:21], s[20:21]
	v_mov_b32_e32 v13, s24
	s_xor_b64 exec, exec, s[20:21]
	s_cbranch_execz .LBB276_155
.LBB276_350:                            ;   in Loop: Header=BB276_9 Depth=1
	v_cmp_ne_u16_sdwa s[22:23], v8, v5 src0_sel:BYTE_0 src1_sel:DWORD
	s_andn2_b64 s[4:5], s[4:5], exec
	s_and_b64 s[22:23], s[22:23], exec
	v_mov_b32_e32 v13, 0
	s_or_b64 s[4:5], s[4:5], s[22:23]
	s_or_b64 exec, exec, s[20:21]
	s_and_saveexec_b64 s[20:21], s[4:5]
	s_cbranch_execnz .LBB276_156
	s_branch .LBB276_157
.LBB276_351:                            ;   in Loop: Header=BB276_9 Depth=1
	v_cmp_eq_u16_e64 s[4:5], s26, v4
	s_mov_b64 s[20:21], -1
                                        ; implicit-def: $sgpr28
	s_and_saveexec_b64 s[24:25], s[4:5]
; %bb.352:                              ;   in Loop: Header=BB276_9 Depth=1
	s_mov_b32 s28, 0x7fc02000
	s_xor_b64 s[20:21], exec, -1
; %bb.353:                              ;   in Loop: Header=BB276_9 Depth=1
	s_or_b64 exec, exec, s[24:25]
	s_and_b64 s[20:21], s[20:21], exec
	s_or_saveexec_b64 s[22:23], s[22:23]
	v_mov_b32_e32 v9, s28
	s_xor_b64 exec, exec, s[22:23]
	s_cbranch_execz .LBB276_159
.LBB276_354:                            ;   in Loop: Header=BB276_9 Depth=1
	v_cmp_ne_u16_e64 s[4:5], 0, v4
	s_andn2_b64 s[20:21], s[20:21], exec
	s_and_b64 s[4:5], s[4:5], exec
	v_mov_b32_e32 v9, 0
	s_or_b64 s[20:21], s[20:21], s[4:5]
	s_or_b64 exec, exec, s[22:23]
	s_and_saveexec_b64 s[22:23], s[20:21]
	s_cbranch_execnz .LBB276_160
	s_branch .LBB276_161
.LBB276_355:                            ;   in Loop: Header=BB276_9 Depth=1
	v_cmp_eq_u16_sdwa s[28:29], v4, s26 src0_sel:BYTE_0 src1_sel:DWORD
	s_mov_b64 s[4:5], -1
                                        ; implicit-def: $sgpr24
	s_and_saveexec_b64 s[22:23], s[28:29]
; %bb.356:                              ;   in Loop: Header=BB276_9 Depth=1
	s_mov_b32 s24, 0x7fc02000
	s_xor_b64 s[4:5], exec, -1
; %bb.357:                              ;   in Loop: Header=BB276_9 Depth=1
	s_or_b64 exec, exec, s[22:23]
	s_and_b64 s[4:5], s[4:5], exec
	s_or_saveexec_b64 s[20:21], s[20:21]
	v_mov_b32_e32 v24, s24
	s_xor_b64 exec, exec, s[20:21]
	s_cbranch_execz .LBB276_163
.LBB276_358:                            ;   in Loop: Header=BB276_9 Depth=1
	v_cmp_ne_u16_sdwa s[22:23], v4, v5 src0_sel:BYTE_0 src1_sel:DWORD
	s_andn2_b64 s[4:5], s[4:5], exec
	s_and_b64 s[22:23], s[22:23], exec
	v_mov_b32_e32 v24, 0
	s_or_b64 s[4:5], s[4:5], s[22:23]
	s_or_b64 exec, exec, s[20:21]
	s_and_saveexec_b64 s[20:21], s[4:5]
	s_cbranch_execnz .LBB276_164
	s_branch .LBB276_165
.LBB276_359:                            ;   in Loop: Header=BB276_9 Depth=1
	v_cmp_eq_u16_e64 s[4:5], s26, v4
	s_mov_b64 s[20:21], -1
                                        ; implicit-def: $sgpr28
	s_and_saveexec_b64 s[24:25], s[4:5]
; %bb.360:                              ;   in Loop: Header=BB276_9 Depth=1
	s_mov_b32 s28, 0x7fc02000
	s_xor_b64 s[20:21], exec, -1
; %bb.361:                              ;   in Loop: Header=BB276_9 Depth=1
	s_or_b64 exec, exec, s[24:25]
	s_and_b64 s[20:21], s[20:21], exec
	s_or_saveexec_b64 s[22:23], s[22:23]
	v_mov_b32_e32 v25, s28
	s_xor_b64 exec, exec, s[22:23]
	s_cbranch_execz .LBB276_167
.LBB276_362:                            ;   in Loop: Header=BB276_9 Depth=1
	v_cmp_ne_u16_e64 s[4:5], 0, v4
	s_andn2_b64 s[20:21], s[20:21], exec
	s_and_b64 s[4:5], s[4:5], exec
	v_mov_b32_e32 v25, 0
	s_or_b64 s[20:21], s[20:21], s[4:5]
	s_or_b64 exec, exec, s[22:23]
	s_and_saveexec_b64 s[22:23], s[20:21]
	s_cbranch_execnz .LBB276_168
	s_branch .LBB276_169
.LBB276_363:                            ;   in Loop: Header=BB276_9 Depth=1
	v_cmp_eq_u16_sdwa s[28:29], v8, s26 src0_sel:BYTE_0 src1_sel:DWORD
	s_mov_b64 s[4:5], -1
                                        ; implicit-def: $sgpr24
	s_and_saveexec_b64 s[22:23], s[28:29]
; %bb.364:                              ;   in Loop: Header=BB276_9 Depth=1
	s_mov_b32 s24, 0x7fc02000
	s_xor_b64 s[4:5], exec, -1
; %bb.365:                              ;   in Loop: Header=BB276_9 Depth=1
	s_or_b64 exec, exec, s[22:23]
	s_and_b64 s[4:5], s[4:5], exec
	s_or_saveexec_b64 s[20:21], s[20:21]
	v_mov_b32_e32 v26, s24
	s_xor_b64 exec, exec, s[20:21]
	s_cbranch_execz .LBB276_171
.LBB276_366:                            ;   in Loop: Header=BB276_9 Depth=1
	v_cmp_ne_u16_sdwa s[22:23], v8, v5 src0_sel:BYTE_0 src1_sel:DWORD
	s_andn2_b64 s[4:5], s[4:5], exec
	s_and_b64 s[22:23], s[22:23], exec
	v_mov_b32_e32 v26, 0
	s_or_b64 s[4:5], s[4:5], s[22:23]
	s_or_b64 exec, exec, s[20:21]
	s_and_saveexec_b64 s[20:21], s[4:5]
	s_cbranch_execnz .LBB276_172
	s_branch .LBB276_173
.LBB276_367:                            ;   in Loop: Header=BB276_9 Depth=1
	v_cmp_eq_u16_e64 s[4:5], s26, v4
	s_mov_b64 s[20:21], -1
                                        ; implicit-def: $sgpr28
	s_and_saveexec_b64 s[24:25], s[4:5]
; %bb.368:                              ;   in Loop: Header=BB276_9 Depth=1
	s_mov_b32 s28, 0x7fc02000
	s_xor_b64 s[20:21], exec, -1
; %bb.369:                              ;   in Loop: Header=BB276_9 Depth=1
	s_or_b64 exec, exec, s[24:25]
	s_and_b64 s[20:21], s[20:21], exec
	s_or_saveexec_b64 s[22:23], s[22:23]
	v_mov_b32_e32 v27, s28
	s_xor_b64 exec, exec, s[22:23]
	s_cbranch_execz .LBB276_175
.LBB276_370:                            ;   in Loop: Header=BB276_9 Depth=1
	v_cmp_ne_u16_e64 s[4:5], 0, v4
	s_andn2_b64 s[20:21], s[20:21], exec
	s_and_b64 s[4:5], s[4:5], exec
	v_mov_b32_e32 v27, 0
	s_or_b64 s[20:21], s[20:21], s[4:5]
	s_or_b64 exec, exec, s[22:23]
	s_and_saveexec_b64 s[22:23], s[20:21]
	s_cbranch_execnz .LBB276_176
	s_branch .LBB276_177
.LBB276_371:                            ;   in Loop: Header=BB276_9 Depth=1
	v_cmp_eq_u16_sdwa s[28:29], v4, s26 src0_sel:BYTE_0 src1_sel:DWORD
	s_mov_b64 s[4:5], -1
                                        ; implicit-def: $sgpr24
	s_and_saveexec_b64 s[22:23], s[28:29]
; %bb.372:                              ;   in Loop: Header=BB276_9 Depth=1
	s_mov_b32 s24, 0x7fc02000
	s_xor_b64 s[4:5], exec, -1
; %bb.373:                              ;   in Loop: Header=BB276_9 Depth=1
	s_or_b64 exec, exec, s[22:23]
	s_and_b64 s[4:5], s[4:5], exec
	s_or_saveexec_b64 s[20:21], s[20:21]
	v_mov_b32_e32 v36, s24
	s_xor_b64 exec, exec, s[20:21]
	s_cbranch_execz .LBB276_179
.LBB276_374:                            ;   in Loop: Header=BB276_9 Depth=1
	v_cmp_ne_u16_sdwa s[22:23], v4, v5 src0_sel:BYTE_0 src1_sel:DWORD
	s_andn2_b64 s[4:5], s[4:5], exec
	s_and_b64 s[22:23], s[22:23], exec
	v_mov_b32_e32 v36, 0
	s_or_b64 s[4:5], s[4:5], s[22:23]
	s_or_b64 exec, exec, s[20:21]
	s_and_saveexec_b64 s[20:21], s[4:5]
	s_cbranch_execnz .LBB276_180
	s_branch .LBB276_181
.LBB276_375:                            ;   in Loop: Header=BB276_9 Depth=1
	v_cmp_eq_u16_e64 s[4:5], s26, v4
	s_mov_b64 s[20:21], -1
                                        ; implicit-def: $sgpr28
	s_and_saveexec_b64 s[24:25], s[4:5]
; %bb.376:                              ;   in Loop: Header=BB276_9 Depth=1
	s_mov_b32 s28, 0x7fc02000
	s_xor_b64 s[20:21], exec, -1
; %bb.377:                              ;   in Loop: Header=BB276_9 Depth=1
	s_or_b64 exec, exec, s[24:25]
	s_and_b64 s[20:21], s[20:21], exec
	s_or_saveexec_b64 s[22:23], s[22:23]
	v_mov_b32_e32 v18, s28
	s_xor_b64 exec, exec, s[22:23]
	s_cbranch_execz .LBB276_183
.LBB276_378:                            ;   in Loop: Header=BB276_9 Depth=1
	v_cmp_ne_u16_e64 s[4:5], 0, v4
	s_andn2_b64 s[20:21], s[20:21], exec
	s_and_b64 s[4:5], s[4:5], exec
	v_mov_b32_e32 v18, 0
	s_or_b64 s[20:21], s[20:21], s[4:5]
	s_or_b64 exec, exec, s[22:23]
	s_and_saveexec_b64 s[22:23], s[20:21]
	s_cbranch_execnz .LBB276_184
	s_branch .LBB276_185
.LBB276_379:                            ;   in Loop: Header=BB276_9 Depth=1
	v_cmp_eq_u16_sdwa s[28:29], v8, s26 src0_sel:BYTE_0 src1_sel:DWORD
	s_mov_b64 s[4:5], -1
                                        ; implicit-def: $sgpr24
	s_and_saveexec_b64 s[22:23], s[28:29]
; %bb.380:                              ;   in Loop: Header=BB276_9 Depth=1
	s_mov_b32 s24, 0x7fc02000
	s_xor_b64 s[4:5], exec, -1
; %bb.381:                              ;   in Loop: Header=BB276_9 Depth=1
	s_or_b64 exec, exec, s[22:23]
	s_and_b64 s[4:5], s[4:5], exec
	s_or_saveexec_b64 s[20:21], s[20:21]
	v_mov_b32_e32 v21, s24
	s_xor_b64 exec, exec, s[20:21]
	s_cbranch_execz .LBB276_187
.LBB276_382:                            ;   in Loop: Header=BB276_9 Depth=1
	v_cmp_ne_u16_sdwa s[22:23], v8, v5 src0_sel:BYTE_0 src1_sel:DWORD
	s_andn2_b64 s[4:5], s[4:5], exec
	s_and_b64 s[22:23], s[22:23], exec
	v_mov_b32_e32 v21, 0
	s_or_b64 s[4:5], s[4:5], s[22:23]
	s_or_b64 exec, exec, s[20:21]
	s_and_saveexec_b64 s[20:21], s[4:5]
	s_cbranch_execnz .LBB276_188
	s_branch .LBB276_189
.LBB276_383:                            ;   in Loop: Header=BB276_9 Depth=1
	v_cmp_eq_u16_e64 s[4:5], s26, v4
	s_mov_b64 s[20:21], -1
                                        ; implicit-def: $sgpr28
	s_and_saveexec_b64 s[24:25], s[4:5]
; %bb.384:                              ;   in Loop: Header=BB276_9 Depth=1
	s_mov_b32 s28, 0x7fc02000
	s_xor_b64 s[20:21], exec, -1
; %bb.385:                              ;   in Loop: Header=BB276_9 Depth=1
	s_or_b64 exec, exec, s[24:25]
	s_and_b64 s[20:21], s[20:21], exec
	s_or_saveexec_b64 s[22:23], s[22:23]
	v_mov_b32_e32 v20, s28
	s_xor_b64 exec, exec, s[22:23]
	s_cbranch_execz .LBB276_191
.LBB276_386:                            ;   in Loop: Header=BB276_9 Depth=1
	v_cmp_ne_u16_e64 s[4:5], 0, v4
	s_andn2_b64 s[20:21], s[20:21], exec
	s_and_b64 s[4:5], s[4:5], exec
	v_mov_b32_e32 v20, 0
	s_or_b64 s[20:21], s[20:21], s[4:5]
	s_or_b64 exec, exec, s[22:23]
	s_and_saveexec_b64 s[22:23], s[20:21]
	s_cbranch_execnz .LBB276_192
	s_branch .LBB276_193
.LBB276_387:                            ;   in Loop: Header=BB276_9 Depth=1
	v_cmp_eq_u16_sdwa s[28:29], v4, s26 src0_sel:BYTE_0 src1_sel:DWORD
	s_mov_b64 s[4:5], -1
                                        ; implicit-def: $sgpr24
	s_and_saveexec_b64 s[22:23], s[28:29]
; %bb.388:                              ;   in Loop: Header=BB276_9 Depth=1
	s_mov_b32 s24, 0x7fc02000
	s_xor_b64 s[4:5], exec, -1
; %bb.389:                              ;   in Loop: Header=BB276_9 Depth=1
	s_or_b64 exec, exec, s[22:23]
	s_and_b64 s[4:5], s[4:5], exec
	s_or_saveexec_b64 s[20:21], s[20:21]
	v_mov_b32_e32 v22, s24
	s_xor_b64 exec, exec, s[20:21]
	s_cbranch_execz .LBB276_195
.LBB276_390:                            ;   in Loop: Header=BB276_9 Depth=1
	v_cmp_ne_u16_sdwa s[22:23], v4, v5 src0_sel:BYTE_0 src1_sel:DWORD
	s_andn2_b64 s[4:5], s[4:5], exec
	s_and_b64 s[22:23], s[22:23], exec
	v_mov_b32_e32 v22, 0
	s_or_b64 s[4:5], s[4:5], s[22:23]
	s_or_b64 exec, exec, s[20:21]
	s_and_saveexec_b64 s[20:21], s[4:5]
	s_cbranch_execnz .LBB276_196
	s_branch .LBB276_197
.LBB276_391:                            ;   in Loop: Header=BB276_9 Depth=1
	v_cmp_eq_u16_e64 s[4:5], s26, v4
	s_mov_b64 s[20:21], -1
                                        ; implicit-def: $sgpr28
	s_and_saveexec_b64 s[24:25], s[4:5]
; %bb.392:                              ;   in Loop: Header=BB276_9 Depth=1
	s_mov_b32 s28, 0x7fc02000
	s_xor_b64 s[20:21], exec, -1
; %bb.393:                              ;   in Loop: Header=BB276_9 Depth=1
	s_or_b64 exec, exec, s[24:25]
	s_and_b64 s[20:21], s[20:21], exec
	s_or_saveexec_b64 s[22:23], s[22:23]
	v_mov_b32_e32 v40, s28
	s_xor_b64 exec, exec, s[22:23]
	s_cbranch_execz .LBB276_199
.LBB276_394:                            ;   in Loop: Header=BB276_9 Depth=1
	v_cmp_ne_u16_e64 s[4:5], 0, v4
	s_andn2_b64 s[20:21], s[20:21], exec
	s_and_b64 s[4:5], s[4:5], exec
	v_mov_b32_e32 v40, 0
	s_or_b64 s[20:21], s[20:21], s[4:5]
	s_or_b64 exec, exec, s[22:23]
	s_and_saveexec_b64 s[22:23], s[20:21]
	s_cbranch_execnz .LBB276_200
	s_branch .LBB276_201
.LBB276_395:
	s_or_b64 exec, exec, s[18:19]
	scratch_load_dword v6, off, s32 offset:68 ; 4-byte Folded Reload
	v_accvgpr_read_b32 v10, a10
	v_accvgpr_read_b32 v23, a13
	;; [unrolled: 1-line block ×11, first 2 shown]
.LBB276_396:
	s_or_b64 exec, exec, s[6:7]
	v_accvgpr_read_b32 v8, a22
	v_xor_b32_e32 v1, 32, v8
	v_cmp_lt_i32_e32 vcc, v1, v0
	v_xor_b32_e32 v4, 16, v8
	s_waitcnt vmcnt(0)
	v_max_f32_e32 v3, v6, v6
	v_cndmask_b32_e32 v1, v8, v1, vcc
	v_lshlrev_b32_e32 v1, 2, v1
	ds_bpermute_b32 v2, v1, v6
	v_cmp_lt_i32_e32 vcc, v4, v0
	v_xor_b32_e32 v5, 8, v8
	v_xor_b32_e32 v6, 4, v8
	v_xor_b32_e32 v7, 2, v8
	s_waitcnt lgkmcnt(0)
	v_max_f32_e32 v2, v2, v2
	v_max_f32_e32 v3, v3, v2
	v_cndmask_b32_e32 v2, v8, v4, vcc
	v_lshlrev_b32_e32 v2, 2, v2
	ds_bpermute_b32 v4, v2, v3
	v_cmp_lt_i32_e32 vcc, v5, v0
	v_and_b32_e32 v19, 63, v18
	s_lshr_b32 s15, s15, 16
	s_waitcnt lgkmcnt(0)
	v_max_f32_e32 v4, v4, v4
	v_max_f32_e32 v4, v3, v4
	v_cndmask_b32_e32 v3, v8, v5, vcc
	v_lshlrev_b32_e32 v3, 2, v3
	ds_bpermute_b32 v5, v3, v4
	v_cmp_lt_i32_e32 vcc, v6, v0
	s_waitcnt lgkmcnt(0)
	v_max_f32_e32 v5, v5, v5
	v_max_f32_e32 v5, v4, v5
	v_cndmask_b32_e32 v4, v8, v6, vcc
	v_lshlrev_b32_e32 v4, 2, v4
	ds_bpermute_b32 v6, v4, v5
	v_cmp_lt_i32_e32 vcc, v7, v0
	s_waitcnt lgkmcnt(0)
	v_max_f32_e32 v6, v6, v6
	v_max_f32_e32 v6, v5, v6
	v_cndmask_b32_e32 v5, v8, v7, vcc
	v_lshlrev_b32_e32 v30, 2, v5
	ds_bpermute_b32 v7, v30, v6
	v_accvgpr_read_b32 v5, a7
	v_cmp_eq_u32_e32 vcc, 0, v19
	v_lshlrev_b32_e32 v5, 2, v5
	s_and_saveexec_b64 s[2:3], vcc
	s_cbranch_execz .LBB276_398
; %bb.397:
	s_waitcnt lgkmcnt(0)
	v_max_f32_e32 v7, v7, v7
	v_max_f32_e32 v6, v6, v6
	;; [unrolled: 1-line block ×3, first 2 shown]
	ds_write_b32 v5, v6 offset:192
.LBB276_398:
	s_or_b64 exec, exec, s[2:3]
	v_cmp_gt_u32_e64 s[2:3], 2, v19
	s_waitcnt lgkmcnt(0)
	v_mov_b32_e32 v7, 0xff7fffff
	v_lshlrev_b32_e32 v6, 2, v19
	s_barrier
	s_and_saveexec_b64 s[4:5], s[2:3]
	s_cbranch_execz .LBB276_400
; %bb.399:
	ds_read_b32 v7, v6 offset:192
.LBB276_400:
	s_or_b64 exec, exec, s[4:5]
	v_accvgpr_read_b32 v9, a22
	v_xor_b32_e32 v8, 1, v9
	v_cmp_lt_i32_e64 s[4:5], v8, v0
	v_accvgpr_read_b32 v12, a8
	s_nop 0
	v_cndmask_b32_e64 v0, v9, v8, s[4:5]
	v_lshlrev_b32_e32 v31, 2, v0
	s_waitcnt lgkmcnt(0)
	ds_bpermute_b32 v0, v31, v7
	v_max_f32_e32 v7, v7, v7
	v_lshlrev_b32_e32 v8, 2, v9
	v_mov_b32_e32 v9, 0
	s_waitcnt lgkmcnt(0)
	v_max_f32_e32 v0, v0, v0
	v_max_f32_e32 v0, v7, v0
	v_and_b32_e32 v7, 0xffffff00, v8
	ds_bpermute_b32 v8, v7, v0
	v_accvgpr_read_b32 v0, a3
	v_lshlrev_b32_e32 v0, 5, v0
	v_min_i32_e32 v0, v0, v12
	v_cmp_lt_i32_e64 s[4:5], v18, v0
	s_and_saveexec_b64 s[8:9], s[4:5]
	s_cbranch_execz .LBB276_404
; %bb.401:
	s_ashr_i32 s17, s16, 31
	s_lshl_b64 s[6:7], s[16:17], 2
	s_getpc_b64 s[18:19]
	s_add_u32 s18, s18, llvm.amdgcn.dynlds.offset.table@rel32@lo+4
	s_addc_u32 s19, s19, llvm.amdgcn.dynlds.offset.table@rel32@hi+12
	s_add_u32 s6, s6, s18
	s_addc_u32 s7, s7, s19
	s_load_dword s6, s[6:7], 0x0
	s_mov_b64 s[18:19], 0
	v_mov_b32_e32 v9, 0
	v_mov_b32_e32 v14, v18
	s_waitcnt lgkmcnt(0)
	v_lshl_add_u32 v13, v18, 2, s6
.LBB276_402:                            ; =>This Inner Loop Header: Depth=1
	ds_read_b32 v12, v13
	v_add_u32_e32 v14, 0x80, v14
	v_cmp_ge_i32_e64 s[6:7], v14, v0
	s_or_b64 s[18:19], s[6:7], s[18:19]
	s_waitcnt lgkmcnt(0)
	v_sub_f32_e32 v12, v12, v8
	v_mul_f32_e32 v12, 0x3fb8aa3b, v12
	v_exp_f32_e32 v12, v12
	ds_write_b32 v13, v12
	v_add_f32_e32 v9, v9, v12
	v_add_u32_e32 v13, 0x200, v13
	s_andn2_b64 exec, exec, s[18:19]
	s_cbranch_execnz .LBB276_402
; %bb.403:
	s_or_b64 exec, exec, s[18:19]
.LBB276_404:
	s_or_b64 exec, exec, s[8:9]
	ds_bpermute_b32 v1, v1, v9
	s_waitcnt lgkmcnt(0)
	v_add_f32_e32 v1, v9, v1
	ds_bpermute_b32 v2, v2, v1
	s_waitcnt lgkmcnt(0)
	v_add_f32_e32 v1, v1, v2
	;; [unrolled: 3-line block ×6, first 2 shown]
	s_and_saveexec_b64 s[6:7], vcc
	s_cbranch_execz .LBB276_406
; %bb.405:
	ds_write_b32 v5, v1 offset:200
.LBB276_406:
	s_or_b64 exec, exec, s[6:7]
	s_waitcnt lgkmcnt(0)
	s_barrier
	s_and_saveexec_b64 s[6:7], s[2:3]
	s_cbranch_execz .LBB276_408
; %bb.407:
	ds_read_b32 v1, v6 offset:200
.LBB276_408:
	s_or_b64 exec, exec, s[6:7]
	s_waitcnt lgkmcnt(0)
	ds_bpermute_b32 v2, v31, v1
	s_waitcnt lgkmcnt(0)
	v_add_f32_e32 v1, v1, v2
	ds_bpermute_b32 v1, v7, v1
	s_and_saveexec_b64 s[2:3], s[4:5]
	s_cbranch_execz .LBB276_421
; %bb.409:
	s_waitcnt lgkmcnt(0)
	v_add_f32_e32 v1, 0x358637bd, v1
	v_div_scale_f32 v2, s[4:5], v1, v1, 1.0
	v_rcp_f32_e32 v3, v2
	v_div_scale_f32 v4, vcc, 1.0, v1, 1.0
	s_movk_i32 s4, 0x7f
	v_fma_f32 v5, -v2, v3, 1.0
	v_fmac_f32_e32 v3, v5, v3
	v_mul_f32_e32 v5, v4, v3
	v_fma_f32 v6, -v2, v5, v4
	v_fmac_f32_e32 v5, v6, v3
	v_fma_f32 v2, -v2, v5, v4
	v_div_fmas_f32 v2, v2, v3, v5
	v_div_fixup_f32 v4, v2, v1, 1.0
	v_xad_u32 v2, v18, -1, v0
	v_cmp_lt_u32_e32 vcc, s4, v2
	s_mov_b64 s[6:7], -1
	v_mov_b32_e32 v1, v18
	s_and_saveexec_b64 s[4:5], vcc
	s_cbranch_execz .LBB276_418
; %bb.410:
	v_lshrrev_b32_e32 v1, 7, v2
	v_add_u32_e32 v3, -1, v1
	v_lshrrev_b32_e32 v2, 1, v3
	v_mov_b32_e32 v5, v4
	v_add_u32_e32 v2, 1, v2
	v_cmp_lt_u32_e32 vcc, 13, v3
	v_mov_b32_e32 v7, 0
	s_and_saveexec_b64 s[6:7], vcc
	s_cbranch_execz .LBB276_414
; %bb.411:
	s_ashr_i32 s17, s16, 31
	s_lshl_b64 s[8:9], s[16:17], 2
	s_getpc_b64 s[18:19]
	s_add_u32 s18, s18, llvm.amdgcn.dynlds.offset.table@rel32@lo+4
	s_addc_u32 s19, s19, llvm.amdgcn.dynlds.offset.table@rel32@hi+12
	s_add_u32 s8, s8, s18
	s_addc_u32 s9, s9, s19
	s_load_dword s8, s[8:9], 0x0
	v_and_b32_e32 v3, -8, v2
	s_mov_b32 s17, 0
	s_waitcnt lgkmcnt(0)
	v_lshl_add_u32 v6, v18, 2, s8
	s_mov_b64 s[8:9], 0
.LBB276_412:                            ; =>This Inner Loop Header: Depth=1
	ds_read2st64_b32 v[8:9], v6 offset1:2
	ds_read2st64_b32 v[12:13], v6 offset0:4 offset1:6
	ds_read2st64_b32 v[14:15], v6 offset0:8 offset1:10
	;; [unrolled: 1-line block ×3, first 2 shown]
	v_add_u32_e32 v3, -8, v3
	s_waitcnt lgkmcnt(3)
	v_pk_mul_f32 v[8:9], v[4:5], v[8:9]
	s_waitcnt lgkmcnt(2)
	v_pk_mul_f32 v[12:13], v[4:5], v[12:13]
	ds_write2st64_b32 v6, v8, v9 offset1:2
	ds_write2st64_b32 v6, v12, v13 offset0:4 offset1:6
	ds_read2st64_b32 v[12:13], v6 offset0:16 offset1:18
	s_waitcnt lgkmcnt(4)
	v_pk_mul_f32 v[8:9], v[4:5], v[14:15]
	ds_write2st64_b32 v6, v8, v9 offset0:8 offset1:10
	s_waitcnt lgkmcnt(4)
	v_pk_mul_f32 v[8:9], v[4:5], v[16:17]
	ds_write2st64_b32 v6, v8, v9 offset0:12 offset1:14
	ds_read2st64_b32 v[8:9], v6 offset0:20 offset1:22
	s_waitcnt lgkmcnt(3)
	v_pk_mul_f32 v[12:13], v[4:5], v[12:13]
	ds_read2st64_b32 v[14:15], v6 offset0:24 offset1:26
	ds_write2st64_b32 v6, v12, v13 offset0:16 offset1:18
	ds_read2st64_b32 v[12:13], v6 offset0:28 offset1:30
	s_waitcnt lgkmcnt(3)
	v_pk_mul_f32 v[8:9], v[4:5], v[8:9]
	ds_write2st64_b32 v6, v8, v9 offset0:20 offset1:22
	s_waitcnt lgkmcnt(3)
	v_pk_mul_f32 v[8:9], v[4:5], v[14:15]
	ds_write2st64_b32 v6, v8, v9 offset0:24 offset1:26
	s_waitcnt lgkmcnt(2)
	v_pk_mul_f32 v[8:9], v[4:5], v[12:13]
	s_add_i32 s17, s17, 16
	v_cmp_eq_u32_e32 vcc, 0, v3
	ds_write2st64_b32 v6, v8, v9 offset0:28 offset1:30
	v_add_u32_e32 v6, 0x2000, v6
	s_or_b64 s[8:9], vcc, s[8:9]
	v_mov_b32_e32 v7, s17
	s_andn2_b64 exec, exec, s[8:9]
	s_cbranch_execnz .LBB276_412
; %bb.413:
	s_or_b64 exec, exec, s[8:9]
.LBB276_414:
	s_or_b64 exec, exec, s[6:7]
	v_and_b32_e32 v2, 7, v2
	v_cmp_ne_u32_e32 vcc, 0, v2
	s_and_saveexec_b64 s[6:7], vcc
	s_cbranch_execz .LBB276_417
; %bb.415:
	s_ashr_i32 s17, s16, 31
	s_lshl_b64 s[8:9], s[16:17], 2
	s_getpc_b64 s[18:19]
	s_add_u32 s18, s18, llvm.amdgcn.dynlds.offset.table@rel32@lo+4
	s_addc_u32 s19, s19, llvm.amdgcn.dynlds.offset.table@rel32@hi+12
	s_add_u32 s8, s8, s18
	s_addc_u32 s9, s9, s19
	s_load_dword s8, s[8:9], 0x0
	v_lshlrev_b32_e32 v3, 9, v7
	v_lshlrev_b32_e32 v6, 2, v18
	s_waitcnt lgkmcnt(0)
	v_add3_u32 v3, v3, v6, s8
	s_mov_b64 s[8:9], 0
.LBB276_416:                            ; =>This Inner Loop Header: Depth=1
	ds_read2st64_b32 v[6:7], v3 offset1:2
	v_add_u32_e32 v2, -1, v2
	v_cmp_eq_u32_e32 vcc, 0, v2
	s_or_b64 s[8:9], vcc, s[8:9]
	s_waitcnt lgkmcnt(0)
	v_pk_mul_f32 v[6:7], v[4:5], v[6:7]
	ds_write2st64_b32 v3, v6, v7 offset1:2
	v_add_u32_e32 v3, 0x400, v3
	s_andn2_b64 exec, exec, s[8:9]
	s_cbranch_execnz .LBB276_416
.LBB276_417:
	s_or_b64 exec, exec, s[6:7]
	v_add_u32_e32 v2, 1, v1
	v_and_b32_e32 v3, 0x3fffffe, v2
	v_cmp_ne_u32_e32 vcc, v2, v3
	v_lshl_add_u32 v1, v3, 7, v18
	s_orn2_b64 s[6:7], vcc, exec
.LBB276_418:
	s_or_b64 exec, exec, s[4:5]
	s_and_b64 exec, exec, s[6:7]
	s_cbranch_execz .LBB276_421
; %bb.419:
	s_ashr_i32 s17, s16, 31
	s_lshl_b64 s[4:5], s[16:17], 2
	s_getpc_b64 s[6:7]
	s_add_u32 s6, s6, llvm.amdgcn.dynlds.offset.table@rel32@lo+4
	s_addc_u32 s7, s7, llvm.amdgcn.dynlds.offset.table@rel32@hi+12
	s_add_u32 s4, s4, s6
	s_addc_u32 s5, s5, s7
	s_load_dword s4, s[4:5], 0x0
	s_waitcnt lgkmcnt(0)
	v_lshl_add_u32 v2, v1, 2, s4
	s_mov_b64 s[4:5], 0
.LBB276_420:                            ; =>This Inner Loop Header: Depth=1
	ds_read_b32 v3, v2
	v_add_u32_e32 v1, 0x80, v1
	v_cmp_ge_i32_e32 vcc, v1, v0
	s_or_b64 s[4:5], vcc, s[4:5]
	s_waitcnt lgkmcnt(0)
	v_mul_f32_e32 v3, v4, v3
	ds_write_b32 v2, v3
	v_add_u32_e32 v2, 0x200, v2
	s_andn2_b64 exec, exec, s[4:5]
	s_cbranch_execnz .LBB276_420
.LBB276_421:
	s_or_b64 exec, exec, s[2:3]
	v_mov_b32_e32 v5, 0
	v_and_b32_e32 v35, 3, v18
	v_mov_b32_e32 v4, 0
	v_mov_b32_e32 v9, 0
	;; [unrolled: 1-line block ×5, first 2 shown]
	s_waitcnt lgkmcnt(0)
	s_barrier
	s_and_saveexec_b64 s[2:3], s[0:1]
	s_cbranch_execz .LBB276_821
; %bb.422:
	s_ashr_i32 s17, s16, 31
	s_lshl_b64 s[0:1], s[16:17], 2
	s_getpc_b64 s[4:5]
	s_add_u32 s4, s4, llvm.amdgcn.dynlds.offset.table@rel32@lo+4
	s_addc_u32 s5, s5, llvm.amdgcn.dynlds.offset.table@rel32@hi+12
	s_add_u32 s0, s0, s4
	s_addc_u32 s1, s1, s5
	v_lshl_add_u64 v[0:1], v[22:23], 0, v[28:29]
	v_and_b32_e32 v6, 0x1f8, v24
	v_mov_b32_e32 v7, 0
	s_load_dword s0, s[0:1], 0x0
	v_lshl_add_u64 v[14:15], v[0:1], 0, v[6:7]
	v_and_b32_e32 v6, 60, v25
	v_accvgpr_read_b32 v2, a3
	v_lshl_add_u64 v[0:1], v[26:27], 2, v[6:7]
	v_add_u32_e32 v36, -1, v2
	v_lshl_add_u64 v[2:3], v[10:11], 0, v[0:1]
	v_accvgpr_read_b32 v1, a7
	v_lshlrev_b32_e32 v0, 5, v35
	v_and_b32_e32 v4, 24, v24
	v_lshl_or_b32 v0, v1, 7, v0
	v_accvgpr_write_b32 a2, v18
	v_accvgpr_read_b32 v13, a8
	v_lshl_or_b32 v37, v1, 5, v4
	s_waitcnt lgkmcnt(0)
	v_add_u32_e32 v38, s0, v0
	s_mov_b64 s[4:5], 0
	s_movk_i32 s17, 0x7f
	s_movk_i32 s20, 0x80
	s_mov_b32 s21, 0x8000
	s_movk_i32 s22, 0x380
	s_mov_b32 s23, 0x3020706
	s_mov_b32 s24, 0x1000504
	;; [unrolled: 1-line block ×3, first 2 shown]
	v_mov_b32_e32 v39, 0x1c00
	v_mov_b32_e32 v20, 0
	;; [unrolled: 1-line block ×7, first 2 shown]
	s_branch .LBB276_424
.LBB276_423:                            ;   in Loop: Header=BB276_424 Depth=1
	s_or_b64 exec, exec, s[0:1]
	v_add_f32_e32 v0, v0, v1
	v_add_f32_e32 v9, v9, v0
	v_add_f32_e32 v0, v28, v29
	v_add_f32_e32 v4, v4, v0
	;;#ASMSTART
	v_pk_mul_f16 v0, v55, v17;

	;;#ASMEND
	;;#ASMSTART
	v_pk_mul_f16 v1, v40, v6;

	;;#ASMEND
	;;#ASMSTART
	v_pk_mul_f16 v6, v41, v11;

	;;#ASMEND
	;;#ASMSTART
	v_pk_mul_f16 v10, v42, v10;

	;;#ASMEND
	v_add_f32_e32 v12, v43, v44
	;;#ASMSTART
	v_pk_add_f16 v0, v0, v1;

	;;#ASMEND
	v_add_f32_e32 v20, v20, v12
	;;#ASMSTART
	v_pk_add_f16 v0, v0, v6;

	;;#ASMEND
	v_add_f32_e32 v12, v45, v46
	;;#ASMSTART
	v_pk_add_f16 v0, v0, v10;

	;;#ASMEND
	v_add_f32_e32 v21, v21, v12
	v_lshrrev_b32_e32 v1, 16, v0
	v_and_b32_e32 v0, 0xffff, v0
	;;#ASMSTART
	v_cvt_f32_f16 v0, v0;
	;;#ASMEND
	;;#ASMSTART
	v_cvt_f32_f16 v1, v1;
	;;#ASMEND
	v_add_f32_e32 v12, v47, v56
	v_add_f32_e32 v0, v0, v1
	v_accvgpr_read_b32 v1, a7
	v_add_f32_e32 v5, v5, v0
	v_add_u32_e32 v1, 2, v1
	v_accvgpr_read_b32 v0, a3
	v_cmp_ge_i32_e32 vcc, v1, v0
	v_add_f32_e32 v8, v8, v12
	v_lshl_add_u64 v[2:3], v[2:3], 0, 8
	v_add_u32_e32 v37, 64, v37
	v_accvgpr_write_b32 a7, v1
	s_or_b64 s[4:5], vcc, s[4:5]
	v_add_u32_e32 v38, 0x100, v38
	s_andn2_b64 exec, exec, s[4:5]
	s_cbranch_execz .LBB276_820
.LBB276_424:                            ; =>This Inner Loop Header: Depth=1
	ds_read2_b64 v[22:25], v38 offset1:1
	ds_read2_b64 v[26:29], v38 offset0:2 offset1:3
	v_accvgpr_read_b32 v10, a6
                                        ; implicit-def: $sgpr18
	s_waitcnt lgkmcnt(1)
	;;#ASMSTART
	v_cvt_f16_f32 v0, v22;

	;;#ASMEND
	;;#ASMSTART
	v_cvt_f16_f32 v1, v23;

	;;#ASMEND
	;; [unrolled: 4-line block ×4, first 2 shown]
	s_waitcnt lgkmcnt(0)
	;;#ASMSTART
	v_cvt_f16_f32 v33, v26;

	;;#ASMEND
	;;#ASMSTART
	v_cvt_f16_f32 v41, v27;

	;;#ASMEND
	;; [unrolled: 4-line block ×4, first 2 shown]
	flat_load_dword v6, v[2:3]
	v_accvgpr_read_b32 v23, a5
	v_accvgpr_read_b32 v22, a4
	flat_load_dword v16, v[22:23]
	s_waitcnt vmcnt(0) lgkmcnt(0)
	v_mad_i64_i32 v[10:11], s[0:1], v6, v10, v[14:15]
	flat_load_dwordx2 v[24:25], v[10:11]
	s_mov_b64 s[0:1], 0
	s_waitcnt vmcnt(0) lgkmcnt(0)
	v_cmp_gt_i16_sdwa s[6:7], v24, s17 src0_sel:BYTE_0 src1_sel:DWORD
	s_and_saveexec_b64 s[8:9], s[6:7]
	s_xor_b64 s[6:7], exec, s[8:9]
	s_cbranch_execnz .LBB276_628
; %bb.425:                              ;   in Loop: Header=BB276_424 Depth=1
	s_or_saveexec_b64 s[6:7], s[6:7]
	v_mov_b32_e32 v26, s18
	s_xor_b64 exec, exec, s[6:7]
	s_cbranch_execnz .LBB276_631
.LBB276_426:                            ;   in Loop: Header=BB276_424 Depth=1
	s_or_b64 exec, exec, s[6:7]
	s_and_saveexec_b64 s[6:7], s[0:1]
	s_cbranch_execz .LBB276_428
.LBB276_427:                            ;   in Loop: Header=BB276_424 Depth=1
	v_and_b32_e32 v6, 7, v24
	v_ffbh_u32_e32 v6, v6
	v_bfe_u32 v12, v24, 3, 4
	v_min_u32_e32 v6, 32, v6
	v_subrev_u32_e32 v18, 28, v6
	v_sub_u32_e32 v6, 29, v6
	v_cmp_eq_u32_e32 vcc, 0, v12
	s_nop 1
	v_cndmask_b32_e32 v6, v12, v6, vcc
	v_cndmask_b32_e32 v12, 0, v18, vcc
	v_lshlrev_b64 v[22:23], v12, v[24:25]
	v_lshlrev_b32_e32 v18, 8, v24
	v_lshl_add_u32 v6, v6, 10, v39
	v_lshlrev_b32_e32 v12, 7, v22
	v_and_or_b32 v6, v18, s21, v6
	v_and_or_b32 v6, v12, s22, v6
	v_cvt_f32_f16_e32 v26, v6
.LBB276_428:                            ;   in Loop: Header=BB276_424 Depth=1
	s_or_b64 exec, exec, s[6:7]
	v_lshrrev_b16_e32 v6, 8, v24
	v_cmp_lt_i16_e32 vcc, s17, v6
	s_mov_b64 s[0:1], 0
                                        ; implicit-def: $sgpr18
	s_and_saveexec_b64 s[6:7], vcc
	s_xor_b64 s[6:7], exec, s[6:7]
	s_cbranch_execnz .LBB276_632
; %bb.429:                              ;   in Loop: Header=BB276_424 Depth=1
	s_or_saveexec_b64 s[6:7], s[6:7]
	v_mov_b32_e32 v28, s18
	s_xor_b64 exec, exec, s[6:7]
	s_cbranch_execnz .LBB276_635
.LBB276_430:                            ;   in Loop: Header=BB276_424 Depth=1
	s_or_b64 exec, exec, s[6:7]
	s_and_saveexec_b64 s[6:7], s[0:1]
	s_cbranch_execz .LBB276_432
.LBB276_431:                            ;   in Loop: Header=BB276_424 Depth=1
	v_and_b32_e32 v12, 7, v6
	v_ffbh_u32_e32 v22, v12
	v_min_u32_e32 v27, 32, v22
	v_subrev_u32_e32 v22, 28, v27
	v_bfe_u32 v18, v6, 3, 4
	v_lshlrev_b64 v[22:23], v22, v[6:7]
	v_sub_u32_e32 v23, 29, v27
	v_cmp_eq_u32_e32 vcc, 0, v18
	v_and_b32_e32 v22, 7, v22
	v_lshlrev_b32_e32 v6, 8, v6
	v_cndmask_b32_e32 v18, v18, v23, vcc
	v_lshl_add_u32 v18, v18, 10, v39
	v_cndmask_b32_e32 v12, v12, v22, vcc
	v_and_or_b32 v6, v6, s21, v18
	v_lshl_or_b32 v6, v12, 7, v6
	v_cvt_f32_f16_e32 v28, v6
.LBB276_432:                            ;   in Loop: Header=BB276_424 Depth=1
	s_or_b64 exec, exec, s[6:7]
	v_lshrrev_b32_e32 v6, 16, v24
	v_cmp_gt_i16_sdwa s[6:7], v6, s17 src0_sel:BYTE_0 src1_sel:DWORD
	s_mov_b64 s[0:1], 0
                                        ; implicit-def: $sgpr18
	s_and_saveexec_b64 s[8:9], s[6:7]
	s_xor_b64 s[6:7], exec, s[8:9]
	s_cbranch_execnz .LBB276_636
; %bb.433:                              ;   in Loop: Header=BB276_424 Depth=1
	s_or_saveexec_b64 s[6:7], s[6:7]
	v_mov_b32_e32 v27, s18
	s_xor_b64 exec, exec, s[6:7]
	s_cbranch_execnz .LBB276_639
.LBB276_434:                            ;   in Loop: Header=BB276_424 Depth=1
	s_or_b64 exec, exec, s[6:7]
	s_and_saveexec_b64 s[6:7], s[0:1]
	s_cbranch_execz .LBB276_436
.LBB276_435:                            ;   in Loop: Header=BB276_424 Depth=1
	v_bfe_u32 v12, v24, 16, 3
	v_ffbh_u32_e32 v22, v12
	v_min_u32_e32 v27, 32, v22
	v_subrev_u32_e32 v22, 28, v27
	v_bfe_u32 v18, v24, 19, 4
	v_lshlrev_b64 v[22:23], v22, v[6:7]
	v_sub_u32_e32 v23, 29, v27
	v_cmp_eq_u32_e32 vcc, 0, v18
	v_and_b32_e32 v22, 7, v22
	v_lshlrev_b32_e32 v6, 8, v6
	v_cndmask_b32_e32 v18, v18, v23, vcc
	v_lshl_add_u32 v18, v18, 10, v39
	v_cndmask_b32_e32 v12, v12, v22, vcc
	v_and_or_b32 v6, v6, s21, v18
	v_lshl_or_b32 v6, v12, 7, v6
	v_cvt_f32_f16_e32 v27, v6
.LBB276_436:                            ;   in Loop: Header=BB276_424 Depth=1
	s_or_b64 exec, exec, s[6:7]
	v_lshrrev_b32_e32 v6, 24, v24
	v_cmp_lt_i16_e32 vcc, s17, v6
	s_mov_b64 s[0:1], 0
                                        ; implicit-def: $sgpr18
	s_and_saveexec_b64 s[6:7], vcc
	s_xor_b64 s[6:7], exec, s[6:7]
	s_cbranch_execnz .LBB276_640
; %bb.437:                              ;   in Loop: Header=BB276_424 Depth=1
	s_or_saveexec_b64 s[6:7], s[6:7]
	v_mov_b32_e32 v29, s18
	s_xor_b64 exec, exec, s[6:7]
	s_cbranch_execnz .LBB276_643
.LBB276_438:                            ;   in Loop: Header=BB276_424 Depth=1
	s_or_b64 exec, exec, s[6:7]
	s_and_saveexec_b64 s[6:7], s[0:1]
	s_cbranch_execz .LBB276_440
.LBB276_439:                            ;   in Loop: Header=BB276_424 Depth=1
	v_bfe_u32 v12, v24, 24, 3
	v_ffbh_u32_e32 v22, v12
	v_bfe_u32 v18, v24, 27, 4
	v_min_u32_e32 v24, 32, v22
	v_subrev_u32_e32 v22, 28, v24
	v_lshlrev_b64 v[22:23], v22, v[6:7]
	v_sub_u32_e32 v23, 29, v24
	v_cmp_eq_u32_e32 vcc, 0, v18
	v_and_b32_e32 v22, 7, v22
	v_lshlrev_b32_e32 v6, 8, v6
	v_cndmask_b32_e32 v18, v18, v23, vcc
	v_lshl_add_u32 v18, v18, 10, v39
	v_cndmask_b32_e32 v12, v12, v22, vcc
	v_and_or_b32 v6, v6, s21, v18
	v_lshl_or_b32 v6, v12, 7, v6
	v_cvt_f32_f16_e32 v29, v6
.LBB276_440:                            ;   in Loop: Header=BB276_424 Depth=1
	s_or_b64 exec, exec, s[6:7]
	v_cmp_gt_i16_sdwa s[6:7], v25, s17 src0_sel:BYTE_0 src1_sel:DWORD
	s_mov_b64 s[0:1], 0
                                        ; implicit-def: $sgpr18
	s_and_saveexec_b64 s[8:9], s[6:7]
	s_xor_b64 s[6:7], exec, s[8:9]
	s_cbranch_execnz .LBB276_644
; %bb.441:                              ;   in Loop: Header=BB276_424 Depth=1
	s_or_saveexec_b64 s[6:7], s[6:7]
	v_mov_b32_e32 v18, s18
	s_xor_b64 exec, exec, s[6:7]
	s_cbranch_execnz .LBB276_647
.LBB276_442:                            ;   in Loop: Header=BB276_424 Depth=1
	s_or_b64 exec, exec, s[6:7]
	v_mov_b32_e32 v6, v25
	s_and_saveexec_b64 s[6:7], s[0:1]
	s_cbranch_execz .LBB276_444
.LBB276_443:                            ;   in Loop: Header=BB276_424 Depth=1
	v_and_b32_e32 v12, 7, v25
	v_ffbh_u32_e32 v12, v12
	v_bfe_u32 v18, v25, 3, 4
	v_min_u32_e32 v12, 32, v12
	v_subrev_u32_e32 v22, 28, v12
	v_sub_u32_e32 v12, 29, v12
	v_cmp_eq_u32_e32 vcc, 0, v18
	s_nop 1
	v_cndmask_b32_e32 v12, v18, v12, vcc
	v_cndmask_b32_e32 v18, 0, v22, vcc
	v_lshlrev_b64 v[22:23], v18, v[6:7]
	v_lshlrev_b32_e32 v18, 7, v22
	v_lshlrev_b32_e32 v22, 8, v25
	v_lshl_add_u32 v12, v12, 10, v39
	v_and_or_b32 v12, v22, s21, v12
	v_and_or_b32 v12, v18, s22, v12
	v_cvt_f32_f16_e32 v18, v12
.LBB276_444:                            ;   in Loop: Header=BB276_424 Depth=1
	s_or_b64 exec, exec, s[6:7]
	v_lshrrev_b16_e32 v6, 8, v6
	v_cmp_lt_i16_e32 vcc, s17, v6
	s_mov_b64 s[0:1], 0
                                        ; implicit-def: $sgpr18
	s_and_saveexec_b64 s[6:7], vcc
	s_xor_b64 s[6:7], exec, s[6:7]
	s_cbranch_execnz .LBB276_648
; %bb.445:                              ;   in Loop: Header=BB276_424 Depth=1
	s_or_saveexec_b64 s[6:7], s[6:7]
	v_mov_b32_e32 v24, s18
	s_xor_b64 exec, exec, s[6:7]
	s_cbranch_execnz .LBB276_651
.LBB276_446:                            ;   in Loop: Header=BB276_424 Depth=1
	s_or_b64 exec, exec, s[6:7]
	s_and_saveexec_b64 s[6:7], s[0:1]
	s_cbranch_execz .LBB276_448
.LBB276_447:                            ;   in Loop: Header=BB276_424 Depth=1
	v_and_b32_e32 v12, 7, v6
	v_ffbh_u32_e32 v22, v12
	v_min_u32_e32 v34, 32, v22
	v_subrev_u32_e32 v22, 28, v34
	v_bfe_u32 v24, v6, 3, 4
	v_lshlrev_b64 v[22:23], v22, v[6:7]
	v_sub_u32_e32 v23, 29, v34
	v_cmp_eq_u32_e32 vcc, 0, v24
	v_and_b32_e32 v22, 7, v22
	v_lshlrev_b32_e32 v6, 8, v6
	v_cndmask_b32_e32 v23, v24, v23, vcc
	v_cndmask_b32_e32 v12, v12, v22, vcc
	v_lshl_add_u32 v22, v23, 10, v39
	v_and_or_b32 v6, v6, s21, v22
	v_lshl_or_b32 v6, v12, 7, v6
	v_cvt_f32_f16_e32 v24, v6
.LBB276_448:                            ;   in Loop: Header=BB276_424 Depth=1
	s_or_b64 exec, exec, s[6:7]
	v_lshrrev_b32_e32 v6, 16, v25
	v_cmp_gt_i16_sdwa s[6:7], v6, s17 src0_sel:BYTE_0 src1_sel:DWORD
	s_mov_b64 s[0:1], 0
                                        ; implicit-def: $sgpr18
	s_and_saveexec_b64 s[8:9], s[6:7]
	s_xor_b64 s[6:7], exec, s[8:9]
	s_cbranch_execnz .LBB276_652
; %bb.449:                              ;   in Loop: Header=BB276_424 Depth=1
	s_or_saveexec_b64 s[6:7], s[6:7]
	v_mov_b32_e32 v22, s18
	s_xor_b64 exec, exec, s[6:7]
	s_cbranch_execnz .LBB276_655
.LBB276_450:                            ;   in Loop: Header=BB276_424 Depth=1
	s_or_b64 exec, exec, s[6:7]
	s_and_saveexec_b64 s[6:7], s[0:1]
	s_cbranch_execz .LBB276_452
.LBB276_451:                            ;   in Loop: Header=BB276_424 Depth=1
	v_bfe_u32 v12, v25, 16, 3
	v_ffbh_u32_e32 v22, v12
	v_min_u32_e32 v48, 32, v22
	v_subrev_u32_e32 v22, 28, v48
	v_bfe_u32 v34, v25, 19, 4
	v_lshlrev_b64 v[22:23], v22, v[6:7]
	v_sub_u32_e32 v23, 29, v48
	v_cmp_eq_u32_e32 vcc, 0, v34
	v_and_b32_e32 v22, 7, v22
	v_lshlrev_b32_e32 v6, 8, v6
	v_cndmask_b32_e32 v23, v34, v23, vcc
	v_cndmask_b32_e32 v12, v12, v22, vcc
	v_lshl_add_u32 v22, v23, 10, v39
	v_and_or_b32 v6, v6, s21, v22
	v_lshl_or_b32 v6, v12, 7, v6
	v_cvt_f32_f16_e32 v22, v6
.LBB276_452:                            ;   in Loop: Header=BB276_424 Depth=1
	s_or_b64 exec, exec, s[6:7]
	v_lshrrev_b32_e32 v6, 24, v25
	v_cmp_lt_i16_e32 vcc, s17, v6
	s_mov_b64 s[0:1], 0
                                        ; implicit-def: $sgpr18
	s_and_saveexec_b64 s[6:7], vcc
	s_xor_b64 s[6:7], exec, s[6:7]
	s_cbranch_execnz .LBB276_656
; %bb.453:                              ;   in Loop: Header=BB276_424 Depth=1
	s_or_saveexec_b64 s[6:7], s[6:7]
	v_mov_b32_e32 v48, s18
	s_xor_b64 exec, exec, s[6:7]
	s_cbranch_execnz .LBB276_659
.LBB276_454:                            ;   in Loop: Header=BB276_424 Depth=1
	s_or_b64 exec, exec, s[6:7]
	s_and_saveexec_b64 s[6:7], s[0:1]
	s_cbranch_execz .LBB276_456
.LBB276_455:                            ;   in Loop: Header=BB276_424 Depth=1
	v_bfe_u32 v12, v25, 24, 3
	v_bfe_u32 v23, v25, 27, 4
	v_ffbh_u32_e32 v25, v12
	v_min_u32_e32 v25, 32, v25
	v_subrev_u32_e32 v34, 28, v25
	v_sub_u32_e32 v25, 29, v25
	v_cmp_eq_u32_e32 vcc, 0, v23
	v_lshlrev_b64 v[48:49], v34, v[6:7]
	v_and_b32_e32 v34, 7, v48
	v_cndmask_b32_e32 v23, v23, v25, vcc
	v_lshlrev_b32_e32 v6, 8, v6
	v_lshl_add_u32 v23, v23, 10, v39
	v_cndmask_b32_e32 v12, v12, v34, vcc
	v_and_or_b32 v6, v6, s21, v23
	v_lshl_or_b32 v6, v12, 7, v6
	v_cvt_f32_f16_e32 v48, v6
.LBB276_456:                            ;   in Loop: Header=BB276_424 Depth=1
	s_or_b64 exec, exec, s[6:7]
	v_pk_mul_f32 v[28:29], v[16:17], v[28:29] op_sel_hi:[0,1]
	v_pk_mul_f32 v[26:27], v[16:17], v[26:27] op_sel_hi:[0,1]
	v_cvt_f16_f32_e32 v6, v29
	v_cvt_f16_f32_e32 v12, v28
	;; [unrolled: 1-line block ×4, first 2 shown]
	v_fma_mixlo_f16 v18, v16, v18, 0
	v_pack_b32_f16 v12, v12, v6
	v_accvgpr_read_b32 v26, a7
	v_pack_b32_f16 v23, v25, v23
	v_perm_b32 v6, v23, v12, s23
	v_perm_b32 v23, v23, v12, s24
	v_fma_mixlo_f16 v12, v16, v24, 0
	v_lshlrev_b32_e32 v12, 16, v12
	v_or_b32_sdwa v18, v12, v18 dst_sel:DWORD dst_unused:UNUSED_PAD src0_sel:DWORD src1_sel:WORD_0
	v_fma_mixlo_f16 v12, v16, v48, 0
	v_fma_mixlo_f16 v22, v16, v22, 0
	v_lshlrev_b32_e32 v12, 16, v12
	v_cmp_eq_u32_e32 vcc, v36, v26
	v_or_b32_sdwa v16, v12, v22 dst_sel:DWORD dst_unused:UNUSED_PAD src0_sel:DWORD src1_sel:WORD_0
	v_add_u32_e32 v54, 1, v37
	v_or_b32_e32 v53, 3, v37
	v_or_b32_e32 v52, 2, v37
	;; [unrolled: 1-line block ×6, first 2 shown]
	s_and_saveexec_b64 s[6:7], vcc
	s_cbranch_execz .LBB276_458
; %bb.457:                              ;   in Loop: Header=BB276_424 Depth=1
	v_lshrrev_b32_e32 v12, 16, v23
	v_cmp_lt_i32_e64 s[0:1], v54, v13
	v_accvgpr_read_b32 v24, a8
	s_nop 0
	v_cndmask_b32_e64 v12, 0, v12, s[0:1]
	v_cmp_lt_i32_e64 s[0:1], v37, v24
	s_nop 1
	v_cndmask_b32_e64 v23, 0, v23, s[0:1]
	v_perm_b32 v23, v12, v23, s25
	v_lshrrev_b32_e32 v12, 16, v6
	v_cmp_lt_i32_e64 s[0:1], v53, v13
	s_nop 1
	v_cndmask_b32_e64 v12, 0, v12, s[0:1]
	v_cmp_lt_i32_e64 s[0:1], v52, v24
	s_nop 1
	v_cndmask_b32_e64 v6, 0, v6, s[0:1]
	v_perm_b32 v6, v12, v6, s25
	v_lshrrev_b32_e32 v12, 16, v18
	v_cmp_lt_i32_e64 s[0:1], v51, v13
	;; [unrolled: 8-line block ×3, first 2 shown]
	s_nop 1
	v_cndmask_b32_e64 v12, 0, v12, s[0:1]
	v_cmp_lt_i32_e64 s[0:1], v48, v24
	s_nop 1
	v_cndmask_b32_e64 v16, 0, v22, s[0:1]
	v_perm_b32 v16, v12, v16, s25
.LBB276_458:                            ;   in Loop: Header=BB276_424 Depth=1
	s_or_b64 exec, exec, s[6:7]
	v_and_b32_e32 v0, 0xffff, v0
	v_lshl_or_b32 v55, v1, 16, v0
	v_and_b32_e32 v0, 0xffff, v17
	v_lshl_or_b32 v40, v32, 16, v0
	;; [unrolled: 2-line block ×4, first 2 shown]
	;;#ASMSTART
	v_pk_mul_f16 v0, v55, v23;

	;;#ASMEND
	;;#ASMSTART
	v_pk_mul_f16 v1, v40, v6;

	;;#ASMEND
	;;#ASMSTART
	v_pk_mul_f16 v6, v41, v18;

	;;#ASMEND
	;;#ASMSTART
	v_pk_mul_f16 v12, v42, v16;

	;;#ASMEND
	s_mov_b64 s[0:1], 0
	;;#ASMSTART
	v_pk_add_f16 v0, v0, v1;

	;;#ASMEND
                                        ; implicit-def: $sgpr18
	s_nop 0
	;;#ASMSTART
	v_pk_add_f16 v0, v0, v6;

	;;#ASMEND
	s_nop 0
	;;#ASMSTART
	v_pk_add_f16 v0, v0, v12;

	;;#ASMEND
	s_nop 0
	v_lshrrev_b32_e32 v1, 16, v0
	v_and_b32_e32 v0, 0xffff, v0
	;;#ASMSTART
	v_cvt_f32_f16 v43, v0;
	;;#ASMEND
	;;#ASMSTART
	v_cvt_f32_f16 v44, v1;
	;;#ASMEND
	v_accvgpr_read_b32 v0, a4
	flat_load_dwordx2 v[24:25], v[10:11] offset:512
	v_accvgpr_read_b32 v1, a5
	flat_load_dword v16, v[0:1]
	s_waitcnt vmcnt(0) lgkmcnt(0)
	v_cmp_gt_i16_sdwa s[6:7], v24, s17 src0_sel:BYTE_0 src1_sel:DWORD
	s_and_saveexec_b64 s[8:9], s[6:7]
	s_xor_b64 s[6:7], exec, s[8:9]
	s_cbranch_execnz .LBB276_660
; %bb.459:                              ;   in Loop: Header=BB276_424 Depth=1
	s_or_saveexec_b64 s[6:7], s[6:7]
	v_mov_b32_e32 v26, s18
	s_xor_b64 exec, exec, s[6:7]
	s_cbranch_execnz .LBB276_663
.LBB276_460:                            ;   in Loop: Header=BB276_424 Depth=1
	s_or_b64 exec, exec, s[6:7]
	s_and_saveexec_b64 s[6:7], s[0:1]
	s_cbranch_execz .LBB276_462
.LBB276_461:                            ;   in Loop: Header=BB276_424 Depth=1
	v_and_b32_e32 v0, 7, v24
	v_ffbh_u32_e32 v0, v0
	v_bfe_u32 v1, v24, 3, 4
	v_min_u32_e32 v0, 32, v0
	v_subrev_u32_e32 v6, 28, v0
	v_sub_u32_e32 v0, 29, v0
	v_cmp_eq_u32_e64 s[0:1], 0, v1
	s_nop 1
	v_cndmask_b32_e64 v12, v1, v0, s[0:1]
	v_cndmask_b32_e64 v0, 0, v6, s[0:1]
	v_lshlrev_b64 v[0:1], v0, v[24:25]
	v_lshlrev_b32_e32 v1, 8, v24
	v_lshl_add_u32 v6, v12, 10, v39
	v_lshlrev_b32_e32 v0, 7, v0
	v_and_or_b32 v1, v1, s21, v6
	v_and_or_b32 v0, v0, s22, v1
	v_cvt_f32_f16_e32 v26, v0
.LBB276_462:                            ;   in Loop: Header=BB276_424 Depth=1
	s_or_b64 exec, exec, s[6:7]
	v_lshrrev_b16_e32 v6, 8, v24
	v_cmp_lt_i16_e64 s[0:1], s17, v6
	s_mov_b64 s[6:7], 0
                                        ; implicit-def: $sgpr26
	s_and_saveexec_b64 s[8:9], s[0:1]
	s_xor_b64 s[8:9], exec, s[8:9]
	s_cbranch_execnz .LBB276_664
; %bb.463:                              ;   in Loop: Header=BB276_424 Depth=1
	s_or_saveexec_b64 s[8:9], s[8:9]
	v_mov_b32_e32 v28, s26
	s_xor_b64 exec, exec, s[8:9]
	s_cbranch_execnz .LBB276_667
.LBB276_464:                            ;   in Loop: Header=BB276_424 Depth=1
	s_or_b64 exec, exec, s[8:9]
	s_and_saveexec_b64 s[8:9], s[6:7]
	s_cbranch_execz .LBB276_466
.LBB276_465:                            ;   in Loop: Header=BB276_424 Depth=1
	v_and_b32_e32 v12, 7, v6
	v_ffbh_u32_e32 v0, v12
	v_min_u32_e32 v18, 32, v0
	v_subrev_u32_e32 v0, 28, v18
	v_bfe_u32 v17, v6, 3, 4
	v_lshlrev_b64 v[0:1], v0, v[6:7]
	v_sub_u32_e32 v1, 29, v18
	v_cmp_eq_u32_e64 s[0:1], 0, v17
	v_and_b32_e32 v0, 7, v0
	v_lshlrev_b32_e32 v6, 8, v6
	v_cndmask_b32_e64 v1, v17, v1, s[0:1]
	v_lshl_add_u32 v1, v1, 10, v39
	v_cndmask_b32_e64 v0, v12, v0, s[0:1]
	v_and_or_b32 v1, v6, s21, v1
	v_lshl_or_b32 v0, v0, 7, v1
	v_cvt_f32_f16_e32 v28, v0
.LBB276_466:                            ;   in Loop: Header=BB276_424 Depth=1
	s_or_b64 exec, exec, s[8:9]
	v_lshrrev_b32_e32 v6, 16, v24
	v_cmp_gt_i16_sdwa s[6:7], v6, s17 src0_sel:BYTE_0 src1_sel:DWORD
	s_mov_b64 s[0:1], 0
                                        ; implicit-def: $sgpr18
	s_and_saveexec_b64 s[8:9], s[6:7]
	s_xor_b64 s[6:7], exec, s[8:9]
	s_cbranch_execnz .LBB276_668
; %bb.467:                              ;   in Loop: Header=BB276_424 Depth=1
	s_or_saveexec_b64 s[6:7], s[6:7]
	v_mov_b32_e32 v27, s18
	s_xor_b64 exec, exec, s[6:7]
	s_cbranch_execnz .LBB276_671
.LBB276_468:                            ;   in Loop: Header=BB276_424 Depth=1
	s_or_b64 exec, exec, s[6:7]
	s_and_saveexec_b64 s[6:7], s[0:1]
	s_cbranch_execz .LBB276_470
.LBB276_469:                            ;   in Loop: Header=BB276_424 Depth=1
	v_bfe_u32 v12, v24, 16, 3
	v_ffbh_u32_e32 v0, v12
	v_min_u32_e32 v18, 32, v0
	v_subrev_u32_e32 v0, 28, v18
	v_bfe_u32 v17, v24, 19, 4
	v_lshlrev_b64 v[0:1], v0, v[6:7]
	v_sub_u32_e32 v1, 29, v18
	v_cmp_eq_u32_e64 s[0:1], 0, v17
	v_and_b32_e32 v0, 7, v0
	v_lshlrev_b32_e32 v6, 8, v6
	v_cndmask_b32_e64 v1, v17, v1, s[0:1]
	v_lshl_add_u32 v1, v1, 10, v39
	v_cndmask_b32_e64 v0, v12, v0, s[0:1]
	v_and_or_b32 v1, v6, s21, v1
	v_lshl_or_b32 v0, v0, 7, v1
	v_cvt_f32_f16_e32 v27, v0
.LBB276_470:                            ;   in Loop: Header=BB276_424 Depth=1
	s_or_b64 exec, exec, s[6:7]
	v_lshrrev_b32_e32 v6, 24, v24
	v_cmp_lt_i16_e64 s[0:1], s17, v6
	s_mov_b64 s[6:7], 0
                                        ; implicit-def: $sgpr26
	s_and_saveexec_b64 s[8:9], s[0:1]
	s_xor_b64 s[8:9], exec, s[8:9]
	s_cbranch_execnz .LBB276_672
; %bb.471:                              ;   in Loop: Header=BB276_424 Depth=1
	s_or_saveexec_b64 s[8:9], s[8:9]
	v_mov_b32_e32 v29, s26
	s_xor_b64 exec, exec, s[8:9]
	s_cbranch_execnz .LBB276_675
.LBB276_472:                            ;   in Loop: Header=BB276_424 Depth=1
	s_or_b64 exec, exec, s[8:9]
	s_and_saveexec_b64 s[8:9], s[6:7]
	s_cbranch_execz .LBB276_474
.LBB276_473:                            ;   in Loop: Header=BB276_424 Depth=1
	v_bfe_u32 v12, v24, 24, 3
	v_ffbh_u32_e32 v0, v12
	v_min_u32_e32 v18, 32, v0
	v_subrev_u32_e32 v0, 28, v18
	v_bfe_u32 v17, v24, 27, 4
	v_lshlrev_b64 v[0:1], v0, v[6:7]
	v_sub_u32_e32 v1, 29, v18
	v_cmp_eq_u32_e64 s[0:1], 0, v17
	v_and_b32_e32 v0, 7, v0
	v_lshlrev_b32_e32 v6, 8, v6
	v_cndmask_b32_e64 v1, v17, v1, s[0:1]
	v_lshl_add_u32 v1, v1, 10, v39
	v_cndmask_b32_e64 v0, v12, v0, s[0:1]
	v_and_or_b32 v1, v6, s21, v1
	v_lshl_or_b32 v0, v0, 7, v1
	v_cvt_f32_f16_e32 v29, v0
.LBB276_474:                            ;   in Loop: Header=BB276_424 Depth=1
	s_or_b64 exec, exec, s[8:9]
	v_cmp_gt_i16_sdwa s[6:7], v25, s17 src0_sel:BYTE_0 src1_sel:DWORD
	s_mov_b64 s[0:1], 0
                                        ; implicit-def: $sgpr18
	s_and_saveexec_b64 s[8:9], s[6:7]
	s_xor_b64 s[6:7], exec, s[8:9]
	s_cbranch_execnz .LBB276_676
; %bb.475:                              ;   in Loop: Header=BB276_424 Depth=1
	s_or_saveexec_b64 s[6:7], s[6:7]
	v_mov_b32_e32 v0, s18
	s_xor_b64 exec, exec, s[6:7]
	s_cbranch_execnz .LBB276_679
.LBB276_476:                            ;   in Loop: Header=BB276_424 Depth=1
	s_or_b64 exec, exec, s[6:7]
	v_mov_b32_e32 v6, v25
	s_and_saveexec_b64 s[6:7], s[0:1]
	s_cbranch_execz .LBB276_478
.LBB276_477:                            ;   in Loop: Header=BB276_424 Depth=1
	v_and_b32_e32 v0, 7, v25
	v_ffbh_u32_e32 v0, v0
	v_bfe_u32 v1, v25, 3, 4
	v_min_u32_e32 v0, 32, v0
	v_subrev_u32_e32 v12, 28, v0
	v_sub_u32_e32 v0, 29, v0
	v_cmp_eq_u32_e64 s[0:1], 0, v1
	s_nop 1
	v_cndmask_b32_e64 v17, v1, v0, s[0:1]
	v_cndmask_b32_e64 v0, 0, v12, s[0:1]
	v_lshlrev_b64 v[0:1], v0, v[6:7]
	v_lshlrev_b32_e32 v1, 8, v25
	v_lshl_add_u32 v12, v17, 10, v39
	v_lshlrev_b32_e32 v0, 7, v0
	v_and_or_b32 v1, v1, s21, v12
	v_and_or_b32 v0, v0, s22, v1
	v_cvt_f32_f16_e32 v0, v0
.LBB276_478:                            ;   in Loop: Header=BB276_424 Depth=1
	s_or_b64 exec, exec, s[6:7]
	v_lshrrev_b16_e32 v6, 8, v6
	v_cmp_lt_i16_e64 s[0:1], s17, v6
	s_mov_b64 s[6:7], 0
                                        ; implicit-def: $sgpr26
	s_and_saveexec_b64 s[8:9], s[0:1]
	s_xor_b64 s[8:9], exec, s[8:9]
	s_cbranch_execnz .LBB276_680
; %bb.479:                              ;   in Loop: Header=BB276_424 Depth=1
	s_or_saveexec_b64 s[8:9], s[8:9]
	v_mov_b32_e32 v1, s26
	s_xor_b64 exec, exec, s[8:9]
	s_cbranch_execnz .LBB276_683
.LBB276_480:                            ;   in Loop: Header=BB276_424 Depth=1
	s_or_b64 exec, exec, s[8:9]
	s_and_saveexec_b64 s[8:9], s[6:7]
	s_cbranch_execz .LBB276_482
.LBB276_481:                            ;   in Loop: Header=BB276_424 Depth=1
	v_and_b32_e32 v1, 7, v6
	v_ffbh_u32_e32 v17, v1
	v_bfe_u32 v12, v6, 3, 4
	v_min_u32_e32 v17, 32, v17
	v_subrev_u32_e32 v18, 28, v17
	v_sub_u32_e32 v17, 29, v17
	v_cmp_eq_u32_e64 s[0:1], 0, v12
	v_lshlrev_b64 v[22:23], v18, v[6:7]
	v_and_b32_e32 v18, 7, v22
	v_cndmask_b32_e64 v12, v12, v17, s[0:1]
	v_lshlrev_b32_e32 v6, 8, v6
	v_lshl_add_u32 v12, v12, 10, v39
	v_cndmask_b32_e64 v1, v1, v18, s[0:1]
	v_and_or_b32 v6, v6, s21, v12
	v_lshl_or_b32 v1, v1, 7, v6
	v_cvt_f32_f16_e32 v1, v1
.LBB276_482:                            ;   in Loop: Header=BB276_424 Depth=1
	s_or_b64 exec, exec, s[8:9]
	v_lshrrev_b32_e32 v6, 16, v25
	v_cmp_gt_i16_sdwa s[6:7], v6, s17 src0_sel:BYTE_0 src1_sel:DWORD
	s_mov_b64 s[0:1], 0
                                        ; implicit-def: $sgpr18
	s_and_saveexec_b64 s[8:9], s[6:7]
	s_xor_b64 s[6:7], exec, s[8:9]
	s_cbranch_execnz .LBB276_684
; %bb.483:                              ;   in Loop: Header=BB276_424 Depth=1
	s_or_saveexec_b64 s[6:7], s[6:7]
	v_mov_b32_e32 v17, s18
	s_xor_b64 exec, exec, s[6:7]
	s_cbranch_execnz .LBB276_687
.LBB276_484:                            ;   in Loop: Header=BB276_424 Depth=1
	s_or_b64 exec, exec, s[6:7]
	s_and_saveexec_b64 s[6:7], s[0:1]
	s_cbranch_execz .LBB276_486
.LBB276_485:                            ;   in Loop: Header=BB276_424 Depth=1
	v_bfe_u32 v12, v25, 16, 3
	v_ffbh_u32_e32 v18, v12
	v_bfe_u32 v17, v25, 19, 4
	v_min_u32_e32 v18, 32, v18
	v_subrev_u32_e32 v22, 28, v18
	v_sub_u32_e32 v18, 29, v18
	v_cmp_eq_u32_e64 s[0:1], 0, v17
	v_lshlrev_b64 v[22:23], v22, v[6:7]
	v_and_b32_e32 v22, 7, v22
	v_cndmask_b32_e64 v17, v17, v18, s[0:1]
	v_lshlrev_b32_e32 v6, 8, v6
	v_lshl_add_u32 v17, v17, 10, v39
	v_cndmask_b32_e64 v12, v12, v22, s[0:1]
	v_and_or_b32 v6, v6, s21, v17
	v_lshl_or_b32 v6, v12, 7, v6
	v_cvt_f32_f16_e32 v17, v6
.LBB276_486:                            ;   in Loop: Header=BB276_424 Depth=1
	s_or_b64 exec, exec, s[6:7]
	v_lshrrev_b32_e32 v6, 24, v25
	v_cmp_lt_i16_e64 s[0:1], s17, v6
	s_mov_b64 s[6:7], 0
                                        ; implicit-def: $sgpr26
	s_and_saveexec_b64 s[8:9], s[0:1]
	s_xor_b64 s[8:9], exec, s[8:9]
	s_cbranch_execnz .LBB276_688
; %bb.487:                              ;   in Loop: Header=BB276_424 Depth=1
	s_or_saveexec_b64 s[8:9], s[8:9]
	v_mov_b32_e32 v22, s26
	s_xor_b64 exec, exec, s[8:9]
	s_cbranch_execnz .LBB276_691
.LBB276_488:                            ;   in Loop: Header=BB276_424 Depth=1
	s_or_b64 exec, exec, s[8:9]
	s_and_saveexec_b64 s[8:9], s[6:7]
	s_cbranch_execz .LBB276_490
.LBB276_489:                            ;   in Loop: Header=BB276_424 Depth=1
	v_bfe_u32 v12, v25, 24, 3
	v_ffbh_u32_e32 v22, v12
	v_min_u32_e32 v24, 32, v22
	v_subrev_u32_e32 v22, 28, v24
	v_bfe_u32 v18, v25, 27, 4
	v_lshlrev_b64 v[22:23], v22, v[6:7]
	v_sub_u32_e32 v23, 29, v24
	v_cmp_eq_u32_e64 s[0:1], 0, v18
	v_and_b32_e32 v22, 7, v22
	v_lshlrev_b32_e32 v6, 8, v6
	v_cndmask_b32_e64 v18, v18, v23, s[0:1]
	v_lshl_add_u32 v18, v18, 10, v39
	v_cndmask_b32_e64 v12, v12, v22, s[0:1]
	v_and_or_b32 v6, v6, s21, v18
	v_lshl_or_b32 v6, v12, 7, v6
	v_cvt_f32_f16_e32 v22, v6
.LBB276_490:                            ;   in Loop: Header=BB276_424 Depth=1
	s_or_b64 exec, exec, s[8:9]
	v_pk_mul_f32 v[24:25], v[16:17], v[28:29] op_sel_hi:[0,1]
	v_pk_mul_f32 v[26:27], v[16:17], v[26:27] op_sel_hi:[0,1]
	v_cvt_f16_f32_e32 v6, v25
	v_cvt_f16_f32_e32 v12, v24
	;; [unrolled: 1-line block ×4, first 2 shown]
	v_fma_mixlo_f16 v1, v16, v1, 0
	v_lshlrev_b32_e32 v1, 16, v1
	v_fma_mixlo_f16 v0, v16, v0, 0
	v_or_b32_sdwa v0, v1, v0 dst_sel:DWORD dst_unused:UNUSED_PAD src0_sel:DWORD src1_sel:WORD_0
	v_fma_mixlo_f16 v1, v16, v22, 0
	v_pack_b32_f16 v12, v12, v6
	v_pack_b32_f16 v18, v23, v18
	v_fma_mixlo_f16 v17, v16, v17, 0
	v_lshlrev_b32_e32 v1, 16, v1
	v_perm_b32 v6, v18, v12, s23
	v_perm_b32 v18, v18, v12, s24
	v_or_b32_sdwa v1, v1, v17 dst_sel:DWORD dst_unused:UNUSED_PAD src0_sel:DWORD src1_sel:WORD_0
	s_and_saveexec_b64 s[6:7], vcc
	s_cbranch_execz .LBB276_492
; %bb.491:                              ;   in Loop: Header=BB276_424 Depth=1
	v_lshrrev_b32_e32 v12, 16, v18
	v_cmp_lt_i32_e64 s[0:1], v54, v13
	v_accvgpr_read_b32 v22, a8
	v_lshrrev_b32_e32 v1, 16, v1
	v_cndmask_b32_e64 v12, 0, v12, s[0:1]
	v_cmp_lt_i32_e64 s[0:1], v37, v22
	s_nop 1
	v_cndmask_b32_e64 v16, 0, v18, s[0:1]
	v_perm_b32 v18, v12, v16, s25
	v_lshrrev_b32_e32 v12, 16, v6
	v_cmp_lt_i32_e64 s[0:1], v53, v13
	s_nop 1
	v_cndmask_b32_e64 v12, 0, v12, s[0:1]
	v_cmp_lt_i32_e64 s[0:1], v52, v22
	s_nop 1
	v_cndmask_b32_e64 v6, 0, v6, s[0:1]
	v_perm_b32 v6, v12, v6, s25
	v_lshrrev_b32_e32 v12, 16, v0
	v_cmp_lt_i32_e64 s[0:1], v51, v13
	s_nop 1
	v_cndmask_b32_e64 v12, 0, v12, s[0:1]
	v_cmp_lt_i32_e64 s[0:1], v50, v22
	s_nop 1
	v_cndmask_b32_e64 v0, 0, v0, s[0:1]
	v_cmp_lt_i32_e64 s[0:1], v49, v13
	v_perm_b32 v0, v12, v0, s25
	s_nop 0
	v_cndmask_b32_e64 v1, 0, v1, s[0:1]
	v_cmp_lt_i32_e64 s[0:1], v48, v22
	s_nop 1
	v_cndmask_b32_e64 v12, 0, v17, s[0:1]
	v_perm_b32 v1, v1, v12, s25
.LBB276_492:                            ;   in Loop: Header=BB276_424 Depth=1
	s_or_b64 exec, exec, s[6:7]
	;;#ASMSTART
	v_pk_mul_f16 v12, v55, v18;

	;;#ASMEND
	;;#ASMSTART
	v_pk_mul_f16 v6, v40, v6;

	;;#ASMEND
	;; [unrolled: 4-line block ×4, first 2 shown]
	s_mov_b64 s[0:1], 0
	;;#ASMSTART
	v_pk_add_f16 v6, v12, v6;

	;;#ASMEND
                                        ; implicit-def: $sgpr18
	s_nop 0
	;;#ASMSTART
	v_pk_add_f16 v0, v6, v0;

	;;#ASMEND
	s_nop 0
	;;#ASMSTART
	v_pk_add_f16 v0, v0, v1;

	;;#ASMEND
	s_nop 0
	v_lshrrev_b32_e32 v1, 16, v0
	v_and_b32_e32 v0, 0xffff, v0
	;;#ASMSTART
	v_cvt_f32_f16 v45, v0;
	;;#ASMEND
	;;#ASMSTART
	v_cvt_f32_f16 v46, v1;
	;;#ASMEND
	v_accvgpr_read_b32 v0, a4
	flat_load_dwordx2 v[24:25], v[10:11] offset:1024
	v_accvgpr_read_b32 v1, a5
	flat_load_dword v16, v[0:1]
	s_waitcnt vmcnt(0) lgkmcnt(0)
	v_cmp_gt_i16_sdwa s[6:7], v24, s17 src0_sel:BYTE_0 src1_sel:DWORD
	s_and_saveexec_b64 s[8:9], s[6:7]
	s_xor_b64 s[6:7], exec, s[8:9]
	s_cbranch_execnz .LBB276_692
; %bb.493:                              ;   in Loop: Header=BB276_424 Depth=1
	s_or_saveexec_b64 s[6:7], s[6:7]
	v_mov_b32_e32 v26, s18
	s_xor_b64 exec, exec, s[6:7]
	s_cbranch_execnz .LBB276_695
.LBB276_494:                            ;   in Loop: Header=BB276_424 Depth=1
	s_or_b64 exec, exec, s[6:7]
	s_and_saveexec_b64 s[6:7], s[0:1]
	s_cbranch_execz .LBB276_496
.LBB276_495:                            ;   in Loop: Header=BB276_424 Depth=1
	v_and_b32_e32 v0, 7, v24
	v_ffbh_u32_e32 v0, v0
	v_bfe_u32 v1, v24, 3, 4
	v_min_u32_e32 v0, 32, v0
	v_subrev_u32_e32 v6, 28, v0
	v_sub_u32_e32 v0, 29, v0
	v_cmp_eq_u32_e64 s[0:1], 0, v1
	s_nop 1
	v_cndmask_b32_e64 v12, v1, v0, s[0:1]
	v_cndmask_b32_e64 v0, 0, v6, s[0:1]
	v_lshlrev_b64 v[0:1], v0, v[24:25]
	v_lshlrev_b32_e32 v1, 8, v24
	v_lshl_add_u32 v6, v12, 10, v39
	v_lshlrev_b32_e32 v0, 7, v0
	v_and_or_b32 v1, v1, s21, v6
	v_and_or_b32 v0, v0, s22, v1
	v_cvt_f32_f16_e32 v26, v0
.LBB276_496:                            ;   in Loop: Header=BB276_424 Depth=1
	s_or_b64 exec, exec, s[6:7]
	v_lshrrev_b16_e32 v6, 8, v24
	v_cmp_lt_i16_e64 s[0:1], s17, v6
	s_mov_b64 s[6:7], 0
                                        ; implicit-def: $sgpr26
	s_and_saveexec_b64 s[8:9], s[0:1]
	s_xor_b64 s[8:9], exec, s[8:9]
	s_cbranch_execnz .LBB276_696
; %bb.497:                              ;   in Loop: Header=BB276_424 Depth=1
	s_or_saveexec_b64 s[8:9], s[8:9]
	v_mov_b32_e32 v28, s26
	s_xor_b64 exec, exec, s[8:9]
	s_cbranch_execnz .LBB276_699
.LBB276_498:                            ;   in Loop: Header=BB276_424 Depth=1
	s_or_b64 exec, exec, s[8:9]
	s_and_saveexec_b64 s[8:9], s[6:7]
	s_cbranch_execz .LBB276_500
.LBB276_499:                            ;   in Loop: Header=BB276_424 Depth=1
	v_and_b32_e32 v12, 7, v6
	v_ffbh_u32_e32 v0, v12
	v_min_u32_e32 v18, 32, v0
	v_subrev_u32_e32 v0, 28, v18
	v_bfe_u32 v17, v6, 3, 4
	v_lshlrev_b64 v[0:1], v0, v[6:7]
	v_sub_u32_e32 v1, 29, v18
	v_cmp_eq_u32_e64 s[0:1], 0, v17
	v_and_b32_e32 v0, 7, v0
	v_lshlrev_b32_e32 v6, 8, v6
	v_cndmask_b32_e64 v1, v17, v1, s[0:1]
	v_lshl_add_u32 v1, v1, 10, v39
	v_cndmask_b32_e64 v0, v12, v0, s[0:1]
	v_and_or_b32 v1, v6, s21, v1
	v_lshl_or_b32 v0, v0, 7, v1
	v_cvt_f32_f16_e32 v28, v0
.LBB276_500:                            ;   in Loop: Header=BB276_424 Depth=1
	s_or_b64 exec, exec, s[8:9]
	v_lshrrev_b32_e32 v6, 16, v24
	v_cmp_gt_i16_sdwa s[6:7], v6, s17 src0_sel:BYTE_0 src1_sel:DWORD
	s_mov_b64 s[0:1], 0
                                        ; implicit-def: $sgpr18
	s_and_saveexec_b64 s[8:9], s[6:7]
	s_xor_b64 s[6:7], exec, s[8:9]
	s_cbranch_execnz .LBB276_700
; %bb.501:                              ;   in Loop: Header=BB276_424 Depth=1
	s_or_saveexec_b64 s[6:7], s[6:7]
	v_mov_b32_e32 v27, s18
	s_xor_b64 exec, exec, s[6:7]
	s_cbranch_execnz .LBB276_703
.LBB276_502:                            ;   in Loop: Header=BB276_424 Depth=1
	s_or_b64 exec, exec, s[6:7]
	s_and_saveexec_b64 s[6:7], s[0:1]
	s_cbranch_execz .LBB276_504
.LBB276_503:                            ;   in Loop: Header=BB276_424 Depth=1
	v_bfe_u32 v12, v24, 16, 3
	v_ffbh_u32_e32 v0, v12
	v_min_u32_e32 v18, 32, v0
	v_subrev_u32_e32 v0, 28, v18
	v_bfe_u32 v17, v24, 19, 4
	v_lshlrev_b64 v[0:1], v0, v[6:7]
	v_sub_u32_e32 v1, 29, v18
	v_cmp_eq_u32_e64 s[0:1], 0, v17
	v_and_b32_e32 v0, 7, v0
	v_lshlrev_b32_e32 v6, 8, v6
	v_cndmask_b32_e64 v1, v17, v1, s[0:1]
	v_lshl_add_u32 v1, v1, 10, v39
	v_cndmask_b32_e64 v0, v12, v0, s[0:1]
	v_and_or_b32 v1, v6, s21, v1
	v_lshl_or_b32 v0, v0, 7, v1
	v_cvt_f32_f16_e32 v27, v0
.LBB276_504:                            ;   in Loop: Header=BB276_424 Depth=1
	s_or_b64 exec, exec, s[6:7]
	v_lshrrev_b32_e32 v6, 24, v24
	v_cmp_lt_i16_e64 s[0:1], s17, v6
	s_mov_b64 s[6:7], 0
                                        ; implicit-def: $sgpr26
	s_and_saveexec_b64 s[8:9], s[0:1]
	s_xor_b64 s[8:9], exec, s[8:9]
	s_cbranch_execnz .LBB276_704
; %bb.505:                              ;   in Loop: Header=BB276_424 Depth=1
	s_or_saveexec_b64 s[8:9], s[8:9]
	v_mov_b32_e32 v29, s26
	s_xor_b64 exec, exec, s[8:9]
	s_cbranch_execnz .LBB276_707
.LBB276_506:                            ;   in Loop: Header=BB276_424 Depth=1
	s_or_b64 exec, exec, s[8:9]
	s_and_saveexec_b64 s[8:9], s[6:7]
	s_cbranch_execz .LBB276_508
.LBB276_507:                            ;   in Loop: Header=BB276_424 Depth=1
	v_bfe_u32 v12, v24, 24, 3
	v_ffbh_u32_e32 v0, v12
	v_min_u32_e32 v18, 32, v0
	v_subrev_u32_e32 v0, 28, v18
	v_bfe_u32 v17, v24, 27, 4
	v_lshlrev_b64 v[0:1], v0, v[6:7]
	v_sub_u32_e32 v1, 29, v18
	v_cmp_eq_u32_e64 s[0:1], 0, v17
	v_and_b32_e32 v0, 7, v0
	v_lshlrev_b32_e32 v6, 8, v6
	v_cndmask_b32_e64 v1, v17, v1, s[0:1]
	v_lshl_add_u32 v1, v1, 10, v39
	v_cndmask_b32_e64 v0, v12, v0, s[0:1]
	v_and_or_b32 v1, v6, s21, v1
	v_lshl_or_b32 v0, v0, 7, v1
	v_cvt_f32_f16_e32 v29, v0
.LBB276_508:                            ;   in Loop: Header=BB276_424 Depth=1
	s_or_b64 exec, exec, s[8:9]
	v_cmp_gt_i16_sdwa s[6:7], v25, s17 src0_sel:BYTE_0 src1_sel:DWORD
	s_mov_b64 s[0:1], 0
                                        ; implicit-def: $sgpr18
	s_and_saveexec_b64 s[8:9], s[6:7]
	s_xor_b64 s[6:7], exec, s[8:9]
	s_cbranch_execnz .LBB276_708
; %bb.509:                              ;   in Loop: Header=BB276_424 Depth=1
	s_or_saveexec_b64 s[6:7], s[6:7]
	v_mov_b32_e32 v0, s18
	s_xor_b64 exec, exec, s[6:7]
	s_cbranch_execnz .LBB276_711
.LBB276_510:                            ;   in Loop: Header=BB276_424 Depth=1
	s_or_b64 exec, exec, s[6:7]
	v_mov_b32_e32 v6, v25
	s_and_saveexec_b64 s[6:7], s[0:1]
	s_cbranch_execz .LBB276_512
.LBB276_511:                            ;   in Loop: Header=BB276_424 Depth=1
	v_and_b32_e32 v0, 7, v25
	v_ffbh_u32_e32 v0, v0
	v_bfe_u32 v1, v25, 3, 4
	v_min_u32_e32 v0, 32, v0
	v_subrev_u32_e32 v12, 28, v0
	v_sub_u32_e32 v0, 29, v0
	v_cmp_eq_u32_e64 s[0:1], 0, v1
	s_nop 1
	v_cndmask_b32_e64 v17, v1, v0, s[0:1]
	v_cndmask_b32_e64 v0, 0, v12, s[0:1]
	v_lshlrev_b64 v[0:1], v0, v[6:7]
	v_lshlrev_b32_e32 v1, 8, v25
	v_lshl_add_u32 v12, v17, 10, v39
	v_lshlrev_b32_e32 v0, 7, v0
	v_and_or_b32 v1, v1, s21, v12
	v_and_or_b32 v0, v0, s22, v1
	v_cvt_f32_f16_e32 v0, v0
.LBB276_512:                            ;   in Loop: Header=BB276_424 Depth=1
	s_or_b64 exec, exec, s[6:7]
	v_lshrrev_b16_e32 v6, 8, v6
	v_cmp_lt_i16_e64 s[0:1], s17, v6
	s_mov_b64 s[6:7], 0
                                        ; implicit-def: $sgpr26
	s_and_saveexec_b64 s[8:9], s[0:1]
	s_xor_b64 s[8:9], exec, s[8:9]
	s_cbranch_execnz .LBB276_712
; %bb.513:                              ;   in Loop: Header=BB276_424 Depth=1
	s_or_saveexec_b64 s[8:9], s[8:9]
	v_mov_b32_e32 v1, s26
	s_xor_b64 exec, exec, s[8:9]
	s_cbranch_execnz .LBB276_715
.LBB276_514:                            ;   in Loop: Header=BB276_424 Depth=1
	s_or_b64 exec, exec, s[8:9]
	s_and_saveexec_b64 s[8:9], s[6:7]
	s_cbranch_execz .LBB276_516
.LBB276_515:                            ;   in Loop: Header=BB276_424 Depth=1
	v_and_b32_e32 v1, 7, v6
	v_ffbh_u32_e32 v17, v1
	v_bfe_u32 v12, v6, 3, 4
	v_min_u32_e32 v17, 32, v17
	v_subrev_u32_e32 v18, 28, v17
	v_sub_u32_e32 v17, 29, v17
	v_cmp_eq_u32_e64 s[0:1], 0, v12
	v_lshlrev_b64 v[22:23], v18, v[6:7]
	v_and_b32_e32 v18, 7, v22
	v_cndmask_b32_e64 v12, v12, v17, s[0:1]
	v_lshlrev_b32_e32 v6, 8, v6
	v_lshl_add_u32 v12, v12, 10, v39
	v_cndmask_b32_e64 v1, v1, v18, s[0:1]
	v_and_or_b32 v6, v6, s21, v12
	v_lshl_or_b32 v1, v1, 7, v6
	v_cvt_f32_f16_e32 v1, v1
.LBB276_516:                            ;   in Loop: Header=BB276_424 Depth=1
	s_or_b64 exec, exec, s[8:9]
	v_lshrrev_b32_e32 v6, 16, v25
	v_cmp_gt_i16_sdwa s[6:7], v6, s17 src0_sel:BYTE_0 src1_sel:DWORD
	s_mov_b64 s[0:1], 0
                                        ; implicit-def: $sgpr18
	s_and_saveexec_b64 s[8:9], s[6:7]
	s_xor_b64 s[6:7], exec, s[8:9]
	s_cbranch_execnz .LBB276_716
; %bb.517:                              ;   in Loop: Header=BB276_424 Depth=1
	s_or_saveexec_b64 s[6:7], s[6:7]
	v_mov_b32_e32 v17, s18
	s_xor_b64 exec, exec, s[6:7]
	s_cbranch_execnz .LBB276_719
.LBB276_518:                            ;   in Loop: Header=BB276_424 Depth=1
	s_or_b64 exec, exec, s[6:7]
	s_and_saveexec_b64 s[6:7], s[0:1]
	s_cbranch_execz .LBB276_520
.LBB276_519:                            ;   in Loop: Header=BB276_424 Depth=1
	v_bfe_u32 v12, v25, 16, 3
	v_ffbh_u32_e32 v18, v12
	v_bfe_u32 v17, v25, 19, 4
	v_min_u32_e32 v18, 32, v18
	v_subrev_u32_e32 v22, 28, v18
	v_sub_u32_e32 v18, 29, v18
	v_cmp_eq_u32_e64 s[0:1], 0, v17
	v_lshlrev_b64 v[22:23], v22, v[6:7]
	v_and_b32_e32 v22, 7, v22
	v_cndmask_b32_e64 v17, v17, v18, s[0:1]
	v_lshlrev_b32_e32 v6, 8, v6
	v_lshl_add_u32 v17, v17, 10, v39
	v_cndmask_b32_e64 v12, v12, v22, s[0:1]
	v_and_or_b32 v6, v6, s21, v17
	v_lshl_or_b32 v6, v12, 7, v6
	v_cvt_f32_f16_e32 v17, v6
.LBB276_520:                            ;   in Loop: Header=BB276_424 Depth=1
	s_or_b64 exec, exec, s[6:7]
	v_lshrrev_b32_e32 v6, 24, v25
	v_cmp_lt_i16_e64 s[0:1], s17, v6
	s_mov_b64 s[6:7], 0
                                        ; implicit-def: $sgpr26
	s_and_saveexec_b64 s[8:9], s[0:1]
	s_xor_b64 s[8:9], exec, s[8:9]
	s_cbranch_execnz .LBB276_720
; %bb.521:                              ;   in Loop: Header=BB276_424 Depth=1
	s_or_saveexec_b64 s[8:9], s[8:9]
	v_mov_b32_e32 v22, s26
	s_xor_b64 exec, exec, s[8:9]
	s_cbranch_execnz .LBB276_723
.LBB276_522:                            ;   in Loop: Header=BB276_424 Depth=1
	s_or_b64 exec, exec, s[8:9]
	s_and_saveexec_b64 s[8:9], s[6:7]
	s_cbranch_execz .LBB276_524
.LBB276_523:                            ;   in Loop: Header=BB276_424 Depth=1
	v_bfe_u32 v12, v25, 24, 3
	v_ffbh_u32_e32 v22, v12
	v_min_u32_e32 v24, 32, v22
	v_subrev_u32_e32 v22, 28, v24
	v_bfe_u32 v18, v25, 27, 4
	v_lshlrev_b64 v[22:23], v22, v[6:7]
	v_sub_u32_e32 v23, 29, v24
	v_cmp_eq_u32_e64 s[0:1], 0, v18
	v_and_b32_e32 v22, 7, v22
	v_lshlrev_b32_e32 v6, 8, v6
	v_cndmask_b32_e64 v18, v18, v23, s[0:1]
	v_lshl_add_u32 v18, v18, 10, v39
	v_cndmask_b32_e64 v12, v12, v22, s[0:1]
	v_and_or_b32 v6, v6, s21, v18
	v_lshl_or_b32 v6, v12, 7, v6
	v_cvt_f32_f16_e32 v22, v6
.LBB276_524:                            ;   in Loop: Header=BB276_424 Depth=1
	s_or_b64 exec, exec, s[8:9]
	v_pk_mul_f32 v[24:25], v[16:17], v[28:29] op_sel_hi:[0,1]
	v_pk_mul_f32 v[26:27], v[16:17], v[26:27] op_sel_hi:[0,1]
	v_cvt_f16_f32_e32 v6, v25
	v_cvt_f16_f32_e32 v12, v24
	;; [unrolled: 1-line block ×4, first 2 shown]
	v_fma_mixlo_f16 v1, v16, v1, 0
	v_lshlrev_b32_e32 v1, 16, v1
	v_fma_mixlo_f16 v0, v16, v0, 0
	v_or_b32_sdwa v0, v1, v0 dst_sel:DWORD dst_unused:UNUSED_PAD src0_sel:DWORD src1_sel:WORD_0
	v_fma_mixlo_f16 v1, v16, v22, 0
	v_pack_b32_f16 v12, v12, v6
	v_pack_b32_f16 v18, v23, v18
	v_fma_mixlo_f16 v17, v16, v17, 0
	v_lshlrev_b32_e32 v1, 16, v1
	v_perm_b32 v6, v18, v12, s23
	v_perm_b32 v18, v18, v12, s24
	v_or_b32_sdwa v1, v1, v17 dst_sel:DWORD dst_unused:UNUSED_PAD src0_sel:DWORD src1_sel:WORD_0
	s_and_saveexec_b64 s[6:7], vcc
	s_cbranch_execz .LBB276_526
; %bb.525:                              ;   in Loop: Header=BB276_424 Depth=1
	v_lshrrev_b32_e32 v12, 16, v18
	v_cmp_lt_i32_e64 s[0:1], v54, v13
	v_accvgpr_read_b32 v22, a8
	v_lshrrev_b32_e32 v1, 16, v1
	v_cndmask_b32_e64 v12, 0, v12, s[0:1]
	v_cmp_lt_i32_e64 s[0:1], v37, v22
	s_nop 1
	v_cndmask_b32_e64 v16, 0, v18, s[0:1]
	v_perm_b32 v18, v12, v16, s25
	v_lshrrev_b32_e32 v12, 16, v6
	v_cmp_lt_i32_e64 s[0:1], v53, v13
	s_nop 1
	v_cndmask_b32_e64 v12, 0, v12, s[0:1]
	v_cmp_lt_i32_e64 s[0:1], v52, v22
	s_nop 1
	v_cndmask_b32_e64 v6, 0, v6, s[0:1]
	v_perm_b32 v6, v12, v6, s25
	v_lshrrev_b32_e32 v12, 16, v0
	v_cmp_lt_i32_e64 s[0:1], v51, v13
	s_nop 1
	v_cndmask_b32_e64 v12, 0, v12, s[0:1]
	v_cmp_lt_i32_e64 s[0:1], v50, v22
	s_nop 1
	v_cndmask_b32_e64 v0, 0, v0, s[0:1]
	v_cmp_lt_i32_e64 s[0:1], v49, v13
	v_perm_b32 v0, v12, v0, s25
	s_nop 0
	v_cndmask_b32_e64 v1, 0, v1, s[0:1]
	v_cmp_lt_i32_e64 s[0:1], v48, v22
	s_nop 1
	v_cndmask_b32_e64 v12, 0, v17, s[0:1]
	v_perm_b32 v1, v1, v12, s25
.LBB276_526:                            ;   in Loop: Header=BB276_424 Depth=1
	s_or_b64 exec, exec, s[6:7]
	;;#ASMSTART
	v_pk_mul_f16 v12, v55, v18;

	;;#ASMEND
	;;#ASMSTART
	v_pk_mul_f16 v6, v40, v6;

	;;#ASMEND
	;; [unrolled: 4-line block ×4, first 2 shown]
	s_mov_b64 s[0:1], 0
	;;#ASMSTART
	v_pk_add_f16 v6, v12, v6;

	;;#ASMEND
                                        ; implicit-def: $sgpr18
	s_nop 0
	;;#ASMSTART
	v_pk_add_f16 v0, v6, v0;

	;;#ASMEND
	s_nop 0
	;;#ASMSTART
	v_pk_add_f16 v0, v0, v1;

	;;#ASMEND
	s_nop 0
	v_lshrrev_b32_e32 v1, 16, v0
	v_and_b32_e32 v0, 0xffff, v0
	;;#ASMSTART
	v_cvt_f32_f16 v47, v0;
	;;#ASMEND
	;;#ASMSTART
	v_cvt_f32_f16 v56, v1;
	;;#ASMEND
	v_accvgpr_read_b32 v0, a4
	flat_load_dwordx2 v[24:25], v[10:11] offset:1536
	v_accvgpr_read_b32 v1, a5
	flat_load_dword v16, v[0:1]
	s_waitcnt vmcnt(0) lgkmcnt(0)
	v_cmp_gt_i16_sdwa s[6:7], v24, s17 src0_sel:BYTE_0 src1_sel:DWORD
	s_and_saveexec_b64 s[8:9], s[6:7]
	s_xor_b64 s[6:7], exec, s[8:9]
	s_cbranch_execnz .LBB276_724
; %bb.527:                              ;   in Loop: Header=BB276_424 Depth=1
	s_or_saveexec_b64 s[6:7], s[6:7]
	v_mov_b32_e32 v26, s18
	s_xor_b64 exec, exec, s[6:7]
	s_cbranch_execnz .LBB276_727
.LBB276_528:                            ;   in Loop: Header=BB276_424 Depth=1
	s_or_b64 exec, exec, s[6:7]
	s_and_saveexec_b64 s[6:7], s[0:1]
	s_cbranch_execz .LBB276_530
.LBB276_529:                            ;   in Loop: Header=BB276_424 Depth=1
	v_and_b32_e32 v0, 7, v24
	v_ffbh_u32_e32 v0, v0
	v_bfe_u32 v1, v24, 3, 4
	v_min_u32_e32 v0, 32, v0
	v_subrev_u32_e32 v6, 28, v0
	v_sub_u32_e32 v0, 29, v0
	v_cmp_eq_u32_e64 s[0:1], 0, v1
	s_nop 1
	v_cndmask_b32_e64 v12, v1, v0, s[0:1]
	v_cndmask_b32_e64 v0, 0, v6, s[0:1]
	v_lshlrev_b64 v[0:1], v0, v[24:25]
	v_lshlrev_b32_e32 v1, 8, v24
	v_lshl_add_u32 v6, v12, 10, v39
	v_lshlrev_b32_e32 v0, 7, v0
	v_and_or_b32 v1, v1, s21, v6
	v_and_or_b32 v0, v0, s22, v1
	v_cvt_f32_f16_e32 v26, v0
.LBB276_530:                            ;   in Loop: Header=BB276_424 Depth=1
	s_or_b64 exec, exec, s[6:7]
	v_lshrrev_b16_e32 v6, 8, v24
	v_cmp_lt_i16_e64 s[0:1], s17, v6
	s_mov_b64 s[6:7], 0
                                        ; implicit-def: $sgpr26
	s_and_saveexec_b64 s[8:9], s[0:1]
	s_xor_b64 s[8:9], exec, s[8:9]
	s_cbranch_execnz .LBB276_728
; %bb.531:                              ;   in Loop: Header=BB276_424 Depth=1
	s_or_saveexec_b64 s[8:9], s[8:9]
	v_mov_b32_e32 v28, s26
	s_xor_b64 exec, exec, s[8:9]
	s_cbranch_execnz .LBB276_731
.LBB276_532:                            ;   in Loop: Header=BB276_424 Depth=1
	s_or_b64 exec, exec, s[8:9]
	s_and_saveexec_b64 s[8:9], s[6:7]
	s_cbranch_execz .LBB276_534
.LBB276_533:                            ;   in Loop: Header=BB276_424 Depth=1
	v_and_b32_e32 v12, 7, v6
	v_ffbh_u32_e32 v0, v12
	v_min_u32_e32 v18, 32, v0
	v_subrev_u32_e32 v0, 28, v18
	v_bfe_u32 v17, v6, 3, 4
	v_lshlrev_b64 v[0:1], v0, v[6:7]
	v_sub_u32_e32 v1, 29, v18
	v_cmp_eq_u32_e64 s[0:1], 0, v17
	v_and_b32_e32 v0, 7, v0
	v_lshlrev_b32_e32 v6, 8, v6
	v_cndmask_b32_e64 v1, v17, v1, s[0:1]
	v_lshl_add_u32 v1, v1, 10, v39
	v_cndmask_b32_e64 v0, v12, v0, s[0:1]
	v_and_or_b32 v1, v6, s21, v1
	v_lshl_or_b32 v0, v0, 7, v1
	v_cvt_f32_f16_e32 v28, v0
.LBB276_534:                            ;   in Loop: Header=BB276_424 Depth=1
	s_or_b64 exec, exec, s[8:9]
	v_lshrrev_b32_e32 v6, 16, v24
	v_cmp_gt_i16_sdwa s[6:7], v6, s17 src0_sel:BYTE_0 src1_sel:DWORD
	s_mov_b64 s[0:1], 0
                                        ; implicit-def: $sgpr18
	s_and_saveexec_b64 s[8:9], s[6:7]
	s_xor_b64 s[6:7], exec, s[8:9]
	s_cbranch_execnz .LBB276_732
; %bb.535:                              ;   in Loop: Header=BB276_424 Depth=1
	s_or_saveexec_b64 s[6:7], s[6:7]
	v_mov_b32_e32 v27, s18
	s_xor_b64 exec, exec, s[6:7]
	s_cbranch_execnz .LBB276_735
.LBB276_536:                            ;   in Loop: Header=BB276_424 Depth=1
	s_or_b64 exec, exec, s[6:7]
	s_and_saveexec_b64 s[6:7], s[0:1]
	s_cbranch_execz .LBB276_538
.LBB276_537:                            ;   in Loop: Header=BB276_424 Depth=1
	v_bfe_u32 v12, v24, 16, 3
	v_ffbh_u32_e32 v0, v12
	v_min_u32_e32 v18, 32, v0
	v_subrev_u32_e32 v0, 28, v18
	v_bfe_u32 v17, v24, 19, 4
	v_lshlrev_b64 v[0:1], v0, v[6:7]
	v_sub_u32_e32 v1, 29, v18
	v_cmp_eq_u32_e64 s[0:1], 0, v17
	v_and_b32_e32 v0, 7, v0
	v_lshlrev_b32_e32 v6, 8, v6
	v_cndmask_b32_e64 v1, v17, v1, s[0:1]
	v_lshl_add_u32 v1, v1, 10, v39
	v_cndmask_b32_e64 v0, v12, v0, s[0:1]
	v_and_or_b32 v1, v6, s21, v1
	v_lshl_or_b32 v0, v0, 7, v1
	v_cvt_f32_f16_e32 v27, v0
.LBB276_538:                            ;   in Loop: Header=BB276_424 Depth=1
	s_or_b64 exec, exec, s[6:7]
	v_lshrrev_b32_e32 v6, 24, v24
	v_cmp_lt_i16_e64 s[0:1], s17, v6
	s_mov_b64 s[6:7], 0
                                        ; implicit-def: $sgpr26
	s_and_saveexec_b64 s[8:9], s[0:1]
	s_xor_b64 s[8:9], exec, s[8:9]
	s_cbranch_execnz .LBB276_736
; %bb.539:                              ;   in Loop: Header=BB276_424 Depth=1
	s_or_saveexec_b64 s[8:9], s[8:9]
	v_mov_b32_e32 v29, s26
	s_xor_b64 exec, exec, s[8:9]
	s_cbranch_execnz .LBB276_739
.LBB276_540:                            ;   in Loop: Header=BB276_424 Depth=1
	s_or_b64 exec, exec, s[8:9]
	s_and_saveexec_b64 s[8:9], s[6:7]
	s_cbranch_execz .LBB276_542
.LBB276_541:                            ;   in Loop: Header=BB276_424 Depth=1
	v_bfe_u32 v12, v24, 24, 3
	v_ffbh_u32_e32 v0, v12
	v_min_u32_e32 v18, 32, v0
	v_subrev_u32_e32 v0, 28, v18
	v_bfe_u32 v17, v24, 27, 4
	v_lshlrev_b64 v[0:1], v0, v[6:7]
	v_sub_u32_e32 v1, 29, v18
	v_cmp_eq_u32_e64 s[0:1], 0, v17
	v_and_b32_e32 v0, 7, v0
	v_lshlrev_b32_e32 v6, 8, v6
	v_cndmask_b32_e64 v1, v17, v1, s[0:1]
	v_lshl_add_u32 v1, v1, 10, v39
	v_cndmask_b32_e64 v0, v12, v0, s[0:1]
	v_and_or_b32 v1, v6, s21, v1
	v_lshl_or_b32 v0, v0, 7, v1
	v_cvt_f32_f16_e32 v29, v0
.LBB276_542:                            ;   in Loop: Header=BB276_424 Depth=1
	s_or_b64 exec, exec, s[8:9]
	v_cmp_gt_i16_sdwa s[6:7], v25, s17 src0_sel:BYTE_0 src1_sel:DWORD
	s_mov_b64 s[0:1], 0
                                        ; implicit-def: $sgpr18
	s_and_saveexec_b64 s[8:9], s[6:7]
	s_xor_b64 s[6:7], exec, s[8:9]
	s_cbranch_execnz .LBB276_740
; %bb.543:                              ;   in Loop: Header=BB276_424 Depth=1
	s_or_saveexec_b64 s[6:7], s[6:7]
	v_mov_b32_e32 v0, s18
	s_xor_b64 exec, exec, s[6:7]
	s_cbranch_execnz .LBB276_743
.LBB276_544:                            ;   in Loop: Header=BB276_424 Depth=1
	s_or_b64 exec, exec, s[6:7]
	v_mov_b32_e32 v6, v25
	s_and_saveexec_b64 s[6:7], s[0:1]
	s_cbranch_execz .LBB276_546
.LBB276_545:                            ;   in Loop: Header=BB276_424 Depth=1
	v_and_b32_e32 v0, 7, v25
	v_ffbh_u32_e32 v0, v0
	v_bfe_u32 v1, v25, 3, 4
	v_min_u32_e32 v0, 32, v0
	v_subrev_u32_e32 v12, 28, v0
	v_sub_u32_e32 v0, 29, v0
	v_cmp_eq_u32_e64 s[0:1], 0, v1
	s_nop 1
	v_cndmask_b32_e64 v17, v1, v0, s[0:1]
	v_cndmask_b32_e64 v0, 0, v12, s[0:1]
	v_lshlrev_b64 v[0:1], v0, v[6:7]
	v_lshlrev_b32_e32 v1, 8, v25
	v_lshl_add_u32 v12, v17, 10, v39
	v_lshlrev_b32_e32 v0, 7, v0
	v_and_or_b32 v1, v1, s21, v12
	v_and_or_b32 v0, v0, s22, v1
	v_cvt_f32_f16_e32 v0, v0
.LBB276_546:                            ;   in Loop: Header=BB276_424 Depth=1
	s_or_b64 exec, exec, s[6:7]
	v_lshrrev_b16_e32 v6, 8, v6
	v_cmp_lt_i16_e64 s[0:1], s17, v6
	s_mov_b64 s[6:7], 0
                                        ; implicit-def: $sgpr26
	s_and_saveexec_b64 s[8:9], s[0:1]
	s_xor_b64 s[8:9], exec, s[8:9]
	s_cbranch_execnz .LBB276_744
; %bb.547:                              ;   in Loop: Header=BB276_424 Depth=1
	s_or_saveexec_b64 s[8:9], s[8:9]
	v_mov_b32_e32 v1, s26
	s_xor_b64 exec, exec, s[8:9]
	s_cbranch_execnz .LBB276_747
.LBB276_548:                            ;   in Loop: Header=BB276_424 Depth=1
	s_or_b64 exec, exec, s[8:9]
	s_and_saveexec_b64 s[8:9], s[6:7]
	s_cbranch_execz .LBB276_550
.LBB276_549:                            ;   in Loop: Header=BB276_424 Depth=1
	v_and_b32_e32 v1, 7, v6
	v_ffbh_u32_e32 v17, v1
	v_bfe_u32 v12, v6, 3, 4
	v_min_u32_e32 v17, 32, v17
	v_subrev_u32_e32 v18, 28, v17
	v_sub_u32_e32 v17, 29, v17
	v_cmp_eq_u32_e64 s[0:1], 0, v12
	v_lshlrev_b64 v[22:23], v18, v[6:7]
	v_and_b32_e32 v18, 7, v22
	v_cndmask_b32_e64 v12, v12, v17, s[0:1]
	v_lshlrev_b32_e32 v6, 8, v6
	v_lshl_add_u32 v12, v12, 10, v39
	v_cndmask_b32_e64 v1, v1, v18, s[0:1]
	v_and_or_b32 v6, v6, s21, v12
	v_lshl_or_b32 v1, v1, 7, v6
	v_cvt_f32_f16_e32 v1, v1
.LBB276_550:                            ;   in Loop: Header=BB276_424 Depth=1
	s_or_b64 exec, exec, s[8:9]
	v_lshrrev_b32_e32 v6, 16, v25
	v_cmp_gt_i16_sdwa s[6:7], v6, s17 src0_sel:BYTE_0 src1_sel:DWORD
	s_mov_b64 s[0:1], 0
                                        ; implicit-def: $sgpr18
	s_and_saveexec_b64 s[8:9], s[6:7]
	s_xor_b64 s[6:7], exec, s[8:9]
	s_cbranch_execnz .LBB276_748
; %bb.551:                              ;   in Loop: Header=BB276_424 Depth=1
	s_or_saveexec_b64 s[6:7], s[6:7]
	v_mov_b32_e32 v17, s18
	s_xor_b64 exec, exec, s[6:7]
	s_cbranch_execnz .LBB276_751
.LBB276_552:                            ;   in Loop: Header=BB276_424 Depth=1
	s_or_b64 exec, exec, s[6:7]
	s_and_saveexec_b64 s[6:7], s[0:1]
	s_cbranch_execz .LBB276_554
.LBB276_553:                            ;   in Loop: Header=BB276_424 Depth=1
	v_bfe_u32 v12, v25, 16, 3
	v_ffbh_u32_e32 v18, v12
	v_bfe_u32 v17, v25, 19, 4
	v_min_u32_e32 v18, 32, v18
	v_subrev_u32_e32 v22, 28, v18
	v_sub_u32_e32 v18, 29, v18
	v_cmp_eq_u32_e64 s[0:1], 0, v17
	v_lshlrev_b64 v[22:23], v22, v[6:7]
	v_and_b32_e32 v22, 7, v22
	v_cndmask_b32_e64 v17, v17, v18, s[0:1]
	v_lshlrev_b32_e32 v6, 8, v6
	v_lshl_add_u32 v17, v17, 10, v39
	v_cndmask_b32_e64 v12, v12, v22, s[0:1]
	v_and_or_b32 v6, v6, s21, v17
	v_lshl_or_b32 v6, v12, 7, v6
	v_cvt_f32_f16_e32 v17, v6
.LBB276_554:                            ;   in Loop: Header=BB276_424 Depth=1
	s_or_b64 exec, exec, s[6:7]
	v_lshrrev_b32_e32 v6, 24, v25
	v_cmp_lt_i16_e64 s[0:1], s17, v6
	s_mov_b64 s[6:7], 0
                                        ; implicit-def: $sgpr26
	s_and_saveexec_b64 s[8:9], s[0:1]
	s_xor_b64 s[8:9], exec, s[8:9]
	s_cbranch_execnz .LBB276_752
; %bb.555:                              ;   in Loop: Header=BB276_424 Depth=1
	s_or_saveexec_b64 s[8:9], s[8:9]
	v_mov_b32_e32 v22, s26
	s_xor_b64 exec, exec, s[8:9]
	s_cbranch_execnz .LBB276_755
.LBB276_556:                            ;   in Loop: Header=BB276_424 Depth=1
	s_or_b64 exec, exec, s[8:9]
	s_and_saveexec_b64 s[8:9], s[6:7]
	s_cbranch_execz .LBB276_558
.LBB276_557:                            ;   in Loop: Header=BB276_424 Depth=1
	v_bfe_u32 v12, v25, 24, 3
	v_ffbh_u32_e32 v22, v12
	v_min_u32_e32 v24, 32, v22
	v_subrev_u32_e32 v22, 28, v24
	v_bfe_u32 v18, v25, 27, 4
	v_lshlrev_b64 v[22:23], v22, v[6:7]
	v_sub_u32_e32 v23, 29, v24
	v_cmp_eq_u32_e64 s[0:1], 0, v18
	v_and_b32_e32 v22, 7, v22
	v_lshlrev_b32_e32 v6, 8, v6
	v_cndmask_b32_e64 v18, v18, v23, s[0:1]
	v_lshl_add_u32 v18, v18, 10, v39
	v_cndmask_b32_e64 v12, v12, v22, s[0:1]
	v_and_or_b32 v6, v6, s21, v18
	v_lshl_or_b32 v6, v12, 7, v6
	v_cvt_f32_f16_e32 v22, v6
.LBB276_558:                            ;   in Loop: Header=BB276_424 Depth=1
	s_or_b64 exec, exec, s[8:9]
	v_pk_mul_f32 v[24:25], v[16:17], v[28:29] op_sel_hi:[0,1]
	v_pk_mul_f32 v[26:27], v[16:17], v[26:27] op_sel_hi:[0,1]
	v_cvt_f16_f32_e32 v6, v25
	v_cvt_f16_f32_e32 v12, v24
	;; [unrolled: 1-line block ×4, first 2 shown]
	v_fma_mixlo_f16 v1, v16, v1, 0
	v_lshlrev_b32_e32 v1, 16, v1
	v_fma_mixlo_f16 v0, v16, v0, 0
	v_or_b32_sdwa v0, v1, v0 dst_sel:DWORD dst_unused:UNUSED_PAD src0_sel:DWORD src1_sel:WORD_0
	v_fma_mixlo_f16 v1, v16, v22, 0
	v_pack_b32_f16 v12, v12, v6
	v_pack_b32_f16 v18, v23, v18
	v_fma_mixlo_f16 v17, v16, v17, 0
	v_lshlrev_b32_e32 v1, 16, v1
	v_perm_b32 v6, v18, v12, s23
	v_perm_b32 v18, v18, v12, s24
	v_or_b32_sdwa v1, v1, v17 dst_sel:DWORD dst_unused:UNUSED_PAD src0_sel:DWORD src1_sel:WORD_0
	s_and_saveexec_b64 s[6:7], vcc
	s_cbranch_execz .LBB276_560
; %bb.559:                              ;   in Loop: Header=BB276_424 Depth=1
	v_lshrrev_b32_e32 v12, 16, v18
	v_cmp_lt_i32_e64 s[0:1], v54, v13
	v_accvgpr_read_b32 v22, a8
	v_lshrrev_b32_e32 v1, 16, v1
	v_cndmask_b32_e64 v12, 0, v12, s[0:1]
	v_cmp_lt_i32_e64 s[0:1], v37, v22
	s_nop 1
	v_cndmask_b32_e64 v16, 0, v18, s[0:1]
	v_perm_b32 v18, v12, v16, s25
	v_lshrrev_b32_e32 v12, 16, v6
	v_cmp_lt_i32_e64 s[0:1], v53, v13
	s_nop 1
	v_cndmask_b32_e64 v12, 0, v12, s[0:1]
	v_cmp_lt_i32_e64 s[0:1], v52, v22
	s_nop 1
	v_cndmask_b32_e64 v6, 0, v6, s[0:1]
	v_perm_b32 v6, v12, v6, s25
	v_lshrrev_b32_e32 v12, 16, v0
	v_cmp_lt_i32_e64 s[0:1], v51, v13
	s_nop 1
	v_cndmask_b32_e64 v12, 0, v12, s[0:1]
	v_cmp_lt_i32_e64 s[0:1], v50, v22
	s_nop 1
	v_cndmask_b32_e64 v0, 0, v0, s[0:1]
	v_cmp_lt_i32_e64 s[0:1], v49, v13
	v_perm_b32 v0, v12, v0, s25
	s_nop 0
	v_cndmask_b32_e64 v1, 0, v1, s[0:1]
	v_cmp_lt_i32_e64 s[0:1], v48, v22
	s_nop 1
	v_cndmask_b32_e64 v12, 0, v17, s[0:1]
	v_perm_b32 v1, v1, v12, s25
.LBB276_560:                            ;   in Loop: Header=BB276_424 Depth=1
	s_or_b64 exec, exec, s[6:7]
	;;#ASMSTART
	v_pk_mul_f16 v12, v55, v18;

	;;#ASMEND
	;;#ASMSTART
	v_pk_mul_f16 v6, v40, v6;

	;;#ASMEND
	;; [unrolled: 4-line block ×4, first 2 shown]
	v_accvgpr_read_b32 v17, a5
	;;#ASMSTART
	v_pk_add_f16 v6, v12, v6;

	;;#ASMEND
	v_accvgpr_read_b32 v16, a4
	;;#ASMSTART
	v_pk_add_f16 v0, v6, v0;

	;;#ASMEND
	s_mov_b64 s[0:1], 0
	;;#ASMSTART
	v_pk_add_f16 v0, v0, v1;

	;;#ASMEND
                                        ; implicit-def: $sgpr18
	s_nop 0
	v_lshrrev_b32_e32 v1, 16, v0
	v_and_b32_e32 v0, 0xffff, v0
	;;#ASMSTART
	v_cvt_f32_f16 v0, v0;
	;;#ASMEND
	;;#ASMSTART
	v_cvt_f32_f16 v1, v1;
	;;#ASMEND
	flat_load_dwordx2 v[24:25], v[10:11] offset:2048
	s_waitcnt vmcnt(0) lgkmcnt(0)
	v_cmp_gt_i16_sdwa s[6:7], v24, s17 src0_sel:BYTE_0 src1_sel:DWORD
	flat_load_dword v16, v[16:17]
	s_and_saveexec_b64 s[8:9], s[6:7]
	s_xor_b64 s[6:7], exec, s[8:9]
	s_cbranch_execnz .LBB276_756
; %bb.561:                              ;   in Loop: Header=BB276_424 Depth=1
	s_or_saveexec_b64 s[6:7], s[6:7]
	v_mov_b32_e32 v26, s18
	s_xor_b64 exec, exec, s[6:7]
	s_cbranch_execnz .LBB276_759
.LBB276_562:                            ;   in Loop: Header=BB276_424 Depth=1
	s_or_b64 exec, exec, s[6:7]
	s_and_saveexec_b64 s[6:7], s[0:1]
	s_cbranch_execz .LBB276_564
.LBB276_563:                            ;   in Loop: Header=BB276_424 Depth=1
	v_and_b32_e32 v6, 7, v24
	v_ffbh_u32_e32 v6, v6
	v_bfe_u32 v12, v24, 3, 4
	v_min_u32_e32 v6, 32, v6
	v_subrev_u32_e32 v17, 28, v6
	v_sub_u32_e32 v6, 29, v6
	v_cmp_eq_u32_e64 s[0:1], 0, v12
	s_nop 1
	v_cndmask_b32_e64 v6, v12, v6, s[0:1]
	v_cndmask_b32_e64 v12, 0, v17, s[0:1]
	v_lshlrev_b64 v[22:23], v12, v[24:25]
	v_lshlrev_b32_e32 v17, 8, v24
	v_lshl_add_u32 v6, v6, 10, v39
	v_lshlrev_b32_e32 v12, 7, v22
	v_and_or_b32 v6, v17, s21, v6
	v_and_or_b32 v6, v12, s22, v6
	v_cvt_f32_f16_e32 v26, v6
.LBB276_564:                            ;   in Loop: Header=BB276_424 Depth=1
	s_or_b64 exec, exec, s[6:7]
	v_lshrrev_b16_e32 v6, 8, v24
	v_cmp_lt_i16_e64 s[0:1], s17, v6
	s_mov_b64 s[6:7], 0
                                        ; implicit-def: $sgpr26
	s_and_saveexec_b64 s[8:9], s[0:1]
	s_xor_b64 s[8:9], exec, s[8:9]
	s_cbranch_execnz .LBB276_760
; %bb.565:                              ;   in Loop: Header=BB276_424 Depth=1
	s_or_saveexec_b64 s[8:9], s[8:9]
	v_mov_b32_e32 v28, s26
	s_xor_b64 exec, exec, s[8:9]
	s_cbranch_execnz .LBB276_763
.LBB276_566:                            ;   in Loop: Header=BB276_424 Depth=1
	s_or_b64 exec, exec, s[8:9]
	s_and_saveexec_b64 s[8:9], s[6:7]
	s_cbranch_execz .LBB276_568
.LBB276_567:                            ;   in Loop: Header=BB276_424 Depth=1
	v_and_b32_e32 v12, 7, v6
	v_ffbh_u32_e32 v18, v12
	v_bfe_u32 v17, v6, 3, 4
	v_min_u32_e32 v18, 32, v18
	v_subrev_u32_e32 v22, 28, v18
	v_sub_u32_e32 v18, 29, v18
	v_cmp_eq_u32_e64 s[0:1], 0, v17
	v_lshlrev_b64 v[22:23], v22, v[6:7]
	v_and_b32_e32 v22, 7, v22
	v_cndmask_b32_e64 v17, v17, v18, s[0:1]
	v_lshlrev_b32_e32 v6, 8, v6
	v_lshl_add_u32 v17, v17, 10, v39
	v_cndmask_b32_e64 v12, v12, v22, s[0:1]
	v_and_or_b32 v6, v6, s21, v17
	v_lshl_or_b32 v6, v12, 7, v6
	v_cvt_f32_f16_e32 v28, v6
.LBB276_568:                            ;   in Loop: Header=BB276_424 Depth=1
	s_or_b64 exec, exec, s[8:9]
	v_lshrrev_b32_e32 v6, 16, v24
	v_cmp_gt_i16_sdwa s[6:7], v6, s17 src0_sel:BYTE_0 src1_sel:DWORD
	s_mov_b64 s[0:1], 0
                                        ; implicit-def: $sgpr18
	s_and_saveexec_b64 s[8:9], s[6:7]
	s_xor_b64 s[6:7], exec, s[8:9]
	s_cbranch_execnz .LBB276_764
; %bb.569:                              ;   in Loop: Header=BB276_424 Depth=1
	s_or_saveexec_b64 s[6:7], s[6:7]
	v_mov_b32_e32 v27, s18
	s_xor_b64 exec, exec, s[6:7]
	s_cbranch_execnz .LBB276_767
.LBB276_570:                            ;   in Loop: Header=BB276_424 Depth=1
	s_or_b64 exec, exec, s[6:7]
	s_and_saveexec_b64 s[6:7], s[0:1]
	s_cbranch_execz .LBB276_572
.LBB276_571:                            ;   in Loop: Header=BB276_424 Depth=1
	v_bfe_u32 v12, v24, 16, 3
	v_ffbh_u32_e32 v18, v12
	v_bfe_u32 v17, v24, 19, 4
	v_min_u32_e32 v18, 32, v18
	v_subrev_u32_e32 v22, 28, v18
	v_sub_u32_e32 v18, 29, v18
	v_cmp_eq_u32_e64 s[0:1], 0, v17
	v_lshlrev_b64 v[22:23], v22, v[6:7]
	v_and_b32_e32 v22, 7, v22
	v_cndmask_b32_e64 v17, v17, v18, s[0:1]
	v_lshlrev_b32_e32 v6, 8, v6
	v_lshl_add_u32 v17, v17, 10, v39
	v_cndmask_b32_e64 v12, v12, v22, s[0:1]
	v_and_or_b32 v6, v6, s21, v17
	v_lshl_or_b32 v6, v12, 7, v6
	v_cvt_f32_f16_e32 v27, v6
.LBB276_572:                            ;   in Loop: Header=BB276_424 Depth=1
	s_or_b64 exec, exec, s[6:7]
	v_lshrrev_b32_e32 v6, 24, v24
	v_cmp_lt_i16_e64 s[0:1], s17, v6
	s_mov_b64 s[6:7], 0
                                        ; implicit-def: $sgpr26
	s_and_saveexec_b64 s[8:9], s[0:1]
	s_xor_b64 s[8:9], exec, s[8:9]
	s_cbranch_execnz .LBB276_768
; %bb.573:                              ;   in Loop: Header=BB276_424 Depth=1
	s_or_saveexec_b64 s[8:9], s[8:9]
	v_mov_b32_e32 v29, s26
	s_xor_b64 exec, exec, s[8:9]
	s_cbranch_execnz .LBB276_771
.LBB276_574:                            ;   in Loop: Header=BB276_424 Depth=1
	s_or_b64 exec, exec, s[8:9]
	s_and_saveexec_b64 s[8:9], s[6:7]
	s_cbranch_execz .LBB276_576
.LBB276_575:                            ;   in Loop: Header=BB276_424 Depth=1
	v_bfe_u32 v12, v24, 24, 3
	v_ffbh_u32_e32 v18, v12
	v_bfe_u32 v17, v24, 27, 4
	v_min_u32_e32 v18, 32, v18
	v_subrev_u32_e32 v22, 28, v18
	v_sub_u32_e32 v18, 29, v18
	v_cmp_eq_u32_e64 s[0:1], 0, v17
	v_lshlrev_b64 v[22:23], v22, v[6:7]
	v_and_b32_e32 v22, 7, v22
	v_cndmask_b32_e64 v17, v17, v18, s[0:1]
	v_lshlrev_b32_e32 v6, 8, v6
	v_lshl_add_u32 v17, v17, 10, v39
	v_cndmask_b32_e64 v12, v12, v22, s[0:1]
	v_and_or_b32 v6, v6, s21, v17
	v_lshl_or_b32 v6, v12, 7, v6
	v_cvt_f32_f16_e32 v29, v6
.LBB276_576:                            ;   in Loop: Header=BB276_424 Depth=1
	s_or_b64 exec, exec, s[8:9]
	v_cmp_gt_i16_sdwa s[6:7], v25, s17 src0_sel:BYTE_0 src1_sel:DWORD
	s_mov_b64 s[0:1], 0
                                        ; implicit-def: $sgpr18
	s_and_saveexec_b64 s[8:9], s[6:7]
	s_xor_b64 s[6:7], exec, s[8:9]
	s_cbranch_execnz .LBB276_772
; %bb.577:                              ;   in Loop: Header=BB276_424 Depth=1
	s_or_saveexec_b64 s[6:7], s[6:7]
	v_mov_b32_e32 v17, s18
	s_xor_b64 exec, exec, s[6:7]
	s_cbranch_execnz .LBB276_775
.LBB276_578:                            ;   in Loop: Header=BB276_424 Depth=1
	s_or_b64 exec, exec, s[6:7]
	v_mov_b32_e32 v6, v25
	s_and_saveexec_b64 s[6:7], s[0:1]
	s_cbranch_execz .LBB276_580
.LBB276_579:                            ;   in Loop: Header=BB276_424 Depth=1
	v_and_b32_e32 v12, 7, v25
	v_ffbh_u32_e32 v12, v12
	v_bfe_u32 v17, v25, 3, 4
	v_min_u32_e32 v12, 32, v12
	v_subrev_u32_e32 v18, 28, v12
	v_sub_u32_e32 v12, 29, v12
	v_cmp_eq_u32_e64 s[0:1], 0, v17
	s_nop 1
	v_cndmask_b32_e64 v12, v17, v12, s[0:1]
	v_cndmask_b32_e64 v17, 0, v18, s[0:1]
	v_lshlrev_b64 v[22:23], v17, v[6:7]
	v_lshlrev_b32_e32 v18, 8, v25
	v_lshl_add_u32 v12, v12, 10, v39
	v_lshlrev_b32_e32 v17, 7, v22
	v_and_or_b32 v12, v18, s21, v12
	v_and_or_b32 v12, v17, s22, v12
	v_cvt_f32_f16_e32 v17, v12
.LBB276_580:                            ;   in Loop: Header=BB276_424 Depth=1
	s_or_b64 exec, exec, s[6:7]
	v_lshrrev_b16_e32 v6, 8, v6
	v_cmp_lt_i16_e64 s[0:1], s17, v6
	s_mov_b64 s[6:7], 0
                                        ; implicit-def: $sgpr26
	s_and_saveexec_b64 s[8:9], s[0:1]
	s_xor_b64 s[8:9], exec, s[8:9]
	s_cbranch_execnz .LBB276_776
; %bb.581:                              ;   in Loop: Header=BB276_424 Depth=1
	s_or_saveexec_b64 s[8:9], s[8:9]
	v_mov_b32_e32 v18, s26
	s_xor_b64 exec, exec, s[8:9]
	s_cbranch_execnz .LBB276_779
.LBB276_582:                            ;   in Loop: Header=BB276_424 Depth=1
	s_or_b64 exec, exec, s[8:9]
	s_and_saveexec_b64 s[8:9], s[6:7]
	s_cbranch_execz .LBB276_584
.LBB276_583:                            ;   in Loop: Header=BB276_424 Depth=1
	v_and_b32_e32 v12, 7, v6
	v_ffbh_u32_e32 v22, v12
	v_min_u32_e32 v24, 32, v22
	v_subrev_u32_e32 v22, 28, v24
	v_bfe_u32 v18, v6, 3, 4
	v_lshlrev_b64 v[22:23], v22, v[6:7]
	v_sub_u32_e32 v23, 29, v24
	v_cmp_eq_u32_e64 s[0:1], 0, v18
	v_and_b32_e32 v22, 7, v22
	v_lshlrev_b32_e32 v6, 8, v6
	v_cndmask_b32_e64 v18, v18, v23, s[0:1]
	v_lshl_add_u32 v18, v18, 10, v39
	v_cndmask_b32_e64 v12, v12, v22, s[0:1]
	v_and_or_b32 v6, v6, s21, v18
	v_lshl_or_b32 v6, v12, 7, v6
	v_cvt_f32_f16_e32 v18, v6
.LBB276_584:                            ;   in Loop: Header=BB276_424 Depth=1
	s_or_b64 exec, exec, s[8:9]
	v_lshrrev_b32_e32 v6, 16, v25
	v_cmp_gt_i16_sdwa s[6:7], v6, s17 src0_sel:BYTE_0 src1_sel:DWORD
	s_mov_b64 s[0:1], 0
                                        ; implicit-def: $sgpr18
	s_and_saveexec_b64 s[8:9], s[6:7]
	s_xor_b64 s[6:7], exec, s[8:9]
	s_cbranch_execnz .LBB276_780
; %bb.585:                              ;   in Loop: Header=BB276_424 Depth=1
	s_or_saveexec_b64 s[6:7], s[6:7]
	v_mov_b32_e32 v22, s18
	s_xor_b64 exec, exec, s[6:7]
	s_cbranch_execnz .LBB276_783
.LBB276_586:                            ;   in Loop: Header=BB276_424 Depth=1
	s_or_b64 exec, exec, s[6:7]
	s_and_saveexec_b64 s[6:7], s[0:1]
	s_cbranch_execz .LBB276_588
.LBB276_587:                            ;   in Loop: Header=BB276_424 Depth=1
	v_bfe_u32 v12, v25, 16, 3
	v_ffbh_u32_e32 v22, v12
	v_min_u32_e32 v32, 32, v22
	v_subrev_u32_e32 v22, 28, v32
	v_bfe_u32 v24, v25, 19, 4
	v_lshlrev_b64 v[22:23], v22, v[6:7]
	v_sub_u32_e32 v23, 29, v32
	v_cmp_eq_u32_e64 s[0:1], 0, v24
	v_and_b32_e32 v22, 7, v22
	v_lshlrev_b32_e32 v6, 8, v6
	v_cndmask_b32_e64 v23, v24, v23, s[0:1]
	v_cndmask_b32_e64 v12, v12, v22, s[0:1]
	v_lshl_add_u32 v22, v23, 10, v39
	v_and_or_b32 v6, v6, s21, v22
	v_lshl_or_b32 v6, v12, 7, v6
	v_cvt_f32_f16_e32 v22, v6
.LBB276_588:                            ;   in Loop: Header=BB276_424 Depth=1
	s_or_b64 exec, exec, s[6:7]
	v_lshrrev_b32_e32 v6, 24, v25
	v_cmp_lt_i16_e64 s[0:1], s17, v6
	s_mov_b64 s[6:7], 0
                                        ; implicit-def: $sgpr26
	s_and_saveexec_b64 s[8:9], s[0:1]
	s_xor_b64 s[8:9], exec, s[8:9]
	s_cbranch_execnz .LBB276_784
; %bb.589:                              ;   in Loop: Header=BB276_424 Depth=1
	s_or_saveexec_b64 s[8:9], s[8:9]
	v_mov_b32_e32 v24, s26
	s_xor_b64 exec, exec, s[8:9]
	s_cbranch_execnz .LBB276_787
.LBB276_590:                            ;   in Loop: Header=BB276_424 Depth=1
	s_or_b64 exec, exec, s[8:9]
	s_and_saveexec_b64 s[8:9], s[6:7]
	s_cbranch_execz .LBB276_592
.LBB276_591:                            ;   in Loop: Header=BB276_424 Depth=1
	v_bfe_u32 v12, v25, 24, 3
	v_ffbh_u32_e32 v24, v12
	v_min_u32_e32 v32, 32, v24
	v_subrev_u32_e32 v24, 28, v32
	v_bfe_u32 v23, v25, 27, 4
	v_lshlrev_b64 v[24:25], v24, v[6:7]
	v_sub_u32_e32 v25, 29, v32
	v_cmp_eq_u32_e64 s[0:1], 0, v23
	v_and_b32_e32 v24, 7, v24
	v_lshlrev_b32_e32 v6, 8, v6
	v_cndmask_b32_e64 v23, v23, v25, s[0:1]
	v_lshl_add_u32 v23, v23, 10, v39
	v_cndmask_b32_e64 v12, v12, v24, s[0:1]
	v_and_or_b32 v6, v6, s21, v23
	v_lshl_or_b32 v6, v12, 7, v6
	v_cvt_f32_f16_e32 v24, v6
.LBB276_592:                            ;   in Loop: Header=BB276_424 Depth=1
	s_or_b64 exec, exec, s[8:9]
	s_waitcnt vmcnt(0) lgkmcnt(0)
	v_pk_mul_f32 v[28:29], v[16:17], v[28:29] op_sel_hi:[0,1]
	v_pk_mul_f32 v[26:27], v[16:17], v[26:27] op_sel_hi:[0,1]
	v_cvt_f16_f32_e32 v6, v29
	v_cvt_f16_f32_e32 v12, v28
	;; [unrolled: 1-line block ×4, first 2 shown]
	v_fma_mixlo_f16 v17, v16, v17, 0
	v_pack_b32_f16 v12, v12, v6
	v_pack_b32_f16 v23, v25, v23
	v_perm_b32 v6, v23, v12, s23
	v_perm_b32 v23, v23, v12, s24
	v_fma_mixlo_f16 v12, v16, v18, 0
	v_lshlrev_b32_e32 v12, 16, v12
	v_or_b32_sdwa v17, v12, v17 dst_sel:DWORD dst_unused:UNUSED_PAD src0_sel:DWORD src1_sel:WORD_0
	v_fma_mixlo_f16 v12, v16, v24, 0
	v_fma_mixlo_f16 v18, v16, v22, 0
	v_lshlrev_b32_e32 v12, 16, v12
	v_or_b32_sdwa v16, v12, v18 dst_sel:DWORD dst_unused:UNUSED_PAD src0_sel:DWORD src1_sel:WORD_0
	s_and_saveexec_b64 s[6:7], vcc
	s_cbranch_execz .LBB276_594
; %bb.593:                              ;   in Loop: Header=BB276_424 Depth=1
	v_lshrrev_b32_e32 v12, 16, v23
	v_cmp_lt_i32_e64 s[0:1], v54, v13
	v_accvgpr_read_b32 v24, a8
	s_nop 0
	v_cndmask_b32_e64 v12, 0, v12, s[0:1]
	v_cmp_lt_i32_e64 s[0:1], v37, v24
	s_nop 1
	v_cndmask_b32_e64 v22, 0, v23, s[0:1]
	v_perm_b32 v23, v12, v22, s25
	v_lshrrev_b32_e32 v12, 16, v6
	v_cmp_lt_i32_e64 s[0:1], v53, v13
	s_nop 1
	v_cndmask_b32_e64 v12, 0, v12, s[0:1]
	v_cmp_lt_i32_e64 s[0:1], v52, v24
	s_nop 1
	v_cndmask_b32_e64 v6, 0, v6, s[0:1]
	v_perm_b32 v6, v12, v6, s25
	v_lshrrev_b32_e32 v12, 16, v17
	v_cmp_lt_i32_e64 s[0:1], v51, v13
	;; [unrolled: 8-line block ×3, first 2 shown]
	s_nop 1
	v_cndmask_b32_e64 v12, 0, v12, s[0:1]
	v_cmp_lt_i32_e64 s[0:1], v48, v24
	s_nop 1
	v_cndmask_b32_e64 v16, 0, v18, s[0:1]
	v_perm_b32 v16, v12, v16, s25
.LBB276_594:                            ;   in Loop: Header=BB276_424 Depth=1
	s_or_b64 exec, exec, s[6:7]
	;;#ASMSTART
	v_pk_mul_f16 v12, v55, v23;

	;;#ASMEND
	;;#ASMSTART
	v_pk_mul_f16 v6, v40, v6;

	;;#ASMEND
	;; [unrolled: 4-line block ×4, first 2 shown]
	s_mov_b64 s[0:1], 0
	;;#ASMSTART
	v_pk_add_f16 v6, v12, v6;

	;;#ASMEND
                                        ; implicit-def: $sgpr18
	s_nop 0
	;;#ASMSTART
	v_pk_add_f16 v6, v6, v17;

	;;#ASMEND
	s_nop 0
	;;#ASMSTART
	v_pk_add_f16 v6, v6, v16;

	;;#ASMEND
	s_nop 0
	v_lshrrev_b32_e32 v12, 16, v6
	v_and_b32_e32 v6, 0xffff, v6
	;;#ASMSTART
	v_cvt_f32_f16 v28, v6;
	;;#ASMEND
	;;#ASMSTART
	v_cvt_f32_f16 v29, v12;
	;;#ASMEND
	flat_load_dwordx2 v[16:17], v[10:11] offset:2560
	v_accvgpr_read_b32 v11, a5
	v_accvgpr_read_b32 v10, a4
	flat_load_dword v10, v[10:11]
	s_waitcnt vmcnt(0) lgkmcnt(0)
	v_cmp_gt_i16_sdwa s[6:7], v16, s17 src0_sel:BYTE_0 src1_sel:DWORD
	s_and_saveexec_b64 s[8:9], s[6:7]
	s_xor_b64 s[6:7], exec, s[8:9]
	s_cbranch_execnz .LBB276_788
; %bb.595:                              ;   in Loop: Header=BB276_424 Depth=1
	s_or_saveexec_b64 s[6:7], s[6:7]
	v_mov_b32_e32 v24, s18
	s_xor_b64 exec, exec, s[6:7]
	s_cbranch_execnz .LBB276_791
.LBB276_596:                            ;   in Loop: Header=BB276_424 Depth=1
	s_or_b64 exec, exec, s[6:7]
	s_and_saveexec_b64 s[6:7], s[0:1]
	s_cbranch_execz .LBB276_598
.LBB276_597:                            ;   in Loop: Header=BB276_424 Depth=1
	v_and_b32_e32 v6, 7, v16
	v_ffbh_u32_e32 v6, v6
	v_bfe_u32 v11, v16, 3, 4
	v_min_u32_e32 v6, 32, v6
	v_subrev_u32_e32 v12, 28, v6
	v_sub_u32_e32 v6, 29, v6
	v_cmp_eq_u32_e64 s[0:1], 0, v11
	s_nop 1
	v_cndmask_b32_e64 v6, v11, v6, s[0:1]
	v_cndmask_b32_e64 v11, 0, v12, s[0:1]
	v_lshlrev_b64 v[22:23], v11, v[16:17]
	v_lshlrev_b32_e32 v12, 8, v16
	v_lshl_add_u32 v6, v6, 10, v39
	v_lshlrev_b32_e32 v11, 7, v22
	v_and_or_b32 v6, v12, s21, v6
	v_and_or_b32 v6, v11, s22, v6
	v_cvt_f32_f16_e32 v24, v6
.LBB276_598:                            ;   in Loop: Header=BB276_424 Depth=1
	s_or_b64 exec, exec, s[6:7]
	v_lshrrev_b16_e32 v6, 8, v16
	v_cmp_lt_i16_e64 s[0:1], s17, v6
	s_mov_b64 s[6:7], 0
                                        ; implicit-def: $sgpr26
	s_and_saveexec_b64 s[8:9], s[0:1]
	s_xor_b64 s[8:9], exec, s[8:9]
	s_cbranch_execnz .LBB276_792
; %bb.599:                              ;   in Loop: Header=BB276_424 Depth=1
	s_or_saveexec_b64 s[8:9], s[8:9]
	v_mov_b32_e32 v26, s26
	s_xor_b64 exec, exec, s[8:9]
	s_cbranch_execnz .LBB276_795
.LBB276_600:                            ;   in Loop: Header=BB276_424 Depth=1
	s_or_b64 exec, exec, s[8:9]
	s_and_saveexec_b64 s[8:9], s[6:7]
	s_cbranch_execz .LBB276_602
.LBB276_601:                            ;   in Loop: Header=BB276_424 Depth=1
	v_and_b32_e32 v11, 7, v6
	v_ffbh_u32_e32 v18, v11
	v_bfe_u32 v12, v6, 3, 4
	v_min_u32_e32 v18, 32, v18
	v_subrev_u32_e32 v22, 28, v18
	v_sub_u32_e32 v18, 29, v18
	v_cmp_eq_u32_e64 s[0:1], 0, v12
	v_lshlrev_b64 v[22:23], v22, v[6:7]
	v_and_b32_e32 v22, 7, v22
	v_cndmask_b32_e64 v12, v12, v18, s[0:1]
	v_lshlrev_b32_e32 v6, 8, v6
	v_lshl_add_u32 v12, v12, 10, v39
	v_cndmask_b32_e64 v11, v11, v22, s[0:1]
	v_and_or_b32 v6, v6, s21, v12
	v_lshl_or_b32 v6, v11, 7, v6
	v_cvt_f32_f16_e32 v26, v6
.LBB276_602:                            ;   in Loop: Header=BB276_424 Depth=1
	s_or_b64 exec, exec, s[8:9]
	v_lshrrev_b32_e32 v6, 16, v16
	v_cmp_gt_i16_sdwa s[6:7], v6, s17 src0_sel:BYTE_0 src1_sel:DWORD
	s_mov_b64 s[0:1], 0
                                        ; implicit-def: $sgpr18
	s_and_saveexec_b64 s[8:9], s[6:7]
	s_xor_b64 s[6:7], exec, s[8:9]
	s_cbranch_execnz .LBB276_796
; %bb.603:                              ;   in Loop: Header=BB276_424 Depth=1
	s_or_saveexec_b64 s[6:7], s[6:7]
	v_mov_b32_e32 v25, s18
	s_xor_b64 exec, exec, s[6:7]
	s_cbranch_execnz .LBB276_799
.LBB276_604:                            ;   in Loop: Header=BB276_424 Depth=1
	s_or_b64 exec, exec, s[6:7]
	s_and_saveexec_b64 s[6:7], s[0:1]
	s_cbranch_execz .LBB276_606
.LBB276_605:                            ;   in Loop: Header=BB276_424 Depth=1
	v_bfe_u32 v11, v16, 16, 3
	v_ffbh_u32_e32 v18, v11
	v_bfe_u32 v12, v16, 19, 4
	v_min_u32_e32 v18, 32, v18
	v_subrev_u32_e32 v22, 28, v18
	v_sub_u32_e32 v18, 29, v18
	v_cmp_eq_u32_e64 s[0:1], 0, v12
	v_lshlrev_b64 v[22:23], v22, v[6:7]
	v_and_b32_e32 v22, 7, v22
	v_cndmask_b32_e64 v12, v12, v18, s[0:1]
	v_lshlrev_b32_e32 v6, 8, v6
	v_lshl_add_u32 v12, v12, 10, v39
	v_cndmask_b32_e64 v11, v11, v22, s[0:1]
	v_and_or_b32 v6, v6, s21, v12
	v_lshl_or_b32 v6, v11, 7, v6
	v_cvt_f32_f16_e32 v25, v6
.LBB276_606:                            ;   in Loop: Header=BB276_424 Depth=1
	s_or_b64 exec, exec, s[6:7]
	v_lshrrev_b32_e32 v6, 24, v16
	v_cmp_lt_i16_e64 s[0:1], s17, v6
	s_mov_b64 s[6:7], 0
                                        ; implicit-def: $sgpr26
	s_and_saveexec_b64 s[8:9], s[0:1]
	s_xor_b64 s[8:9], exec, s[8:9]
	s_cbranch_execnz .LBB276_800
; %bb.607:                              ;   in Loop: Header=BB276_424 Depth=1
	s_or_saveexec_b64 s[8:9], s[8:9]
	v_mov_b32_e32 v27, s26
	s_xor_b64 exec, exec, s[8:9]
	s_cbranch_execnz .LBB276_803
.LBB276_608:                            ;   in Loop: Header=BB276_424 Depth=1
	s_or_b64 exec, exec, s[8:9]
	s_and_saveexec_b64 s[8:9], s[6:7]
	s_cbranch_execz .LBB276_610
.LBB276_609:                            ;   in Loop: Header=BB276_424 Depth=1
	v_bfe_u32 v11, v16, 24, 3
	v_bfe_u32 v12, v16, 27, 4
	v_ffbh_u32_e32 v16, v11
	v_min_u32_e32 v16, 32, v16
	v_subrev_u32_e32 v18, 28, v16
	v_sub_u32_e32 v16, 29, v16
	v_cmp_eq_u32_e64 s[0:1], 0, v12
	v_lshlrev_b64 v[22:23], v18, v[6:7]
	v_and_b32_e32 v18, 7, v22
	v_cndmask_b32_e64 v12, v12, v16, s[0:1]
	v_lshlrev_b32_e32 v6, 8, v6
	v_lshl_add_u32 v12, v12, 10, v39
	v_cndmask_b32_e64 v11, v11, v18, s[0:1]
	v_and_or_b32 v6, v6, s21, v12
	v_lshl_or_b32 v6, v11, 7, v6
	v_cvt_f32_f16_e32 v27, v6
.LBB276_610:                            ;   in Loop: Header=BB276_424 Depth=1
	s_or_b64 exec, exec, s[8:9]
	v_cmp_gt_i16_sdwa s[6:7], v17, s17 src0_sel:BYTE_0 src1_sel:DWORD
	s_mov_b64 s[0:1], 0
                                        ; implicit-def: $sgpr18
	s_and_saveexec_b64 s[8:9], s[6:7]
	s_xor_b64 s[6:7], exec, s[8:9]
	s_cbranch_execnz .LBB276_804
; %bb.611:                              ;   in Loop: Header=BB276_424 Depth=1
	s_or_saveexec_b64 s[6:7], s[6:7]
	v_mov_b32_e32 v11, s18
	s_xor_b64 exec, exec, s[6:7]
	s_cbranch_execnz .LBB276_807
.LBB276_612:                            ;   in Loop: Header=BB276_424 Depth=1
	s_or_b64 exec, exec, s[6:7]
	v_mov_b32_e32 v6, v17
	s_and_saveexec_b64 s[6:7], s[0:1]
	s_cbranch_execz .LBB276_614
.LBB276_613:                            ;   in Loop: Header=BB276_424 Depth=1
	v_and_b32_e32 v11, 7, v17
	v_ffbh_u32_e32 v11, v11
	v_bfe_u32 v12, v17, 3, 4
	v_min_u32_e32 v11, 32, v11
	v_subrev_u32_e32 v16, 28, v11
	v_sub_u32_e32 v11, 29, v11
	v_cmp_eq_u32_e64 s[0:1], 0, v12
	s_nop 1
	v_cndmask_b32_e64 v11, v12, v11, s[0:1]
	v_cndmask_b32_e64 v12, 0, v16, s[0:1]
	v_lshlrev_b64 v[22:23], v12, v[6:7]
	v_lshlrev_b32_e32 v16, 8, v17
	v_lshl_add_u32 v11, v11, 10, v39
	v_lshlrev_b32_e32 v12, 7, v22
	v_and_or_b32 v11, v16, s21, v11
	v_and_or_b32 v11, v12, s22, v11
	v_cvt_f32_f16_e32 v11, v11
.LBB276_614:                            ;   in Loop: Header=BB276_424 Depth=1
	s_or_b64 exec, exec, s[6:7]
	v_lshrrev_b16_e32 v6, 8, v6
	v_cmp_lt_i16_e64 s[0:1], s17, v6
	s_mov_b64 s[6:7], 0
                                        ; implicit-def: $sgpr26
	s_and_saveexec_b64 s[8:9], s[0:1]
	s_xor_b64 s[8:9], exec, s[8:9]
	s_cbranch_execnz .LBB276_808
; %bb.615:                              ;   in Loop: Header=BB276_424 Depth=1
	s_or_saveexec_b64 s[8:9], s[8:9]
	v_mov_b32_e32 v16, s26
	s_xor_b64 exec, exec, s[8:9]
	s_cbranch_execnz .LBB276_811
.LBB276_616:                            ;   in Loop: Header=BB276_424 Depth=1
	s_or_b64 exec, exec, s[8:9]
	s_and_saveexec_b64 s[8:9], s[6:7]
	s_cbranch_execz .LBB276_618
.LBB276_617:                            ;   in Loop: Header=BB276_424 Depth=1
	v_and_b32_e32 v12, 7, v6
	v_ffbh_u32_e32 v18, v12
	v_bfe_u32 v16, v6, 3, 4
	v_min_u32_e32 v18, 32, v18
	v_subrev_u32_e32 v22, 28, v18
	v_sub_u32_e32 v18, 29, v18
	v_cmp_eq_u32_e64 s[0:1], 0, v16
	v_lshlrev_b64 v[22:23], v22, v[6:7]
	v_and_b32_e32 v22, 7, v22
	v_cndmask_b32_e64 v16, v16, v18, s[0:1]
	v_lshlrev_b32_e32 v6, 8, v6
	v_lshl_add_u32 v16, v16, 10, v39
	v_cndmask_b32_e64 v12, v12, v22, s[0:1]
	v_and_or_b32 v6, v6, s21, v16
	v_lshl_or_b32 v6, v12, 7, v6
	v_cvt_f32_f16_e32 v16, v6
.LBB276_618:                            ;   in Loop: Header=BB276_424 Depth=1
	s_or_b64 exec, exec, s[8:9]
	v_lshrrev_b32_e32 v6, 16, v17
	v_cmp_gt_i16_sdwa s[6:7], v6, s17 src0_sel:BYTE_0 src1_sel:DWORD
	s_mov_b64 s[0:1], 0
                                        ; implicit-def: $sgpr18
	s_and_saveexec_b64 s[8:9], s[6:7]
	s_xor_b64 s[6:7], exec, s[8:9]
	s_cbranch_execnz .LBB276_812
; %bb.619:                              ;   in Loop: Header=BB276_424 Depth=1
	s_or_saveexec_b64 s[6:7], s[6:7]
	v_mov_b32_e32 v18, s18
	s_xor_b64 exec, exec, s[6:7]
	s_cbranch_execnz .LBB276_815
.LBB276_620:                            ;   in Loop: Header=BB276_424 Depth=1
	s_or_b64 exec, exec, s[6:7]
	s_and_saveexec_b64 s[6:7], s[0:1]
	s_cbranch_execz .LBB276_622
.LBB276_621:                            ;   in Loop: Header=BB276_424 Depth=1
	v_bfe_u32 v12, v17, 16, 3
	v_ffbh_u32_e32 v22, v12
	v_min_u32_e32 v32, 32, v22
	v_subrev_u32_e32 v22, 28, v32
	v_bfe_u32 v18, v17, 19, 4
	v_lshlrev_b64 v[22:23], v22, v[6:7]
	v_sub_u32_e32 v23, 29, v32
	v_cmp_eq_u32_e64 s[0:1], 0, v18
	v_and_b32_e32 v22, 7, v22
	v_lshlrev_b32_e32 v6, 8, v6
	v_cndmask_b32_e64 v18, v18, v23, s[0:1]
	v_lshl_add_u32 v18, v18, 10, v39
	v_cndmask_b32_e64 v12, v12, v22, s[0:1]
	v_and_or_b32 v6, v6, s21, v18
	v_lshl_or_b32 v6, v12, 7, v6
	v_cvt_f32_f16_e32 v18, v6
.LBB276_622:                            ;   in Loop: Header=BB276_424 Depth=1
	s_or_b64 exec, exec, s[6:7]
	v_lshrrev_b32_e32 v6, 24, v17
	v_cmp_lt_i16_e64 s[0:1], s17, v6
	s_mov_b64 s[6:7], 0
                                        ; implicit-def: $sgpr26
	s_and_saveexec_b64 s[8:9], s[0:1]
	s_xor_b64 s[8:9], exec, s[8:9]
	s_cbranch_execnz .LBB276_816
; %bb.623:                              ;   in Loop: Header=BB276_424 Depth=1
	s_or_saveexec_b64 s[8:9], s[8:9]
	v_mov_b32_e32 v22, s26
	s_xor_b64 exec, exec, s[8:9]
	s_cbranch_execnz .LBB276_819
.LBB276_624:                            ;   in Loop: Header=BB276_424 Depth=1
	s_or_b64 exec, exec, s[8:9]
	s_and_saveexec_b64 s[8:9], s[6:7]
	s_cbranch_execz .LBB276_626
.LBB276_625:                            ;   in Loop: Header=BB276_424 Depth=1
	v_bfe_u32 v12, v17, 24, 3
	v_ffbh_u32_e32 v22, v12
	v_min_u32_e32 v32, 32, v22
	v_subrev_u32_e32 v22, 28, v32
	v_bfe_u32 v17, v17, 27, 4
	v_lshlrev_b64 v[22:23], v22, v[6:7]
	v_sub_u32_e32 v23, 29, v32
	v_cmp_eq_u32_e64 s[0:1], 0, v17
	v_and_b32_e32 v22, 7, v22
	v_lshlrev_b32_e32 v6, 8, v6
	v_cndmask_b32_e64 v17, v17, v23, s[0:1]
	v_lshl_add_u32 v17, v17, 10, v39
	v_cndmask_b32_e64 v12, v12, v22, s[0:1]
	v_and_or_b32 v6, v6, s21, v17
	v_lshl_or_b32 v6, v12, 7, v6
	v_cvt_f32_f16_e32 v22, v6
.LBB276_626:                            ;   in Loop: Header=BB276_424 Depth=1
	s_or_b64 exec, exec, s[8:9]
	v_pk_mul_f32 v[26:27], v[10:11], v[26:27] op_sel_hi:[0,1]
	v_pk_mul_f32 v[24:25], v[10:11], v[24:25] op_sel_hi:[0,1]
	v_cvt_f16_f32_e32 v6, v27
	v_cvt_f16_f32_e32 v12, v26
	;; [unrolled: 1-line block ×4, first 2 shown]
	v_fma_mixlo_f16 v11, v10, v11, 0
	v_pack_b32_f16 v12, v12, v6
	v_pack_b32_f16 v17, v23, v17
	v_perm_b32 v6, v17, v12, s23
	v_perm_b32 v17, v17, v12, s24
	v_fma_mixlo_f16 v12, v10, v16, 0
	v_fma_mixlo_f16 v16, v10, v18, 0
	;; [unrolled: 1-line block ×3, first 2 shown]
	v_lshlrev_b32_e32 v12, 16, v12
	v_lshlrev_b32_e32 v10, 16, v10
	v_or_b32_sdwa v11, v12, v11 dst_sel:DWORD dst_unused:UNUSED_PAD src0_sel:DWORD src1_sel:WORD_0
	v_or_b32_sdwa v10, v10, v16 dst_sel:DWORD dst_unused:UNUSED_PAD src0_sel:DWORD src1_sel:WORD_0
	s_and_saveexec_b64 s[0:1], vcc
	s_cbranch_execz .LBB276_423
; %bb.627:                              ;   in Loop: Header=BB276_424 Depth=1
	v_lshrrev_b32_e32 v12, 16, v17
	v_cmp_lt_i32_e32 vcc, v54, v13
	v_accvgpr_read_b32 v18, a8
	v_lshrrev_b32_e32 v10, 16, v10
	v_cndmask_b32_e32 v12, 0, v12, vcc
	v_cmp_lt_i32_e32 vcc, v37, v18
	s_nop 1
	v_cndmask_b32_e32 v17, 0, v17, vcc
	v_perm_b32 v17, v12, v17, s25
	v_lshrrev_b32_e32 v12, 16, v6
	v_cmp_lt_i32_e32 vcc, v53, v13
	s_nop 1
	v_cndmask_b32_e32 v12, 0, v12, vcc
	v_cmp_lt_i32_e32 vcc, v52, v18
	s_nop 1
	v_cndmask_b32_e32 v6, 0, v6, vcc
	v_perm_b32 v6, v12, v6, s25
	v_lshrrev_b32_e32 v12, 16, v11
	v_cmp_lt_i32_e32 vcc, v51, v13
	s_nop 1
	v_cndmask_b32_e32 v12, 0, v12, vcc
	v_cmp_lt_i32_e32 vcc, v50, v18
	s_nop 1
	v_cndmask_b32_e32 v11, 0, v11, vcc
	v_cmp_lt_i32_e32 vcc, v49, v13
	v_perm_b32 v11, v12, v11, s25
	s_nop 0
	v_cndmask_b32_e32 v10, 0, v10, vcc
	v_cmp_lt_i32_e32 vcc, v48, v18
	s_nop 1
	v_cndmask_b32_e32 v12, 0, v16, vcc
	v_perm_b32 v10, v10, v12, s25
	s_branch .LBB276_423
.LBB276_628:                            ;   in Loop: Header=BB276_424 Depth=1
	v_cmp_eq_u16_sdwa s[26:27], v24, s20 src0_sel:BYTE_0 src1_sel:DWORD
	s_mov_b64 s[0:1], -1
                                        ; implicit-def: $sgpr18
	s_and_saveexec_b64 s[8:9], s[26:27]
; %bb.629:                              ;   in Loop: Header=BB276_424 Depth=1
	s_mov_b32 s18, 0x7fc02000
	s_xor_b64 s[0:1], exec, -1
; %bb.630:                              ;   in Loop: Header=BB276_424 Depth=1
	s_or_b64 exec, exec, s[8:9]
	s_and_b64 s[0:1], s[0:1], exec
	s_or_saveexec_b64 s[6:7], s[6:7]
	v_mov_b32_e32 v26, s18
	s_xor_b64 exec, exec, s[6:7]
	s_cbranch_execz .LBB276_426
.LBB276_631:                            ;   in Loop: Header=BB276_424 Depth=1
	v_cmp_ne_u16_sdwa s[8:9], v24, v7 src0_sel:BYTE_0 src1_sel:DWORD
	s_andn2_b64 s[0:1], s[0:1], exec
	s_and_b64 s[8:9], s[8:9], exec
	v_mov_b32_e32 v26, 0
	s_or_b64 s[0:1], s[0:1], s[8:9]
	s_or_b64 exec, exec, s[6:7]
	s_and_saveexec_b64 s[6:7], s[0:1]
	s_cbranch_execnz .LBB276_427
	s_branch .LBB276_428
.LBB276_632:                            ;   in Loop: Header=BB276_424 Depth=1
	v_cmp_eq_u16_e32 vcc, s20, v6
	s_mov_b64 s[0:1], -1
                                        ; implicit-def: $sgpr18
	s_and_saveexec_b64 s[8:9], vcc
; %bb.633:                              ;   in Loop: Header=BB276_424 Depth=1
	s_mov_b32 s18, 0x7fc02000
	s_xor_b64 s[0:1], exec, -1
; %bb.634:                              ;   in Loop: Header=BB276_424 Depth=1
	s_or_b64 exec, exec, s[8:9]
	s_and_b64 s[0:1], s[0:1], exec
	s_or_saveexec_b64 s[6:7], s[6:7]
	v_mov_b32_e32 v28, s18
	s_xor_b64 exec, exec, s[6:7]
	s_cbranch_execz .LBB276_430
.LBB276_635:                            ;   in Loop: Header=BB276_424 Depth=1
	v_cmp_ne_u16_e32 vcc, 0, v6
	s_andn2_b64 s[0:1], s[0:1], exec
	s_and_b64 s[8:9], vcc, exec
	v_mov_b32_e32 v28, 0
	s_or_b64 s[0:1], s[0:1], s[8:9]
	s_or_b64 exec, exec, s[6:7]
	s_and_saveexec_b64 s[6:7], s[0:1]
	s_cbranch_execnz .LBB276_431
	s_branch .LBB276_432
.LBB276_636:                            ;   in Loop: Header=BB276_424 Depth=1
	v_cmp_eq_u16_sdwa s[26:27], v6, s20 src0_sel:BYTE_0 src1_sel:DWORD
	s_mov_b64 s[0:1], -1
                                        ; implicit-def: $sgpr18
	s_and_saveexec_b64 s[8:9], s[26:27]
; %bb.637:                              ;   in Loop: Header=BB276_424 Depth=1
	s_mov_b32 s18, 0x7fc02000
	s_xor_b64 s[0:1], exec, -1
; %bb.638:                              ;   in Loop: Header=BB276_424 Depth=1
	s_or_b64 exec, exec, s[8:9]
	s_and_b64 s[0:1], s[0:1], exec
	s_or_saveexec_b64 s[6:7], s[6:7]
	v_mov_b32_e32 v27, s18
	s_xor_b64 exec, exec, s[6:7]
	s_cbranch_execz .LBB276_434
.LBB276_639:                            ;   in Loop: Header=BB276_424 Depth=1
	v_cmp_ne_u16_sdwa s[8:9], v6, v7 src0_sel:BYTE_0 src1_sel:DWORD
	s_andn2_b64 s[0:1], s[0:1], exec
	s_and_b64 s[8:9], s[8:9], exec
	v_mov_b32_e32 v27, 0
	s_or_b64 s[0:1], s[0:1], s[8:9]
	s_or_b64 exec, exec, s[6:7]
	s_and_saveexec_b64 s[6:7], s[0:1]
	s_cbranch_execnz .LBB276_435
	s_branch .LBB276_436
.LBB276_640:                            ;   in Loop: Header=BB276_424 Depth=1
	v_cmp_eq_u16_e32 vcc, s20, v6
	s_mov_b64 s[0:1], -1
                                        ; implicit-def: $sgpr18
	s_and_saveexec_b64 s[8:9], vcc
; %bb.641:                              ;   in Loop: Header=BB276_424 Depth=1
	s_mov_b32 s18, 0x7fc02000
	s_xor_b64 s[0:1], exec, -1
; %bb.642:                              ;   in Loop: Header=BB276_424 Depth=1
	s_or_b64 exec, exec, s[8:9]
	s_and_b64 s[0:1], s[0:1], exec
	s_or_saveexec_b64 s[6:7], s[6:7]
	v_mov_b32_e32 v29, s18
	s_xor_b64 exec, exec, s[6:7]
	s_cbranch_execz .LBB276_438
.LBB276_643:                            ;   in Loop: Header=BB276_424 Depth=1
	v_cmp_ne_u16_e32 vcc, 0, v6
	s_andn2_b64 s[0:1], s[0:1], exec
	s_and_b64 s[8:9], vcc, exec
	v_mov_b32_e32 v29, 0
	s_or_b64 s[0:1], s[0:1], s[8:9]
	s_or_b64 exec, exec, s[6:7]
	s_and_saveexec_b64 s[6:7], s[0:1]
	s_cbranch_execnz .LBB276_439
	s_branch .LBB276_440
.LBB276_644:                            ;   in Loop: Header=BB276_424 Depth=1
	v_cmp_eq_u16_sdwa s[26:27], v25, s20 src0_sel:BYTE_0 src1_sel:DWORD
	s_mov_b64 s[0:1], -1
                                        ; implicit-def: $sgpr18
	s_and_saveexec_b64 s[8:9], s[26:27]
; %bb.645:                              ;   in Loop: Header=BB276_424 Depth=1
	s_mov_b32 s18, 0x7fc02000
	s_xor_b64 s[0:1], exec, -1
; %bb.646:                              ;   in Loop: Header=BB276_424 Depth=1
	s_or_b64 exec, exec, s[8:9]
	s_and_b64 s[0:1], s[0:1], exec
	s_or_saveexec_b64 s[6:7], s[6:7]
	v_mov_b32_e32 v18, s18
	s_xor_b64 exec, exec, s[6:7]
	s_cbranch_execz .LBB276_442
.LBB276_647:                            ;   in Loop: Header=BB276_424 Depth=1
	v_cmp_ne_u16_sdwa s[8:9], v25, v7 src0_sel:BYTE_0 src1_sel:DWORD
	s_andn2_b64 s[0:1], s[0:1], exec
	s_and_b64 s[8:9], s[8:9], exec
	v_mov_b32_e32 v18, 0
	s_or_b64 s[0:1], s[0:1], s[8:9]
	s_or_b64 exec, exec, s[6:7]
	v_mov_b32_e32 v6, v25
	s_and_saveexec_b64 s[6:7], s[0:1]
	s_cbranch_execnz .LBB276_443
	s_branch .LBB276_444
.LBB276_648:                            ;   in Loop: Header=BB276_424 Depth=1
	v_cmp_eq_u16_e32 vcc, s20, v6
	s_mov_b64 s[0:1], -1
                                        ; implicit-def: $sgpr18
	s_and_saveexec_b64 s[8:9], vcc
; %bb.649:                              ;   in Loop: Header=BB276_424 Depth=1
	s_mov_b32 s18, 0x7fc02000
	s_xor_b64 s[0:1], exec, -1
; %bb.650:                              ;   in Loop: Header=BB276_424 Depth=1
	s_or_b64 exec, exec, s[8:9]
	s_and_b64 s[0:1], s[0:1], exec
	s_or_saveexec_b64 s[6:7], s[6:7]
	v_mov_b32_e32 v24, s18
	s_xor_b64 exec, exec, s[6:7]
	s_cbranch_execz .LBB276_446
.LBB276_651:                            ;   in Loop: Header=BB276_424 Depth=1
	v_cmp_ne_u16_e32 vcc, 0, v6
	s_andn2_b64 s[0:1], s[0:1], exec
	s_and_b64 s[8:9], vcc, exec
	v_mov_b32_e32 v24, 0
	s_or_b64 s[0:1], s[0:1], s[8:9]
	s_or_b64 exec, exec, s[6:7]
	s_and_saveexec_b64 s[6:7], s[0:1]
	s_cbranch_execnz .LBB276_447
	s_branch .LBB276_448
.LBB276_652:                            ;   in Loop: Header=BB276_424 Depth=1
	v_cmp_eq_u16_sdwa s[26:27], v6, s20 src0_sel:BYTE_0 src1_sel:DWORD
	s_mov_b64 s[0:1], -1
                                        ; implicit-def: $sgpr18
	s_and_saveexec_b64 s[8:9], s[26:27]
; %bb.653:                              ;   in Loop: Header=BB276_424 Depth=1
	s_mov_b32 s18, 0x7fc02000
	s_xor_b64 s[0:1], exec, -1
; %bb.654:                              ;   in Loop: Header=BB276_424 Depth=1
	s_or_b64 exec, exec, s[8:9]
	s_and_b64 s[0:1], s[0:1], exec
	s_or_saveexec_b64 s[6:7], s[6:7]
	v_mov_b32_e32 v22, s18
	s_xor_b64 exec, exec, s[6:7]
	s_cbranch_execz .LBB276_450
.LBB276_655:                            ;   in Loop: Header=BB276_424 Depth=1
	v_cmp_ne_u16_sdwa s[8:9], v6, v7 src0_sel:BYTE_0 src1_sel:DWORD
	s_andn2_b64 s[0:1], s[0:1], exec
	s_and_b64 s[8:9], s[8:9], exec
	v_mov_b32_e32 v22, 0
	s_or_b64 s[0:1], s[0:1], s[8:9]
	s_or_b64 exec, exec, s[6:7]
	s_and_saveexec_b64 s[6:7], s[0:1]
	s_cbranch_execnz .LBB276_451
	s_branch .LBB276_452
.LBB276_656:                            ;   in Loop: Header=BB276_424 Depth=1
	v_cmp_eq_u16_e32 vcc, s20, v6
	s_mov_b64 s[0:1], -1
                                        ; implicit-def: $sgpr18
	s_and_saveexec_b64 s[8:9], vcc
; %bb.657:                              ;   in Loop: Header=BB276_424 Depth=1
	s_mov_b32 s18, 0x7fc02000
	s_xor_b64 s[0:1], exec, -1
; %bb.658:                              ;   in Loop: Header=BB276_424 Depth=1
	s_or_b64 exec, exec, s[8:9]
	s_and_b64 s[0:1], s[0:1], exec
	s_or_saveexec_b64 s[6:7], s[6:7]
	v_mov_b32_e32 v48, s18
	s_xor_b64 exec, exec, s[6:7]
	s_cbranch_execz .LBB276_454
.LBB276_659:                            ;   in Loop: Header=BB276_424 Depth=1
	v_cmp_ne_u16_e32 vcc, 0, v6
	s_andn2_b64 s[0:1], s[0:1], exec
	s_and_b64 s[8:9], vcc, exec
	v_mov_b32_e32 v48, 0
	s_or_b64 s[0:1], s[0:1], s[8:9]
	s_or_b64 exec, exec, s[6:7]
	s_and_saveexec_b64 s[6:7], s[0:1]
	s_cbranch_execnz .LBB276_455
	s_branch .LBB276_456
.LBB276_660:                            ;   in Loop: Header=BB276_424 Depth=1
	v_cmp_eq_u16_sdwa s[26:27], v24, s20 src0_sel:BYTE_0 src1_sel:DWORD
	s_mov_b64 s[0:1], -1
                                        ; implicit-def: $sgpr18
	s_and_saveexec_b64 s[8:9], s[26:27]
; %bb.661:                              ;   in Loop: Header=BB276_424 Depth=1
	s_mov_b32 s18, 0x7fc02000
	s_xor_b64 s[0:1], exec, -1
; %bb.662:                              ;   in Loop: Header=BB276_424 Depth=1
	s_or_b64 exec, exec, s[8:9]
	s_and_b64 s[0:1], s[0:1], exec
	s_or_saveexec_b64 s[6:7], s[6:7]
	v_mov_b32_e32 v26, s18
	s_xor_b64 exec, exec, s[6:7]
	s_cbranch_execz .LBB276_460
.LBB276_663:                            ;   in Loop: Header=BB276_424 Depth=1
	v_cmp_ne_u16_sdwa s[8:9], v24, v7 src0_sel:BYTE_0 src1_sel:DWORD
	s_andn2_b64 s[0:1], s[0:1], exec
	s_and_b64 s[8:9], s[8:9], exec
	v_mov_b32_e32 v26, 0
	s_or_b64 s[0:1], s[0:1], s[8:9]
	s_or_b64 exec, exec, s[6:7]
	s_and_saveexec_b64 s[6:7], s[0:1]
	s_cbranch_execnz .LBB276_461
	s_branch .LBB276_462
.LBB276_664:                            ;   in Loop: Header=BB276_424 Depth=1
	v_cmp_eq_u16_e64 s[0:1], s20, v6
	s_mov_b64 s[6:7], -1
                                        ; implicit-def: $sgpr26
	s_and_saveexec_b64 s[18:19], s[0:1]
; %bb.665:                              ;   in Loop: Header=BB276_424 Depth=1
	s_mov_b32 s26, 0x7fc02000
	s_xor_b64 s[6:7], exec, -1
; %bb.666:                              ;   in Loop: Header=BB276_424 Depth=1
	s_or_b64 exec, exec, s[18:19]
	s_and_b64 s[6:7], s[6:7], exec
	s_or_saveexec_b64 s[8:9], s[8:9]
	v_mov_b32_e32 v28, s26
	s_xor_b64 exec, exec, s[8:9]
	s_cbranch_execz .LBB276_464
.LBB276_667:                            ;   in Loop: Header=BB276_424 Depth=1
	v_cmp_ne_u16_e64 s[0:1], 0, v6
	s_andn2_b64 s[6:7], s[6:7], exec
	s_and_b64 s[0:1], s[0:1], exec
	v_mov_b32_e32 v28, 0
	s_or_b64 s[6:7], s[6:7], s[0:1]
	s_or_b64 exec, exec, s[8:9]
	s_and_saveexec_b64 s[8:9], s[6:7]
	s_cbranch_execnz .LBB276_465
	s_branch .LBB276_466
.LBB276_668:                            ;   in Loop: Header=BB276_424 Depth=1
	v_cmp_eq_u16_sdwa s[26:27], v6, s20 src0_sel:BYTE_0 src1_sel:DWORD
	s_mov_b64 s[0:1], -1
                                        ; implicit-def: $sgpr18
	s_and_saveexec_b64 s[8:9], s[26:27]
; %bb.669:                              ;   in Loop: Header=BB276_424 Depth=1
	s_mov_b32 s18, 0x7fc02000
	s_xor_b64 s[0:1], exec, -1
; %bb.670:                              ;   in Loop: Header=BB276_424 Depth=1
	s_or_b64 exec, exec, s[8:9]
	s_and_b64 s[0:1], s[0:1], exec
	s_or_saveexec_b64 s[6:7], s[6:7]
	v_mov_b32_e32 v27, s18
	s_xor_b64 exec, exec, s[6:7]
	s_cbranch_execz .LBB276_468
.LBB276_671:                            ;   in Loop: Header=BB276_424 Depth=1
	v_cmp_ne_u16_sdwa s[8:9], v6, v7 src0_sel:BYTE_0 src1_sel:DWORD
	s_andn2_b64 s[0:1], s[0:1], exec
	s_and_b64 s[8:9], s[8:9], exec
	v_mov_b32_e32 v27, 0
	s_or_b64 s[0:1], s[0:1], s[8:9]
	s_or_b64 exec, exec, s[6:7]
	s_and_saveexec_b64 s[6:7], s[0:1]
	s_cbranch_execnz .LBB276_469
	s_branch .LBB276_470
.LBB276_672:                            ;   in Loop: Header=BB276_424 Depth=1
	v_cmp_eq_u16_e64 s[0:1], s20, v6
	s_mov_b64 s[6:7], -1
                                        ; implicit-def: $sgpr26
	s_and_saveexec_b64 s[18:19], s[0:1]
; %bb.673:                              ;   in Loop: Header=BB276_424 Depth=1
	s_mov_b32 s26, 0x7fc02000
	s_xor_b64 s[6:7], exec, -1
; %bb.674:                              ;   in Loop: Header=BB276_424 Depth=1
	s_or_b64 exec, exec, s[18:19]
	s_and_b64 s[6:7], s[6:7], exec
	s_or_saveexec_b64 s[8:9], s[8:9]
	v_mov_b32_e32 v29, s26
	s_xor_b64 exec, exec, s[8:9]
	s_cbranch_execz .LBB276_472
.LBB276_675:                            ;   in Loop: Header=BB276_424 Depth=1
	v_cmp_ne_u16_e64 s[0:1], 0, v6
	s_andn2_b64 s[6:7], s[6:7], exec
	s_and_b64 s[0:1], s[0:1], exec
	v_mov_b32_e32 v29, 0
	s_or_b64 s[6:7], s[6:7], s[0:1]
	s_or_b64 exec, exec, s[8:9]
	s_and_saveexec_b64 s[8:9], s[6:7]
	s_cbranch_execnz .LBB276_473
	s_branch .LBB276_474
.LBB276_676:                            ;   in Loop: Header=BB276_424 Depth=1
	v_cmp_eq_u16_sdwa s[26:27], v25, s20 src0_sel:BYTE_0 src1_sel:DWORD
	s_mov_b64 s[0:1], -1
                                        ; implicit-def: $sgpr18
	s_and_saveexec_b64 s[8:9], s[26:27]
; %bb.677:                              ;   in Loop: Header=BB276_424 Depth=1
	s_mov_b32 s18, 0x7fc02000
	s_xor_b64 s[0:1], exec, -1
; %bb.678:                              ;   in Loop: Header=BB276_424 Depth=1
	s_or_b64 exec, exec, s[8:9]
	s_and_b64 s[0:1], s[0:1], exec
	s_or_saveexec_b64 s[6:7], s[6:7]
	v_mov_b32_e32 v0, s18
	s_xor_b64 exec, exec, s[6:7]
	s_cbranch_execz .LBB276_476
.LBB276_679:                            ;   in Loop: Header=BB276_424 Depth=1
	v_cmp_ne_u16_sdwa s[8:9], v25, v7 src0_sel:BYTE_0 src1_sel:DWORD
	s_andn2_b64 s[0:1], s[0:1], exec
	s_and_b64 s[8:9], s[8:9], exec
	v_mov_b32_e32 v0, 0
	s_or_b64 s[0:1], s[0:1], s[8:9]
	s_or_b64 exec, exec, s[6:7]
	v_mov_b32_e32 v6, v25
	s_and_saveexec_b64 s[6:7], s[0:1]
	s_cbranch_execnz .LBB276_477
	s_branch .LBB276_478
.LBB276_680:                            ;   in Loop: Header=BB276_424 Depth=1
	v_cmp_eq_u16_e64 s[0:1], s20, v6
	s_mov_b64 s[6:7], -1
                                        ; implicit-def: $sgpr26
	s_and_saveexec_b64 s[18:19], s[0:1]
; %bb.681:                              ;   in Loop: Header=BB276_424 Depth=1
	s_mov_b32 s26, 0x7fc02000
	s_xor_b64 s[6:7], exec, -1
; %bb.682:                              ;   in Loop: Header=BB276_424 Depth=1
	s_or_b64 exec, exec, s[18:19]
	s_and_b64 s[6:7], s[6:7], exec
	s_or_saveexec_b64 s[8:9], s[8:9]
	v_mov_b32_e32 v1, s26
	s_xor_b64 exec, exec, s[8:9]
	s_cbranch_execz .LBB276_480
.LBB276_683:                            ;   in Loop: Header=BB276_424 Depth=1
	v_cmp_ne_u16_e64 s[0:1], 0, v6
	s_andn2_b64 s[6:7], s[6:7], exec
	s_and_b64 s[0:1], s[0:1], exec
	v_mov_b32_e32 v1, 0
	s_or_b64 s[6:7], s[6:7], s[0:1]
	s_or_b64 exec, exec, s[8:9]
	s_and_saveexec_b64 s[8:9], s[6:7]
	s_cbranch_execnz .LBB276_481
	s_branch .LBB276_482
.LBB276_684:                            ;   in Loop: Header=BB276_424 Depth=1
	v_cmp_eq_u16_sdwa s[26:27], v6, s20 src0_sel:BYTE_0 src1_sel:DWORD
	s_mov_b64 s[0:1], -1
                                        ; implicit-def: $sgpr18
	s_and_saveexec_b64 s[8:9], s[26:27]
; %bb.685:                              ;   in Loop: Header=BB276_424 Depth=1
	s_mov_b32 s18, 0x7fc02000
	s_xor_b64 s[0:1], exec, -1
; %bb.686:                              ;   in Loop: Header=BB276_424 Depth=1
	s_or_b64 exec, exec, s[8:9]
	s_and_b64 s[0:1], s[0:1], exec
	s_or_saveexec_b64 s[6:7], s[6:7]
	v_mov_b32_e32 v17, s18
	s_xor_b64 exec, exec, s[6:7]
	s_cbranch_execz .LBB276_484
.LBB276_687:                            ;   in Loop: Header=BB276_424 Depth=1
	v_cmp_ne_u16_sdwa s[8:9], v6, v7 src0_sel:BYTE_0 src1_sel:DWORD
	s_andn2_b64 s[0:1], s[0:1], exec
	s_and_b64 s[8:9], s[8:9], exec
	v_mov_b32_e32 v17, 0
	s_or_b64 s[0:1], s[0:1], s[8:9]
	s_or_b64 exec, exec, s[6:7]
	s_and_saveexec_b64 s[6:7], s[0:1]
	s_cbranch_execnz .LBB276_485
	s_branch .LBB276_486
.LBB276_688:                            ;   in Loop: Header=BB276_424 Depth=1
	v_cmp_eq_u16_e64 s[0:1], s20, v6
	s_mov_b64 s[6:7], -1
                                        ; implicit-def: $sgpr26
	s_and_saveexec_b64 s[18:19], s[0:1]
; %bb.689:                              ;   in Loop: Header=BB276_424 Depth=1
	s_mov_b32 s26, 0x7fc02000
	s_xor_b64 s[6:7], exec, -1
; %bb.690:                              ;   in Loop: Header=BB276_424 Depth=1
	s_or_b64 exec, exec, s[18:19]
	s_and_b64 s[6:7], s[6:7], exec
	s_or_saveexec_b64 s[8:9], s[8:9]
	v_mov_b32_e32 v22, s26
	s_xor_b64 exec, exec, s[8:9]
	s_cbranch_execz .LBB276_488
.LBB276_691:                            ;   in Loop: Header=BB276_424 Depth=1
	v_cmp_ne_u16_e64 s[0:1], 0, v6
	s_andn2_b64 s[6:7], s[6:7], exec
	s_and_b64 s[0:1], s[0:1], exec
	v_mov_b32_e32 v22, 0
	s_or_b64 s[6:7], s[6:7], s[0:1]
	s_or_b64 exec, exec, s[8:9]
	s_and_saveexec_b64 s[8:9], s[6:7]
	s_cbranch_execnz .LBB276_489
	s_branch .LBB276_490
.LBB276_692:                            ;   in Loop: Header=BB276_424 Depth=1
	v_cmp_eq_u16_sdwa s[26:27], v24, s20 src0_sel:BYTE_0 src1_sel:DWORD
	s_mov_b64 s[0:1], -1
                                        ; implicit-def: $sgpr18
	s_and_saveexec_b64 s[8:9], s[26:27]
; %bb.693:                              ;   in Loop: Header=BB276_424 Depth=1
	s_mov_b32 s18, 0x7fc02000
	s_xor_b64 s[0:1], exec, -1
; %bb.694:                              ;   in Loop: Header=BB276_424 Depth=1
	s_or_b64 exec, exec, s[8:9]
	s_and_b64 s[0:1], s[0:1], exec
	s_or_saveexec_b64 s[6:7], s[6:7]
	v_mov_b32_e32 v26, s18
	s_xor_b64 exec, exec, s[6:7]
	s_cbranch_execz .LBB276_494
.LBB276_695:                            ;   in Loop: Header=BB276_424 Depth=1
	v_cmp_ne_u16_sdwa s[8:9], v24, v7 src0_sel:BYTE_0 src1_sel:DWORD
	s_andn2_b64 s[0:1], s[0:1], exec
	s_and_b64 s[8:9], s[8:9], exec
	v_mov_b32_e32 v26, 0
	s_or_b64 s[0:1], s[0:1], s[8:9]
	s_or_b64 exec, exec, s[6:7]
	s_and_saveexec_b64 s[6:7], s[0:1]
	s_cbranch_execnz .LBB276_495
	s_branch .LBB276_496
.LBB276_696:                            ;   in Loop: Header=BB276_424 Depth=1
	v_cmp_eq_u16_e64 s[0:1], s20, v6
	s_mov_b64 s[6:7], -1
                                        ; implicit-def: $sgpr26
	s_and_saveexec_b64 s[18:19], s[0:1]
; %bb.697:                              ;   in Loop: Header=BB276_424 Depth=1
	s_mov_b32 s26, 0x7fc02000
	s_xor_b64 s[6:7], exec, -1
; %bb.698:                              ;   in Loop: Header=BB276_424 Depth=1
	s_or_b64 exec, exec, s[18:19]
	s_and_b64 s[6:7], s[6:7], exec
	s_or_saveexec_b64 s[8:9], s[8:9]
	v_mov_b32_e32 v28, s26
	s_xor_b64 exec, exec, s[8:9]
	s_cbranch_execz .LBB276_498
.LBB276_699:                            ;   in Loop: Header=BB276_424 Depth=1
	v_cmp_ne_u16_e64 s[0:1], 0, v6
	s_andn2_b64 s[6:7], s[6:7], exec
	s_and_b64 s[0:1], s[0:1], exec
	v_mov_b32_e32 v28, 0
	s_or_b64 s[6:7], s[6:7], s[0:1]
	s_or_b64 exec, exec, s[8:9]
	s_and_saveexec_b64 s[8:9], s[6:7]
	s_cbranch_execnz .LBB276_499
	s_branch .LBB276_500
.LBB276_700:                            ;   in Loop: Header=BB276_424 Depth=1
	v_cmp_eq_u16_sdwa s[26:27], v6, s20 src0_sel:BYTE_0 src1_sel:DWORD
	s_mov_b64 s[0:1], -1
                                        ; implicit-def: $sgpr18
	s_and_saveexec_b64 s[8:9], s[26:27]
; %bb.701:                              ;   in Loop: Header=BB276_424 Depth=1
	s_mov_b32 s18, 0x7fc02000
	s_xor_b64 s[0:1], exec, -1
; %bb.702:                              ;   in Loop: Header=BB276_424 Depth=1
	s_or_b64 exec, exec, s[8:9]
	s_and_b64 s[0:1], s[0:1], exec
	s_or_saveexec_b64 s[6:7], s[6:7]
	v_mov_b32_e32 v27, s18
	s_xor_b64 exec, exec, s[6:7]
	s_cbranch_execz .LBB276_502
.LBB276_703:                            ;   in Loop: Header=BB276_424 Depth=1
	v_cmp_ne_u16_sdwa s[8:9], v6, v7 src0_sel:BYTE_0 src1_sel:DWORD
	s_andn2_b64 s[0:1], s[0:1], exec
	s_and_b64 s[8:9], s[8:9], exec
	v_mov_b32_e32 v27, 0
	s_or_b64 s[0:1], s[0:1], s[8:9]
	s_or_b64 exec, exec, s[6:7]
	s_and_saveexec_b64 s[6:7], s[0:1]
	s_cbranch_execnz .LBB276_503
	s_branch .LBB276_504
.LBB276_704:                            ;   in Loop: Header=BB276_424 Depth=1
	v_cmp_eq_u16_e64 s[0:1], s20, v6
	s_mov_b64 s[6:7], -1
                                        ; implicit-def: $sgpr26
	s_and_saveexec_b64 s[18:19], s[0:1]
; %bb.705:                              ;   in Loop: Header=BB276_424 Depth=1
	s_mov_b32 s26, 0x7fc02000
	s_xor_b64 s[6:7], exec, -1
; %bb.706:                              ;   in Loop: Header=BB276_424 Depth=1
	s_or_b64 exec, exec, s[18:19]
	s_and_b64 s[6:7], s[6:7], exec
	s_or_saveexec_b64 s[8:9], s[8:9]
	v_mov_b32_e32 v29, s26
	s_xor_b64 exec, exec, s[8:9]
	s_cbranch_execz .LBB276_506
.LBB276_707:                            ;   in Loop: Header=BB276_424 Depth=1
	v_cmp_ne_u16_e64 s[0:1], 0, v6
	s_andn2_b64 s[6:7], s[6:7], exec
	s_and_b64 s[0:1], s[0:1], exec
	v_mov_b32_e32 v29, 0
	s_or_b64 s[6:7], s[6:7], s[0:1]
	s_or_b64 exec, exec, s[8:9]
	s_and_saveexec_b64 s[8:9], s[6:7]
	s_cbranch_execnz .LBB276_507
	s_branch .LBB276_508
.LBB276_708:                            ;   in Loop: Header=BB276_424 Depth=1
	v_cmp_eq_u16_sdwa s[26:27], v25, s20 src0_sel:BYTE_0 src1_sel:DWORD
	s_mov_b64 s[0:1], -1
                                        ; implicit-def: $sgpr18
	s_and_saveexec_b64 s[8:9], s[26:27]
; %bb.709:                              ;   in Loop: Header=BB276_424 Depth=1
	s_mov_b32 s18, 0x7fc02000
	s_xor_b64 s[0:1], exec, -1
; %bb.710:                              ;   in Loop: Header=BB276_424 Depth=1
	s_or_b64 exec, exec, s[8:9]
	s_and_b64 s[0:1], s[0:1], exec
	s_or_saveexec_b64 s[6:7], s[6:7]
	v_mov_b32_e32 v0, s18
	s_xor_b64 exec, exec, s[6:7]
	s_cbranch_execz .LBB276_510
.LBB276_711:                            ;   in Loop: Header=BB276_424 Depth=1
	v_cmp_ne_u16_sdwa s[8:9], v25, v7 src0_sel:BYTE_0 src1_sel:DWORD
	s_andn2_b64 s[0:1], s[0:1], exec
	s_and_b64 s[8:9], s[8:9], exec
	v_mov_b32_e32 v0, 0
	s_or_b64 s[0:1], s[0:1], s[8:9]
	s_or_b64 exec, exec, s[6:7]
	v_mov_b32_e32 v6, v25
	s_and_saveexec_b64 s[6:7], s[0:1]
	s_cbranch_execnz .LBB276_511
	s_branch .LBB276_512
.LBB276_712:                            ;   in Loop: Header=BB276_424 Depth=1
	v_cmp_eq_u16_e64 s[0:1], s20, v6
	s_mov_b64 s[6:7], -1
                                        ; implicit-def: $sgpr26
	s_and_saveexec_b64 s[18:19], s[0:1]
; %bb.713:                              ;   in Loop: Header=BB276_424 Depth=1
	s_mov_b32 s26, 0x7fc02000
	s_xor_b64 s[6:7], exec, -1
; %bb.714:                              ;   in Loop: Header=BB276_424 Depth=1
	s_or_b64 exec, exec, s[18:19]
	s_and_b64 s[6:7], s[6:7], exec
	s_or_saveexec_b64 s[8:9], s[8:9]
	v_mov_b32_e32 v1, s26
	s_xor_b64 exec, exec, s[8:9]
	s_cbranch_execz .LBB276_514
.LBB276_715:                            ;   in Loop: Header=BB276_424 Depth=1
	v_cmp_ne_u16_e64 s[0:1], 0, v6
	s_andn2_b64 s[6:7], s[6:7], exec
	s_and_b64 s[0:1], s[0:1], exec
	v_mov_b32_e32 v1, 0
	s_or_b64 s[6:7], s[6:7], s[0:1]
	s_or_b64 exec, exec, s[8:9]
	s_and_saveexec_b64 s[8:9], s[6:7]
	s_cbranch_execnz .LBB276_515
	s_branch .LBB276_516
.LBB276_716:                            ;   in Loop: Header=BB276_424 Depth=1
	v_cmp_eq_u16_sdwa s[26:27], v6, s20 src0_sel:BYTE_0 src1_sel:DWORD
	s_mov_b64 s[0:1], -1
                                        ; implicit-def: $sgpr18
	s_and_saveexec_b64 s[8:9], s[26:27]
; %bb.717:                              ;   in Loop: Header=BB276_424 Depth=1
	s_mov_b32 s18, 0x7fc02000
	s_xor_b64 s[0:1], exec, -1
; %bb.718:                              ;   in Loop: Header=BB276_424 Depth=1
	s_or_b64 exec, exec, s[8:9]
	s_and_b64 s[0:1], s[0:1], exec
	s_or_saveexec_b64 s[6:7], s[6:7]
	v_mov_b32_e32 v17, s18
	s_xor_b64 exec, exec, s[6:7]
	s_cbranch_execz .LBB276_518
.LBB276_719:                            ;   in Loop: Header=BB276_424 Depth=1
	v_cmp_ne_u16_sdwa s[8:9], v6, v7 src0_sel:BYTE_0 src1_sel:DWORD
	s_andn2_b64 s[0:1], s[0:1], exec
	s_and_b64 s[8:9], s[8:9], exec
	v_mov_b32_e32 v17, 0
	s_or_b64 s[0:1], s[0:1], s[8:9]
	s_or_b64 exec, exec, s[6:7]
	s_and_saveexec_b64 s[6:7], s[0:1]
	s_cbranch_execnz .LBB276_519
	s_branch .LBB276_520
.LBB276_720:                            ;   in Loop: Header=BB276_424 Depth=1
	v_cmp_eq_u16_e64 s[0:1], s20, v6
	s_mov_b64 s[6:7], -1
                                        ; implicit-def: $sgpr26
	s_and_saveexec_b64 s[18:19], s[0:1]
; %bb.721:                              ;   in Loop: Header=BB276_424 Depth=1
	s_mov_b32 s26, 0x7fc02000
	s_xor_b64 s[6:7], exec, -1
; %bb.722:                              ;   in Loop: Header=BB276_424 Depth=1
	s_or_b64 exec, exec, s[18:19]
	s_and_b64 s[6:7], s[6:7], exec
	s_or_saveexec_b64 s[8:9], s[8:9]
	v_mov_b32_e32 v22, s26
	s_xor_b64 exec, exec, s[8:9]
	s_cbranch_execz .LBB276_522
.LBB276_723:                            ;   in Loop: Header=BB276_424 Depth=1
	v_cmp_ne_u16_e64 s[0:1], 0, v6
	s_andn2_b64 s[6:7], s[6:7], exec
	s_and_b64 s[0:1], s[0:1], exec
	v_mov_b32_e32 v22, 0
	s_or_b64 s[6:7], s[6:7], s[0:1]
	s_or_b64 exec, exec, s[8:9]
	s_and_saveexec_b64 s[8:9], s[6:7]
	s_cbranch_execnz .LBB276_523
	s_branch .LBB276_524
.LBB276_724:                            ;   in Loop: Header=BB276_424 Depth=1
	v_cmp_eq_u16_sdwa s[26:27], v24, s20 src0_sel:BYTE_0 src1_sel:DWORD
	s_mov_b64 s[0:1], -1
                                        ; implicit-def: $sgpr18
	s_and_saveexec_b64 s[8:9], s[26:27]
; %bb.725:                              ;   in Loop: Header=BB276_424 Depth=1
	s_mov_b32 s18, 0x7fc02000
	s_xor_b64 s[0:1], exec, -1
; %bb.726:                              ;   in Loop: Header=BB276_424 Depth=1
	s_or_b64 exec, exec, s[8:9]
	s_and_b64 s[0:1], s[0:1], exec
	s_or_saveexec_b64 s[6:7], s[6:7]
	v_mov_b32_e32 v26, s18
	s_xor_b64 exec, exec, s[6:7]
	s_cbranch_execz .LBB276_528
.LBB276_727:                            ;   in Loop: Header=BB276_424 Depth=1
	v_cmp_ne_u16_sdwa s[8:9], v24, v7 src0_sel:BYTE_0 src1_sel:DWORD
	s_andn2_b64 s[0:1], s[0:1], exec
	s_and_b64 s[8:9], s[8:9], exec
	v_mov_b32_e32 v26, 0
	s_or_b64 s[0:1], s[0:1], s[8:9]
	s_or_b64 exec, exec, s[6:7]
	s_and_saveexec_b64 s[6:7], s[0:1]
	s_cbranch_execnz .LBB276_529
	s_branch .LBB276_530
.LBB276_728:                            ;   in Loop: Header=BB276_424 Depth=1
	v_cmp_eq_u16_e64 s[0:1], s20, v6
	s_mov_b64 s[6:7], -1
                                        ; implicit-def: $sgpr26
	s_and_saveexec_b64 s[18:19], s[0:1]
; %bb.729:                              ;   in Loop: Header=BB276_424 Depth=1
	s_mov_b32 s26, 0x7fc02000
	s_xor_b64 s[6:7], exec, -1
; %bb.730:                              ;   in Loop: Header=BB276_424 Depth=1
	s_or_b64 exec, exec, s[18:19]
	s_and_b64 s[6:7], s[6:7], exec
	s_or_saveexec_b64 s[8:9], s[8:9]
	v_mov_b32_e32 v28, s26
	s_xor_b64 exec, exec, s[8:9]
	s_cbranch_execz .LBB276_532
.LBB276_731:                            ;   in Loop: Header=BB276_424 Depth=1
	v_cmp_ne_u16_e64 s[0:1], 0, v6
	s_andn2_b64 s[6:7], s[6:7], exec
	s_and_b64 s[0:1], s[0:1], exec
	v_mov_b32_e32 v28, 0
	s_or_b64 s[6:7], s[6:7], s[0:1]
	s_or_b64 exec, exec, s[8:9]
	s_and_saveexec_b64 s[8:9], s[6:7]
	s_cbranch_execnz .LBB276_533
	s_branch .LBB276_534
.LBB276_732:                            ;   in Loop: Header=BB276_424 Depth=1
	v_cmp_eq_u16_sdwa s[26:27], v6, s20 src0_sel:BYTE_0 src1_sel:DWORD
	s_mov_b64 s[0:1], -1
                                        ; implicit-def: $sgpr18
	s_and_saveexec_b64 s[8:9], s[26:27]
; %bb.733:                              ;   in Loop: Header=BB276_424 Depth=1
	s_mov_b32 s18, 0x7fc02000
	s_xor_b64 s[0:1], exec, -1
; %bb.734:                              ;   in Loop: Header=BB276_424 Depth=1
	s_or_b64 exec, exec, s[8:9]
	s_and_b64 s[0:1], s[0:1], exec
	s_or_saveexec_b64 s[6:7], s[6:7]
	v_mov_b32_e32 v27, s18
	s_xor_b64 exec, exec, s[6:7]
	s_cbranch_execz .LBB276_536
.LBB276_735:                            ;   in Loop: Header=BB276_424 Depth=1
	v_cmp_ne_u16_sdwa s[8:9], v6, v7 src0_sel:BYTE_0 src1_sel:DWORD
	s_andn2_b64 s[0:1], s[0:1], exec
	s_and_b64 s[8:9], s[8:9], exec
	v_mov_b32_e32 v27, 0
	s_or_b64 s[0:1], s[0:1], s[8:9]
	s_or_b64 exec, exec, s[6:7]
	s_and_saveexec_b64 s[6:7], s[0:1]
	s_cbranch_execnz .LBB276_537
	s_branch .LBB276_538
.LBB276_736:                            ;   in Loop: Header=BB276_424 Depth=1
	v_cmp_eq_u16_e64 s[0:1], s20, v6
	s_mov_b64 s[6:7], -1
                                        ; implicit-def: $sgpr26
	s_and_saveexec_b64 s[18:19], s[0:1]
; %bb.737:                              ;   in Loop: Header=BB276_424 Depth=1
	s_mov_b32 s26, 0x7fc02000
	s_xor_b64 s[6:7], exec, -1
; %bb.738:                              ;   in Loop: Header=BB276_424 Depth=1
	s_or_b64 exec, exec, s[18:19]
	s_and_b64 s[6:7], s[6:7], exec
	s_or_saveexec_b64 s[8:9], s[8:9]
	v_mov_b32_e32 v29, s26
	s_xor_b64 exec, exec, s[8:9]
	s_cbranch_execz .LBB276_540
.LBB276_739:                            ;   in Loop: Header=BB276_424 Depth=1
	v_cmp_ne_u16_e64 s[0:1], 0, v6
	s_andn2_b64 s[6:7], s[6:7], exec
	s_and_b64 s[0:1], s[0:1], exec
	v_mov_b32_e32 v29, 0
	s_or_b64 s[6:7], s[6:7], s[0:1]
	s_or_b64 exec, exec, s[8:9]
	s_and_saveexec_b64 s[8:9], s[6:7]
	s_cbranch_execnz .LBB276_541
	s_branch .LBB276_542
.LBB276_740:                            ;   in Loop: Header=BB276_424 Depth=1
	v_cmp_eq_u16_sdwa s[26:27], v25, s20 src0_sel:BYTE_0 src1_sel:DWORD
	s_mov_b64 s[0:1], -1
                                        ; implicit-def: $sgpr18
	s_and_saveexec_b64 s[8:9], s[26:27]
; %bb.741:                              ;   in Loop: Header=BB276_424 Depth=1
	s_mov_b32 s18, 0x7fc02000
	s_xor_b64 s[0:1], exec, -1
; %bb.742:                              ;   in Loop: Header=BB276_424 Depth=1
	s_or_b64 exec, exec, s[8:9]
	s_and_b64 s[0:1], s[0:1], exec
	s_or_saveexec_b64 s[6:7], s[6:7]
	v_mov_b32_e32 v0, s18
	s_xor_b64 exec, exec, s[6:7]
	s_cbranch_execz .LBB276_544
.LBB276_743:                            ;   in Loop: Header=BB276_424 Depth=1
	v_cmp_ne_u16_sdwa s[8:9], v25, v7 src0_sel:BYTE_0 src1_sel:DWORD
	s_andn2_b64 s[0:1], s[0:1], exec
	s_and_b64 s[8:9], s[8:9], exec
	v_mov_b32_e32 v0, 0
	s_or_b64 s[0:1], s[0:1], s[8:9]
	s_or_b64 exec, exec, s[6:7]
	v_mov_b32_e32 v6, v25
	s_and_saveexec_b64 s[6:7], s[0:1]
	s_cbranch_execnz .LBB276_545
	s_branch .LBB276_546
.LBB276_744:                            ;   in Loop: Header=BB276_424 Depth=1
	v_cmp_eq_u16_e64 s[0:1], s20, v6
	s_mov_b64 s[6:7], -1
                                        ; implicit-def: $sgpr26
	s_and_saveexec_b64 s[18:19], s[0:1]
; %bb.745:                              ;   in Loop: Header=BB276_424 Depth=1
	s_mov_b32 s26, 0x7fc02000
	s_xor_b64 s[6:7], exec, -1
; %bb.746:                              ;   in Loop: Header=BB276_424 Depth=1
	s_or_b64 exec, exec, s[18:19]
	s_and_b64 s[6:7], s[6:7], exec
	s_or_saveexec_b64 s[8:9], s[8:9]
	v_mov_b32_e32 v1, s26
	s_xor_b64 exec, exec, s[8:9]
	s_cbranch_execz .LBB276_548
.LBB276_747:                            ;   in Loop: Header=BB276_424 Depth=1
	v_cmp_ne_u16_e64 s[0:1], 0, v6
	s_andn2_b64 s[6:7], s[6:7], exec
	s_and_b64 s[0:1], s[0:1], exec
	v_mov_b32_e32 v1, 0
	s_or_b64 s[6:7], s[6:7], s[0:1]
	s_or_b64 exec, exec, s[8:9]
	s_and_saveexec_b64 s[8:9], s[6:7]
	s_cbranch_execnz .LBB276_549
	s_branch .LBB276_550
.LBB276_748:                            ;   in Loop: Header=BB276_424 Depth=1
	v_cmp_eq_u16_sdwa s[26:27], v6, s20 src0_sel:BYTE_0 src1_sel:DWORD
	s_mov_b64 s[0:1], -1
                                        ; implicit-def: $sgpr18
	s_and_saveexec_b64 s[8:9], s[26:27]
; %bb.749:                              ;   in Loop: Header=BB276_424 Depth=1
	s_mov_b32 s18, 0x7fc02000
	s_xor_b64 s[0:1], exec, -1
; %bb.750:                              ;   in Loop: Header=BB276_424 Depth=1
	s_or_b64 exec, exec, s[8:9]
	s_and_b64 s[0:1], s[0:1], exec
	s_or_saveexec_b64 s[6:7], s[6:7]
	v_mov_b32_e32 v17, s18
	s_xor_b64 exec, exec, s[6:7]
	s_cbranch_execz .LBB276_552
.LBB276_751:                            ;   in Loop: Header=BB276_424 Depth=1
	v_cmp_ne_u16_sdwa s[8:9], v6, v7 src0_sel:BYTE_0 src1_sel:DWORD
	s_andn2_b64 s[0:1], s[0:1], exec
	s_and_b64 s[8:9], s[8:9], exec
	v_mov_b32_e32 v17, 0
	s_or_b64 s[0:1], s[0:1], s[8:9]
	s_or_b64 exec, exec, s[6:7]
	s_and_saveexec_b64 s[6:7], s[0:1]
	s_cbranch_execnz .LBB276_553
	s_branch .LBB276_554
.LBB276_752:                            ;   in Loop: Header=BB276_424 Depth=1
	v_cmp_eq_u16_e64 s[0:1], s20, v6
	s_mov_b64 s[6:7], -1
                                        ; implicit-def: $sgpr26
	s_and_saveexec_b64 s[18:19], s[0:1]
; %bb.753:                              ;   in Loop: Header=BB276_424 Depth=1
	s_mov_b32 s26, 0x7fc02000
	s_xor_b64 s[6:7], exec, -1
; %bb.754:                              ;   in Loop: Header=BB276_424 Depth=1
	s_or_b64 exec, exec, s[18:19]
	s_and_b64 s[6:7], s[6:7], exec
	s_or_saveexec_b64 s[8:9], s[8:9]
	v_mov_b32_e32 v22, s26
	s_xor_b64 exec, exec, s[8:9]
	s_cbranch_execz .LBB276_556
.LBB276_755:                            ;   in Loop: Header=BB276_424 Depth=1
	v_cmp_ne_u16_e64 s[0:1], 0, v6
	s_andn2_b64 s[6:7], s[6:7], exec
	s_and_b64 s[0:1], s[0:1], exec
	v_mov_b32_e32 v22, 0
	s_or_b64 s[6:7], s[6:7], s[0:1]
	s_or_b64 exec, exec, s[8:9]
	s_and_saveexec_b64 s[8:9], s[6:7]
	s_cbranch_execnz .LBB276_557
	s_branch .LBB276_558
.LBB276_756:                            ;   in Loop: Header=BB276_424 Depth=1
	v_cmp_eq_u16_sdwa s[26:27], v24, s20 src0_sel:BYTE_0 src1_sel:DWORD
	s_mov_b64 s[0:1], -1
                                        ; implicit-def: $sgpr18
	s_and_saveexec_b64 s[8:9], s[26:27]
; %bb.757:                              ;   in Loop: Header=BB276_424 Depth=1
	s_mov_b32 s18, 0x7fc02000
	s_xor_b64 s[0:1], exec, -1
; %bb.758:                              ;   in Loop: Header=BB276_424 Depth=1
	s_or_b64 exec, exec, s[8:9]
	s_and_b64 s[0:1], s[0:1], exec
	s_or_saveexec_b64 s[6:7], s[6:7]
	v_mov_b32_e32 v26, s18
	s_xor_b64 exec, exec, s[6:7]
	s_cbranch_execz .LBB276_562
.LBB276_759:                            ;   in Loop: Header=BB276_424 Depth=1
	v_cmp_ne_u16_sdwa s[8:9], v24, v7 src0_sel:BYTE_0 src1_sel:DWORD
	s_andn2_b64 s[0:1], s[0:1], exec
	s_and_b64 s[8:9], s[8:9], exec
	v_mov_b32_e32 v26, 0
	s_or_b64 s[0:1], s[0:1], s[8:9]
	s_or_b64 exec, exec, s[6:7]
	s_and_saveexec_b64 s[6:7], s[0:1]
	s_cbranch_execnz .LBB276_563
	s_branch .LBB276_564
.LBB276_760:                            ;   in Loop: Header=BB276_424 Depth=1
	v_cmp_eq_u16_e64 s[0:1], s20, v6
	s_mov_b64 s[6:7], -1
                                        ; implicit-def: $sgpr26
	s_and_saveexec_b64 s[18:19], s[0:1]
; %bb.761:                              ;   in Loop: Header=BB276_424 Depth=1
	s_mov_b32 s26, 0x7fc02000
	s_xor_b64 s[6:7], exec, -1
; %bb.762:                              ;   in Loop: Header=BB276_424 Depth=1
	s_or_b64 exec, exec, s[18:19]
	s_and_b64 s[6:7], s[6:7], exec
	s_or_saveexec_b64 s[8:9], s[8:9]
	v_mov_b32_e32 v28, s26
	s_xor_b64 exec, exec, s[8:9]
	s_cbranch_execz .LBB276_566
.LBB276_763:                            ;   in Loop: Header=BB276_424 Depth=1
	v_cmp_ne_u16_e64 s[0:1], 0, v6
	s_andn2_b64 s[6:7], s[6:7], exec
	s_and_b64 s[0:1], s[0:1], exec
	v_mov_b32_e32 v28, 0
	s_or_b64 s[6:7], s[6:7], s[0:1]
	s_or_b64 exec, exec, s[8:9]
	s_and_saveexec_b64 s[8:9], s[6:7]
	s_cbranch_execnz .LBB276_567
	s_branch .LBB276_568
.LBB276_764:                            ;   in Loop: Header=BB276_424 Depth=1
	v_cmp_eq_u16_sdwa s[26:27], v6, s20 src0_sel:BYTE_0 src1_sel:DWORD
	s_mov_b64 s[0:1], -1
                                        ; implicit-def: $sgpr18
	s_and_saveexec_b64 s[8:9], s[26:27]
; %bb.765:                              ;   in Loop: Header=BB276_424 Depth=1
	s_mov_b32 s18, 0x7fc02000
	s_xor_b64 s[0:1], exec, -1
; %bb.766:                              ;   in Loop: Header=BB276_424 Depth=1
	s_or_b64 exec, exec, s[8:9]
	s_and_b64 s[0:1], s[0:1], exec
	s_or_saveexec_b64 s[6:7], s[6:7]
	v_mov_b32_e32 v27, s18
	s_xor_b64 exec, exec, s[6:7]
	s_cbranch_execz .LBB276_570
.LBB276_767:                            ;   in Loop: Header=BB276_424 Depth=1
	v_cmp_ne_u16_sdwa s[8:9], v6, v7 src0_sel:BYTE_0 src1_sel:DWORD
	s_andn2_b64 s[0:1], s[0:1], exec
	s_and_b64 s[8:9], s[8:9], exec
	v_mov_b32_e32 v27, 0
	s_or_b64 s[0:1], s[0:1], s[8:9]
	s_or_b64 exec, exec, s[6:7]
	s_and_saveexec_b64 s[6:7], s[0:1]
	s_cbranch_execnz .LBB276_571
	s_branch .LBB276_572
.LBB276_768:                            ;   in Loop: Header=BB276_424 Depth=1
	v_cmp_eq_u16_e64 s[0:1], s20, v6
	s_mov_b64 s[6:7], -1
                                        ; implicit-def: $sgpr26
	s_and_saveexec_b64 s[18:19], s[0:1]
; %bb.769:                              ;   in Loop: Header=BB276_424 Depth=1
	s_mov_b32 s26, 0x7fc02000
	s_xor_b64 s[6:7], exec, -1
; %bb.770:                              ;   in Loop: Header=BB276_424 Depth=1
	s_or_b64 exec, exec, s[18:19]
	s_and_b64 s[6:7], s[6:7], exec
	s_or_saveexec_b64 s[8:9], s[8:9]
	v_mov_b32_e32 v29, s26
	s_xor_b64 exec, exec, s[8:9]
	s_cbranch_execz .LBB276_574
.LBB276_771:                            ;   in Loop: Header=BB276_424 Depth=1
	v_cmp_ne_u16_e64 s[0:1], 0, v6
	s_andn2_b64 s[6:7], s[6:7], exec
	s_and_b64 s[0:1], s[0:1], exec
	v_mov_b32_e32 v29, 0
	s_or_b64 s[6:7], s[6:7], s[0:1]
	s_or_b64 exec, exec, s[8:9]
	s_and_saveexec_b64 s[8:9], s[6:7]
	s_cbranch_execnz .LBB276_575
	s_branch .LBB276_576
.LBB276_772:                            ;   in Loop: Header=BB276_424 Depth=1
	v_cmp_eq_u16_sdwa s[26:27], v25, s20 src0_sel:BYTE_0 src1_sel:DWORD
	s_mov_b64 s[0:1], -1
                                        ; implicit-def: $sgpr18
	s_and_saveexec_b64 s[8:9], s[26:27]
; %bb.773:                              ;   in Loop: Header=BB276_424 Depth=1
	s_mov_b32 s18, 0x7fc02000
	s_xor_b64 s[0:1], exec, -1
; %bb.774:                              ;   in Loop: Header=BB276_424 Depth=1
	s_or_b64 exec, exec, s[8:9]
	s_and_b64 s[0:1], s[0:1], exec
	s_or_saveexec_b64 s[6:7], s[6:7]
	v_mov_b32_e32 v17, s18
	s_xor_b64 exec, exec, s[6:7]
	s_cbranch_execz .LBB276_578
.LBB276_775:                            ;   in Loop: Header=BB276_424 Depth=1
	v_cmp_ne_u16_sdwa s[8:9], v25, v7 src0_sel:BYTE_0 src1_sel:DWORD
	s_andn2_b64 s[0:1], s[0:1], exec
	s_and_b64 s[8:9], s[8:9], exec
	v_mov_b32_e32 v17, 0
	s_or_b64 s[0:1], s[0:1], s[8:9]
	s_or_b64 exec, exec, s[6:7]
	v_mov_b32_e32 v6, v25
	s_and_saveexec_b64 s[6:7], s[0:1]
	s_cbranch_execnz .LBB276_579
	s_branch .LBB276_580
.LBB276_776:                            ;   in Loop: Header=BB276_424 Depth=1
	v_cmp_eq_u16_e64 s[0:1], s20, v6
	s_mov_b64 s[6:7], -1
                                        ; implicit-def: $sgpr26
	s_and_saveexec_b64 s[18:19], s[0:1]
; %bb.777:                              ;   in Loop: Header=BB276_424 Depth=1
	s_mov_b32 s26, 0x7fc02000
	s_xor_b64 s[6:7], exec, -1
; %bb.778:                              ;   in Loop: Header=BB276_424 Depth=1
	s_or_b64 exec, exec, s[18:19]
	s_and_b64 s[6:7], s[6:7], exec
	s_or_saveexec_b64 s[8:9], s[8:9]
	v_mov_b32_e32 v18, s26
	s_xor_b64 exec, exec, s[8:9]
	s_cbranch_execz .LBB276_582
.LBB276_779:                            ;   in Loop: Header=BB276_424 Depth=1
	v_cmp_ne_u16_e64 s[0:1], 0, v6
	s_andn2_b64 s[6:7], s[6:7], exec
	s_and_b64 s[0:1], s[0:1], exec
	v_mov_b32_e32 v18, 0
	s_or_b64 s[6:7], s[6:7], s[0:1]
	s_or_b64 exec, exec, s[8:9]
	s_and_saveexec_b64 s[8:9], s[6:7]
	s_cbranch_execnz .LBB276_583
	s_branch .LBB276_584
.LBB276_780:                            ;   in Loop: Header=BB276_424 Depth=1
	v_cmp_eq_u16_sdwa s[26:27], v6, s20 src0_sel:BYTE_0 src1_sel:DWORD
	s_mov_b64 s[0:1], -1
                                        ; implicit-def: $sgpr18
	s_and_saveexec_b64 s[8:9], s[26:27]
; %bb.781:                              ;   in Loop: Header=BB276_424 Depth=1
	s_mov_b32 s18, 0x7fc02000
	s_xor_b64 s[0:1], exec, -1
; %bb.782:                              ;   in Loop: Header=BB276_424 Depth=1
	s_or_b64 exec, exec, s[8:9]
	s_and_b64 s[0:1], s[0:1], exec
	s_or_saveexec_b64 s[6:7], s[6:7]
	v_mov_b32_e32 v22, s18
	s_xor_b64 exec, exec, s[6:7]
	s_cbranch_execz .LBB276_586
.LBB276_783:                            ;   in Loop: Header=BB276_424 Depth=1
	v_cmp_ne_u16_sdwa s[8:9], v6, v7 src0_sel:BYTE_0 src1_sel:DWORD
	s_andn2_b64 s[0:1], s[0:1], exec
	s_and_b64 s[8:9], s[8:9], exec
	v_mov_b32_e32 v22, 0
	s_or_b64 s[0:1], s[0:1], s[8:9]
	s_or_b64 exec, exec, s[6:7]
	s_and_saveexec_b64 s[6:7], s[0:1]
	s_cbranch_execnz .LBB276_587
	s_branch .LBB276_588
.LBB276_784:                            ;   in Loop: Header=BB276_424 Depth=1
	v_cmp_eq_u16_e64 s[0:1], s20, v6
	s_mov_b64 s[6:7], -1
                                        ; implicit-def: $sgpr26
	s_and_saveexec_b64 s[18:19], s[0:1]
; %bb.785:                              ;   in Loop: Header=BB276_424 Depth=1
	s_mov_b32 s26, 0x7fc02000
	s_xor_b64 s[6:7], exec, -1
; %bb.786:                              ;   in Loop: Header=BB276_424 Depth=1
	s_or_b64 exec, exec, s[18:19]
	s_and_b64 s[6:7], s[6:7], exec
	s_or_saveexec_b64 s[8:9], s[8:9]
	v_mov_b32_e32 v24, s26
	s_xor_b64 exec, exec, s[8:9]
	s_cbranch_execz .LBB276_590
.LBB276_787:                            ;   in Loop: Header=BB276_424 Depth=1
	v_cmp_ne_u16_e64 s[0:1], 0, v6
	s_andn2_b64 s[6:7], s[6:7], exec
	s_and_b64 s[0:1], s[0:1], exec
	v_mov_b32_e32 v24, 0
	s_or_b64 s[6:7], s[6:7], s[0:1]
	s_or_b64 exec, exec, s[8:9]
	s_and_saveexec_b64 s[8:9], s[6:7]
	s_cbranch_execnz .LBB276_591
	s_branch .LBB276_592
.LBB276_788:                            ;   in Loop: Header=BB276_424 Depth=1
	v_cmp_eq_u16_sdwa s[26:27], v16, s20 src0_sel:BYTE_0 src1_sel:DWORD
	s_mov_b64 s[0:1], -1
                                        ; implicit-def: $sgpr18
	s_and_saveexec_b64 s[8:9], s[26:27]
; %bb.789:                              ;   in Loop: Header=BB276_424 Depth=1
	s_mov_b32 s18, 0x7fc02000
	s_xor_b64 s[0:1], exec, -1
; %bb.790:                              ;   in Loop: Header=BB276_424 Depth=1
	s_or_b64 exec, exec, s[8:9]
	s_and_b64 s[0:1], s[0:1], exec
	s_or_saveexec_b64 s[6:7], s[6:7]
	v_mov_b32_e32 v24, s18
	s_xor_b64 exec, exec, s[6:7]
	s_cbranch_execz .LBB276_596
.LBB276_791:                            ;   in Loop: Header=BB276_424 Depth=1
	v_cmp_ne_u16_sdwa s[8:9], v16, v7 src0_sel:BYTE_0 src1_sel:DWORD
	s_andn2_b64 s[0:1], s[0:1], exec
	s_and_b64 s[8:9], s[8:9], exec
	v_mov_b32_e32 v24, 0
	s_or_b64 s[0:1], s[0:1], s[8:9]
	s_or_b64 exec, exec, s[6:7]
	s_and_saveexec_b64 s[6:7], s[0:1]
	s_cbranch_execnz .LBB276_597
	s_branch .LBB276_598
.LBB276_792:                            ;   in Loop: Header=BB276_424 Depth=1
	v_cmp_eq_u16_e64 s[0:1], s20, v6
	s_mov_b64 s[6:7], -1
                                        ; implicit-def: $sgpr26
	s_and_saveexec_b64 s[18:19], s[0:1]
; %bb.793:                              ;   in Loop: Header=BB276_424 Depth=1
	s_mov_b32 s26, 0x7fc02000
	s_xor_b64 s[6:7], exec, -1
; %bb.794:                              ;   in Loop: Header=BB276_424 Depth=1
	s_or_b64 exec, exec, s[18:19]
	s_and_b64 s[6:7], s[6:7], exec
	s_or_saveexec_b64 s[8:9], s[8:9]
	v_mov_b32_e32 v26, s26
	s_xor_b64 exec, exec, s[8:9]
	s_cbranch_execz .LBB276_600
.LBB276_795:                            ;   in Loop: Header=BB276_424 Depth=1
	v_cmp_ne_u16_e64 s[0:1], 0, v6
	s_andn2_b64 s[6:7], s[6:7], exec
	s_and_b64 s[0:1], s[0:1], exec
	v_mov_b32_e32 v26, 0
	s_or_b64 s[6:7], s[6:7], s[0:1]
	s_or_b64 exec, exec, s[8:9]
	s_and_saveexec_b64 s[8:9], s[6:7]
	s_cbranch_execnz .LBB276_601
	s_branch .LBB276_602
.LBB276_796:                            ;   in Loop: Header=BB276_424 Depth=1
	v_cmp_eq_u16_sdwa s[26:27], v6, s20 src0_sel:BYTE_0 src1_sel:DWORD
	s_mov_b64 s[0:1], -1
                                        ; implicit-def: $sgpr18
	s_and_saveexec_b64 s[8:9], s[26:27]
; %bb.797:                              ;   in Loop: Header=BB276_424 Depth=1
	s_mov_b32 s18, 0x7fc02000
	s_xor_b64 s[0:1], exec, -1
; %bb.798:                              ;   in Loop: Header=BB276_424 Depth=1
	s_or_b64 exec, exec, s[8:9]
	s_and_b64 s[0:1], s[0:1], exec
	s_or_saveexec_b64 s[6:7], s[6:7]
	v_mov_b32_e32 v25, s18
	s_xor_b64 exec, exec, s[6:7]
	s_cbranch_execz .LBB276_604
.LBB276_799:                            ;   in Loop: Header=BB276_424 Depth=1
	v_cmp_ne_u16_sdwa s[8:9], v6, v7 src0_sel:BYTE_0 src1_sel:DWORD
	s_andn2_b64 s[0:1], s[0:1], exec
	s_and_b64 s[8:9], s[8:9], exec
	v_mov_b32_e32 v25, 0
	s_or_b64 s[0:1], s[0:1], s[8:9]
	s_or_b64 exec, exec, s[6:7]
	s_and_saveexec_b64 s[6:7], s[0:1]
	s_cbranch_execnz .LBB276_605
	s_branch .LBB276_606
.LBB276_800:                            ;   in Loop: Header=BB276_424 Depth=1
	v_cmp_eq_u16_e64 s[0:1], s20, v6
	s_mov_b64 s[6:7], -1
                                        ; implicit-def: $sgpr26
	s_and_saveexec_b64 s[18:19], s[0:1]
; %bb.801:                              ;   in Loop: Header=BB276_424 Depth=1
	s_mov_b32 s26, 0x7fc02000
	s_xor_b64 s[6:7], exec, -1
; %bb.802:                              ;   in Loop: Header=BB276_424 Depth=1
	s_or_b64 exec, exec, s[18:19]
	s_and_b64 s[6:7], s[6:7], exec
	s_or_saveexec_b64 s[8:9], s[8:9]
	v_mov_b32_e32 v27, s26
	s_xor_b64 exec, exec, s[8:9]
	s_cbranch_execz .LBB276_608
.LBB276_803:                            ;   in Loop: Header=BB276_424 Depth=1
	v_cmp_ne_u16_e64 s[0:1], 0, v6
	s_andn2_b64 s[6:7], s[6:7], exec
	s_and_b64 s[0:1], s[0:1], exec
	v_mov_b32_e32 v27, 0
	s_or_b64 s[6:7], s[6:7], s[0:1]
	s_or_b64 exec, exec, s[8:9]
	s_and_saveexec_b64 s[8:9], s[6:7]
	s_cbranch_execnz .LBB276_609
	s_branch .LBB276_610
.LBB276_804:                            ;   in Loop: Header=BB276_424 Depth=1
	v_cmp_eq_u16_sdwa s[26:27], v17, s20 src0_sel:BYTE_0 src1_sel:DWORD
	s_mov_b64 s[0:1], -1
                                        ; implicit-def: $sgpr18
	s_and_saveexec_b64 s[8:9], s[26:27]
; %bb.805:                              ;   in Loop: Header=BB276_424 Depth=1
	s_mov_b32 s18, 0x7fc02000
	s_xor_b64 s[0:1], exec, -1
; %bb.806:                              ;   in Loop: Header=BB276_424 Depth=1
	s_or_b64 exec, exec, s[8:9]
	s_and_b64 s[0:1], s[0:1], exec
	s_or_saveexec_b64 s[6:7], s[6:7]
	v_mov_b32_e32 v11, s18
	s_xor_b64 exec, exec, s[6:7]
	s_cbranch_execz .LBB276_612
.LBB276_807:                            ;   in Loop: Header=BB276_424 Depth=1
	v_cmp_ne_u16_sdwa s[8:9], v17, v7 src0_sel:BYTE_0 src1_sel:DWORD
	s_andn2_b64 s[0:1], s[0:1], exec
	s_and_b64 s[8:9], s[8:9], exec
	v_mov_b32_e32 v11, 0
	s_or_b64 s[0:1], s[0:1], s[8:9]
	s_or_b64 exec, exec, s[6:7]
	v_mov_b32_e32 v6, v17
	s_and_saveexec_b64 s[6:7], s[0:1]
	s_cbranch_execnz .LBB276_613
	s_branch .LBB276_614
.LBB276_808:                            ;   in Loop: Header=BB276_424 Depth=1
	v_cmp_eq_u16_e64 s[0:1], s20, v6
	s_mov_b64 s[6:7], -1
                                        ; implicit-def: $sgpr26
	s_and_saveexec_b64 s[18:19], s[0:1]
; %bb.809:                              ;   in Loop: Header=BB276_424 Depth=1
	s_mov_b32 s26, 0x7fc02000
	s_xor_b64 s[6:7], exec, -1
; %bb.810:                              ;   in Loop: Header=BB276_424 Depth=1
	s_or_b64 exec, exec, s[18:19]
	s_and_b64 s[6:7], s[6:7], exec
	s_or_saveexec_b64 s[8:9], s[8:9]
	v_mov_b32_e32 v16, s26
	s_xor_b64 exec, exec, s[8:9]
	s_cbranch_execz .LBB276_616
.LBB276_811:                            ;   in Loop: Header=BB276_424 Depth=1
	v_cmp_ne_u16_e64 s[0:1], 0, v6
	s_andn2_b64 s[6:7], s[6:7], exec
	s_and_b64 s[0:1], s[0:1], exec
	v_mov_b32_e32 v16, 0
	s_or_b64 s[6:7], s[6:7], s[0:1]
	s_or_b64 exec, exec, s[8:9]
	s_and_saveexec_b64 s[8:9], s[6:7]
	s_cbranch_execnz .LBB276_617
	s_branch .LBB276_618
.LBB276_812:                            ;   in Loop: Header=BB276_424 Depth=1
	v_cmp_eq_u16_sdwa s[26:27], v6, s20 src0_sel:BYTE_0 src1_sel:DWORD
	s_mov_b64 s[0:1], -1
                                        ; implicit-def: $sgpr18
	s_and_saveexec_b64 s[8:9], s[26:27]
; %bb.813:                              ;   in Loop: Header=BB276_424 Depth=1
	s_mov_b32 s18, 0x7fc02000
	s_xor_b64 s[0:1], exec, -1
; %bb.814:                              ;   in Loop: Header=BB276_424 Depth=1
	s_or_b64 exec, exec, s[8:9]
	s_and_b64 s[0:1], s[0:1], exec
	s_or_saveexec_b64 s[6:7], s[6:7]
	v_mov_b32_e32 v18, s18
	s_xor_b64 exec, exec, s[6:7]
	s_cbranch_execz .LBB276_620
.LBB276_815:                            ;   in Loop: Header=BB276_424 Depth=1
	v_cmp_ne_u16_sdwa s[8:9], v6, v7 src0_sel:BYTE_0 src1_sel:DWORD
	s_andn2_b64 s[0:1], s[0:1], exec
	s_and_b64 s[8:9], s[8:9], exec
	v_mov_b32_e32 v18, 0
	s_or_b64 s[0:1], s[0:1], s[8:9]
	s_or_b64 exec, exec, s[6:7]
	s_and_saveexec_b64 s[6:7], s[0:1]
	s_cbranch_execnz .LBB276_621
	s_branch .LBB276_622
.LBB276_816:                            ;   in Loop: Header=BB276_424 Depth=1
	v_cmp_eq_u16_e64 s[0:1], s20, v6
	s_mov_b64 s[6:7], -1
                                        ; implicit-def: $sgpr26
	s_and_saveexec_b64 s[18:19], s[0:1]
; %bb.817:                              ;   in Loop: Header=BB276_424 Depth=1
	s_mov_b32 s26, 0x7fc02000
	s_xor_b64 s[6:7], exec, -1
; %bb.818:                              ;   in Loop: Header=BB276_424 Depth=1
	s_or_b64 exec, exec, s[18:19]
	s_and_b64 s[6:7], s[6:7], exec
	s_or_saveexec_b64 s[8:9], s[8:9]
	v_mov_b32_e32 v22, s26
	s_xor_b64 exec, exec, s[8:9]
	s_cbranch_execz .LBB276_624
.LBB276_819:                            ;   in Loop: Header=BB276_424 Depth=1
	v_cmp_ne_u16_e64 s[0:1], 0, v6
	s_andn2_b64 s[6:7], s[6:7], exec
	s_and_b64 s[0:1], s[0:1], exec
	v_mov_b32_e32 v22, 0
	s_or_b64 s[6:7], s[6:7], s[0:1]
	s_or_b64 exec, exec, s[8:9]
	s_and_saveexec_b64 s[8:9], s[6:7]
	s_cbranch_execnz .LBB276_625
	s_branch .LBB276_626
.LBB276_820:
	s_or_b64 exec, exec, s[4:5]
	v_accvgpr_read_b32 v18, a2
.LBB276_821:
	s_or_b64 exec, exec, s[2:3]
	ds_bpermute_b32 v0, v30, v20
	ds_bpermute_b32 v1, v30, v21
	;; [unrolled: 1-line block ×6, first 2 shown]
	s_waitcnt lgkmcnt(4)
	v_pk_add_f32 v[0:1], v[20:21], v[0:1]
	ds_bpermute_b32 v10, v31, v0
	ds_bpermute_b32 v11, v31, v1
	s_waitcnt lgkmcnt(4)
	v_pk_add_f32 v[2:3], v[8:9], v[2:3]
	s_waitcnt lgkmcnt(2)
	v_pk_add_f32 v[12:13], v[4:5], v[6:7]
	ds_bpermute_b32 v8, v31, v2
	ds_bpermute_b32 v9, v31, v3
	;; [unrolled: 1-line block ×4, first 2 shown]
	s_waitcnt lgkmcnt(4)
	v_pk_add_f32 v[6:7], v[0:1], v[10:11]
	v_and_b32_e32 v0, 0x3c3, v18
	s_waitcnt lgkmcnt(2)
	v_pk_add_f32 v[4:5], v[2:3], v[8:9]
	v_cmp_eq_u32_e32 vcc, 64, v0
	s_waitcnt lgkmcnt(0)
	v_pk_add_f32 v[2:3], v[12:13], v[14:15]
	s_barrier
	s_and_saveexec_b64 s[0:1], vcc
	s_cbranch_execz .LBB276_823
; %bb.822:
	s_ashr_i32 s17, s16, 31
	s_lshl_b64 s[2:3], s[16:17], 2
	s_getpc_b64 s[4:5]
	s_add_u32 s4, s4, llvm.amdgcn.dynlds.offset.table@rel32@lo+4
	s_addc_u32 s5, s5, llvm.amdgcn.dynlds.offset.table@rel32@hi+12
	s_add_u32 s2, s2, s4
	s_addc_u32 s3, s3, s5
	s_load_dword s2, s[2:3], 0x0
	s_waitcnt lgkmcnt(0)
	v_add_u32_e32 v1, s2, v19
	ds_write2_b32 v1, v6, v7 offset1:16
	ds_write2_b32 v1, v4, v5 offset0:32 offset1:48
	ds_write2_b32 v1, v2, v3 offset0:64 offset1:80
.LBB276_823:
	s_or_b64 exec, exec, s[0:1]
	v_cmp_gt_u32_e32 vcc, 64, v18
	s_waitcnt lgkmcnt(0)
	s_barrier
	s_and_saveexec_b64 s[0:1], vcc
	s_cbranch_execz .LBB276_832
; %bb.824:
	v_cmp_eq_u32_e32 vcc, 0, v35
	v_lshrrev_b32_e32 v1, 2, v18
	s_and_saveexec_b64 s[2:3], vcc
	s_cbranch_execnz .LBB276_835
; %bb.825:
	s_or_b64 exec, exec, s[2:3]
	s_and_saveexec_b64 s[2:3], vcc
	s_cbranch_execnz .LBB276_836
.LBB276_826:
	s_or_b64 exec, exec, s[2:3]
	s_and_saveexec_b64 s[2:3], vcc
	s_cbranch_execnz .LBB276_837
.LBB276_827:
	s_or_b64 exec, exec, s[2:3]
	s_and_saveexec_b64 s[2:3], vcc
	s_cbranch_execnz .LBB276_838
.LBB276_828:
	s_or_b64 exec, exec, s[2:3]
	s_and_saveexec_b64 s[2:3], vcc
	s_cbranch_execnz .LBB276_839
.LBB276_829:
	s_or_b64 exec, exec, s[2:3]
	s_and_saveexec_b64 s[2:3], vcc
	s_cbranch_execz .LBB276_831
.LBB276_830:
	s_ashr_i32 s17, s16, 31
	s_lshl_b64 s[4:5], s[16:17], 2
	s_getpc_b64 s[6:7]
	s_add_u32 s6, s6, llvm.amdgcn.dynlds.offset.table@rel32@lo+4
	s_addc_u32 s7, s7, llvm.amdgcn.dynlds.offset.table@rel32@hi+12
	s_add_u32 s4, s4, s6
	s_addc_u32 s5, s5, s7
	s_load_dword s4, s[4:5], 0x0
	s_waitcnt lgkmcnt(0)
	v_lshl_add_u32 v1, v1, 2, s4
	ds_read_b32 v1, v1 offset:320
	s_waitcnt lgkmcnt(0)
	v_add_f32_e32 v3, v3, v1
.LBB276_831:
	s_or_b64 exec, exec, s[2:3]
.LBB276_832:
	s_or_b64 exec, exec, s[0:1]
	v_cmp_eq_u32_e32 vcc, 0, v0
	s_barrier
	s_and_saveexec_b64 s[0:1], vcc
	s_cbranch_execz .LBB276_834
; %bb.833:
	v_cmp_ne_u16_e64 s[2:3], s15, 0
	s_cmp_lg_u64 s[2:3], 0
	s_addc_u32 s4, s13, 0
	s_mul_i32 s2, s4, s10
	s_mul_i32 s2, s2, s11
	s_mulk_i32 s2, 0x60
	s_mul_i32 s4, s12, s4
	s_mul_i32 s6, s14, 0x60
	s_ashr_i32 s3, s2, 31
	s_ashr_i32 s5, s4, 31
	;; [unrolled: 1-line block ×3, first 2 shown]
	s_lshl_b64 s[2:3], s[2:3], 1
	s_lshl_b64 s[4:5], s[4:5], 1
	s_lshl_b64 s[6:7], s[6:7], 1
	s_add_u32 s4, s6, s4
	s_addc_u32 s5, s7, s5
	s_add_u32 s2, s4, s2
	v_accvgpr_read_b32 v0, a0
	s_addc_u32 s3, s5, s3
	v_accvgpr_read_b32 v1, a1
	v_lshl_add_u64 v[0:1], s[2:3], 0, v[0:1]
	v_lshrrev_b32_e32 v8, 1, v18
	v_mov_b32_e32 v9, 0
	v_lshl_add_u64 v[0:1], v[0:1], 0, v[8:9]
	;;#ASMSTART
	v_cvt_f16_f32 v6, v6;

	;;#ASMEND
	flat_store_short v[0:1], v6
	;;#ASMSTART
	v_cvt_f16_f32 v6, v7;

	;;#ASMEND
	flat_store_short v[0:1], v6 offset:32
	;;#ASMSTART
	v_cvt_f16_f32 v4, v4;

	;;#ASMEND
	flat_store_short v[0:1], v4 offset:64
	;;#ASMSTART
	v_cvt_f16_f32 v4, v5;

	;;#ASMEND
	flat_store_short v[0:1], v4 offset:96
	;;#ASMSTART
	v_cvt_f16_f32 v2, v2;

	;;#ASMEND
	flat_store_short v[0:1], v2 offset:128
	;;#ASMSTART
	v_cvt_f16_f32 v2, v3;

	;;#ASMEND
	flat_store_short v[0:1], v2 offset:160
.LBB276_834:
	s_or_b64 exec, exec, s[0:1]
	scratch_load_dword a32, off, s32        ; 4-byte Folded Reload
	scratch_load_dword v63, off, s32 offset:4 ; 4-byte Folded Reload
	scratch_load_dword v62, off, s32 offset:8 ; 4-byte Folded Reload
	;; [unrolled: 1-line block ×16, first 2 shown]
	s_waitcnt vmcnt(0) lgkmcnt(0)
	s_setpc_b64 s[30:31]
.LBB276_835:
	s_ashr_i32 s17, s16, 31
	s_lshl_b64 s[4:5], s[16:17], 2
	s_getpc_b64 s[6:7]
	s_add_u32 s6, s6, llvm.amdgcn.dynlds.offset.table@rel32@lo+4
	s_addc_u32 s7, s7, llvm.amdgcn.dynlds.offset.table@rel32@hi+12
	s_add_u32 s4, s4, s6
	s_addc_u32 s5, s5, s7
	s_load_dword s4, s[4:5], 0x0
	s_waitcnt lgkmcnt(0)
	v_lshl_add_u32 v8, v1, 2, s4
	ds_read_b32 v8, v8
	s_waitcnt lgkmcnt(0)
	v_add_f32_e32 v6, v6, v8
	s_or_b64 exec, exec, s[2:3]
	s_and_saveexec_b64 s[2:3], vcc
	s_cbranch_execz .LBB276_826
.LBB276_836:
	s_ashr_i32 s17, s16, 31
	s_lshl_b64 s[4:5], s[16:17], 2
	s_getpc_b64 s[6:7]
	s_add_u32 s6, s6, llvm.amdgcn.dynlds.offset.table@rel32@lo+4
	s_addc_u32 s7, s7, llvm.amdgcn.dynlds.offset.table@rel32@hi+12
	s_add_u32 s4, s4, s6
	s_addc_u32 s5, s5, s7
	s_load_dword s4, s[4:5], 0x0
	s_waitcnt lgkmcnt(0)
	v_lshl_add_u32 v8, v1, 2, s4
	ds_read_b32 v8, v8 offset:64
	s_waitcnt lgkmcnt(0)
	v_add_f32_e32 v7, v7, v8
	s_or_b64 exec, exec, s[2:3]
	s_and_saveexec_b64 s[2:3], vcc
	s_cbranch_execz .LBB276_827
.LBB276_837:
	s_ashr_i32 s17, s16, 31
	s_lshl_b64 s[4:5], s[16:17], 2
	s_getpc_b64 s[6:7]
	s_add_u32 s6, s6, llvm.amdgcn.dynlds.offset.table@rel32@lo+4
	s_addc_u32 s7, s7, llvm.amdgcn.dynlds.offset.table@rel32@hi+12
	s_add_u32 s4, s4, s6
	s_addc_u32 s5, s5, s7
	s_load_dword s4, s[4:5], 0x0
	s_waitcnt lgkmcnt(0)
	v_lshl_add_u32 v8, v1, 2, s4
	ds_read_b32 v8, v8 offset:128
	s_waitcnt lgkmcnt(0)
	v_add_f32_e32 v4, v4, v8
	s_or_b64 exec, exec, s[2:3]
	s_and_saveexec_b64 s[2:3], vcc
	s_cbranch_execz .LBB276_828
.LBB276_838:
	s_ashr_i32 s17, s16, 31
	s_lshl_b64 s[4:5], s[16:17], 2
	s_getpc_b64 s[6:7]
	s_add_u32 s6, s6, llvm.amdgcn.dynlds.offset.table@rel32@lo+4
	s_addc_u32 s7, s7, llvm.amdgcn.dynlds.offset.table@rel32@hi+12
	s_add_u32 s4, s4, s6
	s_addc_u32 s5, s5, s7
	s_load_dword s4, s[4:5], 0x0
	s_waitcnt lgkmcnt(0)
	v_lshl_add_u32 v8, v1, 2, s4
	ds_read_b32 v8, v8 offset:192
	s_waitcnt lgkmcnt(0)
	v_add_f32_e32 v5, v5, v8
	s_or_b64 exec, exec, s[2:3]
	s_and_saveexec_b64 s[2:3], vcc
	s_cbranch_execz .LBB276_829
.LBB276_839:
	s_ashr_i32 s17, s16, 31
	s_lshl_b64 s[4:5], s[16:17], 2
	s_getpc_b64 s[6:7]
	s_add_u32 s6, s6, llvm.amdgcn.dynlds.offset.table@rel32@lo+4
	s_addc_u32 s7, s7, llvm.amdgcn.dynlds.offset.table@rel32@hi+12
	s_add_u32 s4, s4, s6
	s_addc_u32 s5, s5, s7
	s_load_dword s4, s[4:5], 0x0
	s_waitcnt lgkmcnt(0)
	v_lshl_add_u32 v8, v1, 2, s4
	ds_read_b32 v8, v8 offset:256
	s_waitcnt lgkmcnt(0)
	v_add_f32_e32 v2, v2, v8
	s_or_b64 exec, exec, s[2:3]
	s_and_saveexec_b64 s[2:3], vcc
	s_cbranch_execnz .LBB276_830
	s_branch .LBB276_831
.Lfunc_end276:
	.size	_ZN4vllm22paged_attention_kernelIthLi96ELi32ELi128ELNS_18Fp8KVCacheDataTypeE1ELb0ELi0EEEvPfS2_PT_PKS3_PKT0_S9_ifPKiSB_iPKfiiiSD_SD_iiiii, .Lfunc_end276-_ZN4vllm22paged_attention_kernelIthLi96ELi32ELi128ELNS_18Fp8KVCacheDataTypeE1ELb0ELi0EEEvPfS2_PT_PKS3_PKT0_S9_ifPKiSB_iPKfiiiSD_SD_iiiii
                                        ; -- End function
	.section	.AMDGPU.csdata,"",@progbits
; Function info:
; codeLenInByte = 34392
; NumSgprs: 39
; NumVgprs: 64
; NumAgprs: 33
; TotalNumVgprs: 97
; ScratchSize: 80
; MemoryBound: 0
	.section	.text._ZN4vllm25paged_attention_v1_kernelIthLi96ELi32ELi128ELNS_18Fp8KVCacheDataTypeE1ELb0EEEvPT_PKS2_PKT0_S8_ifPKiSA_iPKfiiiSC_SC_iiiii,"axG",@progbits,_ZN4vllm25paged_attention_v1_kernelIthLi96ELi32ELi128ELNS_18Fp8KVCacheDataTypeE1ELb0EEEvPT_PKS2_PKT0_S8_ifPKiSA_iPKfiiiSC_SC_iiiii,comdat
	.protected	_ZN4vllm25paged_attention_v1_kernelIthLi96ELi32ELi128ELNS_18Fp8KVCacheDataTypeE1ELb0EEEvPT_PKS2_PKT0_S8_ifPKiSA_iPKfiiiSC_SC_iiiii ; -- Begin function _ZN4vllm25paged_attention_v1_kernelIthLi96ELi32ELi128ELNS_18Fp8KVCacheDataTypeE1ELb0EEEvPT_PKS2_PKT0_S8_ifPKiSA_iPKfiiiSC_SC_iiiii
	.globl	_ZN4vllm25paged_attention_v1_kernelIthLi96ELi32ELi128ELNS_18Fp8KVCacheDataTypeE1ELb0EEEvPT_PKS2_PKT0_S8_ifPKiSA_iPKfiiiSC_SC_iiiii
	.p2align	8
	.type	_ZN4vllm25paged_attention_v1_kernelIthLi96ELi32ELi128ELNS_18Fp8KVCacheDataTypeE1ELb0EEEvPT_PKS2_PKT0_S8_ifPKiSA_iPKfiiiSC_SC_iiiii,@function
_ZN4vllm25paged_attention_v1_kernelIthLi96ELi32ELi128ELNS_18Fp8KVCacheDataTypeE1ELb0EEEvPT_PKS2_PKT0_S8_ifPKiSA_iPKfiiiSC_SC_iiiii: ; @_ZN4vllm25paged_attention_v1_kernelIthLi96ELi32ELi128ELNS_18Fp8KVCacheDataTypeE1ELb0EEEvPT_PKS2_PKT0_S8_ifPKiSA_iPKfiiiSC_SC_iiiii
; %bb.0:
	s_load_dwordx8 s[16:23], s[0:1], 0x0
	s_load_dwordx4 s[36:39], s[0:1], 0x20
	s_load_dwordx2 s[6:7], s[0:1], 0x30
	s_load_dword s5, s[0:1], 0x38
	s_load_dwordx2 s[10:11], s[0:1], 0x40
	s_load_dwordx8 s[24:31], s[0:1], 0x48
	s_add_u32 s8, s0, 0x80
	s_addc_u32 s9, s1, 0
	s_mov_b32 s12, s2
	s_mov_b32 s13, s3
	;; [unrolled: 1-line block ×4, first 2 shown]
	v_mov_b32_e32 v31, v0
	s_waitcnt lgkmcnt(0)
	v_mov_b32_e32 v0, s16
	v_mov_b32_e32 v1, s17
	;; [unrolled: 1-line block ×24, first 2 shown]
	s_mov_b32 s32, 0
	s_getpc_b64 s[0:1]
	s_add_u32 s0, s0, _ZN4vllm22paged_attention_kernelIthLi96ELi32ELi128ELNS_18Fp8KVCacheDataTypeE1ELb0ELi0EEEvPfS2_PT_PKS3_PKT0_S9_ifPKiSB_iPKfiiiSD_SD_iiiii@rel32@lo+4
	s_addc_u32 s1, s1, _ZN4vllm22paged_attention_kernelIthLi96ELi32ELi128ELNS_18Fp8KVCacheDataTypeE1ELb0ELi0EEEvPfS2_PT_PKS3_PKT0_S9_ifPKiSB_iPKfiiiSD_SD_iiiii@rel32@hi+12
	s_swappc_b64 s[30:31], s[0:1]
	s_endpgm
	.section	.rodata,"a",@progbits
	.p2align	6, 0x0
	.amdhsa_kernel _ZN4vllm25paged_attention_v1_kernelIthLi96ELi32ELi128ELNS_18Fp8KVCacheDataTypeE1ELb0EEEvPT_PKS2_PKT0_S8_ifPKiSA_iPKfiiiSC_SC_iiiii
		.amdhsa_group_segment_fixed_size 208
		.amdhsa_private_segment_fixed_size 80
		.amdhsa_kernarg_size 384
		.amdhsa_user_sgpr_count 2
		.amdhsa_user_sgpr_dispatch_ptr 0
		.amdhsa_user_sgpr_queue_ptr 0
		.amdhsa_user_sgpr_kernarg_segment_ptr 1
		.amdhsa_user_sgpr_dispatch_id 0
		.amdhsa_user_sgpr_kernarg_preload_length 0
		.amdhsa_user_sgpr_kernarg_preload_offset 0
		.amdhsa_user_sgpr_private_segment_size 0
		.amdhsa_uses_dynamic_stack 0
		.amdhsa_enable_private_segment 1
		.amdhsa_system_sgpr_workgroup_id_x 1
		.amdhsa_system_sgpr_workgroup_id_y 1
		.amdhsa_system_sgpr_workgroup_id_z 1
		.amdhsa_system_sgpr_workgroup_info 0
		.amdhsa_system_vgpr_workitem_id 0
		.amdhsa_next_free_vgpr 97
		.amdhsa_next_free_sgpr 40
		.amdhsa_accum_offset 64
		.amdhsa_reserve_vcc 1
		.amdhsa_float_round_mode_32 0
		.amdhsa_float_round_mode_16_64 0
		.amdhsa_float_denorm_mode_32 3
		.amdhsa_float_denorm_mode_16_64 3
		.amdhsa_dx10_clamp 1
		.amdhsa_ieee_mode 1
		.amdhsa_fp16_overflow 0
		.amdhsa_tg_split 0
		.amdhsa_exception_fp_ieee_invalid_op 0
		.amdhsa_exception_fp_denorm_src 0
		.amdhsa_exception_fp_ieee_div_zero 0
		.amdhsa_exception_fp_ieee_overflow 0
		.amdhsa_exception_fp_ieee_underflow 0
		.amdhsa_exception_fp_ieee_inexact 0
		.amdhsa_exception_int_div_zero 0
	.end_amdhsa_kernel
	.section	.text._ZN4vllm25paged_attention_v1_kernelIthLi96ELi32ELi128ELNS_18Fp8KVCacheDataTypeE1ELb0EEEvPT_PKS2_PKT0_S8_ifPKiSA_iPKfiiiSC_SC_iiiii,"axG",@progbits,_ZN4vllm25paged_attention_v1_kernelIthLi96ELi32ELi128ELNS_18Fp8KVCacheDataTypeE1ELb0EEEvPT_PKS2_PKT0_S8_ifPKiSA_iPKfiiiSC_SC_iiiii,comdat
.Lfunc_end277:
	.size	_ZN4vllm25paged_attention_v1_kernelIthLi96ELi32ELi128ELNS_18Fp8KVCacheDataTypeE1ELb0EEEvPT_PKS2_PKT0_S8_ifPKiSA_iPKfiiiSC_SC_iiiii, .Lfunc_end277-_ZN4vllm25paged_attention_v1_kernelIthLi96ELi32ELi128ELNS_18Fp8KVCacheDataTypeE1ELb0EEEvPT_PKS2_PKT0_S8_ifPKiSA_iPKfiiiSC_SC_iiiii
                                        ; -- End function
	.section	.AMDGPU.csdata,"",@progbits
; Kernel info:
; codeLenInByte = 212
; NumSgprs: 46
; NumVgprs: 64
; NumAgprs: 33
; TotalNumVgprs: 97
; ScratchSize: 80
; MemoryBound: 0
; FloatMode: 240
; IeeeMode: 1
; LDSByteSize: 208 bytes/workgroup (compile time only)
; SGPRBlocks: 5
; VGPRBlocks: 12
; NumSGPRsForWavesPerEU: 46
; NumVGPRsForWavesPerEU: 97
; AccumOffset: 64
; Occupancy: 4
; WaveLimiterHint : 1
; COMPUTE_PGM_RSRC2:SCRATCH_EN: 1
; COMPUTE_PGM_RSRC2:USER_SGPR: 2
; COMPUTE_PGM_RSRC2:TRAP_HANDLER: 0
; COMPUTE_PGM_RSRC2:TGID_X_EN: 1
; COMPUTE_PGM_RSRC2:TGID_Y_EN: 1
; COMPUTE_PGM_RSRC2:TGID_Z_EN: 1
; COMPUTE_PGM_RSRC2:TIDIG_COMP_CNT: 0
; COMPUTE_PGM_RSRC3_GFX90A:ACCUM_OFFSET: 15
; COMPUTE_PGM_RSRC3_GFX90A:TG_SPLIT: 0
	.text
	.p2align	2                               ; -- Begin function _ZN4vllm22paged_attention_kernelIthLi112ELi32ELi128ELNS_18Fp8KVCacheDataTypeE1ELb0ELi0EEEvPfS2_PT_PKS3_PKT0_S9_ifPKiSB_iPKfiiiSD_SD_iiiii
	.type	_ZN4vllm22paged_attention_kernelIthLi112ELi32ELi128ELNS_18Fp8KVCacheDataTypeE1ELb0ELi0EEEvPfS2_PT_PKS3_PKT0_S9_ifPKiSB_iPKfiiiSD_SD_iiiii,@function
_ZN4vllm22paged_attention_kernelIthLi112ELi32ELi128ELNS_18Fp8KVCacheDataTypeE1ELb0ELi0EEEvPfS2_PT_PKS3_PKT0_S9_ifPKiSB_iPKfiiiSD_SD_iiiii: ; @_ZN4vllm22paged_attention_kernelIthLi112ELi32ELi128ELNS_18Fp8KVCacheDataTypeE1ELb0ELi0EEEvPfS2_PT_PKS3_PKT0_S9_ifPKiSB_iPKfiiiSD_SD_iiiii
; %bb.0:
	s_waitcnt vmcnt(0) expcnt(0) lgkmcnt(0)
	scratch_store_dword off, v40, s32 offset:112 ; 4-byte Folded Spill
	scratch_store_dword off, v41, s32 offset:108 ; 4-byte Folded Spill
	;; [unrolled: 1-line block ×28, first 2 shown]
	scratch_store_dword off, a44, s32       ; 4-byte Folded Spill
	s_mov_b32 s10, s13
	v_accvgpr_write_b32 a0, v0
	s_ashr_i32 s11, s13, 31
	v_accvgpr_write_b32 a1, v1
	v_lshl_add_u64 v[0:1], s[10:11], 2, v[12:13]
	flat_load_dword a8, v[0:1]
	v_sub_u32_e32 v0, 0, v8
	v_max_i32_e32 v0, v8, v0
	v_cvt_f32_u32_e32 v1, v0
	s_load_dword s0, s[8:9], 0x10
	s_load_dword s2, s[8:9], 0x0
	v_accvgpr_write_b32 a13, v7
	v_accvgpr_write_b32 a12, v6
	v_rcp_iflag_f32_e32 v1, v1
	s_waitcnt lgkmcnt(0)
	s_lshr_b32 s0, s0, 16
	s_cmp_lg_u32 s0, 0
	s_cselect_b64 s[0:1], -1, 0
	v_mul_f32_e32 v1, 0x4f7ffffe, v1
	v_cvt_u32_f32_e32 v1, v1
	v_sub_u32_e32 v7, 0, v0
	s_cmp_lg_u64 s[0:1], 0
	s_addc_u32 s11, s2, 0
	v_mul_lo_u32 v7, v7, v1
	v_mul_hi_u32 v7, v1, v7
	s_abs_i32 s0, s11
	v_add_u32_e32 v1, v1, v7
	v_mul_hi_u32 v1, s0, v1
	v_mul_lo_u32 v7, v1, v0
	v_sub_u32_e32 v7, s0, v7
	v_xor_b32_e32 v6, s11, v8
	v_add_u32_e32 v8, 1, v1
	v_cmp_ge_u32_e32 vcc, v7, v0
	v_ashrrev_i32_e32 v6, 31, v6
	v_mov_b32_e32 v25, v16
	v_cndmask_b32_e32 v1, v1, v8, vcc
	v_sub_u32_e32 v8, v7, v0
	v_cndmask_b32_e32 v7, v7, v8, vcc
	v_add_u32_e32 v8, 1, v1
	v_cmp_ge_u32_e32 vcc, v7, v0
	v_mov_b32_e32 v24, v15
	v_accvgpr_write_b32 a4, v22
	v_cndmask_b32_e32 v0, v1, v8, vcc
	v_xor_b32_e32 v0, v0, v6
	v_sub_u32_e32 v1, v0, v6
	v_sub_u32_e32 v0, 0, v1
	v_max_i32_e32 v0, v1, v0
	v_cvt_f32_u32_e32 v6, v0
	v_sub_u32_e32 v7, 0, v0
	v_accvgpr_write_b32 a20, v20
	v_accvgpr_write_b32 a10, v10
	v_rcp_iflag_f32_e32 v6, v6
	s_abs_i32 s2, s12
	v_accvgpr_write_b32 a5, v23
	v_accvgpr_write_b32 a21, v21
	v_mul_f32_e32 v6, 0x4f7ffffe, v6
	v_cvt_u32_f32_e32 v6, v6
	v_accvgpr_write_b32 a6, v18
	v_accvgpr_write_b32 a11, v11
	;; [unrolled: 1-line block ×3, first 2 shown]
	v_mul_lo_u32 v7, v7, v6
	v_mul_hi_u32 v7, v6, v7
	v_add_u32_e32 v6, v6, v7
	s_mov_b32 s16, s15
	v_mad_u64_u32 v[26:27], s[0:1], s2, v6, 0
	v_cmp_ne_u64_e32 vcc, 0, v[24:25]
	v_mov_b32_e32 v6, 0
	scratch_store_dword off, v6, s32 offset:120 ; 4-byte Folded Spill
	s_and_saveexec_b64 s[0:1], vcc
	s_cbranch_execz .LBB278_2
; %bb.1:
	s_ashr_i32 s13, s12, 31
	v_lshl_add_u64 v[6:7], s[12:13], 2, v[24:25]
	flat_load_dword v6, v[6:7]
	s_waitcnt vmcnt(0) lgkmcnt(0)
	scratch_store_dword off, v6, s32 offset:120 ; 4-byte Folded Spill
.LBB278_2:
	s_or_b64 exec, exec, s[0:1]
	v_and_b32_e32 v10, 0x3ff, v31
	v_lshlrev_b32_e32 v8, 3, v10
	s_ashr_i32 s3, s12, 31
	v_ashrrev_i32_e32 v6, 31, v1
	v_and_b32_e32 v1, 1, v10
	s_movk_i32 s4, 0x70
	s_mulk_i32 s12, 0x70
	v_cmp_gt_u32_e32 vcc, 28, v10
	v_accvgpr_write_b32 a14, v8
	s_and_saveexec_b64 s[0:1], vcc
	s_cbranch_execz .LBB278_4
; %bb.3:
	v_mul_lo_u32 v8, s10, v17
	v_ashrrev_i32_e32 v9, 31, v8
	v_lshl_add_u64 v[2:3], v[8:9], 1, v[2:3]
	s_ashr_i32 s13, s12, 31
	v_lshl_add_u64 v[2:3], s[12:13], 1, v[2:3]
	v_accvgpr_read_b32 v8, a14
	v_mov_b32_e32 v9, 0
	v_lshl_add_u64 v[2:3], v[2:3], 0, v[8:9]
	flat_load_dwordx2 v[2:3], v[2:3]
	v_lshlrev_b32_e32 v7, 2, v10
	v_and_b32_e32 v7, 0xff8, v7
	v_mad_u32_u24 v7, v1, s4, v7
	s_waitcnt vmcnt(0) lgkmcnt(0)
	ds_write_b64 v7, v[2:3]
.LBB278_4:
	s_or_b64 exec, exec, s[0:1]
	s_waitcnt vmcnt(0)
	v_accvgpr_read_b32 v2, a8
	v_add_u32_e32 v2, 31, v2
	v_ashrrev_i32_e32 v3, 31, v2
	v_lshrrev_b32_e32 v3, 27, v3
	v_add_u32_e32 v2, v2, v3
	v_mul_lo_u32 v3, v27, v0
	v_sub_u32_e32 v3, s2, v3
	v_ashrrev_i32_e32 v8, 5, v2
	v_xor_b32_e32 v2, s3, v6
	v_add_u32_e32 v6, 1, v27
	v_cmp_ge_u32_e32 vcc, v3, v0
	v_sub_u32_e32 v7, v3, v0
	v_lshrrev_b32_e32 v9, 6, v10
	v_cndmask_b32_e32 v6, v27, v6, vcc
	v_cndmask_b32_e32 v3, v3, v7, vcc
	v_add_u32_e32 v7, 1, v6
	v_cmp_ge_u32_e32 vcc, v3, v0
	v_accvgpr_write_b32 a2, v10
	v_cmp_lt_i32_e64 s[0:1], v9, v8
	v_cndmask_b32_e32 v0, v6, v7, vcc
	v_mul_lo_u32 v6, s10, v14
	v_ashrrev_i32_e32 v7, 31, v6
	v_xor_b32_e32 v0, v0, v2
	v_accvgpr_write_b32 a17, v7
	v_sub_u32_e32 v3, v0, v2
	v_accvgpr_write_b32 a16, v6
	v_accvgpr_write_b32 a3, v8
	v_accvgpr_write_b32 a7, v9
	v_cmp_ge_i32_e32 vcc, v9, v8
	v_mbcnt_lo_u32_b32 v2, -1, 0
	s_waitcnt lgkmcnt(0)
	s_barrier
	s_waitcnt lgkmcnt(0)
                                        ; implicit-def: $sgpr4
                                        ; implicit-def: $agpr22
                                        ; implicit-def: $vgpr0
	s_and_saveexec_b64 s[2:3], vcc
	s_xor_b64 s[2:3], exec, s[2:3]
; %bb.5:
	v_mbcnt_hi_u32_b32 v0, -1, v2
	v_accvgpr_write_b32 a22, v0
	v_and_b32_e32 v0, 64, v0
	v_add_u32_e32 v0, 64, v0
	s_mov_b32 s4, 0xff7fffff
                                        ; implicit-def: $vgpr1
                                        ; kill: killed $vgpr1
                                        ; implicit-def: $agpr15
                                        ; implicit-def: $agpr20
                                        ; implicit-def: $vgpr4
                                        ; implicit-def: $vgpr1
                                        ; implicit-def: $vgpr2
; %bb.6:
	s_or_saveexec_b64 s[6:7], s[2:3]
	v_mov_b32_e32 v6, s4
	s_load_dword s15, s[8:9], 0x14
	s_load_dword s13, s[8:9], 0x8
	scratch_store_dword off, v6, s32 offset:116 ; 4-byte Folded Spill
	v_mul_lo_u32 v6, v3, v19
	v_ashrrev_i32_e32 v7, 31, v6
	v_accvgpr_write_b32 a19, v7
	v_accvgpr_read_b32 v3, a2
	v_accvgpr_write_b32 a18, v6
	v_lshrrev_b32_e32 v6, 4, v3
	v_accvgpr_write_b32 a9, v6
	s_xor_b64 exec, exec, s[6:7]
	s_cbranch_execz .LBB278_460
; %bb.7:
	v_mul_u32_u24_e32 v0, 0x70, v1
	v_accvgpr_write_b32 a23, v0
	scratch_load_dword v0, off, s32 offset:120 ; 4-byte Folded Reload
	v_accvgpr_read_b32 v6, a18
	v_bfe_u32 v3, v3, 1, 5
	v_accvgpr_read_b32 v7, a19
	v_lshl_add_u64 v[6:7], v[4:5], 0, v[6:7]
	v_lshlrev_b32_e32 v4, 4, v3
	v_mov_b32_e32 v5, 0
	v_lshl_add_u64 v[6:7], v[6:7], 0, v[4:5]
	v_accvgpr_write_b32 a25, v7
	v_accvgpr_write_b32 a24, v6
	v_mov_b32_e32 v7, v5
	v_lshlrev_b32_e32 v6, 2, v1
	v_cmp_eq_u32_e32 vcc, 0, v1
	v_accvgpr_write_b32 a27, v7
	v_accvgpr_write_b32 a26, v6
	v_accvgpr_read_b32 v6, a10
	v_accvgpr_read_b32 v7, a11
	s_ashr_i32 s17, s16, 31
	s_lshl_b64 s[4:5], s[16:17], 2
	s_getpc_b64 s[8:9]
	s_add_u32 s8, s8, llvm.amdgcn.dynlds.offset.table@rel32@lo+4
	s_addc_u32 s9, s9, llvm.amdgcn.dynlds.offset.table@rel32@hi+12
	s_add_u32 s8, s4, s8
	s_addc_u32 s9, s5, s9
	s_mov_b64 s[18:19], 0
	s_movk_i32 s17, 0x7f
	s_movk_i32 s26, 0x80
	s_mov_b32 s27, 0x8000
	s_waitcnt vmcnt(0)
	v_cmp_neq_f32_e64 s[2:3], 0, v0
	v_accvgpr_read_b32 v0, a9
	v_and_b32_e32 v4, 60, v0
	v_accvgpr_read_b32 v0, a16
	v_accvgpr_read_b32 v1, a17
	v_lshl_add_u64 v[0:1], v[0:1], 2, v[4:5]
	v_lshl_add_u64 v[0:1], v[6:7], 0, v[0:1]
	v_accvgpr_write_b32 a29, v1
	v_accvgpr_write_b32 a28, v0
	v_accvgpr_read_b32 v0, a8
	v_sub_u32_e32 v0, 1, v0
	v_accvgpr_read_b32 v1, a7
	v_accvgpr_write_b32 a30, v0
	v_lshl_or_b32 v0, v1, 5, v3
	v_accvgpr_write_b32 a31, v0
	v_lshlrev_b32_e32 v0, 2, v3
	v_lshl_or_b32 v0, v1, 7, v0
	v_accvgpr_write_b32 a32, v0
	v_mov_b32_e32 v0, 0xff7fffff
	scratch_store_dword off, v0, s32 offset:116 ; 4-byte Folded Spill
	v_mbcnt_hi_u32_b32 v0, -1, v2
	v_accvgpr_write_b32 a22, v0
	v_accvgpr_read_b32 v7, a7
	s_branch .LBB278_9
.LBB278_8:                              ;   in Loop: Header=BB278_9 Depth=1
	s_or_b64 exec, exec, s[20:21]
	v_accvgpr_read_b32 v1, a31
	s_waitcnt lgkmcnt(0)
	v_accvgpr_read_b32 v2, a28
	v_add_u32_e32 v1, 64, v1
	v_add_u32_e32 v7, 2, v7
	v_accvgpr_read_b32 v3, a29
	v_accvgpr_write_b32 a31, v1
	v_accvgpr_read_b32 v1, a3
	v_lshl_add_u64 v[2:3], v[2:3], 0, 8
	v_cmp_ge_i32_e64 s[4:5], v7, v1
	v_accvgpr_read_b32 v1, a32
	v_accvgpr_write_b32 a29, v3
	v_add_u32_e32 v1, 0x100, v1
	v_accvgpr_write_b32 a28, v2
	s_or_b64 s[18:19], s[4:5], s[18:19]
	v_accvgpr_write_b32 a32, v1
	s_andn2_b64 exec, exec, s[18:19]
	s_cbranch_execz .LBB278_459
.LBB278_9:                              ; =>This Inner Loop Header: Depth=1
	v_accvgpr_read_b32 v0, a28
	v_accvgpr_read_b32 v1, a29
	flat_load_dword v0, v[0:1]
	v_accvgpr_write_b32 a33, v7
	v_accvgpr_read_b32 v6, a24
	v_accvgpr_read_b32 v2, a6
	;; [unrolled: 1-line block ×3, first 2 shown]
                                        ; implicit-def: $sgpr24
	s_waitcnt vmcnt(0) lgkmcnt(0)
	v_mad_i64_i32 v[0:1], s[4:5], v0, v2, v[6:7]
	v_accvgpr_read_b32 v2, a26
	v_accvgpr_read_b32 v3, a27
	v_lshl_add_u64 v[30:31], v[0:1], 0, v[2:3]
	v_accvgpr_read_b32 v0, a20
	flat_load_dword v8, v[30:31]
	v_accvgpr_read_b32 v1, a21
	flat_load_dword v50, v[0:1]
	s_mov_b64 s[4:5], 0
	s_waitcnt vmcnt(0) lgkmcnt(0)
	v_cmp_gt_i16_sdwa s[20:21], v8, s17 src0_sel:BYTE_0 src1_sel:DWORD
	s_and_saveexec_b64 s[22:23], s[20:21]
	s_xor_b64 s[20:21], exec, s[22:23]
	s_cbranch_execnz .LBB278_239
; %bb.10:                               ;   in Loop: Header=BB278_9 Depth=1
	s_or_saveexec_b64 s[20:21], s[20:21]
	v_mov_b32_e32 v19, s24
	s_xor_b64 exec, exec, s[20:21]
	s_cbranch_execnz .LBB278_242
.LBB278_11:                             ;   in Loop: Header=BB278_9 Depth=1
	s_or_b64 exec, exec, s[20:21]
	s_and_saveexec_b64 s[20:21], s[4:5]
	s_cbranch_execz .LBB278_13
.LBB278_12:                             ;   in Loop: Header=BB278_9 Depth=1
	v_and_b32_e32 v2, 7, v8
	v_ffbh_u32_e32 v0, v2
	v_min_u32_e32 v4, 32, v0
	v_subrev_u32_e32 v0, 28, v4
	v_bfe_u32 v3, v8, 3, 4
	v_lshlrev_b64 v[0:1], v0, v[8:9]
	v_sub_u32_e32 v1, 29, v4
	v_cmp_eq_u32_e64 s[4:5], 0, v3
	v_and_b32_e32 v0, 7, v0
	s_nop 0
	v_cndmask_b32_e64 v1, v3, v1, s[4:5]
	v_mov_b32_e32 v3, 0x1c00
	v_cndmask_b32_e64 v0, v2, v0, s[4:5]
	v_lshlrev_b32_e32 v2, 8, v8
	v_lshl_add_u32 v1, v1, 10, v3
	v_and_or_b32 v1, v2, s27, v1
	v_lshl_or_b32 v0, v0, 7, v1
	v_cvt_f32_f16_e32 v19, v0
.LBB278_13:                             ;   in Loop: Header=BB278_9 Depth=1
	s_or_b64 exec, exec, s[20:21]
	v_lshrrev_b16_e32 v4, 8, v8
	v_cmp_lt_i16_e64 s[4:5], s17, v4
	s_mov_b64 s[20:21], 0
                                        ; implicit-def: $sgpr28
	s_and_saveexec_b64 s[22:23], s[4:5]
	s_xor_b64 s[22:23], exec, s[22:23]
	s_cbranch_execnz .LBB278_243
; %bb.14:                               ;   in Loop: Header=BB278_9 Depth=1
	s_or_saveexec_b64 s[22:23], s[22:23]
	v_mov_b32_e32 v28, s28
	s_xor_b64 exec, exec, s[22:23]
	s_cbranch_execnz .LBB278_246
.LBB278_15:                             ;   in Loop: Header=BB278_9 Depth=1
	s_or_b64 exec, exec, s[22:23]
	s_and_saveexec_b64 s[22:23], s[20:21]
	s_cbranch_execz .LBB278_17
.LBB278_16:                             ;   in Loop: Header=BB278_9 Depth=1
	v_and_b32_e32 v2, 7, v4
	v_ffbh_u32_e32 v0, v2
	v_min_u32_e32 v6, 32, v0
	v_subrev_u32_e32 v0, 28, v6
	v_bfe_u32 v3, v4, 3, 4
	v_lshlrev_b64 v[0:1], v0, v[4:5]
	v_sub_u32_e32 v1, 29, v6
	v_cmp_eq_u32_e64 s[4:5], 0, v3
	v_and_b32_e32 v0, 7, v0
	s_nop 0
	v_cndmask_b32_e64 v1, v3, v1, s[4:5]
	v_mov_b32_e32 v3, 0x1c00
	v_cndmask_b32_e64 v0, v2, v0, s[4:5]
	v_lshlrev_b32_e32 v2, 8, v4
	v_lshl_add_u32 v1, v1, 10, v3
	v_and_or_b32 v1, v2, s27, v1
	v_lshl_or_b32 v0, v0, 7, v1
	v_cvt_f32_f16_e32 v28, v0
.LBB278_17:                             ;   in Loop: Header=BB278_9 Depth=1
	s_or_b64 exec, exec, s[22:23]
	v_lshrrev_b32_e32 v4, 16, v8
	v_cmp_gt_i16_sdwa s[20:21], v4, s17 src0_sel:BYTE_0 src1_sel:DWORD
	s_mov_b64 s[4:5], 0
                                        ; implicit-def: $sgpr24
	s_and_saveexec_b64 s[22:23], s[20:21]
	s_xor_b64 s[20:21], exec, s[22:23]
	s_cbranch_execnz .LBB278_247
; %bb.18:                               ;   in Loop: Header=BB278_9 Depth=1
	s_or_saveexec_b64 s[20:21], s[20:21]
	v_mov_b32_e32 v29, s24
	s_xor_b64 exec, exec, s[20:21]
	s_cbranch_execnz .LBB278_250
.LBB278_19:                             ;   in Loop: Header=BB278_9 Depth=1
	s_or_b64 exec, exec, s[20:21]
	s_and_saveexec_b64 s[20:21], s[4:5]
	s_cbranch_execz .LBB278_21
.LBB278_20:                             ;   in Loop: Header=BB278_9 Depth=1
	v_bfe_u32 v2, v8, 16, 3
	v_ffbh_u32_e32 v0, v2
	v_min_u32_e32 v6, 32, v0
	v_subrev_u32_e32 v0, 28, v6
	v_bfe_u32 v3, v8, 19, 4
	v_lshlrev_b64 v[0:1], v0, v[4:5]
	v_sub_u32_e32 v1, 29, v6
	v_cmp_eq_u32_e64 s[4:5], 0, v3
	v_and_b32_e32 v0, 7, v0
	s_nop 0
	v_cndmask_b32_e64 v1, v3, v1, s[4:5]
	v_mov_b32_e32 v3, 0x1c00
	v_cndmask_b32_e64 v0, v2, v0, s[4:5]
	v_lshlrev_b32_e32 v2, 8, v4
	v_lshl_add_u32 v1, v1, 10, v3
	v_and_or_b32 v1, v2, s27, v1
	v_lshl_or_b32 v0, v0, 7, v1
	v_cvt_f32_f16_e32 v29, v0
.LBB278_21:                             ;   in Loop: Header=BB278_9 Depth=1
	s_or_b64 exec, exec, s[20:21]
	v_lshrrev_b32_e32 v4, 24, v8
	v_cmp_lt_i16_e64 s[4:5], s17, v4
	s_mov_b64 s[20:21], 0
                                        ; implicit-def: $sgpr28
	s_and_saveexec_b64 s[22:23], s[4:5]
	s_xor_b64 s[22:23], exec, s[22:23]
	s_cbranch_execnz .LBB278_251
; %bb.22:                               ;   in Loop: Header=BB278_9 Depth=1
	s_or_saveexec_b64 s[22:23], s[22:23]
	v_mov_b32_e32 v38, s28
	s_xor_b64 exec, exec, s[22:23]
	s_cbranch_execnz .LBB278_254
.LBB278_23:                             ;   in Loop: Header=BB278_9 Depth=1
	s_or_b64 exec, exec, s[22:23]
	s_and_saveexec_b64 s[22:23], s[20:21]
	s_cbranch_execz .LBB278_25
.LBB278_24:                             ;   in Loop: Header=BB278_9 Depth=1
	v_bfe_u32 v2, v8, 24, 3
	v_ffbh_u32_e32 v0, v2
	v_min_u32_e32 v6, 32, v0
	v_subrev_u32_e32 v0, 28, v6
	v_bfe_u32 v3, v8, 27, 4
	v_lshlrev_b64 v[0:1], v0, v[4:5]
	v_sub_u32_e32 v1, 29, v6
	v_cmp_eq_u32_e64 s[4:5], 0, v3
	v_and_b32_e32 v0, 7, v0
	s_nop 0
	v_cndmask_b32_e64 v1, v3, v1, s[4:5]
	v_mov_b32_e32 v3, 0x1c00
	v_cndmask_b32_e64 v0, v2, v0, s[4:5]
	v_lshlrev_b32_e32 v2, 8, v4
	v_lshl_add_u32 v1, v1, 10, v3
	v_and_or_b32 v1, v2, s27, v1
	v_lshl_or_b32 v0, v0, 7, v1
	v_cvt_f32_f16_e32 v38, v0
.LBB278_25:                             ;   in Loop: Header=BB278_9 Depth=1
	s_or_b64 exec, exec, s[22:23]
	flat_load_dword v8, v[30:31] offset:8
	s_mov_b64 s[4:5], 0
                                        ; implicit-def: $sgpr24
	s_waitcnt vmcnt(0) lgkmcnt(0)
	v_cmp_gt_i16_sdwa s[20:21], v8, s17 src0_sel:BYTE_0 src1_sel:DWORD
	s_and_saveexec_b64 s[22:23], s[20:21]
	s_xor_b64 s[20:21], exec, s[22:23]
	s_cbranch_execnz .LBB278_255
; %bb.26:                               ;   in Loop: Header=BB278_9 Depth=1
	s_or_saveexec_b64 s[20:21], s[20:21]
	v_mov_b32_e32 v34, s24
	s_xor_b64 exec, exec, s[20:21]
	s_cbranch_execnz .LBB278_258
.LBB278_27:                             ;   in Loop: Header=BB278_9 Depth=1
	s_or_b64 exec, exec, s[20:21]
	s_and_saveexec_b64 s[20:21], s[4:5]
	s_cbranch_execz .LBB278_29
.LBB278_28:                             ;   in Loop: Header=BB278_9 Depth=1
	v_and_b32_e32 v2, 7, v8
	v_ffbh_u32_e32 v0, v2
	v_min_u32_e32 v4, 32, v0
	v_subrev_u32_e32 v0, 28, v4
	v_bfe_u32 v3, v8, 3, 4
	v_lshlrev_b64 v[0:1], v0, v[8:9]
	v_sub_u32_e32 v1, 29, v4
	v_cmp_eq_u32_e64 s[4:5], 0, v3
	v_and_b32_e32 v0, 7, v0
	s_nop 0
	v_cndmask_b32_e64 v1, v3, v1, s[4:5]
	v_mov_b32_e32 v3, 0x1c00
	v_cndmask_b32_e64 v0, v2, v0, s[4:5]
	v_lshlrev_b32_e32 v2, 8, v8
	v_lshl_add_u32 v1, v1, 10, v3
	v_and_or_b32 v1, v2, s27, v1
	v_lshl_or_b32 v0, v0, 7, v1
	v_cvt_f32_f16_e32 v34, v0
.LBB278_29:                             ;   in Loop: Header=BB278_9 Depth=1
	s_or_b64 exec, exec, s[20:21]
	v_lshrrev_b16_e32 v4, 8, v8
	v_cmp_lt_i16_e64 s[4:5], s17, v4
	s_mov_b64 s[20:21], 0
                                        ; implicit-def: $sgpr28
	s_and_saveexec_b64 s[22:23], s[4:5]
	s_xor_b64 s[22:23], exec, s[22:23]
	s_cbranch_execnz .LBB278_259
; %bb.30:                               ;   in Loop: Header=BB278_9 Depth=1
	s_or_saveexec_b64 s[22:23], s[22:23]
	v_mov_b32_e32 v39, s28
	s_xor_b64 exec, exec, s[22:23]
	s_cbranch_execnz .LBB278_262
.LBB278_31:                             ;   in Loop: Header=BB278_9 Depth=1
	s_or_b64 exec, exec, s[22:23]
	s_and_saveexec_b64 s[22:23], s[20:21]
	s_cbranch_execz .LBB278_33
.LBB278_32:                             ;   in Loop: Header=BB278_9 Depth=1
	v_and_b32_e32 v2, 7, v4
	v_ffbh_u32_e32 v0, v2
	v_min_u32_e32 v6, 32, v0
	v_subrev_u32_e32 v0, 28, v6
	v_bfe_u32 v3, v4, 3, 4
	v_lshlrev_b64 v[0:1], v0, v[4:5]
	v_sub_u32_e32 v1, 29, v6
	v_cmp_eq_u32_e64 s[4:5], 0, v3
	v_and_b32_e32 v0, 7, v0
	s_nop 0
	v_cndmask_b32_e64 v1, v3, v1, s[4:5]
	v_mov_b32_e32 v3, 0x1c00
	v_cndmask_b32_e64 v0, v2, v0, s[4:5]
	v_lshlrev_b32_e32 v2, 8, v4
	v_lshl_add_u32 v1, v1, 10, v3
	v_and_or_b32 v1, v2, s27, v1
	v_lshl_or_b32 v0, v0, 7, v1
	v_cvt_f32_f16_e32 v39, v0
.LBB278_33:                             ;   in Loop: Header=BB278_9 Depth=1
	s_or_b64 exec, exec, s[22:23]
	v_lshrrev_b32_e32 v4, 16, v8
	v_cmp_gt_i16_sdwa s[20:21], v4, s17 src0_sel:BYTE_0 src1_sel:DWORD
	s_mov_b64 s[4:5], 0
                                        ; implicit-def: $sgpr24
	s_and_saveexec_b64 s[22:23], s[20:21]
	s_xor_b64 s[20:21], exec, s[22:23]
	s_cbranch_execnz .LBB278_263
; %bb.34:                               ;   in Loop: Header=BB278_9 Depth=1
	s_or_saveexec_b64 s[20:21], s[20:21]
	v_mov_b32_e32 v48, s24
	s_xor_b64 exec, exec, s[20:21]
	s_cbranch_execnz .LBB278_266
.LBB278_35:                             ;   in Loop: Header=BB278_9 Depth=1
	s_or_b64 exec, exec, s[20:21]
	s_and_saveexec_b64 s[20:21], s[4:5]
	s_cbranch_execz .LBB278_37
.LBB278_36:                             ;   in Loop: Header=BB278_9 Depth=1
	v_bfe_u32 v2, v8, 16, 3
	v_ffbh_u32_e32 v0, v2
	v_min_u32_e32 v6, 32, v0
	v_subrev_u32_e32 v0, 28, v6
	v_bfe_u32 v3, v8, 19, 4
	v_lshlrev_b64 v[0:1], v0, v[4:5]
	v_sub_u32_e32 v1, 29, v6
	v_cmp_eq_u32_e64 s[4:5], 0, v3
	v_and_b32_e32 v0, 7, v0
	s_nop 0
	v_cndmask_b32_e64 v1, v3, v1, s[4:5]
	v_mov_b32_e32 v3, 0x1c00
	v_cndmask_b32_e64 v0, v2, v0, s[4:5]
	v_lshlrev_b32_e32 v2, 8, v4
	v_lshl_add_u32 v1, v1, 10, v3
	v_and_or_b32 v1, v2, s27, v1
	v_lshl_or_b32 v0, v0, 7, v1
	v_cvt_f32_f16_e32 v48, v0
.LBB278_37:                             ;   in Loop: Header=BB278_9 Depth=1
	s_or_b64 exec, exec, s[20:21]
	v_lshrrev_b32_e32 v4, 24, v8
	v_cmp_lt_i16_e64 s[4:5], s17, v4
	s_mov_b64 s[20:21], 0
                                        ; implicit-def: $sgpr28
	s_and_saveexec_b64 s[22:23], s[4:5]
	s_xor_b64 s[22:23], exec, s[22:23]
	s_cbranch_execnz .LBB278_267
; %bb.38:                               ;   in Loop: Header=BB278_9 Depth=1
	s_or_saveexec_b64 s[22:23], s[22:23]
	v_mov_b32_e32 v49, s28
	s_xor_b64 exec, exec, s[22:23]
	s_cbranch_execnz .LBB278_270
.LBB278_39:                             ;   in Loop: Header=BB278_9 Depth=1
	s_or_b64 exec, exec, s[22:23]
	s_and_saveexec_b64 s[22:23], s[20:21]
	s_cbranch_execz .LBB278_41
.LBB278_40:                             ;   in Loop: Header=BB278_9 Depth=1
	v_bfe_u32 v2, v8, 24, 3
	v_ffbh_u32_e32 v0, v2
	v_min_u32_e32 v6, 32, v0
	v_subrev_u32_e32 v0, 28, v6
	v_bfe_u32 v3, v8, 27, 4
	v_lshlrev_b64 v[0:1], v0, v[4:5]
	v_sub_u32_e32 v1, 29, v6
	v_cmp_eq_u32_e64 s[4:5], 0, v3
	v_and_b32_e32 v0, 7, v0
	s_nop 0
	v_cndmask_b32_e64 v1, v3, v1, s[4:5]
	v_mov_b32_e32 v3, 0x1c00
	v_cndmask_b32_e64 v0, v2, v0, s[4:5]
	v_lshlrev_b32_e32 v2, 8, v4
	v_lshl_add_u32 v1, v1, 10, v3
	v_and_or_b32 v1, v2, s27, v1
	v_lshl_or_b32 v0, v0, 7, v1
	v_cvt_f32_f16_e32 v49, v0
.LBB278_41:                             ;   in Loop: Header=BB278_9 Depth=1
	s_or_b64 exec, exec, s[22:23]
	flat_load_dword v8, v[30:31] offset:512
	s_mov_b64 s[4:5], 0
                                        ; implicit-def: $sgpr24
	s_waitcnt vmcnt(0) lgkmcnt(0)
	v_cmp_gt_i16_sdwa s[20:21], v8, s17 src0_sel:BYTE_0 src1_sel:DWORD
	s_and_saveexec_b64 s[22:23], s[20:21]
	s_xor_b64 s[20:21], exec, s[22:23]
	s_cbranch_execnz .LBB278_271
; %bb.42:                               ;   in Loop: Header=BB278_9 Depth=1
	s_or_saveexec_b64 s[20:21], s[20:21]
	v_mov_b32_e32 v0, s24
	s_xor_b64 exec, exec, s[20:21]
	s_cbranch_execnz .LBB278_274
.LBB278_43:                             ;   in Loop: Header=BB278_9 Depth=1
	s_or_b64 exec, exec, s[20:21]
	s_and_saveexec_b64 s[20:21], s[4:5]
	s_cbranch_execz .LBB278_45
.LBB278_44:                             ;   in Loop: Header=BB278_9 Depth=1
	v_and_b32_e32 v2, 7, v8
	v_ffbh_u32_e32 v0, v2
	v_min_u32_e32 v4, 32, v0
	v_subrev_u32_e32 v0, 28, v4
	v_bfe_u32 v3, v8, 3, 4
	v_lshlrev_b64 v[0:1], v0, v[8:9]
	v_sub_u32_e32 v1, 29, v4
	v_cmp_eq_u32_e64 s[4:5], 0, v3
	v_and_b32_e32 v0, 7, v0
	s_nop 0
	v_cndmask_b32_e64 v1, v3, v1, s[4:5]
	v_mov_b32_e32 v3, 0x1c00
	v_cndmask_b32_e64 v0, v2, v0, s[4:5]
	v_lshlrev_b32_e32 v2, 8, v8
	v_lshl_add_u32 v1, v1, 10, v3
	v_and_or_b32 v1, v2, s27, v1
	v_lshl_or_b32 v0, v0, 7, v1
	v_cvt_f32_f16_e32 v0, v0
.LBB278_45:                             ;   in Loop: Header=BB278_9 Depth=1
	s_or_b64 exec, exec, s[20:21]
	v_lshrrev_b16_e32 v4, 8, v8
	v_accvgpr_write_b32 a35, v0
	v_cmp_lt_i16_e64 s[4:5], s17, v4
	s_mov_b64 s[20:21], 0
                                        ; implicit-def: $sgpr28
	s_and_saveexec_b64 s[22:23], s[4:5]
	s_xor_b64 s[22:23], exec, s[22:23]
	s_cbranch_execnz .LBB278_275
; %bb.46:                               ;   in Loop: Header=BB278_9 Depth=1
	s_or_saveexec_b64 s[22:23], s[22:23]
	v_mov_b32_e32 v44, s28
	s_xor_b64 exec, exec, s[22:23]
	s_cbranch_execnz .LBB278_278
.LBB278_47:                             ;   in Loop: Header=BB278_9 Depth=1
	s_or_b64 exec, exec, s[22:23]
	s_and_saveexec_b64 s[22:23], s[20:21]
	s_cbranch_execz .LBB278_49
.LBB278_48:                             ;   in Loop: Header=BB278_9 Depth=1
	v_and_b32_e32 v2, 7, v4
	v_ffbh_u32_e32 v0, v2
	v_min_u32_e32 v6, 32, v0
	v_subrev_u32_e32 v0, 28, v6
	v_bfe_u32 v3, v4, 3, 4
	v_lshlrev_b64 v[0:1], v0, v[4:5]
	v_sub_u32_e32 v1, 29, v6
	v_cmp_eq_u32_e64 s[4:5], 0, v3
	v_and_b32_e32 v0, 7, v0
	s_nop 0
	v_cndmask_b32_e64 v1, v3, v1, s[4:5]
	v_mov_b32_e32 v3, 0x1c00
	v_cndmask_b32_e64 v0, v2, v0, s[4:5]
	v_lshlrev_b32_e32 v2, 8, v4
	v_lshl_add_u32 v1, v1, 10, v3
	v_and_or_b32 v1, v2, s27, v1
	v_lshl_or_b32 v0, v0, 7, v1
	v_cvt_f32_f16_e32 v44, v0
.LBB278_49:                             ;   in Loop: Header=BB278_9 Depth=1
	s_or_b64 exec, exec, s[22:23]
	v_lshrrev_b32_e32 v4, 16, v8
	v_cmp_gt_i16_sdwa s[20:21], v4, s17 src0_sel:BYTE_0 src1_sel:DWORD
	s_mov_b64 s[4:5], 0
                                        ; implicit-def: $sgpr24
	s_and_saveexec_b64 s[22:23], s[20:21]
	s_xor_b64 s[20:21], exec, s[22:23]
	s_cbranch_execnz .LBB278_279
; %bb.50:                               ;   in Loop: Header=BB278_9 Depth=1
	s_or_saveexec_b64 s[20:21], s[20:21]
	v_mov_b32_e32 v45, s24
	s_xor_b64 exec, exec, s[20:21]
	s_cbranch_execnz .LBB278_282
.LBB278_51:                             ;   in Loop: Header=BB278_9 Depth=1
	s_or_b64 exec, exec, s[20:21]
	s_and_saveexec_b64 s[20:21], s[4:5]
	s_cbranch_execz .LBB278_53
.LBB278_52:                             ;   in Loop: Header=BB278_9 Depth=1
	v_bfe_u32 v2, v8, 16, 3
	v_ffbh_u32_e32 v0, v2
	v_min_u32_e32 v6, 32, v0
	v_subrev_u32_e32 v0, 28, v6
	v_bfe_u32 v3, v8, 19, 4
	v_lshlrev_b64 v[0:1], v0, v[4:5]
	v_sub_u32_e32 v1, 29, v6
	v_cmp_eq_u32_e64 s[4:5], 0, v3
	v_and_b32_e32 v0, 7, v0
	s_nop 0
	v_cndmask_b32_e64 v1, v3, v1, s[4:5]
	v_mov_b32_e32 v3, 0x1c00
	v_cndmask_b32_e64 v0, v2, v0, s[4:5]
	v_lshlrev_b32_e32 v2, 8, v4
	v_lshl_add_u32 v1, v1, 10, v3
	v_and_or_b32 v1, v2, s27, v1
	v_lshl_or_b32 v0, v0, 7, v1
	v_cvt_f32_f16_e32 v45, v0
.LBB278_53:                             ;   in Loop: Header=BB278_9 Depth=1
	s_or_b64 exec, exec, s[20:21]
	v_lshrrev_b32_e32 v4, 24, v8
	v_cmp_lt_i16_e64 s[4:5], s17, v4
	s_mov_b64 s[20:21], 0
                                        ; implicit-def: $sgpr28
	s_and_saveexec_b64 s[22:23], s[4:5]
	s_xor_b64 s[22:23], exec, s[22:23]
	s_cbranch_execnz .LBB278_283
; %bb.54:                               ;   in Loop: Header=BB278_9 Depth=1
	s_or_saveexec_b64 s[22:23], s[22:23]
	v_mov_b32_e32 v46, s28
	s_xor_b64 exec, exec, s[22:23]
	s_cbranch_execnz .LBB278_286
.LBB278_55:                             ;   in Loop: Header=BB278_9 Depth=1
	s_or_b64 exec, exec, s[22:23]
	s_and_saveexec_b64 s[22:23], s[20:21]
	s_cbranch_execz .LBB278_57
.LBB278_56:                             ;   in Loop: Header=BB278_9 Depth=1
	v_bfe_u32 v2, v8, 24, 3
	v_ffbh_u32_e32 v0, v2
	v_min_u32_e32 v6, 32, v0
	v_subrev_u32_e32 v0, 28, v6
	v_bfe_u32 v3, v8, 27, 4
	v_lshlrev_b64 v[0:1], v0, v[4:5]
	v_sub_u32_e32 v1, 29, v6
	v_cmp_eq_u32_e64 s[4:5], 0, v3
	v_and_b32_e32 v0, 7, v0
	s_nop 0
	v_cndmask_b32_e64 v1, v3, v1, s[4:5]
	v_mov_b32_e32 v3, 0x1c00
	v_cndmask_b32_e64 v0, v2, v0, s[4:5]
	v_lshlrev_b32_e32 v2, 8, v4
	v_lshl_add_u32 v1, v1, 10, v3
	v_and_or_b32 v1, v2, s27, v1
	v_lshl_or_b32 v0, v0, 7, v1
	v_cvt_f32_f16_e32 v46, v0
.LBB278_57:                             ;   in Loop: Header=BB278_9 Depth=1
	s_or_b64 exec, exec, s[22:23]
	flat_load_dword v8, v[30:31] offset:520
	s_mov_b64 s[4:5], 0
                                        ; implicit-def: $sgpr24
	s_waitcnt vmcnt(0) lgkmcnt(0)
	v_cmp_gt_i16_sdwa s[20:21], v8, s17 src0_sel:BYTE_0 src1_sel:DWORD
	s_and_saveexec_b64 s[22:23], s[20:21]
	s_xor_b64 s[20:21], exec, s[22:23]
	s_cbranch_execnz .LBB278_287
; %bb.58:                               ;   in Loop: Header=BB278_9 Depth=1
	s_or_saveexec_b64 s[20:21], s[20:21]
	v_mov_b32_e32 v0, s24
	s_xor_b64 exec, exec, s[20:21]
	s_cbranch_execnz .LBB278_290
.LBB278_59:                             ;   in Loop: Header=BB278_9 Depth=1
	s_or_b64 exec, exec, s[20:21]
	s_and_saveexec_b64 s[20:21], s[4:5]
	s_cbranch_execz .LBB278_61
.LBB278_60:                             ;   in Loop: Header=BB278_9 Depth=1
	v_and_b32_e32 v2, 7, v8
	v_ffbh_u32_e32 v0, v2
	v_min_u32_e32 v4, 32, v0
	v_subrev_u32_e32 v0, 28, v4
	v_bfe_u32 v3, v8, 3, 4
	v_lshlrev_b64 v[0:1], v0, v[8:9]
	v_sub_u32_e32 v1, 29, v4
	v_cmp_eq_u32_e64 s[4:5], 0, v3
	v_and_b32_e32 v0, 7, v0
	s_nop 0
	v_cndmask_b32_e64 v1, v3, v1, s[4:5]
	v_mov_b32_e32 v3, 0x1c00
	v_cndmask_b32_e64 v0, v2, v0, s[4:5]
	v_lshlrev_b32_e32 v2, 8, v8
	v_lshl_add_u32 v1, v1, 10, v3
	v_and_or_b32 v1, v2, s27, v1
	v_lshl_or_b32 v0, v0, 7, v1
	v_cvt_f32_f16_e32 v0, v0
.LBB278_61:                             ;   in Loop: Header=BB278_9 Depth=1
	s_or_b64 exec, exec, s[20:21]
	v_lshrrev_b16_e32 v4, 8, v8
	v_accvgpr_write_b32 a39, v0
	v_cmp_lt_i16_e64 s[4:5], s17, v4
	s_mov_b64 s[20:21], 0
                                        ; implicit-def: $sgpr28
	s_and_saveexec_b64 s[22:23], s[4:5]
	s_xor_b64 s[22:23], exec, s[22:23]
	s_cbranch_execnz .LBB278_291
; %bb.62:                               ;   in Loop: Header=BB278_9 Depth=1
	s_or_saveexec_b64 s[22:23], s[22:23]
	v_mov_b32_e32 v47, s28
	s_xor_b64 exec, exec, s[22:23]
	s_cbranch_execnz .LBB278_294
.LBB278_63:                             ;   in Loop: Header=BB278_9 Depth=1
	s_or_b64 exec, exec, s[22:23]
	s_and_saveexec_b64 s[22:23], s[20:21]
	s_cbranch_execz .LBB278_65
.LBB278_64:                             ;   in Loop: Header=BB278_9 Depth=1
	v_and_b32_e32 v2, 7, v4
	v_ffbh_u32_e32 v0, v2
	v_min_u32_e32 v6, 32, v0
	v_subrev_u32_e32 v0, 28, v6
	v_bfe_u32 v3, v4, 3, 4
	v_lshlrev_b64 v[0:1], v0, v[4:5]
	v_sub_u32_e32 v1, 29, v6
	v_cmp_eq_u32_e64 s[4:5], 0, v3
	v_and_b32_e32 v0, 7, v0
	s_nop 0
	v_cndmask_b32_e64 v1, v3, v1, s[4:5]
	v_mov_b32_e32 v3, 0x1c00
	v_cndmask_b32_e64 v0, v2, v0, s[4:5]
	v_lshlrev_b32_e32 v2, 8, v4
	v_lshl_add_u32 v1, v1, 10, v3
	v_and_or_b32 v1, v2, s27, v1
	v_lshl_or_b32 v0, v0, 7, v1
	v_cvt_f32_f16_e32 v47, v0
.LBB278_65:                             ;   in Loop: Header=BB278_9 Depth=1
	s_or_b64 exec, exec, s[22:23]
	v_lshrrev_b32_e32 v4, 16, v8
	v_cmp_gt_i16_sdwa s[20:21], v4, s17 src0_sel:BYTE_0 src1_sel:DWORD
	s_mov_b64 s[4:5], 0
                                        ; implicit-def: $sgpr24
	s_and_saveexec_b64 s[22:23], s[20:21]
	s_xor_b64 s[20:21], exec, s[22:23]
	s_cbranch_execnz .LBB278_295
; %bb.66:                               ;   in Loop: Header=BB278_9 Depth=1
	s_or_saveexec_b64 s[20:21], s[20:21]
	v_mov_b32_e32 v56, s24
	s_xor_b64 exec, exec, s[20:21]
	s_cbranch_execnz .LBB278_298
.LBB278_67:                             ;   in Loop: Header=BB278_9 Depth=1
	s_or_b64 exec, exec, s[20:21]
	s_and_saveexec_b64 s[20:21], s[4:5]
	s_cbranch_execz .LBB278_69
.LBB278_68:                             ;   in Loop: Header=BB278_9 Depth=1
	v_bfe_u32 v2, v8, 16, 3
	v_ffbh_u32_e32 v0, v2
	v_min_u32_e32 v6, 32, v0
	v_subrev_u32_e32 v0, 28, v6
	v_bfe_u32 v3, v8, 19, 4
	v_lshlrev_b64 v[0:1], v0, v[4:5]
	v_sub_u32_e32 v1, 29, v6
	v_cmp_eq_u32_e64 s[4:5], 0, v3
	v_and_b32_e32 v0, 7, v0
	s_nop 0
	v_cndmask_b32_e64 v1, v3, v1, s[4:5]
	v_mov_b32_e32 v3, 0x1c00
	v_cndmask_b32_e64 v0, v2, v0, s[4:5]
	v_lshlrev_b32_e32 v2, 8, v4
	v_lshl_add_u32 v1, v1, 10, v3
	v_and_or_b32 v1, v2, s27, v1
	v_lshl_or_b32 v0, v0, 7, v1
	v_cvt_f32_f16_e32 v56, v0
.LBB278_69:                             ;   in Loop: Header=BB278_9 Depth=1
	s_or_b64 exec, exec, s[20:21]
	v_lshrrev_b32_e32 v4, 24, v8
	v_cmp_lt_i16_e64 s[4:5], s17, v4
	s_mov_b64 s[20:21], 0
                                        ; implicit-def: $sgpr28
	s_and_saveexec_b64 s[22:23], s[4:5]
	s_xor_b64 s[22:23], exec, s[22:23]
	s_cbranch_execnz .LBB278_299
; %bb.70:                               ;   in Loop: Header=BB278_9 Depth=1
	s_or_saveexec_b64 s[22:23], s[22:23]
	v_mov_b32_e32 v57, s28
	s_xor_b64 exec, exec, s[22:23]
	s_cbranch_execnz .LBB278_302
.LBB278_71:                             ;   in Loop: Header=BB278_9 Depth=1
	s_or_b64 exec, exec, s[22:23]
	s_and_saveexec_b64 s[22:23], s[20:21]
	s_cbranch_execz .LBB278_73
.LBB278_72:                             ;   in Loop: Header=BB278_9 Depth=1
	v_bfe_u32 v2, v8, 24, 3
	v_ffbh_u32_e32 v0, v2
	v_min_u32_e32 v6, 32, v0
	v_subrev_u32_e32 v0, 28, v6
	v_bfe_u32 v3, v8, 27, 4
	v_lshlrev_b64 v[0:1], v0, v[4:5]
	v_sub_u32_e32 v1, 29, v6
	v_cmp_eq_u32_e64 s[4:5], 0, v3
	v_and_b32_e32 v0, 7, v0
	s_nop 0
	v_cndmask_b32_e64 v1, v3, v1, s[4:5]
	v_mov_b32_e32 v3, 0x1c00
	v_cndmask_b32_e64 v0, v2, v0, s[4:5]
	v_lshlrev_b32_e32 v2, 8, v4
	v_lshl_add_u32 v1, v1, 10, v3
	v_and_or_b32 v1, v2, s27, v1
	v_lshl_or_b32 v0, v0, 7, v1
	v_cvt_f32_f16_e32 v57, v0
.LBB278_73:                             ;   in Loop: Header=BB278_9 Depth=1
	s_or_b64 exec, exec, s[22:23]
	flat_load_dword v8, v[30:31] offset:1024
	s_mov_b64 s[4:5], 0
                                        ; implicit-def: $sgpr24
	s_waitcnt vmcnt(0) lgkmcnt(0)
	v_cmp_gt_i16_sdwa s[20:21], v8, s17 src0_sel:BYTE_0 src1_sel:DWORD
	s_and_saveexec_b64 s[22:23], s[20:21]
	s_xor_b64 s[20:21], exec, s[22:23]
	s_cbranch_execnz .LBB278_303
; %bb.74:                               ;   in Loop: Header=BB278_9 Depth=1
	s_or_saveexec_b64 s[20:21], s[20:21]
	v_mov_b32_e32 v61, s24
	s_xor_b64 exec, exec, s[20:21]
	s_cbranch_execnz .LBB278_306
.LBB278_75:                             ;   in Loop: Header=BB278_9 Depth=1
	s_or_b64 exec, exec, s[20:21]
	s_and_saveexec_b64 s[20:21], s[4:5]
	s_cbranch_execz .LBB278_77
.LBB278_76:                             ;   in Loop: Header=BB278_9 Depth=1
	v_and_b32_e32 v2, 7, v8
	v_ffbh_u32_e32 v0, v2
	v_min_u32_e32 v4, 32, v0
	v_subrev_u32_e32 v0, 28, v4
	v_bfe_u32 v3, v8, 3, 4
	v_lshlrev_b64 v[0:1], v0, v[8:9]
	v_sub_u32_e32 v1, 29, v4
	v_cmp_eq_u32_e64 s[4:5], 0, v3
	v_and_b32_e32 v0, 7, v0
	s_nop 0
	v_cndmask_b32_e64 v1, v3, v1, s[4:5]
	v_mov_b32_e32 v3, 0x1c00
	v_cndmask_b32_e64 v0, v2, v0, s[4:5]
	v_lshlrev_b32_e32 v2, 8, v8
	v_lshl_add_u32 v1, v1, 10, v3
	v_and_or_b32 v1, v2, s27, v1
	v_lshl_or_b32 v0, v0, 7, v1
	v_cvt_f32_f16_e32 v61, v0
.LBB278_77:                             ;   in Loop: Header=BB278_9 Depth=1
	s_or_b64 exec, exec, s[20:21]
	v_lshrrev_b16_e32 v4, 8, v8
	v_cmp_lt_i16_e64 s[4:5], s17, v4
	s_mov_b64 s[20:21], 0
                                        ; implicit-def: $sgpr28
	s_and_saveexec_b64 s[22:23], s[4:5]
	s_xor_b64 s[22:23], exec, s[22:23]
	s_cbranch_execnz .LBB278_307
; %bb.78:                               ;   in Loop: Header=BB278_9 Depth=1
	s_or_saveexec_b64 s[22:23], s[22:23]
	v_mov_b32_e32 v60, s28
	s_xor_b64 exec, exec, s[22:23]
	s_cbranch_execnz .LBB278_310
.LBB278_79:                             ;   in Loop: Header=BB278_9 Depth=1
	s_or_b64 exec, exec, s[22:23]
	s_and_saveexec_b64 s[22:23], s[20:21]
	s_cbranch_execz .LBB278_81
.LBB278_80:                             ;   in Loop: Header=BB278_9 Depth=1
	v_and_b32_e32 v2, 7, v4
	v_ffbh_u32_e32 v0, v2
	v_min_u32_e32 v6, 32, v0
	v_subrev_u32_e32 v0, 28, v6
	v_bfe_u32 v3, v4, 3, 4
	v_lshlrev_b64 v[0:1], v0, v[4:5]
	v_sub_u32_e32 v1, 29, v6
	v_cmp_eq_u32_e64 s[4:5], 0, v3
	v_and_b32_e32 v0, 7, v0
	s_nop 0
	v_cndmask_b32_e64 v1, v3, v1, s[4:5]
	v_mov_b32_e32 v3, 0x1c00
	v_cndmask_b32_e64 v0, v2, v0, s[4:5]
	v_lshlrev_b32_e32 v2, 8, v4
	v_lshl_add_u32 v1, v1, 10, v3
	v_and_or_b32 v1, v2, s27, v1
	v_lshl_or_b32 v0, v0, 7, v1
	v_cvt_f32_f16_e32 v60, v0
.LBB278_81:                             ;   in Loop: Header=BB278_9 Depth=1
	s_or_b64 exec, exec, s[22:23]
	v_lshrrev_b32_e32 v4, 16, v8
	v_cmp_gt_i16_sdwa s[20:21], v4, s17 src0_sel:BYTE_0 src1_sel:DWORD
	s_mov_b64 s[4:5], 0
                                        ; implicit-def: $sgpr24
	s_and_saveexec_b64 s[22:23], s[20:21]
	s_xor_b64 s[20:21], exec, s[22:23]
	s_cbranch_execnz .LBB278_311
; %bb.82:                               ;   in Loop: Header=BB278_9 Depth=1
	s_or_saveexec_b64 s[20:21], s[20:21]
	v_mov_b32_e32 v62, s24
	s_xor_b64 exec, exec, s[20:21]
	s_cbranch_execnz .LBB278_314
.LBB278_83:                             ;   in Loop: Header=BB278_9 Depth=1
	s_or_b64 exec, exec, s[20:21]
	s_and_saveexec_b64 s[20:21], s[4:5]
	s_cbranch_execz .LBB278_85
.LBB278_84:                             ;   in Loop: Header=BB278_9 Depth=1
	v_bfe_u32 v2, v8, 16, 3
	v_ffbh_u32_e32 v0, v2
	v_min_u32_e32 v6, 32, v0
	v_subrev_u32_e32 v0, 28, v6
	v_bfe_u32 v3, v8, 19, 4
	v_lshlrev_b64 v[0:1], v0, v[4:5]
	v_sub_u32_e32 v1, 29, v6
	v_cmp_eq_u32_e64 s[4:5], 0, v3
	v_and_b32_e32 v0, 7, v0
	s_nop 0
	v_cndmask_b32_e64 v1, v3, v1, s[4:5]
	v_mov_b32_e32 v3, 0x1c00
	v_cndmask_b32_e64 v0, v2, v0, s[4:5]
	v_lshlrev_b32_e32 v2, 8, v4
	v_lshl_add_u32 v1, v1, 10, v3
	v_and_or_b32 v1, v2, s27, v1
	v_lshl_or_b32 v0, v0, 7, v1
	v_cvt_f32_f16_e32 v62, v0
.LBB278_85:                             ;   in Loop: Header=BB278_9 Depth=1
	s_or_b64 exec, exec, s[20:21]
	v_lshrrev_b32_e32 v4, 24, v8
	v_cmp_lt_i16_e64 s[4:5], s17, v4
	s_mov_b64 s[20:21], 0
                                        ; implicit-def: $sgpr28
	s_and_saveexec_b64 s[22:23], s[4:5]
	s_xor_b64 s[22:23], exec, s[22:23]
	s_cbranch_execnz .LBB278_315
; %bb.86:                               ;   in Loop: Header=BB278_9 Depth=1
	s_or_saveexec_b64 s[22:23], s[22:23]
	v_mov_b32_e32 v58, s28
	s_xor_b64 exec, exec, s[22:23]
	s_cbranch_execnz .LBB278_318
.LBB278_87:                             ;   in Loop: Header=BB278_9 Depth=1
	s_or_b64 exec, exec, s[22:23]
	s_and_saveexec_b64 s[22:23], s[20:21]
	s_cbranch_execz .LBB278_89
.LBB278_88:                             ;   in Loop: Header=BB278_9 Depth=1
	v_bfe_u32 v2, v8, 24, 3
	v_ffbh_u32_e32 v0, v2
	v_min_u32_e32 v6, 32, v0
	v_subrev_u32_e32 v0, 28, v6
	v_bfe_u32 v3, v8, 27, 4
	v_lshlrev_b64 v[0:1], v0, v[4:5]
	v_sub_u32_e32 v1, 29, v6
	v_cmp_eq_u32_e64 s[4:5], 0, v3
	v_and_b32_e32 v0, 7, v0
	s_nop 0
	v_cndmask_b32_e64 v1, v3, v1, s[4:5]
	v_mov_b32_e32 v3, 0x1c00
	v_cndmask_b32_e64 v0, v2, v0, s[4:5]
	v_lshlrev_b32_e32 v2, 8, v4
	v_lshl_add_u32 v1, v1, 10, v3
	v_and_or_b32 v1, v2, s27, v1
	v_lshl_or_b32 v0, v0, 7, v1
	v_cvt_f32_f16_e32 v58, v0
.LBB278_89:                             ;   in Loop: Header=BB278_9 Depth=1
	s_or_b64 exec, exec, s[22:23]
	flat_load_dword v8, v[30:31] offset:1032
	s_mov_b64 s[4:5], 0
                                        ; implicit-def: $sgpr24
	s_waitcnt vmcnt(0) lgkmcnt(0)
	v_cmp_gt_i16_sdwa s[20:21], v8, s17 src0_sel:BYTE_0 src1_sel:DWORD
	s_and_saveexec_b64 s[22:23], s[20:21]
	s_xor_b64 s[20:21], exec, s[22:23]
	s_cbranch_execnz .LBB278_319
; %bb.90:                               ;   in Loop: Header=BB278_9 Depth=1
	s_or_saveexec_b64 s[20:21], s[20:21]
	v_mov_b32_e32 v63, s24
	s_xor_b64 exec, exec, s[20:21]
	s_cbranch_execnz .LBB278_322
.LBB278_91:                             ;   in Loop: Header=BB278_9 Depth=1
	s_or_b64 exec, exec, s[20:21]
	s_and_saveexec_b64 s[20:21], s[4:5]
	s_cbranch_execz .LBB278_93
.LBB278_92:                             ;   in Loop: Header=BB278_9 Depth=1
	v_and_b32_e32 v2, 7, v8
	v_ffbh_u32_e32 v0, v2
	v_min_u32_e32 v4, 32, v0
	v_subrev_u32_e32 v0, 28, v4
	v_bfe_u32 v3, v8, 3, 4
	v_lshlrev_b64 v[0:1], v0, v[8:9]
	v_sub_u32_e32 v1, 29, v4
	v_cmp_eq_u32_e64 s[4:5], 0, v3
	v_and_b32_e32 v0, 7, v0
	s_nop 0
	v_cndmask_b32_e64 v1, v3, v1, s[4:5]
	v_mov_b32_e32 v3, 0x1c00
	v_cndmask_b32_e64 v0, v2, v0, s[4:5]
	v_lshlrev_b32_e32 v2, 8, v8
	v_lshl_add_u32 v1, v1, 10, v3
	v_and_or_b32 v1, v2, s27, v1
	v_lshl_or_b32 v0, v0, 7, v1
	v_cvt_f32_f16_e32 v63, v0
.LBB278_93:                             ;   in Loop: Header=BB278_9 Depth=1
	s_or_b64 exec, exec, s[20:21]
	v_lshrrev_b16_e32 v4, 8, v8
	v_cmp_lt_i16_e64 s[4:5], s17, v4
	s_mov_b64 s[20:21], 0
                                        ; implicit-def: $sgpr28
	s_and_saveexec_b64 s[22:23], s[4:5]
	s_xor_b64 s[22:23], exec, s[22:23]
	s_cbranch_execnz .LBB278_323
; %bb.94:                               ;   in Loop: Header=BB278_9 Depth=1
	s_or_saveexec_b64 s[22:23], s[22:23]
	v_mov_b32_e32 v17, s28
	s_xor_b64 exec, exec, s[22:23]
	s_cbranch_execnz .LBB278_326
.LBB278_95:                             ;   in Loop: Header=BB278_9 Depth=1
	s_or_b64 exec, exec, s[22:23]
	s_and_saveexec_b64 s[22:23], s[20:21]
	s_cbranch_execz .LBB278_97
.LBB278_96:                             ;   in Loop: Header=BB278_9 Depth=1
	v_and_b32_e32 v2, 7, v4
	v_ffbh_u32_e32 v0, v2
	v_min_u32_e32 v6, 32, v0
	v_subrev_u32_e32 v0, 28, v6
	v_bfe_u32 v3, v4, 3, 4
	v_lshlrev_b64 v[0:1], v0, v[4:5]
	v_sub_u32_e32 v1, 29, v6
	v_cmp_eq_u32_e64 s[4:5], 0, v3
	v_and_b32_e32 v0, 7, v0
	s_nop 0
	v_cndmask_b32_e64 v1, v3, v1, s[4:5]
	v_mov_b32_e32 v3, 0x1c00
	v_cndmask_b32_e64 v0, v2, v0, s[4:5]
	v_lshlrev_b32_e32 v2, 8, v4
	v_lshl_add_u32 v1, v1, 10, v3
	v_and_or_b32 v1, v2, s27, v1
	v_lshl_or_b32 v0, v0, 7, v1
	v_cvt_f32_f16_e32 v17, v0
.LBB278_97:                             ;   in Loop: Header=BB278_9 Depth=1
	s_or_b64 exec, exec, s[22:23]
	v_lshrrev_b32_e32 v4, 16, v8
	v_cmp_gt_i16_sdwa s[20:21], v4, s17 src0_sel:BYTE_0 src1_sel:DWORD
	s_mov_b64 s[4:5], 0
                                        ; implicit-def: $sgpr24
	s_and_saveexec_b64 s[22:23], s[20:21]
	s_xor_b64 s[20:21], exec, s[22:23]
	s_cbranch_execnz .LBB278_327
; %bb.98:                               ;   in Loop: Header=BB278_9 Depth=1
	s_or_saveexec_b64 s[20:21], s[20:21]
	v_mov_b32_e32 v12, s24
	s_xor_b64 exec, exec, s[20:21]
	s_cbranch_execnz .LBB278_330
.LBB278_99:                             ;   in Loop: Header=BB278_9 Depth=1
	s_or_b64 exec, exec, s[20:21]
	s_and_saveexec_b64 s[20:21], s[4:5]
	s_cbranch_execz .LBB278_101
.LBB278_100:                            ;   in Loop: Header=BB278_9 Depth=1
	v_bfe_u32 v2, v8, 16, 3
	v_ffbh_u32_e32 v0, v2
	v_min_u32_e32 v6, 32, v0
	v_subrev_u32_e32 v0, 28, v6
	v_bfe_u32 v3, v8, 19, 4
	v_lshlrev_b64 v[0:1], v0, v[4:5]
	v_sub_u32_e32 v1, 29, v6
	v_cmp_eq_u32_e64 s[4:5], 0, v3
	v_and_b32_e32 v0, 7, v0
	s_nop 0
	v_cndmask_b32_e64 v1, v3, v1, s[4:5]
	v_mov_b32_e32 v3, 0x1c00
	v_cndmask_b32_e64 v0, v2, v0, s[4:5]
	v_lshlrev_b32_e32 v2, 8, v4
	v_lshl_add_u32 v1, v1, 10, v3
	v_and_or_b32 v1, v2, s27, v1
	v_lshl_or_b32 v0, v0, 7, v1
	v_cvt_f32_f16_e32 v12, v0
.LBB278_101:                            ;   in Loop: Header=BB278_9 Depth=1
	s_or_b64 exec, exec, s[20:21]
	v_lshrrev_b32_e32 v4, 24, v8
	v_cmp_lt_i16_e64 s[4:5], s17, v4
	s_mov_b64 s[20:21], 0
                                        ; implicit-def: $sgpr28
	s_and_saveexec_b64 s[22:23], s[4:5]
	s_xor_b64 s[22:23], exec, s[22:23]
	s_cbranch_execnz .LBB278_331
; %bb.102:                              ;   in Loop: Header=BB278_9 Depth=1
	s_or_saveexec_b64 s[22:23], s[22:23]
	v_mov_b32_e32 v3, s28
	s_xor_b64 exec, exec, s[22:23]
	s_cbranch_execnz .LBB278_334
.LBB278_103:                            ;   in Loop: Header=BB278_9 Depth=1
	s_or_b64 exec, exec, s[22:23]
	s_and_saveexec_b64 s[22:23], s[20:21]
	s_cbranch_execz .LBB278_105
.LBB278_104:                            ;   in Loop: Header=BB278_9 Depth=1
	v_bfe_u32 v3, v8, 24, 3
	v_ffbh_u32_e32 v0, v3
	v_min_u32_e32 v7, 32, v0
	v_subrev_u32_e32 v0, 28, v7
	v_bfe_u32 v6, v8, 27, 4
	v_lshlrev_b64 v[0:1], v0, v[4:5]
	v_sub_u32_e32 v1, 29, v7
	v_cmp_eq_u32_e64 s[4:5], 0, v6
	v_and_b32_e32 v0, 7, v0
	v_mov_b32_e32 v2, 0x1c00
	v_cndmask_b32_e64 v1, v6, v1, s[4:5]
	v_cndmask_b32_e64 v0, v3, v0, s[4:5]
	v_lshlrev_b32_e32 v3, 8, v4
	v_lshl_add_u32 v1, v1, 10, v2
	v_and_or_b32 v1, v3, s27, v1
	v_lshl_or_b32 v0, v0, 7, v1
	v_cvt_f32_f16_e32 v3, v0
.LBB278_105:                            ;   in Loop: Header=BB278_9 Depth=1
	s_or_b64 exec, exec, s[22:23]
	flat_load_dword v8, v[30:31] offset:1536
	s_mov_b64 s[4:5], 0
                                        ; implicit-def: $sgpr24
	s_waitcnt vmcnt(0) lgkmcnt(0)
	v_cmp_gt_i16_sdwa s[20:21], v8, s17 src0_sel:BYTE_0 src1_sel:DWORD
	s_and_saveexec_b64 s[22:23], s[20:21]
	s_xor_b64 s[20:21], exec, s[22:23]
	s_cbranch_execnz .LBB278_335
; %bb.106:                              ;   in Loop: Header=BB278_9 Depth=1
	s_or_saveexec_b64 s[20:21], s[20:21]
	v_mov_b32_e32 v0, s24
	s_xor_b64 exec, exec, s[20:21]
	s_cbranch_execnz .LBB278_338
.LBB278_107:                            ;   in Loop: Header=BB278_9 Depth=1
	s_or_b64 exec, exec, s[20:21]
	s_and_saveexec_b64 s[20:21], s[4:5]
	s_cbranch_execz .LBB278_109
.LBB278_108:                            ;   in Loop: Header=BB278_9 Depth=1
	v_and_b32_e32 v4, 7, v8
	v_ffbh_u32_e32 v0, v4
	v_min_u32_e32 v7, 32, v0
	v_subrev_u32_e32 v0, 28, v7
	v_bfe_u32 v6, v8, 3, 4
	v_lshlrev_b64 v[0:1], v0, v[8:9]
	v_sub_u32_e32 v1, 29, v7
	v_cmp_eq_u32_e64 s[4:5], 0, v6
	v_and_b32_e32 v0, 7, v0
	v_mov_b32_e32 v2, 0x1c00
	v_cndmask_b32_e64 v1, v6, v1, s[4:5]
	v_cndmask_b32_e64 v0, v4, v0, s[4:5]
	v_lshlrev_b32_e32 v4, 8, v8
	v_lshl_add_u32 v1, v1, 10, v2
	v_and_or_b32 v1, v4, s27, v1
	v_lshl_or_b32 v0, v0, 7, v1
	v_cvt_f32_f16_e32 v0, v0
.LBB278_109:                            ;   in Loop: Header=BB278_9 Depth=1
	s_or_b64 exec, exec, s[20:21]
	v_lshrrev_b16_e32 v4, 8, v8
	v_cmp_lt_i16_e64 s[4:5], s17, v4
	s_mov_b64 s[20:21], 0
                                        ; implicit-def: $sgpr28
	s_and_saveexec_b64 s[22:23], s[4:5]
	s_xor_b64 s[22:23], exec, s[22:23]
	s_cbranch_execnz .LBB278_339
; %bb.110:                              ;   in Loop: Header=BB278_9 Depth=1
	s_or_saveexec_b64 s[22:23], s[22:23]
	v_mov_b32_e32 v1, s28
	s_xor_b64 exec, exec, s[22:23]
	s_cbranch_execnz .LBB278_342
.LBB278_111:                            ;   in Loop: Header=BB278_9 Depth=1
	s_or_b64 exec, exec, s[22:23]
	s_and_saveexec_b64 s[22:23], s[20:21]
	s_cbranch_execz .LBB278_113
.LBB278_112:                            ;   in Loop: Header=BB278_9 Depth=1
	v_and_b32_e32 v1, 7, v4
	v_ffbh_u32_e32 v6, v1
	v_min_u32_e32 v10, 32, v6
	v_subrev_u32_e32 v6, 28, v10
	v_bfe_u32 v9, v4, 3, 4
	v_lshlrev_b64 v[6:7], v6, v[4:5]
	v_sub_u32_e32 v7, 29, v10
	v_cmp_eq_u32_e64 s[4:5], 0, v9
	v_and_b32_e32 v6, 7, v6
	v_mov_b32_e32 v2, 0x1c00
	v_cndmask_b32_e64 v7, v9, v7, s[4:5]
	v_cndmask_b32_e64 v1, v1, v6, s[4:5]
	v_lshlrev_b32_e32 v4, 8, v4
	v_lshl_add_u32 v6, v7, 10, v2
	v_and_or_b32 v4, v4, s27, v6
	v_lshl_or_b32 v1, v1, 7, v4
	v_cvt_f32_f16_e32 v1, v1
.LBB278_113:                            ;   in Loop: Header=BB278_9 Depth=1
	s_or_b64 exec, exec, s[22:23]
	v_lshrrev_b32_e32 v4, 16, v8
	v_cmp_gt_i16_sdwa s[20:21], v4, s17 src0_sel:BYTE_0 src1_sel:DWORD
	s_mov_b64 s[4:5], 0
                                        ; implicit-def: $sgpr24
	s_and_saveexec_b64 s[22:23], s[20:21]
	s_xor_b64 s[20:21], exec, s[22:23]
	s_cbranch_execnz .LBB278_343
; %bb.114:                              ;   in Loop: Header=BB278_9 Depth=1
	s_or_saveexec_b64 s[20:21], s[20:21]
	v_mov_b32_e32 v16, s24
	s_xor_b64 exec, exec, s[20:21]
	s_cbranch_execnz .LBB278_346
.LBB278_115:                            ;   in Loop: Header=BB278_9 Depth=1
	s_or_b64 exec, exec, s[20:21]
	s_and_saveexec_b64 s[20:21], s[4:5]
	s_cbranch_execz .LBB278_117
.LBB278_116:                            ;   in Loop: Header=BB278_9 Depth=1
	v_bfe_u32 v9, v8, 16, 3
	v_ffbh_u32_e32 v6, v9
	v_min_u32_e32 v11, 32, v6
	v_subrev_u32_e32 v6, 28, v11
	v_bfe_u32 v10, v8, 19, 4
	v_lshlrev_b64 v[6:7], v6, v[4:5]
	v_sub_u32_e32 v7, 29, v11
	v_cmp_eq_u32_e64 s[4:5], 0, v10
	v_mov_b32_e32 v2, 0x1c00
	v_and_b32_e32 v6, 7, v6
	v_cndmask_b32_e64 v7, v10, v7, s[4:5]
	v_lshlrev_b32_e32 v4, 8, v4
	v_lshl_add_u32 v7, v7, 10, v2
	v_cndmask_b32_e64 v6, v9, v6, s[4:5]
	v_and_or_b32 v4, v4, s27, v7
	v_lshl_or_b32 v4, v6, 7, v4
	v_cvt_f32_f16_e32 v16, v4
.LBB278_117:                            ;   in Loop: Header=BB278_9 Depth=1
	s_or_b64 exec, exec, s[20:21]
	v_lshrrev_b32_e32 v4, 24, v8
	v_cmp_lt_i16_e64 s[4:5], s17, v4
	s_mov_b64 s[20:21], 0
                                        ; implicit-def: $sgpr28
	s_and_saveexec_b64 s[22:23], s[4:5]
	s_xor_b64 s[22:23], exec, s[22:23]
	s_cbranch_execnz .LBB278_347
; %bb.118:                              ;   in Loop: Header=BB278_9 Depth=1
	s_or_saveexec_b64 s[22:23], s[22:23]
	v_mov_b32_e32 v7, s28
	s_xor_b64 exec, exec, s[22:23]
	s_cbranch_execnz .LBB278_350
.LBB278_119:                            ;   in Loop: Header=BB278_9 Depth=1
	s_or_b64 exec, exec, s[22:23]
	s_and_saveexec_b64 s[22:23], s[20:21]
	s_cbranch_execz .LBB278_121
.LBB278_120:                            ;   in Loop: Header=BB278_9 Depth=1
	v_bfe_u32 v9, v8, 24, 3
	v_ffbh_u32_e32 v6, v9
	v_min_u32_e32 v10, 32, v6
	v_subrev_u32_e32 v6, 28, v10
	v_bfe_u32 v8, v8, 27, 4
	v_lshlrev_b64 v[6:7], v6, v[4:5]
	v_sub_u32_e32 v7, 29, v10
	v_cmp_eq_u32_e64 s[4:5], 0, v8
	v_mov_b32_e32 v2, 0x1c00
	v_and_b32_e32 v6, 7, v6
	v_cndmask_b32_e64 v7, v8, v7, s[4:5]
	v_lshlrev_b32_e32 v4, 8, v4
	v_lshl_add_u32 v7, v7, 10, v2
	v_cndmask_b32_e64 v6, v9, v6, s[4:5]
	v_and_or_b32 v4, v4, s27, v7
	v_lshl_or_b32 v4, v6, 7, v4
	v_cvt_f32_f16_e32 v7, v4
.LBB278_121:                            ;   in Loop: Header=BB278_9 Depth=1
	s_or_b64 exec, exec, s[22:23]
	flat_load_dword v8, v[30:31] offset:1544
	s_mov_b64 s[4:5], 0
                                        ; implicit-def: $sgpr24
	s_waitcnt vmcnt(0) lgkmcnt(0)
	v_cmp_gt_i16_sdwa s[20:21], v8, s17 src0_sel:BYTE_0 src1_sel:DWORD
	s_and_saveexec_b64 s[22:23], s[20:21]
	s_xor_b64 s[20:21], exec, s[22:23]
	s_cbranch_execnz .LBB278_351
; %bb.122:                              ;   in Loop: Header=BB278_9 Depth=1
	s_or_saveexec_b64 s[20:21], s[20:21]
	v_mov_b32_e32 v6, s24
	s_xor_b64 exec, exec, s[20:21]
	s_cbranch_execnz .LBB278_354
.LBB278_123:                            ;   in Loop: Header=BB278_9 Depth=1
	s_or_b64 exec, exec, s[20:21]
	s_and_saveexec_b64 s[20:21], s[4:5]
	s_cbranch_execz .LBB278_125
.LBB278_124:                            ;   in Loop: Header=BB278_9 Depth=1
	v_and_b32_e32 v4, 7, v8
	v_ffbh_u32_e32 v9, v4
	v_min_u32_e32 v9, 32, v9
	v_bfe_u32 v6, v8, 3, 4
	v_subrev_u32_e32 v10, 28, v9
	v_lshlrev_b64 v[10:11], v10, v[8:9]
	v_sub_u32_e32 v9, 29, v9
	v_cmp_eq_u32_e64 s[4:5], 0, v6
	v_mov_b32_e32 v2, 0x1c00
	v_and_b32_e32 v10, 7, v10
	v_cndmask_b32_e64 v6, v6, v9, s[4:5]
	v_lshlrev_b32_e32 v9, 8, v8
	v_lshl_add_u32 v6, v6, 10, v2
	v_cndmask_b32_e64 v4, v4, v10, s[4:5]
	v_and_or_b32 v6, v9, s27, v6
	v_lshl_or_b32 v4, v4, 7, v6
	v_cvt_f32_f16_e32 v6, v4
.LBB278_125:                            ;   in Loop: Header=BB278_9 Depth=1
	s_or_b64 exec, exec, s[20:21]
	v_lshrrev_b16_e32 v4, 8, v8
	v_cmp_lt_i16_e64 s[4:5], s17, v4
	s_mov_b64 s[20:21], 0
                                        ; implicit-def: $sgpr28
	s_and_saveexec_b64 s[22:23], s[4:5]
	s_xor_b64 s[22:23], exec, s[22:23]
	s_cbranch_execnz .LBB278_355
; %bb.126:                              ;   in Loop: Header=BB278_9 Depth=1
	s_or_saveexec_b64 s[22:23], s[22:23]
	v_mov_b32_e32 v32, s28
	s_xor_b64 exec, exec, s[22:23]
	s_cbranch_execnz .LBB278_358
.LBB278_127:                            ;   in Loop: Header=BB278_9 Depth=1
	s_or_b64 exec, exec, s[22:23]
	s_and_saveexec_b64 s[22:23], s[20:21]
	s_cbranch_execz .LBB278_129
.LBB278_128:                            ;   in Loop: Header=BB278_9 Depth=1
	v_and_b32_e32 v9, 7, v4
	v_ffbh_u32_e32 v10, v9
	v_min_u32_e32 v14, 32, v10
	v_subrev_u32_e32 v10, 28, v14
	v_bfe_u32 v13, v4, 3, 4
	v_lshlrev_b64 v[10:11], v10, v[4:5]
	v_sub_u32_e32 v11, 29, v14
	v_cmp_eq_u32_e64 s[4:5], 0, v13
	v_and_b32_e32 v10, 7, v10
	v_mov_b32_e32 v2, 0x1c00
	v_cndmask_b32_e64 v11, v13, v11, s[4:5]
	v_cndmask_b32_e64 v9, v9, v10, s[4:5]
	v_lshlrev_b32_e32 v4, 8, v4
	v_lshl_add_u32 v10, v11, 10, v2
	v_and_or_b32 v4, v4, s27, v10
	v_lshl_or_b32 v4, v9, 7, v4
	v_cvt_f32_f16_e32 v32, v4
.LBB278_129:                            ;   in Loop: Header=BB278_9 Depth=1
	s_or_b64 exec, exec, s[22:23]
	v_lshrrev_b32_e32 v4, 16, v8
	v_cmp_gt_i16_sdwa s[20:21], v4, s17 src0_sel:BYTE_0 src1_sel:DWORD
	s_mov_b64 s[4:5], 0
                                        ; implicit-def: $sgpr24
	s_and_saveexec_b64 s[22:23], s[20:21]
	s_xor_b64 s[20:21], exec, s[22:23]
	s_cbranch_execnz .LBB278_359
; %bb.130:                              ;   in Loop: Header=BB278_9 Depth=1
	s_or_saveexec_b64 s[20:21], s[20:21]
	v_mov_b32_e32 v14, s24
	s_xor_b64 exec, exec, s[20:21]
	s_cbranch_execnz .LBB278_362
.LBB278_131:                            ;   in Loop: Header=BB278_9 Depth=1
	s_or_b64 exec, exec, s[20:21]
	s_and_saveexec_b64 s[20:21], s[4:5]
	s_cbranch_execz .LBB278_133
.LBB278_132:                            ;   in Loop: Header=BB278_9 Depth=1
	v_bfe_u32 v9, v8, 16, 3
	v_ffbh_u32_e32 v10, v9
	v_min_u32_e32 v14, 32, v10
	v_subrev_u32_e32 v10, 28, v14
	v_bfe_u32 v13, v8, 19, 4
	v_lshlrev_b64 v[10:11], v10, v[4:5]
	v_sub_u32_e32 v11, 29, v14
	v_cmp_eq_u32_e64 s[4:5], 0, v13
	v_and_b32_e32 v10, 7, v10
	v_mov_b32_e32 v2, 0x1c00
	v_cndmask_b32_e64 v11, v13, v11, s[4:5]
	v_cndmask_b32_e64 v9, v9, v10, s[4:5]
	v_lshlrev_b32_e32 v4, 8, v4
	v_lshl_add_u32 v10, v11, 10, v2
	v_and_or_b32 v4, v4, s27, v10
	v_lshl_or_b32 v4, v9, 7, v4
	v_cvt_f32_f16_e32 v14, v4
.LBB278_133:                            ;   in Loop: Header=BB278_9 Depth=1
	s_or_b64 exec, exec, s[20:21]
	v_lshrrev_b32_e32 v4, 24, v8
	v_cmp_lt_i16_e64 s[4:5], s17, v4
	s_mov_b64 s[20:21], 0
                                        ; implicit-def: $sgpr28
	s_and_saveexec_b64 s[22:23], s[4:5]
	s_xor_b64 s[22:23], exec, s[22:23]
	s_cbranch_execnz .LBB278_363
; %bb.134:                              ;   in Loop: Header=BB278_9 Depth=1
	s_or_saveexec_b64 s[22:23], s[22:23]
	v_mov_b32_e32 v15, s28
	s_xor_b64 exec, exec, s[22:23]
	s_cbranch_execnz .LBB278_366
.LBB278_135:                            ;   in Loop: Header=BB278_9 Depth=1
	s_or_b64 exec, exec, s[22:23]
	s_and_saveexec_b64 s[22:23], s[20:21]
	s_cbranch_execz .LBB278_137
.LBB278_136:                            ;   in Loop: Header=BB278_9 Depth=1
	v_bfe_u32 v10, v8, 24, 3
	v_bfe_u32 v11, v8, 27, 4
	v_ffbh_u32_e32 v8, v10
	v_min_u32_e32 v13, 32, v8
	v_subrev_u32_e32 v8, 28, v13
	v_lshlrev_b64 v[8:9], v8, v[4:5]
	v_sub_u32_e32 v9, 29, v13
	v_cmp_eq_u32_e64 s[4:5], 0, v11
	v_mov_b32_e32 v2, 0x1c00
	v_and_b32_e32 v8, 7, v8
	v_cndmask_b32_e64 v9, v11, v9, s[4:5]
	v_lshlrev_b32_e32 v4, 8, v4
	v_lshl_add_u32 v9, v9, 10, v2
	v_cndmask_b32_e64 v8, v10, v8, s[4:5]
	v_and_or_b32 v4, v4, s27, v9
	v_lshl_or_b32 v4, v8, 7, v4
	v_cvt_f32_f16_e32 v15, v4
.LBB278_137:                            ;   in Loop: Header=BB278_9 Depth=1
	s_or_b64 exec, exec, s[22:23]
	flat_load_dword v8, v[30:31] offset:2048
	s_mov_b64 s[4:5], 0
                                        ; implicit-def: $sgpr24
	s_waitcnt vmcnt(0) lgkmcnt(0)
	v_cmp_gt_i16_sdwa s[20:21], v8, s17 src0_sel:BYTE_0 src1_sel:DWORD
	s_and_saveexec_b64 s[22:23], s[20:21]
	s_xor_b64 s[20:21], exec, s[22:23]
	s_cbranch_execnz .LBB278_367
; %bb.138:                              ;   in Loop: Header=BB278_9 Depth=1
	s_or_saveexec_b64 s[20:21], s[20:21]
	v_mov_b32_e32 v10, s24
	s_xor_b64 exec, exec, s[20:21]
	s_cbranch_execnz .LBB278_370
.LBB278_139:                            ;   in Loop: Header=BB278_9 Depth=1
	s_or_b64 exec, exec, s[20:21]
	s_and_saveexec_b64 s[20:21], s[4:5]
	s_cbranch_execz .LBB278_141
.LBB278_140:                            ;   in Loop: Header=BB278_9 Depth=1
	v_and_b32_e32 v4, 7, v8
	v_ffbh_u32_e32 v10, v4
	v_min_u32_e32 v13, 32, v10
	v_bfe_u32 v9, v8, 3, 4
	v_subrev_u32_e32 v10, 28, v13
	v_lshlrev_b64 v[10:11], v10, v[8:9]
	v_sub_u32_e32 v11, 29, v13
	v_cmp_eq_u32_e64 s[4:5], 0, v9
	v_and_b32_e32 v10, 7, v10
	v_mov_b32_e32 v2, 0x1c00
	v_cndmask_b32_e64 v9, v9, v11, s[4:5]
	v_cndmask_b32_e64 v4, v4, v10, s[4:5]
	v_lshlrev_b32_e32 v10, 8, v8
	v_lshl_add_u32 v9, v9, 10, v2
	v_and_or_b32 v9, v10, s27, v9
	v_lshl_or_b32 v4, v4, 7, v9
	v_cvt_f32_f16_e32 v10, v4
.LBB278_141:                            ;   in Loop: Header=BB278_9 Depth=1
	s_or_b64 exec, exec, s[20:21]
	v_lshrrev_b16_e32 v4, 8, v8
	v_cmp_lt_i16_e64 s[4:5], s17, v4
	s_mov_b64 s[20:21], 0
                                        ; implicit-def: $sgpr28
	s_and_saveexec_b64 s[22:23], s[4:5]
	s_xor_b64 s[22:23], exec, s[22:23]
	s_cbranch_execnz .LBB278_371
; %bb.142:                              ;   in Loop: Header=BB278_9 Depth=1
	s_or_saveexec_b64 s[22:23], s[22:23]
	v_mov_b32_e32 v11, s28
	s_xor_b64 exec, exec, s[22:23]
	s_cbranch_execnz .LBB278_374
.LBB278_143:                            ;   in Loop: Header=BB278_9 Depth=1
	s_or_b64 exec, exec, s[22:23]
	s_and_saveexec_b64 s[22:23], s[20:21]
	s_cbranch_execz .LBB278_145
.LBB278_144:                            ;   in Loop: Header=BB278_9 Depth=1
	v_and_b32_e32 v9, 7, v4
	v_ffbh_u32_e32 v13, v9
	v_bfe_u32 v11, v4, 3, 4
	v_min_u32_e32 v13, 32, v13
	v_subrev_u32_e32 v18, 28, v13
	v_sub_u32_e32 v13, 29, v13
	v_cmp_eq_u32_e64 s[4:5], 0, v11
	v_lshlrev_b64 v[20:21], v18, v[4:5]
	v_mov_b32_e32 v2, 0x1c00
	v_cndmask_b32_e64 v11, v11, v13, s[4:5]
	v_and_b32_e32 v18, 7, v20
	v_lshlrev_b32_e32 v4, 8, v4
	v_lshl_add_u32 v11, v11, 10, v2
	v_cndmask_b32_e64 v9, v9, v18, s[4:5]
	v_and_or_b32 v4, v4, s27, v11
	v_lshl_or_b32 v4, v9, 7, v4
	v_cvt_f32_f16_e32 v11, v4
.LBB278_145:                            ;   in Loop: Header=BB278_9 Depth=1
	s_or_b64 exec, exec, s[22:23]
	v_lshrrev_b32_e32 v4, 16, v8
	v_cmp_gt_i16_sdwa s[20:21], v4, s17 src0_sel:BYTE_0 src1_sel:DWORD
	s_mov_b64 s[4:5], 0
                                        ; implicit-def: $sgpr24
	s_and_saveexec_b64 s[22:23], s[20:21]
	s_xor_b64 s[20:21], exec, s[22:23]
	s_cbranch_execnz .LBB278_375
; %bb.146:                              ;   in Loop: Header=BB278_9 Depth=1
	s_or_saveexec_b64 s[20:21], s[20:21]
	v_mov_b32_e32 v37, s24
	s_xor_b64 exec, exec, s[20:21]
	s_cbranch_execnz .LBB278_378
.LBB278_147:                            ;   in Loop: Header=BB278_9 Depth=1
	s_or_b64 exec, exec, s[20:21]
	s_and_saveexec_b64 s[20:21], s[4:5]
	s_cbranch_execz .LBB278_149
.LBB278_148:                            ;   in Loop: Header=BB278_9 Depth=1
	v_bfe_u32 v9, v8, 16, 3
	v_ffbh_u32_e32 v18, v9
	v_bfe_u32 v13, v8, 19, 4
	v_min_u32_e32 v18, 32, v18
	v_subrev_u32_e32 v20, 28, v18
	v_sub_u32_e32 v18, 29, v18
	v_cmp_eq_u32_e64 s[4:5], 0, v13
	v_lshlrev_b64 v[20:21], v20, v[4:5]
	v_mov_b32_e32 v2, 0x1c00
	v_cndmask_b32_e64 v13, v13, v18, s[4:5]
	v_and_b32_e32 v20, 7, v20
	v_lshlrev_b32_e32 v4, 8, v4
	v_lshl_add_u32 v13, v13, 10, v2
	v_cndmask_b32_e64 v9, v9, v20, s[4:5]
	v_and_or_b32 v4, v4, s27, v13
	v_lshl_or_b32 v4, v9, 7, v4
	v_cvt_f32_f16_e32 v37, v4
.LBB278_149:                            ;   in Loop: Header=BB278_9 Depth=1
	s_or_b64 exec, exec, s[20:21]
	v_lshrrev_b32_e32 v4, 24, v8
	v_cmp_lt_i16_e64 s[4:5], s17, v4
	s_mov_b64 s[20:21], 0
                                        ; implicit-def: $sgpr28
	s_and_saveexec_b64 s[22:23], s[4:5]
	s_xor_b64 s[22:23], exec, s[22:23]
	s_cbranch_execnz .LBB278_379
; %bb.150:                              ;   in Loop: Header=BB278_9 Depth=1
	s_or_saveexec_b64 s[22:23], s[22:23]
	v_mov_b32_e32 v33, s28
	s_xor_b64 exec, exec, s[22:23]
	s_cbranch_execnz .LBB278_382
.LBB278_151:                            ;   in Loop: Header=BB278_9 Depth=1
	s_or_b64 exec, exec, s[22:23]
	s_and_saveexec_b64 s[22:23], s[20:21]
	s_cbranch_execz .LBB278_153
.LBB278_152:                            ;   in Loop: Header=BB278_9 Depth=1
	v_bfe_u32 v13, v8, 24, 3
	v_bfe_u32 v18, v8, 27, 4
	v_ffbh_u32_e32 v8, v13
	v_min_u32_e32 v20, 32, v8
	v_subrev_u32_e32 v8, 28, v20
	v_lshlrev_b64 v[8:9], v8, v[4:5]
	v_sub_u32_e32 v9, 29, v20
	v_cmp_eq_u32_e64 s[4:5], 0, v18
	v_mov_b32_e32 v2, 0x1c00
	v_and_b32_e32 v8, 7, v8
	v_cndmask_b32_e64 v9, v18, v9, s[4:5]
	v_lshlrev_b32_e32 v4, 8, v4
	v_lshl_add_u32 v9, v9, 10, v2
	v_cndmask_b32_e64 v8, v13, v8, s[4:5]
	v_and_or_b32 v4, v4, s27, v9
	v_lshl_or_b32 v4, v8, 7, v4
	v_cvt_f32_f16_e32 v33, v4
.LBB278_153:                            ;   in Loop: Header=BB278_9 Depth=1
	s_or_b64 exec, exec, s[22:23]
	flat_load_dword v8, v[30:31] offset:2056
	s_mov_b64 s[4:5], 0
                                        ; implicit-def: $sgpr24
	s_waitcnt vmcnt(0) lgkmcnt(0)
	v_cmp_gt_i16_sdwa s[20:21], v8, s17 src0_sel:BYTE_0 src1_sel:DWORD
	s_and_saveexec_b64 s[22:23], s[20:21]
	s_xor_b64 s[20:21], exec, s[22:23]
	s_cbranch_execnz .LBB278_383
; %bb.154:                              ;   in Loop: Header=BB278_9 Depth=1
	s_or_saveexec_b64 s[20:21], s[20:21]
	v_mov_b32_e32 v13, s24
	s_xor_b64 exec, exec, s[20:21]
	s_cbranch_execnz .LBB278_386
.LBB278_155:                            ;   in Loop: Header=BB278_9 Depth=1
	s_or_b64 exec, exec, s[20:21]
	s_and_saveexec_b64 s[20:21], s[4:5]
	s_cbranch_execz .LBB278_157
.LBB278_156:                            ;   in Loop: Header=BB278_9 Depth=1
	v_and_b32_e32 v4, 7, v8
	v_ffbh_u32_e32 v13, v4
	v_bfe_u32 v9, v8, 3, 4
	v_min_u32_e32 v13, 32, v13
	v_subrev_u32_e32 v18, 28, v13
	v_sub_u32_e32 v13, 29, v13
	v_cmp_eq_u32_e64 s[4:5], 0, v9
	v_lshlrev_b64 v[20:21], v18, v[8:9]
	v_mov_b32_e32 v2, 0x1c00
	v_cndmask_b32_e64 v9, v9, v13, s[4:5]
	v_and_b32_e32 v18, 7, v20
	v_lshlrev_b32_e32 v13, 8, v8
	v_lshl_add_u32 v9, v9, 10, v2
	v_cndmask_b32_e64 v4, v4, v18, s[4:5]
	v_and_or_b32 v9, v13, s27, v9
	v_lshl_or_b32 v4, v4, 7, v9
	v_cvt_f32_f16_e32 v13, v4
.LBB278_157:                            ;   in Loop: Header=BB278_9 Depth=1
	s_or_b64 exec, exec, s[20:21]
	v_lshrrev_b16_e32 v4, 8, v8
	v_cmp_lt_i16_e64 s[4:5], s17, v4
	s_mov_b64 s[20:21], 0
                                        ; implicit-def: $sgpr28
	s_and_saveexec_b64 s[22:23], s[4:5]
	s_xor_b64 s[22:23], exec, s[22:23]
	s_cbranch_execnz .LBB278_387
; %bb.158:                              ;   in Loop: Header=BB278_9 Depth=1
	s_or_saveexec_b64 s[22:23], s[22:23]
	v_mov_b32_e32 v9, s28
	s_xor_b64 exec, exec, s[22:23]
	s_cbranch_execnz .LBB278_390
.LBB278_159:                            ;   in Loop: Header=BB278_9 Depth=1
	s_or_b64 exec, exec, s[22:23]
	s_and_saveexec_b64 s[22:23], s[20:21]
	s_cbranch_execz .LBB278_161
.LBB278_160:                            ;   in Loop: Header=BB278_9 Depth=1
	v_and_b32_e32 v9, 7, v4
	v_ffbh_u32_e32 v20, v9
	v_min_u32_e32 v22, 32, v20
	v_subrev_u32_e32 v20, 28, v22
	v_bfe_u32 v18, v4, 3, 4
	v_lshlrev_b64 v[20:21], v20, v[4:5]
	v_sub_u32_e32 v21, 29, v22
	v_cmp_eq_u32_e64 s[4:5], 0, v18
	v_mov_b32_e32 v2, 0x1c00
	v_and_b32_e32 v20, 7, v20
	v_cndmask_b32_e64 v18, v18, v21, s[4:5]
	v_lshlrev_b32_e32 v4, 8, v4
	v_lshl_add_u32 v18, v18, 10, v2
	v_cndmask_b32_e64 v9, v9, v20, s[4:5]
	v_and_or_b32 v4, v4, s27, v18
	v_lshl_or_b32 v4, v9, 7, v4
	v_cvt_f32_f16_e32 v9, v4
.LBB278_161:                            ;   in Loop: Header=BB278_9 Depth=1
	s_or_b64 exec, exec, s[22:23]
	v_lshrrev_b32_e32 v4, 16, v8
	v_cmp_gt_i16_sdwa s[20:21], v4, s17 src0_sel:BYTE_0 src1_sel:DWORD
	s_mov_b64 s[4:5], 0
                                        ; implicit-def: $sgpr24
	s_and_saveexec_b64 s[22:23], s[20:21]
	s_xor_b64 s[20:21], exec, s[22:23]
	s_cbranch_execnz .LBB278_391
; %bb.162:                              ;   in Loop: Header=BB278_9 Depth=1
	s_or_saveexec_b64 s[20:21], s[20:21]
	v_mov_b32_e32 v24, s24
	s_xor_b64 exec, exec, s[20:21]
	s_cbranch_execnz .LBB278_394
.LBB278_163:                            ;   in Loop: Header=BB278_9 Depth=1
	s_or_b64 exec, exec, s[20:21]
	s_and_saveexec_b64 s[20:21], s[4:5]
	s_cbranch_execz .LBB278_165
.LBB278_164:                            ;   in Loop: Header=BB278_9 Depth=1
	v_bfe_u32 v18, v8, 16, 3
	v_ffbh_u32_e32 v20, v18
	v_min_u32_e32 v23, 32, v20
	v_subrev_u32_e32 v20, 28, v23
	v_bfe_u32 v22, v8, 19, 4
	v_lshlrev_b64 v[20:21], v20, v[4:5]
	v_sub_u32_e32 v21, 29, v23
	v_cmp_eq_u32_e64 s[4:5], 0, v22
	v_and_b32_e32 v20, 7, v20
	v_mov_b32_e32 v2, 0x1c00
	v_cndmask_b32_e64 v21, v22, v21, s[4:5]
	v_cndmask_b32_e64 v18, v18, v20, s[4:5]
	v_lshlrev_b32_e32 v4, 8, v4
	v_lshl_add_u32 v20, v21, 10, v2
	v_and_or_b32 v4, v4, s27, v20
	v_lshl_or_b32 v4, v18, 7, v4
	v_cvt_f32_f16_e32 v24, v4
.LBB278_165:                            ;   in Loop: Header=BB278_9 Depth=1
	s_or_b64 exec, exec, s[20:21]
	v_lshrrev_b32_e32 v4, 24, v8
	v_cmp_lt_i16_e64 s[4:5], s17, v4
	s_mov_b64 s[20:21], 0
                                        ; implicit-def: $sgpr28
	s_and_saveexec_b64 s[22:23], s[4:5]
	s_xor_b64 s[22:23], exec, s[22:23]
	s_cbranch_execnz .LBB278_395
; %bb.166:                              ;   in Loop: Header=BB278_9 Depth=1
	s_or_saveexec_b64 s[22:23], s[22:23]
	v_mov_b32_e32 v25, s28
	s_xor_b64 exec, exec, s[22:23]
	s_cbranch_execnz .LBB278_398
.LBB278_167:                            ;   in Loop: Header=BB278_9 Depth=1
	s_or_b64 exec, exec, s[22:23]
	s_and_saveexec_b64 s[22:23], s[20:21]
	s_cbranch_execz .LBB278_169
.LBB278_168:                            ;   in Loop: Header=BB278_9 Depth=1
	v_bfe_u32 v18, v8, 24, 3
	v_ffbh_u32_e32 v20, v18
	v_min_u32_e32 v22, 32, v20
	v_subrev_u32_e32 v20, 28, v22
	v_bfe_u32 v8, v8, 27, 4
	v_lshlrev_b64 v[20:21], v20, v[4:5]
	v_sub_u32_e32 v21, 29, v22
	v_cmp_eq_u32_e64 s[4:5], 0, v8
	v_mov_b32_e32 v2, 0x1c00
	v_and_b32_e32 v20, 7, v20
	v_cndmask_b32_e64 v8, v8, v21, s[4:5]
	v_lshlrev_b32_e32 v4, 8, v4
	v_lshl_add_u32 v8, v8, 10, v2
	v_cndmask_b32_e64 v18, v18, v20, s[4:5]
	v_and_or_b32 v4, v4, s27, v8
	v_lshl_or_b32 v4, v18, 7, v4
	v_cvt_f32_f16_e32 v25, v4
.LBB278_169:                            ;   in Loop: Header=BB278_9 Depth=1
	s_or_b64 exec, exec, s[22:23]
	flat_load_dword v8, v[30:31] offset:2560
	s_mov_b64 s[4:5], 0
                                        ; implicit-def: $sgpr24
	s_waitcnt vmcnt(0) lgkmcnt(0)
	v_cmp_gt_i16_sdwa s[20:21], v8, s17 src0_sel:BYTE_0 src1_sel:DWORD
	s_and_saveexec_b64 s[22:23], s[20:21]
	s_xor_b64 s[20:21], exec, s[22:23]
	s_cbranch_execnz .LBB278_399
; %bb.170:                              ;   in Loop: Header=BB278_9 Depth=1
	s_or_saveexec_b64 s[20:21], s[20:21]
	v_mov_b32_e32 v26, s24
	s_xor_b64 exec, exec, s[20:21]
	s_cbranch_execnz .LBB278_402
.LBB278_171:                            ;   in Loop: Header=BB278_9 Depth=1
	s_or_b64 exec, exec, s[20:21]
	s_and_saveexec_b64 s[20:21], s[4:5]
	s_cbranch_execz .LBB278_173
.LBB278_172:                            ;   in Loop: Header=BB278_9 Depth=1
	v_and_b32_e32 v4, 7, v8
	v_ffbh_u32_e32 v20, v4
	v_min_u32_e32 v22, 32, v20
	v_subrev_u32_e32 v20, 28, v22
	v_bfe_u32 v18, v8, 3, 4
	v_lshlrev_b64 v[20:21], v20, v[8:9]
	v_sub_u32_e32 v21, 29, v22
	v_cmp_eq_u32_e64 s[4:5], 0, v18
	v_and_b32_e32 v20, 7, v20
	v_mov_b32_e32 v2, 0x1c00
	v_cndmask_b32_e64 v18, v18, v21, s[4:5]
	v_cndmask_b32_e64 v4, v4, v20, s[4:5]
	v_lshlrev_b32_e32 v20, 8, v8
	v_lshl_add_u32 v18, v18, 10, v2
	v_and_or_b32 v18, v20, s27, v18
	v_lshl_or_b32 v4, v4, 7, v18
	v_cvt_f32_f16_e32 v26, v4
.LBB278_173:                            ;   in Loop: Header=BB278_9 Depth=1
	s_or_b64 exec, exec, s[20:21]
	v_lshrrev_b16_e32 v4, 8, v8
	v_cmp_lt_i16_e64 s[4:5], s17, v4
	s_mov_b64 s[20:21], 0
                                        ; implicit-def: $sgpr28
	s_and_saveexec_b64 s[22:23], s[4:5]
	s_xor_b64 s[22:23], exec, s[22:23]
	s_cbranch_execnz .LBB278_403
; %bb.174:                              ;   in Loop: Header=BB278_9 Depth=1
	s_or_saveexec_b64 s[22:23], s[22:23]
	v_mov_b32_e32 v27, s28
	s_xor_b64 exec, exec, s[22:23]
	s_cbranch_execnz .LBB278_406
.LBB278_175:                            ;   in Loop: Header=BB278_9 Depth=1
	s_or_b64 exec, exec, s[22:23]
	s_and_saveexec_b64 s[22:23], s[20:21]
	s_cbranch_execz .LBB278_177
.LBB278_176:                            ;   in Loop: Header=BB278_9 Depth=1
	v_and_b32_e32 v18, 7, v4
	v_ffbh_u32_e32 v20, v18
	v_min_u32_e32 v23, 32, v20
	v_subrev_u32_e32 v20, 28, v23
	v_bfe_u32 v22, v4, 3, 4
	v_lshlrev_b64 v[20:21], v20, v[4:5]
	v_sub_u32_e32 v21, 29, v23
	v_cmp_eq_u32_e64 s[4:5], 0, v22
	v_and_b32_e32 v20, 7, v20
	v_mov_b32_e32 v2, 0x1c00
	v_cndmask_b32_e64 v21, v22, v21, s[4:5]
	v_cndmask_b32_e64 v18, v18, v20, s[4:5]
	v_lshlrev_b32_e32 v4, 8, v4
	v_lshl_add_u32 v20, v21, 10, v2
	v_and_or_b32 v4, v4, s27, v20
	v_lshl_or_b32 v4, v18, 7, v4
	v_cvt_f32_f16_e32 v27, v4
.LBB278_177:                            ;   in Loop: Header=BB278_9 Depth=1
	s_or_b64 exec, exec, s[22:23]
	v_lshrrev_b32_e32 v4, 16, v8
	v_cmp_gt_i16_sdwa s[20:21], v4, s17 src0_sel:BYTE_0 src1_sel:DWORD
	s_mov_b64 s[4:5], 0
                                        ; implicit-def: $sgpr24
	s_and_saveexec_b64 s[22:23], s[20:21]
	s_xor_b64 s[20:21], exec, s[22:23]
	s_cbranch_execnz .LBB278_407
; %bb.178:                              ;   in Loop: Header=BB278_9 Depth=1
	s_or_saveexec_b64 s[20:21], s[20:21]
	v_mov_b32_e32 v36, s24
	s_xor_b64 exec, exec, s[20:21]
	s_cbranch_execnz .LBB278_410
.LBB278_179:                            ;   in Loop: Header=BB278_9 Depth=1
	s_or_b64 exec, exec, s[20:21]
	s_and_saveexec_b64 s[20:21], s[4:5]
	s_cbranch_execz .LBB278_181
.LBB278_180:                            ;   in Loop: Header=BB278_9 Depth=1
	v_bfe_u32 v18, v8, 16, 3
	v_ffbh_u32_e32 v20, v18
	v_min_u32_e32 v23, 32, v20
	v_subrev_u32_e32 v20, 28, v23
	v_bfe_u32 v22, v8, 19, 4
	v_lshlrev_b64 v[20:21], v20, v[4:5]
	v_sub_u32_e32 v21, 29, v23
	v_cmp_eq_u32_e64 s[4:5], 0, v22
	v_and_b32_e32 v20, 7, v20
	v_mov_b32_e32 v2, 0x1c00
	v_cndmask_b32_e64 v21, v22, v21, s[4:5]
	v_cndmask_b32_e64 v18, v18, v20, s[4:5]
	v_lshlrev_b32_e32 v4, 8, v4
	v_lshl_add_u32 v20, v21, 10, v2
	v_and_or_b32 v4, v4, s27, v20
	v_lshl_or_b32 v4, v18, 7, v4
	v_cvt_f32_f16_e32 v36, v4
.LBB278_181:                            ;   in Loop: Header=BB278_9 Depth=1
	s_or_b64 exec, exec, s[20:21]
	v_lshrrev_b32_e32 v4, 24, v8
	v_cmp_lt_i16_e64 s[4:5], s17, v4
	s_mov_b64 s[20:21], 0
                                        ; implicit-def: $sgpr28
	s_and_saveexec_b64 s[22:23], s[4:5]
	s_xor_b64 s[22:23], exec, s[22:23]
	s_cbranch_execnz .LBB278_411
; %bb.182:                              ;   in Loop: Header=BB278_9 Depth=1
	s_or_saveexec_b64 s[22:23], s[22:23]
	v_mov_b32_e32 v18, s28
	s_xor_b64 exec, exec, s[22:23]
	s_cbranch_execnz .LBB278_414
.LBB278_183:                            ;   in Loop: Header=BB278_9 Depth=1
	s_or_b64 exec, exec, s[22:23]
	s_and_saveexec_b64 s[22:23], s[20:21]
	s_cbranch_execz .LBB278_185
.LBB278_184:                            ;   in Loop: Header=BB278_9 Depth=1
	v_bfe_u32 v18, v8, 24, 3
	v_ffbh_u32_e32 v20, v18
	v_min_u32_e32 v22, 32, v20
	v_subrev_u32_e32 v20, 28, v22
	v_bfe_u32 v8, v8, 27, 4
	v_lshlrev_b64 v[20:21], v20, v[4:5]
	v_sub_u32_e32 v21, 29, v22
	v_cmp_eq_u32_e64 s[4:5], 0, v8
	v_mov_b32_e32 v2, 0x1c00
	v_and_b32_e32 v20, 7, v20
	v_cndmask_b32_e64 v8, v8, v21, s[4:5]
	v_lshlrev_b32_e32 v4, 8, v4
	v_lshl_add_u32 v8, v8, 10, v2
	v_cndmask_b32_e64 v18, v18, v20, s[4:5]
	v_and_or_b32 v4, v4, s27, v8
	v_lshl_or_b32 v4, v18, 7, v4
	v_cvt_f32_f16_e32 v18, v4
.LBB278_185:                            ;   in Loop: Header=BB278_9 Depth=1
	s_or_b64 exec, exec, s[22:23]
	flat_load_dword v8, v[30:31] offset:2568
	s_mov_b64 s[4:5], 0
                                        ; implicit-def: $sgpr24
	s_waitcnt vmcnt(0) lgkmcnt(0)
	v_cmp_gt_i16_sdwa s[20:21], v8, s17 src0_sel:BYTE_0 src1_sel:DWORD
	s_and_saveexec_b64 s[22:23], s[20:21]
	s_xor_b64 s[20:21], exec, s[22:23]
	s_cbranch_execnz .LBB278_415
; %bb.186:                              ;   in Loop: Header=BB278_9 Depth=1
	s_or_saveexec_b64 s[20:21], s[20:21]
	v_mov_b32_e32 v21, s24
	s_xor_b64 exec, exec, s[20:21]
	s_cbranch_execnz .LBB278_418
.LBB278_187:                            ;   in Loop: Header=BB278_9 Depth=1
	s_or_b64 exec, exec, s[20:21]
	s_and_saveexec_b64 s[20:21], s[4:5]
	s_cbranch_execz .LBB278_189
.LBB278_188:                            ;   in Loop: Header=BB278_9 Depth=1
	v_and_b32_e32 v4, 7, v8
	v_ffbh_u32_e32 v20, v4
	v_min_u32_e32 v23, 32, v20
	v_subrev_u32_e32 v20, 28, v23
	v_bfe_u32 v22, v8, 3, 4
	v_lshlrev_b64 v[20:21], v20, v[8:9]
	v_sub_u32_e32 v21, 29, v23
	v_cmp_eq_u32_e64 s[4:5], 0, v22
	v_and_b32_e32 v20, 7, v20
	v_mov_b32_e32 v2, 0x1c00
	v_cndmask_b32_e64 v21, v22, v21, s[4:5]
	v_cndmask_b32_e64 v4, v4, v20, s[4:5]
	v_lshlrev_b32_e32 v20, 8, v8
	v_lshl_add_u32 v21, v21, 10, v2
	v_and_or_b32 v20, v20, s27, v21
	v_lshl_or_b32 v4, v4, 7, v20
	v_cvt_f32_f16_e32 v21, v4
.LBB278_189:                            ;   in Loop: Header=BB278_9 Depth=1
	s_or_b64 exec, exec, s[20:21]
	v_lshrrev_b16_e32 v4, 8, v8
	v_cmp_lt_i16_e64 s[4:5], s17, v4
	s_mov_b64 s[20:21], 0
                                        ; implicit-def: $sgpr28
	s_and_saveexec_b64 s[22:23], s[4:5]
	s_xor_b64 s[22:23], exec, s[22:23]
	s_cbranch_execnz .LBB278_419
; %bb.190:                              ;   in Loop: Header=BB278_9 Depth=1
	s_or_saveexec_b64 s[22:23], s[22:23]
	v_mov_b32_e32 v20, s28
	s_xor_b64 exec, exec, s[22:23]
	s_cbranch_execnz .LBB278_422
.LBB278_191:                            ;   in Loop: Header=BB278_9 Depth=1
	s_or_b64 exec, exec, s[22:23]
	s_and_saveexec_b64 s[22:23], s[20:21]
	s_cbranch_execz .LBB278_193
.LBB278_192:                            ;   in Loop: Header=BB278_9 Depth=1
	v_and_b32_e32 v20, 7, v4
	v_ffbh_u32_e32 v22, v20
	v_min_u32_e32 v51, 32, v22
	v_subrev_u32_e32 v22, 28, v51
	v_bfe_u32 v35, v4, 3, 4
	v_lshlrev_b64 v[22:23], v22, v[4:5]
	v_sub_u32_e32 v23, 29, v51
	v_cmp_eq_u32_e64 s[4:5], 0, v35
	v_and_b32_e32 v22, 7, v22
	v_mov_b32_e32 v2, 0x1c00
	v_cndmask_b32_e64 v23, v35, v23, s[4:5]
	v_cndmask_b32_e64 v20, v20, v22, s[4:5]
	v_lshlrev_b32_e32 v4, 8, v4
	v_lshl_add_u32 v22, v23, 10, v2
	v_and_or_b32 v4, v4, s27, v22
	v_lshl_or_b32 v4, v20, 7, v4
	v_cvt_f32_f16_e32 v20, v4
.LBB278_193:                            ;   in Loop: Header=BB278_9 Depth=1
	s_or_b64 exec, exec, s[22:23]
	v_lshrrev_b32_e32 v4, 16, v8
	v_cmp_gt_i16_sdwa s[20:21], v4, s17 src0_sel:BYTE_0 src1_sel:DWORD
	s_mov_b64 s[4:5], 0
                                        ; implicit-def: $sgpr24
	s_and_saveexec_b64 s[22:23], s[20:21]
	s_xor_b64 s[20:21], exec, s[22:23]
	s_cbranch_execnz .LBB278_423
; %bb.194:                              ;   in Loop: Header=BB278_9 Depth=1
	s_or_saveexec_b64 s[20:21], s[20:21]
	v_mov_b32_e32 v51, s24
	s_xor_b64 exec, exec, s[20:21]
	s_cbranch_execnz .LBB278_426
.LBB278_195:                            ;   in Loop: Header=BB278_9 Depth=1
	s_or_b64 exec, exec, s[20:21]
	s_and_saveexec_b64 s[20:21], s[4:5]
	s_cbranch_execz .LBB278_197
.LBB278_196:                            ;   in Loop: Header=BB278_9 Depth=1
	v_bfe_u32 v35, v8, 16, 3
	v_ffbh_u32_e32 v22, v35
	v_min_u32_e32 v52, 32, v22
	v_subrev_u32_e32 v22, 28, v52
	v_bfe_u32 v51, v8, 19, 4
	v_lshlrev_b64 v[22:23], v22, v[4:5]
	v_sub_u32_e32 v23, 29, v52
	v_cmp_eq_u32_e64 s[4:5], 0, v51
	v_mov_b32_e32 v2, 0x1c00
	v_and_b32_e32 v22, 7, v22
	v_cndmask_b32_e64 v23, v51, v23, s[4:5]
	v_lshlrev_b32_e32 v4, 8, v4
	v_lshl_add_u32 v23, v23, 10, v2
	v_cndmask_b32_e64 v22, v35, v22, s[4:5]
	v_and_or_b32 v4, v4, s27, v23
	v_lshl_or_b32 v4, v22, 7, v4
	v_cvt_f32_f16_e32 v51, v4
.LBB278_197:                            ;   in Loop: Header=BB278_9 Depth=1
	s_or_b64 exec, exec, s[20:21]
	v_lshrrev_b32_e32 v4, 24, v8
	v_cmp_lt_i16_e64 s[4:5], s17, v4
	s_mov_b64 s[20:21], 0
                                        ; implicit-def: $sgpr28
	s_and_saveexec_b64 s[22:23], s[4:5]
	s_xor_b64 s[22:23], exec, s[22:23]
	s_cbranch_execnz .LBB278_427
; %bb.198:                              ;   in Loop: Header=BB278_9 Depth=1
	s_or_saveexec_b64 s[22:23], s[22:23]
	v_mov_b32_e32 v23, s28
	s_xor_b64 exec, exec, s[22:23]
	s_cbranch_execnz .LBB278_430
.LBB278_199:                            ;   in Loop: Header=BB278_9 Depth=1
	s_or_b64 exec, exec, s[22:23]
	s_and_saveexec_b64 s[22:23], s[20:21]
	s_cbranch_execz .LBB278_201
.LBB278_200:                            ;   in Loop: Header=BB278_9 Depth=1
	v_bfe_u32 v35, v8, 24, 3
	v_ffbh_u32_e32 v22, v35
	v_min_u32_e32 v52, 32, v22
	v_subrev_u32_e32 v22, 28, v52
	v_bfe_u32 v8, v8, 27, 4
	v_lshlrev_b64 v[22:23], v22, v[4:5]
	v_sub_u32_e32 v23, 29, v52
	v_cmp_eq_u32_e64 s[4:5], 0, v8
	v_mov_b32_e32 v2, 0x1c00
	v_and_b32_e32 v22, 7, v22
	v_cndmask_b32_e64 v8, v8, v23, s[4:5]
	v_lshlrev_b32_e32 v4, 8, v4
	v_lshl_add_u32 v8, v8, 10, v2
	v_cndmask_b32_e64 v22, v35, v22, s[4:5]
	v_and_or_b32 v4, v4, s27, v8
	v_lshl_or_b32 v4, v22, 7, v4
	v_cvt_f32_f16_e32 v23, v4
.LBB278_201:                            ;   in Loop: Header=BB278_9 Depth=1
	s_or_b64 exec, exec, s[22:23]
	flat_load_dword v8, v[30:31] offset:3072
	s_mov_b64 s[4:5], 0
                                        ; implicit-def: $sgpr24
	s_waitcnt vmcnt(0) lgkmcnt(0)
	v_cmp_gt_i16_sdwa s[20:21], v8, s17 src0_sel:BYTE_0 src1_sel:DWORD
	s_and_saveexec_b64 s[22:23], s[20:21]
	s_xor_b64 s[20:21], exec, s[22:23]
	s_cbranch_execnz .LBB278_431
; %bb.202:                              ;   in Loop: Header=BB278_9 Depth=1
	s_or_saveexec_b64 s[20:21], s[20:21]
	v_mov_b32_e32 v22, s24
	s_xor_b64 exec, exec, s[20:21]
	s_cbranch_execnz .LBB278_434
.LBB278_203:                            ;   in Loop: Header=BB278_9 Depth=1
	s_or_b64 exec, exec, s[20:21]
	s_and_saveexec_b64 s[20:21], s[4:5]
	s_cbranch_execz .LBB278_205
.LBB278_204:                            ;   in Loop: Header=BB278_9 Depth=1
	v_and_b32_e32 v4, 7, v8
	v_ffbh_u32_e32 v35, v4
	v_bfe_u32 v22, v8, 3, 4
	v_min_u32_e32 v35, 32, v35
	v_subrev_u32_e32 v52, 28, v35
	v_sub_u32_e32 v35, 29, v35
	v_cmp_eq_u32_e64 s[4:5], 0, v22
	v_lshlrev_b64 v[52:53], v52, v[8:9]
	v_mov_b32_e32 v2, 0x1c00
	v_cndmask_b32_e64 v22, v22, v35, s[4:5]
	v_and_b32_e32 v52, 7, v52
	v_lshlrev_b32_e32 v35, 8, v8
	v_lshl_add_u32 v22, v22, 10, v2
	v_cndmask_b32_e64 v4, v4, v52, s[4:5]
	v_and_or_b32 v22, v35, s27, v22
	v_lshl_or_b32 v4, v4, 7, v22
	v_cvt_f32_f16_e32 v22, v4
.LBB278_205:                            ;   in Loop: Header=BB278_9 Depth=1
	s_or_b64 exec, exec, s[20:21]
	v_lshrrev_b16_e32 v4, 8, v8
	v_cmp_lt_i16_e64 s[4:5], s17, v4
	s_mov_b64 s[20:21], 0
                                        ; implicit-def: $sgpr28
	s_and_saveexec_b64 s[22:23], s[4:5]
	s_xor_b64 s[22:23], exec, s[22:23]
	s_cbranch_execnz .LBB278_435
; %bb.206:                              ;   in Loop: Header=BB278_9 Depth=1
	s_or_saveexec_b64 s[22:23], s[22:23]
	v_mov_b32_e32 v52, s28
	s_xor_b64 exec, exec, s[22:23]
	s_cbranch_execnz .LBB278_438
.LBB278_207:                            ;   in Loop: Header=BB278_9 Depth=1
	s_or_b64 exec, exec, s[22:23]
	s_and_saveexec_b64 s[22:23], s[20:21]
	s_cbranch_execz .LBB278_209
.LBB278_208:                            ;   in Loop: Header=BB278_9 Depth=1
	v_and_b32_e32 v35, 7, v4
	v_ffbh_u32_e32 v52, v35
	v_min_u32_e32 v55, 32, v52
	v_subrev_u32_e32 v52, 28, v55
	v_bfe_u32 v54, v4, 3, 4
	v_lshlrev_b64 v[52:53], v52, v[4:5]
	v_sub_u32_e32 v53, 29, v55
	v_cmp_eq_u32_e64 s[4:5], 0, v54
	v_and_b32_e32 v52, 7, v52
	v_mov_b32_e32 v2, 0x1c00
	v_cndmask_b32_e64 v53, v54, v53, s[4:5]
	v_cndmask_b32_e64 v35, v35, v52, s[4:5]
	v_lshlrev_b32_e32 v4, 8, v4
	v_lshl_add_u32 v52, v53, 10, v2
	v_and_or_b32 v4, v4, s27, v52
	v_lshl_or_b32 v4, v35, 7, v4
	v_cvt_f32_f16_e32 v52, v4
.LBB278_209:                            ;   in Loop: Header=BB278_9 Depth=1
	s_or_b64 exec, exec, s[22:23]
	v_lshrrev_b32_e32 v4, 16, v8
	v_cmp_gt_i16_sdwa s[20:21], v4, s17 src0_sel:BYTE_0 src1_sel:DWORD
	s_mov_b64 s[4:5], 0
                                        ; implicit-def: $sgpr24
	s_and_saveexec_b64 s[22:23], s[20:21]
	s_xor_b64 s[20:21], exec, s[22:23]
	s_cbranch_execnz .LBB278_439
; %bb.210:                              ;   in Loop: Header=BB278_9 Depth=1
	s_or_saveexec_b64 s[20:21], s[20:21]
	v_mov_b32_e32 v53, s24
	s_xor_b64 exec, exec, s[20:21]
	s_cbranch_execnz .LBB278_442
.LBB278_211:                            ;   in Loop: Header=BB278_9 Depth=1
	s_or_b64 exec, exec, s[20:21]
	s_and_saveexec_b64 s[20:21], s[4:5]
	s_cbranch_execz .LBB278_213
.LBB278_212:                            ;   in Loop: Header=BB278_9 Depth=1
	v_bfe_u32 v35, v8, 16, 3
	v_ffbh_u32_e32 v54, v35
	v_min_u32_e32 v40, 32, v54
	v_subrev_u32_e32 v54, 28, v40
	v_bfe_u32 v53, v8, 19, 4
	v_lshlrev_b64 v[54:55], v54, v[4:5]
	v_sub_u32_e32 v55, 29, v40
	v_cmp_eq_u32_e64 s[4:5], 0, v53
	v_mov_b32_e32 v2, 0x1c00
	v_and_b32_e32 v54, 7, v54
	v_cndmask_b32_e64 v53, v53, v55, s[4:5]
	v_lshlrev_b32_e32 v4, 8, v4
	v_lshl_add_u32 v53, v53, 10, v2
	v_cndmask_b32_e64 v35, v35, v54, s[4:5]
	v_and_or_b32 v4, v4, s27, v53
	v_lshl_or_b32 v4, v35, 7, v4
	v_cvt_f32_f16_e32 v53, v4
.LBB278_213:                            ;   in Loop: Header=BB278_9 Depth=1
	s_or_b64 exec, exec, s[20:21]
	v_lshrrev_b32_e32 v4, 24, v8
	v_cmp_lt_i16_e64 s[4:5], s17, v4
	s_mov_b64 s[20:21], 0
                                        ; implicit-def: $sgpr28
	s_and_saveexec_b64 s[22:23], s[4:5]
	s_xor_b64 s[22:23], exec, s[22:23]
	s_cbranch_execnz .LBB278_443
; %bb.214:                              ;   in Loop: Header=BB278_9 Depth=1
	s_or_saveexec_b64 s[22:23], s[22:23]
	v_mov_b32_e32 v54, s28
	s_xor_b64 exec, exec, s[22:23]
	s_cbranch_execnz .LBB278_446
.LBB278_215:                            ;   in Loop: Header=BB278_9 Depth=1
	s_or_b64 exec, exec, s[22:23]
	s_and_saveexec_b64 s[22:23], s[20:21]
	s_cbranch_execz .LBB278_217
.LBB278_216:                            ;   in Loop: Header=BB278_9 Depth=1
	v_bfe_u32 v35, v8, 24, 3
	v_ffbh_u32_e32 v54, v35
	v_min_u32_e32 v40, 32, v54
	v_subrev_u32_e32 v54, 28, v40
	v_bfe_u32 v8, v8, 27, 4
	v_lshlrev_b64 v[54:55], v54, v[4:5]
	v_sub_u32_e32 v55, 29, v40
	v_cmp_eq_u32_e64 s[4:5], 0, v8
	v_mov_b32_e32 v2, 0x1c00
	v_and_b32_e32 v54, 7, v54
	v_cndmask_b32_e64 v8, v8, v55, s[4:5]
	v_lshlrev_b32_e32 v4, 8, v4
	v_lshl_add_u32 v8, v8, 10, v2
	v_cndmask_b32_e64 v35, v35, v54, s[4:5]
	v_and_or_b32 v4, v4, s27, v8
	v_lshl_or_b32 v4, v35, 7, v4
	v_cvt_f32_f16_e32 v54, v4
.LBB278_217:                            ;   in Loop: Header=BB278_9 Depth=1
	s_or_b64 exec, exec, s[22:23]
	flat_load_dword v8, v[30:31] offset:3080
	s_mov_b64 s[4:5], 0
                                        ; implicit-def: $sgpr24
	s_waitcnt vmcnt(0) lgkmcnt(0)
	v_cmp_gt_i16_sdwa s[20:21], v8, s17 src0_sel:BYTE_0 src1_sel:DWORD
	s_and_saveexec_b64 s[22:23], s[20:21]
	s_xor_b64 s[20:21], exec, s[22:23]
	s_cbranch_execnz .LBB278_447
; %bb.218:                              ;   in Loop: Header=BB278_9 Depth=1
	s_or_saveexec_b64 s[20:21], s[20:21]
	v_mov_b32_e32 v30, s24
	s_xor_b64 exec, exec, s[20:21]
	s_cbranch_execnz .LBB278_450
.LBB278_219:                            ;   in Loop: Header=BB278_9 Depth=1
	s_or_b64 exec, exec, s[20:21]
	s_and_saveexec_b64 s[20:21], s[4:5]
	s_cbranch_execz .LBB278_221
.LBB278_220:                            ;   in Loop: Header=BB278_9 Depth=1
	v_and_b32_e32 v4, 7, v8
	v_ffbh_u32_e32 v30, v4
	v_min_u32_e32 v55, 32, v30
	v_subrev_u32_e32 v30, 28, v55
	v_bfe_u32 v35, v8, 3, 4
	v_lshlrev_b64 v[30:31], v30, v[8:9]
	v_sub_u32_e32 v31, 29, v55
	v_cmp_eq_u32_e64 s[4:5], 0, v35
	v_and_b32_e32 v30, 7, v30
	v_mov_b32_e32 v2, 0x1c00
	v_cndmask_b32_e64 v31, v35, v31, s[4:5]
	v_cndmask_b32_e64 v4, v4, v30, s[4:5]
	v_lshlrev_b32_e32 v30, 8, v8
	v_lshl_add_u32 v31, v31, 10, v2
	v_and_or_b32 v30, v30, s27, v31
	v_lshl_or_b32 v4, v4, 7, v30
	v_cvt_f32_f16_e32 v30, v4
.LBB278_221:                            ;   in Loop: Header=BB278_9 Depth=1
	s_or_b64 exec, exec, s[20:21]
	v_lshrrev_b16_e32 v4, 8, v8
	v_cmp_lt_i16_e64 s[4:5], s17, v4
	s_mov_b64 s[20:21], 0
                                        ; implicit-def: $sgpr28
	s_and_saveexec_b64 s[22:23], s[4:5]
	s_xor_b64 s[22:23], exec, s[22:23]
	s_cbranch_execnz .LBB278_451
; %bb.222:                              ;   in Loop: Header=BB278_9 Depth=1
	s_or_saveexec_b64 s[22:23], s[22:23]
	v_mov_b32_e32 v55, s28
	s_xor_b64 exec, exec, s[22:23]
	s_cbranch_execnz .LBB278_454
.LBB278_223:                            ;   in Loop: Header=BB278_9 Depth=1
	s_or_b64 exec, exec, s[22:23]
	s_and_saveexec_b64 s[22:23], s[20:21]
	s_cbranch_execz .LBB278_225
.LBB278_224:                            ;   in Loop: Header=BB278_9 Depth=1
	v_and_b32_e32 v31, 7, v4
	v_ffbh_u32_e32 v55, v31
	v_bfe_u32 v35, v4, 3, 4
	v_min_u32_e32 v55, 32, v55
	v_subrev_u32_e32 v40, 28, v55
	v_sub_u32_e32 v55, 29, v55
	v_cmp_eq_u32_e64 s[4:5], 0, v35
	v_lshlrev_b64 v[42:43], v40, v[4:5]
	v_mov_b32_e32 v2, 0x1c00
	v_cndmask_b32_e64 v35, v35, v55, s[4:5]
	v_and_b32_e32 v40, 7, v42
	v_lshlrev_b32_e32 v4, 8, v4
	v_lshl_add_u32 v35, v35, 10, v2
	v_cndmask_b32_e64 v31, v31, v40, s[4:5]
	v_and_or_b32 v4, v4, s27, v35
	v_lshl_or_b32 v4, v31, 7, v4
	v_cvt_f32_f16_e32 v55, v4
.LBB278_225:                            ;   in Loop: Header=BB278_9 Depth=1
	s_or_b64 exec, exec, s[22:23]
	v_lshrrev_b32_e32 v4, 16, v8
	v_cmp_gt_i16_sdwa s[20:21], v4, s17 src0_sel:BYTE_0 src1_sel:DWORD
	s_mov_b64 s[4:5], 0
                                        ; implicit-def: $sgpr24
	s_and_saveexec_b64 s[22:23], s[20:21]
	s_xor_b64 s[20:21], exec, s[22:23]
	s_cbranch_execnz .LBB278_455
; %bb.226:                              ;   in Loop: Header=BB278_9 Depth=1
	s_or_saveexec_b64 s[20:21], s[20:21]
	v_mov_b32_e32 v42, s24
	s_xor_b64 exec, exec, s[20:21]
	s_cbranch_execnz .LBB278_458
.LBB278_227:                            ;   in Loop: Header=BB278_9 Depth=1
	s_or_b64 exec, exec, s[20:21]
	s_and_saveexec_b64 s[20:21], s[4:5]
	s_cbranch_execz .LBB278_229
.LBB278_228:                            ;   in Loop: Header=BB278_9 Depth=1
	v_bfe_u32 v31, v8, 16, 3
	v_ffbh_u32_e32 v40, v31
	v_bfe_u32 v35, v8, 19, 4
	v_min_u32_e32 v40, 32, v40
	v_subrev_u32_e32 v41, 28, v40
	v_sub_u32_e32 v40, 29, v40
	v_cmp_eq_u32_e64 s[4:5], 0, v35
	v_lshlrev_b64 v[42:43], v41, v[4:5]
	v_mov_b32_e32 v2, 0x1c00
	v_cndmask_b32_e64 v35, v35, v40, s[4:5]
	v_and_b32_e32 v41, 7, v42
	v_lshlrev_b32_e32 v4, 8, v4
	v_lshl_add_u32 v35, v35, 10, v2
	v_cndmask_b32_e64 v31, v31, v41, s[4:5]
	v_and_or_b32 v4, v4, s27, v35
	v_lshl_or_b32 v4, v31, 7, v4
	v_cvt_f32_f16_e32 v42, v4
.LBB278_229:                            ;   in Loop: Header=BB278_9 Depth=1
	s_or_b64 exec, exec, s[20:21]
	v_lshrrev_b32_e32 v4, 24, v8
	v_cmp_lt_i16_e64 s[4:5], s17, v4
	s_mov_b64 s[20:21], 0
                                        ; implicit-def: $sgpr28
	s_and_saveexec_b64 s[22:23], s[4:5]
	s_xor_b64 s[22:23], exec, s[22:23]
	s_cbranch_execz .LBB278_233
; %bb.230:                              ;   in Loop: Header=BB278_9 Depth=1
	v_cmp_eq_u16_e64 s[4:5], s26, v4
	s_mov_b64 s[20:21], -1
                                        ; implicit-def: $sgpr28
	s_and_saveexec_b64 s[24:25], s[4:5]
; %bb.231:                              ;   in Loop: Header=BB278_9 Depth=1
	s_mov_b32 s28, 0x7fc02000
	s_xor_b64 s[20:21], exec, -1
; %bb.232:                              ;   in Loop: Header=BB278_9 Depth=1
	s_or_b64 exec, exec, s[24:25]
	s_and_b64 s[20:21], s[20:21], exec
.LBB278_233:                            ;   in Loop: Header=BB278_9 Depth=1
	s_or_saveexec_b64 s[22:23], s[22:23]
	v_mov_b32_e32 v35, s28
	s_xor_b64 exec, exec, s[22:23]
; %bb.234:                              ;   in Loop: Header=BB278_9 Depth=1
	v_cmp_ne_u16_e64 s[4:5], 0, v4
	s_andn2_b64 s[20:21], s[20:21], exec
	s_and_b64 s[4:5], s[4:5], exec
	v_mov_b32_e32 v35, 0
	s_or_b64 s[20:21], s[20:21], s[4:5]
; %bb.235:                              ;   in Loop: Header=BB278_9 Depth=1
	s_or_b64 exec, exec, s[22:23]
	v_accvgpr_write_b32 a43, v58
	v_accvgpr_write_b32 a42, v57
	;; [unrolled: 1-line block ×8, first 2 shown]
	s_and_saveexec_b64 s[22:23], s[20:21]
	s_cbranch_execz .LBB278_237
; %bb.236:                              ;   in Loop: Header=BB278_9 Depth=1
	v_bfe_u32 v31, v8, 24, 3
	v_ffbh_u32_e32 v35, v31
	v_bfe_u32 v8, v8, 27, 4
	v_min_u32_e32 v35, 32, v35
	v_subrev_u32_e32 v40, 28, v35
	v_sub_u32_e32 v35, 29, v35
	v_cmp_eq_u32_e64 s[4:5], 0, v8
	v_lshlrev_b64 v[40:41], v40, v[4:5]
	v_mov_b32_e32 v2, 0x1c00
	v_cndmask_b32_e64 v8, v8, v35, s[4:5]
	v_and_b32_e32 v40, 7, v40
	v_lshlrev_b32_e32 v4, 8, v4
	v_lshl_add_u32 v8, v8, 10, v2
	v_cndmask_b32_e64 v31, v31, v40, s[4:5]
	v_and_or_b32 v4, v4, s27, v8
	v_lshl_or_b32 v4, v31, 7, v4
	v_cvt_f32_f16_e32 v35, v4
.LBB278_237:                            ;   in Loop: Header=BB278_9 Depth=1
	s_or_b64 exec, exec, s[22:23]
	v_accvgpr_read_b32 v2, a23
	ds_read_b64 v[40:41], v2
	v_fma_mixlo_f16 v44, v50, v19, 0
	v_fma_mixlo_f16 v43, v50, v34, 0
	;; [unrolled: 1-line block ×4, first 2 shown]
	s_waitcnt lgkmcnt(0)
	v_lshrrev_b32_e32 v4, 16, v40
	v_and_b32_e32 v8, 0xffff, v40
	v_lshrrev_b32_e32 v31, 16, v41
	v_and_b32_e32 v40, 0xffff, v41
	v_fma_mixlo_f16 v41, v50, v28, 0
	;;#ASMSTART
	v_cvt_f32_f16 v8, v8;
	;;#ASMEND
	;;#ASMSTART
	v_cvt_f32_f16 v46, v4;
	;;#ASMEND
	v_and_b32_e32 v4, 0xffff, v44
	;;#ASMSTART
	v_cvt_f32_f16 v44, v4;
	;;#ASMEND
	v_and_b32_e32 v4, 0xffff, v41
	;; [unrolled: 4-line block ×3, first 2 shown]
	;;#ASMSTART
	v_cvt_f32_f16 v56, v40;
	;;#ASMEND
	;;#ASMSTART
	v_cvt_f32_f16 v57, v31;
	;;#ASMEND
	;; [unrolled: 3-line block ×3, first 2 shown]
	v_and_b32_e32 v4, 0xffff, v45
	;;#ASMSTART
	v_cvt_f32_f16 v45, v4;
	;;#ASMEND
	ds_read_b64 v[40:41], v2 offset:8
	v_fma_mixlo_f16 v19, v50, v54, 0
	v_fma_mixlo_f16 v59, v50, v17, 0
	;; [unrolled: 1-line block ×3, first 2 shown]
	v_accvgpr_write_b32 a44, v19
	s_waitcnt lgkmcnt(0)
	v_and_b32_e32 v4, 0xffff, v40
	;;#ASMSTART
	v_cvt_f32_f16 v4, v4;
	;;#ASMEND
	v_lshrrev_b32_e32 v31, 16, v40
	v_and_b32_e32 v40, 0xffff, v43
	;;#ASMSTART
	v_cvt_f32_f16 v31, v31;
	;;#ASMEND
	;;#ASMSTART
	v_cvt_f32_f16 v40, v40;
	;;#ASMEND
	v_fma_mixlo_f16 v43, v50, v1, 0
	v_mul_f32_e32 v4, v4, v40
	v_fmac_f32_e32 v4, v8, v44
	v_fma_mixlo_f16 v44, v50, v0, 0
	v_accvgpr_read_b32 v0, a43
	v_fma_mixlo_f16 v8, v50, v39, 0
	v_fma_mixlo_f16 v39, v50, v0, 0
	v_accvgpr_read_b32 v0, a40
	v_fma_mixlo_f16 v12, v50, v0, 0
	v_accvgpr_read_b32 v0, a39
	;; [unrolled: 2-line block ×5, first 2 shown]
	v_and_b32_e32 v8, 0xffff, v8
	v_fma_mixlo_f16 v38, v50, v0, 0
	v_accvgpr_read_b32 v0, a35
	;;#ASMSTART
	v_cvt_f32_f16 v8, v8;
	;;#ASMEND
	v_fma_mixlo_f16 v49, v50, v0, 0
	v_accvgpr_read_b32 v0, a37
	v_mul_f32_e32 v8, v31, v8
	v_lshrrev_b32_e32 v31, 16, v41
	v_and_b32_e32 v40, 0xffff, v41
	v_fma_mixlo_f16 v41, v50, v48, 0
	v_fma_mixlo_f16 v48, v50, v0, 0
	v_accvgpr_read_b32 v0, a38
	v_fma_mixlo_f16 v1, v50, v0, 0
	v_accvgpr_read_b32 v0, a34
	v_fma_mixlo_f16 v0, v50, v0, 0
	;;#ASMSTART
	v_cvt_f32_f16 v40, v40;
	;;#ASMEND
	;;#ASMSTART
	v_cvt_f32_f16 v58, v31;
	;;#ASMEND
	v_and_b32_e32 v31, 0xffff, v41
	v_and_b32_e32 v0, 0xffff, v0
	v_fmac_f32_e32 v8, v46, v47
	;;#ASMSTART
	v_cvt_f32_f16 v31, v31;
	;;#ASMEND
	;;#ASMSTART
	v_cvt_f32_f16 v0, v0;
	;;#ASMEND
	ds_read_b64 v[46:47], v2 offset:16
	v_mul_f32_e32 v31, v40, v31
	v_fma_mixlo_f16 v40, v50, v52, 0
	v_fma_mixlo_f16 v41, v50, v22, 0
	;; [unrolled: 1-line block ×32, first 2 shown]
	v_fmac_f32_e32 v31, v56, v34
	v_fma_mixlo_f16 v3, v50, v42, 0
	v_fma_mixlo_f16 v30, v50, v35, 0
	s_waitcnt lgkmcnt(0)
	v_lshrrev_b32_e32 v34, 16, v46
	v_and_b32_e32 v35, 0xffff, v46
	v_and_b32_e32 v49, 0xffff, v49
	;; [unrolled: 1-line block ×3, first 2 shown]
	v_lshrrev_b32_e32 v50, 16, v47
	v_and_b32_e32 v55, 0xffff, v47
	v_and_b32_e32 v48, 0xffff, v48
	;; [unrolled: 1-line block ×3, first 2 shown]
	;;#ASMSTART
	v_cvt_f32_f16 v35, v35;
	;;#ASMEND
	;;#ASMSTART
	v_cvt_f32_f16 v34, v34;
	;;#ASMEND
	;; [unrolled: 3-line block ×8, first 2 shown]
	ds_read_b64 v[46:47], v2 offset:24
	v_mul_f32_e32 v0, v58, v0
	v_fmac_f32_e32 v0, v57, v45
	v_fmac_f32_e32 v4, v35, v49
	;; [unrolled: 1-line block ×4, first 2 shown]
	s_waitcnt lgkmcnt(0)
	v_lshrrev_b32_e32 v1, 16, v46
	v_and_b32_e32 v34, 0xffff, v46
	v_and_b32_e32 v19, 0xffff, v19
	;; [unrolled: 1-line block ×3, first 2 shown]
	v_lshrrev_b32_e32 v35, 16, v47
	v_and_b32_e32 v38, 0xffff, v47
	v_and_b32_e32 v28, 0xffff, v28
	;; [unrolled: 1-line block ×3, first 2 shown]
	;;#ASMSTART
	v_cvt_f32_f16 v34, v34;
	;;#ASMEND
	;;#ASMSTART
	v_cvt_f32_f16 v1, v1;
	;;#ASMEND
	;; [unrolled: 3-line block ×8, first 2 shown]
	ds_read_b64 v[46:47], v2 offset:32
	v_fmac_f32_e32 v31, v55, v48
	v_fmac_f32_e32 v4, v34, v19
	v_fmac_f32_e32 v8, v1, v12
	v_fmac_f32_e32 v31, v38, v28
	v_fmac_f32_e32 v0, v35, v29
	s_waitcnt lgkmcnt(0)
	v_lshrrev_b32_e32 v1, 16, v46
	v_and_b32_e32 v12, 0xffff, v46
	v_and_b32_e32 v19, 0xffff, v61
	;; [unrolled: 1-line block ×3, first 2 shown]
	v_lshrrev_b32_e32 v29, 16, v47
	v_and_b32_e32 v34, 0xffff, v47
	v_and_b32_e32 v35, 0xffff, v62
	;; [unrolled: 1-line block ×3, first 2 shown]
	;;#ASMSTART
	v_cvt_f32_f16 v12, v12;
	;;#ASMEND
	;;#ASMSTART
	v_cvt_f32_f16 v1, v1;
	;;#ASMEND
	;; [unrolled: 3-line block ×8, first 2 shown]
	ds_read_b64 v[46:47], v2 offset:40
	v_fmac_f32_e32 v4, v12, v19
	v_fmac_f32_e32 v8, v1, v28
	;; [unrolled: 1-line block ×4, first 2 shown]
	s_waitcnt lgkmcnt(0)
	v_lshrrev_b32_e32 v1, 16, v46
	v_and_b32_e32 v12, 0xffff, v46
	v_and_b32_e32 v19, 0xffff, v63
	;; [unrolled: 1-line block ×3, first 2 shown]
	v_lshrrev_b32_e32 v29, 16, v47
	v_and_b32_e32 v34, 0xffff, v47
	v_and_b32_e32 v17, 0xffff, v17
	;; [unrolled: 1-line block ×3, first 2 shown]
	;;#ASMSTART
	v_cvt_f32_f16 v12, v12;
	;;#ASMEND
	;;#ASMSTART
	v_cvt_f32_f16 v1, v1;
	;;#ASMEND
	;; [unrolled: 3-line block ×8, first 2 shown]
	ds_read_b64 v[16:17], v2 offset:48
	v_fmac_f32_e32 v4, v12, v19
	v_fmac_f32_e32 v8, v1, v28
	v_and_b32_e32 v15, 0xffff, v15
	v_and_b32_e32 v7, 0xffff, v7
	s_waitcnt lgkmcnt(0)
	v_lshrrev_b32_e32 v1, 16, v16
	v_and_b32_e32 v12, 0xffff, v16
	v_and_b32_e32 v16, 0xffff, v44
	;;#ASMSTART
	v_cvt_f32_f16 v12, v12;
	;;#ASMEND
	;;#ASMSTART
	v_cvt_f32_f16 v1, v1;
	;;#ASMEND
	;; [unrolled: 3-line block ×3, first 2 shown]
	v_and_b32_e32 v16, 0xffff, v43
	;;#ASMSTART
	v_cvt_f32_f16 v28, v16;
	;;#ASMEND
	v_lshrrev_b32_e32 v16, 16, v17
	v_and_b32_e32 v17, 0xffff, v17
	v_fmac_f32_e32 v31, v34, v35
	v_fmac_f32_e32 v0, v29, v38
	;;#ASMSTART
	v_cvt_f32_f16 v29, v17;
	;;#ASMEND
	;;#ASMSTART
	v_cvt_f32_f16 v34, v16;
	;;#ASMEND
	;; [unrolled: 3-line block ×4, first 2 shown]
	ds_read_b64 v[16:17], v2 offset:56
	v_fmac_f32_e32 v4, v12, v19
	v_fmac_f32_e32 v8, v1, v28
	;; [unrolled: 1-line block ×4, first 2 shown]
	s_waitcnt lgkmcnt(0)
	v_lshrrev_b32_e32 v1, 16, v16
	v_and_b32_e32 v7, 0xffff, v16
	v_and_b32_e32 v12, 0xffff, v37
	;; [unrolled: 1-line block ×3, first 2 shown]
	;;#ASMSTART
	v_cvt_f32_f16 v7, v7;
	;;#ASMEND
	;;#ASMSTART
	v_cvt_f32_f16 v1, v1;
	;;#ASMEND
	;; [unrolled: 3-line block ×4, first 2 shown]
	v_lshrrev_b32_e32 v15, 16, v17
	v_and_b32_e32 v17, 0xffff, v17
	;;#ASMSTART
	v_cvt_f32_f16 v17, v17;
	;;#ASMEND
	;;#ASMSTART
	v_cvt_f32_f16 v19, v15;
	;;#ASMEND
	v_and_b32_e32 v15, 0xffff, v32
	v_and_b32_e32 v14, 0xffff, v14
	;;#ASMSTART
	v_cvt_f32_f16 v28, v15;
	;;#ASMEND
	;;#ASMSTART
	v_cvt_f32_f16 v29, v14;
	;;#ASMEND
	ds_read_b64 v[14:15], v2 offset:64
	v_fmac_f32_e32 v4, v7, v12
	v_fmac_f32_e32 v8, v1, v16
	v_and_b32_e32 v12, 0xffff, v25
	v_and_b32_e32 v11, 0xffff, v11
	s_waitcnt lgkmcnt(0)
	v_lshrrev_b32_e32 v1, 16, v14
	v_and_b32_e32 v7, 0xffff, v14
	v_and_b32_e32 v14, 0xffff, v24
	v_lshrrev_b32_e32 v16, 16, v15
	v_and_b32_e32 v15, 0xffff, v15
	v_and_b32_e32 v10, 0xffff, v10
	v_fmac_f32_e32 v31, v17, v28
	v_fmac_f32_e32 v0, v19, v29
	;;#ASMSTART
	v_cvt_f32_f16 v7, v7;
	;;#ASMEND
	;;#ASMSTART
	v_cvt_f32_f16 v1, v1;
	;;#ASMEND
	;; [unrolled: 3-line block ×8, first 2 shown]
	ds_read_b64 v[10:11], v2 offset:72
	v_fmac_f32_e32 v4, v7, v12
	v_fmac_f32_e32 v8, v1, v14
	v_fmac_f32_e32 v31, v15, v17
	v_fmac_f32_e32 v0, v16, v19
	s_waitcnt lgkmcnt(0)
	v_lshrrev_b32_e32 v1, 16, v10
	v_and_b32_e32 v7, 0xffff, v10
	v_and_b32_e32 v10, 0xffff, v51
	;;#ASMSTART
	v_cvt_f32_f16 v7, v7;
	;;#ASMEND
	;;#ASMSTART
	v_cvt_f32_f16 v1, v1;
	;;#ASMEND
	;; [unrolled: 3-line block ×3, first 2 shown]
	v_and_b32_e32 v10, 0xffff, v36
	;;#ASMSTART
	v_cvt_f32_f16 v14, v10;
	;;#ASMEND
	v_lshrrev_b32_e32 v10, 16, v11
	v_and_b32_e32 v11, 0xffff, v11
	;;#ASMSTART
	v_cvt_f32_f16 v15, v11;
	;;#ASMEND
	;;#ASMSTART
	v_cvt_f32_f16 v16, v10;
	;;#ASMEND
	v_and_b32_e32 v10, 0xffff, v13
	v_and_b32_e32 v9, 0xffff, v9
	;;#ASMSTART
	v_cvt_f32_f16 v13, v10;
	;;#ASMEND
	;;#ASMSTART
	v_cvt_f32_f16 v9, v9;
	;;#ASMEND
	ds_read_b64 v[10:11], v2 offset:80
	v_fmac_f32_e32 v4, v7, v12
	v_fmac_f32_e32 v8, v1, v14
	;; [unrolled: 1-line block ×3, first 2 shown]
	v_and_b32_e32 v9, 0xffff, v26
	s_waitcnt lgkmcnt(0)
	v_lshrrev_b32_e32 v1, 16, v10
	v_and_b32_e32 v7, 0xffff, v10
	v_and_b32_e32 v10, 0xffff, v27
	;;#ASMSTART
	v_cvt_f32_f16 v7, v7;
	;;#ASMEND
	;;#ASMSTART
	v_cvt_f32_f16 v1, v1;
	;;#ASMEND
	;; [unrolled: 3-line block ×4, first 2 shown]
	v_lshrrev_b32_e32 v10, 16, v11
	v_fmac_f32_e32 v31, v15, v13
	v_and_b32_e32 v11, 0xffff, v11
	;;#ASMSTART
	v_cvt_f32_f16 v13, v11;
	;;#ASMEND
	;;#ASMSTART
	v_cvt_f32_f16 v14, v10;
	;;#ASMEND
	v_and_b32_e32 v10, 0xffff, v23
	;;#ASMSTART
	v_cvt_f32_f16 v15, v10;
	;;#ASMEND
	v_and_b32_e32 v10, 0xffff, v18
	;;#ASMSTART
	v_cvt_f32_f16 v16, v10;
	;;#ASMEND
	ds_read_b64 v[10:11], v2 offset:88
	v_fmac_f32_e32 v4, v7, v9
	v_fmac_f32_e32 v8, v1, v12
	v_and_b32_e32 v9, 0xffff, v54
	v_fmac_f32_e32 v31, v13, v15
	s_waitcnt lgkmcnt(0)
	v_lshrrev_b32_e32 v1, 16, v10
	v_and_b32_e32 v7, 0xffff, v10
	v_and_b32_e32 v10, 0xffff, v53
	;;#ASMSTART
	v_cvt_f32_f16 v7, v7;
	;;#ASMEND
	;;#ASMSTART
	v_cvt_f32_f16 v1, v1;
	;;#ASMEND
	;; [unrolled: 3-line block ×4, first 2 shown]
	v_lshrrev_b32_e32 v10, 16, v11
	v_fmac_f32_e32 v0, v14, v16
	v_and_b32_e32 v11, 0xffff, v11
	;;#ASMSTART
	v_cvt_f32_f16 v13, v11;
	;;#ASMEND
	;;#ASMSTART
	v_cvt_f32_f16 v14, v10;
	;;#ASMEND
	v_and_b32_e32 v10, 0xffff, v21
	;;#ASMSTART
	v_cvt_f32_f16 v15, v10;
	;;#ASMEND
	v_and_b32_e32 v10, 0xffff, v20
	;;#ASMSTART
	v_cvt_f32_f16 v16, v10;
	;;#ASMEND
	ds_read_b64 v[10:11], v2 offset:96
	v_fmac_f32_e32 v4, v7, v9
	v_fmac_f32_e32 v8, v1, v12
	v_and_b32_e32 v9, 0xffff, v41
	v_fmac_f32_e32 v31, v13, v15
	s_waitcnt lgkmcnt(0)
	v_lshrrev_b32_e32 v1, 16, v10
	v_and_b32_e32 v7, 0xffff, v10
	v_and_b32_e32 v10, 0xffff, v40
	;;#ASMSTART
	v_cvt_f32_f16 v7, v7;
	;;#ASMEND
	;;#ASMSTART
	v_cvt_f32_f16 v1, v1;
	;;#ASMEND
	;; [unrolled: 3-line block ×4, first 2 shown]
	v_lshrrev_b32_e32 v10, 16, v11
	v_fmac_f32_e32 v0, v14, v16
	v_and_b32_e32 v11, 0xffff, v11
	;;#ASMSTART
	v_cvt_f32_f16 v13, v11;
	;;#ASMEND
	;;#ASMSTART
	v_cvt_f32_f16 v14, v10;
	;;#ASMEND
	v_and_b32_e32 v10, 0xffff, v52
	;;#ASMSTART
	v_cvt_f32_f16 v15, v10;
	;;#ASMEND
	v_accvgpr_read_b32 v10, a44
	v_and_b32_e32 v10, 0xffff, v10
	;;#ASMSTART
	v_cvt_f32_f16 v16, v10;
	;;#ASMEND
	ds_read_b64 v[10:11], v2 offset:104
	v_fmac_f32_e32 v4, v7, v9
	v_fmac_f32_e32 v8, v1, v12
	v_and_b32_e32 v6, 0xffff, v6
	v_and_b32_e32 v2, 0xffff, v22
	s_waitcnt lgkmcnt(0)
	v_lshrrev_b32_e32 v1, 16, v10
	v_and_b32_e32 v7, 0xffff, v10
	;;#ASMSTART
	v_cvt_f32_f16 v7, v7;
	;;#ASMEND
	;;#ASMSTART
	v_cvt_f32_f16 v1, v1;
	;;#ASMEND
	;; [unrolled: 3-line block ×4, first 2 shown]
	v_fmac_f32_e32 v31, v13, v15
	v_fmac_f32_e32 v8, v1, v2
	v_lshrrev_b32_e32 v1, 16, v11
	v_and_b32_e32 v2, 0xffff, v11
	v_fmac_f32_e32 v0, v14, v16
	v_fmac_f32_e32 v4, v7, v6
	;;#ASMSTART
	v_cvt_f32_f16 v2, v2;
	;;#ASMEND
	;;#ASMSTART
	v_cvt_f32_f16 v1, v1;
	;;#ASMEND
	v_and_b32_e32 v3, 0xffff, v3
	v_and_b32_e32 v6, 0xffff, v30
	;;#ASMSTART
	v_cvt_f32_f16 v3, v3;
	;;#ASMEND
	;;#ASMSTART
	v_cvt_f32_f16 v6, v6;
	;;#ASMEND
	s_nop 0
	v_fmac_f32_e32 v31, v2, v3
	v_fmac_f32_e32 v0, v1, v6
	v_add_f32_e32 v1, v4, v8
	v_add_f32_e32 v1, v1, v31
	v_accvgpr_read_b32 v3, a22
	v_add_f32_e32 v1, v0, v1
	v_and_b32_e32 v0, 64, v3
	v_xor_b32_e32 v2, 1, v3
	v_add_u32_e32 v0, 64, v0
	v_cmp_lt_i32_e64 s[4:5], v2, v0
	s_nop 1
	v_cndmask_b32_e64 v2, v3, v2, s[4:5]
	v_lshlrev_b32_e32 v2, 2, v2
	ds_bpermute_b32 v2, v2, v1
	s_mov_b64 s[20:21], exec
	s_and_b64 s[4:5], s[20:21], vcc
	v_accvgpr_read_b32 v7, a33
	s_mov_b64 exec, s[4:5]
	s_cbranch_execz .LBB278_8
; %bb.238:                              ;   in Loop: Header=BB278_9 Depth=1
	s_waitcnt lgkmcnt(0)
	v_add_f32_e32 v1, v1, v2
	scratch_load_dword v2, off, s32 offset:120 ; 4-byte Folded Reload
	v_accvgpr_read_b32 v3, a30
	v_accvgpr_read_b32 v6, a31
	v_add_u32_e32 v3, v3, v6
	v_cvt_f32_i32_e32 v3, v3
	s_load_dword s4, s[8:9], 0x0
	v_accvgpr_read_b32 v4, a15
	s_waitcnt vmcnt(0)
	v_mul_f32_e32 v2, v2, v3
	v_cndmask_b32_e64 v2, 0, v2, s[2:3]
	v_accvgpr_read_b32 v3, a32
	v_fmac_f32_e32 v2, v1, v4
	v_accvgpr_read_b32 v4, a8
	s_waitcnt lgkmcnt(0)
	v_add_u32_e32 v3, s4, v3
	v_cmp_lt_i32_e64 s[4:5], v6, v4
	s_nop 1
	v_cndmask_b32_e64 v1, 0, v2, s[4:5]
	ds_write_b32 v3, v1
	scratch_load_dword v3, off, s32 offset:116 ; 4-byte Folded Reload
	s_waitcnt vmcnt(0)
	v_max_f32_e32 v1, v3, v3
	v_max_f32_e32 v1, v1, v2
	v_cndmask_b32_e64 v3, v3, v1, s[4:5]
	scratch_store_dword off, v3, s32 offset:116 ; 4-byte Folded Spill
	s_branch .LBB278_8
.LBB278_239:                            ;   in Loop: Header=BB278_9 Depth=1
	v_cmp_eq_u16_sdwa s[28:29], v8, s26 src0_sel:BYTE_0 src1_sel:DWORD
	s_mov_b64 s[4:5], -1
                                        ; implicit-def: $sgpr24
	s_and_saveexec_b64 s[22:23], s[28:29]
; %bb.240:                              ;   in Loop: Header=BB278_9 Depth=1
	s_mov_b32 s24, 0x7fc02000
	s_xor_b64 s[4:5], exec, -1
; %bb.241:                              ;   in Loop: Header=BB278_9 Depth=1
	s_or_b64 exec, exec, s[22:23]
	s_and_b64 s[4:5], s[4:5], exec
	s_or_saveexec_b64 s[20:21], s[20:21]
	v_mov_b32_e32 v19, s24
	s_xor_b64 exec, exec, s[20:21]
	s_cbranch_execz .LBB278_11
.LBB278_242:                            ;   in Loop: Header=BB278_9 Depth=1
	v_cmp_ne_u16_sdwa s[22:23], v8, v5 src0_sel:BYTE_0 src1_sel:DWORD
	s_andn2_b64 s[4:5], s[4:5], exec
	s_and_b64 s[22:23], s[22:23], exec
	v_mov_b32_e32 v19, 0
	s_or_b64 s[4:5], s[4:5], s[22:23]
	s_or_b64 exec, exec, s[20:21]
	s_and_saveexec_b64 s[20:21], s[4:5]
	s_cbranch_execnz .LBB278_12
	s_branch .LBB278_13
.LBB278_243:                            ;   in Loop: Header=BB278_9 Depth=1
	v_cmp_eq_u16_e64 s[4:5], s26, v4
	s_mov_b64 s[20:21], -1
                                        ; implicit-def: $sgpr28
	s_and_saveexec_b64 s[24:25], s[4:5]
; %bb.244:                              ;   in Loop: Header=BB278_9 Depth=1
	s_mov_b32 s28, 0x7fc02000
	s_xor_b64 s[20:21], exec, -1
; %bb.245:                              ;   in Loop: Header=BB278_9 Depth=1
	s_or_b64 exec, exec, s[24:25]
	s_and_b64 s[20:21], s[20:21], exec
	s_or_saveexec_b64 s[22:23], s[22:23]
	v_mov_b32_e32 v28, s28
	s_xor_b64 exec, exec, s[22:23]
	s_cbranch_execz .LBB278_15
.LBB278_246:                            ;   in Loop: Header=BB278_9 Depth=1
	v_cmp_ne_u16_e64 s[4:5], 0, v4
	s_andn2_b64 s[20:21], s[20:21], exec
	s_and_b64 s[4:5], s[4:5], exec
	v_mov_b32_e32 v28, 0
	s_or_b64 s[20:21], s[20:21], s[4:5]
	s_or_b64 exec, exec, s[22:23]
	s_and_saveexec_b64 s[22:23], s[20:21]
	s_cbranch_execnz .LBB278_16
	s_branch .LBB278_17
.LBB278_247:                            ;   in Loop: Header=BB278_9 Depth=1
	v_cmp_eq_u16_sdwa s[28:29], v4, s26 src0_sel:BYTE_0 src1_sel:DWORD
	s_mov_b64 s[4:5], -1
                                        ; implicit-def: $sgpr24
	s_and_saveexec_b64 s[22:23], s[28:29]
; %bb.248:                              ;   in Loop: Header=BB278_9 Depth=1
	s_mov_b32 s24, 0x7fc02000
	s_xor_b64 s[4:5], exec, -1
; %bb.249:                              ;   in Loop: Header=BB278_9 Depth=1
	s_or_b64 exec, exec, s[22:23]
	s_and_b64 s[4:5], s[4:5], exec
	s_or_saveexec_b64 s[20:21], s[20:21]
	v_mov_b32_e32 v29, s24
	s_xor_b64 exec, exec, s[20:21]
	s_cbranch_execz .LBB278_19
.LBB278_250:                            ;   in Loop: Header=BB278_9 Depth=1
	v_cmp_ne_u16_sdwa s[22:23], v4, v5 src0_sel:BYTE_0 src1_sel:DWORD
	s_andn2_b64 s[4:5], s[4:5], exec
	s_and_b64 s[22:23], s[22:23], exec
	v_mov_b32_e32 v29, 0
	s_or_b64 s[4:5], s[4:5], s[22:23]
	s_or_b64 exec, exec, s[20:21]
	s_and_saveexec_b64 s[20:21], s[4:5]
	s_cbranch_execnz .LBB278_20
	s_branch .LBB278_21
.LBB278_251:                            ;   in Loop: Header=BB278_9 Depth=1
	v_cmp_eq_u16_e64 s[4:5], s26, v4
	s_mov_b64 s[20:21], -1
                                        ; implicit-def: $sgpr28
	s_and_saveexec_b64 s[24:25], s[4:5]
; %bb.252:                              ;   in Loop: Header=BB278_9 Depth=1
	s_mov_b32 s28, 0x7fc02000
	s_xor_b64 s[20:21], exec, -1
; %bb.253:                              ;   in Loop: Header=BB278_9 Depth=1
	s_or_b64 exec, exec, s[24:25]
	s_and_b64 s[20:21], s[20:21], exec
	s_or_saveexec_b64 s[22:23], s[22:23]
	v_mov_b32_e32 v38, s28
	s_xor_b64 exec, exec, s[22:23]
	s_cbranch_execz .LBB278_23
.LBB278_254:                            ;   in Loop: Header=BB278_9 Depth=1
	v_cmp_ne_u16_e64 s[4:5], 0, v4
	s_andn2_b64 s[20:21], s[20:21], exec
	s_and_b64 s[4:5], s[4:5], exec
	v_mov_b32_e32 v38, 0
	s_or_b64 s[20:21], s[20:21], s[4:5]
	s_or_b64 exec, exec, s[22:23]
	s_and_saveexec_b64 s[22:23], s[20:21]
	s_cbranch_execnz .LBB278_24
	s_branch .LBB278_25
.LBB278_255:                            ;   in Loop: Header=BB278_9 Depth=1
	v_cmp_eq_u16_sdwa s[28:29], v8, s26 src0_sel:BYTE_0 src1_sel:DWORD
	s_mov_b64 s[4:5], -1
                                        ; implicit-def: $sgpr24
	s_and_saveexec_b64 s[22:23], s[28:29]
; %bb.256:                              ;   in Loop: Header=BB278_9 Depth=1
	s_mov_b32 s24, 0x7fc02000
	s_xor_b64 s[4:5], exec, -1
; %bb.257:                              ;   in Loop: Header=BB278_9 Depth=1
	s_or_b64 exec, exec, s[22:23]
	s_and_b64 s[4:5], s[4:5], exec
	s_or_saveexec_b64 s[20:21], s[20:21]
	v_mov_b32_e32 v34, s24
	s_xor_b64 exec, exec, s[20:21]
	s_cbranch_execz .LBB278_27
.LBB278_258:                            ;   in Loop: Header=BB278_9 Depth=1
	v_cmp_ne_u16_sdwa s[22:23], v8, v5 src0_sel:BYTE_0 src1_sel:DWORD
	s_andn2_b64 s[4:5], s[4:5], exec
	s_and_b64 s[22:23], s[22:23], exec
	v_mov_b32_e32 v34, 0
	s_or_b64 s[4:5], s[4:5], s[22:23]
	s_or_b64 exec, exec, s[20:21]
	s_and_saveexec_b64 s[20:21], s[4:5]
	s_cbranch_execnz .LBB278_28
	s_branch .LBB278_29
.LBB278_259:                            ;   in Loop: Header=BB278_9 Depth=1
	v_cmp_eq_u16_e64 s[4:5], s26, v4
	s_mov_b64 s[20:21], -1
                                        ; implicit-def: $sgpr28
	s_and_saveexec_b64 s[24:25], s[4:5]
; %bb.260:                              ;   in Loop: Header=BB278_9 Depth=1
	s_mov_b32 s28, 0x7fc02000
	s_xor_b64 s[20:21], exec, -1
; %bb.261:                              ;   in Loop: Header=BB278_9 Depth=1
	s_or_b64 exec, exec, s[24:25]
	s_and_b64 s[20:21], s[20:21], exec
	s_or_saveexec_b64 s[22:23], s[22:23]
	v_mov_b32_e32 v39, s28
	s_xor_b64 exec, exec, s[22:23]
	s_cbranch_execz .LBB278_31
.LBB278_262:                            ;   in Loop: Header=BB278_9 Depth=1
	v_cmp_ne_u16_e64 s[4:5], 0, v4
	s_andn2_b64 s[20:21], s[20:21], exec
	s_and_b64 s[4:5], s[4:5], exec
	v_mov_b32_e32 v39, 0
	s_or_b64 s[20:21], s[20:21], s[4:5]
	s_or_b64 exec, exec, s[22:23]
	s_and_saveexec_b64 s[22:23], s[20:21]
	s_cbranch_execnz .LBB278_32
	s_branch .LBB278_33
.LBB278_263:                            ;   in Loop: Header=BB278_9 Depth=1
	v_cmp_eq_u16_sdwa s[28:29], v4, s26 src0_sel:BYTE_0 src1_sel:DWORD
	s_mov_b64 s[4:5], -1
                                        ; implicit-def: $sgpr24
	s_and_saveexec_b64 s[22:23], s[28:29]
; %bb.264:                              ;   in Loop: Header=BB278_9 Depth=1
	s_mov_b32 s24, 0x7fc02000
	s_xor_b64 s[4:5], exec, -1
; %bb.265:                              ;   in Loop: Header=BB278_9 Depth=1
	s_or_b64 exec, exec, s[22:23]
	s_and_b64 s[4:5], s[4:5], exec
	s_or_saveexec_b64 s[20:21], s[20:21]
	v_mov_b32_e32 v48, s24
	s_xor_b64 exec, exec, s[20:21]
	s_cbranch_execz .LBB278_35
.LBB278_266:                            ;   in Loop: Header=BB278_9 Depth=1
	v_cmp_ne_u16_sdwa s[22:23], v4, v5 src0_sel:BYTE_0 src1_sel:DWORD
	s_andn2_b64 s[4:5], s[4:5], exec
	s_and_b64 s[22:23], s[22:23], exec
	v_mov_b32_e32 v48, 0
	s_or_b64 s[4:5], s[4:5], s[22:23]
	s_or_b64 exec, exec, s[20:21]
	s_and_saveexec_b64 s[20:21], s[4:5]
	s_cbranch_execnz .LBB278_36
	s_branch .LBB278_37
.LBB278_267:                            ;   in Loop: Header=BB278_9 Depth=1
	v_cmp_eq_u16_e64 s[4:5], s26, v4
	s_mov_b64 s[20:21], -1
                                        ; implicit-def: $sgpr28
	s_and_saveexec_b64 s[24:25], s[4:5]
; %bb.268:                              ;   in Loop: Header=BB278_9 Depth=1
	s_mov_b32 s28, 0x7fc02000
	s_xor_b64 s[20:21], exec, -1
; %bb.269:                              ;   in Loop: Header=BB278_9 Depth=1
	s_or_b64 exec, exec, s[24:25]
	s_and_b64 s[20:21], s[20:21], exec
	s_or_saveexec_b64 s[22:23], s[22:23]
	v_mov_b32_e32 v49, s28
	s_xor_b64 exec, exec, s[22:23]
	s_cbranch_execz .LBB278_39
.LBB278_270:                            ;   in Loop: Header=BB278_9 Depth=1
	v_cmp_ne_u16_e64 s[4:5], 0, v4
	s_andn2_b64 s[20:21], s[20:21], exec
	s_and_b64 s[4:5], s[4:5], exec
	v_mov_b32_e32 v49, 0
	s_or_b64 s[20:21], s[20:21], s[4:5]
	s_or_b64 exec, exec, s[22:23]
	s_and_saveexec_b64 s[22:23], s[20:21]
	s_cbranch_execnz .LBB278_40
	s_branch .LBB278_41
.LBB278_271:                            ;   in Loop: Header=BB278_9 Depth=1
	v_cmp_eq_u16_sdwa s[28:29], v8, s26 src0_sel:BYTE_0 src1_sel:DWORD
	s_mov_b64 s[4:5], -1
                                        ; implicit-def: $sgpr24
	s_and_saveexec_b64 s[22:23], s[28:29]
; %bb.272:                              ;   in Loop: Header=BB278_9 Depth=1
	s_mov_b32 s24, 0x7fc02000
	s_xor_b64 s[4:5], exec, -1
; %bb.273:                              ;   in Loop: Header=BB278_9 Depth=1
	s_or_b64 exec, exec, s[22:23]
	s_and_b64 s[4:5], s[4:5], exec
	s_or_saveexec_b64 s[20:21], s[20:21]
	v_mov_b32_e32 v0, s24
	s_xor_b64 exec, exec, s[20:21]
	s_cbranch_execz .LBB278_43
.LBB278_274:                            ;   in Loop: Header=BB278_9 Depth=1
	v_cmp_ne_u16_sdwa s[22:23], v8, v5 src0_sel:BYTE_0 src1_sel:DWORD
	s_andn2_b64 s[4:5], s[4:5], exec
	s_and_b64 s[22:23], s[22:23], exec
	v_mov_b32_e32 v0, 0
	s_or_b64 s[4:5], s[4:5], s[22:23]
	s_or_b64 exec, exec, s[20:21]
	s_and_saveexec_b64 s[20:21], s[4:5]
	s_cbranch_execnz .LBB278_44
	s_branch .LBB278_45
.LBB278_275:                            ;   in Loop: Header=BB278_9 Depth=1
	v_cmp_eq_u16_e64 s[4:5], s26, v4
	s_mov_b64 s[20:21], -1
                                        ; implicit-def: $sgpr28
	s_and_saveexec_b64 s[24:25], s[4:5]
; %bb.276:                              ;   in Loop: Header=BB278_9 Depth=1
	s_mov_b32 s28, 0x7fc02000
	s_xor_b64 s[20:21], exec, -1
; %bb.277:                              ;   in Loop: Header=BB278_9 Depth=1
	s_or_b64 exec, exec, s[24:25]
	s_and_b64 s[20:21], s[20:21], exec
	s_or_saveexec_b64 s[22:23], s[22:23]
	v_mov_b32_e32 v44, s28
	s_xor_b64 exec, exec, s[22:23]
	s_cbranch_execz .LBB278_47
.LBB278_278:                            ;   in Loop: Header=BB278_9 Depth=1
	v_cmp_ne_u16_e64 s[4:5], 0, v4
	s_andn2_b64 s[20:21], s[20:21], exec
	s_and_b64 s[4:5], s[4:5], exec
	v_mov_b32_e32 v44, 0
	s_or_b64 s[20:21], s[20:21], s[4:5]
	s_or_b64 exec, exec, s[22:23]
	s_and_saveexec_b64 s[22:23], s[20:21]
	s_cbranch_execnz .LBB278_48
	s_branch .LBB278_49
.LBB278_279:                            ;   in Loop: Header=BB278_9 Depth=1
	v_cmp_eq_u16_sdwa s[28:29], v4, s26 src0_sel:BYTE_0 src1_sel:DWORD
	s_mov_b64 s[4:5], -1
                                        ; implicit-def: $sgpr24
	s_and_saveexec_b64 s[22:23], s[28:29]
; %bb.280:                              ;   in Loop: Header=BB278_9 Depth=1
	s_mov_b32 s24, 0x7fc02000
	s_xor_b64 s[4:5], exec, -1
; %bb.281:                              ;   in Loop: Header=BB278_9 Depth=1
	s_or_b64 exec, exec, s[22:23]
	s_and_b64 s[4:5], s[4:5], exec
	s_or_saveexec_b64 s[20:21], s[20:21]
	v_mov_b32_e32 v45, s24
	s_xor_b64 exec, exec, s[20:21]
	s_cbranch_execz .LBB278_51
.LBB278_282:                            ;   in Loop: Header=BB278_9 Depth=1
	v_cmp_ne_u16_sdwa s[22:23], v4, v5 src0_sel:BYTE_0 src1_sel:DWORD
	s_andn2_b64 s[4:5], s[4:5], exec
	s_and_b64 s[22:23], s[22:23], exec
	v_mov_b32_e32 v45, 0
	s_or_b64 s[4:5], s[4:5], s[22:23]
	s_or_b64 exec, exec, s[20:21]
	s_and_saveexec_b64 s[20:21], s[4:5]
	s_cbranch_execnz .LBB278_52
	s_branch .LBB278_53
.LBB278_283:                            ;   in Loop: Header=BB278_9 Depth=1
	v_cmp_eq_u16_e64 s[4:5], s26, v4
	s_mov_b64 s[20:21], -1
                                        ; implicit-def: $sgpr28
	s_and_saveexec_b64 s[24:25], s[4:5]
; %bb.284:                              ;   in Loop: Header=BB278_9 Depth=1
	s_mov_b32 s28, 0x7fc02000
	s_xor_b64 s[20:21], exec, -1
; %bb.285:                              ;   in Loop: Header=BB278_9 Depth=1
	s_or_b64 exec, exec, s[24:25]
	s_and_b64 s[20:21], s[20:21], exec
	s_or_saveexec_b64 s[22:23], s[22:23]
	v_mov_b32_e32 v46, s28
	s_xor_b64 exec, exec, s[22:23]
	s_cbranch_execz .LBB278_55
.LBB278_286:                            ;   in Loop: Header=BB278_9 Depth=1
	v_cmp_ne_u16_e64 s[4:5], 0, v4
	s_andn2_b64 s[20:21], s[20:21], exec
	s_and_b64 s[4:5], s[4:5], exec
	v_mov_b32_e32 v46, 0
	s_or_b64 s[20:21], s[20:21], s[4:5]
	s_or_b64 exec, exec, s[22:23]
	s_and_saveexec_b64 s[22:23], s[20:21]
	s_cbranch_execnz .LBB278_56
	s_branch .LBB278_57
.LBB278_287:                            ;   in Loop: Header=BB278_9 Depth=1
	v_cmp_eq_u16_sdwa s[28:29], v8, s26 src0_sel:BYTE_0 src1_sel:DWORD
	s_mov_b64 s[4:5], -1
                                        ; implicit-def: $sgpr24
	s_and_saveexec_b64 s[22:23], s[28:29]
; %bb.288:                              ;   in Loop: Header=BB278_9 Depth=1
	s_mov_b32 s24, 0x7fc02000
	s_xor_b64 s[4:5], exec, -1
; %bb.289:                              ;   in Loop: Header=BB278_9 Depth=1
	s_or_b64 exec, exec, s[22:23]
	s_and_b64 s[4:5], s[4:5], exec
	s_or_saveexec_b64 s[20:21], s[20:21]
	v_mov_b32_e32 v0, s24
	s_xor_b64 exec, exec, s[20:21]
	s_cbranch_execz .LBB278_59
.LBB278_290:                            ;   in Loop: Header=BB278_9 Depth=1
	v_cmp_ne_u16_sdwa s[22:23], v8, v5 src0_sel:BYTE_0 src1_sel:DWORD
	s_andn2_b64 s[4:5], s[4:5], exec
	s_and_b64 s[22:23], s[22:23], exec
	v_mov_b32_e32 v0, 0
	s_or_b64 s[4:5], s[4:5], s[22:23]
	s_or_b64 exec, exec, s[20:21]
	s_and_saveexec_b64 s[20:21], s[4:5]
	s_cbranch_execnz .LBB278_60
	s_branch .LBB278_61
.LBB278_291:                            ;   in Loop: Header=BB278_9 Depth=1
	v_cmp_eq_u16_e64 s[4:5], s26, v4
	s_mov_b64 s[20:21], -1
                                        ; implicit-def: $sgpr28
	s_and_saveexec_b64 s[24:25], s[4:5]
; %bb.292:                              ;   in Loop: Header=BB278_9 Depth=1
	s_mov_b32 s28, 0x7fc02000
	s_xor_b64 s[20:21], exec, -1
; %bb.293:                              ;   in Loop: Header=BB278_9 Depth=1
	s_or_b64 exec, exec, s[24:25]
	s_and_b64 s[20:21], s[20:21], exec
	s_or_saveexec_b64 s[22:23], s[22:23]
	v_mov_b32_e32 v47, s28
	s_xor_b64 exec, exec, s[22:23]
	s_cbranch_execz .LBB278_63
.LBB278_294:                            ;   in Loop: Header=BB278_9 Depth=1
	v_cmp_ne_u16_e64 s[4:5], 0, v4
	s_andn2_b64 s[20:21], s[20:21], exec
	s_and_b64 s[4:5], s[4:5], exec
	v_mov_b32_e32 v47, 0
	s_or_b64 s[20:21], s[20:21], s[4:5]
	s_or_b64 exec, exec, s[22:23]
	s_and_saveexec_b64 s[22:23], s[20:21]
	s_cbranch_execnz .LBB278_64
	s_branch .LBB278_65
.LBB278_295:                            ;   in Loop: Header=BB278_9 Depth=1
	v_cmp_eq_u16_sdwa s[28:29], v4, s26 src0_sel:BYTE_0 src1_sel:DWORD
	s_mov_b64 s[4:5], -1
                                        ; implicit-def: $sgpr24
	s_and_saveexec_b64 s[22:23], s[28:29]
; %bb.296:                              ;   in Loop: Header=BB278_9 Depth=1
	s_mov_b32 s24, 0x7fc02000
	s_xor_b64 s[4:5], exec, -1
; %bb.297:                              ;   in Loop: Header=BB278_9 Depth=1
	s_or_b64 exec, exec, s[22:23]
	s_and_b64 s[4:5], s[4:5], exec
	s_or_saveexec_b64 s[20:21], s[20:21]
	v_mov_b32_e32 v56, s24
	s_xor_b64 exec, exec, s[20:21]
	s_cbranch_execz .LBB278_67
.LBB278_298:                            ;   in Loop: Header=BB278_9 Depth=1
	v_cmp_ne_u16_sdwa s[22:23], v4, v5 src0_sel:BYTE_0 src1_sel:DWORD
	s_andn2_b64 s[4:5], s[4:5], exec
	s_and_b64 s[22:23], s[22:23], exec
	v_mov_b32_e32 v56, 0
	s_or_b64 s[4:5], s[4:5], s[22:23]
	s_or_b64 exec, exec, s[20:21]
	s_and_saveexec_b64 s[20:21], s[4:5]
	s_cbranch_execnz .LBB278_68
	s_branch .LBB278_69
.LBB278_299:                            ;   in Loop: Header=BB278_9 Depth=1
	v_cmp_eq_u16_e64 s[4:5], s26, v4
	s_mov_b64 s[20:21], -1
                                        ; implicit-def: $sgpr28
	s_and_saveexec_b64 s[24:25], s[4:5]
; %bb.300:                              ;   in Loop: Header=BB278_9 Depth=1
	s_mov_b32 s28, 0x7fc02000
	s_xor_b64 s[20:21], exec, -1
; %bb.301:                              ;   in Loop: Header=BB278_9 Depth=1
	s_or_b64 exec, exec, s[24:25]
	s_and_b64 s[20:21], s[20:21], exec
	s_or_saveexec_b64 s[22:23], s[22:23]
	v_mov_b32_e32 v57, s28
	s_xor_b64 exec, exec, s[22:23]
	s_cbranch_execz .LBB278_71
.LBB278_302:                            ;   in Loop: Header=BB278_9 Depth=1
	v_cmp_ne_u16_e64 s[4:5], 0, v4
	s_andn2_b64 s[20:21], s[20:21], exec
	s_and_b64 s[4:5], s[4:5], exec
	v_mov_b32_e32 v57, 0
	s_or_b64 s[20:21], s[20:21], s[4:5]
	s_or_b64 exec, exec, s[22:23]
	s_and_saveexec_b64 s[22:23], s[20:21]
	s_cbranch_execnz .LBB278_72
	s_branch .LBB278_73
.LBB278_303:                            ;   in Loop: Header=BB278_9 Depth=1
	v_cmp_eq_u16_sdwa s[28:29], v8, s26 src0_sel:BYTE_0 src1_sel:DWORD
	s_mov_b64 s[4:5], -1
                                        ; implicit-def: $sgpr24
	s_and_saveexec_b64 s[22:23], s[28:29]
; %bb.304:                              ;   in Loop: Header=BB278_9 Depth=1
	s_mov_b32 s24, 0x7fc02000
	s_xor_b64 s[4:5], exec, -1
; %bb.305:                              ;   in Loop: Header=BB278_9 Depth=1
	s_or_b64 exec, exec, s[22:23]
	s_and_b64 s[4:5], s[4:5], exec
	s_or_saveexec_b64 s[20:21], s[20:21]
	v_mov_b32_e32 v61, s24
	s_xor_b64 exec, exec, s[20:21]
	s_cbranch_execz .LBB278_75
.LBB278_306:                            ;   in Loop: Header=BB278_9 Depth=1
	v_cmp_ne_u16_sdwa s[22:23], v8, v5 src0_sel:BYTE_0 src1_sel:DWORD
	s_andn2_b64 s[4:5], s[4:5], exec
	s_and_b64 s[22:23], s[22:23], exec
	v_mov_b32_e32 v61, 0
	s_or_b64 s[4:5], s[4:5], s[22:23]
	s_or_b64 exec, exec, s[20:21]
	s_and_saveexec_b64 s[20:21], s[4:5]
	s_cbranch_execnz .LBB278_76
	s_branch .LBB278_77
.LBB278_307:                            ;   in Loop: Header=BB278_9 Depth=1
	v_cmp_eq_u16_e64 s[4:5], s26, v4
	s_mov_b64 s[20:21], -1
                                        ; implicit-def: $sgpr28
	s_and_saveexec_b64 s[24:25], s[4:5]
; %bb.308:                              ;   in Loop: Header=BB278_9 Depth=1
	s_mov_b32 s28, 0x7fc02000
	s_xor_b64 s[20:21], exec, -1
; %bb.309:                              ;   in Loop: Header=BB278_9 Depth=1
	s_or_b64 exec, exec, s[24:25]
	s_and_b64 s[20:21], s[20:21], exec
	s_or_saveexec_b64 s[22:23], s[22:23]
	v_mov_b32_e32 v60, s28
	s_xor_b64 exec, exec, s[22:23]
	s_cbranch_execz .LBB278_79
.LBB278_310:                            ;   in Loop: Header=BB278_9 Depth=1
	v_cmp_ne_u16_e64 s[4:5], 0, v4
	s_andn2_b64 s[20:21], s[20:21], exec
	s_and_b64 s[4:5], s[4:5], exec
	v_mov_b32_e32 v60, 0
	s_or_b64 s[20:21], s[20:21], s[4:5]
	s_or_b64 exec, exec, s[22:23]
	s_and_saveexec_b64 s[22:23], s[20:21]
	s_cbranch_execnz .LBB278_80
	s_branch .LBB278_81
.LBB278_311:                            ;   in Loop: Header=BB278_9 Depth=1
	v_cmp_eq_u16_sdwa s[28:29], v4, s26 src0_sel:BYTE_0 src1_sel:DWORD
	s_mov_b64 s[4:5], -1
                                        ; implicit-def: $sgpr24
	s_and_saveexec_b64 s[22:23], s[28:29]
; %bb.312:                              ;   in Loop: Header=BB278_9 Depth=1
	s_mov_b32 s24, 0x7fc02000
	s_xor_b64 s[4:5], exec, -1
; %bb.313:                              ;   in Loop: Header=BB278_9 Depth=1
	s_or_b64 exec, exec, s[22:23]
	s_and_b64 s[4:5], s[4:5], exec
	s_or_saveexec_b64 s[20:21], s[20:21]
	v_mov_b32_e32 v62, s24
	s_xor_b64 exec, exec, s[20:21]
	s_cbranch_execz .LBB278_83
.LBB278_314:                            ;   in Loop: Header=BB278_9 Depth=1
	v_cmp_ne_u16_sdwa s[22:23], v4, v5 src0_sel:BYTE_0 src1_sel:DWORD
	s_andn2_b64 s[4:5], s[4:5], exec
	s_and_b64 s[22:23], s[22:23], exec
	v_mov_b32_e32 v62, 0
	s_or_b64 s[4:5], s[4:5], s[22:23]
	s_or_b64 exec, exec, s[20:21]
	s_and_saveexec_b64 s[20:21], s[4:5]
	s_cbranch_execnz .LBB278_84
	s_branch .LBB278_85
.LBB278_315:                            ;   in Loop: Header=BB278_9 Depth=1
	v_cmp_eq_u16_e64 s[4:5], s26, v4
	s_mov_b64 s[20:21], -1
                                        ; implicit-def: $sgpr28
	s_and_saveexec_b64 s[24:25], s[4:5]
; %bb.316:                              ;   in Loop: Header=BB278_9 Depth=1
	s_mov_b32 s28, 0x7fc02000
	s_xor_b64 s[20:21], exec, -1
; %bb.317:                              ;   in Loop: Header=BB278_9 Depth=1
	s_or_b64 exec, exec, s[24:25]
	s_and_b64 s[20:21], s[20:21], exec
	s_or_saveexec_b64 s[22:23], s[22:23]
	v_mov_b32_e32 v58, s28
	s_xor_b64 exec, exec, s[22:23]
	s_cbranch_execz .LBB278_87
.LBB278_318:                            ;   in Loop: Header=BB278_9 Depth=1
	v_cmp_ne_u16_e64 s[4:5], 0, v4
	s_andn2_b64 s[20:21], s[20:21], exec
	s_and_b64 s[4:5], s[4:5], exec
	v_mov_b32_e32 v58, 0
	s_or_b64 s[20:21], s[20:21], s[4:5]
	s_or_b64 exec, exec, s[22:23]
	s_and_saveexec_b64 s[22:23], s[20:21]
	s_cbranch_execnz .LBB278_88
	s_branch .LBB278_89
.LBB278_319:                            ;   in Loop: Header=BB278_9 Depth=1
	v_cmp_eq_u16_sdwa s[28:29], v8, s26 src0_sel:BYTE_0 src1_sel:DWORD
	s_mov_b64 s[4:5], -1
                                        ; implicit-def: $sgpr24
	s_and_saveexec_b64 s[22:23], s[28:29]
; %bb.320:                              ;   in Loop: Header=BB278_9 Depth=1
	s_mov_b32 s24, 0x7fc02000
	s_xor_b64 s[4:5], exec, -1
; %bb.321:                              ;   in Loop: Header=BB278_9 Depth=1
	s_or_b64 exec, exec, s[22:23]
	s_and_b64 s[4:5], s[4:5], exec
	s_or_saveexec_b64 s[20:21], s[20:21]
	v_mov_b32_e32 v63, s24
	s_xor_b64 exec, exec, s[20:21]
	s_cbranch_execz .LBB278_91
.LBB278_322:                            ;   in Loop: Header=BB278_9 Depth=1
	v_cmp_ne_u16_sdwa s[22:23], v8, v5 src0_sel:BYTE_0 src1_sel:DWORD
	s_andn2_b64 s[4:5], s[4:5], exec
	s_and_b64 s[22:23], s[22:23], exec
	v_mov_b32_e32 v63, 0
	s_or_b64 s[4:5], s[4:5], s[22:23]
	s_or_b64 exec, exec, s[20:21]
	s_and_saveexec_b64 s[20:21], s[4:5]
	s_cbranch_execnz .LBB278_92
	s_branch .LBB278_93
.LBB278_323:                            ;   in Loop: Header=BB278_9 Depth=1
	v_cmp_eq_u16_e64 s[4:5], s26, v4
	s_mov_b64 s[20:21], -1
                                        ; implicit-def: $sgpr28
	s_and_saveexec_b64 s[24:25], s[4:5]
; %bb.324:                              ;   in Loop: Header=BB278_9 Depth=1
	s_mov_b32 s28, 0x7fc02000
	s_xor_b64 s[20:21], exec, -1
; %bb.325:                              ;   in Loop: Header=BB278_9 Depth=1
	s_or_b64 exec, exec, s[24:25]
	s_and_b64 s[20:21], s[20:21], exec
	s_or_saveexec_b64 s[22:23], s[22:23]
	v_mov_b32_e32 v17, s28
	s_xor_b64 exec, exec, s[22:23]
	s_cbranch_execz .LBB278_95
.LBB278_326:                            ;   in Loop: Header=BB278_9 Depth=1
	v_cmp_ne_u16_e64 s[4:5], 0, v4
	s_andn2_b64 s[20:21], s[20:21], exec
	s_and_b64 s[4:5], s[4:5], exec
	v_mov_b32_e32 v17, 0
	s_or_b64 s[20:21], s[20:21], s[4:5]
	s_or_b64 exec, exec, s[22:23]
	s_and_saveexec_b64 s[22:23], s[20:21]
	s_cbranch_execnz .LBB278_96
	s_branch .LBB278_97
.LBB278_327:                            ;   in Loop: Header=BB278_9 Depth=1
	v_cmp_eq_u16_sdwa s[28:29], v4, s26 src0_sel:BYTE_0 src1_sel:DWORD
	s_mov_b64 s[4:5], -1
                                        ; implicit-def: $sgpr24
	s_and_saveexec_b64 s[22:23], s[28:29]
; %bb.328:                              ;   in Loop: Header=BB278_9 Depth=1
	s_mov_b32 s24, 0x7fc02000
	s_xor_b64 s[4:5], exec, -1
; %bb.329:                              ;   in Loop: Header=BB278_9 Depth=1
	s_or_b64 exec, exec, s[22:23]
	s_and_b64 s[4:5], s[4:5], exec
	s_or_saveexec_b64 s[20:21], s[20:21]
	v_mov_b32_e32 v12, s24
	s_xor_b64 exec, exec, s[20:21]
	s_cbranch_execz .LBB278_99
.LBB278_330:                            ;   in Loop: Header=BB278_9 Depth=1
	v_cmp_ne_u16_sdwa s[22:23], v4, v5 src0_sel:BYTE_0 src1_sel:DWORD
	s_andn2_b64 s[4:5], s[4:5], exec
	s_and_b64 s[22:23], s[22:23], exec
	v_mov_b32_e32 v12, 0
	s_or_b64 s[4:5], s[4:5], s[22:23]
	s_or_b64 exec, exec, s[20:21]
	s_and_saveexec_b64 s[20:21], s[4:5]
	s_cbranch_execnz .LBB278_100
	s_branch .LBB278_101
.LBB278_331:                            ;   in Loop: Header=BB278_9 Depth=1
	v_cmp_eq_u16_e64 s[4:5], s26, v4
	s_mov_b64 s[20:21], -1
                                        ; implicit-def: $sgpr28
	s_and_saveexec_b64 s[24:25], s[4:5]
; %bb.332:                              ;   in Loop: Header=BB278_9 Depth=1
	s_mov_b32 s28, 0x7fc02000
	s_xor_b64 s[20:21], exec, -1
; %bb.333:                              ;   in Loop: Header=BB278_9 Depth=1
	s_or_b64 exec, exec, s[24:25]
	s_and_b64 s[20:21], s[20:21], exec
	s_or_saveexec_b64 s[22:23], s[22:23]
	v_mov_b32_e32 v3, s28
	s_xor_b64 exec, exec, s[22:23]
	s_cbranch_execz .LBB278_103
.LBB278_334:                            ;   in Loop: Header=BB278_9 Depth=1
	v_cmp_ne_u16_e64 s[4:5], 0, v4
	s_andn2_b64 s[20:21], s[20:21], exec
	s_and_b64 s[4:5], s[4:5], exec
	v_mov_b32_e32 v3, 0
	s_or_b64 s[20:21], s[20:21], s[4:5]
	s_or_b64 exec, exec, s[22:23]
	s_and_saveexec_b64 s[22:23], s[20:21]
	s_cbranch_execnz .LBB278_104
	s_branch .LBB278_105
.LBB278_335:                            ;   in Loop: Header=BB278_9 Depth=1
	v_cmp_eq_u16_sdwa s[28:29], v8, s26 src0_sel:BYTE_0 src1_sel:DWORD
	s_mov_b64 s[4:5], -1
                                        ; implicit-def: $sgpr24
	s_and_saveexec_b64 s[22:23], s[28:29]
; %bb.336:                              ;   in Loop: Header=BB278_9 Depth=1
	s_mov_b32 s24, 0x7fc02000
	s_xor_b64 s[4:5], exec, -1
; %bb.337:                              ;   in Loop: Header=BB278_9 Depth=1
	s_or_b64 exec, exec, s[22:23]
	s_and_b64 s[4:5], s[4:5], exec
	s_or_saveexec_b64 s[20:21], s[20:21]
	v_mov_b32_e32 v0, s24
	s_xor_b64 exec, exec, s[20:21]
	s_cbranch_execz .LBB278_107
.LBB278_338:                            ;   in Loop: Header=BB278_9 Depth=1
	v_cmp_ne_u16_sdwa s[22:23], v8, v5 src0_sel:BYTE_0 src1_sel:DWORD
	s_andn2_b64 s[4:5], s[4:5], exec
	s_and_b64 s[22:23], s[22:23], exec
	v_mov_b32_e32 v0, 0
	s_or_b64 s[4:5], s[4:5], s[22:23]
	s_or_b64 exec, exec, s[20:21]
	s_and_saveexec_b64 s[20:21], s[4:5]
	s_cbranch_execnz .LBB278_108
	s_branch .LBB278_109
.LBB278_339:                            ;   in Loop: Header=BB278_9 Depth=1
	v_cmp_eq_u16_e64 s[4:5], s26, v4
	s_mov_b64 s[20:21], -1
                                        ; implicit-def: $sgpr28
	s_and_saveexec_b64 s[24:25], s[4:5]
; %bb.340:                              ;   in Loop: Header=BB278_9 Depth=1
	s_mov_b32 s28, 0x7fc02000
	s_xor_b64 s[20:21], exec, -1
; %bb.341:                              ;   in Loop: Header=BB278_9 Depth=1
	s_or_b64 exec, exec, s[24:25]
	s_and_b64 s[20:21], s[20:21], exec
	s_or_saveexec_b64 s[22:23], s[22:23]
	v_mov_b32_e32 v1, s28
	s_xor_b64 exec, exec, s[22:23]
	s_cbranch_execz .LBB278_111
.LBB278_342:                            ;   in Loop: Header=BB278_9 Depth=1
	v_cmp_ne_u16_e64 s[4:5], 0, v4
	s_andn2_b64 s[20:21], s[20:21], exec
	s_and_b64 s[4:5], s[4:5], exec
	v_mov_b32_e32 v1, 0
	s_or_b64 s[20:21], s[20:21], s[4:5]
	s_or_b64 exec, exec, s[22:23]
	s_and_saveexec_b64 s[22:23], s[20:21]
	s_cbranch_execnz .LBB278_112
	s_branch .LBB278_113
.LBB278_343:                            ;   in Loop: Header=BB278_9 Depth=1
	v_cmp_eq_u16_sdwa s[28:29], v4, s26 src0_sel:BYTE_0 src1_sel:DWORD
	s_mov_b64 s[4:5], -1
                                        ; implicit-def: $sgpr24
	s_and_saveexec_b64 s[22:23], s[28:29]
; %bb.344:                              ;   in Loop: Header=BB278_9 Depth=1
	s_mov_b32 s24, 0x7fc02000
	s_xor_b64 s[4:5], exec, -1
; %bb.345:                              ;   in Loop: Header=BB278_9 Depth=1
	s_or_b64 exec, exec, s[22:23]
	s_and_b64 s[4:5], s[4:5], exec
	s_or_saveexec_b64 s[20:21], s[20:21]
	v_mov_b32_e32 v16, s24
	s_xor_b64 exec, exec, s[20:21]
	s_cbranch_execz .LBB278_115
.LBB278_346:                            ;   in Loop: Header=BB278_9 Depth=1
	v_cmp_ne_u16_sdwa s[22:23], v4, v5 src0_sel:BYTE_0 src1_sel:DWORD
	s_andn2_b64 s[4:5], s[4:5], exec
	s_and_b64 s[22:23], s[22:23], exec
	v_mov_b32_e32 v16, 0
	s_or_b64 s[4:5], s[4:5], s[22:23]
	s_or_b64 exec, exec, s[20:21]
	s_and_saveexec_b64 s[20:21], s[4:5]
	s_cbranch_execnz .LBB278_116
	s_branch .LBB278_117
.LBB278_347:                            ;   in Loop: Header=BB278_9 Depth=1
	v_cmp_eq_u16_e64 s[4:5], s26, v4
	s_mov_b64 s[20:21], -1
                                        ; implicit-def: $sgpr28
	s_and_saveexec_b64 s[24:25], s[4:5]
; %bb.348:                              ;   in Loop: Header=BB278_9 Depth=1
	s_mov_b32 s28, 0x7fc02000
	s_xor_b64 s[20:21], exec, -1
; %bb.349:                              ;   in Loop: Header=BB278_9 Depth=1
	s_or_b64 exec, exec, s[24:25]
	s_and_b64 s[20:21], s[20:21], exec
	s_or_saveexec_b64 s[22:23], s[22:23]
	v_mov_b32_e32 v7, s28
	s_xor_b64 exec, exec, s[22:23]
	s_cbranch_execz .LBB278_119
.LBB278_350:                            ;   in Loop: Header=BB278_9 Depth=1
	v_cmp_ne_u16_e64 s[4:5], 0, v4
	s_andn2_b64 s[20:21], s[20:21], exec
	s_and_b64 s[4:5], s[4:5], exec
	v_mov_b32_e32 v7, 0
	s_or_b64 s[20:21], s[20:21], s[4:5]
	s_or_b64 exec, exec, s[22:23]
	s_and_saveexec_b64 s[22:23], s[20:21]
	s_cbranch_execnz .LBB278_120
	s_branch .LBB278_121
.LBB278_351:                            ;   in Loop: Header=BB278_9 Depth=1
	v_cmp_eq_u16_sdwa s[28:29], v8, s26 src0_sel:BYTE_0 src1_sel:DWORD
	s_mov_b64 s[4:5], -1
                                        ; implicit-def: $sgpr24
	s_and_saveexec_b64 s[22:23], s[28:29]
; %bb.352:                              ;   in Loop: Header=BB278_9 Depth=1
	s_mov_b32 s24, 0x7fc02000
	s_xor_b64 s[4:5], exec, -1
; %bb.353:                              ;   in Loop: Header=BB278_9 Depth=1
	s_or_b64 exec, exec, s[22:23]
	s_and_b64 s[4:5], s[4:5], exec
	s_or_saveexec_b64 s[20:21], s[20:21]
	v_mov_b32_e32 v6, s24
	s_xor_b64 exec, exec, s[20:21]
	s_cbranch_execz .LBB278_123
.LBB278_354:                            ;   in Loop: Header=BB278_9 Depth=1
	v_cmp_ne_u16_sdwa s[22:23], v8, v5 src0_sel:BYTE_0 src1_sel:DWORD
	s_andn2_b64 s[4:5], s[4:5], exec
	s_and_b64 s[22:23], s[22:23], exec
	v_mov_b32_e32 v6, 0
	s_or_b64 s[4:5], s[4:5], s[22:23]
	s_or_b64 exec, exec, s[20:21]
	s_and_saveexec_b64 s[20:21], s[4:5]
	s_cbranch_execnz .LBB278_124
	s_branch .LBB278_125
.LBB278_355:                            ;   in Loop: Header=BB278_9 Depth=1
	v_cmp_eq_u16_e64 s[4:5], s26, v4
	s_mov_b64 s[20:21], -1
                                        ; implicit-def: $sgpr28
	s_and_saveexec_b64 s[24:25], s[4:5]
; %bb.356:                              ;   in Loop: Header=BB278_9 Depth=1
	s_mov_b32 s28, 0x7fc02000
	s_xor_b64 s[20:21], exec, -1
; %bb.357:                              ;   in Loop: Header=BB278_9 Depth=1
	s_or_b64 exec, exec, s[24:25]
	s_and_b64 s[20:21], s[20:21], exec
	s_or_saveexec_b64 s[22:23], s[22:23]
	v_mov_b32_e32 v32, s28
	s_xor_b64 exec, exec, s[22:23]
	s_cbranch_execz .LBB278_127
.LBB278_358:                            ;   in Loop: Header=BB278_9 Depth=1
	v_cmp_ne_u16_e64 s[4:5], 0, v4
	s_andn2_b64 s[20:21], s[20:21], exec
	s_and_b64 s[4:5], s[4:5], exec
	v_mov_b32_e32 v32, 0
	s_or_b64 s[20:21], s[20:21], s[4:5]
	s_or_b64 exec, exec, s[22:23]
	s_and_saveexec_b64 s[22:23], s[20:21]
	s_cbranch_execnz .LBB278_128
	s_branch .LBB278_129
.LBB278_359:                            ;   in Loop: Header=BB278_9 Depth=1
	v_cmp_eq_u16_sdwa s[28:29], v4, s26 src0_sel:BYTE_0 src1_sel:DWORD
	s_mov_b64 s[4:5], -1
                                        ; implicit-def: $sgpr24
	s_and_saveexec_b64 s[22:23], s[28:29]
; %bb.360:                              ;   in Loop: Header=BB278_9 Depth=1
	s_mov_b32 s24, 0x7fc02000
	s_xor_b64 s[4:5], exec, -1
; %bb.361:                              ;   in Loop: Header=BB278_9 Depth=1
	s_or_b64 exec, exec, s[22:23]
	s_and_b64 s[4:5], s[4:5], exec
	s_or_saveexec_b64 s[20:21], s[20:21]
	v_mov_b32_e32 v14, s24
	s_xor_b64 exec, exec, s[20:21]
	s_cbranch_execz .LBB278_131
.LBB278_362:                            ;   in Loop: Header=BB278_9 Depth=1
	v_cmp_ne_u16_sdwa s[22:23], v4, v5 src0_sel:BYTE_0 src1_sel:DWORD
	s_andn2_b64 s[4:5], s[4:5], exec
	s_and_b64 s[22:23], s[22:23], exec
	v_mov_b32_e32 v14, 0
	s_or_b64 s[4:5], s[4:5], s[22:23]
	s_or_b64 exec, exec, s[20:21]
	s_and_saveexec_b64 s[20:21], s[4:5]
	s_cbranch_execnz .LBB278_132
	s_branch .LBB278_133
.LBB278_363:                            ;   in Loop: Header=BB278_9 Depth=1
	v_cmp_eq_u16_e64 s[4:5], s26, v4
	s_mov_b64 s[20:21], -1
                                        ; implicit-def: $sgpr28
	s_and_saveexec_b64 s[24:25], s[4:5]
; %bb.364:                              ;   in Loop: Header=BB278_9 Depth=1
	s_mov_b32 s28, 0x7fc02000
	s_xor_b64 s[20:21], exec, -1
; %bb.365:                              ;   in Loop: Header=BB278_9 Depth=1
	s_or_b64 exec, exec, s[24:25]
	s_and_b64 s[20:21], s[20:21], exec
	s_or_saveexec_b64 s[22:23], s[22:23]
	v_mov_b32_e32 v15, s28
	s_xor_b64 exec, exec, s[22:23]
	s_cbranch_execz .LBB278_135
.LBB278_366:                            ;   in Loop: Header=BB278_9 Depth=1
	v_cmp_ne_u16_e64 s[4:5], 0, v4
	s_andn2_b64 s[20:21], s[20:21], exec
	s_and_b64 s[4:5], s[4:5], exec
	v_mov_b32_e32 v15, 0
	s_or_b64 s[20:21], s[20:21], s[4:5]
	s_or_b64 exec, exec, s[22:23]
	s_and_saveexec_b64 s[22:23], s[20:21]
	s_cbranch_execnz .LBB278_136
	s_branch .LBB278_137
.LBB278_367:                            ;   in Loop: Header=BB278_9 Depth=1
	v_cmp_eq_u16_sdwa s[28:29], v8, s26 src0_sel:BYTE_0 src1_sel:DWORD
	s_mov_b64 s[4:5], -1
                                        ; implicit-def: $sgpr24
	s_and_saveexec_b64 s[22:23], s[28:29]
; %bb.368:                              ;   in Loop: Header=BB278_9 Depth=1
	s_mov_b32 s24, 0x7fc02000
	s_xor_b64 s[4:5], exec, -1
; %bb.369:                              ;   in Loop: Header=BB278_9 Depth=1
	s_or_b64 exec, exec, s[22:23]
	s_and_b64 s[4:5], s[4:5], exec
	s_or_saveexec_b64 s[20:21], s[20:21]
	v_mov_b32_e32 v10, s24
	s_xor_b64 exec, exec, s[20:21]
	s_cbranch_execz .LBB278_139
.LBB278_370:                            ;   in Loop: Header=BB278_9 Depth=1
	v_cmp_ne_u16_sdwa s[22:23], v8, v5 src0_sel:BYTE_0 src1_sel:DWORD
	s_andn2_b64 s[4:5], s[4:5], exec
	s_and_b64 s[22:23], s[22:23], exec
	v_mov_b32_e32 v10, 0
	s_or_b64 s[4:5], s[4:5], s[22:23]
	s_or_b64 exec, exec, s[20:21]
	s_and_saveexec_b64 s[20:21], s[4:5]
	s_cbranch_execnz .LBB278_140
	s_branch .LBB278_141
.LBB278_371:                            ;   in Loop: Header=BB278_9 Depth=1
	v_cmp_eq_u16_e64 s[4:5], s26, v4
	s_mov_b64 s[20:21], -1
                                        ; implicit-def: $sgpr28
	s_and_saveexec_b64 s[24:25], s[4:5]
; %bb.372:                              ;   in Loop: Header=BB278_9 Depth=1
	s_mov_b32 s28, 0x7fc02000
	s_xor_b64 s[20:21], exec, -1
; %bb.373:                              ;   in Loop: Header=BB278_9 Depth=1
	s_or_b64 exec, exec, s[24:25]
	s_and_b64 s[20:21], s[20:21], exec
	s_or_saveexec_b64 s[22:23], s[22:23]
	v_mov_b32_e32 v11, s28
	s_xor_b64 exec, exec, s[22:23]
	s_cbranch_execz .LBB278_143
.LBB278_374:                            ;   in Loop: Header=BB278_9 Depth=1
	v_cmp_ne_u16_e64 s[4:5], 0, v4
	s_andn2_b64 s[20:21], s[20:21], exec
	s_and_b64 s[4:5], s[4:5], exec
	v_mov_b32_e32 v11, 0
	s_or_b64 s[20:21], s[20:21], s[4:5]
	s_or_b64 exec, exec, s[22:23]
	s_and_saveexec_b64 s[22:23], s[20:21]
	s_cbranch_execnz .LBB278_144
	s_branch .LBB278_145
.LBB278_375:                            ;   in Loop: Header=BB278_9 Depth=1
	v_cmp_eq_u16_sdwa s[28:29], v4, s26 src0_sel:BYTE_0 src1_sel:DWORD
	s_mov_b64 s[4:5], -1
                                        ; implicit-def: $sgpr24
	s_and_saveexec_b64 s[22:23], s[28:29]
; %bb.376:                              ;   in Loop: Header=BB278_9 Depth=1
	s_mov_b32 s24, 0x7fc02000
	s_xor_b64 s[4:5], exec, -1
; %bb.377:                              ;   in Loop: Header=BB278_9 Depth=1
	s_or_b64 exec, exec, s[22:23]
	s_and_b64 s[4:5], s[4:5], exec
	s_or_saveexec_b64 s[20:21], s[20:21]
	v_mov_b32_e32 v37, s24
	s_xor_b64 exec, exec, s[20:21]
	s_cbranch_execz .LBB278_147
.LBB278_378:                            ;   in Loop: Header=BB278_9 Depth=1
	v_cmp_ne_u16_sdwa s[22:23], v4, v5 src0_sel:BYTE_0 src1_sel:DWORD
	s_andn2_b64 s[4:5], s[4:5], exec
	s_and_b64 s[22:23], s[22:23], exec
	v_mov_b32_e32 v37, 0
	s_or_b64 s[4:5], s[4:5], s[22:23]
	s_or_b64 exec, exec, s[20:21]
	s_and_saveexec_b64 s[20:21], s[4:5]
	s_cbranch_execnz .LBB278_148
	s_branch .LBB278_149
.LBB278_379:                            ;   in Loop: Header=BB278_9 Depth=1
	v_cmp_eq_u16_e64 s[4:5], s26, v4
	s_mov_b64 s[20:21], -1
                                        ; implicit-def: $sgpr28
	s_and_saveexec_b64 s[24:25], s[4:5]
; %bb.380:                              ;   in Loop: Header=BB278_9 Depth=1
	s_mov_b32 s28, 0x7fc02000
	s_xor_b64 s[20:21], exec, -1
; %bb.381:                              ;   in Loop: Header=BB278_9 Depth=1
	s_or_b64 exec, exec, s[24:25]
	s_and_b64 s[20:21], s[20:21], exec
	s_or_saveexec_b64 s[22:23], s[22:23]
	v_mov_b32_e32 v33, s28
	s_xor_b64 exec, exec, s[22:23]
	s_cbranch_execz .LBB278_151
.LBB278_382:                            ;   in Loop: Header=BB278_9 Depth=1
	v_cmp_ne_u16_e64 s[4:5], 0, v4
	s_andn2_b64 s[20:21], s[20:21], exec
	s_and_b64 s[4:5], s[4:5], exec
	v_mov_b32_e32 v33, 0
	s_or_b64 s[20:21], s[20:21], s[4:5]
	s_or_b64 exec, exec, s[22:23]
	s_and_saveexec_b64 s[22:23], s[20:21]
	s_cbranch_execnz .LBB278_152
	s_branch .LBB278_153
.LBB278_383:                            ;   in Loop: Header=BB278_9 Depth=1
	v_cmp_eq_u16_sdwa s[28:29], v8, s26 src0_sel:BYTE_0 src1_sel:DWORD
	s_mov_b64 s[4:5], -1
                                        ; implicit-def: $sgpr24
	s_and_saveexec_b64 s[22:23], s[28:29]
; %bb.384:                              ;   in Loop: Header=BB278_9 Depth=1
	s_mov_b32 s24, 0x7fc02000
	s_xor_b64 s[4:5], exec, -1
; %bb.385:                              ;   in Loop: Header=BB278_9 Depth=1
	s_or_b64 exec, exec, s[22:23]
	s_and_b64 s[4:5], s[4:5], exec
	s_or_saveexec_b64 s[20:21], s[20:21]
	v_mov_b32_e32 v13, s24
	s_xor_b64 exec, exec, s[20:21]
	s_cbranch_execz .LBB278_155
.LBB278_386:                            ;   in Loop: Header=BB278_9 Depth=1
	v_cmp_ne_u16_sdwa s[22:23], v8, v5 src0_sel:BYTE_0 src1_sel:DWORD
	s_andn2_b64 s[4:5], s[4:5], exec
	s_and_b64 s[22:23], s[22:23], exec
	v_mov_b32_e32 v13, 0
	s_or_b64 s[4:5], s[4:5], s[22:23]
	s_or_b64 exec, exec, s[20:21]
	s_and_saveexec_b64 s[20:21], s[4:5]
	s_cbranch_execnz .LBB278_156
	s_branch .LBB278_157
.LBB278_387:                            ;   in Loop: Header=BB278_9 Depth=1
	v_cmp_eq_u16_e64 s[4:5], s26, v4
	s_mov_b64 s[20:21], -1
                                        ; implicit-def: $sgpr28
	s_and_saveexec_b64 s[24:25], s[4:5]
; %bb.388:                              ;   in Loop: Header=BB278_9 Depth=1
	s_mov_b32 s28, 0x7fc02000
	s_xor_b64 s[20:21], exec, -1
; %bb.389:                              ;   in Loop: Header=BB278_9 Depth=1
	s_or_b64 exec, exec, s[24:25]
	s_and_b64 s[20:21], s[20:21], exec
	s_or_saveexec_b64 s[22:23], s[22:23]
	v_mov_b32_e32 v9, s28
	s_xor_b64 exec, exec, s[22:23]
	s_cbranch_execz .LBB278_159
.LBB278_390:                            ;   in Loop: Header=BB278_9 Depth=1
	v_cmp_ne_u16_e64 s[4:5], 0, v4
	s_andn2_b64 s[20:21], s[20:21], exec
	s_and_b64 s[4:5], s[4:5], exec
	v_mov_b32_e32 v9, 0
	s_or_b64 s[20:21], s[20:21], s[4:5]
	s_or_b64 exec, exec, s[22:23]
	s_and_saveexec_b64 s[22:23], s[20:21]
	s_cbranch_execnz .LBB278_160
	s_branch .LBB278_161
.LBB278_391:                            ;   in Loop: Header=BB278_9 Depth=1
	v_cmp_eq_u16_sdwa s[28:29], v4, s26 src0_sel:BYTE_0 src1_sel:DWORD
	s_mov_b64 s[4:5], -1
                                        ; implicit-def: $sgpr24
	s_and_saveexec_b64 s[22:23], s[28:29]
; %bb.392:                              ;   in Loop: Header=BB278_9 Depth=1
	s_mov_b32 s24, 0x7fc02000
	s_xor_b64 s[4:5], exec, -1
; %bb.393:                              ;   in Loop: Header=BB278_9 Depth=1
	s_or_b64 exec, exec, s[22:23]
	s_and_b64 s[4:5], s[4:5], exec
	s_or_saveexec_b64 s[20:21], s[20:21]
	v_mov_b32_e32 v24, s24
	s_xor_b64 exec, exec, s[20:21]
	s_cbranch_execz .LBB278_163
.LBB278_394:                            ;   in Loop: Header=BB278_9 Depth=1
	v_cmp_ne_u16_sdwa s[22:23], v4, v5 src0_sel:BYTE_0 src1_sel:DWORD
	s_andn2_b64 s[4:5], s[4:5], exec
	s_and_b64 s[22:23], s[22:23], exec
	v_mov_b32_e32 v24, 0
	s_or_b64 s[4:5], s[4:5], s[22:23]
	s_or_b64 exec, exec, s[20:21]
	s_and_saveexec_b64 s[20:21], s[4:5]
	s_cbranch_execnz .LBB278_164
	s_branch .LBB278_165
.LBB278_395:                            ;   in Loop: Header=BB278_9 Depth=1
	v_cmp_eq_u16_e64 s[4:5], s26, v4
	s_mov_b64 s[20:21], -1
                                        ; implicit-def: $sgpr28
	s_and_saveexec_b64 s[24:25], s[4:5]
; %bb.396:                              ;   in Loop: Header=BB278_9 Depth=1
	s_mov_b32 s28, 0x7fc02000
	s_xor_b64 s[20:21], exec, -1
; %bb.397:                              ;   in Loop: Header=BB278_9 Depth=1
	s_or_b64 exec, exec, s[24:25]
	s_and_b64 s[20:21], s[20:21], exec
	s_or_saveexec_b64 s[22:23], s[22:23]
	v_mov_b32_e32 v25, s28
	s_xor_b64 exec, exec, s[22:23]
	s_cbranch_execz .LBB278_167
.LBB278_398:                            ;   in Loop: Header=BB278_9 Depth=1
	v_cmp_ne_u16_e64 s[4:5], 0, v4
	s_andn2_b64 s[20:21], s[20:21], exec
	s_and_b64 s[4:5], s[4:5], exec
	v_mov_b32_e32 v25, 0
	s_or_b64 s[20:21], s[20:21], s[4:5]
	s_or_b64 exec, exec, s[22:23]
	s_and_saveexec_b64 s[22:23], s[20:21]
	s_cbranch_execnz .LBB278_168
	s_branch .LBB278_169
.LBB278_399:                            ;   in Loop: Header=BB278_9 Depth=1
	v_cmp_eq_u16_sdwa s[28:29], v8, s26 src0_sel:BYTE_0 src1_sel:DWORD
	s_mov_b64 s[4:5], -1
                                        ; implicit-def: $sgpr24
	s_and_saveexec_b64 s[22:23], s[28:29]
; %bb.400:                              ;   in Loop: Header=BB278_9 Depth=1
	s_mov_b32 s24, 0x7fc02000
	s_xor_b64 s[4:5], exec, -1
; %bb.401:                              ;   in Loop: Header=BB278_9 Depth=1
	s_or_b64 exec, exec, s[22:23]
	s_and_b64 s[4:5], s[4:5], exec
	s_or_saveexec_b64 s[20:21], s[20:21]
	v_mov_b32_e32 v26, s24
	s_xor_b64 exec, exec, s[20:21]
	s_cbranch_execz .LBB278_171
.LBB278_402:                            ;   in Loop: Header=BB278_9 Depth=1
	v_cmp_ne_u16_sdwa s[22:23], v8, v5 src0_sel:BYTE_0 src1_sel:DWORD
	s_andn2_b64 s[4:5], s[4:5], exec
	s_and_b64 s[22:23], s[22:23], exec
	v_mov_b32_e32 v26, 0
	s_or_b64 s[4:5], s[4:5], s[22:23]
	s_or_b64 exec, exec, s[20:21]
	s_and_saveexec_b64 s[20:21], s[4:5]
	s_cbranch_execnz .LBB278_172
	s_branch .LBB278_173
.LBB278_403:                            ;   in Loop: Header=BB278_9 Depth=1
	v_cmp_eq_u16_e64 s[4:5], s26, v4
	s_mov_b64 s[20:21], -1
                                        ; implicit-def: $sgpr28
	s_and_saveexec_b64 s[24:25], s[4:5]
; %bb.404:                              ;   in Loop: Header=BB278_9 Depth=1
	s_mov_b32 s28, 0x7fc02000
	s_xor_b64 s[20:21], exec, -1
; %bb.405:                              ;   in Loop: Header=BB278_9 Depth=1
	s_or_b64 exec, exec, s[24:25]
	s_and_b64 s[20:21], s[20:21], exec
	s_or_saveexec_b64 s[22:23], s[22:23]
	v_mov_b32_e32 v27, s28
	s_xor_b64 exec, exec, s[22:23]
	s_cbranch_execz .LBB278_175
.LBB278_406:                            ;   in Loop: Header=BB278_9 Depth=1
	v_cmp_ne_u16_e64 s[4:5], 0, v4
	s_andn2_b64 s[20:21], s[20:21], exec
	s_and_b64 s[4:5], s[4:5], exec
	v_mov_b32_e32 v27, 0
	s_or_b64 s[20:21], s[20:21], s[4:5]
	s_or_b64 exec, exec, s[22:23]
	s_and_saveexec_b64 s[22:23], s[20:21]
	s_cbranch_execnz .LBB278_176
	s_branch .LBB278_177
.LBB278_407:                            ;   in Loop: Header=BB278_9 Depth=1
	v_cmp_eq_u16_sdwa s[28:29], v4, s26 src0_sel:BYTE_0 src1_sel:DWORD
	s_mov_b64 s[4:5], -1
                                        ; implicit-def: $sgpr24
	s_and_saveexec_b64 s[22:23], s[28:29]
; %bb.408:                              ;   in Loop: Header=BB278_9 Depth=1
	s_mov_b32 s24, 0x7fc02000
	s_xor_b64 s[4:5], exec, -1
; %bb.409:                              ;   in Loop: Header=BB278_9 Depth=1
	s_or_b64 exec, exec, s[22:23]
	s_and_b64 s[4:5], s[4:5], exec
	s_or_saveexec_b64 s[20:21], s[20:21]
	v_mov_b32_e32 v36, s24
	s_xor_b64 exec, exec, s[20:21]
	s_cbranch_execz .LBB278_179
.LBB278_410:                            ;   in Loop: Header=BB278_9 Depth=1
	v_cmp_ne_u16_sdwa s[22:23], v4, v5 src0_sel:BYTE_0 src1_sel:DWORD
	s_andn2_b64 s[4:5], s[4:5], exec
	s_and_b64 s[22:23], s[22:23], exec
	v_mov_b32_e32 v36, 0
	s_or_b64 s[4:5], s[4:5], s[22:23]
	s_or_b64 exec, exec, s[20:21]
	s_and_saveexec_b64 s[20:21], s[4:5]
	s_cbranch_execnz .LBB278_180
	s_branch .LBB278_181
.LBB278_411:                            ;   in Loop: Header=BB278_9 Depth=1
	v_cmp_eq_u16_e64 s[4:5], s26, v4
	s_mov_b64 s[20:21], -1
                                        ; implicit-def: $sgpr28
	s_and_saveexec_b64 s[24:25], s[4:5]
; %bb.412:                              ;   in Loop: Header=BB278_9 Depth=1
	s_mov_b32 s28, 0x7fc02000
	s_xor_b64 s[20:21], exec, -1
; %bb.413:                              ;   in Loop: Header=BB278_9 Depth=1
	s_or_b64 exec, exec, s[24:25]
	s_and_b64 s[20:21], s[20:21], exec
	s_or_saveexec_b64 s[22:23], s[22:23]
	v_mov_b32_e32 v18, s28
	s_xor_b64 exec, exec, s[22:23]
	s_cbranch_execz .LBB278_183
.LBB278_414:                            ;   in Loop: Header=BB278_9 Depth=1
	v_cmp_ne_u16_e64 s[4:5], 0, v4
	s_andn2_b64 s[20:21], s[20:21], exec
	s_and_b64 s[4:5], s[4:5], exec
	v_mov_b32_e32 v18, 0
	s_or_b64 s[20:21], s[20:21], s[4:5]
	s_or_b64 exec, exec, s[22:23]
	s_and_saveexec_b64 s[22:23], s[20:21]
	s_cbranch_execnz .LBB278_184
	s_branch .LBB278_185
.LBB278_415:                            ;   in Loop: Header=BB278_9 Depth=1
	v_cmp_eq_u16_sdwa s[28:29], v8, s26 src0_sel:BYTE_0 src1_sel:DWORD
	s_mov_b64 s[4:5], -1
                                        ; implicit-def: $sgpr24
	s_and_saveexec_b64 s[22:23], s[28:29]
; %bb.416:                              ;   in Loop: Header=BB278_9 Depth=1
	s_mov_b32 s24, 0x7fc02000
	s_xor_b64 s[4:5], exec, -1
; %bb.417:                              ;   in Loop: Header=BB278_9 Depth=1
	s_or_b64 exec, exec, s[22:23]
	s_and_b64 s[4:5], s[4:5], exec
	s_or_saveexec_b64 s[20:21], s[20:21]
	v_mov_b32_e32 v21, s24
	s_xor_b64 exec, exec, s[20:21]
	s_cbranch_execz .LBB278_187
.LBB278_418:                            ;   in Loop: Header=BB278_9 Depth=1
	v_cmp_ne_u16_sdwa s[22:23], v8, v5 src0_sel:BYTE_0 src1_sel:DWORD
	s_andn2_b64 s[4:5], s[4:5], exec
	s_and_b64 s[22:23], s[22:23], exec
	v_mov_b32_e32 v21, 0
	s_or_b64 s[4:5], s[4:5], s[22:23]
	s_or_b64 exec, exec, s[20:21]
	s_and_saveexec_b64 s[20:21], s[4:5]
	s_cbranch_execnz .LBB278_188
	s_branch .LBB278_189
.LBB278_419:                            ;   in Loop: Header=BB278_9 Depth=1
	v_cmp_eq_u16_e64 s[4:5], s26, v4
	s_mov_b64 s[20:21], -1
                                        ; implicit-def: $sgpr28
	s_and_saveexec_b64 s[24:25], s[4:5]
; %bb.420:                              ;   in Loop: Header=BB278_9 Depth=1
	s_mov_b32 s28, 0x7fc02000
	s_xor_b64 s[20:21], exec, -1
; %bb.421:                              ;   in Loop: Header=BB278_9 Depth=1
	s_or_b64 exec, exec, s[24:25]
	s_and_b64 s[20:21], s[20:21], exec
	s_or_saveexec_b64 s[22:23], s[22:23]
	v_mov_b32_e32 v20, s28
	s_xor_b64 exec, exec, s[22:23]
	s_cbranch_execz .LBB278_191
.LBB278_422:                            ;   in Loop: Header=BB278_9 Depth=1
	v_cmp_ne_u16_e64 s[4:5], 0, v4
	s_andn2_b64 s[20:21], s[20:21], exec
	s_and_b64 s[4:5], s[4:5], exec
	v_mov_b32_e32 v20, 0
	s_or_b64 s[20:21], s[20:21], s[4:5]
	s_or_b64 exec, exec, s[22:23]
	s_and_saveexec_b64 s[22:23], s[20:21]
	s_cbranch_execnz .LBB278_192
	s_branch .LBB278_193
.LBB278_423:                            ;   in Loop: Header=BB278_9 Depth=1
	v_cmp_eq_u16_sdwa s[28:29], v4, s26 src0_sel:BYTE_0 src1_sel:DWORD
	s_mov_b64 s[4:5], -1
                                        ; implicit-def: $sgpr24
	s_and_saveexec_b64 s[22:23], s[28:29]
; %bb.424:                              ;   in Loop: Header=BB278_9 Depth=1
	s_mov_b32 s24, 0x7fc02000
	s_xor_b64 s[4:5], exec, -1
; %bb.425:                              ;   in Loop: Header=BB278_9 Depth=1
	s_or_b64 exec, exec, s[22:23]
	s_and_b64 s[4:5], s[4:5], exec
	s_or_saveexec_b64 s[20:21], s[20:21]
	v_mov_b32_e32 v51, s24
	s_xor_b64 exec, exec, s[20:21]
	s_cbranch_execz .LBB278_195
.LBB278_426:                            ;   in Loop: Header=BB278_9 Depth=1
	v_cmp_ne_u16_sdwa s[22:23], v4, v5 src0_sel:BYTE_0 src1_sel:DWORD
	s_andn2_b64 s[4:5], s[4:5], exec
	s_and_b64 s[22:23], s[22:23], exec
	v_mov_b32_e32 v51, 0
	s_or_b64 s[4:5], s[4:5], s[22:23]
	s_or_b64 exec, exec, s[20:21]
	s_and_saveexec_b64 s[20:21], s[4:5]
	s_cbranch_execnz .LBB278_196
	s_branch .LBB278_197
.LBB278_427:                            ;   in Loop: Header=BB278_9 Depth=1
	v_cmp_eq_u16_e64 s[4:5], s26, v4
	s_mov_b64 s[20:21], -1
                                        ; implicit-def: $sgpr28
	s_and_saveexec_b64 s[24:25], s[4:5]
; %bb.428:                              ;   in Loop: Header=BB278_9 Depth=1
	s_mov_b32 s28, 0x7fc02000
	s_xor_b64 s[20:21], exec, -1
; %bb.429:                              ;   in Loop: Header=BB278_9 Depth=1
	s_or_b64 exec, exec, s[24:25]
	s_and_b64 s[20:21], s[20:21], exec
	s_or_saveexec_b64 s[22:23], s[22:23]
	v_mov_b32_e32 v23, s28
	s_xor_b64 exec, exec, s[22:23]
	s_cbranch_execz .LBB278_199
.LBB278_430:                            ;   in Loop: Header=BB278_9 Depth=1
	v_cmp_ne_u16_e64 s[4:5], 0, v4
	s_andn2_b64 s[20:21], s[20:21], exec
	s_and_b64 s[4:5], s[4:5], exec
	v_mov_b32_e32 v23, 0
	s_or_b64 s[20:21], s[20:21], s[4:5]
	s_or_b64 exec, exec, s[22:23]
	s_and_saveexec_b64 s[22:23], s[20:21]
	s_cbranch_execnz .LBB278_200
	s_branch .LBB278_201
.LBB278_431:                            ;   in Loop: Header=BB278_9 Depth=1
	v_cmp_eq_u16_sdwa s[28:29], v8, s26 src0_sel:BYTE_0 src1_sel:DWORD
	s_mov_b64 s[4:5], -1
                                        ; implicit-def: $sgpr24
	s_and_saveexec_b64 s[22:23], s[28:29]
; %bb.432:                              ;   in Loop: Header=BB278_9 Depth=1
	s_mov_b32 s24, 0x7fc02000
	s_xor_b64 s[4:5], exec, -1
; %bb.433:                              ;   in Loop: Header=BB278_9 Depth=1
	s_or_b64 exec, exec, s[22:23]
	s_and_b64 s[4:5], s[4:5], exec
	s_or_saveexec_b64 s[20:21], s[20:21]
	v_mov_b32_e32 v22, s24
	s_xor_b64 exec, exec, s[20:21]
	s_cbranch_execz .LBB278_203
.LBB278_434:                            ;   in Loop: Header=BB278_9 Depth=1
	v_cmp_ne_u16_sdwa s[22:23], v8, v5 src0_sel:BYTE_0 src1_sel:DWORD
	s_andn2_b64 s[4:5], s[4:5], exec
	s_and_b64 s[22:23], s[22:23], exec
	v_mov_b32_e32 v22, 0
	s_or_b64 s[4:5], s[4:5], s[22:23]
	s_or_b64 exec, exec, s[20:21]
	s_and_saveexec_b64 s[20:21], s[4:5]
	s_cbranch_execnz .LBB278_204
	s_branch .LBB278_205
.LBB278_435:                            ;   in Loop: Header=BB278_9 Depth=1
	v_cmp_eq_u16_e64 s[4:5], s26, v4
	s_mov_b64 s[20:21], -1
                                        ; implicit-def: $sgpr28
	s_and_saveexec_b64 s[24:25], s[4:5]
; %bb.436:                              ;   in Loop: Header=BB278_9 Depth=1
	s_mov_b32 s28, 0x7fc02000
	s_xor_b64 s[20:21], exec, -1
; %bb.437:                              ;   in Loop: Header=BB278_9 Depth=1
	s_or_b64 exec, exec, s[24:25]
	s_and_b64 s[20:21], s[20:21], exec
	s_or_saveexec_b64 s[22:23], s[22:23]
	v_mov_b32_e32 v52, s28
	s_xor_b64 exec, exec, s[22:23]
	s_cbranch_execz .LBB278_207
.LBB278_438:                            ;   in Loop: Header=BB278_9 Depth=1
	v_cmp_ne_u16_e64 s[4:5], 0, v4
	s_andn2_b64 s[20:21], s[20:21], exec
	s_and_b64 s[4:5], s[4:5], exec
	v_mov_b32_e32 v52, 0
	s_or_b64 s[20:21], s[20:21], s[4:5]
	s_or_b64 exec, exec, s[22:23]
	s_and_saveexec_b64 s[22:23], s[20:21]
	s_cbranch_execnz .LBB278_208
	s_branch .LBB278_209
.LBB278_439:                            ;   in Loop: Header=BB278_9 Depth=1
	v_cmp_eq_u16_sdwa s[28:29], v4, s26 src0_sel:BYTE_0 src1_sel:DWORD
	s_mov_b64 s[4:5], -1
                                        ; implicit-def: $sgpr24
	s_and_saveexec_b64 s[22:23], s[28:29]
; %bb.440:                              ;   in Loop: Header=BB278_9 Depth=1
	s_mov_b32 s24, 0x7fc02000
	s_xor_b64 s[4:5], exec, -1
; %bb.441:                              ;   in Loop: Header=BB278_9 Depth=1
	s_or_b64 exec, exec, s[22:23]
	s_and_b64 s[4:5], s[4:5], exec
	s_or_saveexec_b64 s[20:21], s[20:21]
	v_mov_b32_e32 v53, s24
	s_xor_b64 exec, exec, s[20:21]
	s_cbranch_execz .LBB278_211
.LBB278_442:                            ;   in Loop: Header=BB278_9 Depth=1
	v_cmp_ne_u16_sdwa s[22:23], v4, v5 src0_sel:BYTE_0 src1_sel:DWORD
	s_andn2_b64 s[4:5], s[4:5], exec
	s_and_b64 s[22:23], s[22:23], exec
	v_mov_b32_e32 v53, 0
	s_or_b64 s[4:5], s[4:5], s[22:23]
	s_or_b64 exec, exec, s[20:21]
	s_and_saveexec_b64 s[20:21], s[4:5]
	s_cbranch_execnz .LBB278_212
	s_branch .LBB278_213
.LBB278_443:                            ;   in Loop: Header=BB278_9 Depth=1
	v_cmp_eq_u16_e64 s[4:5], s26, v4
	s_mov_b64 s[20:21], -1
                                        ; implicit-def: $sgpr28
	s_and_saveexec_b64 s[24:25], s[4:5]
; %bb.444:                              ;   in Loop: Header=BB278_9 Depth=1
	s_mov_b32 s28, 0x7fc02000
	s_xor_b64 s[20:21], exec, -1
; %bb.445:                              ;   in Loop: Header=BB278_9 Depth=1
	s_or_b64 exec, exec, s[24:25]
	s_and_b64 s[20:21], s[20:21], exec
	s_or_saveexec_b64 s[22:23], s[22:23]
	v_mov_b32_e32 v54, s28
	s_xor_b64 exec, exec, s[22:23]
	s_cbranch_execz .LBB278_215
.LBB278_446:                            ;   in Loop: Header=BB278_9 Depth=1
	v_cmp_ne_u16_e64 s[4:5], 0, v4
	s_andn2_b64 s[20:21], s[20:21], exec
	s_and_b64 s[4:5], s[4:5], exec
	v_mov_b32_e32 v54, 0
	s_or_b64 s[20:21], s[20:21], s[4:5]
	s_or_b64 exec, exec, s[22:23]
	s_and_saveexec_b64 s[22:23], s[20:21]
	s_cbranch_execnz .LBB278_216
	s_branch .LBB278_217
.LBB278_447:                            ;   in Loop: Header=BB278_9 Depth=1
	v_cmp_eq_u16_sdwa s[28:29], v8, s26 src0_sel:BYTE_0 src1_sel:DWORD
	s_mov_b64 s[4:5], -1
                                        ; implicit-def: $sgpr24
	s_and_saveexec_b64 s[22:23], s[28:29]
; %bb.448:                              ;   in Loop: Header=BB278_9 Depth=1
	s_mov_b32 s24, 0x7fc02000
	s_xor_b64 s[4:5], exec, -1
; %bb.449:                              ;   in Loop: Header=BB278_9 Depth=1
	s_or_b64 exec, exec, s[22:23]
	s_and_b64 s[4:5], s[4:5], exec
	s_or_saveexec_b64 s[20:21], s[20:21]
	v_mov_b32_e32 v30, s24
	s_xor_b64 exec, exec, s[20:21]
	s_cbranch_execz .LBB278_219
.LBB278_450:                            ;   in Loop: Header=BB278_9 Depth=1
	v_cmp_ne_u16_sdwa s[22:23], v8, v5 src0_sel:BYTE_0 src1_sel:DWORD
	s_andn2_b64 s[4:5], s[4:5], exec
	s_and_b64 s[22:23], s[22:23], exec
	v_mov_b32_e32 v30, 0
	s_or_b64 s[4:5], s[4:5], s[22:23]
	s_or_b64 exec, exec, s[20:21]
	s_and_saveexec_b64 s[20:21], s[4:5]
	s_cbranch_execnz .LBB278_220
	s_branch .LBB278_221
.LBB278_451:                            ;   in Loop: Header=BB278_9 Depth=1
	v_cmp_eq_u16_e64 s[4:5], s26, v4
	s_mov_b64 s[20:21], -1
                                        ; implicit-def: $sgpr28
	s_and_saveexec_b64 s[24:25], s[4:5]
; %bb.452:                              ;   in Loop: Header=BB278_9 Depth=1
	s_mov_b32 s28, 0x7fc02000
	s_xor_b64 s[20:21], exec, -1
; %bb.453:                              ;   in Loop: Header=BB278_9 Depth=1
	s_or_b64 exec, exec, s[24:25]
	s_and_b64 s[20:21], s[20:21], exec
	s_or_saveexec_b64 s[22:23], s[22:23]
	v_mov_b32_e32 v55, s28
	s_xor_b64 exec, exec, s[22:23]
	s_cbranch_execz .LBB278_223
.LBB278_454:                            ;   in Loop: Header=BB278_9 Depth=1
	v_cmp_ne_u16_e64 s[4:5], 0, v4
	s_andn2_b64 s[20:21], s[20:21], exec
	s_and_b64 s[4:5], s[4:5], exec
	v_mov_b32_e32 v55, 0
	s_or_b64 s[20:21], s[20:21], s[4:5]
	s_or_b64 exec, exec, s[22:23]
	s_and_saveexec_b64 s[22:23], s[20:21]
	s_cbranch_execnz .LBB278_224
	s_branch .LBB278_225
.LBB278_455:                            ;   in Loop: Header=BB278_9 Depth=1
	v_cmp_eq_u16_sdwa s[28:29], v4, s26 src0_sel:BYTE_0 src1_sel:DWORD
	s_mov_b64 s[4:5], -1
                                        ; implicit-def: $sgpr24
	s_and_saveexec_b64 s[22:23], s[28:29]
; %bb.456:                              ;   in Loop: Header=BB278_9 Depth=1
	s_mov_b32 s24, 0x7fc02000
	s_xor_b64 s[4:5], exec, -1
; %bb.457:                              ;   in Loop: Header=BB278_9 Depth=1
	s_or_b64 exec, exec, s[22:23]
	s_and_b64 s[4:5], s[4:5], exec
	s_or_saveexec_b64 s[20:21], s[20:21]
	v_mov_b32_e32 v42, s24
	s_xor_b64 exec, exec, s[20:21]
	s_cbranch_execz .LBB278_227
.LBB278_458:                            ;   in Loop: Header=BB278_9 Depth=1
	v_cmp_ne_u16_sdwa s[22:23], v4, v5 src0_sel:BYTE_0 src1_sel:DWORD
	s_andn2_b64 s[4:5], s[4:5], exec
	s_and_b64 s[22:23], s[22:23], exec
	v_mov_b32_e32 v42, 0
	s_or_b64 s[4:5], s[4:5], s[22:23]
	s_or_b64 exec, exec, s[20:21]
	s_and_saveexec_b64 s[20:21], s[4:5]
	s_cbranch_execnz .LBB278_228
	s_branch .LBB278_229
.LBB278_459:
	s_or_b64 exec, exec, s[18:19]
.LBB278_460:
	s_or_b64 exec, exec, s[6:7]
	scratch_load_dword v3, off, s32 offset:116 ; 4-byte Folded Reload
	v_accvgpr_read_b32 v8, a22
	v_xor_b32_e32 v1, 32, v8
	v_cmp_lt_i32_e32 vcc, v1, v0
	v_xor_b32_e32 v4, 16, v8
	v_xor_b32_e32 v5, 8, v8
	v_cndmask_b32_e32 v1, v8, v1, vcc
	v_lshlrev_b32_e32 v1, 2, v1
	v_cmp_lt_i32_e32 vcc, v4, v0
	v_xor_b32_e32 v6, 4, v8
	v_xor_b32_e32 v7, 2, v8
	s_waitcnt lgkmcnt(0)
	s_lshr_b32 s15, s15, 16
	s_waitcnt vmcnt(0)
	ds_bpermute_b32 v2, v1, v3
	v_max_f32_e32 v3, v3, v3
	s_waitcnt lgkmcnt(0)
	v_max_f32_e32 v2, v2, v2
	v_max_f32_e32 v3, v3, v2
	v_cndmask_b32_e32 v2, v8, v4, vcc
	v_lshlrev_b32_e32 v2, 2, v2
	ds_bpermute_b32 v4, v2, v3
	v_cmp_lt_i32_e32 vcc, v5, v0
	s_waitcnt lgkmcnt(0)
	v_max_f32_e32 v4, v4, v4
	v_max_f32_e32 v4, v3, v4
	v_cndmask_b32_e32 v3, v8, v5, vcc
	v_lshlrev_b32_e32 v3, 2, v3
	ds_bpermute_b32 v5, v3, v4
	v_cmp_lt_i32_e32 vcc, v6, v0
	;; [unrolled: 7-line block ×3, first 2 shown]
	s_waitcnt lgkmcnt(0)
	v_max_f32_e32 v6, v6, v6
	v_max_f32_e32 v6, v5, v6
	v_cndmask_b32_e32 v5, v8, v7, vcc
	v_lshlrev_b32_e32 v30, 2, v5
	ds_bpermute_b32 v7, v30, v6
	v_accvgpr_read_b32 v5, a2
	v_and_b32_e32 v19, 63, v5
	v_accvgpr_read_b32 v5, a7
	v_cmp_eq_u32_e32 vcc, 0, v19
	v_lshlrev_b32_e32 v5, 2, v5
	s_and_saveexec_b64 s[2:3], vcc
	s_cbranch_execz .LBB278_462
; %bb.461:
	s_waitcnt lgkmcnt(0)
	v_max_f32_e32 v7, v7, v7
	v_max_f32_e32 v6, v6, v6
	;; [unrolled: 1-line block ×3, first 2 shown]
	ds_write_b32 v5, v6 offset:224
.LBB278_462:
	s_or_b64 exec, exec, s[2:3]
	v_cmp_gt_u32_e64 s[2:3], 2, v19
	s_waitcnt lgkmcnt(0)
	v_mov_b32_e32 v7, 0xff7fffff
	v_lshlrev_b32_e32 v6, 2, v19
	s_barrier
	s_and_saveexec_b64 s[4:5], s[2:3]
	s_cbranch_execz .LBB278_464
; %bb.463:
	ds_read_b32 v7, v6 offset:224
.LBB278_464:
	s_or_b64 exec, exec, s[4:5]
	v_accvgpr_read_b32 v9, a22
	v_xor_b32_e32 v8, 1, v9
	v_cmp_lt_i32_e64 s[4:5], v8, v0
	v_accvgpr_read_b32 v10, a8
	s_nop 0
	v_cndmask_b32_e64 v0, v9, v8, s[4:5]
	v_lshlrev_b32_e32 v31, 2, v0
	s_waitcnt lgkmcnt(0)
	ds_bpermute_b32 v0, v31, v7
	v_max_f32_e32 v7, v7, v7
	v_lshlrev_b32_e32 v8, 2, v9
	v_accvgpr_read_b32 v9, a2
	s_waitcnt lgkmcnt(0)
	v_max_f32_e32 v0, v0, v0
	v_max_f32_e32 v0, v7, v0
	v_and_b32_e32 v7, 0xffffff00, v8
	ds_bpermute_b32 v8, v7, v0
	v_accvgpr_read_b32 v0, a3
	v_lshlrev_b32_e32 v0, 5, v0
	v_min_i32_e32 v0, v0, v10
	v_cmp_lt_i32_e64 s[4:5], v9, v0
	v_mov_b32_e32 v9, 0
	s_and_saveexec_b64 s[8:9], s[4:5]
	s_cbranch_execz .LBB278_468
; %bb.465:
	s_ashr_i32 s17, s16, 31
	s_lshl_b64 s[6:7], s[16:17], 2
	s_getpc_b64 s[18:19]
	s_add_u32 s18, s18, llvm.amdgcn.dynlds.offset.table@rel32@lo+4
	s_addc_u32 s19, s19, llvm.amdgcn.dynlds.offset.table@rel32@hi+12
	s_add_u32 s6, s6, s18
	s_addc_u32 s7, s7, s19
	s_load_dword s6, s[6:7], 0x0
	v_accvgpr_read_b32 v11, a2
	s_mov_b64 s[18:19], 0
	v_mov_b32_e32 v9, 0
	s_waitcnt lgkmcnt(0)
	v_lshl_add_u32 v10, v11, 2, s6
.LBB278_466:                            ; =>This Inner Loop Header: Depth=1
	ds_read_b32 v12, v10
	v_add_u32_e32 v11, 0x80, v11
	v_cmp_ge_i32_e64 s[6:7], v11, v0
	s_or_b64 s[18:19], s[6:7], s[18:19]
	s_waitcnt lgkmcnt(0)
	v_sub_f32_e32 v12, v12, v8
	v_mul_f32_e32 v12, 0x3fb8aa3b, v12
	v_exp_f32_e32 v12, v12
	ds_write_b32 v10, v12
	v_add_f32_e32 v9, v9, v12
	v_add_u32_e32 v10, 0x200, v10
	s_andn2_b64 exec, exec, s[18:19]
	s_cbranch_execnz .LBB278_466
; %bb.467:
	s_or_b64 exec, exec, s[18:19]
.LBB278_468:
	s_or_b64 exec, exec, s[8:9]
	ds_bpermute_b32 v1, v1, v9
	s_waitcnt lgkmcnt(0)
	v_add_f32_e32 v1, v9, v1
	ds_bpermute_b32 v2, v2, v1
	s_waitcnt lgkmcnt(0)
	v_add_f32_e32 v1, v1, v2
	;; [unrolled: 3-line block ×6, first 2 shown]
	s_and_saveexec_b64 s[6:7], vcc
	s_cbranch_execz .LBB278_470
; %bb.469:
	ds_write_b32 v5, v1 offset:232
.LBB278_470:
	s_or_b64 exec, exec, s[6:7]
	s_waitcnt lgkmcnt(0)
	s_barrier
	s_and_saveexec_b64 s[6:7], s[2:3]
	s_cbranch_execz .LBB278_472
; %bb.471:
	ds_read_b32 v1, v6 offset:232
.LBB278_472:
	s_or_b64 exec, exec, s[6:7]
	s_waitcnt lgkmcnt(0)
	ds_bpermute_b32 v2, v31, v1
	s_waitcnt lgkmcnt(0)
	v_add_f32_e32 v1, v1, v2
	ds_bpermute_b32 v1, v7, v1
	s_and_saveexec_b64 s[2:3], s[4:5]
	s_cbranch_execz .LBB278_485
; %bb.473:
	s_waitcnt lgkmcnt(0)
	v_add_f32_e32 v1, 0x358637bd, v1
	v_div_scale_f32 v2, s[4:5], v1, v1, 1.0
	v_rcp_f32_e32 v3, v2
	v_div_scale_f32 v4, vcc, 1.0, v1, 1.0
	s_movk_i32 s4, 0x7f
	v_fma_f32 v5, -v2, v3, 1.0
	v_fmac_f32_e32 v3, v5, v3
	v_mul_f32_e32 v5, v4, v3
	v_fma_f32 v6, -v2, v5, v4
	v_fmac_f32_e32 v5, v6, v3
	v_fma_f32 v2, -v2, v5, v4
	v_div_fmas_f32 v2, v2, v3, v5
	v_div_fixup_f32 v4, v2, v1, 1.0
	v_accvgpr_read_b32 v1, a2
	v_xad_u32 v2, v1, -1, v0
	v_cmp_lt_u32_e32 vcc, s4, v2
	s_mov_b64 s[6:7], -1
	s_and_saveexec_b64 s[4:5], vcc
	s_cbranch_execz .LBB278_482
; %bb.474:
	v_lshrrev_b32_e32 v1, 7, v2
	v_add_u32_e32 v3, -1, v1
	v_lshrrev_b32_e32 v2, 1, v3
	v_mov_b32_e32 v5, v4
	v_add_u32_e32 v2, 1, v2
	v_cmp_lt_u32_e32 vcc, 13, v3
	v_mov_b32_e32 v7, 0
	s_and_saveexec_b64 s[6:7], vcc
	s_cbranch_execz .LBB278_478
; %bb.475:
	s_ashr_i32 s17, s16, 31
	s_lshl_b64 s[8:9], s[16:17], 2
	s_getpc_b64 s[18:19]
	s_add_u32 s18, s18, llvm.amdgcn.dynlds.offset.table@rel32@lo+4
	s_addc_u32 s19, s19, llvm.amdgcn.dynlds.offset.table@rel32@hi+12
	s_add_u32 s8, s8, s18
	s_addc_u32 s9, s9, s19
	s_load_dword s8, s[8:9], 0x0
	v_accvgpr_read_b32 v6, a2
	v_and_b32_e32 v3, -8, v2
	s_mov_b32 s17, 0
	s_waitcnt lgkmcnt(0)
	v_lshl_add_u32 v6, v6, 2, s8
	s_mov_b64 s[8:9], 0
.LBB278_476:                            ; =>This Inner Loop Header: Depth=1
	ds_read2st64_b32 v[8:9], v6 offset1:2
	ds_read2st64_b32 v[10:11], v6 offset0:4 offset1:6
	ds_read2st64_b32 v[14:15], v6 offset0:8 offset1:10
	;; [unrolled: 1-line block ×3, first 2 shown]
	v_add_u32_e32 v3, -8, v3
	s_waitcnt lgkmcnt(3)
	v_pk_mul_f32 v[8:9], v[4:5], v[8:9]
	s_waitcnt lgkmcnt(2)
	v_pk_mul_f32 v[10:11], v[4:5], v[10:11]
	ds_write2st64_b32 v6, v8, v9 offset1:2
	ds_write2st64_b32 v6, v10, v11 offset0:4 offset1:6
	ds_read2st64_b32 v[10:11], v6 offset0:16 offset1:18
	s_waitcnt lgkmcnt(4)
	v_pk_mul_f32 v[8:9], v[4:5], v[14:15]
	ds_write2st64_b32 v6, v8, v9 offset0:8 offset1:10
	s_waitcnt lgkmcnt(4)
	v_pk_mul_f32 v[8:9], v[4:5], v[16:17]
	ds_write2st64_b32 v6, v8, v9 offset0:12 offset1:14
	ds_read2st64_b32 v[8:9], v6 offset0:20 offset1:22
	s_waitcnt lgkmcnt(3)
	v_pk_mul_f32 v[10:11], v[4:5], v[10:11]
	ds_read2st64_b32 v[14:15], v6 offset0:24 offset1:26
	ds_write2st64_b32 v6, v10, v11 offset0:16 offset1:18
	ds_read2st64_b32 v[10:11], v6 offset0:28 offset1:30
	s_waitcnt lgkmcnt(3)
	v_pk_mul_f32 v[8:9], v[4:5], v[8:9]
	ds_write2st64_b32 v6, v8, v9 offset0:20 offset1:22
	s_waitcnt lgkmcnt(3)
	v_pk_mul_f32 v[8:9], v[4:5], v[14:15]
	ds_write2st64_b32 v6, v8, v9 offset0:24 offset1:26
	s_waitcnt lgkmcnt(2)
	v_pk_mul_f32 v[8:9], v[4:5], v[10:11]
	s_add_i32 s17, s17, 16
	v_cmp_eq_u32_e32 vcc, 0, v3
	ds_write2st64_b32 v6, v8, v9 offset0:28 offset1:30
	v_add_u32_e32 v6, 0x2000, v6
	s_or_b64 s[8:9], vcc, s[8:9]
	v_mov_b32_e32 v7, s17
	s_andn2_b64 exec, exec, s[8:9]
	s_cbranch_execnz .LBB278_476
; %bb.477:
	s_or_b64 exec, exec, s[8:9]
.LBB278_478:
	s_or_b64 exec, exec, s[6:7]
	v_and_b32_e32 v2, 7, v2
	v_cmp_ne_u32_e32 vcc, 0, v2
	s_and_saveexec_b64 s[6:7], vcc
	s_cbranch_execz .LBB278_481
; %bb.479:
	s_ashr_i32 s17, s16, 31
	s_lshl_b64 s[8:9], s[16:17], 2
	s_getpc_b64 s[18:19]
	s_add_u32 s18, s18, llvm.amdgcn.dynlds.offset.table@rel32@lo+4
	s_addc_u32 s19, s19, llvm.amdgcn.dynlds.offset.table@rel32@hi+12
	s_add_u32 s8, s8, s18
	s_addc_u32 s9, s9, s19
	s_load_dword s8, s[8:9], 0x0
	v_accvgpr_read_b32 v6, a2
	v_lshlrev_b32_e32 v3, 9, v7
	v_lshlrev_b32_e32 v6, 2, v6
	s_waitcnt lgkmcnt(0)
	v_add3_u32 v3, v3, v6, s8
	s_mov_b64 s[8:9], 0
.LBB278_480:                            ; =>This Inner Loop Header: Depth=1
	ds_read2st64_b32 v[6:7], v3 offset1:2
	v_add_u32_e32 v2, -1, v2
	v_cmp_eq_u32_e32 vcc, 0, v2
	s_or_b64 s[8:9], vcc, s[8:9]
	s_waitcnt lgkmcnt(0)
	v_pk_mul_f32 v[6:7], v[4:5], v[6:7]
	ds_write2st64_b32 v3, v6, v7 offset1:2
	v_add_u32_e32 v3, 0x400, v3
	s_andn2_b64 exec, exec, s[8:9]
	s_cbranch_execnz .LBB278_480
.LBB278_481:
	s_or_b64 exec, exec, s[6:7]
	v_add_u32_e32 v2, 1, v1
	v_and_b32_e32 v3, 0x3fffffe, v2
	v_accvgpr_read_b32 v1, a2
	v_cmp_ne_u32_e32 vcc, v2, v3
	v_lshl_add_u32 v1, v3, 7, v1
	s_orn2_b64 s[6:7], vcc, exec
.LBB278_482:
	s_or_b64 exec, exec, s[4:5]
	s_and_b64 exec, exec, s[6:7]
	s_cbranch_execz .LBB278_485
; %bb.483:
	s_ashr_i32 s17, s16, 31
	s_lshl_b64 s[4:5], s[16:17], 2
	s_getpc_b64 s[6:7]
	s_add_u32 s6, s6, llvm.amdgcn.dynlds.offset.table@rel32@lo+4
	s_addc_u32 s7, s7, llvm.amdgcn.dynlds.offset.table@rel32@hi+12
	s_add_u32 s4, s4, s6
	s_addc_u32 s5, s5, s7
	s_load_dword s4, s[4:5], 0x0
	s_waitcnt lgkmcnt(0)
	v_lshl_add_u32 v2, v1, 2, s4
	s_mov_b64 s[4:5], 0
.LBB278_484:                            ; =>This Inner Loop Header: Depth=1
	ds_read_b32 v3, v2
	v_add_u32_e32 v1, 0x80, v1
	v_cmp_ge_i32_e32 vcc, v1, v0
	s_or_b64 s[4:5], vcc, s[4:5]
	s_waitcnt lgkmcnt(0)
	v_mul_f32_e32 v3, v4, v3
	ds_write_b32 v2, v3
	v_add_u32_e32 v2, 0x200, v2
	s_andn2_b64 exec, exec, s[4:5]
	s_cbranch_execnz .LBB278_484
.LBB278_485:
	s_or_b64 exec, exec, s[2:3]
	v_accvgpr_read_b32 v0, a2
	v_mov_b32_e32 v36, 0
	v_and_b32_e32 v35, 3, v0
	v_mov_b32_e32 v5, 0
	v_mov_b32_e32 v4, 0
	;; [unrolled: 1-line block ×6, first 2 shown]
	s_waitcnt lgkmcnt(0)
	s_barrier
	s_and_saveexec_b64 s[2:3], s[0:1]
	s_cbranch_execz .LBB278_951
; %bb.486:
	s_ashr_i32 s17, s16, 31
	v_accvgpr_read_b32 v0, a12
	v_accvgpr_read_b32 v2, a18
	s_lshl_b64 s[0:1], s[16:17], 2
	v_accvgpr_read_b32 v6, a14
	v_accvgpr_read_b32 v1, a13
	;; [unrolled: 1-line block ×3, first 2 shown]
	s_getpc_b64 s[4:5]
	s_add_u32 s4, s4, llvm.amdgcn.dynlds.offset.table@rel32@lo+4
	s_addc_u32 s5, s5, llvm.amdgcn.dynlds.offset.table@rel32@hi+12
	v_and_b32_e32 v4, 24, v6
	v_lshl_add_u64 v[0:1], v[0:1], 0, v[2:3]
	v_and_b32_e32 v6, 0x1f8, v6
	v_mov_b32_e32 v7, 0
	s_add_u32 s0, s0, s4
	s_addc_u32 s1, s1, s5
	v_lshl_add_u64 v[14:15], v[0:1], 0, v[6:7]
	v_accvgpr_read_b32 v0, a9
	v_accvgpr_read_b32 v2, a3
	s_load_dword s0, s[0:1], 0x0
	v_and_b32_e32 v6, 60, v0
	v_accvgpr_read_b32 v0, a16
	v_add_u32_e32 v37, -1, v2
	v_accvgpr_read_b32 v1, a17
	v_accvgpr_read_b32 v2, a10
	v_lshl_add_u64 v[0:1], v[0:1], 2, v[6:7]
	v_accvgpr_read_b32 v3, a11
	v_lshl_add_u64 v[2:3], v[2:3], 0, v[0:1]
	v_accvgpr_read_b32 v1, a7
	v_lshlrev_b32_e32 v0, 5, v35
	v_lshl_or_b32 v0, v1, 7, v0
	v_accvgpr_read_b32 v13, a8
	v_lshl_or_b32 v38, v1, 5, v4
	s_waitcnt lgkmcnt(0)
	v_add_u32_e32 v39, s0, v0
	s_mov_b64 s[4:5], 0
	s_movk_i32 s17, 0x7f
	s_movk_i32 s20, 0x80
	s_mov_b32 s21, 0x8000
	s_movk_i32 s22, 0x380
	s_mov_b32 s23, 0x3020706
	s_mov_b32 s24, 0x1000504
	;; [unrolled: 1-line block ×3, first 2 shown]
	v_mov_b32_e32 v48, 0x1c00
	v_mov_b32_e32 v20, 0
	;; [unrolled: 1-line block ×8, first 2 shown]
	s_branch .LBB278_488
.LBB278_487:                            ;   in Loop: Header=BB278_488 Depth=1
	s_or_b64 exec, exec, s[0:1]
	v_add_f32_e32 v0, v0, v1
	v_add_f32_e32 v9, v9, v0
	;; [unrolled: 1-line block ×6, first 2 shown]
	;;#ASMSTART
	v_pk_mul_f16 v0, v40, v17;

	;;#ASMEND
	;;#ASMSTART
	v_pk_mul_f16 v1, v41, v6;

	;;#ASMEND
	;; [unrolled: 4-line block ×4, first 2 shown]
	v_add_f32_e32 v12, v44, v45
	;;#ASMSTART
	v_pk_add_f16 v0, v0, v1;

	;;#ASMEND
	v_add_f32_e32 v20, v20, v12
	;;#ASMSTART
	v_pk_add_f16 v0, v0, v6;

	;;#ASMEND
	v_add_f32_e32 v12, v46, v47
	;;#ASMSTART
	v_pk_add_f16 v0, v0, v10;

	;;#ASMEND
	v_add_f32_e32 v21, v21, v12
	v_lshrrev_b32_e32 v1, 16, v0
	v_and_b32_e32 v0, 0xffff, v0
	;;#ASMSTART
	v_cvt_f32_f16 v0, v0;
	;;#ASMEND
	;;#ASMSTART
	v_cvt_f32_f16 v1, v1;
	;;#ASMEND
	v_add_f32_e32 v12, v56, v57
	v_add_f32_e32 v0, v0, v1
	v_accvgpr_read_b32 v1, a7
	v_add_f32_e32 v36, v36, v0
	v_add_u32_e32 v1, 2, v1
	v_accvgpr_read_b32 v0, a3
	v_cmp_ge_i32_e32 vcc, v1, v0
	v_add_f32_e32 v8, v8, v12
	v_lshl_add_u64 v[2:3], v[2:3], 0, 8
	v_add_u32_e32 v38, 64, v38
	v_accvgpr_write_b32 a7, v1
	s_or_b64 s[4:5], vcc, s[4:5]
	v_add_u32_e32 v39, 0x100, v39
	s_andn2_b64 exec, exec, s[4:5]
	s_cbranch_execz .LBB278_950
.LBB278_488:                            ; =>This Inner Loop Header: Depth=1
	ds_read2_b64 v[22:25], v39 offset1:1
	ds_read2_b64 v[26:29], v39 offset0:2 offset1:3
	v_accvgpr_read_b32 v10, a6
                                        ; implicit-def: $sgpr18
	s_waitcnt lgkmcnt(1)
	;;#ASMSTART
	v_cvt_f16_f32 v0, v22;

	;;#ASMEND
	;;#ASMSTART
	v_cvt_f16_f32 v1, v23;

	;;#ASMEND
	;; [unrolled: 4-line block ×4, first 2 shown]
	s_waitcnt lgkmcnt(0)
	;;#ASMSTART
	v_cvt_f16_f32 v22, v26;

	;;#ASMEND
	;;#ASMSTART
	v_cvt_f16_f32 v23, v27;

	;;#ASMEND
	;; [unrolled: 4-line block ×4, first 2 shown]
	flat_load_dword v6, v[2:3]
	v_accvgpr_read_b32 v27, a5
	v_accvgpr_read_b32 v26, a4
	flat_load_dword v16, v[26:27]
	s_waitcnt vmcnt(0) lgkmcnt(0)
	v_mad_i64_i32 v[10:11], s[0:1], v6, v10, v[14:15]
	flat_load_dwordx2 v[24:25], v[10:11]
	s_mov_b64 s[0:1], 0
	s_waitcnt vmcnt(0) lgkmcnt(0)
	v_cmp_gt_i16_sdwa s[6:7], v24, s17 src0_sel:BYTE_0 src1_sel:DWORD
	s_and_saveexec_b64 s[8:9], s[6:7]
	s_xor_b64 s[6:7], exec, s[8:9]
	s_cbranch_execnz .LBB278_726
; %bb.489:                              ;   in Loop: Header=BB278_488 Depth=1
	s_or_saveexec_b64 s[6:7], s[6:7]
	v_mov_b32_e32 v26, s18
	s_xor_b64 exec, exec, s[6:7]
	s_cbranch_execnz .LBB278_729
.LBB278_490:                            ;   in Loop: Header=BB278_488 Depth=1
	s_or_b64 exec, exec, s[6:7]
	s_and_saveexec_b64 s[6:7], s[0:1]
	s_cbranch_execz .LBB278_492
.LBB278_491:                            ;   in Loop: Header=BB278_488 Depth=1
	v_and_b32_e32 v6, 7, v24
	v_ffbh_u32_e32 v6, v6
	v_bfe_u32 v12, v24, 3, 4
	v_min_u32_e32 v6, 32, v6
	v_subrev_u32_e32 v26, 28, v6
	v_sub_u32_e32 v6, 29, v6
	v_cmp_eq_u32_e32 vcc, 0, v12
	s_nop 1
	v_cndmask_b32_e32 v6, v12, v6, vcc
	v_cndmask_b32_e32 v12, 0, v26, vcc
	v_lshlrev_b64 v[26:27], v12, v[24:25]
	v_lshlrev_b32_e32 v12, 7, v26
	v_lshlrev_b32_e32 v26, 8, v24
	v_lshl_add_u32 v6, v6, 10, v48
	v_and_or_b32 v6, v26, s21, v6
	v_and_or_b32 v6, v12, s22, v6
	v_cvt_f32_f16_e32 v26, v6
.LBB278_492:                            ;   in Loop: Header=BB278_488 Depth=1
	s_or_b64 exec, exec, s[6:7]
	v_lshrrev_b16_e32 v6, 8, v24
	v_cmp_lt_i16_e32 vcc, s17, v6
	s_mov_b64 s[0:1], 0
                                        ; implicit-def: $sgpr18
	s_and_saveexec_b64 s[6:7], vcc
	s_xor_b64 s[6:7], exec, s[6:7]
	s_cbranch_execnz .LBB278_730
; %bb.493:                              ;   in Loop: Header=BB278_488 Depth=1
	s_or_saveexec_b64 s[6:7], s[6:7]
	v_mov_b32_e32 v28, s18
	s_xor_b64 exec, exec, s[6:7]
	s_cbranch_execnz .LBB278_733
.LBB278_494:                            ;   in Loop: Header=BB278_488 Depth=1
	s_or_b64 exec, exec, s[6:7]
	s_and_saveexec_b64 s[6:7], s[0:1]
	s_cbranch_execz .LBB278_496
.LBB278_495:                            ;   in Loop: Header=BB278_488 Depth=1
	v_and_b32_e32 v12, 7, v6
	v_ffbh_u32_e32 v28, v12
	v_min_u32_e32 v34, 32, v28
	v_subrev_u32_e32 v28, 28, v34
	v_bfe_u32 v27, v6, 3, 4
	v_lshlrev_b64 v[28:29], v28, v[6:7]
	v_sub_u32_e32 v29, 29, v34
	v_cmp_eq_u32_e32 vcc, 0, v27
	v_and_b32_e32 v28, 7, v28
	v_lshlrev_b32_e32 v6, 8, v6
	v_cndmask_b32_e32 v27, v27, v29, vcc
	v_lshl_add_u32 v27, v27, 10, v48
	v_cndmask_b32_e32 v12, v12, v28, vcc
	v_and_or_b32 v6, v6, s21, v27
	v_lshl_or_b32 v6, v12, 7, v6
	v_cvt_f32_f16_e32 v28, v6
.LBB278_496:                            ;   in Loop: Header=BB278_488 Depth=1
	s_or_b64 exec, exec, s[6:7]
	v_lshrrev_b32_e32 v6, 16, v24
	v_cmp_gt_i16_sdwa s[6:7], v6, s17 src0_sel:BYTE_0 src1_sel:DWORD
	s_mov_b64 s[0:1], 0
                                        ; implicit-def: $sgpr18
	s_and_saveexec_b64 s[8:9], s[6:7]
	s_xor_b64 s[6:7], exec, s[8:9]
	s_cbranch_execnz .LBB278_734
; %bb.497:                              ;   in Loop: Header=BB278_488 Depth=1
	s_or_saveexec_b64 s[6:7], s[6:7]
	v_mov_b32_e32 v27, s18
	s_xor_b64 exec, exec, s[6:7]
	s_cbranch_execnz .LBB278_737
.LBB278_498:                            ;   in Loop: Header=BB278_488 Depth=1
	s_or_b64 exec, exec, s[6:7]
	s_and_saveexec_b64 s[6:7], s[0:1]
	s_cbranch_execz .LBB278_500
.LBB278_499:                            ;   in Loop: Header=BB278_488 Depth=1
	v_bfe_u32 v12, v24, 16, 3
	v_ffbh_u32_e32 v29, v12
	v_bfe_u32 v27, v24, 19, 4
	v_min_u32_e32 v29, 32, v29
	v_subrev_u32_e32 v34, 28, v29
	v_sub_u32_e32 v29, 29, v29
	v_cmp_eq_u32_e32 vcc, 0, v27
	v_lshlrev_b64 v[50:51], v34, v[6:7]
	v_and_b32_e32 v34, 7, v50
	v_cndmask_b32_e32 v27, v27, v29, vcc
	v_lshlrev_b32_e32 v6, 8, v6
	v_lshl_add_u32 v27, v27, 10, v48
	v_cndmask_b32_e32 v12, v12, v34, vcc
	v_and_or_b32 v6, v6, s21, v27
	v_lshl_or_b32 v6, v12, 7, v6
	v_cvt_f32_f16_e32 v27, v6
.LBB278_500:                            ;   in Loop: Header=BB278_488 Depth=1
	s_or_b64 exec, exec, s[6:7]
	v_lshrrev_b32_e32 v6, 24, v24
	v_cmp_lt_i16_e32 vcc, s17, v6
	s_mov_b64 s[0:1], 0
                                        ; implicit-def: $sgpr18
	s_and_saveexec_b64 s[6:7], vcc
	s_xor_b64 s[6:7], exec, s[6:7]
	s_cbranch_execnz .LBB278_738
; %bb.501:                              ;   in Loop: Header=BB278_488 Depth=1
	s_or_saveexec_b64 s[6:7], s[6:7]
	v_mov_b32_e32 v29, s18
	s_xor_b64 exec, exec, s[6:7]
	s_cbranch_execnz .LBB278_741
.LBB278_502:                            ;   in Loop: Header=BB278_488 Depth=1
	s_or_b64 exec, exec, s[6:7]
	s_and_saveexec_b64 s[6:7], s[0:1]
	s_cbranch_execz .LBB278_504
.LBB278_503:                            ;   in Loop: Header=BB278_488 Depth=1
	v_bfe_u32 v12, v24, 24, 3
	v_ffbh_u32_e32 v29, v12
	v_bfe_u32 v24, v24, 27, 4
	v_min_u32_e32 v29, 32, v29
	v_subrev_u32_e32 v34, 28, v29
	v_sub_u32_e32 v29, 29, v29
	v_cmp_eq_u32_e32 vcc, 0, v24
	v_lshlrev_b64 v[50:51], v34, v[6:7]
	v_and_b32_e32 v34, 7, v50
	v_cndmask_b32_e32 v24, v24, v29, vcc
	v_lshlrev_b32_e32 v6, 8, v6
	v_lshl_add_u32 v24, v24, 10, v48
	v_cndmask_b32_e32 v12, v12, v34, vcc
	v_and_or_b32 v6, v6, s21, v24
	v_lshl_or_b32 v6, v12, 7, v6
	v_cvt_f32_f16_e32 v29, v6
.LBB278_504:                            ;   in Loop: Header=BB278_488 Depth=1
	s_or_b64 exec, exec, s[6:7]
	v_cmp_gt_i16_sdwa s[6:7], v25, s17 src0_sel:BYTE_0 src1_sel:DWORD
	s_mov_b64 s[0:1], 0
                                        ; implicit-def: $sgpr18
	s_and_saveexec_b64 s[8:9], s[6:7]
	s_xor_b64 s[6:7], exec, s[8:9]
	s_cbranch_execnz .LBB278_742
; %bb.505:                              ;   in Loop: Header=BB278_488 Depth=1
	s_or_saveexec_b64 s[6:7], s[6:7]
	v_mov_b32_e32 v24, s18
	s_xor_b64 exec, exec, s[6:7]
	s_cbranch_execnz .LBB278_745
.LBB278_506:                            ;   in Loop: Header=BB278_488 Depth=1
	s_or_b64 exec, exec, s[6:7]
	v_mov_b32_e32 v6, v25
	s_and_saveexec_b64 s[6:7], s[0:1]
	s_cbranch_execz .LBB278_508
.LBB278_507:                            ;   in Loop: Header=BB278_488 Depth=1
	v_and_b32_e32 v12, 7, v25
	v_ffbh_u32_e32 v12, v12
	v_bfe_u32 v24, v25, 3, 4
	v_min_u32_e32 v12, 32, v12
	v_subrev_u32_e32 v34, 28, v12
	v_sub_u32_e32 v12, 29, v12
	v_cmp_eq_u32_e32 vcc, 0, v24
	s_nop 1
	v_cndmask_b32_e32 v12, v24, v12, vcc
	v_cndmask_b32_e32 v24, 0, v34, vcc
	v_lshlrev_b64 v[50:51], v24, v[6:7]
	v_lshlrev_b32_e32 v34, 8, v25
	v_lshl_add_u32 v12, v12, 10, v48
	v_lshlrev_b32_e32 v24, 7, v50
	v_and_or_b32 v12, v34, s21, v12
	v_and_or_b32 v12, v24, s22, v12
	v_cvt_f32_f16_e32 v24, v12
.LBB278_508:                            ;   in Loop: Header=BB278_488 Depth=1
	s_or_b64 exec, exec, s[6:7]
	v_lshrrev_b16_e32 v6, 8, v6
	v_cmp_lt_i16_e32 vcc, s17, v6
	s_mov_b64 s[0:1], 0
                                        ; implicit-def: $sgpr18
	s_and_saveexec_b64 s[6:7], vcc
	s_xor_b64 s[6:7], exec, s[6:7]
	s_cbranch_execnz .LBB278_746
; %bb.509:                              ;   in Loop: Header=BB278_488 Depth=1
	s_or_saveexec_b64 s[6:7], s[6:7]
	v_mov_b32_e32 v49, s18
	s_xor_b64 exec, exec, s[6:7]
	s_cbranch_execnz .LBB278_749
.LBB278_510:                            ;   in Loop: Header=BB278_488 Depth=1
	s_or_b64 exec, exec, s[6:7]
	s_and_saveexec_b64 s[6:7], s[0:1]
	s_cbranch_execz .LBB278_512
.LBB278_511:                            ;   in Loop: Header=BB278_488 Depth=1
	v_and_b32_e32 v12, 7, v6
	v_ffbh_u32_e32 v49, v12
	v_bfe_u32 v34, v6, 3, 4
	v_min_u32_e32 v49, 32, v49
	v_subrev_u32_e32 v50, 28, v49
	v_sub_u32_e32 v49, 29, v49
	v_cmp_eq_u32_e32 vcc, 0, v34
	v_lshlrev_b64 v[50:51], v50, v[6:7]
	v_and_b32_e32 v50, 7, v50
	v_cndmask_b32_e32 v34, v34, v49, vcc
	v_lshlrev_b32_e32 v6, 8, v6
	v_lshl_add_u32 v34, v34, 10, v48
	v_cndmask_b32_e32 v12, v12, v50, vcc
	v_and_or_b32 v6, v6, s21, v34
	v_lshl_or_b32 v6, v12, 7, v6
	v_cvt_f32_f16_e32 v49, v6
.LBB278_512:                            ;   in Loop: Header=BB278_488 Depth=1
	s_or_b64 exec, exec, s[6:7]
	v_lshrrev_b32_e32 v6, 16, v25
	v_cmp_gt_i16_sdwa s[6:7], v6, s17 src0_sel:BYTE_0 src1_sel:DWORD
	s_mov_b64 s[0:1], 0
                                        ; implicit-def: $sgpr18
	s_and_saveexec_b64 s[8:9], s[6:7]
	s_xor_b64 s[6:7], exec, s[8:9]
	s_cbranch_execnz .LBB278_750
; %bb.513:                              ;   in Loop: Header=BB278_488 Depth=1
	s_or_saveexec_b64 s[6:7], s[6:7]
	v_mov_b32_e32 v50, s18
	s_xor_b64 exec, exec, s[6:7]
	s_cbranch_execnz .LBB278_753
.LBB278_514:                            ;   in Loop: Header=BB278_488 Depth=1
	s_or_b64 exec, exec, s[6:7]
	s_and_saveexec_b64 s[6:7], s[0:1]
	s_cbranch_execz .LBB278_516
.LBB278_515:                            ;   in Loop: Header=BB278_488 Depth=1
	v_bfe_u32 v12, v25, 16, 3
	v_ffbh_u32_e32 v50, v12
	v_min_u32_e32 v52, 32, v50
	v_subrev_u32_e32 v50, 28, v52
	v_bfe_u32 v34, v25, 19, 4
	v_lshlrev_b64 v[50:51], v50, v[6:7]
	v_sub_u32_e32 v51, 29, v52
	v_cmp_eq_u32_e32 vcc, 0, v34
	v_and_b32_e32 v50, 7, v50
	v_lshlrev_b32_e32 v6, 8, v6
	v_cndmask_b32_e32 v34, v34, v51, vcc
	v_lshl_add_u32 v34, v34, 10, v48
	v_cndmask_b32_e32 v12, v12, v50, vcc
	v_and_or_b32 v6, v6, s21, v34
	v_lshl_or_b32 v6, v12, 7, v6
	v_cvt_f32_f16_e32 v50, v6
.LBB278_516:                            ;   in Loop: Header=BB278_488 Depth=1
	s_or_b64 exec, exec, s[6:7]
	v_lshrrev_b32_e32 v6, 24, v25
	v_cmp_lt_i16_e32 vcc, s17, v6
	s_mov_b64 s[0:1], 0
                                        ; implicit-def: $sgpr18
	s_and_saveexec_b64 s[6:7], vcc
	s_xor_b64 s[6:7], exec, s[6:7]
	s_cbranch_execnz .LBB278_754
; %bb.517:                              ;   in Loop: Header=BB278_488 Depth=1
	s_or_saveexec_b64 s[6:7], s[6:7]
	v_mov_b32_e32 v51, s18
	s_xor_b64 exec, exec, s[6:7]
	s_cbranch_execnz .LBB278_757
.LBB278_518:                            ;   in Loop: Header=BB278_488 Depth=1
	s_or_b64 exec, exec, s[6:7]
	s_and_saveexec_b64 s[6:7], s[0:1]
	s_cbranch_execz .LBB278_520
.LBB278_519:                            ;   in Loop: Header=BB278_488 Depth=1
	v_bfe_u32 v12, v25, 24, 3
	v_ffbh_u32_e32 v34, v12
	v_bfe_u32 v25, v25, 27, 4
	v_min_u32_e32 v34, 32, v34
	v_subrev_u32_e32 v51, 28, v34
	v_sub_u32_e32 v34, 29, v34
	v_cmp_eq_u32_e32 vcc, 0, v25
	v_lshlrev_b64 v[52:53], v51, v[6:7]
	v_and_b32_e32 v51, 7, v52
	v_cndmask_b32_e32 v25, v25, v34, vcc
	v_lshlrev_b32_e32 v6, 8, v6
	v_lshl_add_u32 v25, v25, 10, v48
	v_cndmask_b32_e32 v12, v12, v51, vcc
	v_and_or_b32 v6, v6, s21, v25
	v_lshl_or_b32 v6, v12, 7, v6
	v_cvt_f32_f16_e32 v51, v6
.LBB278_520:                            ;   in Loop: Header=BB278_488 Depth=1
	s_or_b64 exec, exec, s[6:7]
	v_pk_mul_f32 v[28:29], v[16:17], v[28:29] op_sel_hi:[0,1]
	v_pk_mul_f32 v[26:27], v[16:17], v[26:27] op_sel_hi:[0,1]
	v_cvt_f16_f32_e32 v6, v29
	v_cvt_f16_f32_e32 v12, v28
	;; [unrolled: 1-line block ×4, first 2 shown]
	v_fma_mixlo_f16 v24, v16, v24, 0
	v_pack_b32_f16 v12, v12, v6
	v_accvgpr_read_b32 v27, a7
	v_pack_b32_f16 v25, v26, v25
	v_perm_b32 v6, v25, v12, s23
	v_perm_b32 v25, v25, v12, s24
	v_fma_mixlo_f16 v12, v16, v49, 0
	v_lshlrev_b32_e32 v12, 16, v12
	v_or_b32_sdwa v24, v12, v24 dst_sel:DWORD dst_unused:UNUSED_PAD src0_sel:DWORD src1_sel:WORD_0
	v_fma_mixlo_f16 v12, v16, v51, 0
	v_fma_mixlo_f16 v26, v16, v50, 0
	v_lshlrev_b32_e32 v12, 16, v12
	v_cmp_eq_u32_e32 vcc, v37, v27
	v_or_b32_sdwa v16, v12, v26 dst_sel:DWORD dst_unused:UNUSED_PAD src0_sel:DWORD src1_sel:WORD_0
	v_add_u32_e32 v55, 1, v38
	v_or_b32_e32 v54, 3, v38
	v_or_b32_e32 v53, 2, v38
	;; [unrolled: 1-line block ×6, first 2 shown]
	s_and_saveexec_b64 s[6:7], vcc
	s_cbranch_execz .LBB278_522
; %bb.521:                              ;   in Loop: Header=BB278_488 Depth=1
	v_lshrrev_b32_e32 v12, 16, v25
	v_cmp_lt_i32_e64 s[0:1], v55, v13
	v_accvgpr_read_b32 v28, a8
	s_nop 0
	v_cndmask_b32_e64 v12, 0, v12, s[0:1]
	v_cmp_lt_i32_e64 s[0:1], v38, v28
	s_nop 1
	v_cndmask_b32_e64 v25, 0, v25, s[0:1]
	v_perm_b32 v25, v12, v25, s25
	v_lshrrev_b32_e32 v12, 16, v6
	v_cmp_lt_i32_e64 s[0:1], v54, v13
	s_nop 1
	v_cndmask_b32_e64 v12, 0, v12, s[0:1]
	v_cmp_lt_i32_e64 s[0:1], v53, v28
	s_nop 1
	v_cndmask_b32_e64 v6, 0, v6, s[0:1]
	v_perm_b32 v6, v12, v6, s25
	v_lshrrev_b32_e32 v12, 16, v24
	v_cmp_lt_i32_e64 s[0:1], v52, v13
	;; [unrolled: 8-line block ×3, first 2 shown]
	s_nop 1
	v_cndmask_b32_e64 v12, 0, v12, s[0:1]
	v_cmp_lt_i32_e64 s[0:1], v49, v28
	s_nop 1
	v_cndmask_b32_e64 v16, 0, v26, s[0:1]
	v_perm_b32 v16, v12, v16, s25
.LBB278_522:                            ;   in Loop: Header=BB278_488 Depth=1
	s_or_b64 exec, exec, s[6:7]
	v_and_b32_e32 v0, 0xffff, v0
	v_lshl_or_b32 v40, v1, 16, v0
	v_and_b32_e32 v0, 0xffff, v17
	v_lshl_or_b32 v41, v18, 16, v0
	;; [unrolled: 2-line block ×4, first 2 shown]
	;;#ASMSTART
	v_pk_mul_f16 v0, v40, v25;

	;;#ASMEND
	;;#ASMSTART
	v_pk_mul_f16 v1, v41, v6;

	;;#ASMEND
	;;#ASMSTART
	v_pk_mul_f16 v6, v42, v24;

	;;#ASMEND
	;;#ASMSTART
	v_pk_mul_f16 v12, v43, v16;

	;;#ASMEND
	s_mov_b64 s[0:1], 0
	;;#ASMSTART
	v_pk_add_f16 v0, v0, v1;

	;;#ASMEND
                                        ; implicit-def: $sgpr18
	s_nop 0
	;;#ASMSTART
	v_pk_add_f16 v0, v0, v6;

	;;#ASMEND
	s_nop 0
	;;#ASMSTART
	v_pk_add_f16 v0, v0, v12;

	;;#ASMEND
	s_nop 0
	v_lshrrev_b32_e32 v1, 16, v0
	v_and_b32_e32 v0, 0xffff, v0
	;;#ASMSTART
	v_cvt_f32_f16 v44, v0;
	;;#ASMEND
	;;#ASMSTART
	v_cvt_f32_f16 v45, v1;
	;;#ASMEND
	v_accvgpr_read_b32 v0, a4
	flat_load_dwordx2 v[24:25], v[10:11] offset:512
	v_accvgpr_read_b32 v1, a5
	flat_load_dword v16, v[0:1]
	s_waitcnt vmcnt(0) lgkmcnt(0)
	v_cmp_gt_i16_sdwa s[6:7], v24, s17 src0_sel:BYTE_0 src1_sel:DWORD
	s_and_saveexec_b64 s[8:9], s[6:7]
	s_xor_b64 s[6:7], exec, s[8:9]
	s_cbranch_execnz .LBB278_758
; %bb.523:                              ;   in Loop: Header=BB278_488 Depth=1
	s_or_saveexec_b64 s[6:7], s[6:7]
	v_mov_b32_e32 v26, s18
	s_xor_b64 exec, exec, s[6:7]
	s_cbranch_execnz .LBB278_761
.LBB278_524:                            ;   in Loop: Header=BB278_488 Depth=1
	s_or_b64 exec, exec, s[6:7]
	s_and_saveexec_b64 s[6:7], s[0:1]
	s_cbranch_execz .LBB278_526
.LBB278_525:                            ;   in Loop: Header=BB278_488 Depth=1
	v_and_b32_e32 v0, 7, v24
	v_ffbh_u32_e32 v0, v0
	v_bfe_u32 v1, v24, 3, 4
	v_min_u32_e32 v0, 32, v0
	v_subrev_u32_e32 v6, 28, v0
	v_sub_u32_e32 v0, 29, v0
	v_cmp_eq_u32_e64 s[0:1], 0, v1
	s_nop 1
	v_cndmask_b32_e64 v12, v1, v0, s[0:1]
	v_cndmask_b32_e64 v0, 0, v6, s[0:1]
	v_lshlrev_b64 v[0:1], v0, v[24:25]
	v_lshlrev_b32_e32 v1, 8, v24
	v_lshl_add_u32 v6, v12, 10, v48
	v_lshlrev_b32_e32 v0, 7, v0
	v_and_or_b32 v1, v1, s21, v6
	v_and_or_b32 v0, v0, s22, v1
	v_cvt_f32_f16_e32 v26, v0
.LBB278_526:                            ;   in Loop: Header=BB278_488 Depth=1
	s_or_b64 exec, exec, s[6:7]
	v_lshrrev_b16_e32 v6, 8, v24
	v_cmp_lt_i16_e64 s[0:1], s17, v6
	s_mov_b64 s[6:7], 0
                                        ; implicit-def: $sgpr26
	s_and_saveexec_b64 s[8:9], s[0:1]
	s_xor_b64 s[8:9], exec, s[8:9]
	s_cbranch_execnz .LBB278_762
; %bb.527:                              ;   in Loop: Header=BB278_488 Depth=1
	s_or_saveexec_b64 s[8:9], s[8:9]
	v_mov_b32_e32 v28, s26
	s_xor_b64 exec, exec, s[8:9]
	s_cbranch_execnz .LBB278_765
.LBB278_528:                            ;   in Loop: Header=BB278_488 Depth=1
	s_or_b64 exec, exec, s[8:9]
	s_and_saveexec_b64 s[8:9], s[6:7]
	s_cbranch_execz .LBB278_530
.LBB278_529:                            ;   in Loop: Header=BB278_488 Depth=1
	v_and_b32_e32 v12, 7, v6
	v_ffbh_u32_e32 v0, v12
	v_min_u32_e32 v18, 32, v0
	v_subrev_u32_e32 v0, 28, v18
	v_bfe_u32 v17, v6, 3, 4
	v_lshlrev_b64 v[0:1], v0, v[6:7]
	v_sub_u32_e32 v1, 29, v18
	v_cmp_eq_u32_e64 s[0:1], 0, v17
	v_and_b32_e32 v0, 7, v0
	v_lshlrev_b32_e32 v6, 8, v6
	v_cndmask_b32_e64 v1, v17, v1, s[0:1]
	v_lshl_add_u32 v1, v1, 10, v48
	v_cndmask_b32_e64 v0, v12, v0, s[0:1]
	v_and_or_b32 v1, v6, s21, v1
	v_lshl_or_b32 v0, v0, 7, v1
	v_cvt_f32_f16_e32 v28, v0
.LBB278_530:                            ;   in Loop: Header=BB278_488 Depth=1
	s_or_b64 exec, exec, s[8:9]
	v_lshrrev_b32_e32 v6, 16, v24
	v_cmp_gt_i16_sdwa s[6:7], v6, s17 src0_sel:BYTE_0 src1_sel:DWORD
	s_mov_b64 s[0:1], 0
                                        ; implicit-def: $sgpr18
	s_and_saveexec_b64 s[8:9], s[6:7]
	s_xor_b64 s[6:7], exec, s[8:9]
	s_cbranch_execnz .LBB278_766
; %bb.531:                              ;   in Loop: Header=BB278_488 Depth=1
	s_or_saveexec_b64 s[6:7], s[6:7]
	v_mov_b32_e32 v27, s18
	s_xor_b64 exec, exec, s[6:7]
	s_cbranch_execnz .LBB278_769
.LBB278_532:                            ;   in Loop: Header=BB278_488 Depth=1
	s_or_b64 exec, exec, s[6:7]
	s_and_saveexec_b64 s[6:7], s[0:1]
	s_cbranch_execz .LBB278_534
.LBB278_533:                            ;   in Loop: Header=BB278_488 Depth=1
	v_bfe_u32 v12, v24, 16, 3
	v_ffbh_u32_e32 v0, v12
	v_min_u32_e32 v18, 32, v0
	v_subrev_u32_e32 v0, 28, v18
	v_bfe_u32 v17, v24, 19, 4
	v_lshlrev_b64 v[0:1], v0, v[6:7]
	v_sub_u32_e32 v1, 29, v18
	v_cmp_eq_u32_e64 s[0:1], 0, v17
	v_and_b32_e32 v0, 7, v0
	v_lshlrev_b32_e32 v6, 8, v6
	v_cndmask_b32_e64 v1, v17, v1, s[0:1]
	v_lshl_add_u32 v1, v1, 10, v48
	v_cndmask_b32_e64 v0, v12, v0, s[0:1]
	v_and_or_b32 v1, v6, s21, v1
	v_lshl_or_b32 v0, v0, 7, v1
	v_cvt_f32_f16_e32 v27, v0
.LBB278_534:                            ;   in Loop: Header=BB278_488 Depth=1
	s_or_b64 exec, exec, s[6:7]
	v_lshrrev_b32_e32 v6, 24, v24
	v_cmp_lt_i16_e64 s[0:1], s17, v6
	s_mov_b64 s[6:7], 0
                                        ; implicit-def: $sgpr26
	s_and_saveexec_b64 s[8:9], s[0:1]
	s_xor_b64 s[8:9], exec, s[8:9]
	s_cbranch_execnz .LBB278_770
; %bb.535:                              ;   in Loop: Header=BB278_488 Depth=1
	s_or_saveexec_b64 s[8:9], s[8:9]
	v_mov_b32_e32 v29, s26
	s_xor_b64 exec, exec, s[8:9]
	s_cbranch_execnz .LBB278_773
.LBB278_536:                            ;   in Loop: Header=BB278_488 Depth=1
	s_or_b64 exec, exec, s[8:9]
	s_and_saveexec_b64 s[8:9], s[6:7]
	s_cbranch_execz .LBB278_538
.LBB278_537:                            ;   in Loop: Header=BB278_488 Depth=1
	v_bfe_u32 v12, v24, 24, 3
	v_ffbh_u32_e32 v0, v12
	v_min_u32_e32 v18, 32, v0
	v_subrev_u32_e32 v0, 28, v18
	v_bfe_u32 v17, v24, 27, 4
	v_lshlrev_b64 v[0:1], v0, v[6:7]
	v_sub_u32_e32 v1, 29, v18
	v_cmp_eq_u32_e64 s[0:1], 0, v17
	v_and_b32_e32 v0, 7, v0
	v_lshlrev_b32_e32 v6, 8, v6
	v_cndmask_b32_e64 v1, v17, v1, s[0:1]
	v_lshl_add_u32 v1, v1, 10, v48
	v_cndmask_b32_e64 v0, v12, v0, s[0:1]
	v_and_or_b32 v1, v6, s21, v1
	v_lshl_or_b32 v0, v0, 7, v1
	v_cvt_f32_f16_e32 v29, v0
.LBB278_538:                            ;   in Loop: Header=BB278_488 Depth=1
	s_or_b64 exec, exec, s[8:9]
	v_cmp_gt_i16_sdwa s[6:7], v25, s17 src0_sel:BYTE_0 src1_sel:DWORD
	s_mov_b64 s[0:1], 0
                                        ; implicit-def: $sgpr18
	s_and_saveexec_b64 s[8:9], s[6:7]
	s_xor_b64 s[6:7], exec, s[8:9]
	s_cbranch_execnz .LBB278_774
; %bb.539:                              ;   in Loop: Header=BB278_488 Depth=1
	s_or_saveexec_b64 s[6:7], s[6:7]
	v_mov_b32_e32 v0, s18
	s_xor_b64 exec, exec, s[6:7]
	s_cbranch_execnz .LBB278_777
.LBB278_540:                            ;   in Loop: Header=BB278_488 Depth=1
	s_or_b64 exec, exec, s[6:7]
	v_mov_b32_e32 v6, v25
	s_and_saveexec_b64 s[6:7], s[0:1]
	s_cbranch_execz .LBB278_542
.LBB278_541:                            ;   in Loop: Header=BB278_488 Depth=1
	v_and_b32_e32 v0, 7, v25
	v_ffbh_u32_e32 v0, v0
	v_bfe_u32 v1, v25, 3, 4
	v_min_u32_e32 v0, 32, v0
	v_subrev_u32_e32 v12, 28, v0
	v_sub_u32_e32 v0, 29, v0
	v_cmp_eq_u32_e64 s[0:1], 0, v1
	s_nop 1
	v_cndmask_b32_e64 v17, v1, v0, s[0:1]
	v_cndmask_b32_e64 v0, 0, v12, s[0:1]
	v_lshlrev_b64 v[0:1], v0, v[6:7]
	v_lshlrev_b32_e32 v1, 8, v25
	v_lshl_add_u32 v12, v17, 10, v48
	v_lshlrev_b32_e32 v0, 7, v0
	v_and_or_b32 v1, v1, s21, v12
	v_and_or_b32 v0, v0, s22, v1
	v_cvt_f32_f16_e32 v0, v0
.LBB278_542:                            ;   in Loop: Header=BB278_488 Depth=1
	s_or_b64 exec, exec, s[6:7]
	v_lshrrev_b16_e32 v6, 8, v6
	v_cmp_lt_i16_e64 s[0:1], s17, v6
	s_mov_b64 s[6:7], 0
                                        ; implicit-def: $sgpr26
	s_and_saveexec_b64 s[8:9], s[0:1]
	s_xor_b64 s[8:9], exec, s[8:9]
	s_cbranch_execnz .LBB278_778
; %bb.543:                              ;   in Loop: Header=BB278_488 Depth=1
	s_or_saveexec_b64 s[8:9], s[8:9]
	v_mov_b32_e32 v1, s26
	s_xor_b64 exec, exec, s[8:9]
	s_cbranch_execnz .LBB278_781
.LBB278_544:                            ;   in Loop: Header=BB278_488 Depth=1
	s_or_b64 exec, exec, s[8:9]
	s_and_saveexec_b64 s[8:9], s[6:7]
	s_cbranch_execz .LBB278_546
.LBB278_545:                            ;   in Loop: Header=BB278_488 Depth=1
	v_and_b32_e32 v1, 7, v6
	v_ffbh_u32_e32 v17, v1
	v_bfe_u32 v12, v6, 3, 4
	v_min_u32_e32 v17, 32, v17
	v_subrev_u32_e32 v18, 28, v17
	v_sub_u32_e32 v17, 29, v17
	v_cmp_eq_u32_e64 s[0:1], 0, v12
	v_lshlrev_b64 v[22:23], v18, v[6:7]
	v_and_b32_e32 v18, 7, v22
	v_cndmask_b32_e64 v12, v12, v17, s[0:1]
	v_lshlrev_b32_e32 v6, 8, v6
	v_lshl_add_u32 v12, v12, 10, v48
	v_cndmask_b32_e64 v1, v1, v18, s[0:1]
	v_and_or_b32 v6, v6, s21, v12
	v_lshl_or_b32 v1, v1, 7, v6
	v_cvt_f32_f16_e32 v1, v1
.LBB278_546:                            ;   in Loop: Header=BB278_488 Depth=1
	s_or_b64 exec, exec, s[8:9]
	v_lshrrev_b32_e32 v6, 16, v25
	v_cmp_gt_i16_sdwa s[6:7], v6, s17 src0_sel:BYTE_0 src1_sel:DWORD
	s_mov_b64 s[0:1], 0
                                        ; implicit-def: $sgpr18
	s_and_saveexec_b64 s[8:9], s[6:7]
	s_xor_b64 s[6:7], exec, s[8:9]
	s_cbranch_execnz .LBB278_782
; %bb.547:                              ;   in Loop: Header=BB278_488 Depth=1
	s_or_saveexec_b64 s[6:7], s[6:7]
	v_mov_b32_e32 v17, s18
	s_xor_b64 exec, exec, s[6:7]
	s_cbranch_execnz .LBB278_785
.LBB278_548:                            ;   in Loop: Header=BB278_488 Depth=1
	s_or_b64 exec, exec, s[6:7]
	s_and_saveexec_b64 s[6:7], s[0:1]
	s_cbranch_execz .LBB278_550
.LBB278_549:                            ;   in Loop: Header=BB278_488 Depth=1
	v_bfe_u32 v12, v25, 16, 3
	v_ffbh_u32_e32 v18, v12
	v_bfe_u32 v17, v25, 19, 4
	v_min_u32_e32 v18, 32, v18
	v_subrev_u32_e32 v22, 28, v18
	v_sub_u32_e32 v18, 29, v18
	v_cmp_eq_u32_e64 s[0:1], 0, v17
	v_lshlrev_b64 v[22:23], v22, v[6:7]
	v_and_b32_e32 v22, 7, v22
	v_cndmask_b32_e64 v17, v17, v18, s[0:1]
	v_lshlrev_b32_e32 v6, 8, v6
	v_lshl_add_u32 v17, v17, 10, v48
	v_cndmask_b32_e64 v12, v12, v22, s[0:1]
	v_and_or_b32 v6, v6, s21, v17
	v_lshl_or_b32 v6, v12, 7, v6
	v_cvt_f32_f16_e32 v17, v6
.LBB278_550:                            ;   in Loop: Header=BB278_488 Depth=1
	s_or_b64 exec, exec, s[6:7]
	v_lshrrev_b32_e32 v6, 24, v25
	v_cmp_lt_i16_e64 s[0:1], s17, v6
	s_mov_b64 s[6:7], 0
                                        ; implicit-def: $sgpr26
	s_and_saveexec_b64 s[8:9], s[0:1]
	s_xor_b64 s[8:9], exec, s[8:9]
	s_cbranch_execnz .LBB278_786
; %bb.551:                              ;   in Loop: Header=BB278_488 Depth=1
	s_or_saveexec_b64 s[8:9], s[8:9]
	v_mov_b32_e32 v22, s26
	s_xor_b64 exec, exec, s[8:9]
	s_cbranch_execnz .LBB278_789
.LBB278_552:                            ;   in Loop: Header=BB278_488 Depth=1
	s_or_b64 exec, exec, s[8:9]
	s_and_saveexec_b64 s[8:9], s[6:7]
	s_cbranch_execz .LBB278_554
.LBB278_553:                            ;   in Loop: Header=BB278_488 Depth=1
	v_bfe_u32 v12, v25, 24, 3
	v_ffbh_u32_e32 v22, v12
	v_min_u32_e32 v24, 32, v22
	v_subrev_u32_e32 v22, 28, v24
	v_bfe_u32 v18, v25, 27, 4
	v_lshlrev_b64 v[22:23], v22, v[6:7]
	v_sub_u32_e32 v23, 29, v24
	v_cmp_eq_u32_e64 s[0:1], 0, v18
	v_and_b32_e32 v22, 7, v22
	v_lshlrev_b32_e32 v6, 8, v6
	v_cndmask_b32_e64 v18, v18, v23, s[0:1]
	v_lshl_add_u32 v18, v18, 10, v48
	v_cndmask_b32_e64 v12, v12, v22, s[0:1]
	v_and_or_b32 v6, v6, s21, v18
	v_lshl_or_b32 v6, v12, 7, v6
	v_cvt_f32_f16_e32 v22, v6
.LBB278_554:                            ;   in Loop: Header=BB278_488 Depth=1
	s_or_b64 exec, exec, s[8:9]
	v_pk_mul_f32 v[24:25], v[16:17], v[28:29] op_sel_hi:[0,1]
	v_pk_mul_f32 v[26:27], v[16:17], v[26:27] op_sel_hi:[0,1]
	v_cvt_f16_f32_e32 v6, v25
	v_cvt_f16_f32_e32 v12, v24
	;; [unrolled: 1-line block ×4, first 2 shown]
	v_fma_mixlo_f16 v1, v16, v1, 0
	v_lshlrev_b32_e32 v1, 16, v1
	v_fma_mixlo_f16 v0, v16, v0, 0
	v_or_b32_sdwa v0, v1, v0 dst_sel:DWORD dst_unused:UNUSED_PAD src0_sel:DWORD src1_sel:WORD_0
	v_fma_mixlo_f16 v1, v16, v22, 0
	v_pack_b32_f16 v12, v12, v6
	v_pack_b32_f16 v18, v23, v18
	v_fma_mixlo_f16 v17, v16, v17, 0
	v_lshlrev_b32_e32 v1, 16, v1
	v_perm_b32 v6, v18, v12, s23
	v_perm_b32 v18, v18, v12, s24
	v_or_b32_sdwa v1, v1, v17 dst_sel:DWORD dst_unused:UNUSED_PAD src0_sel:DWORD src1_sel:WORD_0
	s_and_saveexec_b64 s[6:7], vcc
	s_cbranch_execz .LBB278_556
; %bb.555:                              ;   in Loop: Header=BB278_488 Depth=1
	v_lshrrev_b32_e32 v12, 16, v18
	v_cmp_lt_i32_e64 s[0:1], v55, v13
	v_accvgpr_read_b32 v22, a8
	v_lshrrev_b32_e32 v1, 16, v1
	v_cndmask_b32_e64 v12, 0, v12, s[0:1]
	v_cmp_lt_i32_e64 s[0:1], v38, v22
	s_nop 1
	v_cndmask_b32_e64 v16, 0, v18, s[0:1]
	v_perm_b32 v18, v12, v16, s25
	v_lshrrev_b32_e32 v12, 16, v6
	v_cmp_lt_i32_e64 s[0:1], v54, v13
	s_nop 1
	v_cndmask_b32_e64 v12, 0, v12, s[0:1]
	v_cmp_lt_i32_e64 s[0:1], v53, v22
	s_nop 1
	v_cndmask_b32_e64 v6, 0, v6, s[0:1]
	v_perm_b32 v6, v12, v6, s25
	v_lshrrev_b32_e32 v12, 16, v0
	v_cmp_lt_i32_e64 s[0:1], v52, v13
	s_nop 1
	v_cndmask_b32_e64 v12, 0, v12, s[0:1]
	v_cmp_lt_i32_e64 s[0:1], v51, v22
	s_nop 1
	v_cndmask_b32_e64 v0, 0, v0, s[0:1]
	v_cmp_lt_i32_e64 s[0:1], v50, v13
	v_perm_b32 v0, v12, v0, s25
	s_nop 0
	v_cndmask_b32_e64 v1, 0, v1, s[0:1]
	v_cmp_lt_i32_e64 s[0:1], v49, v22
	s_nop 1
	v_cndmask_b32_e64 v12, 0, v17, s[0:1]
	v_perm_b32 v1, v1, v12, s25
.LBB278_556:                            ;   in Loop: Header=BB278_488 Depth=1
	s_or_b64 exec, exec, s[6:7]
	;;#ASMSTART
	v_pk_mul_f16 v12, v40, v18;

	;;#ASMEND
	;;#ASMSTART
	v_pk_mul_f16 v6, v41, v6;

	;;#ASMEND
	;; [unrolled: 4-line block ×4, first 2 shown]
	s_mov_b64 s[0:1], 0
	;;#ASMSTART
	v_pk_add_f16 v6, v12, v6;

	;;#ASMEND
                                        ; implicit-def: $sgpr18
	s_nop 0
	;;#ASMSTART
	v_pk_add_f16 v0, v6, v0;

	;;#ASMEND
	s_nop 0
	;;#ASMSTART
	v_pk_add_f16 v0, v0, v1;

	;;#ASMEND
	s_nop 0
	v_lshrrev_b32_e32 v1, 16, v0
	v_and_b32_e32 v0, 0xffff, v0
	;;#ASMSTART
	v_cvt_f32_f16 v46, v0;
	;;#ASMEND
	;;#ASMSTART
	v_cvt_f32_f16 v47, v1;
	;;#ASMEND
	v_accvgpr_read_b32 v0, a4
	flat_load_dwordx2 v[24:25], v[10:11] offset:1024
	v_accvgpr_read_b32 v1, a5
	flat_load_dword v16, v[0:1]
	s_waitcnt vmcnt(0) lgkmcnt(0)
	v_cmp_gt_i16_sdwa s[6:7], v24, s17 src0_sel:BYTE_0 src1_sel:DWORD
	s_and_saveexec_b64 s[8:9], s[6:7]
	s_xor_b64 s[6:7], exec, s[8:9]
	s_cbranch_execnz .LBB278_790
; %bb.557:                              ;   in Loop: Header=BB278_488 Depth=1
	s_or_saveexec_b64 s[6:7], s[6:7]
	v_mov_b32_e32 v26, s18
	s_xor_b64 exec, exec, s[6:7]
	s_cbranch_execnz .LBB278_793
.LBB278_558:                            ;   in Loop: Header=BB278_488 Depth=1
	s_or_b64 exec, exec, s[6:7]
	s_and_saveexec_b64 s[6:7], s[0:1]
	s_cbranch_execz .LBB278_560
.LBB278_559:                            ;   in Loop: Header=BB278_488 Depth=1
	v_and_b32_e32 v0, 7, v24
	v_ffbh_u32_e32 v0, v0
	v_bfe_u32 v1, v24, 3, 4
	v_min_u32_e32 v0, 32, v0
	v_subrev_u32_e32 v6, 28, v0
	v_sub_u32_e32 v0, 29, v0
	v_cmp_eq_u32_e64 s[0:1], 0, v1
	s_nop 1
	v_cndmask_b32_e64 v12, v1, v0, s[0:1]
	v_cndmask_b32_e64 v0, 0, v6, s[0:1]
	v_lshlrev_b64 v[0:1], v0, v[24:25]
	v_lshlrev_b32_e32 v1, 8, v24
	v_lshl_add_u32 v6, v12, 10, v48
	v_lshlrev_b32_e32 v0, 7, v0
	v_and_or_b32 v1, v1, s21, v6
	v_and_or_b32 v0, v0, s22, v1
	v_cvt_f32_f16_e32 v26, v0
.LBB278_560:                            ;   in Loop: Header=BB278_488 Depth=1
	s_or_b64 exec, exec, s[6:7]
	v_lshrrev_b16_e32 v6, 8, v24
	v_cmp_lt_i16_e64 s[0:1], s17, v6
	s_mov_b64 s[6:7], 0
                                        ; implicit-def: $sgpr26
	s_and_saveexec_b64 s[8:9], s[0:1]
	s_xor_b64 s[8:9], exec, s[8:9]
	s_cbranch_execnz .LBB278_794
; %bb.561:                              ;   in Loop: Header=BB278_488 Depth=1
	s_or_saveexec_b64 s[8:9], s[8:9]
	v_mov_b32_e32 v28, s26
	s_xor_b64 exec, exec, s[8:9]
	s_cbranch_execnz .LBB278_797
.LBB278_562:                            ;   in Loop: Header=BB278_488 Depth=1
	s_or_b64 exec, exec, s[8:9]
	s_and_saveexec_b64 s[8:9], s[6:7]
	s_cbranch_execz .LBB278_564
.LBB278_563:                            ;   in Loop: Header=BB278_488 Depth=1
	v_and_b32_e32 v12, 7, v6
	v_ffbh_u32_e32 v0, v12
	v_min_u32_e32 v18, 32, v0
	v_subrev_u32_e32 v0, 28, v18
	v_bfe_u32 v17, v6, 3, 4
	v_lshlrev_b64 v[0:1], v0, v[6:7]
	v_sub_u32_e32 v1, 29, v18
	v_cmp_eq_u32_e64 s[0:1], 0, v17
	v_and_b32_e32 v0, 7, v0
	v_lshlrev_b32_e32 v6, 8, v6
	v_cndmask_b32_e64 v1, v17, v1, s[0:1]
	v_lshl_add_u32 v1, v1, 10, v48
	v_cndmask_b32_e64 v0, v12, v0, s[0:1]
	v_and_or_b32 v1, v6, s21, v1
	v_lshl_or_b32 v0, v0, 7, v1
	v_cvt_f32_f16_e32 v28, v0
.LBB278_564:                            ;   in Loop: Header=BB278_488 Depth=1
	s_or_b64 exec, exec, s[8:9]
	v_lshrrev_b32_e32 v6, 16, v24
	v_cmp_gt_i16_sdwa s[6:7], v6, s17 src0_sel:BYTE_0 src1_sel:DWORD
	s_mov_b64 s[0:1], 0
                                        ; implicit-def: $sgpr18
	s_and_saveexec_b64 s[8:9], s[6:7]
	s_xor_b64 s[6:7], exec, s[8:9]
	s_cbranch_execnz .LBB278_798
; %bb.565:                              ;   in Loop: Header=BB278_488 Depth=1
	s_or_saveexec_b64 s[6:7], s[6:7]
	v_mov_b32_e32 v27, s18
	s_xor_b64 exec, exec, s[6:7]
	s_cbranch_execnz .LBB278_801
.LBB278_566:                            ;   in Loop: Header=BB278_488 Depth=1
	s_or_b64 exec, exec, s[6:7]
	s_and_saveexec_b64 s[6:7], s[0:1]
	s_cbranch_execz .LBB278_568
.LBB278_567:                            ;   in Loop: Header=BB278_488 Depth=1
	v_bfe_u32 v12, v24, 16, 3
	v_ffbh_u32_e32 v0, v12
	v_min_u32_e32 v18, 32, v0
	v_subrev_u32_e32 v0, 28, v18
	v_bfe_u32 v17, v24, 19, 4
	v_lshlrev_b64 v[0:1], v0, v[6:7]
	v_sub_u32_e32 v1, 29, v18
	v_cmp_eq_u32_e64 s[0:1], 0, v17
	v_and_b32_e32 v0, 7, v0
	v_lshlrev_b32_e32 v6, 8, v6
	v_cndmask_b32_e64 v1, v17, v1, s[0:1]
	v_lshl_add_u32 v1, v1, 10, v48
	v_cndmask_b32_e64 v0, v12, v0, s[0:1]
	v_and_or_b32 v1, v6, s21, v1
	v_lshl_or_b32 v0, v0, 7, v1
	v_cvt_f32_f16_e32 v27, v0
.LBB278_568:                            ;   in Loop: Header=BB278_488 Depth=1
	s_or_b64 exec, exec, s[6:7]
	v_lshrrev_b32_e32 v6, 24, v24
	v_cmp_lt_i16_e64 s[0:1], s17, v6
	s_mov_b64 s[6:7], 0
                                        ; implicit-def: $sgpr26
	s_and_saveexec_b64 s[8:9], s[0:1]
	s_xor_b64 s[8:9], exec, s[8:9]
	s_cbranch_execnz .LBB278_802
; %bb.569:                              ;   in Loop: Header=BB278_488 Depth=1
	s_or_saveexec_b64 s[8:9], s[8:9]
	v_mov_b32_e32 v29, s26
	s_xor_b64 exec, exec, s[8:9]
	s_cbranch_execnz .LBB278_805
.LBB278_570:                            ;   in Loop: Header=BB278_488 Depth=1
	s_or_b64 exec, exec, s[8:9]
	s_and_saveexec_b64 s[8:9], s[6:7]
	s_cbranch_execz .LBB278_572
.LBB278_571:                            ;   in Loop: Header=BB278_488 Depth=1
	v_bfe_u32 v12, v24, 24, 3
	v_ffbh_u32_e32 v0, v12
	v_min_u32_e32 v18, 32, v0
	v_subrev_u32_e32 v0, 28, v18
	v_bfe_u32 v17, v24, 27, 4
	v_lshlrev_b64 v[0:1], v0, v[6:7]
	v_sub_u32_e32 v1, 29, v18
	v_cmp_eq_u32_e64 s[0:1], 0, v17
	v_and_b32_e32 v0, 7, v0
	v_lshlrev_b32_e32 v6, 8, v6
	v_cndmask_b32_e64 v1, v17, v1, s[0:1]
	v_lshl_add_u32 v1, v1, 10, v48
	v_cndmask_b32_e64 v0, v12, v0, s[0:1]
	v_and_or_b32 v1, v6, s21, v1
	v_lshl_or_b32 v0, v0, 7, v1
	v_cvt_f32_f16_e32 v29, v0
.LBB278_572:                            ;   in Loop: Header=BB278_488 Depth=1
	s_or_b64 exec, exec, s[8:9]
	v_cmp_gt_i16_sdwa s[6:7], v25, s17 src0_sel:BYTE_0 src1_sel:DWORD
	s_mov_b64 s[0:1], 0
                                        ; implicit-def: $sgpr18
	s_and_saveexec_b64 s[8:9], s[6:7]
	s_xor_b64 s[6:7], exec, s[8:9]
	s_cbranch_execnz .LBB278_806
; %bb.573:                              ;   in Loop: Header=BB278_488 Depth=1
	s_or_saveexec_b64 s[6:7], s[6:7]
	v_mov_b32_e32 v0, s18
	s_xor_b64 exec, exec, s[6:7]
	s_cbranch_execnz .LBB278_809
.LBB278_574:                            ;   in Loop: Header=BB278_488 Depth=1
	s_or_b64 exec, exec, s[6:7]
	v_mov_b32_e32 v6, v25
	s_and_saveexec_b64 s[6:7], s[0:1]
	s_cbranch_execz .LBB278_576
.LBB278_575:                            ;   in Loop: Header=BB278_488 Depth=1
	v_and_b32_e32 v0, 7, v25
	v_ffbh_u32_e32 v0, v0
	v_bfe_u32 v1, v25, 3, 4
	v_min_u32_e32 v0, 32, v0
	v_subrev_u32_e32 v12, 28, v0
	v_sub_u32_e32 v0, 29, v0
	v_cmp_eq_u32_e64 s[0:1], 0, v1
	s_nop 1
	v_cndmask_b32_e64 v17, v1, v0, s[0:1]
	v_cndmask_b32_e64 v0, 0, v12, s[0:1]
	v_lshlrev_b64 v[0:1], v0, v[6:7]
	v_lshlrev_b32_e32 v1, 8, v25
	v_lshl_add_u32 v12, v17, 10, v48
	v_lshlrev_b32_e32 v0, 7, v0
	v_and_or_b32 v1, v1, s21, v12
	v_and_or_b32 v0, v0, s22, v1
	v_cvt_f32_f16_e32 v0, v0
.LBB278_576:                            ;   in Loop: Header=BB278_488 Depth=1
	s_or_b64 exec, exec, s[6:7]
	v_lshrrev_b16_e32 v6, 8, v6
	v_cmp_lt_i16_e64 s[0:1], s17, v6
	s_mov_b64 s[6:7], 0
                                        ; implicit-def: $sgpr26
	s_and_saveexec_b64 s[8:9], s[0:1]
	s_xor_b64 s[8:9], exec, s[8:9]
	s_cbranch_execnz .LBB278_810
; %bb.577:                              ;   in Loop: Header=BB278_488 Depth=1
	s_or_saveexec_b64 s[8:9], s[8:9]
	v_mov_b32_e32 v1, s26
	s_xor_b64 exec, exec, s[8:9]
	s_cbranch_execnz .LBB278_813
.LBB278_578:                            ;   in Loop: Header=BB278_488 Depth=1
	s_or_b64 exec, exec, s[8:9]
	s_and_saveexec_b64 s[8:9], s[6:7]
	s_cbranch_execz .LBB278_580
.LBB278_579:                            ;   in Loop: Header=BB278_488 Depth=1
	v_and_b32_e32 v1, 7, v6
	v_ffbh_u32_e32 v17, v1
	v_bfe_u32 v12, v6, 3, 4
	v_min_u32_e32 v17, 32, v17
	v_subrev_u32_e32 v18, 28, v17
	v_sub_u32_e32 v17, 29, v17
	v_cmp_eq_u32_e64 s[0:1], 0, v12
	v_lshlrev_b64 v[22:23], v18, v[6:7]
	v_and_b32_e32 v18, 7, v22
	v_cndmask_b32_e64 v12, v12, v17, s[0:1]
	v_lshlrev_b32_e32 v6, 8, v6
	v_lshl_add_u32 v12, v12, 10, v48
	v_cndmask_b32_e64 v1, v1, v18, s[0:1]
	v_and_or_b32 v6, v6, s21, v12
	v_lshl_or_b32 v1, v1, 7, v6
	v_cvt_f32_f16_e32 v1, v1
.LBB278_580:                            ;   in Loop: Header=BB278_488 Depth=1
	s_or_b64 exec, exec, s[8:9]
	v_lshrrev_b32_e32 v6, 16, v25
	v_cmp_gt_i16_sdwa s[6:7], v6, s17 src0_sel:BYTE_0 src1_sel:DWORD
	s_mov_b64 s[0:1], 0
                                        ; implicit-def: $sgpr18
	s_and_saveexec_b64 s[8:9], s[6:7]
	s_xor_b64 s[6:7], exec, s[8:9]
	s_cbranch_execnz .LBB278_814
; %bb.581:                              ;   in Loop: Header=BB278_488 Depth=1
	s_or_saveexec_b64 s[6:7], s[6:7]
	v_mov_b32_e32 v17, s18
	s_xor_b64 exec, exec, s[6:7]
	s_cbranch_execnz .LBB278_817
.LBB278_582:                            ;   in Loop: Header=BB278_488 Depth=1
	s_or_b64 exec, exec, s[6:7]
	s_and_saveexec_b64 s[6:7], s[0:1]
	s_cbranch_execz .LBB278_584
.LBB278_583:                            ;   in Loop: Header=BB278_488 Depth=1
	v_bfe_u32 v12, v25, 16, 3
	v_ffbh_u32_e32 v18, v12
	v_bfe_u32 v17, v25, 19, 4
	v_min_u32_e32 v18, 32, v18
	v_subrev_u32_e32 v22, 28, v18
	v_sub_u32_e32 v18, 29, v18
	v_cmp_eq_u32_e64 s[0:1], 0, v17
	v_lshlrev_b64 v[22:23], v22, v[6:7]
	v_and_b32_e32 v22, 7, v22
	v_cndmask_b32_e64 v17, v17, v18, s[0:1]
	v_lshlrev_b32_e32 v6, 8, v6
	v_lshl_add_u32 v17, v17, 10, v48
	v_cndmask_b32_e64 v12, v12, v22, s[0:1]
	v_and_or_b32 v6, v6, s21, v17
	v_lshl_or_b32 v6, v12, 7, v6
	v_cvt_f32_f16_e32 v17, v6
.LBB278_584:                            ;   in Loop: Header=BB278_488 Depth=1
	s_or_b64 exec, exec, s[6:7]
	v_lshrrev_b32_e32 v6, 24, v25
	v_cmp_lt_i16_e64 s[0:1], s17, v6
	s_mov_b64 s[6:7], 0
                                        ; implicit-def: $sgpr26
	s_and_saveexec_b64 s[8:9], s[0:1]
	s_xor_b64 s[8:9], exec, s[8:9]
	s_cbranch_execnz .LBB278_818
; %bb.585:                              ;   in Loop: Header=BB278_488 Depth=1
	s_or_saveexec_b64 s[8:9], s[8:9]
	v_mov_b32_e32 v22, s26
	s_xor_b64 exec, exec, s[8:9]
	s_cbranch_execnz .LBB278_821
.LBB278_586:                            ;   in Loop: Header=BB278_488 Depth=1
	s_or_b64 exec, exec, s[8:9]
	s_and_saveexec_b64 s[8:9], s[6:7]
	s_cbranch_execz .LBB278_588
.LBB278_587:                            ;   in Loop: Header=BB278_488 Depth=1
	v_bfe_u32 v12, v25, 24, 3
	v_ffbh_u32_e32 v22, v12
	v_min_u32_e32 v24, 32, v22
	v_subrev_u32_e32 v22, 28, v24
	v_bfe_u32 v18, v25, 27, 4
	v_lshlrev_b64 v[22:23], v22, v[6:7]
	v_sub_u32_e32 v23, 29, v24
	v_cmp_eq_u32_e64 s[0:1], 0, v18
	v_and_b32_e32 v22, 7, v22
	v_lshlrev_b32_e32 v6, 8, v6
	v_cndmask_b32_e64 v18, v18, v23, s[0:1]
	v_lshl_add_u32 v18, v18, 10, v48
	v_cndmask_b32_e64 v12, v12, v22, s[0:1]
	v_and_or_b32 v6, v6, s21, v18
	v_lshl_or_b32 v6, v12, 7, v6
	v_cvt_f32_f16_e32 v22, v6
.LBB278_588:                            ;   in Loop: Header=BB278_488 Depth=1
	s_or_b64 exec, exec, s[8:9]
	v_pk_mul_f32 v[24:25], v[16:17], v[28:29] op_sel_hi:[0,1]
	v_pk_mul_f32 v[26:27], v[16:17], v[26:27] op_sel_hi:[0,1]
	v_cvt_f16_f32_e32 v6, v25
	v_cvt_f16_f32_e32 v12, v24
	;; [unrolled: 1-line block ×4, first 2 shown]
	v_fma_mixlo_f16 v1, v16, v1, 0
	v_lshlrev_b32_e32 v1, 16, v1
	v_fma_mixlo_f16 v0, v16, v0, 0
	v_or_b32_sdwa v0, v1, v0 dst_sel:DWORD dst_unused:UNUSED_PAD src0_sel:DWORD src1_sel:WORD_0
	v_fma_mixlo_f16 v1, v16, v22, 0
	v_pack_b32_f16 v12, v12, v6
	v_pack_b32_f16 v18, v23, v18
	v_fma_mixlo_f16 v17, v16, v17, 0
	v_lshlrev_b32_e32 v1, 16, v1
	v_perm_b32 v6, v18, v12, s23
	v_perm_b32 v18, v18, v12, s24
	v_or_b32_sdwa v1, v1, v17 dst_sel:DWORD dst_unused:UNUSED_PAD src0_sel:DWORD src1_sel:WORD_0
	s_and_saveexec_b64 s[6:7], vcc
	s_cbranch_execz .LBB278_590
; %bb.589:                              ;   in Loop: Header=BB278_488 Depth=1
	v_lshrrev_b32_e32 v12, 16, v18
	v_cmp_lt_i32_e64 s[0:1], v55, v13
	v_accvgpr_read_b32 v22, a8
	v_lshrrev_b32_e32 v1, 16, v1
	v_cndmask_b32_e64 v12, 0, v12, s[0:1]
	v_cmp_lt_i32_e64 s[0:1], v38, v22
	s_nop 1
	v_cndmask_b32_e64 v16, 0, v18, s[0:1]
	v_perm_b32 v18, v12, v16, s25
	v_lshrrev_b32_e32 v12, 16, v6
	v_cmp_lt_i32_e64 s[0:1], v54, v13
	s_nop 1
	v_cndmask_b32_e64 v12, 0, v12, s[0:1]
	v_cmp_lt_i32_e64 s[0:1], v53, v22
	s_nop 1
	v_cndmask_b32_e64 v6, 0, v6, s[0:1]
	v_perm_b32 v6, v12, v6, s25
	v_lshrrev_b32_e32 v12, 16, v0
	v_cmp_lt_i32_e64 s[0:1], v52, v13
	s_nop 1
	v_cndmask_b32_e64 v12, 0, v12, s[0:1]
	v_cmp_lt_i32_e64 s[0:1], v51, v22
	s_nop 1
	v_cndmask_b32_e64 v0, 0, v0, s[0:1]
	v_cmp_lt_i32_e64 s[0:1], v50, v13
	v_perm_b32 v0, v12, v0, s25
	s_nop 0
	v_cndmask_b32_e64 v1, 0, v1, s[0:1]
	v_cmp_lt_i32_e64 s[0:1], v49, v22
	s_nop 1
	v_cndmask_b32_e64 v12, 0, v17, s[0:1]
	v_perm_b32 v1, v1, v12, s25
.LBB278_590:                            ;   in Loop: Header=BB278_488 Depth=1
	s_or_b64 exec, exec, s[6:7]
	;;#ASMSTART
	v_pk_mul_f16 v12, v40, v18;

	;;#ASMEND
	;;#ASMSTART
	v_pk_mul_f16 v6, v41, v6;

	;;#ASMEND
	;; [unrolled: 4-line block ×4, first 2 shown]
	s_mov_b64 s[0:1], 0
	;;#ASMSTART
	v_pk_add_f16 v6, v12, v6;

	;;#ASMEND
                                        ; implicit-def: $sgpr18
	s_nop 0
	;;#ASMSTART
	v_pk_add_f16 v0, v6, v0;

	;;#ASMEND
	s_nop 0
	;;#ASMSTART
	v_pk_add_f16 v0, v0, v1;

	;;#ASMEND
	s_nop 0
	v_lshrrev_b32_e32 v1, 16, v0
	v_and_b32_e32 v0, 0xffff, v0
	;;#ASMSTART
	v_cvt_f32_f16 v56, v0;
	;;#ASMEND
	;;#ASMSTART
	v_cvt_f32_f16 v57, v1;
	;;#ASMEND
	v_accvgpr_read_b32 v0, a4
	flat_load_dwordx2 v[24:25], v[10:11] offset:1536
	v_accvgpr_read_b32 v1, a5
	flat_load_dword v16, v[0:1]
	s_waitcnt vmcnt(0) lgkmcnt(0)
	v_cmp_gt_i16_sdwa s[6:7], v24, s17 src0_sel:BYTE_0 src1_sel:DWORD
	s_and_saveexec_b64 s[8:9], s[6:7]
	s_xor_b64 s[6:7], exec, s[8:9]
	s_cbranch_execnz .LBB278_822
; %bb.591:                              ;   in Loop: Header=BB278_488 Depth=1
	s_or_saveexec_b64 s[6:7], s[6:7]
	v_mov_b32_e32 v26, s18
	s_xor_b64 exec, exec, s[6:7]
	s_cbranch_execnz .LBB278_825
.LBB278_592:                            ;   in Loop: Header=BB278_488 Depth=1
	s_or_b64 exec, exec, s[6:7]
	s_and_saveexec_b64 s[6:7], s[0:1]
	s_cbranch_execz .LBB278_594
.LBB278_593:                            ;   in Loop: Header=BB278_488 Depth=1
	v_and_b32_e32 v0, 7, v24
	v_ffbh_u32_e32 v0, v0
	v_bfe_u32 v1, v24, 3, 4
	v_min_u32_e32 v0, 32, v0
	v_subrev_u32_e32 v6, 28, v0
	v_sub_u32_e32 v0, 29, v0
	v_cmp_eq_u32_e64 s[0:1], 0, v1
	s_nop 1
	v_cndmask_b32_e64 v12, v1, v0, s[0:1]
	v_cndmask_b32_e64 v0, 0, v6, s[0:1]
	v_lshlrev_b64 v[0:1], v0, v[24:25]
	v_lshlrev_b32_e32 v1, 8, v24
	v_lshl_add_u32 v6, v12, 10, v48
	v_lshlrev_b32_e32 v0, 7, v0
	v_and_or_b32 v1, v1, s21, v6
	v_and_or_b32 v0, v0, s22, v1
	v_cvt_f32_f16_e32 v26, v0
.LBB278_594:                            ;   in Loop: Header=BB278_488 Depth=1
	s_or_b64 exec, exec, s[6:7]
	v_lshrrev_b16_e32 v6, 8, v24
	v_cmp_lt_i16_e64 s[0:1], s17, v6
	s_mov_b64 s[6:7], 0
                                        ; implicit-def: $sgpr26
	s_and_saveexec_b64 s[8:9], s[0:1]
	s_xor_b64 s[8:9], exec, s[8:9]
	s_cbranch_execnz .LBB278_826
; %bb.595:                              ;   in Loop: Header=BB278_488 Depth=1
	s_or_saveexec_b64 s[8:9], s[8:9]
	v_mov_b32_e32 v28, s26
	s_xor_b64 exec, exec, s[8:9]
	s_cbranch_execnz .LBB278_829
.LBB278_596:                            ;   in Loop: Header=BB278_488 Depth=1
	s_or_b64 exec, exec, s[8:9]
	s_and_saveexec_b64 s[8:9], s[6:7]
	s_cbranch_execz .LBB278_598
.LBB278_597:                            ;   in Loop: Header=BB278_488 Depth=1
	v_and_b32_e32 v12, 7, v6
	v_ffbh_u32_e32 v0, v12
	v_min_u32_e32 v18, 32, v0
	v_subrev_u32_e32 v0, 28, v18
	v_bfe_u32 v17, v6, 3, 4
	v_lshlrev_b64 v[0:1], v0, v[6:7]
	v_sub_u32_e32 v1, 29, v18
	v_cmp_eq_u32_e64 s[0:1], 0, v17
	v_and_b32_e32 v0, 7, v0
	v_lshlrev_b32_e32 v6, 8, v6
	v_cndmask_b32_e64 v1, v17, v1, s[0:1]
	v_lshl_add_u32 v1, v1, 10, v48
	v_cndmask_b32_e64 v0, v12, v0, s[0:1]
	v_and_or_b32 v1, v6, s21, v1
	v_lshl_or_b32 v0, v0, 7, v1
	v_cvt_f32_f16_e32 v28, v0
.LBB278_598:                            ;   in Loop: Header=BB278_488 Depth=1
	s_or_b64 exec, exec, s[8:9]
	v_lshrrev_b32_e32 v6, 16, v24
	v_cmp_gt_i16_sdwa s[6:7], v6, s17 src0_sel:BYTE_0 src1_sel:DWORD
	s_mov_b64 s[0:1], 0
                                        ; implicit-def: $sgpr18
	s_and_saveexec_b64 s[8:9], s[6:7]
	s_xor_b64 s[6:7], exec, s[8:9]
	s_cbranch_execnz .LBB278_830
; %bb.599:                              ;   in Loop: Header=BB278_488 Depth=1
	s_or_saveexec_b64 s[6:7], s[6:7]
	v_mov_b32_e32 v27, s18
	s_xor_b64 exec, exec, s[6:7]
	s_cbranch_execnz .LBB278_833
.LBB278_600:                            ;   in Loop: Header=BB278_488 Depth=1
	s_or_b64 exec, exec, s[6:7]
	s_and_saveexec_b64 s[6:7], s[0:1]
	s_cbranch_execz .LBB278_602
.LBB278_601:                            ;   in Loop: Header=BB278_488 Depth=1
	v_bfe_u32 v12, v24, 16, 3
	v_ffbh_u32_e32 v0, v12
	v_min_u32_e32 v18, 32, v0
	v_subrev_u32_e32 v0, 28, v18
	v_bfe_u32 v17, v24, 19, 4
	v_lshlrev_b64 v[0:1], v0, v[6:7]
	v_sub_u32_e32 v1, 29, v18
	v_cmp_eq_u32_e64 s[0:1], 0, v17
	v_and_b32_e32 v0, 7, v0
	v_lshlrev_b32_e32 v6, 8, v6
	v_cndmask_b32_e64 v1, v17, v1, s[0:1]
	v_lshl_add_u32 v1, v1, 10, v48
	v_cndmask_b32_e64 v0, v12, v0, s[0:1]
	v_and_or_b32 v1, v6, s21, v1
	v_lshl_or_b32 v0, v0, 7, v1
	v_cvt_f32_f16_e32 v27, v0
.LBB278_602:                            ;   in Loop: Header=BB278_488 Depth=1
	s_or_b64 exec, exec, s[6:7]
	v_lshrrev_b32_e32 v6, 24, v24
	v_cmp_lt_i16_e64 s[0:1], s17, v6
	s_mov_b64 s[6:7], 0
                                        ; implicit-def: $sgpr26
	s_and_saveexec_b64 s[8:9], s[0:1]
	s_xor_b64 s[8:9], exec, s[8:9]
	s_cbranch_execnz .LBB278_834
; %bb.603:                              ;   in Loop: Header=BB278_488 Depth=1
	s_or_saveexec_b64 s[8:9], s[8:9]
	v_mov_b32_e32 v29, s26
	s_xor_b64 exec, exec, s[8:9]
	s_cbranch_execnz .LBB278_837
.LBB278_604:                            ;   in Loop: Header=BB278_488 Depth=1
	s_or_b64 exec, exec, s[8:9]
	s_and_saveexec_b64 s[8:9], s[6:7]
	s_cbranch_execz .LBB278_606
.LBB278_605:                            ;   in Loop: Header=BB278_488 Depth=1
	v_bfe_u32 v12, v24, 24, 3
	v_ffbh_u32_e32 v0, v12
	v_min_u32_e32 v18, 32, v0
	v_subrev_u32_e32 v0, 28, v18
	v_bfe_u32 v17, v24, 27, 4
	v_lshlrev_b64 v[0:1], v0, v[6:7]
	v_sub_u32_e32 v1, 29, v18
	v_cmp_eq_u32_e64 s[0:1], 0, v17
	v_and_b32_e32 v0, 7, v0
	v_lshlrev_b32_e32 v6, 8, v6
	v_cndmask_b32_e64 v1, v17, v1, s[0:1]
	v_lshl_add_u32 v1, v1, 10, v48
	v_cndmask_b32_e64 v0, v12, v0, s[0:1]
	v_and_or_b32 v1, v6, s21, v1
	v_lshl_or_b32 v0, v0, 7, v1
	v_cvt_f32_f16_e32 v29, v0
.LBB278_606:                            ;   in Loop: Header=BB278_488 Depth=1
	s_or_b64 exec, exec, s[8:9]
	v_cmp_gt_i16_sdwa s[6:7], v25, s17 src0_sel:BYTE_0 src1_sel:DWORD
	s_mov_b64 s[0:1], 0
                                        ; implicit-def: $sgpr18
	s_and_saveexec_b64 s[8:9], s[6:7]
	s_xor_b64 s[6:7], exec, s[8:9]
	s_cbranch_execnz .LBB278_838
; %bb.607:                              ;   in Loop: Header=BB278_488 Depth=1
	s_or_saveexec_b64 s[6:7], s[6:7]
	v_mov_b32_e32 v0, s18
	s_xor_b64 exec, exec, s[6:7]
	s_cbranch_execnz .LBB278_841
.LBB278_608:                            ;   in Loop: Header=BB278_488 Depth=1
	s_or_b64 exec, exec, s[6:7]
	v_mov_b32_e32 v6, v25
	s_and_saveexec_b64 s[6:7], s[0:1]
	s_cbranch_execz .LBB278_610
.LBB278_609:                            ;   in Loop: Header=BB278_488 Depth=1
	v_and_b32_e32 v0, 7, v25
	v_ffbh_u32_e32 v0, v0
	v_bfe_u32 v1, v25, 3, 4
	v_min_u32_e32 v0, 32, v0
	v_subrev_u32_e32 v12, 28, v0
	v_sub_u32_e32 v0, 29, v0
	v_cmp_eq_u32_e64 s[0:1], 0, v1
	s_nop 1
	v_cndmask_b32_e64 v17, v1, v0, s[0:1]
	v_cndmask_b32_e64 v0, 0, v12, s[0:1]
	v_lshlrev_b64 v[0:1], v0, v[6:7]
	v_lshlrev_b32_e32 v1, 8, v25
	v_lshl_add_u32 v12, v17, 10, v48
	v_lshlrev_b32_e32 v0, 7, v0
	v_and_or_b32 v1, v1, s21, v12
	v_and_or_b32 v0, v0, s22, v1
	v_cvt_f32_f16_e32 v0, v0
.LBB278_610:                            ;   in Loop: Header=BB278_488 Depth=1
	s_or_b64 exec, exec, s[6:7]
	v_lshrrev_b16_e32 v6, 8, v6
	v_cmp_lt_i16_e64 s[0:1], s17, v6
	s_mov_b64 s[6:7], 0
                                        ; implicit-def: $sgpr26
	s_and_saveexec_b64 s[8:9], s[0:1]
	s_xor_b64 s[8:9], exec, s[8:9]
	s_cbranch_execnz .LBB278_842
; %bb.611:                              ;   in Loop: Header=BB278_488 Depth=1
	s_or_saveexec_b64 s[8:9], s[8:9]
	v_mov_b32_e32 v1, s26
	s_xor_b64 exec, exec, s[8:9]
	s_cbranch_execnz .LBB278_845
.LBB278_612:                            ;   in Loop: Header=BB278_488 Depth=1
	s_or_b64 exec, exec, s[8:9]
	s_and_saveexec_b64 s[8:9], s[6:7]
	s_cbranch_execz .LBB278_614
.LBB278_613:                            ;   in Loop: Header=BB278_488 Depth=1
	v_and_b32_e32 v1, 7, v6
	v_ffbh_u32_e32 v17, v1
	v_bfe_u32 v12, v6, 3, 4
	v_min_u32_e32 v17, 32, v17
	v_subrev_u32_e32 v18, 28, v17
	v_sub_u32_e32 v17, 29, v17
	v_cmp_eq_u32_e64 s[0:1], 0, v12
	v_lshlrev_b64 v[22:23], v18, v[6:7]
	v_and_b32_e32 v18, 7, v22
	v_cndmask_b32_e64 v12, v12, v17, s[0:1]
	v_lshlrev_b32_e32 v6, 8, v6
	v_lshl_add_u32 v12, v12, 10, v48
	v_cndmask_b32_e64 v1, v1, v18, s[0:1]
	v_and_or_b32 v6, v6, s21, v12
	v_lshl_or_b32 v1, v1, 7, v6
	v_cvt_f32_f16_e32 v1, v1
.LBB278_614:                            ;   in Loop: Header=BB278_488 Depth=1
	s_or_b64 exec, exec, s[8:9]
	v_lshrrev_b32_e32 v6, 16, v25
	v_cmp_gt_i16_sdwa s[6:7], v6, s17 src0_sel:BYTE_0 src1_sel:DWORD
	s_mov_b64 s[0:1], 0
                                        ; implicit-def: $sgpr18
	s_and_saveexec_b64 s[8:9], s[6:7]
	s_xor_b64 s[6:7], exec, s[8:9]
	s_cbranch_execnz .LBB278_846
; %bb.615:                              ;   in Loop: Header=BB278_488 Depth=1
	s_or_saveexec_b64 s[6:7], s[6:7]
	v_mov_b32_e32 v17, s18
	s_xor_b64 exec, exec, s[6:7]
	s_cbranch_execnz .LBB278_849
.LBB278_616:                            ;   in Loop: Header=BB278_488 Depth=1
	s_or_b64 exec, exec, s[6:7]
	s_and_saveexec_b64 s[6:7], s[0:1]
	s_cbranch_execz .LBB278_618
.LBB278_617:                            ;   in Loop: Header=BB278_488 Depth=1
	v_bfe_u32 v12, v25, 16, 3
	v_ffbh_u32_e32 v18, v12
	v_bfe_u32 v17, v25, 19, 4
	v_min_u32_e32 v18, 32, v18
	v_subrev_u32_e32 v22, 28, v18
	v_sub_u32_e32 v18, 29, v18
	v_cmp_eq_u32_e64 s[0:1], 0, v17
	v_lshlrev_b64 v[22:23], v22, v[6:7]
	v_and_b32_e32 v22, 7, v22
	v_cndmask_b32_e64 v17, v17, v18, s[0:1]
	v_lshlrev_b32_e32 v6, 8, v6
	v_lshl_add_u32 v17, v17, 10, v48
	v_cndmask_b32_e64 v12, v12, v22, s[0:1]
	v_and_or_b32 v6, v6, s21, v17
	v_lshl_or_b32 v6, v12, 7, v6
	v_cvt_f32_f16_e32 v17, v6
.LBB278_618:                            ;   in Loop: Header=BB278_488 Depth=1
	s_or_b64 exec, exec, s[6:7]
	v_lshrrev_b32_e32 v6, 24, v25
	v_cmp_lt_i16_e64 s[0:1], s17, v6
	s_mov_b64 s[6:7], 0
                                        ; implicit-def: $sgpr26
	s_and_saveexec_b64 s[8:9], s[0:1]
	s_xor_b64 s[8:9], exec, s[8:9]
	s_cbranch_execnz .LBB278_850
; %bb.619:                              ;   in Loop: Header=BB278_488 Depth=1
	s_or_saveexec_b64 s[8:9], s[8:9]
	v_mov_b32_e32 v22, s26
	s_xor_b64 exec, exec, s[8:9]
	s_cbranch_execnz .LBB278_853
.LBB278_620:                            ;   in Loop: Header=BB278_488 Depth=1
	s_or_b64 exec, exec, s[8:9]
	s_and_saveexec_b64 s[8:9], s[6:7]
	s_cbranch_execz .LBB278_622
.LBB278_621:                            ;   in Loop: Header=BB278_488 Depth=1
	v_bfe_u32 v12, v25, 24, 3
	v_ffbh_u32_e32 v22, v12
	v_min_u32_e32 v24, 32, v22
	v_subrev_u32_e32 v22, 28, v24
	v_bfe_u32 v18, v25, 27, 4
	v_lshlrev_b64 v[22:23], v22, v[6:7]
	v_sub_u32_e32 v23, 29, v24
	v_cmp_eq_u32_e64 s[0:1], 0, v18
	v_and_b32_e32 v22, 7, v22
	v_lshlrev_b32_e32 v6, 8, v6
	v_cndmask_b32_e64 v18, v18, v23, s[0:1]
	v_lshl_add_u32 v18, v18, 10, v48
	v_cndmask_b32_e64 v12, v12, v22, s[0:1]
	v_and_or_b32 v6, v6, s21, v18
	v_lshl_or_b32 v6, v12, 7, v6
	v_cvt_f32_f16_e32 v22, v6
.LBB278_622:                            ;   in Loop: Header=BB278_488 Depth=1
	s_or_b64 exec, exec, s[8:9]
	v_pk_mul_f32 v[24:25], v[16:17], v[28:29] op_sel_hi:[0,1]
	v_pk_mul_f32 v[26:27], v[16:17], v[26:27] op_sel_hi:[0,1]
	v_cvt_f16_f32_e32 v6, v25
	v_cvt_f16_f32_e32 v12, v24
	;; [unrolled: 1-line block ×4, first 2 shown]
	v_fma_mixlo_f16 v1, v16, v1, 0
	v_lshlrev_b32_e32 v1, 16, v1
	v_fma_mixlo_f16 v0, v16, v0, 0
	v_or_b32_sdwa v0, v1, v0 dst_sel:DWORD dst_unused:UNUSED_PAD src0_sel:DWORD src1_sel:WORD_0
	v_fma_mixlo_f16 v1, v16, v22, 0
	v_pack_b32_f16 v12, v12, v6
	v_pack_b32_f16 v18, v23, v18
	v_fma_mixlo_f16 v17, v16, v17, 0
	v_lshlrev_b32_e32 v1, 16, v1
	v_perm_b32 v6, v18, v12, s23
	v_perm_b32 v18, v18, v12, s24
	v_or_b32_sdwa v1, v1, v17 dst_sel:DWORD dst_unused:UNUSED_PAD src0_sel:DWORD src1_sel:WORD_0
	s_and_saveexec_b64 s[6:7], vcc
	s_cbranch_execz .LBB278_624
; %bb.623:                              ;   in Loop: Header=BB278_488 Depth=1
	v_lshrrev_b32_e32 v12, 16, v18
	v_cmp_lt_i32_e64 s[0:1], v55, v13
	v_accvgpr_read_b32 v22, a8
	v_lshrrev_b32_e32 v1, 16, v1
	v_cndmask_b32_e64 v12, 0, v12, s[0:1]
	v_cmp_lt_i32_e64 s[0:1], v38, v22
	s_nop 1
	v_cndmask_b32_e64 v16, 0, v18, s[0:1]
	v_perm_b32 v18, v12, v16, s25
	v_lshrrev_b32_e32 v12, 16, v6
	v_cmp_lt_i32_e64 s[0:1], v54, v13
	s_nop 1
	v_cndmask_b32_e64 v12, 0, v12, s[0:1]
	v_cmp_lt_i32_e64 s[0:1], v53, v22
	s_nop 1
	v_cndmask_b32_e64 v6, 0, v6, s[0:1]
	v_perm_b32 v6, v12, v6, s25
	v_lshrrev_b32_e32 v12, 16, v0
	v_cmp_lt_i32_e64 s[0:1], v52, v13
	s_nop 1
	v_cndmask_b32_e64 v12, 0, v12, s[0:1]
	v_cmp_lt_i32_e64 s[0:1], v51, v22
	s_nop 1
	v_cndmask_b32_e64 v0, 0, v0, s[0:1]
	v_cmp_lt_i32_e64 s[0:1], v50, v13
	v_perm_b32 v0, v12, v0, s25
	s_nop 0
	v_cndmask_b32_e64 v1, 0, v1, s[0:1]
	v_cmp_lt_i32_e64 s[0:1], v49, v22
	s_nop 1
	v_cndmask_b32_e64 v12, 0, v17, s[0:1]
	v_perm_b32 v1, v1, v12, s25
.LBB278_624:                            ;   in Loop: Header=BB278_488 Depth=1
	s_or_b64 exec, exec, s[6:7]
	;;#ASMSTART
	v_pk_mul_f16 v12, v40, v18;

	;;#ASMEND
	;;#ASMSTART
	v_pk_mul_f16 v6, v41, v6;

	;;#ASMEND
	;; [unrolled: 4-line block ×4, first 2 shown]
	v_accvgpr_read_b32 v17, a5
	;;#ASMSTART
	v_pk_add_f16 v6, v12, v6;

	;;#ASMEND
	v_accvgpr_read_b32 v16, a4
	;;#ASMSTART
	v_pk_add_f16 v0, v6, v0;

	;;#ASMEND
	s_mov_b64 s[0:1], 0
	;;#ASMSTART
	v_pk_add_f16 v0, v0, v1;

	;;#ASMEND
                                        ; implicit-def: $sgpr18
	s_nop 0
	v_lshrrev_b32_e32 v1, 16, v0
	v_and_b32_e32 v0, 0xffff, v0
	;;#ASMSTART
	v_cvt_f32_f16 v0, v0;
	;;#ASMEND
	;;#ASMSTART
	v_cvt_f32_f16 v1, v1;
	;;#ASMEND
	flat_load_dwordx2 v[24:25], v[10:11] offset:2048
	s_waitcnt vmcnt(0) lgkmcnt(0)
	v_cmp_gt_i16_sdwa s[6:7], v24, s17 src0_sel:BYTE_0 src1_sel:DWORD
	flat_load_dword v16, v[16:17]
	s_and_saveexec_b64 s[8:9], s[6:7]
	s_xor_b64 s[6:7], exec, s[8:9]
	s_cbranch_execnz .LBB278_854
; %bb.625:                              ;   in Loop: Header=BB278_488 Depth=1
	s_or_saveexec_b64 s[6:7], s[6:7]
	v_mov_b32_e32 v26, s18
	s_xor_b64 exec, exec, s[6:7]
	s_cbranch_execnz .LBB278_857
.LBB278_626:                            ;   in Loop: Header=BB278_488 Depth=1
	s_or_b64 exec, exec, s[6:7]
	s_and_saveexec_b64 s[6:7], s[0:1]
	s_cbranch_execz .LBB278_628
.LBB278_627:                            ;   in Loop: Header=BB278_488 Depth=1
	v_and_b32_e32 v6, 7, v24
	v_ffbh_u32_e32 v6, v6
	v_bfe_u32 v12, v24, 3, 4
	v_min_u32_e32 v6, 32, v6
	v_subrev_u32_e32 v17, 28, v6
	v_sub_u32_e32 v6, 29, v6
	v_cmp_eq_u32_e64 s[0:1], 0, v12
	s_nop 1
	v_cndmask_b32_e64 v6, v12, v6, s[0:1]
	v_cndmask_b32_e64 v12, 0, v17, s[0:1]
	v_lshlrev_b64 v[22:23], v12, v[24:25]
	v_lshlrev_b32_e32 v17, 8, v24
	v_lshl_add_u32 v6, v6, 10, v48
	v_lshlrev_b32_e32 v12, 7, v22
	v_and_or_b32 v6, v17, s21, v6
	v_and_or_b32 v6, v12, s22, v6
	v_cvt_f32_f16_e32 v26, v6
.LBB278_628:                            ;   in Loop: Header=BB278_488 Depth=1
	s_or_b64 exec, exec, s[6:7]
	v_lshrrev_b16_e32 v6, 8, v24
	v_cmp_lt_i16_e64 s[0:1], s17, v6
	s_mov_b64 s[6:7], 0
                                        ; implicit-def: $sgpr26
	s_and_saveexec_b64 s[8:9], s[0:1]
	s_xor_b64 s[8:9], exec, s[8:9]
	s_cbranch_execnz .LBB278_858
; %bb.629:                              ;   in Loop: Header=BB278_488 Depth=1
	s_or_saveexec_b64 s[8:9], s[8:9]
	v_mov_b32_e32 v28, s26
	s_xor_b64 exec, exec, s[8:9]
	s_cbranch_execnz .LBB278_861
.LBB278_630:                            ;   in Loop: Header=BB278_488 Depth=1
	s_or_b64 exec, exec, s[8:9]
	s_and_saveexec_b64 s[8:9], s[6:7]
	s_cbranch_execz .LBB278_632
.LBB278_631:                            ;   in Loop: Header=BB278_488 Depth=1
	v_and_b32_e32 v12, 7, v6
	v_ffbh_u32_e32 v18, v12
	v_bfe_u32 v17, v6, 3, 4
	v_min_u32_e32 v18, 32, v18
	v_subrev_u32_e32 v22, 28, v18
	v_sub_u32_e32 v18, 29, v18
	v_cmp_eq_u32_e64 s[0:1], 0, v17
	v_lshlrev_b64 v[22:23], v22, v[6:7]
	v_and_b32_e32 v22, 7, v22
	v_cndmask_b32_e64 v17, v17, v18, s[0:1]
	v_lshlrev_b32_e32 v6, 8, v6
	v_lshl_add_u32 v17, v17, 10, v48
	v_cndmask_b32_e64 v12, v12, v22, s[0:1]
	v_and_or_b32 v6, v6, s21, v17
	v_lshl_or_b32 v6, v12, 7, v6
	v_cvt_f32_f16_e32 v28, v6
.LBB278_632:                            ;   in Loop: Header=BB278_488 Depth=1
	s_or_b64 exec, exec, s[8:9]
	v_lshrrev_b32_e32 v6, 16, v24
	v_cmp_gt_i16_sdwa s[6:7], v6, s17 src0_sel:BYTE_0 src1_sel:DWORD
	s_mov_b64 s[0:1], 0
                                        ; implicit-def: $sgpr18
	s_and_saveexec_b64 s[8:9], s[6:7]
	s_xor_b64 s[6:7], exec, s[8:9]
	s_cbranch_execnz .LBB278_862
; %bb.633:                              ;   in Loop: Header=BB278_488 Depth=1
	s_or_saveexec_b64 s[6:7], s[6:7]
	v_mov_b32_e32 v27, s18
	s_xor_b64 exec, exec, s[6:7]
	s_cbranch_execnz .LBB278_865
.LBB278_634:                            ;   in Loop: Header=BB278_488 Depth=1
	s_or_b64 exec, exec, s[6:7]
	s_and_saveexec_b64 s[6:7], s[0:1]
	s_cbranch_execz .LBB278_636
.LBB278_635:                            ;   in Loop: Header=BB278_488 Depth=1
	v_bfe_u32 v12, v24, 16, 3
	v_ffbh_u32_e32 v18, v12
	v_bfe_u32 v17, v24, 19, 4
	v_min_u32_e32 v18, 32, v18
	v_subrev_u32_e32 v22, 28, v18
	v_sub_u32_e32 v18, 29, v18
	v_cmp_eq_u32_e64 s[0:1], 0, v17
	v_lshlrev_b64 v[22:23], v22, v[6:7]
	v_and_b32_e32 v22, 7, v22
	v_cndmask_b32_e64 v17, v17, v18, s[0:1]
	v_lshlrev_b32_e32 v6, 8, v6
	v_lshl_add_u32 v17, v17, 10, v48
	v_cndmask_b32_e64 v12, v12, v22, s[0:1]
	v_and_or_b32 v6, v6, s21, v17
	v_lshl_or_b32 v6, v12, 7, v6
	v_cvt_f32_f16_e32 v27, v6
.LBB278_636:                            ;   in Loop: Header=BB278_488 Depth=1
	s_or_b64 exec, exec, s[6:7]
	v_lshrrev_b32_e32 v6, 24, v24
	v_cmp_lt_i16_e64 s[0:1], s17, v6
	s_mov_b64 s[6:7], 0
                                        ; implicit-def: $sgpr26
	s_and_saveexec_b64 s[8:9], s[0:1]
	s_xor_b64 s[8:9], exec, s[8:9]
	s_cbranch_execnz .LBB278_866
; %bb.637:                              ;   in Loop: Header=BB278_488 Depth=1
	s_or_saveexec_b64 s[8:9], s[8:9]
	v_mov_b32_e32 v29, s26
	s_xor_b64 exec, exec, s[8:9]
	s_cbranch_execnz .LBB278_869
.LBB278_638:                            ;   in Loop: Header=BB278_488 Depth=1
	s_or_b64 exec, exec, s[8:9]
	s_and_saveexec_b64 s[8:9], s[6:7]
	s_cbranch_execz .LBB278_640
.LBB278_639:                            ;   in Loop: Header=BB278_488 Depth=1
	v_bfe_u32 v12, v24, 24, 3
	v_ffbh_u32_e32 v18, v12
	v_bfe_u32 v17, v24, 27, 4
	v_min_u32_e32 v18, 32, v18
	v_subrev_u32_e32 v22, 28, v18
	v_sub_u32_e32 v18, 29, v18
	v_cmp_eq_u32_e64 s[0:1], 0, v17
	v_lshlrev_b64 v[22:23], v22, v[6:7]
	v_and_b32_e32 v22, 7, v22
	v_cndmask_b32_e64 v17, v17, v18, s[0:1]
	v_lshlrev_b32_e32 v6, 8, v6
	v_lshl_add_u32 v17, v17, 10, v48
	v_cndmask_b32_e64 v12, v12, v22, s[0:1]
	v_and_or_b32 v6, v6, s21, v17
	v_lshl_or_b32 v6, v12, 7, v6
	v_cvt_f32_f16_e32 v29, v6
.LBB278_640:                            ;   in Loop: Header=BB278_488 Depth=1
	s_or_b64 exec, exec, s[8:9]
	v_cmp_gt_i16_sdwa s[6:7], v25, s17 src0_sel:BYTE_0 src1_sel:DWORD
	s_mov_b64 s[0:1], 0
                                        ; implicit-def: $sgpr18
	s_and_saveexec_b64 s[8:9], s[6:7]
	s_xor_b64 s[6:7], exec, s[8:9]
	s_cbranch_execnz .LBB278_870
; %bb.641:                              ;   in Loop: Header=BB278_488 Depth=1
	s_or_saveexec_b64 s[6:7], s[6:7]
	v_mov_b32_e32 v17, s18
	s_xor_b64 exec, exec, s[6:7]
	s_cbranch_execnz .LBB278_873
.LBB278_642:                            ;   in Loop: Header=BB278_488 Depth=1
	s_or_b64 exec, exec, s[6:7]
	v_mov_b32_e32 v6, v25
	s_and_saveexec_b64 s[6:7], s[0:1]
	s_cbranch_execz .LBB278_644
.LBB278_643:                            ;   in Loop: Header=BB278_488 Depth=1
	v_and_b32_e32 v12, 7, v25
	v_ffbh_u32_e32 v12, v12
	v_bfe_u32 v17, v25, 3, 4
	v_min_u32_e32 v12, 32, v12
	v_subrev_u32_e32 v18, 28, v12
	v_sub_u32_e32 v12, 29, v12
	v_cmp_eq_u32_e64 s[0:1], 0, v17
	s_nop 1
	v_cndmask_b32_e64 v12, v17, v12, s[0:1]
	v_cndmask_b32_e64 v17, 0, v18, s[0:1]
	v_lshlrev_b64 v[22:23], v17, v[6:7]
	v_lshlrev_b32_e32 v18, 8, v25
	v_lshl_add_u32 v12, v12, 10, v48
	v_lshlrev_b32_e32 v17, 7, v22
	v_and_or_b32 v12, v18, s21, v12
	v_and_or_b32 v12, v17, s22, v12
	v_cvt_f32_f16_e32 v17, v12
.LBB278_644:                            ;   in Loop: Header=BB278_488 Depth=1
	s_or_b64 exec, exec, s[6:7]
	v_lshrrev_b16_e32 v6, 8, v6
	v_cmp_lt_i16_e64 s[0:1], s17, v6
	s_mov_b64 s[6:7], 0
                                        ; implicit-def: $sgpr26
	s_and_saveexec_b64 s[8:9], s[0:1]
	s_xor_b64 s[8:9], exec, s[8:9]
	s_cbranch_execnz .LBB278_874
; %bb.645:                              ;   in Loop: Header=BB278_488 Depth=1
	s_or_saveexec_b64 s[8:9], s[8:9]
	v_mov_b32_e32 v18, s26
	s_xor_b64 exec, exec, s[8:9]
	s_cbranch_execnz .LBB278_877
.LBB278_646:                            ;   in Loop: Header=BB278_488 Depth=1
	s_or_b64 exec, exec, s[8:9]
	s_and_saveexec_b64 s[8:9], s[6:7]
	s_cbranch_execz .LBB278_648
.LBB278_647:                            ;   in Loop: Header=BB278_488 Depth=1
	v_and_b32_e32 v12, 7, v6
	v_ffbh_u32_e32 v22, v12
	v_min_u32_e32 v24, 32, v22
	v_subrev_u32_e32 v22, 28, v24
	v_bfe_u32 v18, v6, 3, 4
	v_lshlrev_b64 v[22:23], v22, v[6:7]
	v_sub_u32_e32 v23, 29, v24
	v_cmp_eq_u32_e64 s[0:1], 0, v18
	v_and_b32_e32 v22, 7, v22
	v_lshlrev_b32_e32 v6, 8, v6
	v_cndmask_b32_e64 v18, v18, v23, s[0:1]
	v_lshl_add_u32 v18, v18, 10, v48
	v_cndmask_b32_e64 v12, v12, v22, s[0:1]
	v_and_or_b32 v6, v6, s21, v18
	v_lshl_or_b32 v6, v12, 7, v6
	v_cvt_f32_f16_e32 v18, v6
.LBB278_648:                            ;   in Loop: Header=BB278_488 Depth=1
	s_or_b64 exec, exec, s[8:9]
	v_lshrrev_b32_e32 v6, 16, v25
	v_cmp_gt_i16_sdwa s[6:7], v6, s17 src0_sel:BYTE_0 src1_sel:DWORD
	s_mov_b64 s[0:1], 0
                                        ; implicit-def: $sgpr18
	s_and_saveexec_b64 s[8:9], s[6:7]
	s_xor_b64 s[6:7], exec, s[8:9]
	s_cbranch_execnz .LBB278_878
; %bb.649:                              ;   in Loop: Header=BB278_488 Depth=1
	s_or_saveexec_b64 s[6:7], s[6:7]
	v_mov_b32_e32 v22, s18
	s_xor_b64 exec, exec, s[6:7]
	s_cbranch_execnz .LBB278_881
.LBB278_650:                            ;   in Loop: Header=BB278_488 Depth=1
	s_or_b64 exec, exec, s[6:7]
	s_and_saveexec_b64 s[6:7], s[0:1]
	s_cbranch_execz .LBB278_652
.LBB278_651:                            ;   in Loop: Header=BB278_488 Depth=1
	v_bfe_u32 v12, v25, 16, 3
	v_ffbh_u32_e32 v22, v12
	v_min_u32_e32 v32, 32, v22
	v_subrev_u32_e32 v22, 28, v32
	v_bfe_u32 v24, v25, 19, 4
	v_lshlrev_b64 v[22:23], v22, v[6:7]
	v_sub_u32_e32 v23, 29, v32
	v_cmp_eq_u32_e64 s[0:1], 0, v24
	v_and_b32_e32 v22, 7, v22
	v_lshlrev_b32_e32 v6, 8, v6
	v_cndmask_b32_e64 v23, v24, v23, s[0:1]
	v_cndmask_b32_e64 v12, v12, v22, s[0:1]
	v_lshl_add_u32 v22, v23, 10, v48
	v_and_or_b32 v6, v6, s21, v22
	v_lshl_or_b32 v6, v12, 7, v6
	v_cvt_f32_f16_e32 v22, v6
.LBB278_652:                            ;   in Loop: Header=BB278_488 Depth=1
	s_or_b64 exec, exec, s[6:7]
	v_lshrrev_b32_e32 v6, 24, v25
	v_cmp_lt_i16_e64 s[0:1], s17, v6
	s_mov_b64 s[6:7], 0
                                        ; implicit-def: $sgpr26
	s_and_saveexec_b64 s[8:9], s[0:1]
	s_xor_b64 s[8:9], exec, s[8:9]
	s_cbranch_execnz .LBB278_882
; %bb.653:                              ;   in Loop: Header=BB278_488 Depth=1
	s_or_saveexec_b64 s[8:9], s[8:9]
	v_mov_b32_e32 v24, s26
	s_xor_b64 exec, exec, s[8:9]
	s_cbranch_execnz .LBB278_885
.LBB278_654:                            ;   in Loop: Header=BB278_488 Depth=1
	s_or_b64 exec, exec, s[8:9]
	s_and_saveexec_b64 s[8:9], s[6:7]
	s_cbranch_execz .LBB278_656
.LBB278_655:                            ;   in Loop: Header=BB278_488 Depth=1
	v_bfe_u32 v12, v25, 24, 3
	v_ffbh_u32_e32 v24, v12
	v_min_u32_e32 v32, 32, v24
	v_subrev_u32_e32 v24, 28, v32
	v_bfe_u32 v23, v25, 27, 4
	v_lshlrev_b64 v[24:25], v24, v[6:7]
	v_sub_u32_e32 v25, 29, v32
	v_cmp_eq_u32_e64 s[0:1], 0, v23
	v_and_b32_e32 v24, 7, v24
	v_lshlrev_b32_e32 v6, 8, v6
	v_cndmask_b32_e64 v23, v23, v25, s[0:1]
	v_lshl_add_u32 v23, v23, 10, v48
	v_cndmask_b32_e64 v12, v12, v24, s[0:1]
	v_and_or_b32 v6, v6, s21, v23
	v_lshl_or_b32 v6, v12, 7, v6
	v_cvt_f32_f16_e32 v24, v6
.LBB278_656:                            ;   in Loop: Header=BB278_488 Depth=1
	s_or_b64 exec, exec, s[8:9]
	s_waitcnt vmcnt(0) lgkmcnt(0)
	v_pk_mul_f32 v[28:29], v[16:17], v[28:29] op_sel_hi:[0,1]
	v_pk_mul_f32 v[26:27], v[16:17], v[26:27] op_sel_hi:[0,1]
	v_cvt_f16_f32_e32 v6, v29
	v_cvt_f16_f32_e32 v12, v28
	;; [unrolled: 1-line block ×4, first 2 shown]
	v_fma_mixlo_f16 v17, v16, v17, 0
	v_pack_b32_f16 v12, v12, v6
	v_pack_b32_f16 v23, v25, v23
	v_perm_b32 v6, v23, v12, s23
	v_perm_b32 v23, v23, v12, s24
	v_fma_mixlo_f16 v12, v16, v18, 0
	v_lshlrev_b32_e32 v12, 16, v12
	v_or_b32_sdwa v17, v12, v17 dst_sel:DWORD dst_unused:UNUSED_PAD src0_sel:DWORD src1_sel:WORD_0
	v_fma_mixlo_f16 v12, v16, v24, 0
	v_fma_mixlo_f16 v18, v16, v22, 0
	v_lshlrev_b32_e32 v12, 16, v12
	v_or_b32_sdwa v16, v12, v18 dst_sel:DWORD dst_unused:UNUSED_PAD src0_sel:DWORD src1_sel:WORD_0
	s_and_saveexec_b64 s[6:7], vcc
	s_cbranch_execz .LBB278_658
; %bb.657:                              ;   in Loop: Header=BB278_488 Depth=1
	v_lshrrev_b32_e32 v12, 16, v23
	v_cmp_lt_i32_e64 s[0:1], v55, v13
	v_accvgpr_read_b32 v24, a8
	s_nop 0
	v_cndmask_b32_e64 v12, 0, v12, s[0:1]
	v_cmp_lt_i32_e64 s[0:1], v38, v24
	s_nop 1
	v_cndmask_b32_e64 v22, 0, v23, s[0:1]
	v_perm_b32 v23, v12, v22, s25
	v_lshrrev_b32_e32 v12, 16, v6
	v_cmp_lt_i32_e64 s[0:1], v54, v13
	s_nop 1
	v_cndmask_b32_e64 v12, 0, v12, s[0:1]
	v_cmp_lt_i32_e64 s[0:1], v53, v24
	s_nop 1
	v_cndmask_b32_e64 v6, 0, v6, s[0:1]
	v_perm_b32 v6, v12, v6, s25
	v_lshrrev_b32_e32 v12, 16, v17
	v_cmp_lt_i32_e64 s[0:1], v52, v13
	;; [unrolled: 8-line block ×3, first 2 shown]
	s_nop 1
	v_cndmask_b32_e64 v12, 0, v12, s[0:1]
	v_cmp_lt_i32_e64 s[0:1], v49, v24
	s_nop 1
	v_cndmask_b32_e64 v16, 0, v18, s[0:1]
	v_perm_b32 v16, v12, v16, s25
.LBB278_658:                            ;   in Loop: Header=BB278_488 Depth=1
	s_or_b64 exec, exec, s[6:7]
	;;#ASMSTART
	v_pk_mul_f16 v12, v40, v23;

	;;#ASMEND
	;;#ASMSTART
	v_pk_mul_f16 v6, v41, v6;

	;;#ASMEND
	;; [unrolled: 4-line block ×4, first 2 shown]
	s_mov_b64 s[0:1], 0
	;;#ASMSTART
	v_pk_add_f16 v6, v12, v6;

	;;#ASMEND
                                        ; implicit-def: $sgpr18
	s_nop 0
	;;#ASMSTART
	v_pk_add_f16 v6, v6, v17;

	;;#ASMEND
	s_nop 0
	;;#ASMSTART
	v_pk_add_f16 v6, v6, v16;

	;;#ASMEND
	v_accvgpr_read_b32 v17, a5
	v_lshrrev_b32_e32 v12, 16, v6
	v_and_b32_e32 v6, 0xffff, v6
	;;#ASMSTART
	v_cvt_f32_f16 v32, v6;
	;;#ASMEND
	;;#ASMSTART
	v_cvt_f32_f16 v33, v12;
	;;#ASMEND
	flat_load_dwordx2 v[24:25], v[10:11] offset:2560
	v_accvgpr_read_b32 v16, a4
	flat_load_dword v16, v[16:17]
	s_waitcnt vmcnt(0) lgkmcnt(0)
	v_cmp_gt_i16_sdwa s[6:7], v24, s17 src0_sel:BYTE_0 src1_sel:DWORD
	s_and_saveexec_b64 s[8:9], s[6:7]
	s_xor_b64 s[6:7], exec, s[8:9]
	s_cbranch_execnz .LBB278_886
; %bb.659:                              ;   in Loop: Header=BB278_488 Depth=1
	s_or_saveexec_b64 s[6:7], s[6:7]
	v_mov_b32_e32 v26, s18
	s_xor_b64 exec, exec, s[6:7]
	s_cbranch_execnz .LBB278_889
.LBB278_660:                            ;   in Loop: Header=BB278_488 Depth=1
	s_or_b64 exec, exec, s[6:7]
	s_and_saveexec_b64 s[6:7], s[0:1]
	s_cbranch_execz .LBB278_662
.LBB278_661:                            ;   in Loop: Header=BB278_488 Depth=1
	v_and_b32_e32 v6, 7, v24
	v_ffbh_u32_e32 v6, v6
	v_bfe_u32 v12, v24, 3, 4
	v_min_u32_e32 v6, 32, v6
	v_subrev_u32_e32 v17, 28, v6
	v_sub_u32_e32 v6, 29, v6
	v_cmp_eq_u32_e64 s[0:1], 0, v12
	s_nop 1
	v_cndmask_b32_e64 v6, v12, v6, s[0:1]
	v_cndmask_b32_e64 v12, 0, v17, s[0:1]
	v_lshlrev_b64 v[22:23], v12, v[24:25]
	v_lshlrev_b32_e32 v17, 8, v24
	v_lshl_add_u32 v6, v6, 10, v48
	v_lshlrev_b32_e32 v12, 7, v22
	v_and_or_b32 v6, v17, s21, v6
	v_and_or_b32 v6, v12, s22, v6
	v_cvt_f32_f16_e32 v26, v6
.LBB278_662:                            ;   in Loop: Header=BB278_488 Depth=1
	s_or_b64 exec, exec, s[6:7]
	v_lshrrev_b16_e32 v6, 8, v24
	v_cmp_lt_i16_e64 s[0:1], s17, v6
	s_mov_b64 s[6:7], 0
                                        ; implicit-def: $sgpr26
	s_and_saveexec_b64 s[8:9], s[0:1]
	s_xor_b64 s[8:9], exec, s[8:9]
	s_cbranch_execnz .LBB278_890
; %bb.663:                              ;   in Loop: Header=BB278_488 Depth=1
	s_or_saveexec_b64 s[8:9], s[8:9]
	v_mov_b32_e32 v28, s26
	s_xor_b64 exec, exec, s[8:9]
	s_cbranch_execnz .LBB278_893
.LBB278_664:                            ;   in Loop: Header=BB278_488 Depth=1
	s_or_b64 exec, exec, s[8:9]
	s_and_saveexec_b64 s[8:9], s[6:7]
	s_cbranch_execz .LBB278_666
.LBB278_665:                            ;   in Loop: Header=BB278_488 Depth=1
	v_and_b32_e32 v12, 7, v6
	v_ffbh_u32_e32 v18, v12
	v_bfe_u32 v17, v6, 3, 4
	v_min_u32_e32 v18, 32, v18
	v_subrev_u32_e32 v22, 28, v18
	v_sub_u32_e32 v18, 29, v18
	v_cmp_eq_u32_e64 s[0:1], 0, v17
	v_lshlrev_b64 v[22:23], v22, v[6:7]
	v_and_b32_e32 v22, 7, v22
	v_cndmask_b32_e64 v17, v17, v18, s[0:1]
	v_lshlrev_b32_e32 v6, 8, v6
	v_lshl_add_u32 v17, v17, 10, v48
	v_cndmask_b32_e64 v12, v12, v22, s[0:1]
	v_and_or_b32 v6, v6, s21, v17
	v_lshl_or_b32 v6, v12, 7, v6
	v_cvt_f32_f16_e32 v28, v6
.LBB278_666:                            ;   in Loop: Header=BB278_488 Depth=1
	s_or_b64 exec, exec, s[8:9]
	v_lshrrev_b32_e32 v6, 16, v24
	v_cmp_gt_i16_sdwa s[6:7], v6, s17 src0_sel:BYTE_0 src1_sel:DWORD
	s_mov_b64 s[0:1], 0
                                        ; implicit-def: $sgpr18
	s_and_saveexec_b64 s[8:9], s[6:7]
	s_xor_b64 s[6:7], exec, s[8:9]
	s_cbranch_execnz .LBB278_894
; %bb.667:                              ;   in Loop: Header=BB278_488 Depth=1
	s_or_saveexec_b64 s[6:7], s[6:7]
	v_mov_b32_e32 v27, s18
	s_xor_b64 exec, exec, s[6:7]
	s_cbranch_execnz .LBB278_897
.LBB278_668:                            ;   in Loop: Header=BB278_488 Depth=1
	s_or_b64 exec, exec, s[6:7]
	s_and_saveexec_b64 s[6:7], s[0:1]
	s_cbranch_execz .LBB278_670
.LBB278_669:                            ;   in Loop: Header=BB278_488 Depth=1
	v_bfe_u32 v12, v24, 16, 3
	v_ffbh_u32_e32 v18, v12
	v_bfe_u32 v17, v24, 19, 4
	v_min_u32_e32 v18, 32, v18
	v_subrev_u32_e32 v22, 28, v18
	v_sub_u32_e32 v18, 29, v18
	v_cmp_eq_u32_e64 s[0:1], 0, v17
	v_lshlrev_b64 v[22:23], v22, v[6:7]
	v_and_b32_e32 v22, 7, v22
	v_cndmask_b32_e64 v17, v17, v18, s[0:1]
	v_lshlrev_b32_e32 v6, 8, v6
	v_lshl_add_u32 v17, v17, 10, v48
	v_cndmask_b32_e64 v12, v12, v22, s[0:1]
	v_and_or_b32 v6, v6, s21, v17
	v_lshl_or_b32 v6, v12, 7, v6
	v_cvt_f32_f16_e32 v27, v6
.LBB278_670:                            ;   in Loop: Header=BB278_488 Depth=1
	s_or_b64 exec, exec, s[6:7]
	v_lshrrev_b32_e32 v6, 24, v24
	v_cmp_lt_i16_e64 s[0:1], s17, v6
	s_mov_b64 s[6:7], 0
                                        ; implicit-def: $sgpr26
	s_and_saveexec_b64 s[8:9], s[0:1]
	s_xor_b64 s[8:9], exec, s[8:9]
	s_cbranch_execnz .LBB278_898
; %bb.671:                              ;   in Loop: Header=BB278_488 Depth=1
	s_or_saveexec_b64 s[8:9], s[8:9]
	v_mov_b32_e32 v29, s26
	s_xor_b64 exec, exec, s[8:9]
	s_cbranch_execnz .LBB278_901
.LBB278_672:                            ;   in Loop: Header=BB278_488 Depth=1
	s_or_b64 exec, exec, s[8:9]
	s_and_saveexec_b64 s[8:9], s[6:7]
	s_cbranch_execz .LBB278_674
.LBB278_673:                            ;   in Loop: Header=BB278_488 Depth=1
	v_bfe_u32 v12, v24, 24, 3
	v_ffbh_u32_e32 v18, v12
	v_bfe_u32 v17, v24, 27, 4
	v_min_u32_e32 v18, 32, v18
	v_subrev_u32_e32 v22, 28, v18
	v_sub_u32_e32 v18, 29, v18
	v_cmp_eq_u32_e64 s[0:1], 0, v17
	v_lshlrev_b64 v[22:23], v22, v[6:7]
	v_and_b32_e32 v22, 7, v22
	v_cndmask_b32_e64 v17, v17, v18, s[0:1]
	v_lshlrev_b32_e32 v6, 8, v6
	v_lshl_add_u32 v17, v17, 10, v48
	v_cndmask_b32_e64 v12, v12, v22, s[0:1]
	v_and_or_b32 v6, v6, s21, v17
	v_lshl_or_b32 v6, v12, 7, v6
	v_cvt_f32_f16_e32 v29, v6
.LBB278_674:                            ;   in Loop: Header=BB278_488 Depth=1
	s_or_b64 exec, exec, s[8:9]
	v_cmp_gt_i16_sdwa s[6:7], v25, s17 src0_sel:BYTE_0 src1_sel:DWORD
	s_mov_b64 s[0:1], 0
                                        ; implicit-def: $sgpr18
	s_and_saveexec_b64 s[8:9], s[6:7]
	s_xor_b64 s[6:7], exec, s[8:9]
	s_cbranch_execnz .LBB278_902
; %bb.675:                              ;   in Loop: Header=BB278_488 Depth=1
	s_or_saveexec_b64 s[6:7], s[6:7]
	v_mov_b32_e32 v17, s18
	s_xor_b64 exec, exec, s[6:7]
	s_cbranch_execnz .LBB278_905
.LBB278_676:                            ;   in Loop: Header=BB278_488 Depth=1
	s_or_b64 exec, exec, s[6:7]
	v_mov_b32_e32 v6, v25
	s_and_saveexec_b64 s[6:7], s[0:1]
	s_cbranch_execz .LBB278_678
.LBB278_677:                            ;   in Loop: Header=BB278_488 Depth=1
	v_and_b32_e32 v12, 7, v25
	v_ffbh_u32_e32 v12, v12
	v_bfe_u32 v17, v25, 3, 4
	v_min_u32_e32 v12, 32, v12
	v_subrev_u32_e32 v18, 28, v12
	v_sub_u32_e32 v12, 29, v12
	v_cmp_eq_u32_e64 s[0:1], 0, v17
	s_nop 1
	v_cndmask_b32_e64 v12, v17, v12, s[0:1]
	v_cndmask_b32_e64 v17, 0, v18, s[0:1]
	v_lshlrev_b64 v[22:23], v17, v[6:7]
	v_lshlrev_b32_e32 v18, 8, v25
	v_lshl_add_u32 v12, v12, 10, v48
	v_lshlrev_b32_e32 v17, 7, v22
	v_and_or_b32 v12, v18, s21, v12
	v_and_or_b32 v12, v17, s22, v12
	v_cvt_f32_f16_e32 v17, v12
.LBB278_678:                            ;   in Loop: Header=BB278_488 Depth=1
	s_or_b64 exec, exec, s[6:7]
	v_lshrrev_b16_e32 v6, 8, v6
	v_cmp_lt_i16_e64 s[0:1], s17, v6
	s_mov_b64 s[6:7], 0
                                        ; implicit-def: $sgpr26
	s_and_saveexec_b64 s[8:9], s[0:1]
	s_xor_b64 s[8:9], exec, s[8:9]
	s_cbranch_execnz .LBB278_906
; %bb.679:                              ;   in Loop: Header=BB278_488 Depth=1
	s_or_saveexec_b64 s[8:9], s[8:9]
	v_mov_b32_e32 v18, s26
	s_xor_b64 exec, exec, s[8:9]
	s_cbranch_execnz .LBB278_909
.LBB278_680:                            ;   in Loop: Header=BB278_488 Depth=1
	s_or_b64 exec, exec, s[8:9]
	s_and_saveexec_b64 s[8:9], s[6:7]
	s_cbranch_execz .LBB278_682
.LBB278_681:                            ;   in Loop: Header=BB278_488 Depth=1
	v_and_b32_e32 v12, 7, v6
	v_ffbh_u32_e32 v22, v12
	v_min_u32_e32 v24, 32, v22
	v_subrev_u32_e32 v22, 28, v24
	v_bfe_u32 v18, v6, 3, 4
	v_lshlrev_b64 v[22:23], v22, v[6:7]
	v_sub_u32_e32 v23, 29, v24
	v_cmp_eq_u32_e64 s[0:1], 0, v18
	v_and_b32_e32 v22, 7, v22
	v_lshlrev_b32_e32 v6, 8, v6
	v_cndmask_b32_e64 v18, v18, v23, s[0:1]
	v_lshl_add_u32 v18, v18, 10, v48
	v_cndmask_b32_e64 v12, v12, v22, s[0:1]
	v_and_or_b32 v6, v6, s21, v18
	v_lshl_or_b32 v6, v12, 7, v6
	v_cvt_f32_f16_e32 v18, v6
.LBB278_682:                            ;   in Loop: Header=BB278_488 Depth=1
	s_or_b64 exec, exec, s[8:9]
	v_lshrrev_b32_e32 v6, 16, v25
	v_cmp_gt_i16_sdwa s[6:7], v6, s17 src0_sel:BYTE_0 src1_sel:DWORD
	s_mov_b64 s[0:1], 0
                                        ; implicit-def: $sgpr18
	s_and_saveexec_b64 s[8:9], s[6:7]
	s_xor_b64 s[6:7], exec, s[8:9]
	s_cbranch_execnz .LBB278_910
; %bb.683:                              ;   in Loop: Header=BB278_488 Depth=1
	s_or_saveexec_b64 s[6:7], s[6:7]
	v_mov_b32_e32 v22, s18
	s_xor_b64 exec, exec, s[6:7]
	s_cbranch_execnz .LBB278_913
.LBB278_684:                            ;   in Loop: Header=BB278_488 Depth=1
	s_or_b64 exec, exec, s[6:7]
	s_and_saveexec_b64 s[6:7], s[0:1]
	s_cbranch_execz .LBB278_686
.LBB278_685:                            ;   in Loop: Header=BB278_488 Depth=1
	v_bfe_u32 v12, v25, 16, 3
	v_ffbh_u32_e32 v22, v12
	v_min_u32_e32 v34, 32, v22
	v_subrev_u32_e32 v22, 28, v34
	v_bfe_u32 v24, v25, 19, 4
	v_lshlrev_b64 v[22:23], v22, v[6:7]
	v_sub_u32_e32 v23, 29, v34
	v_cmp_eq_u32_e64 s[0:1], 0, v24
	v_and_b32_e32 v22, 7, v22
	v_lshlrev_b32_e32 v6, 8, v6
	v_cndmask_b32_e64 v23, v24, v23, s[0:1]
	v_cndmask_b32_e64 v12, v12, v22, s[0:1]
	v_lshl_add_u32 v22, v23, 10, v48
	v_and_or_b32 v6, v6, s21, v22
	v_lshl_or_b32 v6, v12, 7, v6
	v_cvt_f32_f16_e32 v22, v6
.LBB278_686:                            ;   in Loop: Header=BB278_488 Depth=1
	s_or_b64 exec, exec, s[6:7]
	v_lshrrev_b32_e32 v6, 24, v25
	v_cmp_lt_i16_e64 s[0:1], s17, v6
	s_mov_b64 s[6:7], 0
                                        ; implicit-def: $sgpr26
	s_and_saveexec_b64 s[8:9], s[0:1]
	s_xor_b64 s[8:9], exec, s[8:9]
	s_cbranch_execnz .LBB278_914
; %bb.687:                              ;   in Loop: Header=BB278_488 Depth=1
	s_or_saveexec_b64 s[8:9], s[8:9]
	v_mov_b32_e32 v24, s26
	s_xor_b64 exec, exec, s[8:9]
	s_cbranch_execnz .LBB278_917
.LBB278_688:                            ;   in Loop: Header=BB278_488 Depth=1
	s_or_b64 exec, exec, s[8:9]
	s_and_saveexec_b64 s[8:9], s[6:7]
	s_cbranch_execz .LBB278_690
.LBB278_689:                            ;   in Loop: Header=BB278_488 Depth=1
	v_bfe_u32 v12, v25, 24, 3
	v_ffbh_u32_e32 v24, v12
	v_min_u32_e32 v34, 32, v24
	v_subrev_u32_e32 v24, 28, v34
	v_bfe_u32 v23, v25, 27, 4
	v_lshlrev_b64 v[24:25], v24, v[6:7]
	v_sub_u32_e32 v25, 29, v34
	v_cmp_eq_u32_e64 s[0:1], 0, v23
	v_and_b32_e32 v24, 7, v24
	v_lshlrev_b32_e32 v6, 8, v6
	v_cndmask_b32_e64 v23, v23, v25, s[0:1]
	v_lshl_add_u32 v23, v23, 10, v48
	v_cndmask_b32_e64 v12, v12, v24, s[0:1]
	v_and_or_b32 v6, v6, s21, v23
	v_lshl_or_b32 v6, v12, 7, v6
	v_cvt_f32_f16_e32 v24, v6
.LBB278_690:                            ;   in Loop: Header=BB278_488 Depth=1
	s_or_b64 exec, exec, s[8:9]
	v_pk_mul_f32 v[28:29], v[16:17], v[28:29] op_sel_hi:[0,1]
	v_pk_mul_f32 v[26:27], v[16:17], v[26:27] op_sel_hi:[0,1]
	v_cvt_f16_f32_e32 v6, v29
	v_cvt_f16_f32_e32 v12, v28
	;; [unrolled: 1-line block ×4, first 2 shown]
	v_fma_mixlo_f16 v17, v16, v17, 0
	v_pack_b32_f16 v12, v12, v6
	v_pack_b32_f16 v23, v25, v23
	v_perm_b32 v6, v23, v12, s23
	v_perm_b32 v23, v23, v12, s24
	v_fma_mixlo_f16 v12, v16, v18, 0
	v_lshlrev_b32_e32 v12, 16, v12
	v_or_b32_sdwa v17, v12, v17 dst_sel:DWORD dst_unused:UNUSED_PAD src0_sel:DWORD src1_sel:WORD_0
	v_fma_mixlo_f16 v12, v16, v24, 0
	v_fma_mixlo_f16 v18, v16, v22, 0
	v_lshlrev_b32_e32 v12, 16, v12
	v_or_b32_sdwa v16, v12, v18 dst_sel:DWORD dst_unused:UNUSED_PAD src0_sel:DWORD src1_sel:WORD_0
	s_and_saveexec_b64 s[6:7], vcc
	s_cbranch_execz .LBB278_692
; %bb.691:                              ;   in Loop: Header=BB278_488 Depth=1
	v_lshrrev_b32_e32 v12, 16, v23
	v_cmp_lt_i32_e64 s[0:1], v55, v13
	v_accvgpr_read_b32 v24, a8
	s_nop 0
	v_cndmask_b32_e64 v12, 0, v12, s[0:1]
	v_cmp_lt_i32_e64 s[0:1], v38, v24
	s_nop 1
	v_cndmask_b32_e64 v22, 0, v23, s[0:1]
	v_perm_b32 v23, v12, v22, s25
	v_lshrrev_b32_e32 v12, 16, v6
	v_cmp_lt_i32_e64 s[0:1], v54, v13
	s_nop 1
	v_cndmask_b32_e64 v12, 0, v12, s[0:1]
	v_cmp_lt_i32_e64 s[0:1], v53, v24
	s_nop 1
	v_cndmask_b32_e64 v6, 0, v6, s[0:1]
	v_perm_b32 v6, v12, v6, s25
	v_lshrrev_b32_e32 v12, 16, v17
	v_cmp_lt_i32_e64 s[0:1], v52, v13
	;; [unrolled: 8-line block ×3, first 2 shown]
	s_nop 1
	v_cndmask_b32_e64 v12, 0, v12, s[0:1]
	v_cmp_lt_i32_e64 s[0:1], v49, v24
	s_nop 1
	v_cndmask_b32_e64 v16, 0, v18, s[0:1]
	v_perm_b32 v16, v12, v16, s25
.LBB278_692:                            ;   in Loop: Header=BB278_488 Depth=1
	s_or_b64 exec, exec, s[6:7]
	;;#ASMSTART
	v_pk_mul_f16 v12, v40, v23;

	;;#ASMEND
	;;#ASMSTART
	v_pk_mul_f16 v6, v41, v6;

	;;#ASMEND
	;; [unrolled: 4-line block ×4, first 2 shown]
	s_mov_b64 s[0:1], 0
	;;#ASMSTART
	v_pk_add_f16 v6, v12, v6;

	;;#ASMEND
                                        ; implicit-def: $sgpr18
	s_nop 0
	;;#ASMSTART
	v_pk_add_f16 v6, v6, v17;

	;;#ASMEND
	s_nop 0
	;;#ASMSTART
	v_pk_add_f16 v6, v6, v16;

	;;#ASMEND
	s_nop 0
	v_lshrrev_b32_e32 v12, 16, v6
	v_and_b32_e32 v6, 0xffff, v6
	;;#ASMSTART
	v_cvt_f32_f16 v18, v6;
	;;#ASMEND
	;;#ASMSTART
	v_cvt_f32_f16 v22, v12;
	;;#ASMEND
	flat_load_dwordx2 v[16:17], v[10:11] offset:3072
	v_accvgpr_read_b32 v11, a5
	v_accvgpr_read_b32 v10, a4
	flat_load_dword v10, v[10:11]
	s_waitcnt vmcnt(0) lgkmcnt(0)
	v_cmp_gt_i16_sdwa s[6:7], v16, s17 src0_sel:BYTE_0 src1_sel:DWORD
	s_and_saveexec_b64 s[8:9], s[6:7]
	s_xor_b64 s[6:7], exec, s[8:9]
	s_cbranch_execnz .LBB278_918
; %bb.693:                              ;   in Loop: Header=BB278_488 Depth=1
	s_or_saveexec_b64 s[6:7], s[6:7]
	v_mov_b32_e32 v24, s18
	s_xor_b64 exec, exec, s[6:7]
	s_cbranch_execnz .LBB278_921
.LBB278_694:                            ;   in Loop: Header=BB278_488 Depth=1
	s_or_b64 exec, exec, s[6:7]
	s_and_saveexec_b64 s[6:7], s[0:1]
	s_cbranch_execz .LBB278_696
.LBB278_695:                            ;   in Loop: Header=BB278_488 Depth=1
	v_and_b32_e32 v6, 7, v16
	v_ffbh_u32_e32 v6, v6
	v_bfe_u32 v11, v16, 3, 4
	v_min_u32_e32 v6, 32, v6
	v_subrev_u32_e32 v12, 28, v6
	v_sub_u32_e32 v6, 29, v6
	v_cmp_eq_u32_e64 s[0:1], 0, v11
	s_nop 1
	v_cndmask_b32_e64 v6, v11, v6, s[0:1]
	v_cndmask_b32_e64 v11, 0, v12, s[0:1]
	v_lshlrev_b64 v[24:25], v11, v[16:17]
	v_lshlrev_b32_e32 v12, 8, v16
	v_lshl_add_u32 v6, v6, 10, v48
	v_lshlrev_b32_e32 v11, 7, v24
	v_and_or_b32 v6, v12, s21, v6
	v_and_or_b32 v6, v11, s22, v6
	v_cvt_f32_f16_e32 v24, v6
.LBB278_696:                            ;   in Loop: Header=BB278_488 Depth=1
	s_or_b64 exec, exec, s[6:7]
	v_lshrrev_b16_e32 v6, 8, v16
	v_cmp_lt_i16_e64 s[0:1], s17, v6
	s_mov_b64 s[6:7], 0
                                        ; implicit-def: $sgpr26
	s_and_saveexec_b64 s[8:9], s[0:1]
	s_xor_b64 s[8:9], exec, s[8:9]
	s_cbranch_execnz .LBB278_922
; %bb.697:                              ;   in Loop: Header=BB278_488 Depth=1
	s_or_saveexec_b64 s[8:9], s[8:9]
	v_mov_b32_e32 v26, s26
	s_xor_b64 exec, exec, s[8:9]
	s_cbranch_execnz .LBB278_925
.LBB278_698:                            ;   in Loop: Header=BB278_488 Depth=1
	s_or_b64 exec, exec, s[8:9]
	s_and_saveexec_b64 s[8:9], s[6:7]
	s_cbranch_execz .LBB278_700
.LBB278_699:                            ;   in Loop: Header=BB278_488 Depth=1
	v_and_b32_e32 v11, 7, v6
	v_ffbh_u32_e32 v23, v11
	v_bfe_u32 v12, v6, 3, 4
	v_min_u32_e32 v23, 32, v23
	v_subrev_u32_e32 v25, 28, v23
	v_sub_u32_e32 v23, 29, v23
	v_cmp_eq_u32_e64 s[0:1], 0, v12
	v_lshlrev_b64 v[26:27], v25, v[6:7]
	v_and_b32_e32 v25, 7, v26
	v_cndmask_b32_e64 v12, v12, v23, s[0:1]
	v_lshlrev_b32_e32 v6, 8, v6
	v_lshl_add_u32 v12, v12, 10, v48
	v_cndmask_b32_e64 v11, v11, v25, s[0:1]
	v_and_or_b32 v6, v6, s21, v12
	v_lshl_or_b32 v6, v11, 7, v6
	v_cvt_f32_f16_e32 v26, v6
.LBB278_700:                            ;   in Loop: Header=BB278_488 Depth=1
	s_or_b64 exec, exec, s[8:9]
	v_lshrrev_b32_e32 v6, 16, v16
	v_cmp_gt_i16_sdwa s[6:7], v6, s17 src0_sel:BYTE_0 src1_sel:DWORD
	s_mov_b64 s[0:1], 0
                                        ; implicit-def: $sgpr18
	s_and_saveexec_b64 s[8:9], s[6:7]
	s_xor_b64 s[6:7], exec, s[8:9]
	s_cbranch_execnz .LBB278_926
; %bb.701:                              ;   in Loop: Header=BB278_488 Depth=1
	s_or_saveexec_b64 s[6:7], s[6:7]
	v_mov_b32_e32 v25, s18
	s_xor_b64 exec, exec, s[6:7]
	s_cbranch_execnz .LBB278_929
.LBB278_702:                            ;   in Loop: Header=BB278_488 Depth=1
	s_or_b64 exec, exec, s[6:7]
	s_and_saveexec_b64 s[6:7], s[0:1]
	s_cbranch_execz .LBB278_704
.LBB278_703:                            ;   in Loop: Header=BB278_488 Depth=1
	v_bfe_u32 v11, v16, 16, 3
	v_ffbh_u32_e32 v23, v11
	v_bfe_u32 v12, v16, 19, 4
	v_min_u32_e32 v23, 32, v23
	v_subrev_u32_e32 v25, 28, v23
	v_sub_u32_e32 v23, 29, v23
	v_cmp_eq_u32_e64 s[0:1], 0, v12
	v_lshlrev_b64 v[28:29], v25, v[6:7]
	v_and_b32_e32 v25, 7, v28
	v_cndmask_b32_e64 v12, v12, v23, s[0:1]
	v_lshlrev_b32_e32 v6, 8, v6
	v_lshl_add_u32 v12, v12, 10, v48
	v_cndmask_b32_e64 v11, v11, v25, s[0:1]
	v_and_or_b32 v6, v6, s21, v12
	v_lshl_or_b32 v6, v11, 7, v6
	v_cvt_f32_f16_e32 v25, v6
.LBB278_704:                            ;   in Loop: Header=BB278_488 Depth=1
	s_or_b64 exec, exec, s[6:7]
	v_lshrrev_b32_e32 v6, 24, v16
	v_cmp_lt_i16_e64 s[0:1], s17, v6
	s_mov_b64 s[6:7], 0
                                        ; implicit-def: $sgpr26
	s_and_saveexec_b64 s[8:9], s[0:1]
	s_xor_b64 s[8:9], exec, s[8:9]
	s_cbranch_execnz .LBB278_930
; %bb.705:                              ;   in Loop: Header=BB278_488 Depth=1
	s_or_saveexec_b64 s[8:9], s[8:9]
	v_mov_b32_e32 v27, s26
	s_xor_b64 exec, exec, s[8:9]
	s_cbranch_execnz .LBB278_933
.LBB278_706:                            ;   in Loop: Header=BB278_488 Depth=1
	s_or_b64 exec, exec, s[8:9]
	s_and_saveexec_b64 s[8:9], s[6:7]
	s_cbranch_execz .LBB278_708
.LBB278_707:                            ;   in Loop: Header=BB278_488 Depth=1
	v_bfe_u32 v11, v16, 24, 3
	v_bfe_u32 v12, v16, 27, 4
	v_ffbh_u32_e32 v16, v11
	v_min_u32_e32 v16, 32, v16
	v_subrev_u32_e32 v23, 28, v16
	v_sub_u32_e32 v16, 29, v16
	v_cmp_eq_u32_e64 s[0:1], 0, v12
	v_lshlrev_b64 v[28:29], v23, v[6:7]
	v_and_b32_e32 v23, 7, v28
	v_cndmask_b32_e64 v12, v12, v16, s[0:1]
	v_lshlrev_b32_e32 v6, 8, v6
	v_lshl_add_u32 v12, v12, 10, v48
	v_cndmask_b32_e64 v11, v11, v23, s[0:1]
	v_and_or_b32 v6, v6, s21, v12
	v_lshl_or_b32 v6, v11, 7, v6
	v_cvt_f32_f16_e32 v27, v6
.LBB278_708:                            ;   in Loop: Header=BB278_488 Depth=1
	s_or_b64 exec, exec, s[8:9]
	v_cmp_gt_i16_sdwa s[6:7], v17, s17 src0_sel:BYTE_0 src1_sel:DWORD
	s_mov_b64 s[0:1], 0
                                        ; implicit-def: $sgpr18
	s_and_saveexec_b64 s[8:9], s[6:7]
	s_xor_b64 s[6:7], exec, s[8:9]
	s_cbranch_execnz .LBB278_934
; %bb.709:                              ;   in Loop: Header=BB278_488 Depth=1
	s_or_saveexec_b64 s[6:7], s[6:7]
	v_mov_b32_e32 v11, s18
	s_xor_b64 exec, exec, s[6:7]
	s_cbranch_execnz .LBB278_937
.LBB278_710:                            ;   in Loop: Header=BB278_488 Depth=1
	s_or_b64 exec, exec, s[6:7]
	v_mov_b32_e32 v6, v17
	s_and_saveexec_b64 s[6:7], s[0:1]
	s_cbranch_execz .LBB278_712
.LBB278_711:                            ;   in Loop: Header=BB278_488 Depth=1
	v_and_b32_e32 v11, 7, v17
	v_ffbh_u32_e32 v11, v11
	v_bfe_u32 v12, v17, 3, 4
	v_min_u32_e32 v11, 32, v11
	v_subrev_u32_e32 v16, 28, v11
	v_sub_u32_e32 v11, 29, v11
	v_cmp_eq_u32_e64 s[0:1], 0, v12
	s_nop 1
	v_cndmask_b32_e64 v11, v12, v11, s[0:1]
	v_cndmask_b32_e64 v12, 0, v16, s[0:1]
	v_lshlrev_b64 v[28:29], v12, v[6:7]
	v_lshlrev_b32_e32 v16, 8, v17
	v_lshl_add_u32 v11, v11, 10, v48
	v_lshlrev_b32_e32 v12, 7, v28
	v_and_or_b32 v11, v16, s21, v11
	v_and_or_b32 v11, v12, s22, v11
	v_cvt_f32_f16_e32 v11, v11
.LBB278_712:                            ;   in Loop: Header=BB278_488 Depth=1
	s_or_b64 exec, exec, s[6:7]
	v_lshrrev_b16_e32 v6, 8, v6
	v_cmp_lt_i16_e64 s[0:1], s17, v6
	s_mov_b64 s[6:7], 0
                                        ; implicit-def: $sgpr26
	s_and_saveexec_b64 s[8:9], s[0:1]
	s_xor_b64 s[8:9], exec, s[8:9]
	s_cbranch_execnz .LBB278_938
; %bb.713:                              ;   in Loop: Header=BB278_488 Depth=1
	s_or_saveexec_b64 s[8:9], s[8:9]
	v_mov_b32_e32 v16, s26
	s_xor_b64 exec, exec, s[8:9]
	s_cbranch_execnz .LBB278_941
.LBB278_714:                            ;   in Loop: Header=BB278_488 Depth=1
	s_or_b64 exec, exec, s[8:9]
	s_and_saveexec_b64 s[8:9], s[6:7]
	s_cbranch_execz .LBB278_716
.LBB278_715:                            ;   in Loop: Header=BB278_488 Depth=1
	v_and_b32_e32 v12, 7, v6
	v_ffbh_u32_e32 v23, v12
	v_bfe_u32 v16, v6, 3, 4
	v_min_u32_e32 v23, 32, v23
	v_subrev_u32_e32 v28, 28, v23
	v_sub_u32_e32 v23, 29, v23
	v_cmp_eq_u32_e64 s[0:1], 0, v16
	v_lshlrev_b64 v[28:29], v28, v[6:7]
	v_and_b32_e32 v28, 7, v28
	v_cndmask_b32_e64 v16, v16, v23, s[0:1]
	v_lshlrev_b32_e32 v6, 8, v6
	v_lshl_add_u32 v16, v16, 10, v48
	v_cndmask_b32_e64 v12, v12, v28, s[0:1]
	v_and_or_b32 v6, v6, s21, v16
	v_lshl_or_b32 v6, v12, 7, v6
	v_cvt_f32_f16_e32 v16, v6
.LBB278_716:                            ;   in Loop: Header=BB278_488 Depth=1
	s_or_b64 exec, exec, s[8:9]
	v_lshrrev_b32_e32 v6, 16, v17
	v_cmp_gt_i16_sdwa s[6:7], v6, s17 src0_sel:BYTE_0 src1_sel:DWORD
	s_mov_b64 s[0:1], 0
                                        ; implicit-def: $sgpr18
	s_and_saveexec_b64 s[8:9], s[6:7]
	s_xor_b64 s[6:7], exec, s[8:9]
	s_cbranch_execnz .LBB278_942
; %bb.717:                              ;   in Loop: Header=BB278_488 Depth=1
	s_or_saveexec_b64 s[6:7], s[6:7]
	v_mov_b32_e32 v23, s18
	s_xor_b64 exec, exec, s[6:7]
	s_cbranch_execnz .LBB278_945
.LBB278_718:                            ;   in Loop: Header=BB278_488 Depth=1
	s_or_b64 exec, exec, s[6:7]
	s_and_saveexec_b64 s[6:7], s[0:1]
	s_cbranch_execz .LBB278_720
.LBB278_719:                            ;   in Loop: Header=BB278_488 Depth=1
	v_bfe_u32 v12, v17, 16, 3
	v_ffbh_u32_e32 v28, v12
	v_min_u32_e32 v34, 32, v28
	v_subrev_u32_e32 v28, 28, v34
	v_bfe_u32 v23, v17, 19, 4
	v_lshlrev_b64 v[28:29], v28, v[6:7]
	v_sub_u32_e32 v29, 29, v34
	v_cmp_eq_u32_e64 s[0:1], 0, v23
	v_and_b32_e32 v28, 7, v28
	v_lshlrev_b32_e32 v6, 8, v6
	v_cndmask_b32_e64 v23, v23, v29, s[0:1]
	v_lshl_add_u32 v23, v23, 10, v48
	v_cndmask_b32_e64 v12, v12, v28, s[0:1]
	v_and_or_b32 v6, v6, s21, v23
	v_lshl_or_b32 v6, v12, 7, v6
	v_cvt_f32_f16_e32 v23, v6
.LBB278_720:                            ;   in Loop: Header=BB278_488 Depth=1
	s_or_b64 exec, exec, s[6:7]
	v_lshrrev_b32_e32 v6, 24, v17
	v_cmp_lt_i16_e64 s[0:1], s17, v6
	s_mov_b64 s[6:7], 0
                                        ; implicit-def: $sgpr26
	s_and_saveexec_b64 s[8:9], s[0:1]
	s_xor_b64 s[8:9], exec, s[8:9]
	s_cbranch_execnz .LBB278_946
; %bb.721:                              ;   in Loop: Header=BB278_488 Depth=1
	s_or_saveexec_b64 s[8:9], s[8:9]
	v_mov_b32_e32 v28, s26
	s_xor_b64 exec, exec, s[8:9]
	s_cbranch_execnz .LBB278_949
.LBB278_722:                            ;   in Loop: Header=BB278_488 Depth=1
	s_or_b64 exec, exec, s[8:9]
	s_and_saveexec_b64 s[8:9], s[6:7]
	s_cbranch_execz .LBB278_724
.LBB278_723:                            ;   in Loop: Header=BB278_488 Depth=1
	v_bfe_u32 v12, v17, 24, 3
	v_ffbh_u32_e32 v28, v12
	v_min_u32_e32 v34, 32, v28
	v_subrev_u32_e32 v28, 28, v34
	v_bfe_u32 v17, v17, 27, 4
	v_lshlrev_b64 v[28:29], v28, v[6:7]
	v_sub_u32_e32 v29, 29, v34
	v_cmp_eq_u32_e64 s[0:1], 0, v17
	v_and_b32_e32 v28, 7, v28
	v_lshlrev_b32_e32 v6, 8, v6
	v_cndmask_b32_e64 v17, v17, v29, s[0:1]
	v_lshl_add_u32 v17, v17, 10, v48
	v_cndmask_b32_e64 v12, v12, v28, s[0:1]
	v_and_or_b32 v6, v6, s21, v17
	v_lshl_or_b32 v6, v12, 7, v6
	v_cvt_f32_f16_e32 v28, v6
.LBB278_724:                            ;   in Loop: Header=BB278_488 Depth=1
	s_or_b64 exec, exec, s[8:9]
	v_pk_mul_f32 v[26:27], v[10:11], v[26:27] op_sel_hi:[0,1]
	v_pk_mul_f32 v[24:25], v[10:11], v[24:25] op_sel_hi:[0,1]
	v_cvt_f16_f32_e32 v6, v27
	v_cvt_f16_f32_e32 v12, v26
	;; [unrolled: 1-line block ×4, first 2 shown]
	v_fma_mixlo_f16 v11, v10, v11, 0
	v_pack_b32_f16 v12, v12, v6
	v_pack_b32_f16 v17, v24, v17
	v_perm_b32 v6, v17, v12, s23
	v_perm_b32 v17, v17, v12, s24
	v_fma_mixlo_f16 v12, v10, v16, 0
	v_fma_mixlo_f16 v16, v10, v23, 0
	;; [unrolled: 1-line block ×3, first 2 shown]
	v_lshlrev_b32_e32 v12, 16, v12
	v_lshlrev_b32_e32 v10, 16, v10
	v_or_b32_sdwa v11, v12, v11 dst_sel:DWORD dst_unused:UNUSED_PAD src0_sel:DWORD src1_sel:WORD_0
	v_or_b32_sdwa v10, v10, v16 dst_sel:DWORD dst_unused:UNUSED_PAD src0_sel:DWORD src1_sel:WORD_0
	s_and_saveexec_b64 s[0:1], vcc
	s_cbranch_execz .LBB278_487
; %bb.725:                              ;   in Loop: Header=BB278_488 Depth=1
	v_lshrrev_b32_e32 v12, 16, v17
	v_cmp_lt_i32_e32 vcc, v55, v13
	v_accvgpr_read_b32 v24, a8
	v_lshrrev_b32_e32 v10, 16, v10
	v_cndmask_b32_e32 v12, 0, v12, vcc
	v_cmp_lt_i32_e32 vcc, v38, v24
	s_nop 1
	v_cndmask_b32_e32 v17, 0, v17, vcc
	v_perm_b32 v17, v12, v17, s25
	v_lshrrev_b32_e32 v12, 16, v6
	v_cmp_lt_i32_e32 vcc, v54, v13
	s_nop 1
	v_cndmask_b32_e32 v12, 0, v12, vcc
	v_cmp_lt_i32_e32 vcc, v53, v24
	s_nop 1
	v_cndmask_b32_e32 v6, 0, v6, vcc
	v_perm_b32 v6, v12, v6, s25
	v_lshrrev_b32_e32 v12, 16, v11
	v_cmp_lt_i32_e32 vcc, v52, v13
	s_nop 1
	v_cndmask_b32_e32 v12, 0, v12, vcc
	v_cmp_lt_i32_e32 vcc, v51, v24
	s_nop 1
	v_cndmask_b32_e32 v11, 0, v11, vcc
	v_cmp_lt_i32_e32 vcc, v50, v13
	v_perm_b32 v11, v12, v11, s25
	s_nop 0
	v_cndmask_b32_e32 v10, 0, v10, vcc
	v_cmp_lt_i32_e32 vcc, v49, v24
	s_nop 1
	v_cndmask_b32_e32 v12, 0, v16, vcc
	v_perm_b32 v10, v10, v12, s25
	s_branch .LBB278_487
.LBB278_726:                            ;   in Loop: Header=BB278_488 Depth=1
	v_cmp_eq_u16_sdwa s[26:27], v24, s20 src0_sel:BYTE_0 src1_sel:DWORD
	s_mov_b64 s[0:1], -1
                                        ; implicit-def: $sgpr18
	s_and_saveexec_b64 s[8:9], s[26:27]
; %bb.727:                              ;   in Loop: Header=BB278_488 Depth=1
	s_mov_b32 s18, 0x7fc02000
	s_xor_b64 s[0:1], exec, -1
; %bb.728:                              ;   in Loop: Header=BB278_488 Depth=1
	s_or_b64 exec, exec, s[8:9]
	s_and_b64 s[0:1], s[0:1], exec
	s_or_saveexec_b64 s[6:7], s[6:7]
	v_mov_b32_e32 v26, s18
	s_xor_b64 exec, exec, s[6:7]
	s_cbranch_execz .LBB278_490
.LBB278_729:                            ;   in Loop: Header=BB278_488 Depth=1
	v_cmp_ne_u16_sdwa s[8:9], v24, v7 src0_sel:BYTE_0 src1_sel:DWORD
	s_andn2_b64 s[0:1], s[0:1], exec
	s_and_b64 s[8:9], s[8:9], exec
	v_mov_b32_e32 v26, 0
	s_or_b64 s[0:1], s[0:1], s[8:9]
	s_or_b64 exec, exec, s[6:7]
	s_and_saveexec_b64 s[6:7], s[0:1]
	s_cbranch_execnz .LBB278_491
	s_branch .LBB278_492
.LBB278_730:                            ;   in Loop: Header=BB278_488 Depth=1
	v_cmp_eq_u16_e32 vcc, s20, v6
	s_mov_b64 s[0:1], -1
                                        ; implicit-def: $sgpr18
	s_and_saveexec_b64 s[8:9], vcc
; %bb.731:                              ;   in Loop: Header=BB278_488 Depth=1
	s_mov_b32 s18, 0x7fc02000
	s_xor_b64 s[0:1], exec, -1
; %bb.732:                              ;   in Loop: Header=BB278_488 Depth=1
	s_or_b64 exec, exec, s[8:9]
	s_and_b64 s[0:1], s[0:1], exec
	s_or_saveexec_b64 s[6:7], s[6:7]
	v_mov_b32_e32 v28, s18
	s_xor_b64 exec, exec, s[6:7]
	s_cbranch_execz .LBB278_494
.LBB278_733:                            ;   in Loop: Header=BB278_488 Depth=1
	v_cmp_ne_u16_e32 vcc, 0, v6
	s_andn2_b64 s[0:1], s[0:1], exec
	s_and_b64 s[8:9], vcc, exec
	v_mov_b32_e32 v28, 0
	s_or_b64 s[0:1], s[0:1], s[8:9]
	s_or_b64 exec, exec, s[6:7]
	s_and_saveexec_b64 s[6:7], s[0:1]
	s_cbranch_execnz .LBB278_495
	s_branch .LBB278_496
.LBB278_734:                            ;   in Loop: Header=BB278_488 Depth=1
	v_cmp_eq_u16_sdwa s[26:27], v6, s20 src0_sel:BYTE_0 src1_sel:DWORD
	s_mov_b64 s[0:1], -1
                                        ; implicit-def: $sgpr18
	s_and_saveexec_b64 s[8:9], s[26:27]
; %bb.735:                              ;   in Loop: Header=BB278_488 Depth=1
	s_mov_b32 s18, 0x7fc02000
	s_xor_b64 s[0:1], exec, -1
; %bb.736:                              ;   in Loop: Header=BB278_488 Depth=1
	s_or_b64 exec, exec, s[8:9]
	s_and_b64 s[0:1], s[0:1], exec
	s_or_saveexec_b64 s[6:7], s[6:7]
	v_mov_b32_e32 v27, s18
	s_xor_b64 exec, exec, s[6:7]
	s_cbranch_execz .LBB278_498
.LBB278_737:                            ;   in Loop: Header=BB278_488 Depth=1
	v_cmp_ne_u16_sdwa s[8:9], v6, v7 src0_sel:BYTE_0 src1_sel:DWORD
	s_andn2_b64 s[0:1], s[0:1], exec
	s_and_b64 s[8:9], s[8:9], exec
	v_mov_b32_e32 v27, 0
	s_or_b64 s[0:1], s[0:1], s[8:9]
	s_or_b64 exec, exec, s[6:7]
	s_and_saveexec_b64 s[6:7], s[0:1]
	s_cbranch_execnz .LBB278_499
	s_branch .LBB278_500
.LBB278_738:                            ;   in Loop: Header=BB278_488 Depth=1
	v_cmp_eq_u16_e32 vcc, s20, v6
	s_mov_b64 s[0:1], -1
                                        ; implicit-def: $sgpr18
	s_and_saveexec_b64 s[8:9], vcc
; %bb.739:                              ;   in Loop: Header=BB278_488 Depth=1
	s_mov_b32 s18, 0x7fc02000
	s_xor_b64 s[0:1], exec, -1
; %bb.740:                              ;   in Loop: Header=BB278_488 Depth=1
	s_or_b64 exec, exec, s[8:9]
	s_and_b64 s[0:1], s[0:1], exec
	s_or_saveexec_b64 s[6:7], s[6:7]
	v_mov_b32_e32 v29, s18
	s_xor_b64 exec, exec, s[6:7]
	s_cbranch_execz .LBB278_502
.LBB278_741:                            ;   in Loop: Header=BB278_488 Depth=1
	v_cmp_ne_u16_e32 vcc, 0, v6
	s_andn2_b64 s[0:1], s[0:1], exec
	s_and_b64 s[8:9], vcc, exec
	v_mov_b32_e32 v29, 0
	s_or_b64 s[0:1], s[0:1], s[8:9]
	s_or_b64 exec, exec, s[6:7]
	s_and_saveexec_b64 s[6:7], s[0:1]
	s_cbranch_execnz .LBB278_503
	s_branch .LBB278_504
.LBB278_742:                            ;   in Loop: Header=BB278_488 Depth=1
	v_cmp_eq_u16_sdwa s[26:27], v25, s20 src0_sel:BYTE_0 src1_sel:DWORD
	s_mov_b64 s[0:1], -1
                                        ; implicit-def: $sgpr18
	s_and_saveexec_b64 s[8:9], s[26:27]
; %bb.743:                              ;   in Loop: Header=BB278_488 Depth=1
	s_mov_b32 s18, 0x7fc02000
	s_xor_b64 s[0:1], exec, -1
; %bb.744:                              ;   in Loop: Header=BB278_488 Depth=1
	s_or_b64 exec, exec, s[8:9]
	s_and_b64 s[0:1], s[0:1], exec
	s_or_saveexec_b64 s[6:7], s[6:7]
	v_mov_b32_e32 v24, s18
	s_xor_b64 exec, exec, s[6:7]
	s_cbranch_execz .LBB278_506
.LBB278_745:                            ;   in Loop: Header=BB278_488 Depth=1
	v_cmp_ne_u16_sdwa s[8:9], v25, v7 src0_sel:BYTE_0 src1_sel:DWORD
	s_andn2_b64 s[0:1], s[0:1], exec
	s_and_b64 s[8:9], s[8:9], exec
	v_mov_b32_e32 v24, 0
	s_or_b64 s[0:1], s[0:1], s[8:9]
	s_or_b64 exec, exec, s[6:7]
	v_mov_b32_e32 v6, v25
	s_and_saveexec_b64 s[6:7], s[0:1]
	s_cbranch_execnz .LBB278_507
	s_branch .LBB278_508
.LBB278_746:                            ;   in Loop: Header=BB278_488 Depth=1
	v_cmp_eq_u16_e32 vcc, s20, v6
	s_mov_b64 s[0:1], -1
                                        ; implicit-def: $sgpr18
	s_and_saveexec_b64 s[8:9], vcc
; %bb.747:                              ;   in Loop: Header=BB278_488 Depth=1
	s_mov_b32 s18, 0x7fc02000
	s_xor_b64 s[0:1], exec, -1
; %bb.748:                              ;   in Loop: Header=BB278_488 Depth=1
	s_or_b64 exec, exec, s[8:9]
	s_and_b64 s[0:1], s[0:1], exec
	s_or_saveexec_b64 s[6:7], s[6:7]
	v_mov_b32_e32 v49, s18
	s_xor_b64 exec, exec, s[6:7]
	s_cbranch_execz .LBB278_510
.LBB278_749:                            ;   in Loop: Header=BB278_488 Depth=1
	v_cmp_ne_u16_e32 vcc, 0, v6
	s_andn2_b64 s[0:1], s[0:1], exec
	s_and_b64 s[8:9], vcc, exec
	v_mov_b32_e32 v49, 0
	s_or_b64 s[0:1], s[0:1], s[8:9]
	s_or_b64 exec, exec, s[6:7]
	s_and_saveexec_b64 s[6:7], s[0:1]
	s_cbranch_execnz .LBB278_511
	s_branch .LBB278_512
.LBB278_750:                            ;   in Loop: Header=BB278_488 Depth=1
	v_cmp_eq_u16_sdwa s[26:27], v6, s20 src0_sel:BYTE_0 src1_sel:DWORD
	s_mov_b64 s[0:1], -1
                                        ; implicit-def: $sgpr18
	s_and_saveexec_b64 s[8:9], s[26:27]
; %bb.751:                              ;   in Loop: Header=BB278_488 Depth=1
	s_mov_b32 s18, 0x7fc02000
	s_xor_b64 s[0:1], exec, -1
; %bb.752:                              ;   in Loop: Header=BB278_488 Depth=1
	s_or_b64 exec, exec, s[8:9]
	s_and_b64 s[0:1], s[0:1], exec
	s_or_saveexec_b64 s[6:7], s[6:7]
	v_mov_b32_e32 v50, s18
	s_xor_b64 exec, exec, s[6:7]
	s_cbranch_execz .LBB278_514
.LBB278_753:                            ;   in Loop: Header=BB278_488 Depth=1
	v_cmp_ne_u16_sdwa s[8:9], v6, v7 src0_sel:BYTE_0 src1_sel:DWORD
	s_andn2_b64 s[0:1], s[0:1], exec
	s_and_b64 s[8:9], s[8:9], exec
	v_mov_b32_e32 v50, 0
	s_or_b64 s[0:1], s[0:1], s[8:9]
	s_or_b64 exec, exec, s[6:7]
	s_and_saveexec_b64 s[6:7], s[0:1]
	s_cbranch_execnz .LBB278_515
	s_branch .LBB278_516
.LBB278_754:                            ;   in Loop: Header=BB278_488 Depth=1
	v_cmp_eq_u16_e32 vcc, s20, v6
	s_mov_b64 s[0:1], -1
                                        ; implicit-def: $sgpr18
	s_and_saveexec_b64 s[8:9], vcc
; %bb.755:                              ;   in Loop: Header=BB278_488 Depth=1
	s_mov_b32 s18, 0x7fc02000
	s_xor_b64 s[0:1], exec, -1
; %bb.756:                              ;   in Loop: Header=BB278_488 Depth=1
	s_or_b64 exec, exec, s[8:9]
	s_and_b64 s[0:1], s[0:1], exec
	s_or_saveexec_b64 s[6:7], s[6:7]
	v_mov_b32_e32 v51, s18
	s_xor_b64 exec, exec, s[6:7]
	s_cbranch_execz .LBB278_518
.LBB278_757:                            ;   in Loop: Header=BB278_488 Depth=1
	v_cmp_ne_u16_e32 vcc, 0, v6
	s_andn2_b64 s[0:1], s[0:1], exec
	s_and_b64 s[8:9], vcc, exec
	v_mov_b32_e32 v51, 0
	s_or_b64 s[0:1], s[0:1], s[8:9]
	s_or_b64 exec, exec, s[6:7]
	s_and_saveexec_b64 s[6:7], s[0:1]
	s_cbranch_execnz .LBB278_519
	s_branch .LBB278_520
.LBB278_758:                            ;   in Loop: Header=BB278_488 Depth=1
	v_cmp_eq_u16_sdwa s[26:27], v24, s20 src0_sel:BYTE_0 src1_sel:DWORD
	s_mov_b64 s[0:1], -1
                                        ; implicit-def: $sgpr18
	s_and_saveexec_b64 s[8:9], s[26:27]
; %bb.759:                              ;   in Loop: Header=BB278_488 Depth=1
	s_mov_b32 s18, 0x7fc02000
	s_xor_b64 s[0:1], exec, -1
; %bb.760:                              ;   in Loop: Header=BB278_488 Depth=1
	s_or_b64 exec, exec, s[8:9]
	s_and_b64 s[0:1], s[0:1], exec
	s_or_saveexec_b64 s[6:7], s[6:7]
	v_mov_b32_e32 v26, s18
	s_xor_b64 exec, exec, s[6:7]
	s_cbranch_execz .LBB278_524
.LBB278_761:                            ;   in Loop: Header=BB278_488 Depth=1
	v_cmp_ne_u16_sdwa s[8:9], v24, v7 src0_sel:BYTE_0 src1_sel:DWORD
	s_andn2_b64 s[0:1], s[0:1], exec
	s_and_b64 s[8:9], s[8:9], exec
	v_mov_b32_e32 v26, 0
	s_or_b64 s[0:1], s[0:1], s[8:9]
	s_or_b64 exec, exec, s[6:7]
	s_and_saveexec_b64 s[6:7], s[0:1]
	s_cbranch_execnz .LBB278_525
	s_branch .LBB278_526
.LBB278_762:                            ;   in Loop: Header=BB278_488 Depth=1
	v_cmp_eq_u16_e64 s[0:1], s20, v6
	s_mov_b64 s[6:7], -1
                                        ; implicit-def: $sgpr26
	s_and_saveexec_b64 s[18:19], s[0:1]
; %bb.763:                              ;   in Loop: Header=BB278_488 Depth=1
	s_mov_b32 s26, 0x7fc02000
	s_xor_b64 s[6:7], exec, -1
; %bb.764:                              ;   in Loop: Header=BB278_488 Depth=1
	s_or_b64 exec, exec, s[18:19]
	s_and_b64 s[6:7], s[6:7], exec
	s_or_saveexec_b64 s[8:9], s[8:9]
	v_mov_b32_e32 v28, s26
	s_xor_b64 exec, exec, s[8:9]
	s_cbranch_execz .LBB278_528
.LBB278_765:                            ;   in Loop: Header=BB278_488 Depth=1
	v_cmp_ne_u16_e64 s[0:1], 0, v6
	s_andn2_b64 s[6:7], s[6:7], exec
	s_and_b64 s[0:1], s[0:1], exec
	v_mov_b32_e32 v28, 0
	s_or_b64 s[6:7], s[6:7], s[0:1]
	s_or_b64 exec, exec, s[8:9]
	s_and_saveexec_b64 s[8:9], s[6:7]
	s_cbranch_execnz .LBB278_529
	s_branch .LBB278_530
.LBB278_766:                            ;   in Loop: Header=BB278_488 Depth=1
	v_cmp_eq_u16_sdwa s[26:27], v6, s20 src0_sel:BYTE_0 src1_sel:DWORD
	s_mov_b64 s[0:1], -1
                                        ; implicit-def: $sgpr18
	s_and_saveexec_b64 s[8:9], s[26:27]
; %bb.767:                              ;   in Loop: Header=BB278_488 Depth=1
	s_mov_b32 s18, 0x7fc02000
	s_xor_b64 s[0:1], exec, -1
; %bb.768:                              ;   in Loop: Header=BB278_488 Depth=1
	s_or_b64 exec, exec, s[8:9]
	s_and_b64 s[0:1], s[0:1], exec
	s_or_saveexec_b64 s[6:7], s[6:7]
	v_mov_b32_e32 v27, s18
	s_xor_b64 exec, exec, s[6:7]
	s_cbranch_execz .LBB278_532
.LBB278_769:                            ;   in Loop: Header=BB278_488 Depth=1
	v_cmp_ne_u16_sdwa s[8:9], v6, v7 src0_sel:BYTE_0 src1_sel:DWORD
	s_andn2_b64 s[0:1], s[0:1], exec
	s_and_b64 s[8:9], s[8:9], exec
	v_mov_b32_e32 v27, 0
	s_or_b64 s[0:1], s[0:1], s[8:9]
	s_or_b64 exec, exec, s[6:7]
	s_and_saveexec_b64 s[6:7], s[0:1]
	s_cbranch_execnz .LBB278_533
	s_branch .LBB278_534
.LBB278_770:                            ;   in Loop: Header=BB278_488 Depth=1
	v_cmp_eq_u16_e64 s[0:1], s20, v6
	s_mov_b64 s[6:7], -1
                                        ; implicit-def: $sgpr26
	s_and_saveexec_b64 s[18:19], s[0:1]
; %bb.771:                              ;   in Loop: Header=BB278_488 Depth=1
	s_mov_b32 s26, 0x7fc02000
	s_xor_b64 s[6:7], exec, -1
; %bb.772:                              ;   in Loop: Header=BB278_488 Depth=1
	s_or_b64 exec, exec, s[18:19]
	s_and_b64 s[6:7], s[6:7], exec
	s_or_saveexec_b64 s[8:9], s[8:9]
	v_mov_b32_e32 v29, s26
	s_xor_b64 exec, exec, s[8:9]
	s_cbranch_execz .LBB278_536
.LBB278_773:                            ;   in Loop: Header=BB278_488 Depth=1
	v_cmp_ne_u16_e64 s[0:1], 0, v6
	s_andn2_b64 s[6:7], s[6:7], exec
	s_and_b64 s[0:1], s[0:1], exec
	v_mov_b32_e32 v29, 0
	s_or_b64 s[6:7], s[6:7], s[0:1]
	s_or_b64 exec, exec, s[8:9]
	s_and_saveexec_b64 s[8:9], s[6:7]
	s_cbranch_execnz .LBB278_537
	s_branch .LBB278_538
.LBB278_774:                            ;   in Loop: Header=BB278_488 Depth=1
	v_cmp_eq_u16_sdwa s[26:27], v25, s20 src0_sel:BYTE_0 src1_sel:DWORD
	s_mov_b64 s[0:1], -1
                                        ; implicit-def: $sgpr18
	s_and_saveexec_b64 s[8:9], s[26:27]
; %bb.775:                              ;   in Loop: Header=BB278_488 Depth=1
	s_mov_b32 s18, 0x7fc02000
	s_xor_b64 s[0:1], exec, -1
; %bb.776:                              ;   in Loop: Header=BB278_488 Depth=1
	s_or_b64 exec, exec, s[8:9]
	s_and_b64 s[0:1], s[0:1], exec
	s_or_saveexec_b64 s[6:7], s[6:7]
	v_mov_b32_e32 v0, s18
	s_xor_b64 exec, exec, s[6:7]
	s_cbranch_execz .LBB278_540
.LBB278_777:                            ;   in Loop: Header=BB278_488 Depth=1
	v_cmp_ne_u16_sdwa s[8:9], v25, v7 src0_sel:BYTE_0 src1_sel:DWORD
	s_andn2_b64 s[0:1], s[0:1], exec
	s_and_b64 s[8:9], s[8:9], exec
	v_mov_b32_e32 v0, 0
	s_or_b64 s[0:1], s[0:1], s[8:9]
	s_or_b64 exec, exec, s[6:7]
	v_mov_b32_e32 v6, v25
	s_and_saveexec_b64 s[6:7], s[0:1]
	s_cbranch_execnz .LBB278_541
	s_branch .LBB278_542
.LBB278_778:                            ;   in Loop: Header=BB278_488 Depth=1
	v_cmp_eq_u16_e64 s[0:1], s20, v6
	s_mov_b64 s[6:7], -1
                                        ; implicit-def: $sgpr26
	s_and_saveexec_b64 s[18:19], s[0:1]
; %bb.779:                              ;   in Loop: Header=BB278_488 Depth=1
	s_mov_b32 s26, 0x7fc02000
	s_xor_b64 s[6:7], exec, -1
; %bb.780:                              ;   in Loop: Header=BB278_488 Depth=1
	s_or_b64 exec, exec, s[18:19]
	s_and_b64 s[6:7], s[6:7], exec
	s_or_saveexec_b64 s[8:9], s[8:9]
	v_mov_b32_e32 v1, s26
	s_xor_b64 exec, exec, s[8:9]
	s_cbranch_execz .LBB278_544
.LBB278_781:                            ;   in Loop: Header=BB278_488 Depth=1
	v_cmp_ne_u16_e64 s[0:1], 0, v6
	s_andn2_b64 s[6:7], s[6:7], exec
	s_and_b64 s[0:1], s[0:1], exec
	v_mov_b32_e32 v1, 0
	s_or_b64 s[6:7], s[6:7], s[0:1]
	s_or_b64 exec, exec, s[8:9]
	s_and_saveexec_b64 s[8:9], s[6:7]
	s_cbranch_execnz .LBB278_545
	s_branch .LBB278_546
.LBB278_782:                            ;   in Loop: Header=BB278_488 Depth=1
	v_cmp_eq_u16_sdwa s[26:27], v6, s20 src0_sel:BYTE_0 src1_sel:DWORD
	s_mov_b64 s[0:1], -1
                                        ; implicit-def: $sgpr18
	s_and_saveexec_b64 s[8:9], s[26:27]
; %bb.783:                              ;   in Loop: Header=BB278_488 Depth=1
	s_mov_b32 s18, 0x7fc02000
	s_xor_b64 s[0:1], exec, -1
; %bb.784:                              ;   in Loop: Header=BB278_488 Depth=1
	s_or_b64 exec, exec, s[8:9]
	s_and_b64 s[0:1], s[0:1], exec
	s_or_saveexec_b64 s[6:7], s[6:7]
	v_mov_b32_e32 v17, s18
	s_xor_b64 exec, exec, s[6:7]
	s_cbranch_execz .LBB278_548
.LBB278_785:                            ;   in Loop: Header=BB278_488 Depth=1
	v_cmp_ne_u16_sdwa s[8:9], v6, v7 src0_sel:BYTE_0 src1_sel:DWORD
	s_andn2_b64 s[0:1], s[0:1], exec
	s_and_b64 s[8:9], s[8:9], exec
	v_mov_b32_e32 v17, 0
	s_or_b64 s[0:1], s[0:1], s[8:9]
	s_or_b64 exec, exec, s[6:7]
	s_and_saveexec_b64 s[6:7], s[0:1]
	s_cbranch_execnz .LBB278_549
	s_branch .LBB278_550
.LBB278_786:                            ;   in Loop: Header=BB278_488 Depth=1
	v_cmp_eq_u16_e64 s[0:1], s20, v6
	s_mov_b64 s[6:7], -1
                                        ; implicit-def: $sgpr26
	s_and_saveexec_b64 s[18:19], s[0:1]
; %bb.787:                              ;   in Loop: Header=BB278_488 Depth=1
	s_mov_b32 s26, 0x7fc02000
	s_xor_b64 s[6:7], exec, -1
; %bb.788:                              ;   in Loop: Header=BB278_488 Depth=1
	s_or_b64 exec, exec, s[18:19]
	s_and_b64 s[6:7], s[6:7], exec
	s_or_saveexec_b64 s[8:9], s[8:9]
	v_mov_b32_e32 v22, s26
	s_xor_b64 exec, exec, s[8:9]
	s_cbranch_execz .LBB278_552
.LBB278_789:                            ;   in Loop: Header=BB278_488 Depth=1
	v_cmp_ne_u16_e64 s[0:1], 0, v6
	s_andn2_b64 s[6:7], s[6:7], exec
	s_and_b64 s[0:1], s[0:1], exec
	v_mov_b32_e32 v22, 0
	s_or_b64 s[6:7], s[6:7], s[0:1]
	s_or_b64 exec, exec, s[8:9]
	s_and_saveexec_b64 s[8:9], s[6:7]
	s_cbranch_execnz .LBB278_553
	s_branch .LBB278_554
.LBB278_790:                            ;   in Loop: Header=BB278_488 Depth=1
	v_cmp_eq_u16_sdwa s[26:27], v24, s20 src0_sel:BYTE_0 src1_sel:DWORD
	s_mov_b64 s[0:1], -1
                                        ; implicit-def: $sgpr18
	s_and_saveexec_b64 s[8:9], s[26:27]
; %bb.791:                              ;   in Loop: Header=BB278_488 Depth=1
	s_mov_b32 s18, 0x7fc02000
	s_xor_b64 s[0:1], exec, -1
; %bb.792:                              ;   in Loop: Header=BB278_488 Depth=1
	s_or_b64 exec, exec, s[8:9]
	s_and_b64 s[0:1], s[0:1], exec
	s_or_saveexec_b64 s[6:7], s[6:7]
	v_mov_b32_e32 v26, s18
	s_xor_b64 exec, exec, s[6:7]
	s_cbranch_execz .LBB278_558
.LBB278_793:                            ;   in Loop: Header=BB278_488 Depth=1
	v_cmp_ne_u16_sdwa s[8:9], v24, v7 src0_sel:BYTE_0 src1_sel:DWORD
	s_andn2_b64 s[0:1], s[0:1], exec
	s_and_b64 s[8:9], s[8:9], exec
	v_mov_b32_e32 v26, 0
	s_or_b64 s[0:1], s[0:1], s[8:9]
	s_or_b64 exec, exec, s[6:7]
	s_and_saveexec_b64 s[6:7], s[0:1]
	s_cbranch_execnz .LBB278_559
	s_branch .LBB278_560
.LBB278_794:                            ;   in Loop: Header=BB278_488 Depth=1
	v_cmp_eq_u16_e64 s[0:1], s20, v6
	s_mov_b64 s[6:7], -1
                                        ; implicit-def: $sgpr26
	s_and_saveexec_b64 s[18:19], s[0:1]
; %bb.795:                              ;   in Loop: Header=BB278_488 Depth=1
	s_mov_b32 s26, 0x7fc02000
	s_xor_b64 s[6:7], exec, -1
; %bb.796:                              ;   in Loop: Header=BB278_488 Depth=1
	s_or_b64 exec, exec, s[18:19]
	s_and_b64 s[6:7], s[6:7], exec
	s_or_saveexec_b64 s[8:9], s[8:9]
	v_mov_b32_e32 v28, s26
	s_xor_b64 exec, exec, s[8:9]
	s_cbranch_execz .LBB278_562
.LBB278_797:                            ;   in Loop: Header=BB278_488 Depth=1
	v_cmp_ne_u16_e64 s[0:1], 0, v6
	s_andn2_b64 s[6:7], s[6:7], exec
	s_and_b64 s[0:1], s[0:1], exec
	v_mov_b32_e32 v28, 0
	s_or_b64 s[6:7], s[6:7], s[0:1]
	s_or_b64 exec, exec, s[8:9]
	s_and_saveexec_b64 s[8:9], s[6:7]
	s_cbranch_execnz .LBB278_563
	s_branch .LBB278_564
.LBB278_798:                            ;   in Loop: Header=BB278_488 Depth=1
	v_cmp_eq_u16_sdwa s[26:27], v6, s20 src0_sel:BYTE_0 src1_sel:DWORD
	s_mov_b64 s[0:1], -1
                                        ; implicit-def: $sgpr18
	s_and_saveexec_b64 s[8:9], s[26:27]
; %bb.799:                              ;   in Loop: Header=BB278_488 Depth=1
	s_mov_b32 s18, 0x7fc02000
	s_xor_b64 s[0:1], exec, -1
; %bb.800:                              ;   in Loop: Header=BB278_488 Depth=1
	s_or_b64 exec, exec, s[8:9]
	s_and_b64 s[0:1], s[0:1], exec
	s_or_saveexec_b64 s[6:7], s[6:7]
	v_mov_b32_e32 v27, s18
	s_xor_b64 exec, exec, s[6:7]
	s_cbranch_execz .LBB278_566
.LBB278_801:                            ;   in Loop: Header=BB278_488 Depth=1
	v_cmp_ne_u16_sdwa s[8:9], v6, v7 src0_sel:BYTE_0 src1_sel:DWORD
	s_andn2_b64 s[0:1], s[0:1], exec
	s_and_b64 s[8:9], s[8:9], exec
	v_mov_b32_e32 v27, 0
	s_or_b64 s[0:1], s[0:1], s[8:9]
	s_or_b64 exec, exec, s[6:7]
	s_and_saveexec_b64 s[6:7], s[0:1]
	s_cbranch_execnz .LBB278_567
	s_branch .LBB278_568
.LBB278_802:                            ;   in Loop: Header=BB278_488 Depth=1
	v_cmp_eq_u16_e64 s[0:1], s20, v6
	s_mov_b64 s[6:7], -1
                                        ; implicit-def: $sgpr26
	s_and_saveexec_b64 s[18:19], s[0:1]
; %bb.803:                              ;   in Loop: Header=BB278_488 Depth=1
	s_mov_b32 s26, 0x7fc02000
	s_xor_b64 s[6:7], exec, -1
; %bb.804:                              ;   in Loop: Header=BB278_488 Depth=1
	s_or_b64 exec, exec, s[18:19]
	s_and_b64 s[6:7], s[6:7], exec
	s_or_saveexec_b64 s[8:9], s[8:9]
	v_mov_b32_e32 v29, s26
	s_xor_b64 exec, exec, s[8:9]
	s_cbranch_execz .LBB278_570
.LBB278_805:                            ;   in Loop: Header=BB278_488 Depth=1
	v_cmp_ne_u16_e64 s[0:1], 0, v6
	s_andn2_b64 s[6:7], s[6:7], exec
	s_and_b64 s[0:1], s[0:1], exec
	v_mov_b32_e32 v29, 0
	s_or_b64 s[6:7], s[6:7], s[0:1]
	s_or_b64 exec, exec, s[8:9]
	s_and_saveexec_b64 s[8:9], s[6:7]
	s_cbranch_execnz .LBB278_571
	s_branch .LBB278_572
.LBB278_806:                            ;   in Loop: Header=BB278_488 Depth=1
	v_cmp_eq_u16_sdwa s[26:27], v25, s20 src0_sel:BYTE_0 src1_sel:DWORD
	s_mov_b64 s[0:1], -1
                                        ; implicit-def: $sgpr18
	s_and_saveexec_b64 s[8:9], s[26:27]
; %bb.807:                              ;   in Loop: Header=BB278_488 Depth=1
	s_mov_b32 s18, 0x7fc02000
	s_xor_b64 s[0:1], exec, -1
; %bb.808:                              ;   in Loop: Header=BB278_488 Depth=1
	s_or_b64 exec, exec, s[8:9]
	s_and_b64 s[0:1], s[0:1], exec
	s_or_saveexec_b64 s[6:7], s[6:7]
	v_mov_b32_e32 v0, s18
	s_xor_b64 exec, exec, s[6:7]
	s_cbranch_execz .LBB278_574
.LBB278_809:                            ;   in Loop: Header=BB278_488 Depth=1
	v_cmp_ne_u16_sdwa s[8:9], v25, v7 src0_sel:BYTE_0 src1_sel:DWORD
	s_andn2_b64 s[0:1], s[0:1], exec
	s_and_b64 s[8:9], s[8:9], exec
	v_mov_b32_e32 v0, 0
	s_or_b64 s[0:1], s[0:1], s[8:9]
	s_or_b64 exec, exec, s[6:7]
	v_mov_b32_e32 v6, v25
	s_and_saveexec_b64 s[6:7], s[0:1]
	s_cbranch_execnz .LBB278_575
	s_branch .LBB278_576
.LBB278_810:                            ;   in Loop: Header=BB278_488 Depth=1
	v_cmp_eq_u16_e64 s[0:1], s20, v6
	s_mov_b64 s[6:7], -1
                                        ; implicit-def: $sgpr26
	s_and_saveexec_b64 s[18:19], s[0:1]
; %bb.811:                              ;   in Loop: Header=BB278_488 Depth=1
	s_mov_b32 s26, 0x7fc02000
	s_xor_b64 s[6:7], exec, -1
; %bb.812:                              ;   in Loop: Header=BB278_488 Depth=1
	s_or_b64 exec, exec, s[18:19]
	s_and_b64 s[6:7], s[6:7], exec
	s_or_saveexec_b64 s[8:9], s[8:9]
	v_mov_b32_e32 v1, s26
	s_xor_b64 exec, exec, s[8:9]
	s_cbranch_execz .LBB278_578
.LBB278_813:                            ;   in Loop: Header=BB278_488 Depth=1
	v_cmp_ne_u16_e64 s[0:1], 0, v6
	s_andn2_b64 s[6:7], s[6:7], exec
	s_and_b64 s[0:1], s[0:1], exec
	v_mov_b32_e32 v1, 0
	s_or_b64 s[6:7], s[6:7], s[0:1]
	s_or_b64 exec, exec, s[8:9]
	s_and_saveexec_b64 s[8:9], s[6:7]
	s_cbranch_execnz .LBB278_579
	s_branch .LBB278_580
.LBB278_814:                            ;   in Loop: Header=BB278_488 Depth=1
	v_cmp_eq_u16_sdwa s[26:27], v6, s20 src0_sel:BYTE_0 src1_sel:DWORD
	s_mov_b64 s[0:1], -1
                                        ; implicit-def: $sgpr18
	s_and_saveexec_b64 s[8:9], s[26:27]
; %bb.815:                              ;   in Loop: Header=BB278_488 Depth=1
	s_mov_b32 s18, 0x7fc02000
	s_xor_b64 s[0:1], exec, -1
; %bb.816:                              ;   in Loop: Header=BB278_488 Depth=1
	s_or_b64 exec, exec, s[8:9]
	s_and_b64 s[0:1], s[0:1], exec
	s_or_saveexec_b64 s[6:7], s[6:7]
	v_mov_b32_e32 v17, s18
	s_xor_b64 exec, exec, s[6:7]
	s_cbranch_execz .LBB278_582
.LBB278_817:                            ;   in Loop: Header=BB278_488 Depth=1
	v_cmp_ne_u16_sdwa s[8:9], v6, v7 src0_sel:BYTE_0 src1_sel:DWORD
	s_andn2_b64 s[0:1], s[0:1], exec
	s_and_b64 s[8:9], s[8:9], exec
	v_mov_b32_e32 v17, 0
	s_or_b64 s[0:1], s[0:1], s[8:9]
	s_or_b64 exec, exec, s[6:7]
	s_and_saveexec_b64 s[6:7], s[0:1]
	s_cbranch_execnz .LBB278_583
	s_branch .LBB278_584
.LBB278_818:                            ;   in Loop: Header=BB278_488 Depth=1
	v_cmp_eq_u16_e64 s[0:1], s20, v6
	s_mov_b64 s[6:7], -1
                                        ; implicit-def: $sgpr26
	s_and_saveexec_b64 s[18:19], s[0:1]
; %bb.819:                              ;   in Loop: Header=BB278_488 Depth=1
	s_mov_b32 s26, 0x7fc02000
	s_xor_b64 s[6:7], exec, -1
; %bb.820:                              ;   in Loop: Header=BB278_488 Depth=1
	s_or_b64 exec, exec, s[18:19]
	s_and_b64 s[6:7], s[6:7], exec
	s_or_saveexec_b64 s[8:9], s[8:9]
	v_mov_b32_e32 v22, s26
	s_xor_b64 exec, exec, s[8:9]
	s_cbranch_execz .LBB278_586
.LBB278_821:                            ;   in Loop: Header=BB278_488 Depth=1
	v_cmp_ne_u16_e64 s[0:1], 0, v6
	s_andn2_b64 s[6:7], s[6:7], exec
	s_and_b64 s[0:1], s[0:1], exec
	v_mov_b32_e32 v22, 0
	s_or_b64 s[6:7], s[6:7], s[0:1]
	s_or_b64 exec, exec, s[8:9]
	s_and_saveexec_b64 s[8:9], s[6:7]
	s_cbranch_execnz .LBB278_587
	s_branch .LBB278_588
.LBB278_822:                            ;   in Loop: Header=BB278_488 Depth=1
	v_cmp_eq_u16_sdwa s[26:27], v24, s20 src0_sel:BYTE_0 src1_sel:DWORD
	s_mov_b64 s[0:1], -1
                                        ; implicit-def: $sgpr18
	s_and_saveexec_b64 s[8:9], s[26:27]
; %bb.823:                              ;   in Loop: Header=BB278_488 Depth=1
	s_mov_b32 s18, 0x7fc02000
	s_xor_b64 s[0:1], exec, -1
; %bb.824:                              ;   in Loop: Header=BB278_488 Depth=1
	s_or_b64 exec, exec, s[8:9]
	s_and_b64 s[0:1], s[0:1], exec
	s_or_saveexec_b64 s[6:7], s[6:7]
	v_mov_b32_e32 v26, s18
	s_xor_b64 exec, exec, s[6:7]
	s_cbranch_execz .LBB278_592
.LBB278_825:                            ;   in Loop: Header=BB278_488 Depth=1
	v_cmp_ne_u16_sdwa s[8:9], v24, v7 src0_sel:BYTE_0 src1_sel:DWORD
	s_andn2_b64 s[0:1], s[0:1], exec
	s_and_b64 s[8:9], s[8:9], exec
	v_mov_b32_e32 v26, 0
	s_or_b64 s[0:1], s[0:1], s[8:9]
	s_or_b64 exec, exec, s[6:7]
	s_and_saveexec_b64 s[6:7], s[0:1]
	s_cbranch_execnz .LBB278_593
	s_branch .LBB278_594
.LBB278_826:                            ;   in Loop: Header=BB278_488 Depth=1
	v_cmp_eq_u16_e64 s[0:1], s20, v6
	s_mov_b64 s[6:7], -1
                                        ; implicit-def: $sgpr26
	s_and_saveexec_b64 s[18:19], s[0:1]
; %bb.827:                              ;   in Loop: Header=BB278_488 Depth=1
	s_mov_b32 s26, 0x7fc02000
	s_xor_b64 s[6:7], exec, -1
; %bb.828:                              ;   in Loop: Header=BB278_488 Depth=1
	s_or_b64 exec, exec, s[18:19]
	s_and_b64 s[6:7], s[6:7], exec
	s_or_saveexec_b64 s[8:9], s[8:9]
	v_mov_b32_e32 v28, s26
	s_xor_b64 exec, exec, s[8:9]
	s_cbranch_execz .LBB278_596
.LBB278_829:                            ;   in Loop: Header=BB278_488 Depth=1
	v_cmp_ne_u16_e64 s[0:1], 0, v6
	s_andn2_b64 s[6:7], s[6:7], exec
	s_and_b64 s[0:1], s[0:1], exec
	v_mov_b32_e32 v28, 0
	s_or_b64 s[6:7], s[6:7], s[0:1]
	s_or_b64 exec, exec, s[8:9]
	s_and_saveexec_b64 s[8:9], s[6:7]
	s_cbranch_execnz .LBB278_597
	s_branch .LBB278_598
.LBB278_830:                            ;   in Loop: Header=BB278_488 Depth=1
	v_cmp_eq_u16_sdwa s[26:27], v6, s20 src0_sel:BYTE_0 src1_sel:DWORD
	s_mov_b64 s[0:1], -1
                                        ; implicit-def: $sgpr18
	s_and_saveexec_b64 s[8:9], s[26:27]
; %bb.831:                              ;   in Loop: Header=BB278_488 Depth=1
	s_mov_b32 s18, 0x7fc02000
	s_xor_b64 s[0:1], exec, -1
; %bb.832:                              ;   in Loop: Header=BB278_488 Depth=1
	s_or_b64 exec, exec, s[8:9]
	s_and_b64 s[0:1], s[0:1], exec
	s_or_saveexec_b64 s[6:7], s[6:7]
	v_mov_b32_e32 v27, s18
	s_xor_b64 exec, exec, s[6:7]
	s_cbranch_execz .LBB278_600
.LBB278_833:                            ;   in Loop: Header=BB278_488 Depth=1
	v_cmp_ne_u16_sdwa s[8:9], v6, v7 src0_sel:BYTE_0 src1_sel:DWORD
	s_andn2_b64 s[0:1], s[0:1], exec
	s_and_b64 s[8:9], s[8:9], exec
	v_mov_b32_e32 v27, 0
	s_or_b64 s[0:1], s[0:1], s[8:9]
	s_or_b64 exec, exec, s[6:7]
	s_and_saveexec_b64 s[6:7], s[0:1]
	s_cbranch_execnz .LBB278_601
	s_branch .LBB278_602
.LBB278_834:                            ;   in Loop: Header=BB278_488 Depth=1
	v_cmp_eq_u16_e64 s[0:1], s20, v6
	s_mov_b64 s[6:7], -1
                                        ; implicit-def: $sgpr26
	s_and_saveexec_b64 s[18:19], s[0:1]
; %bb.835:                              ;   in Loop: Header=BB278_488 Depth=1
	s_mov_b32 s26, 0x7fc02000
	s_xor_b64 s[6:7], exec, -1
; %bb.836:                              ;   in Loop: Header=BB278_488 Depth=1
	s_or_b64 exec, exec, s[18:19]
	s_and_b64 s[6:7], s[6:7], exec
	s_or_saveexec_b64 s[8:9], s[8:9]
	v_mov_b32_e32 v29, s26
	s_xor_b64 exec, exec, s[8:9]
	s_cbranch_execz .LBB278_604
.LBB278_837:                            ;   in Loop: Header=BB278_488 Depth=1
	v_cmp_ne_u16_e64 s[0:1], 0, v6
	s_andn2_b64 s[6:7], s[6:7], exec
	s_and_b64 s[0:1], s[0:1], exec
	v_mov_b32_e32 v29, 0
	s_or_b64 s[6:7], s[6:7], s[0:1]
	s_or_b64 exec, exec, s[8:9]
	s_and_saveexec_b64 s[8:9], s[6:7]
	s_cbranch_execnz .LBB278_605
	s_branch .LBB278_606
.LBB278_838:                            ;   in Loop: Header=BB278_488 Depth=1
	v_cmp_eq_u16_sdwa s[26:27], v25, s20 src0_sel:BYTE_0 src1_sel:DWORD
	s_mov_b64 s[0:1], -1
                                        ; implicit-def: $sgpr18
	s_and_saveexec_b64 s[8:9], s[26:27]
; %bb.839:                              ;   in Loop: Header=BB278_488 Depth=1
	s_mov_b32 s18, 0x7fc02000
	s_xor_b64 s[0:1], exec, -1
; %bb.840:                              ;   in Loop: Header=BB278_488 Depth=1
	s_or_b64 exec, exec, s[8:9]
	s_and_b64 s[0:1], s[0:1], exec
	s_or_saveexec_b64 s[6:7], s[6:7]
	v_mov_b32_e32 v0, s18
	s_xor_b64 exec, exec, s[6:7]
	s_cbranch_execz .LBB278_608
.LBB278_841:                            ;   in Loop: Header=BB278_488 Depth=1
	v_cmp_ne_u16_sdwa s[8:9], v25, v7 src0_sel:BYTE_0 src1_sel:DWORD
	s_andn2_b64 s[0:1], s[0:1], exec
	s_and_b64 s[8:9], s[8:9], exec
	v_mov_b32_e32 v0, 0
	s_or_b64 s[0:1], s[0:1], s[8:9]
	s_or_b64 exec, exec, s[6:7]
	v_mov_b32_e32 v6, v25
	s_and_saveexec_b64 s[6:7], s[0:1]
	s_cbranch_execnz .LBB278_609
	s_branch .LBB278_610
.LBB278_842:                            ;   in Loop: Header=BB278_488 Depth=1
	v_cmp_eq_u16_e64 s[0:1], s20, v6
	s_mov_b64 s[6:7], -1
                                        ; implicit-def: $sgpr26
	s_and_saveexec_b64 s[18:19], s[0:1]
; %bb.843:                              ;   in Loop: Header=BB278_488 Depth=1
	s_mov_b32 s26, 0x7fc02000
	s_xor_b64 s[6:7], exec, -1
; %bb.844:                              ;   in Loop: Header=BB278_488 Depth=1
	s_or_b64 exec, exec, s[18:19]
	s_and_b64 s[6:7], s[6:7], exec
	s_or_saveexec_b64 s[8:9], s[8:9]
	v_mov_b32_e32 v1, s26
	s_xor_b64 exec, exec, s[8:9]
	s_cbranch_execz .LBB278_612
.LBB278_845:                            ;   in Loop: Header=BB278_488 Depth=1
	v_cmp_ne_u16_e64 s[0:1], 0, v6
	s_andn2_b64 s[6:7], s[6:7], exec
	s_and_b64 s[0:1], s[0:1], exec
	v_mov_b32_e32 v1, 0
	s_or_b64 s[6:7], s[6:7], s[0:1]
	s_or_b64 exec, exec, s[8:9]
	s_and_saveexec_b64 s[8:9], s[6:7]
	s_cbranch_execnz .LBB278_613
	s_branch .LBB278_614
.LBB278_846:                            ;   in Loop: Header=BB278_488 Depth=1
	v_cmp_eq_u16_sdwa s[26:27], v6, s20 src0_sel:BYTE_0 src1_sel:DWORD
	s_mov_b64 s[0:1], -1
                                        ; implicit-def: $sgpr18
	s_and_saveexec_b64 s[8:9], s[26:27]
; %bb.847:                              ;   in Loop: Header=BB278_488 Depth=1
	s_mov_b32 s18, 0x7fc02000
	s_xor_b64 s[0:1], exec, -1
; %bb.848:                              ;   in Loop: Header=BB278_488 Depth=1
	s_or_b64 exec, exec, s[8:9]
	s_and_b64 s[0:1], s[0:1], exec
	s_or_saveexec_b64 s[6:7], s[6:7]
	v_mov_b32_e32 v17, s18
	s_xor_b64 exec, exec, s[6:7]
	s_cbranch_execz .LBB278_616
.LBB278_849:                            ;   in Loop: Header=BB278_488 Depth=1
	v_cmp_ne_u16_sdwa s[8:9], v6, v7 src0_sel:BYTE_0 src1_sel:DWORD
	s_andn2_b64 s[0:1], s[0:1], exec
	s_and_b64 s[8:9], s[8:9], exec
	v_mov_b32_e32 v17, 0
	s_or_b64 s[0:1], s[0:1], s[8:9]
	s_or_b64 exec, exec, s[6:7]
	s_and_saveexec_b64 s[6:7], s[0:1]
	s_cbranch_execnz .LBB278_617
	s_branch .LBB278_618
.LBB278_850:                            ;   in Loop: Header=BB278_488 Depth=1
	v_cmp_eq_u16_e64 s[0:1], s20, v6
	s_mov_b64 s[6:7], -1
                                        ; implicit-def: $sgpr26
	s_and_saveexec_b64 s[18:19], s[0:1]
; %bb.851:                              ;   in Loop: Header=BB278_488 Depth=1
	s_mov_b32 s26, 0x7fc02000
	s_xor_b64 s[6:7], exec, -1
; %bb.852:                              ;   in Loop: Header=BB278_488 Depth=1
	s_or_b64 exec, exec, s[18:19]
	s_and_b64 s[6:7], s[6:7], exec
	s_or_saveexec_b64 s[8:9], s[8:9]
	v_mov_b32_e32 v22, s26
	s_xor_b64 exec, exec, s[8:9]
	s_cbranch_execz .LBB278_620
.LBB278_853:                            ;   in Loop: Header=BB278_488 Depth=1
	v_cmp_ne_u16_e64 s[0:1], 0, v6
	s_andn2_b64 s[6:7], s[6:7], exec
	s_and_b64 s[0:1], s[0:1], exec
	v_mov_b32_e32 v22, 0
	s_or_b64 s[6:7], s[6:7], s[0:1]
	s_or_b64 exec, exec, s[8:9]
	s_and_saveexec_b64 s[8:9], s[6:7]
	s_cbranch_execnz .LBB278_621
	s_branch .LBB278_622
.LBB278_854:                            ;   in Loop: Header=BB278_488 Depth=1
	v_cmp_eq_u16_sdwa s[26:27], v24, s20 src0_sel:BYTE_0 src1_sel:DWORD
	s_mov_b64 s[0:1], -1
                                        ; implicit-def: $sgpr18
	s_and_saveexec_b64 s[8:9], s[26:27]
; %bb.855:                              ;   in Loop: Header=BB278_488 Depth=1
	s_mov_b32 s18, 0x7fc02000
	s_xor_b64 s[0:1], exec, -1
; %bb.856:                              ;   in Loop: Header=BB278_488 Depth=1
	s_or_b64 exec, exec, s[8:9]
	s_and_b64 s[0:1], s[0:1], exec
	s_or_saveexec_b64 s[6:7], s[6:7]
	v_mov_b32_e32 v26, s18
	s_xor_b64 exec, exec, s[6:7]
	s_cbranch_execz .LBB278_626
.LBB278_857:                            ;   in Loop: Header=BB278_488 Depth=1
	v_cmp_ne_u16_sdwa s[8:9], v24, v7 src0_sel:BYTE_0 src1_sel:DWORD
	s_andn2_b64 s[0:1], s[0:1], exec
	s_and_b64 s[8:9], s[8:9], exec
	v_mov_b32_e32 v26, 0
	s_or_b64 s[0:1], s[0:1], s[8:9]
	s_or_b64 exec, exec, s[6:7]
	s_and_saveexec_b64 s[6:7], s[0:1]
	s_cbranch_execnz .LBB278_627
	s_branch .LBB278_628
.LBB278_858:                            ;   in Loop: Header=BB278_488 Depth=1
	v_cmp_eq_u16_e64 s[0:1], s20, v6
	s_mov_b64 s[6:7], -1
                                        ; implicit-def: $sgpr26
	s_and_saveexec_b64 s[18:19], s[0:1]
; %bb.859:                              ;   in Loop: Header=BB278_488 Depth=1
	s_mov_b32 s26, 0x7fc02000
	s_xor_b64 s[6:7], exec, -1
; %bb.860:                              ;   in Loop: Header=BB278_488 Depth=1
	s_or_b64 exec, exec, s[18:19]
	s_and_b64 s[6:7], s[6:7], exec
	s_or_saveexec_b64 s[8:9], s[8:9]
	v_mov_b32_e32 v28, s26
	s_xor_b64 exec, exec, s[8:9]
	s_cbranch_execz .LBB278_630
.LBB278_861:                            ;   in Loop: Header=BB278_488 Depth=1
	v_cmp_ne_u16_e64 s[0:1], 0, v6
	s_andn2_b64 s[6:7], s[6:7], exec
	s_and_b64 s[0:1], s[0:1], exec
	v_mov_b32_e32 v28, 0
	s_or_b64 s[6:7], s[6:7], s[0:1]
	s_or_b64 exec, exec, s[8:9]
	s_and_saveexec_b64 s[8:9], s[6:7]
	s_cbranch_execnz .LBB278_631
	s_branch .LBB278_632
.LBB278_862:                            ;   in Loop: Header=BB278_488 Depth=1
	v_cmp_eq_u16_sdwa s[26:27], v6, s20 src0_sel:BYTE_0 src1_sel:DWORD
	s_mov_b64 s[0:1], -1
                                        ; implicit-def: $sgpr18
	s_and_saveexec_b64 s[8:9], s[26:27]
; %bb.863:                              ;   in Loop: Header=BB278_488 Depth=1
	s_mov_b32 s18, 0x7fc02000
	s_xor_b64 s[0:1], exec, -1
; %bb.864:                              ;   in Loop: Header=BB278_488 Depth=1
	s_or_b64 exec, exec, s[8:9]
	s_and_b64 s[0:1], s[0:1], exec
	s_or_saveexec_b64 s[6:7], s[6:7]
	v_mov_b32_e32 v27, s18
	s_xor_b64 exec, exec, s[6:7]
	s_cbranch_execz .LBB278_634
.LBB278_865:                            ;   in Loop: Header=BB278_488 Depth=1
	v_cmp_ne_u16_sdwa s[8:9], v6, v7 src0_sel:BYTE_0 src1_sel:DWORD
	s_andn2_b64 s[0:1], s[0:1], exec
	s_and_b64 s[8:9], s[8:9], exec
	v_mov_b32_e32 v27, 0
	s_or_b64 s[0:1], s[0:1], s[8:9]
	s_or_b64 exec, exec, s[6:7]
	s_and_saveexec_b64 s[6:7], s[0:1]
	s_cbranch_execnz .LBB278_635
	s_branch .LBB278_636
.LBB278_866:                            ;   in Loop: Header=BB278_488 Depth=1
	v_cmp_eq_u16_e64 s[0:1], s20, v6
	s_mov_b64 s[6:7], -1
                                        ; implicit-def: $sgpr26
	s_and_saveexec_b64 s[18:19], s[0:1]
; %bb.867:                              ;   in Loop: Header=BB278_488 Depth=1
	s_mov_b32 s26, 0x7fc02000
	s_xor_b64 s[6:7], exec, -1
; %bb.868:                              ;   in Loop: Header=BB278_488 Depth=1
	s_or_b64 exec, exec, s[18:19]
	s_and_b64 s[6:7], s[6:7], exec
	s_or_saveexec_b64 s[8:9], s[8:9]
	v_mov_b32_e32 v29, s26
	s_xor_b64 exec, exec, s[8:9]
	s_cbranch_execz .LBB278_638
.LBB278_869:                            ;   in Loop: Header=BB278_488 Depth=1
	v_cmp_ne_u16_e64 s[0:1], 0, v6
	s_andn2_b64 s[6:7], s[6:7], exec
	s_and_b64 s[0:1], s[0:1], exec
	v_mov_b32_e32 v29, 0
	s_or_b64 s[6:7], s[6:7], s[0:1]
	s_or_b64 exec, exec, s[8:9]
	s_and_saveexec_b64 s[8:9], s[6:7]
	s_cbranch_execnz .LBB278_639
	s_branch .LBB278_640
.LBB278_870:                            ;   in Loop: Header=BB278_488 Depth=1
	v_cmp_eq_u16_sdwa s[26:27], v25, s20 src0_sel:BYTE_0 src1_sel:DWORD
	s_mov_b64 s[0:1], -1
                                        ; implicit-def: $sgpr18
	s_and_saveexec_b64 s[8:9], s[26:27]
; %bb.871:                              ;   in Loop: Header=BB278_488 Depth=1
	s_mov_b32 s18, 0x7fc02000
	s_xor_b64 s[0:1], exec, -1
; %bb.872:                              ;   in Loop: Header=BB278_488 Depth=1
	s_or_b64 exec, exec, s[8:9]
	s_and_b64 s[0:1], s[0:1], exec
	s_or_saveexec_b64 s[6:7], s[6:7]
	v_mov_b32_e32 v17, s18
	s_xor_b64 exec, exec, s[6:7]
	s_cbranch_execz .LBB278_642
.LBB278_873:                            ;   in Loop: Header=BB278_488 Depth=1
	v_cmp_ne_u16_sdwa s[8:9], v25, v7 src0_sel:BYTE_0 src1_sel:DWORD
	s_andn2_b64 s[0:1], s[0:1], exec
	s_and_b64 s[8:9], s[8:9], exec
	v_mov_b32_e32 v17, 0
	s_or_b64 s[0:1], s[0:1], s[8:9]
	s_or_b64 exec, exec, s[6:7]
	v_mov_b32_e32 v6, v25
	s_and_saveexec_b64 s[6:7], s[0:1]
	s_cbranch_execnz .LBB278_643
	s_branch .LBB278_644
.LBB278_874:                            ;   in Loop: Header=BB278_488 Depth=1
	v_cmp_eq_u16_e64 s[0:1], s20, v6
	s_mov_b64 s[6:7], -1
                                        ; implicit-def: $sgpr26
	s_and_saveexec_b64 s[18:19], s[0:1]
; %bb.875:                              ;   in Loop: Header=BB278_488 Depth=1
	s_mov_b32 s26, 0x7fc02000
	s_xor_b64 s[6:7], exec, -1
; %bb.876:                              ;   in Loop: Header=BB278_488 Depth=1
	s_or_b64 exec, exec, s[18:19]
	s_and_b64 s[6:7], s[6:7], exec
	s_or_saveexec_b64 s[8:9], s[8:9]
	v_mov_b32_e32 v18, s26
	s_xor_b64 exec, exec, s[8:9]
	s_cbranch_execz .LBB278_646
.LBB278_877:                            ;   in Loop: Header=BB278_488 Depth=1
	v_cmp_ne_u16_e64 s[0:1], 0, v6
	s_andn2_b64 s[6:7], s[6:7], exec
	s_and_b64 s[0:1], s[0:1], exec
	v_mov_b32_e32 v18, 0
	s_or_b64 s[6:7], s[6:7], s[0:1]
	s_or_b64 exec, exec, s[8:9]
	s_and_saveexec_b64 s[8:9], s[6:7]
	s_cbranch_execnz .LBB278_647
	s_branch .LBB278_648
.LBB278_878:                            ;   in Loop: Header=BB278_488 Depth=1
	v_cmp_eq_u16_sdwa s[26:27], v6, s20 src0_sel:BYTE_0 src1_sel:DWORD
	s_mov_b64 s[0:1], -1
                                        ; implicit-def: $sgpr18
	s_and_saveexec_b64 s[8:9], s[26:27]
; %bb.879:                              ;   in Loop: Header=BB278_488 Depth=1
	s_mov_b32 s18, 0x7fc02000
	s_xor_b64 s[0:1], exec, -1
; %bb.880:                              ;   in Loop: Header=BB278_488 Depth=1
	s_or_b64 exec, exec, s[8:9]
	s_and_b64 s[0:1], s[0:1], exec
	s_or_saveexec_b64 s[6:7], s[6:7]
	v_mov_b32_e32 v22, s18
	s_xor_b64 exec, exec, s[6:7]
	s_cbranch_execz .LBB278_650
.LBB278_881:                            ;   in Loop: Header=BB278_488 Depth=1
	v_cmp_ne_u16_sdwa s[8:9], v6, v7 src0_sel:BYTE_0 src1_sel:DWORD
	s_andn2_b64 s[0:1], s[0:1], exec
	s_and_b64 s[8:9], s[8:9], exec
	v_mov_b32_e32 v22, 0
	s_or_b64 s[0:1], s[0:1], s[8:9]
	s_or_b64 exec, exec, s[6:7]
	s_and_saveexec_b64 s[6:7], s[0:1]
	s_cbranch_execnz .LBB278_651
	s_branch .LBB278_652
.LBB278_882:                            ;   in Loop: Header=BB278_488 Depth=1
	v_cmp_eq_u16_e64 s[0:1], s20, v6
	s_mov_b64 s[6:7], -1
                                        ; implicit-def: $sgpr26
	s_and_saveexec_b64 s[18:19], s[0:1]
; %bb.883:                              ;   in Loop: Header=BB278_488 Depth=1
	s_mov_b32 s26, 0x7fc02000
	s_xor_b64 s[6:7], exec, -1
; %bb.884:                              ;   in Loop: Header=BB278_488 Depth=1
	s_or_b64 exec, exec, s[18:19]
	s_and_b64 s[6:7], s[6:7], exec
	s_or_saveexec_b64 s[8:9], s[8:9]
	v_mov_b32_e32 v24, s26
	s_xor_b64 exec, exec, s[8:9]
	s_cbranch_execz .LBB278_654
.LBB278_885:                            ;   in Loop: Header=BB278_488 Depth=1
	v_cmp_ne_u16_e64 s[0:1], 0, v6
	s_andn2_b64 s[6:7], s[6:7], exec
	s_and_b64 s[0:1], s[0:1], exec
	v_mov_b32_e32 v24, 0
	s_or_b64 s[6:7], s[6:7], s[0:1]
	s_or_b64 exec, exec, s[8:9]
	s_and_saveexec_b64 s[8:9], s[6:7]
	s_cbranch_execnz .LBB278_655
	s_branch .LBB278_656
.LBB278_886:                            ;   in Loop: Header=BB278_488 Depth=1
	v_cmp_eq_u16_sdwa s[26:27], v24, s20 src0_sel:BYTE_0 src1_sel:DWORD
	s_mov_b64 s[0:1], -1
                                        ; implicit-def: $sgpr18
	s_and_saveexec_b64 s[8:9], s[26:27]
; %bb.887:                              ;   in Loop: Header=BB278_488 Depth=1
	s_mov_b32 s18, 0x7fc02000
	s_xor_b64 s[0:1], exec, -1
; %bb.888:                              ;   in Loop: Header=BB278_488 Depth=1
	s_or_b64 exec, exec, s[8:9]
	s_and_b64 s[0:1], s[0:1], exec
	s_or_saveexec_b64 s[6:7], s[6:7]
	v_mov_b32_e32 v26, s18
	s_xor_b64 exec, exec, s[6:7]
	s_cbranch_execz .LBB278_660
.LBB278_889:                            ;   in Loop: Header=BB278_488 Depth=1
	v_cmp_ne_u16_sdwa s[8:9], v24, v7 src0_sel:BYTE_0 src1_sel:DWORD
	s_andn2_b64 s[0:1], s[0:1], exec
	s_and_b64 s[8:9], s[8:9], exec
	v_mov_b32_e32 v26, 0
	s_or_b64 s[0:1], s[0:1], s[8:9]
	s_or_b64 exec, exec, s[6:7]
	s_and_saveexec_b64 s[6:7], s[0:1]
	s_cbranch_execnz .LBB278_661
	s_branch .LBB278_662
.LBB278_890:                            ;   in Loop: Header=BB278_488 Depth=1
	v_cmp_eq_u16_e64 s[0:1], s20, v6
	s_mov_b64 s[6:7], -1
                                        ; implicit-def: $sgpr26
	s_and_saveexec_b64 s[18:19], s[0:1]
; %bb.891:                              ;   in Loop: Header=BB278_488 Depth=1
	s_mov_b32 s26, 0x7fc02000
	s_xor_b64 s[6:7], exec, -1
; %bb.892:                              ;   in Loop: Header=BB278_488 Depth=1
	s_or_b64 exec, exec, s[18:19]
	s_and_b64 s[6:7], s[6:7], exec
	s_or_saveexec_b64 s[8:9], s[8:9]
	v_mov_b32_e32 v28, s26
	s_xor_b64 exec, exec, s[8:9]
	s_cbranch_execz .LBB278_664
.LBB278_893:                            ;   in Loop: Header=BB278_488 Depth=1
	v_cmp_ne_u16_e64 s[0:1], 0, v6
	s_andn2_b64 s[6:7], s[6:7], exec
	s_and_b64 s[0:1], s[0:1], exec
	v_mov_b32_e32 v28, 0
	s_or_b64 s[6:7], s[6:7], s[0:1]
	s_or_b64 exec, exec, s[8:9]
	s_and_saveexec_b64 s[8:9], s[6:7]
	s_cbranch_execnz .LBB278_665
	s_branch .LBB278_666
.LBB278_894:                            ;   in Loop: Header=BB278_488 Depth=1
	v_cmp_eq_u16_sdwa s[26:27], v6, s20 src0_sel:BYTE_0 src1_sel:DWORD
	s_mov_b64 s[0:1], -1
                                        ; implicit-def: $sgpr18
	s_and_saveexec_b64 s[8:9], s[26:27]
; %bb.895:                              ;   in Loop: Header=BB278_488 Depth=1
	s_mov_b32 s18, 0x7fc02000
	s_xor_b64 s[0:1], exec, -1
; %bb.896:                              ;   in Loop: Header=BB278_488 Depth=1
	s_or_b64 exec, exec, s[8:9]
	s_and_b64 s[0:1], s[0:1], exec
	s_or_saveexec_b64 s[6:7], s[6:7]
	v_mov_b32_e32 v27, s18
	s_xor_b64 exec, exec, s[6:7]
	s_cbranch_execz .LBB278_668
.LBB278_897:                            ;   in Loop: Header=BB278_488 Depth=1
	v_cmp_ne_u16_sdwa s[8:9], v6, v7 src0_sel:BYTE_0 src1_sel:DWORD
	s_andn2_b64 s[0:1], s[0:1], exec
	s_and_b64 s[8:9], s[8:9], exec
	v_mov_b32_e32 v27, 0
	s_or_b64 s[0:1], s[0:1], s[8:9]
	s_or_b64 exec, exec, s[6:7]
	s_and_saveexec_b64 s[6:7], s[0:1]
	s_cbranch_execnz .LBB278_669
	s_branch .LBB278_670
.LBB278_898:                            ;   in Loop: Header=BB278_488 Depth=1
	v_cmp_eq_u16_e64 s[0:1], s20, v6
	s_mov_b64 s[6:7], -1
                                        ; implicit-def: $sgpr26
	s_and_saveexec_b64 s[18:19], s[0:1]
; %bb.899:                              ;   in Loop: Header=BB278_488 Depth=1
	s_mov_b32 s26, 0x7fc02000
	s_xor_b64 s[6:7], exec, -1
; %bb.900:                              ;   in Loop: Header=BB278_488 Depth=1
	s_or_b64 exec, exec, s[18:19]
	s_and_b64 s[6:7], s[6:7], exec
	s_or_saveexec_b64 s[8:9], s[8:9]
	v_mov_b32_e32 v29, s26
	s_xor_b64 exec, exec, s[8:9]
	s_cbranch_execz .LBB278_672
.LBB278_901:                            ;   in Loop: Header=BB278_488 Depth=1
	v_cmp_ne_u16_e64 s[0:1], 0, v6
	s_andn2_b64 s[6:7], s[6:7], exec
	s_and_b64 s[0:1], s[0:1], exec
	v_mov_b32_e32 v29, 0
	s_or_b64 s[6:7], s[6:7], s[0:1]
	s_or_b64 exec, exec, s[8:9]
	s_and_saveexec_b64 s[8:9], s[6:7]
	s_cbranch_execnz .LBB278_673
	s_branch .LBB278_674
.LBB278_902:                            ;   in Loop: Header=BB278_488 Depth=1
	v_cmp_eq_u16_sdwa s[26:27], v25, s20 src0_sel:BYTE_0 src1_sel:DWORD
	s_mov_b64 s[0:1], -1
                                        ; implicit-def: $sgpr18
	s_and_saveexec_b64 s[8:9], s[26:27]
; %bb.903:                              ;   in Loop: Header=BB278_488 Depth=1
	s_mov_b32 s18, 0x7fc02000
	s_xor_b64 s[0:1], exec, -1
; %bb.904:                              ;   in Loop: Header=BB278_488 Depth=1
	s_or_b64 exec, exec, s[8:9]
	s_and_b64 s[0:1], s[0:1], exec
	s_or_saveexec_b64 s[6:7], s[6:7]
	v_mov_b32_e32 v17, s18
	s_xor_b64 exec, exec, s[6:7]
	s_cbranch_execz .LBB278_676
.LBB278_905:                            ;   in Loop: Header=BB278_488 Depth=1
	v_cmp_ne_u16_sdwa s[8:9], v25, v7 src0_sel:BYTE_0 src1_sel:DWORD
	s_andn2_b64 s[0:1], s[0:1], exec
	s_and_b64 s[8:9], s[8:9], exec
	v_mov_b32_e32 v17, 0
	s_or_b64 s[0:1], s[0:1], s[8:9]
	s_or_b64 exec, exec, s[6:7]
	v_mov_b32_e32 v6, v25
	s_and_saveexec_b64 s[6:7], s[0:1]
	s_cbranch_execnz .LBB278_677
	s_branch .LBB278_678
.LBB278_906:                            ;   in Loop: Header=BB278_488 Depth=1
	v_cmp_eq_u16_e64 s[0:1], s20, v6
	s_mov_b64 s[6:7], -1
                                        ; implicit-def: $sgpr26
	s_and_saveexec_b64 s[18:19], s[0:1]
; %bb.907:                              ;   in Loop: Header=BB278_488 Depth=1
	s_mov_b32 s26, 0x7fc02000
	s_xor_b64 s[6:7], exec, -1
; %bb.908:                              ;   in Loop: Header=BB278_488 Depth=1
	s_or_b64 exec, exec, s[18:19]
	s_and_b64 s[6:7], s[6:7], exec
	s_or_saveexec_b64 s[8:9], s[8:9]
	v_mov_b32_e32 v18, s26
	s_xor_b64 exec, exec, s[8:9]
	s_cbranch_execz .LBB278_680
.LBB278_909:                            ;   in Loop: Header=BB278_488 Depth=1
	v_cmp_ne_u16_e64 s[0:1], 0, v6
	s_andn2_b64 s[6:7], s[6:7], exec
	s_and_b64 s[0:1], s[0:1], exec
	v_mov_b32_e32 v18, 0
	s_or_b64 s[6:7], s[6:7], s[0:1]
	s_or_b64 exec, exec, s[8:9]
	s_and_saveexec_b64 s[8:9], s[6:7]
	s_cbranch_execnz .LBB278_681
	s_branch .LBB278_682
.LBB278_910:                            ;   in Loop: Header=BB278_488 Depth=1
	v_cmp_eq_u16_sdwa s[26:27], v6, s20 src0_sel:BYTE_0 src1_sel:DWORD
	s_mov_b64 s[0:1], -1
                                        ; implicit-def: $sgpr18
	s_and_saveexec_b64 s[8:9], s[26:27]
; %bb.911:                              ;   in Loop: Header=BB278_488 Depth=1
	s_mov_b32 s18, 0x7fc02000
	s_xor_b64 s[0:1], exec, -1
; %bb.912:                              ;   in Loop: Header=BB278_488 Depth=1
	s_or_b64 exec, exec, s[8:9]
	s_and_b64 s[0:1], s[0:1], exec
	s_or_saveexec_b64 s[6:7], s[6:7]
	v_mov_b32_e32 v22, s18
	s_xor_b64 exec, exec, s[6:7]
	s_cbranch_execz .LBB278_684
.LBB278_913:                            ;   in Loop: Header=BB278_488 Depth=1
	v_cmp_ne_u16_sdwa s[8:9], v6, v7 src0_sel:BYTE_0 src1_sel:DWORD
	s_andn2_b64 s[0:1], s[0:1], exec
	s_and_b64 s[8:9], s[8:9], exec
	v_mov_b32_e32 v22, 0
	s_or_b64 s[0:1], s[0:1], s[8:9]
	s_or_b64 exec, exec, s[6:7]
	s_and_saveexec_b64 s[6:7], s[0:1]
	s_cbranch_execnz .LBB278_685
	s_branch .LBB278_686
.LBB278_914:                            ;   in Loop: Header=BB278_488 Depth=1
	v_cmp_eq_u16_e64 s[0:1], s20, v6
	s_mov_b64 s[6:7], -1
                                        ; implicit-def: $sgpr26
	s_and_saveexec_b64 s[18:19], s[0:1]
; %bb.915:                              ;   in Loop: Header=BB278_488 Depth=1
	s_mov_b32 s26, 0x7fc02000
	s_xor_b64 s[6:7], exec, -1
; %bb.916:                              ;   in Loop: Header=BB278_488 Depth=1
	s_or_b64 exec, exec, s[18:19]
	s_and_b64 s[6:7], s[6:7], exec
	s_or_saveexec_b64 s[8:9], s[8:9]
	v_mov_b32_e32 v24, s26
	s_xor_b64 exec, exec, s[8:9]
	s_cbranch_execz .LBB278_688
.LBB278_917:                            ;   in Loop: Header=BB278_488 Depth=1
	v_cmp_ne_u16_e64 s[0:1], 0, v6
	s_andn2_b64 s[6:7], s[6:7], exec
	s_and_b64 s[0:1], s[0:1], exec
	v_mov_b32_e32 v24, 0
	s_or_b64 s[6:7], s[6:7], s[0:1]
	s_or_b64 exec, exec, s[8:9]
	s_and_saveexec_b64 s[8:9], s[6:7]
	s_cbranch_execnz .LBB278_689
	s_branch .LBB278_690
.LBB278_918:                            ;   in Loop: Header=BB278_488 Depth=1
	v_cmp_eq_u16_sdwa s[26:27], v16, s20 src0_sel:BYTE_0 src1_sel:DWORD
	s_mov_b64 s[0:1], -1
                                        ; implicit-def: $sgpr18
	s_and_saveexec_b64 s[8:9], s[26:27]
; %bb.919:                              ;   in Loop: Header=BB278_488 Depth=1
	s_mov_b32 s18, 0x7fc02000
	s_xor_b64 s[0:1], exec, -1
; %bb.920:                              ;   in Loop: Header=BB278_488 Depth=1
	s_or_b64 exec, exec, s[8:9]
	s_and_b64 s[0:1], s[0:1], exec
	s_or_saveexec_b64 s[6:7], s[6:7]
	v_mov_b32_e32 v24, s18
	s_xor_b64 exec, exec, s[6:7]
	s_cbranch_execz .LBB278_694
.LBB278_921:                            ;   in Loop: Header=BB278_488 Depth=1
	v_cmp_ne_u16_sdwa s[8:9], v16, v7 src0_sel:BYTE_0 src1_sel:DWORD
	s_andn2_b64 s[0:1], s[0:1], exec
	s_and_b64 s[8:9], s[8:9], exec
	v_mov_b32_e32 v24, 0
	s_or_b64 s[0:1], s[0:1], s[8:9]
	s_or_b64 exec, exec, s[6:7]
	s_and_saveexec_b64 s[6:7], s[0:1]
	s_cbranch_execnz .LBB278_695
	s_branch .LBB278_696
.LBB278_922:                            ;   in Loop: Header=BB278_488 Depth=1
	v_cmp_eq_u16_e64 s[0:1], s20, v6
	s_mov_b64 s[6:7], -1
                                        ; implicit-def: $sgpr26
	s_and_saveexec_b64 s[18:19], s[0:1]
; %bb.923:                              ;   in Loop: Header=BB278_488 Depth=1
	s_mov_b32 s26, 0x7fc02000
	s_xor_b64 s[6:7], exec, -1
; %bb.924:                              ;   in Loop: Header=BB278_488 Depth=1
	s_or_b64 exec, exec, s[18:19]
	s_and_b64 s[6:7], s[6:7], exec
	s_or_saveexec_b64 s[8:9], s[8:9]
	v_mov_b32_e32 v26, s26
	s_xor_b64 exec, exec, s[8:9]
	s_cbranch_execz .LBB278_698
.LBB278_925:                            ;   in Loop: Header=BB278_488 Depth=1
	v_cmp_ne_u16_e64 s[0:1], 0, v6
	s_andn2_b64 s[6:7], s[6:7], exec
	s_and_b64 s[0:1], s[0:1], exec
	v_mov_b32_e32 v26, 0
	s_or_b64 s[6:7], s[6:7], s[0:1]
	s_or_b64 exec, exec, s[8:9]
	s_and_saveexec_b64 s[8:9], s[6:7]
	s_cbranch_execnz .LBB278_699
	s_branch .LBB278_700
.LBB278_926:                            ;   in Loop: Header=BB278_488 Depth=1
	v_cmp_eq_u16_sdwa s[26:27], v6, s20 src0_sel:BYTE_0 src1_sel:DWORD
	s_mov_b64 s[0:1], -1
                                        ; implicit-def: $sgpr18
	s_and_saveexec_b64 s[8:9], s[26:27]
; %bb.927:                              ;   in Loop: Header=BB278_488 Depth=1
	s_mov_b32 s18, 0x7fc02000
	s_xor_b64 s[0:1], exec, -1
; %bb.928:                              ;   in Loop: Header=BB278_488 Depth=1
	s_or_b64 exec, exec, s[8:9]
	s_and_b64 s[0:1], s[0:1], exec
	s_or_saveexec_b64 s[6:7], s[6:7]
	v_mov_b32_e32 v25, s18
	s_xor_b64 exec, exec, s[6:7]
	s_cbranch_execz .LBB278_702
.LBB278_929:                            ;   in Loop: Header=BB278_488 Depth=1
	v_cmp_ne_u16_sdwa s[8:9], v6, v7 src0_sel:BYTE_0 src1_sel:DWORD
	s_andn2_b64 s[0:1], s[0:1], exec
	s_and_b64 s[8:9], s[8:9], exec
	v_mov_b32_e32 v25, 0
	s_or_b64 s[0:1], s[0:1], s[8:9]
	s_or_b64 exec, exec, s[6:7]
	s_and_saveexec_b64 s[6:7], s[0:1]
	s_cbranch_execnz .LBB278_703
	s_branch .LBB278_704
.LBB278_930:                            ;   in Loop: Header=BB278_488 Depth=1
	v_cmp_eq_u16_e64 s[0:1], s20, v6
	s_mov_b64 s[6:7], -1
                                        ; implicit-def: $sgpr26
	s_and_saveexec_b64 s[18:19], s[0:1]
; %bb.931:                              ;   in Loop: Header=BB278_488 Depth=1
	s_mov_b32 s26, 0x7fc02000
	s_xor_b64 s[6:7], exec, -1
; %bb.932:                              ;   in Loop: Header=BB278_488 Depth=1
	s_or_b64 exec, exec, s[18:19]
	s_and_b64 s[6:7], s[6:7], exec
	s_or_saveexec_b64 s[8:9], s[8:9]
	v_mov_b32_e32 v27, s26
	s_xor_b64 exec, exec, s[8:9]
	s_cbranch_execz .LBB278_706
.LBB278_933:                            ;   in Loop: Header=BB278_488 Depth=1
	v_cmp_ne_u16_e64 s[0:1], 0, v6
	s_andn2_b64 s[6:7], s[6:7], exec
	s_and_b64 s[0:1], s[0:1], exec
	v_mov_b32_e32 v27, 0
	s_or_b64 s[6:7], s[6:7], s[0:1]
	s_or_b64 exec, exec, s[8:9]
	s_and_saveexec_b64 s[8:9], s[6:7]
	s_cbranch_execnz .LBB278_707
	s_branch .LBB278_708
.LBB278_934:                            ;   in Loop: Header=BB278_488 Depth=1
	v_cmp_eq_u16_sdwa s[26:27], v17, s20 src0_sel:BYTE_0 src1_sel:DWORD
	s_mov_b64 s[0:1], -1
                                        ; implicit-def: $sgpr18
	s_and_saveexec_b64 s[8:9], s[26:27]
; %bb.935:                              ;   in Loop: Header=BB278_488 Depth=1
	s_mov_b32 s18, 0x7fc02000
	s_xor_b64 s[0:1], exec, -1
; %bb.936:                              ;   in Loop: Header=BB278_488 Depth=1
	s_or_b64 exec, exec, s[8:9]
	s_and_b64 s[0:1], s[0:1], exec
	s_or_saveexec_b64 s[6:7], s[6:7]
	v_mov_b32_e32 v11, s18
	s_xor_b64 exec, exec, s[6:7]
	s_cbranch_execz .LBB278_710
.LBB278_937:                            ;   in Loop: Header=BB278_488 Depth=1
	v_cmp_ne_u16_sdwa s[8:9], v17, v7 src0_sel:BYTE_0 src1_sel:DWORD
	s_andn2_b64 s[0:1], s[0:1], exec
	s_and_b64 s[8:9], s[8:9], exec
	v_mov_b32_e32 v11, 0
	s_or_b64 s[0:1], s[0:1], s[8:9]
	s_or_b64 exec, exec, s[6:7]
	v_mov_b32_e32 v6, v17
	s_and_saveexec_b64 s[6:7], s[0:1]
	s_cbranch_execnz .LBB278_711
	s_branch .LBB278_712
.LBB278_938:                            ;   in Loop: Header=BB278_488 Depth=1
	v_cmp_eq_u16_e64 s[0:1], s20, v6
	s_mov_b64 s[6:7], -1
                                        ; implicit-def: $sgpr26
	s_and_saveexec_b64 s[18:19], s[0:1]
; %bb.939:                              ;   in Loop: Header=BB278_488 Depth=1
	s_mov_b32 s26, 0x7fc02000
	s_xor_b64 s[6:7], exec, -1
; %bb.940:                              ;   in Loop: Header=BB278_488 Depth=1
	s_or_b64 exec, exec, s[18:19]
	s_and_b64 s[6:7], s[6:7], exec
	s_or_saveexec_b64 s[8:9], s[8:9]
	v_mov_b32_e32 v16, s26
	s_xor_b64 exec, exec, s[8:9]
	s_cbranch_execz .LBB278_714
.LBB278_941:                            ;   in Loop: Header=BB278_488 Depth=1
	v_cmp_ne_u16_e64 s[0:1], 0, v6
	s_andn2_b64 s[6:7], s[6:7], exec
	s_and_b64 s[0:1], s[0:1], exec
	v_mov_b32_e32 v16, 0
	s_or_b64 s[6:7], s[6:7], s[0:1]
	s_or_b64 exec, exec, s[8:9]
	s_and_saveexec_b64 s[8:9], s[6:7]
	s_cbranch_execnz .LBB278_715
	s_branch .LBB278_716
.LBB278_942:                            ;   in Loop: Header=BB278_488 Depth=1
	v_cmp_eq_u16_sdwa s[26:27], v6, s20 src0_sel:BYTE_0 src1_sel:DWORD
	s_mov_b64 s[0:1], -1
                                        ; implicit-def: $sgpr18
	s_and_saveexec_b64 s[8:9], s[26:27]
; %bb.943:                              ;   in Loop: Header=BB278_488 Depth=1
	s_mov_b32 s18, 0x7fc02000
	s_xor_b64 s[0:1], exec, -1
; %bb.944:                              ;   in Loop: Header=BB278_488 Depth=1
	s_or_b64 exec, exec, s[8:9]
	s_and_b64 s[0:1], s[0:1], exec
	s_or_saveexec_b64 s[6:7], s[6:7]
	v_mov_b32_e32 v23, s18
	s_xor_b64 exec, exec, s[6:7]
	s_cbranch_execz .LBB278_718
.LBB278_945:                            ;   in Loop: Header=BB278_488 Depth=1
	v_cmp_ne_u16_sdwa s[8:9], v6, v7 src0_sel:BYTE_0 src1_sel:DWORD
	s_andn2_b64 s[0:1], s[0:1], exec
	s_and_b64 s[8:9], s[8:9], exec
	v_mov_b32_e32 v23, 0
	s_or_b64 s[0:1], s[0:1], s[8:9]
	s_or_b64 exec, exec, s[6:7]
	s_and_saveexec_b64 s[6:7], s[0:1]
	s_cbranch_execnz .LBB278_719
	s_branch .LBB278_720
.LBB278_946:                            ;   in Loop: Header=BB278_488 Depth=1
	v_cmp_eq_u16_e64 s[0:1], s20, v6
	s_mov_b64 s[6:7], -1
                                        ; implicit-def: $sgpr26
	s_and_saveexec_b64 s[18:19], s[0:1]
; %bb.947:                              ;   in Loop: Header=BB278_488 Depth=1
	s_mov_b32 s26, 0x7fc02000
	s_xor_b64 s[6:7], exec, -1
; %bb.948:                              ;   in Loop: Header=BB278_488 Depth=1
	s_or_b64 exec, exec, s[18:19]
	s_and_b64 s[6:7], s[6:7], exec
	s_or_saveexec_b64 s[8:9], s[8:9]
	v_mov_b32_e32 v28, s26
	s_xor_b64 exec, exec, s[8:9]
	s_cbranch_execz .LBB278_722
.LBB278_949:                            ;   in Loop: Header=BB278_488 Depth=1
	v_cmp_ne_u16_e64 s[0:1], 0, v6
	s_andn2_b64 s[6:7], s[6:7], exec
	s_and_b64 s[0:1], s[0:1], exec
	v_mov_b32_e32 v28, 0
	s_or_b64 s[6:7], s[6:7], s[0:1]
	s_or_b64 exec, exec, s[8:9]
	s_and_saveexec_b64 s[8:9], s[6:7]
	s_cbranch_execnz .LBB278_723
	s_branch .LBB278_724
.LBB278_950:
	s_or_b64 exec, exec, s[4:5]
.LBB278_951:
	s_or_b64 exec, exec, s[2:3]
	ds_bpermute_b32 v2, v30, v8
	ds_bpermute_b32 v3, v30, v9
	;; [unrolled: 1-line block ×6, first 2 shown]
	s_waitcnt lgkmcnt(4)
	v_pk_add_f32 v[2:3], v[8:9], v[2:3]
	ds_bpermute_b32 v8, v30, v36
	s_waitcnt lgkmcnt(3)
	v_pk_add_f32 v[0:1], v[20:21], v[0:1]
	ds_bpermute_b32 v6, v31, v0
	ds_bpermute_b32 v7, v31, v1
	s_waitcnt lgkmcnt(3)
	v_pk_add_f32 v[10:11], v[4:5], v[10:11]
	s_waitcnt lgkmcnt(2)
	v_add_f32_e32 v16, v36, v8
	ds_bpermute_b32 v12, v31, v2
	ds_bpermute_b32 v13, v31, v3
	;; [unrolled: 1-line block ×5, first 2 shown]
	s_waitcnt lgkmcnt(5)
	v_pk_add_f32 v[8:9], v[0:1], v[6:7]
	v_accvgpr_read_b32 v0, a2
	v_and_b32_e32 v0, 0x3c3, v0
	s_waitcnt lgkmcnt(3)
	v_pk_add_f32 v[4:5], v[2:3], v[12:13]
	s_waitcnt lgkmcnt(1)
	v_pk_add_f32 v[2:3], v[10:11], v[14:15]
	s_waitcnt lgkmcnt(0)
	v_add_f32_e32 v6, v16, v17
	v_cmp_eq_u32_e32 vcc, 64, v0
	s_barrier
	s_and_saveexec_b64 s[0:1], vcc
	s_cbranch_execz .LBB278_953
; %bb.952:
	s_ashr_i32 s17, s16, 31
	s_lshl_b64 s[2:3], s[16:17], 2
	s_getpc_b64 s[4:5]
	s_add_u32 s4, s4, llvm.amdgcn.dynlds.offset.table@rel32@lo+4
	s_addc_u32 s5, s5, llvm.amdgcn.dynlds.offset.table@rel32@hi+12
	s_add_u32 s2, s2, s4
	s_addc_u32 s3, s3, s5
	s_load_dword s2, s[2:3], 0x0
	s_waitcnt lgkmcnt(0)
	v_add_u32_e32 v1, s2, v19
	ds_write2_b32 v1, v8, v9 offset1:16
	ds_write2_b32 v1, v4, v5 offset0:32 offset1:48
	ds_write2_b32 v1, v2, v3 offset0:64 offset1:80
	ds_write_b32 v1, v6 offset:384
.LBB278_953:
	s_or_b64 exec, exec, s[0:1]
	v_accvgpr_read_b32 v1, a2
	v_cmp_gt_u32_e32 vcc, 64, v1
	s_waitcnt lgkmcnt(0)
	s_barrier
	s_and_saveexec_b64 s[0:1], vcc
	s_cbranch_execz .LBB278_963
; %bb.954:
	v_accvgpr_read_b32 v1, a2
	v_cmp_eq_u32_e32 vcc, 0, v35
	v_lshrrev_b32_e32 v1, 2, v1
	s_and_saveexec_b64 s[2:3], vcc
	s_cbranch_execnz .LBB278_966
; %bb.955:
	s_or_b64 exec, exec, s[2:3]
	s_and_saveexec_b64 s[2:3], vcc
	s_cbranch_execnz .LBB278_967
.LBB278_956:
	s_or_b64 exec, exec, s[2:3]
	s_and_saveexec_b64 s[2:3], vcc
	s_cbranch_execnz .LBB278_968
.LBB278_957:
	s_or_b64 exec, exec, s[2:3]
	s_and_saveexec_b64 s[2:3], vcc
	s_cbranch_execnz .LBB278_969
.LBB278_958:
	s_or_b64 exec, exec, s[2:3]
	s_and_saveexec_b64 s[2:3], vcc
	s_cbranch_execnz .LBB278_970
.LBB278_959:
	s_or_b64 exec, exec, s[2:3]
	s_and_saveexec_b64 s[2:3], vcc
	s_cbranch_execnz .LBB278_971
.LBB278_960:
	s_or_b64 exec, exec, s[2:3]
	s_and_saveexec_b64 s[2:3], vcc
	s_cbranch_execz .LBB278_962
.LBB278_961:
	s_ashr_i32 s17, s16, 31
	s_lshl_b64 s[4:5], s[16:17], 2
	s_getpc_b64 s[6:7]
	s_add_u32 s6, s6, llvm.amdgcn.dynlds.offset.table@rel32@lo+4
	s_addc_u32 s7, s7, llvm.amdgcn.dynlds.offset.table@rel32@hi+12
	s_add_u32 s4, s4, s6
	s_addc_u32 s5, s5, s7
	s_load_dword s4, s[4:5], 0x0
	s_waitcnt lgkmcnt(0)
	v_lshl_add_u32 v1, v1, 2, s4
	ds_read_b32 v1, v1 offset:384
	s_waitcnt lgkmcnt(0)
	v_add_f32_e32 v6, v6, v1
.LBB278_962:
	s_or_b64 exec, exec, s[2:3]
.LBB278_963:
	s_or_b64 exec, exec, s[0:1]
	v_cmp_eq_u32_e32 vcc, 0, v0
	s_barrier
	s_and_saveexec_b64 s[0:1], vcc
	s_cbranch_execz .LBB278_965
; %bb.964:
	v_cmp_ne_u16_e64 s[2:3], s15, 0
	s_cmp_lg_u64 s[2:3], 0
	s_addc_u32 s4, s13, 0
	s_mul_i32 s2, s4, s10
	s_mul_i32 s2, s2, s11
	s_mulk_i32 s2, 0x70
	s_mul_i32 s4, s12, s4
	s_mul_i32 s6, s14, 0x70
	s_ashr_i32 s3, s2, 31
	s_ashr_i32 s5, s4, 31
	s_ashr_i32 s7, s6, 31
	s_lshl_b64 s[2:3], s[2:3], 1
	s_lshl_b64 s[4:5], s[4:5], 1
	;; [unrolled: 1-line block ×3, first 2 shown]
	s_add_u32 s4, s6, s4
	s_addc_u32 s5, s7, s5
	s_add_u32 s2, s4, s2
	v_accvgpr_read_b32 v0, a0
	s_addc_u32 s3, s5, s3
	v_accvgpr_read_b32 v1, a1
	v_accvgpr_read_b32 v7, a2
	v_lshl_add_u64 v[0:1], s[2:3], 0, v[0:1]
	v_lshrrev_b32_e32 v10, 1, v7
	v_mov_b32_e32 v11, 0
	v_lshl_add_u64 v[0:1], v[0:1], 0, v[10:11]
	;;#ASMSTART
	v_cvt_f16_f32 v7, v8;

	;;#ASMEND
	flat_store_short v[0:1], v7
	;;#ASMSTART
	v_cvt_f16_f32 v7, v9;

	;;#ASMEND
	flat_store_short v[0:1], v7 offset:32
	;;#ASMSTART
	v_cvt_f16_f32 v4, v4;

	;;#ASMEND
	flat_store_short v[0:1], v4 offset:64
	;; [unrolled: 5-line block ×6, first 2 shown]
.LBB278_965:
	s_or_b64 exec, exec, s[0:1]
	scratch_load_dword a44, off, s32        ; 4-byte Folded Reload
	scratch_load_dword a43, off, s32 offset:4 ; 4-byte Folded Reload
	scratch_load_dword a42, off, s32 offset:8 ; 4-byte Folded Reload
	;; [unrolled: 1-line block ×28, first 2 shown]
	s_waitcnt vmcnt(0) lgkmcnt(0)
	s_setpc_b64 s[30:31]
.LBB278_966:
	s_ashr_i32 s17, s16, 31
	s_lshl_b64 s[4:5], s[16:17], 2
	s_getpc_b64 s[6:7]
	s_add_u32 s6, s6, llvm.amdgcn.dynlds.offset.table@rel32@lo+4
	s_addc_u32 s7, s7, llvm.amdgcn.dynlds.offset.table@rel32@hi+12
	s_add_u32 s4, s4, s6
	s_addc_u32 s5, s5, s7
	s_load_dword s4, s[4:5], 0x0
	s_waitcnt lgkmcnt(0)
	v_lshl_add_u32 v7, v1, 2, s4
	ds_read_b32 v7, v7
	s_waitcnt lgkmcnt(0)
	v_add_f32_e32 v8, v8, v7
	s_or_b64 exec, exec, s[2:3]
	s_and_saveexec_b64 s[2:3], vcc
	s_cbranch_execz .LBB278_956
.LBB278_967:
	s_ashr_i32 s17, s16, 31
	s_lshl_b64 s[4:5], s[16:17], 2
	s_getpc_b64 s[6:7]
	s_add_u32 s6, s6, llvm.amdgcn.dynlds.offset.table@rel32@lo+4
	s_addc_u32 s7, s7, llvm.amdgcn.dynlds.offset.table@rel32@hi+12
	s_add_u32 s4, s4, s6
	s_addc_u32 s5, s5, s7
	s_load_dword s4, s[4:5], 0x0
	s_waitcnt lgkmcnt(0)
	v_lshl_add_u32 v7, v1, 2, s4
	ds_read_b32 v7, v7 offset:64
	s_waitcnt lgkmcnt(0)
	v_add_f32_e32 v9, v9, v7
	s_or_b64 exec, exec, s[2:3]
	s_and_saveexec_b64 s[2:3], vcc
	s_cbranch_execz .LBB278_957
.LBB278_968:
	s_ashr_i32 s17, s16, 31
	s_lshl_b64 s[4:5], s[16:17], 2
	s_getpc_b64 s[6:7]
	s_add_u32 s6, s6, llvm.amdgcn.dynlds.offset.table@rel32@lo+4
	s_addc_u32 s7, s7, llvm.amdgcn.dynlds.offset.table@rel32@hi+12
	s_add_u32 s4, s4, s6
	s_addc_u32 s5, s5, s7
	s_load_dword s4, s[4:5], 0x0
	s_waitcnt lgkmcnt(0)
	v_lshl_add_u32 v7, v1, 2, s4
	ds_read_b32 v7, v7 offset:128
	s_waitcnt lgkmcnt(0)
	v_add_f32_e32 v4, v4, v7
	s_or_b64 exec, exec, s[2:3]
	s_and_saveexec_b64 s[2:3], vcc
	s_cbranch_execz .LBB278_958
.LBB278_969:
	s_ashr_i32 s17, s16, 31
	s_lshl_b64 s[4:5], s[16:17], 2
	s_getpc_b64 s[6:7]
	s_add_u32 s6, s6, llvm.amdgcn.dynlds.offset.table@rel32@lo+4
	s_addc_u32 s7, s7, llvm.amdgcn.dynlds.offset.table@rel32@hi+12
	s_add_u32 s4, s4, s6
	s_addc_u32 s5, s5, s7
	s_load_dword s4, s[4:5], 0x0
	s_waitcnt lgkmcnt(0)
	v_lshl_add_u32 v7, v1, 2, s4
	ds_read_b32 v7, v7 offset:192
	s_waitcnt lgkmcnt(0)
	v_add_f32_e32 v5, v5, v7
	s_or_b64 exec, exec, s[2:3]
	s_and_saveexec_b64 s[2:3], vcc
	s_cbranch_execz .LBB278_959
.LBB278_970:
	s_ashr_i32 s17, s16, 31
	s_lshl_b64 s[4:5], s[16:17], 2
	s_getpc_b64 s[6:7]
	s_add_u32 s6, s6, llvm.amdgcn.dynlds.offset.table@rel32@lo+4
	s_addc_u32 s7, s7, llvm.amdgcn.dynlds.offset.table@rel32@hi+12
	s_add_u32 s4, s4, s6
	s_addc_u32 s5, s5, s7
	s_load_dword s4, s[4:5], 0x0
	s_waitcnt lgkmcnt(0)
	v_lshl_add_u32 v7, v1, 2, s4
	ds_read_b32 v7, v7 offset:256
	s_waitcnt lgkmcnt(0)
	v_add_f32_e32 v2, v2, v7
	s_or_b64 exec, exec, s[2:3]
	s_and_saveexec_b64 s[2:3], vcc
	s_cbranch_execz .LBB278_960
.LBB278_971:
	s_ashr_i32 s17, s16, 31
	s_lshl_b64 s[4:5], s[16:17], 2
	s_getpc_b64 s[6:7]
	s_add_u32 s6, s6, llvm.amdgcn.dynlds.offset.table@rel32@lo+4
	s_addc_u32 s7, s7, llvm.amdgcn.dynlds.offset.table@rel32@hi+12
	s_add_u32 s4, s4, s6
	s_addc_u32 s5, s5, s7
	s_load_dword s4, s[4:5], 0x0
	s_waitcnt lgkmcnt(0)
	v_lshl_add_u32 v7, v1, 2, s4
	ds_read_b32 v7, v7 offset:320
	s_waitcnt lgkmcnt(0)
	v_add_f32_e32 v3, v3, v7
	s_or_b64 exec, exec, s[2:3]
	s_and_saveexec_b64 s[2:3], vcc
	s_cbranch_execnz .LBB278_961
	s_branch .LBB278_962
.Lfunc_end278:
	.size	_ZN4vllm22paged_attention_kernelIthLi112ELi32ELi128ELNS_18Fp8KVCacheDataTypeE1ELb0ELi0EEEvPfS2_PT_PKS3_PKT0_S9_ifPKiSB_iPKfiiiSD_SD_iiiii, .Lfunc_end278-_ZN4vllm22paged_attention_kernelIthLi112ELi32ELi128ELNS_18Fp8KVCacheDataTypeE1ELb0ELi0EEEvPfS2_PT_PKS3_PKT0_S9_ifPKiSB_iPKfiiiSD_SD_iiiii
                                        ; -- End function
	.section	.AMDGPU.csdata,"",@progbits
; Function info:
; codeLenInByte = 40340
; NumSgprs: 39
; NumVgprs: 64
; NumAgprs: 45
; TotalNumVgprs: 109
; ScratchSize: 128
; MemoryBound: 0
	.section	.text._ZN4vllm25paged_attention_v1_kernelIthLi112ELi32ELi128ELNS_18Fp8KVCacheDataTypeE1ELb0EEEvPT_PKS2_PKT0_S8_ifPKiSA_iPKfiiiSC_SC_iiiii,"axG",@progbits,_ZN4vllm25paged_attention_v1_kernelIthLi112ELi32ELi128ELNS_18Fp8KVCacheDataTypeE1ELb0EEEvPT_PKS2_PKT0_S8_ifPKiSA_iPKfiiiSC_SC_iiiii,comdat
	.protected	_ZN4vllm25paged_attention_v1_kernelIthLi112ELi32ELi128ELNS_18Fp8KVCacheDataTypeE1ELb0EEEvPT_PKS2_PKT0_S8_ifPKiSA_iPKfiiiSC_SC_iiiii ; -- Begin function _ZN4vllm25paged_attention_v1_kernelIthLi112ELi32ELi128ELNS_18Fp8KVCacheDataTypeE1ELb0EEEvPT_PKS2_PKT0_S8_ifPKiSA_iPKfiiiSC_SC_iiiii
	.globl	_ZN4vllm25paged_attention_v1_kernelIthLi112ELi32ELi128ELNS_18Fp8KVCacheDataTypeE1ELb0EEEvPT_PKS2_PKT0_S8_ifPKiSA_iPKfiiiSC_SC_iiiii
	.p2align	8
	.type	_ZN4vllm25paged_attention_v1_kernelIthLi112ELi32ELi128ELNS_18Fp8KVCacheDataTypeE1ELb0EEEvPT_PKS2_PKT0_S8_ifPKiSA_iPKfiiiSC_SC_iiiii,@function
_ZN4vllm25paged_attention_v1_kernelIthLi112ELi32ELi128ELNS_18Fp8KVCacheDataTypeE1ELb0EEEvPT_PKS2_PKT0_S8_ifPKiSA_iPKfiiiSC_SC_iiiii: ; @_ZN4vllm25paged_attention_v1_kernelIthLi112ELi32ELi128ELNS_18Fp8KVCacheDataTypeE1ELb0EEEvPT_PKS2_PKT0_S8_ifPKiSA_iPKfiiiSC_SC_iiiii
; %bb.0:
	s_load_dwordx8 s[16:23], s[0:1], 0x0
	s_load_dwordx4 s[36:39], s[0:1], 0x20
	s_load_dwordx2 s[6:7], s[0:1], 0x30
	s_load_dword s5, s[0:1], 0x38
	s_load_dwordx2 s[10:11], s[0:1], 0x40
	s_load_dwordx8 s[24:31], s[0:1], 0x48
	s_add_u32 s8, s0, 0x80
	s_addc_u32 s9, s1, 0
	s_mov_b32 s12, s2
	s_mov_b32 s13, s3
	;; [unrolled: 1-line block ×4, first 2 shown]
	v_mov_b32_e32 v31, v0
	s_waitcnt lgkmcnt(0)
	v_mov_b32_e32 v0, s16
	v_mov_b32_e32 v1, s17
	;; [unrolled: 1-line block ×24, first 2 shown]
	s_mov_b32 s32, 0
	s_getpc_b64 s[0:1]
	s_add_u32 s0, s0, _ZN4vllm22paged_attention_kernelIthLi112ELi32ELi128ELNS_18Fp8KVCacheDataTypeE1ELb0ELi0EEEvPfS2_PT_PKS3_PKT0_S9_ifPKiSB_iPKfiiiSD_SD_iiiii@rel32@lo+4
	s_addc_u32 s1, s1, _ZN4vllm22paged_attention_kernelIthLi112ELi32ELi128ELNS_18Fp8KVCacheDataTypeE1ELb0ELi0EEEvPfS2_PT_PKS3_PKT0_S9_ifPKiSB_iPKfiiiSD_SD_iiiii@rel32@hi+12
	s_swappc_b64 s[30:31], s[0:1]
	s_endpgm
	.section	.rodata,"a",@progbits
	.p2align	6, 0x0
	.amdhsa_kernel _ZN4vllm25paged_attention_v1_kernelIthLi112ELi32ELi128ELNS_18Fp8KVCacheDataTypeE1ELb0EEEvPT_PKS2_PKT0_S8_ifPKiSA_iPKfiiiSC_SC_iiiii
		.amdhsa_group_segment_fixed_size 240
		.amdhsa_private_segment_fixed_size 128
		.amdhsa_kernarg_size 384
		.amdhsa_user_sgpr_count 2
		.amdhsa_user_sgpr_dispatch_ptr 0
		.amdhsa_user_sgpr_queue_ptr 0
		.amdhsa_user_sgpr_kernarg_segment_ptr 1
		.amdhsa_user_sgpr_dispatch_id 0
		.amdhsa_user_sgpr_kernarg_preload_length 0
		.amdhsa_user_sgpr_kernarg_preload_offset 0
		.amdhsa_user_sgpr_private_segment_size 0
		.amdhsa_uses_dynamic_stack 0
		.amdhsa_enable_private_segment 1
		.amdhsa_system_sgpr_workgroup_id_x 1
		.amdhsa_system_sgpr_workgroup_id_y 1
		.amdhsa_system_sgpr_workgroup_id_z 1
		.amdhsa_system_sgpr_workgroup_info 0
		.amdhsa_system_vgpr_workitem_id 0
		.amdhsa_next_free_vgpr 109
		.amdhsa_next_free_sgpr 40
		.amdhsa_accum_offset 64
		.amdhsa_reserve_vcc 1
		.amdhsa_float_round_mode_32 0
		.amdhsa_float_round_mode_16_64 0
		.amdhsa_float_denorm_mode_32 3
		.amdhsa_float_denorm_mode_16_64 3
		.amdhsa_dx10_clamp 1
		.amdhsa_ieee_mode 1
		.amdhsa_fp16_overflow 0
		.amdhsa_tg_split 0
		.amdhsa_exception_fp_ieee_invalid_op 0
		.amdhsa_exception_fp_denorm_src 0
		.amdhsa_exception_fp_ieee_div_zero 0
		.amdhsa_exception_fp_ieee_overflow 0
		.amdhsa_exception_fp_ieee_underflow 0
		.amdhsa_exception_fp_ieee_inexact 0
		.amdhsa_exception_int_div_zero 0
	.end_amdhsa_kernel
	.section	.text._ZN4vllm25paged_attention_v1_kernelIthLi112ELi32ELi128ELNS_18Fp8KVCacheDataTypeE1ELb0EEEvPT_PKS2_PKT0_S8_ifPKiSA_iPKfiiiSC_SC_iiiii,"axG",@progbits,_ZN4vllm25paged_attention_v1_kernelIthLi112ELi32ELi128ELNS_18Fp8KVCacheDataTypeE1ELb0EEEvPT_PKS2_PKT0_S8_ifPKiSA_iPKfiiiSC_SC_iiiii,comdat
.Lfunc_end279:
	.size	_ZN4vllm25paged_attention_v1_kernelIthLi112ELi32ELi128ELNS_18Fp8KVCacheDataTypeE1ELb0EEEvPT_PKS2_PKT0_S8_ifPKiSA_iPKfiiiSC_SC_iiiii, .Lfunc_end279-_ZN4vllm25paged_attention_v1_kernelIthLi112ELi32ELi128ELNS_18Fp8KVCacheDataTypeE1ELb0EEEvPT_PKS2_PKT0_S8_ifPKiSA_iPKfiiiSC_SC_iiiii
                                        ; -- End function
	.section	.AMDGPU.csdata,"",@progbits
; Kernel info:
; codeLenInByte = 212
; NumSgprs: 46
; NumVgprs: 64
; NumAgprs: 45
; TotalNumVgprs: 109
; ScratchSize: 128
; MemoryBound: 0
; FloatMode: 240
; IeeeMode: 1
; LDSByteSize: 240 bytes/workgroup (compile time only)
; SGPRBlocks: 5
; VGPRBlocks: 13
; NumSGPRsForWavesPerEU: 46
; NumVGPRsForWavesPerEU: 109
; AccumOffset: 64
; Occupancy: 4
; WaveLimiterHint : 1
; COMPUTE_PGM_RSRC2:SCRATCH_EN: 1
; COMPUTE_PGM_RSRC2:USER_SGPR: 2
; COMPUTE_PGM_RSRC2:TRAP_HANDLER: 0
; COMPUTE_PGM_RSRC2:TGID_X_EN: 1
; COMPUTE_PGM_RSRC2:TGID_Y_EN: 1
; COMPUTE_PGM_RSRC2:TGID_Z_EN: 1
; COMPUTE_PGM_RSRC2:TIDIG_COMP_CNT: 0
; COMPUTE_PGM_RSRC3_GFX90A:ACCUM_OFFSET: 15
; COMPUTE_PGM_RSRC3_GFX90A:TG_SPLIT: 0
	.text
	.p2align	2                               ; -- Begin function _ZN4vllm22paged_attention_kernelIthLi120ELi32ELi128ELNS_18Fp8KVCacheDataTypeE1ELb0ELi0EEEvPfS2_PT_PKS3_PKT0_S9_ifPKiSB_iPKfiiiSD_SD_iiiii
	.type	_ZN4vllm22paged_attention_kernelIthLi120ELi32ELi128ELNS_18Fp8KVCacheDataTypeE1ELb0ELi0EEEvPfS2_PT_PKS3_PKT0_S9_ifPKiSB_iPKfiiiSD_SD_iiiii,@function
_ZN4vllm22paged_attention_kernelIthLi120ELi32ELi128ELNS_18Fp8KVCacheDataTypeE1ELb0ELi0EEEvPfS2_PT_PKS3_PKT0_S9_ifPKiSB_iPKfiiiSD_SD_iiiii: ; @_ZN4vllm22paged_attention_kernelIthLi120ELi32ELi128ELNS_18Fp8KVCacheDataTypeE1ELb0ELi0EEEvPfS2_PT_PKS3_PKT0_S9_ifPKiSB_iPKfiiiSD_SD_iiiii
; %bb.0:
	s_waitcnt vmcnt(0) expcnt(0) lgkmcnt(0)
	s_or_saveexec_b64 s[0:1], -1
	scratch_store_dword off, v63, s32 offset:120 ; 4-byte Folded Spill
	s_mov_b64 exec, s[0:1]
	scratch_store_dword off, v40, s32 offset:96 ; 4-byte Folded Spill
	scratch_store_dword off, v41, s32 offset:92 ; 4-byte Folded Spill
	;; [unrolled: 1-line block ×24, first 2 shown]
	scratch_store_dword off, a41, s32       ; 4-byte Folded Spill
	v_writelane_b32 v63, s30, 0
	s_nop 1
	v_writelane_b32 v63, s31, 1
	s_mov_b32 s10, s13
	v_accvgpr_write_b32 a0, v0
	s_ashr_i32 s11, s13, 31
	v_accvgpr_write_b32 a1, v1
	v_lshl_add_u64 v[0:1], s[10:11], 2, v[12:13]
	flat_load_dword a8, v[0:1]
	v_sub_u32_e32 v0, 0, v8
	v_max_i32_e32 v0, v8, v0
	v_cvt_f32_u32_e32 v1, v0
	s_load_dword s0, s[8:9], 0x10
	s_load_dword s2, s[8:9], 0x0
	v_accvgpr_write_b32 a13, v7
	v_accvgpr_write_b32 a12, v6
	v_rcp_iflag_f32_e32 v1, v1
	s_waitcnt lgkmcnt(0)
	s_lshr_b32 s0, s0, 16
	s_cmp_lg_u32 s0, 0
	s_cselect_b64 s[0:1], -1, 0
	v_mul_f32_e32 v1, 0x4f7ffffe, v1
	v_cvt_u32_f32_e32 v1, v1
	v_sub_u32_e32 v7, 0, v0
	s_cmp_lg_u64 s[0:1], 0
	s_addc_u32 s11, s2, 0
	v_mul_lo_u32 v7, v7, v1
	v_mul_hi_u32 v7, v1, v7
	s_abs_i32 s0, s11
	v_add_u32_e32 v1, v1, v7
	v_mul_hi_u32 v1, s0, v1
	v_mul_lo_u32 v7, v1, v0
	v_sub_u32_e32 v7, s0, v7
	v_xor_b32_e32 v6, s11, v8
	v_add_u32_e32 v8, 1, v1
	v_cmp_ge_u32_e32 vcc, v7, v0
	v_ashrrev_i32_e32 v6, 31, v6
	v_mov_b32_e32 v25, v16
	v_cndmask_b32_e32 v1, v1, v8, vcc
	v_sub_u32_e32 v8, v7, v0
	v_cndmask_b32_e32 v7, v7, v8, vcc
	v_add_u32_e32 v8, 1, v1
	v_cmp_ge_u32_e32 vcc, v7, v0
	v_mov_b32_e32 v24, v15
	v_accvgpr_write_b32 a4, v22
	v_cndmask_b32_e32 v0, v1, v8, vcc
	v_xor_b32_e32 v0, v0, v6
	v_sub_u32_e32 v0, v0, v6
	v_sub_u32_e32 v1, 0, v0
	v_max_i32_e32 v1, v0, v1
	v_cvt_f32_u32_e32 v6, v1
	v_sub_u32_e32 v7, 0, v1
	v_accvgpr_write_b32 a20, v20
	v_accvgpr_write_b32 a10, v10
	v_rcp_iflag_f32_e32 v6, v6
	s_abs_i32 s2, s12
	v_accvgpr_write_b32 a5, v23
	v_accvgpr_write_b32 a21, v21
	v_mul_f32_e32 v6, 0x4f7ffffe, v6
	v_cvt_u32_f32_e32 v6, v6
	v_accvgpr_write_b32 a6, v18
	v_accvgpr_write_b32 a11, v11
	;; [unrolled: 1-line block ×3, first 2 shown]
	v_mul_lo_u32 v7, v7, v6
	v_mul_hi_u32 v7, v6, v7
	v_add_u32_e32 v6, v6, v7
	s_mov_b32 s16, s15
	v_mad_u64_u32 v[26:27], s[0:1], s2, v6, 0
	v_cmp_ne_u64_e32 vcc, 0, v[24:25]
	v_mov_b32_e32 v6, 0
	scratch_store_dword off, v6, s32 offset:116 ; 4-byte Folded Spill
	s_and_saveexec_b64 s[0:1], vcc
	s_cbranch_execz .LBB280_2
; %bb.1:
	s_ashr_i32 s13, s12, 31
	v_lshl_add_u64 v[6:7], s[12:13], 2, v[24:25]
	flat_load_dword v6, v[6:7]
	s_waitcnt vmcnt(0) lgkmcnt(0)
	scratch_store_dword off, v6, s32 offset:116 ; 4-byte Folded Spill
.LBB280_2:
	s_or_b64 exec, exec, s[0:1]
	v_and_b32_e32 v10, 0x3ff, v31
	v_lshlrev_b32_e32 v8, 3, v10
	s_ashr_i32 s3, s12, 31
	v_ashrrev_i32_e32 v6, 31, v0
	v_and_b32_e32 v0, 1, v10
	s_movk_i32 s4, 0x78
	s_mulk_i32 s12, 0x78
	v_cmp_gt_u32_e32 vcc, 30, v10
	v_accvgpr_write_b32 a14, v8
	s_and_saveexec_b64 s[0:1], vcc
	s_cbranch_execz .LBB280_4
; %bb.3:
	v_mul_lo_u32 v8, s10, v17
	v_ashrrev_i32_e32 v9, 31, v8
	v_lshl_add_u64 v[2:3], v[8:9], 1, v[2:3]
	s_ashr_i32 s13, s12, 31
	v_lshl_add_u64 v[2:3], s[12:13], 1, v[2:3]
	v_accvgpr_read_b32 v8, a14
	v_mov_b32_e32 v9, 0
	v_lshl_add_u64 v[2:3], v[2:3], 0, v[8:9]
	flat_load_dwordx2 v[2:3], v[2:3]
	v_lshlrev_b32_e32 v7, 2, v10
	v_and_b32_e32 v7, 0xff8, v7
	v_mad_u32_u24 v7, v0, s4, v7
	s_waitcnt vmcnt(0) lgkmcnt(0)
	ds_write_b64 v7, v[2:3]
.LBB280_4:
	s_or_b64 exec, exec, s[0:1]
	s_waitcnt vmcnt(0)
	v_accvgpr_read_b32 v2, a8
	v_add_u32_e32 v2, 31, v2
	v_ashrrev_i32_e32 v3, 31, v2
	v_lshrrev_b32_e32 v3, 27, v3
	v_add_u32_e32 v2, v2, v3
	v_mul_lo_u32 v3, v27, v1
	v_sub_u32_e32 v3, s2, v3
	v_ashrrev_i32_e32 v8, 5, v2
	v_xor_b32_e32 v2, s3, v6
	v_add_u32_e32 v6, 1, v27
	v_cmp_ge_u32_e32 vcc, v3, v1
	v_sub_u32_e32 v7, v3, v1
	v_lshrrev_b32_e32 v9, 6, v10
	v_cndmask_b32_e32 v6, v27, v6, vcc
	v_cndmask_b32_e32 v3, v3, v7, vcc
	v_add_u32_e32 v7, 1, v6
	v_cmp_ge_u32_e32 vcc, v3, v1
	v_accvgpr_write_b32 a2, v10
	v_cmp_lt_i32_e64 s[0:1], v9, v8
	v_cndmask_b32_e32 v1, v6, v7, vcc
	v_mul_lo_u32 v6, s10, v14
	v_ashrrev_i32_e32 v7, 31, v6
	v_xor_b32_e32 v1, v1, v2
	v_accvgpr_write_b32 a17, v7
	v_sub_u32_e32 v2, v1, v2
	v_accvgpr_write_b32 a16, v6
	v_accvgpr_write_b32 a3, v8
	;; [unrolled: 1-line block ×3, first 2 shown]
	v_cmp_ge_i32_e32 vcc, v9, v8
	v_mbcnt_lo_u32_b32 v6, -1, 0
	s_waitcnt lgkmcnt(0)
	s_barrier
	s_waitcnt lgkmcnt(0)
                                        ; implicit-def: $sgpr4
                                        ; implicit-def: $agpr22
                                        ; implicit-def: $vgpr1
	s_and_saveexec_b64 s[2:3], vcc
	s_xor_b64 s[2:3], exec, s[2:3]
; %bb.5:
	v_mbcnt_hi_u32_b32 v0, -1, v6
	v_accvgpr_write_b32 a22, v0
	v_and_b32_e32 v0, 64, v0
	v_add_u32_e32 v1, 64, v0
	s_mov_b32 s4, 0xff7fffff
                                        ; implicit-def: $vgpr0
                                        ; kill: killed $vgpr0
                                        ; implicit-def: $agpr15
                                        ; implicit-def: $agpr20
                                        ; implicit-def: $vgpr4
                                        ; implicit-def: $vgpr0
                                        ; implicit-def: $vgpr6
; %bb.6:
	s_or_saveexec_b64 s[6:7], s[2:3]
	v_mov_b32_e32 v3, s4
	v_mul_lo_u32 v2, v2, v19
	s_load_dword s15, s[8:9], 0x14
	s_load_dword s13, s[8:9], 0x8
	scratch_store_dword off, v3, s32 offset:112 ; 4-byte Folded Spill
	v_ashrrev_i32_e32 v3, 31, v2
	v_accvgpr_write_b32 a19, v3
	v_accvgpr_write_b32 a18, v2
	v_accvgpr_read_b32 v2, a2
	v_lshrrev_b32_e32 v2, 4, v2
	v_accvgpr_write_b32 a9, v2
	s_xor_b64 exec, exec, s[6:7]
	s_cbranch_execz .LBB280_492
; %bb.7:
	v_accvgpr_read_b32 v1, a2
	v_accvgpr_read_b32 v2, a18
	v_bfe_u32 v7, v1, 1, 5
	v_accvgpr_read_b32 v3, a19
	v_lshl_add_u64 v[4:5], v[4:5], 0, v[2:3]
	v_lshlrev_b32_e32 v2, 4, v7
	v_mov_b32_e32 v3, 0
	v_lshl_add_u64 v[4:5], v[4:5], 0, v[2:3]
	v_accvgpr_write_b32 a25, v5
	v_accvgpr_write_b32 a24, v4
	v_lshlrev_b32_e32 v4, 2, v0
	v_mul_u32_u24_e32 v1, 0x78, v0
	v_cmp_eq_u32_e32 vcc, 0, v0
	scratch_load_dword v0, off, s32 offset:116 ; 4-byte Folded Reload
	v_mov_b32_e32 v5, v3
	v_accvgpr_write_b32 a23, v1
	v_accvgpr_write_b32 a27, v5
	;; [unrolled: 1-line block ×3, first 2 shown]
	v_accvgpr_read_b32 v4, a10
	v_accvgpr_read_b32 v5, a11
	s_ashr_i32 s17, s16, 31
	s_lshl_b64 s[4:5], s[16:17], 2
	s_getpc_b64 s[8:9]
	s_add_u32 s8, s8, llvm.amdgcn.dynlds.offset.table@rel32@lo+4
	s_addc_u32 s9, s9, llvm.amdgcn.dynlds.offset.table@rel32@hi+12
	s_add_u32 s8, s4, s8
	s_addc_u32 s9, s5, s9
	s_mov_b64 s[18:19], 0
	s_movk_i32 s17, 0x7f
	s_movk_i32 s26, 0x80
	s_mov_b32 s27, 0x8000
	s_waitcnt vmcnt(0)
	v_cmp_neq_f32_e64 s[2:3], 0, v0
	v_accvgpr_read_b32 v0, a9
	v_and_b32_e32 v2, 60, v0
	v_accvgpr_read_b32 v0, a16
	v_accvgpr_read_b32 v1, a17
	v_lshl_add_u64 v[0:1], v[0:1], 2, v[2:3]
	v_lshl_add_u64 v[0:1], v[4:5], 0, v[0:1]
	v_accvgpr_write_b32 a29, v1
	v_accvgpr_write_b32 a28, v0
	v_accvgpr_read_b32 v0, a8
	v_sub_u32_e32 v0, 1, v0
	v_accvgpr_read_b32 v1, a7
	v_accvgpr_write_b32 a30, v0
	v_lshl_or_b32 v0, v1, 5, v7
	v_accvgpr_write_b32 a31, v0
	v_lshlrev_b32_e32 v0, 2, v7
	v_lshl_or_b32 v0, v1, 7, v0
	v_accvgpr_write_b32 a32, v0
	v_mov_b32_e32 v0, 0xff7fffff
	scratch_store_dword off, v0, s32 offset:112 ; 4-byte Folded Spill
	v_mbcnt_hi_u32_b32 v0, -1, v6
	v_accvgpr_write_b32 a22, v0
	v_accvgpr_read_b32 v7, a7
	s_branch .LBB280_9
.LBB280_8:                              ;   in Loop: Header=BB280_9 Depth=1
	s_or_b64 exec, exec, s[20:21]
	v_accvgpr_read_b32 v0, a31
	v_accvgpr_read_b32 v4, a28
	v_add_u32_e32 v0, 64, v0
	v_add_u32_e32 v7, 2, v7
	v_accvgpr_read_b32 v5, a29
	v_accvgpr_write_b32 a31, v0
	v_accvgpr_read_b32 v0, a3
	v_lshl_add_u64 v[4:5], v[4:5], 0, 8
	v_cmp_ge_i32_e64 s[4:5], v7, v0
	v_accvgpr_read_b32 v0, a32
	v_accvgpr_write_b32 a29, v5
	v_add_u32_e32 v0, 0x100, v0
	v_accvgpr_write_b32 a28, v4
	s_or_b64 s[18:19], s[4:5], s[18:19]
	v_accvgpr_write_b32 a32, v0
	s_andn2_b64 exec, exec, s[18:19]
	s_cbranch_execz .LBB280_491
.LBB280_9:                              ; =>This Inner Loop Header: Depth=1
	v_accvgpr_read_b32 v0, a28
	v_accvgpr_read_b32 v1, a29
	flat_load_dword v0, v[0:1]
	v_accvgpr_read_b32 v4, a24
	s_waitcnt lgkmcnt(0)
	v_accvgpr_read_b32 v2, a6
	v_accvgpr_read_b32 v5, a25
	v_accvgpr_write_b32 a33, v7
                                        ; implicit-def: $sgpr24
	s_waitcnt vmcnt(0) lgkmcnt(0)
	v_mad_i64_i32 v[0:1], s[4:5], v0, v2, v[4:5]
	v_accvgpr_read_b32 v4, a26
	v_accvgpr_read_b32 v5, a27
	v_lshl_add_u64 v[30:31], v[0:1], 0, v[4:5]
	v_accvgpr_read_b32 v0, a20
	flat_load_dword v8, v[30:31]
	v_accvgpr_read_b32 v1, a21
	flat_load_dword v50, v[0:1]
	s_mov_b64 s[4:5], 0
	s_waitcnt vmcnt(0) lgkmcnt(0)
	v_cmp_gt_i16_sdwa s[20:21], v8, s17 src0_sel:BYTE_0 src1_sel:DWORD
	s_and_saveexec_b64 s[22:23], s[20:21]
	s_xor_b64 s[20:21], exec, s[22:23]
	s_cbranch_execnz .LBB280_267
; %bb.10:                               ;   in Loop: Header=BB280_9 Depth=1
	s_or_saveexec_b64 s[20:21], s[20:21]
	v_mov_b32_e32 v46, s24
	s_xor_b64 exec, exec, s[20:21]
	s_cbranch_execnz .LBB280_270
.LBB280_11:                             ;   in Loop: Header=BB280_9 Depth=1
	s_or_b64 exec, exec, s[20:21]
	s_and_saveexec_b64 s[20:21], s[4:5]
	s_cbranch_execz .LBB280_13
.LBB280_12:                             ;   in Loop: Header=BB280_9 Depth=1
	v_and_b32_e32 v2, 7, v8
	v_ffbh_u32_e32 v0, v2
	v_min_u32_e32 v5, 32, v0
	v_subrev_u32_e32 v0, 28, v5
	v_bfe_u32 v4, v8, 3, 4
	v_lshlrev_b64 v[0:1], v0, v[8:9]
	v_sub_u32_e32 v1, 29, v5
	v_cmp_eq_u32_e64 s[4:5], 0, v4
	v_and_b32_e32 v0, 7, v0
	s_nop 0
	v_cndmask_b32_e64 v1, v4, v1, s[4:5]
	v_mov_b32_e32 v4, 0x1c00
	v_cndmask_b32_e64 v0, v2, v0, s[4:5]
	v_lshlrev_b32_e32 v2, 8, v8
	v_lshl_add_u32 v1, v1, 10, v4
	v_and_or_b32 v1, v2, s27, v1
	v_lshl_or_b32 v0, v0, 7, v1
	v_cvt_f32_f16_e32 v46, v0
.LBB280_13:                             ;   in Loop: Header=BB280_9 Depth=1
	s_or_b64 exec, exec, s[20:21]
	v_lshrrev_b16_e32 v2, 8, v8
	v_cmp_lt_i16_e64 s[4:5], s17, v2
	s_mov_b64 s[20:21], 0
                                        ; implicit-def: $sgpr28
	s_and_saveexec_b64 s[22:23], s[4:5]
	s_xor_b64 s[22:23], exec, s[22:23]
	s_cbranch_execz .LBB280_17
; %bb.14:                               ;   in Loop: Header=BB280_9 Depth=1
	v_cmp_eq_u16_e64 s[4:5], s26, v2
	s_mov_b64 s[20:21], -1
                                        ; implicit-def: $sgpr28
	s_and_saveexec_b64 s[24:25], s[4:5]
; %bb.15:                               ;   in Loop: Header=BB280_9 Depth=1
	s_mov_b32 s28, 0x7fc02000
	s_xor_b64 s[20:21], exec, -1
; %bb.16:                               ;   in Loop: Header=BB280_9 Depth=1
	s_or_b64 exec, exec, s[24:25]
	s_and_b64 s[20:21], s[20:21], exec
.LBB280_17:                             ;   in Loop: Header=BB280_9 Depth=1
	s_or_saveexec_b64 s[22:23], s[22:23]
	v_mov_b32_e32 v0, s28
	scratch_store_dword off, v0, s32 offset:100 ; 4-byte Folded Spill
	s_xor_b64 exec, exec, s[22:23]
	s_cbranch_execz .LBB280_19
; %bb.18:                               ;   in Loop: Header=BB280_9 Depth=1
	v_cmp_ne_u16_e64 s[4:5], 0, v2
	s_andn2_b64 s[20:21], s[20:21], exec
	s_and_b64 s[4:5], s[4:5], exec
	v_mov_b32_e32 v0, 0
	s_or_b64 s[20:21], s[20:21], s[4:5]
	scratch_store_dword off, v0, s32 offset:100 ; 4-byte Folded Spill
.LBB280_19:                             ;   in Loop: Header=BB280_9 Depth=1
	s_or_b64 exec, exec, s[22:23]
	s_and_saveexec_b64 s[22:23], s[20:21]
	s_cbranch_execz .LBB280_21
; %bb.20:                               ;   in Loop: Header=BB280_9 Depth=1
	v_and_b32_e32 v4, 7, v2
	v_ffbh_u32_e32 v0, v4
	v_min_u32_e32 v6, 32, v0
	v_subrev_u32_e32 v0, 28, v6
	v_bfe_u32 v5, v2, 3, 4
	v_lshlrev_b64 v[0:1], v0, v[2:3]
	v_sub_u32_e32 v1, 29, v6
	v_and_b32_e32 v0, 7, v0
	v_cmp_eq_u32_e64 s[4:5], 0, v5
	v_lshlrev_b32_e32 v2, 8, v2
	s_nop 0
	v_cndmask_b32_e64 v1, v5, v1, s[4:5]
	v_cndmask_b32_e64 v0, v4, v0, s[4:5]
	v_mov_b32_e32 v4, 0x1c00
	v_lshl_add_u32 v1, v1, 10, v4
	v_and_or_b32 v1, v2, s27, v1
	v_lshl_or_b32 v0, v0, 7, v1
	v_cvt_f32_f16_e32 v0, v0
	scratch_store_dword off, v0, s32 offset:100 ; 4-byte Folded Spill
.LBB280_21:                             ;   in Loop: Header=BB280_9 Depth=1
	s_or_b64 exec, exec, s[22:23]
	v_lshrrev_b32_e32 v2, 16, v8
	v_cmp_gt_i16_sdwa s[20:21], v2, s17 src0_sel:BYTE_0 src1_sel:DWORD
	s_mov_b64 s[4:5], 0
                                        ; implicit-def: $sgpr24
	s_and_saveexec_b64 s[22:23], s[20:21]
	s_xor_b64 s[20:21], exec, s[22:23]
	s_cbranch_execz .LBB280_25
; %bb.22:                               ;   in Loop: Header=BB280_9 Depth=1
	v_cmp_eq_u16_sdwa s[28:29], v2, s26 src0_sel:BYTE_0 src1_sel:DWORD
	s_mov_b64 s[4:5], -1
                                        ; implicit-def: $sgpr24
	s_and_saveexec_b64 s[22:23], s[28:29]
; %bb.23:                               ;   in Loop: Header=BB280_9 Depth=1
	s_mov_b32 s24, 0x7fc02000
	s_xor_b64 s[4:5], exec, -1
; %bb.24:                               ;   in Loop: Header=BB280_9 Depth=1
	s_or_b64 exec, exec, s[22:23]
	s_and_b64 s[4:5], s[4:5], exec
.LBB280_25:                             ;   in Loop: Header=BB280_9 Depth=1
	s_or_saveexec_b64 s[20:21], s[20:21]
	v_mov_b32_e32 v0, s24
	scratch_store_dword off, v0, s32 offset:104 ; 4-byte Folded Spill
	s_xor_b64 exec, exec, s[20:21]
	s_cbranch_execz .LBB280_27
; %bb.26:                               ;   in Loop: Header=BB280_9 Depth=1
	v_cmp_ne_u16_sdwa s[22:23], v2, v3 src0_sel:BYTE_0 src1_sel:DWORD
	s_andn2_b64 s[4:5], s[4:5], exec
	s_and_b64 s[22:23], s[22:23], exec
	v_mov_b32_e32 v0, 0
	s_or_b64 s[4:5], s[4:5], s[22:23]
	scratch_store_dword off, v0, s32 offset:104 ; 4-byte Folded Spill
.LBB280_27:                             ;   in Loop: Header=BB280_9 Depth=1
	s_or_b64 exec, exec, s[20:21]
	s_and_saveexec_b64 s[20:21], s[4:5]
	s_cbranch_execz .LBB280_29
; %bb.28:                               ;   in Loop: Header=BB280_9 Depth=1
	v_bfe_u32 v4, v8, 16, 3
	v_ffbh_u32_e32 v0, v4
	v_min_u32_e32 v6, 32, v0
	v_subrev_u32_e32 v0, 28, v6
	v_bfe_u32 v5, v8, 19, 4
	v_lshlrev_b64 v[0:1], v0, v[2:3]
	v_sub_u32_e32 v1, 29, v6
	v_and_b32_e32 v0, 7, v0
	v_cmp_eq_u32_e64 s[4:5], 0, v5
	v_lshlrev_b32_e32 v2, 8, v2
	s_nop 0
	v_cndmask_b32_e64 v1, v5, v1, s[4:5]
	v_cndmask_b32_e64 v0, v4, v0, s[4:5]
	v_mov_b32_e32 v4, 0x1c00
	v_lshl_add_u32 v1, v1, 10, v4
	v_and_or_b32 v1, v2, s27, v1
	v_lshl_or_b32 v0, v0, 7, v1
	v_cvt_f32_f16_e32 v0, v0
	scratch_store_dword off, v0, s32 offset:104 ; 4-byte Folded Spill
.LBB280_29:                             ;   in Loop: Header=BB280_9 Depth=1
	s_or_b64 exec, exec, s[20:21]
	v_lshrrev_b32_e32 v2, 24, v8
	v_cmp_lt_i16_e64 s[4:5], s17, v2
	s_mov_b64 s[20:21], 0
                                        ; implicit-def: $sgpr28
	s_and_saveexec_b64 s[22:23], s[4:5]
	s_xor_b64 s[22:23], exec, s[22:23]
	s_cbranch_execz .LBB280_33
; %bb.30:                               ;   in Loop: Header=BB280_9 Depth=1
	v_cmp_eq_u16_e64 s[4:5], s26, v2
	s_mov_b64 s[20:21], -1
                                        ; implicit-def: $sgpr28
	s_and_saveexec_b64 s[24:25], s[4:5]
; %bb.31:                               ;   in Loop: Header=BB280_9 Depth=1
	s_mov_b32 s28, 0x7fc02000
	s_xor_b64 s[20:21], exec, -1
; %bb.32:                               ;   in Loop: Header=BB280_9 Depth=1
	s_or_b64 exec, exec, s[24:25]
	s_and_b64 s[20:21], s[20:21], exec
.LBB280_33:                             ;   in Loop: Header=BB280_9 Depth=1
	s_or_saveexec_b64 s[22:23], s[22:23]
	v_mov_b32_e32 v0, s28
	scratch_store_dword off, v0, s32 offset:108 ; 4-byte Folded Spill
	s_xor_b64 exec, exec, s[22:23]
	s_cbranch_execz .LBB280_35
; %bb.34:                               ;   in Loop: Header=BB280_9 Depth=1
	v_cmp_ne_u16_e64 s[4:5], 0, v2
	s_andn2_b64 s[20:21], s[20:21], exec
	s_and_b64 s[4:5], s[4:5], exec
	v_mov_b32_e32 v0, 0
	s_or_b64 s[20:21], s[20:21], s[4:5]
	scratch_store_dword off, v0, s32 offset:108 ; 4-byte Folded Spill
.LBB280_35:                             ;   in Loop: Header=BB280_9 Depth=1
	s_or_b64 exec, exec, s[22:23]
	s_and_saveexec_b64 s[22:23], s[20:21]
	s_cbranch_execz .LBB280_37
; %bb.36:                               ;   in Loop: Header=BB280_9 Depth=1
	v_bfe_u32 v4, v8, 24, 3
	v_ffbh_u32_e32 v0, v4
	v_min_u32_e32 v6, 32, v0
	v_subrev_u32_e32 v0, 28, v6
	v_bfe_u32 v5, v8, 27, 4
	v_lshlrev_b64 v[0:1], v0, v[2:3]
	v_sub_u32_e32 v1, 29, v6
	v_and_b32_e32 v0, 7, v0
	v_cmp_eq_u32_e64 s[4:5], 0, v5
	v_lshlrev_b32_e32 v2, 8, v2
	s_nop 0
	v_cndmask_b32_e64 v1, v5, v1, s[4:5]
	v_cndmask_b32_e64 v0, v4, v0, s[4:5]
	v_mov_b32_e32 v4, 0x1c00
	v_lshl_add_u32 v1, v1, 10, v4
	v_and_or_b32 v1, v2, s27, v1
	v_lshl_or_b32 v0, v0, 7, v1
	v_cvt_f32_f16_e32 v0, v0
	scratch_store_dword off, v0, s32 offset:108 ; 4-byte Folded Spill
.LBB280_37:                             ;   in Loop: Header=BB280_9 Depth=1
	s_or_b64 exec, exec, s[22:23]
	flat_load_dword v8, v[30:31] offset:8
	s_mov_b64 s[4:5], 0
                                        ; implicit-def: $sgpr24
	s_waitcnt vmcnt(0) lgkmcnt(0)
	v_cmp_gt_i16_sdwa s[20:21], v8, s17 src0_sel:BYTE_0 src1_sel:DWORD
	s_and_saveexec_b64 s[22:23], s[20:21]
	s_xor_b64 s[20:21], exec, s[22:23]
	s_cbranch_execnz .LBB280_271
; %bb.38:                               ;   in Loop: Header=BB280_9 Depth=1
	s_or_saveexec_b64 s[20:21], s[20:21]
	v_mov_b32_e32 v36, s24
	s_xor_b64 exec, exec, s[20:21]
	s_cbranch_execnz .LBB280_274
.LBB280_39:                             ;   in Loop: Header=BB280_9 Depth=1
	s_or_b64 exec, exec, s[20:21]
	s_and_saveexec_b64 s[20:21], s[4:5]
	s_cbranch_execz .LBB280_41
.LBB280_40:                             ;   in Loop: Header=BB280_9 Depth=1
	v_and_b32_e32 v2, 7, v8
	v_ffbh_u32_e32 v0, v2
	v_min_u32_e32 v5, 32, v0
	v_subrev_u32_e32 v0, 28, v5
	v_bfe_u32 v4, v8, 3, 4
	v_lshlrev_b64 v[0:1], v0, v[8:9]
	v_sub_u32_e32 v1, 29, v5
	v_cmp_eq_u32_e64 s[4:5], 0, v4
	v_and_b32_e32 v0, 7, v0
	s_nop 0
	v_cndmask_b32_e64 v1, v4, v1, s[4:5]
	v_mov_b32_e32 v4, 0x1c00
	v_cndmask_b32_e64 v0, v2, v0, s[4:5]
	v_lshlrev_b32_e32 v2, 8, v8
	v_lshl_add_u32 v1, v1, 10, v4
	v_and_or_b32 v1, v2, s27, v1
	v_lshl_or_b32 v0, v0, 7, v1
	v_cvt_f32_f16_e32 v36, v0
.LBB280_41:                             ;   in Loop: Header=BB280_9 Depth=1
	s_or_b64 exec, exec, s[20:21]
	v_lshrrev_b16_e32 v2, 8, v8
	v_cmp_lt_i16_e64 s[4:5], s17, v2
	s_mov_b64 s[20:21], 0
                                        ; implicit-def: $sgpr28
	s_and_saveexec_b64 s[22:23], s[4:5]
	s_xor_b64 s[22:23], exec, s[22:23]
	s_cbranch_execnz .LBB280_275
; %bb.42:                               ;   in Loop: Header=BB280_9 Depth=1
	s_or_saveexec_b64 s[22:23], s[22:23]
	v_mov_b32_e32 v19, s28
	s_xor_b64 exec, exec, s[22:23]
	s_cbranch_execnz .LBB280_278
.LBB280_43:                             ;   in Loop: Header=BB280_9 Depth=1
	s_or_b64 exec, exec, s[22:23]
	s_and_saveexec_b64 s[22:23], s[20:21]
	s_cbranch_execz .LBB280_45
.LBB280_44:                             ;   in Loop: Header=BB280_9 Depth=1
	v_and_b32_e32 v4, 7, v2
	v_ffbh_u32_e32 v0, v4
	v_min_u32_e32 v6, 32, v0
	v_subrev_u32_e32 v0, 28, v6
	v_bfe_u32 v5, v2, 3, 4
	v_lshlrev_b64 v[0:1], v0, v[2:3]
	v_sub_u32_e32 v1, 29, v6
	v_and_b32_e32 v0, 7, v0
	v_cmp_eq_u32_e64 s[4:5], 0, v5
	v_lshlrev_b32_e32 v2, 8, v2
	s_nop 0
	v_cndmask_b32_e64 v1, v5, v1, s[4:5]
	v_cndmask_b32_e64 v0, v4, v0, s[4:5]
	v_mov_b32_e32 v4, 0x1c00
	v_lshl_add_u32 v1, v1, 10, v4
	v_and_or_b32 v1, v2, s27, v1
	v_lshl_or_b32 v0, v0, 7, v1
	v_cvt_f32_f16_e32 v19, v0
.LBB280_45:                             ;   in Loop: Header=BB280_9 Depth=1
	s_or_b64 exec, exec, s[22:23]
	v_lshrrev_b32_e32 v2, 16, v8
	v_cmp_gt_i16_sdwa s[20:21], v2, s17 src0_sel:BYTE_0 src1_sel:DWORD
	s_mov_b64 s[4:5], 0
                                        ; implicit-def: $sgpr24
	s_and_saveexec_b64 s[22:23], s[20:21]
	s_xor_b64 s[20:21], exec, s[22:23]
	s_cbranch_execnz .LBB280_279
; %bb.46:                               ;   in Loop: Header=BB280_9 Depth=1
	s_or_saveexec_b64 s[20:21], s[20:21]
	v_mov_b32_e32 v49, s24
	s_xor_b64 exec, exec, s[20:21]
	s_cbranch_execnz .LBB280_282
.LBB280_47:                             ;   in Loop: Header=BB280_9 Depth=1
	s_or_b64 exec, exec, s[20:21]
	s_and_saveexec_b64 s[20:21], s[4:5]
	s_cbranch_execz .LBB280_49
.LBB280_48:                             ;   in Loop: Header=BB280_9 Depth=1
	v_bfe_u32 v4, v8, 16, 3
	v_ffbh_u32_e32 v0, v4
	v_min_u32_e32 v6, 32, v0
	v_subrev_u32_e32 v0, 28, v6
	v_bfe_u32 v5, v8, 19, 4
	v_lshlrev_b64 v[0:1], v0, v[2:3]
	v_sub_u32_e32 v1, 29, v6
	v_and_b32_e32 v0, 7, v0
	v_cmp_eq_u32_e64 s[4:5], 0, v5
	v_lshlrev_b32_e32 v2, 8, v2
	s_nop 0
	v_cndmask_b32_e64 v1, v5, v1, s[4:5]
	v_cndmask_b32_e64 v0, v4, v0, s[4:5]
	v_mov_b32_e32 v4, 0x1c00
	v_lshl_add_u32 v1, v1, 10, v4
	v_and_or_b32 v1, v2, s27, v1
	v_lshl_or_b32 v0, v0, 7, v1
	v_cvt_f32_f16_e32 v49, v0
.LBB280_49:                             ;   in Loop: Header=BB280_9 Depth=1
	s_or_b64 exec, exec, s[20:21]
	v_lshrrev_b32_e32 v2, 24, v8
	v_cmp_lt_i16_e64 s[4:5], s17, v2
	s_mov_b64 s[20:21], 0
                                        ; implicit-def: $sgpr28
	s_and_saveexec_b64 s[22:23], s[4:5]
	s_xor_b64 s[22:23], exec, s[22:23]
	s_cbranch_execnz .LBB280_283
; %bb.50:                               ;   in Loop: Header=BB280_9 Depth=1
	s_or_saveexec_b64 s[22:23], s[22:23]
	v_mov_b32_e32 v62, s28
	s_xor_b64 exec, exec, s[22:23]
	s_cbranch_execnz .LBB280_286
.LBB280_51:                             ;   in Loop: Header=BB280_9 Depth=1
	s_or_b64 exec, exec, s[22:23]
	s_and_saveexec_b64 s[22:23], s[20:21]
	s_cbranch_execz .LBB280_53
.LBB280_52:                             ;   in Loop: Header=BB280_9 Depth=1
	v_bfe_u32 v4, v8, 24, 3
	v_ffbh_u32_e32 v0, v4
	v_min_u32_e32 v6, 32, v0
	v_subrev_u32_e32 v0, 28, v6
	v_bfe_u32 v5, v8, 27, 4
	v_lshlrev_b64 v[0:1], v0, v[2:3]
	v_sub_u32_e32 v1, 29, v6
	v_and_b32_e32 v0, 7, v0
	v_cmp_eq_u32_e64 s[4:5], 0, v5
	v_lshlrev_b32_e32 v2, 8, v2
	s_nop 0
	v_cndmask_b32_e64 v1, v5, v1, s[4:5]
	v_cndmask_b32_e64 v0, v4, v0, s[4:5]
	v_mov_b32_e32 v4, 0x1c00
	v_lshl_add_u32 v1, v1, 10, v4
	v_and_or_b32 v1, v2, s27, v1
	v_lshl_or_b32 v0, v0, 7, v1
	v_cvt_f32_f16_e32 v62, v0
.LBB280_53:                             ;   in Loop: Header=BB280_9 Depth=1
	s_or_b64 exec, exec, s[22:23]
	flat_load_dword v8, v[30:31] offset:512
	s_mov_b64 s[4:5], 0
                                        ; implicit-def: $sgpr24
	s_waitcnt vmcnt(0) lgkmcnt(0)
	v_cmp_gt_i16_sdwa s[20:21], v8, s17 src0_sel:BYTE_0 src1_sel:DWORD
	s_and_saveexec_b64 s[22:23], s[20:21]
	s_xor_b64 s[20:21], exec, s[22:23]
	s_cbranch_execnz .LBB280_287
; %bb.54:                               ;   in Loop: Header=BB280_9 Depth=1
	s_or_saveexec_b64 s[20:21], s[20:21]
	v_mov_b32_e32 v0, s24
	s_xor_b64 exec, exec, s[20:21]
	s_cbranch_execnz .LBB280_290
.LBB280_55:                             ;   in Loop: Header=BB280_9 Depth=1
	s_or_b64 exec, exec, s[20:21]
	s_and_saveexec_b64 s[20:21], s[4:5]
	s_cbranch_execz .LBB280_57
.LBB280_56:                             ;   in Loop: Header=BB280_9 Depth=1
	v_and_b32_e32 v2, 7, v8
	v_ffbh_u32_e32 v0, v2
	v_min_u32_e32 v5, 32, v0
	v_subrev_u32_e32 v0, 28, v5
	v_bfe_u32 v4, v8, 3, 4
	v_lshlrev_b64 v[0:1], v0, v[8:9]
	v_sub_u32_e32 v1, 29, v5
	v_cmp_eq_u32_e64 s[4:5], 0, v4
	v_and_b32_e32 v0, 7, v0
	s_nop 0
	v_cndmask_b32_e64 v1, v4, v1, s[4:5]
	v_mov_b32_e32 v4, 0x1c00
	v_cndmask_b32_e64 v0, v2, v0, s[4:5]
	v_lshlrev_b32_e32 v2, 8, v8
	v_lshl_add_u32 v1, v1, 10, v4
	v_and_or_b32 v1, v2, s27, v1
	v_lshl_or_b32 v0, v0, 7, v1
	v_cvt_f32_f16_e32 v0, v0
.LBB280_57:                             ;   in Loop: Header=BB280_9 Depth=1
	s_or_b64 exec, exec, s[20:21]
	v_lshrrev_b16_e32 v2, 8, v8
	v_accvgpr_write_b32 a34, v0
	v_cmp_lt_i16_e64 s[4:5], s17, v2
	s_mov_b64 s[20:21], 0
                                        ; implicit-def: $sgpr28
	s_and_saveexec_b64 s[22:23], s[4:5]
	s_xor_b64 s[22:23], exec, s[22:23]
	s_cbranch_execnz .LBB280_291
; %bb.58:                               ;   in Loop: Header=BB280_9 Depth=1
	s_or_saveexec_b64 s[22:23], s[22:23]
	v_mov_b32_e32 v56, s28
	s_xor_b64 exec, exec, s[22:23]
	s_cbranch_execnz .LBB280_294
.LBB280_59:                             ;   in Loop: Header=BB280_9 Depth=1
	s_or_b64 exec, exec, s[22:23]
	s_and_saveexec_b64 s[22:23], s[20:21]
	s_cbranch_execz .LBB280_61
.LBB280_60:                             ;   in Loop: Header=BB280_9 Depth=1
	v_and_b32_e32 v4, 7, v2
	v_ffbh_u32_e32 v0, v4
	v_min_u32_e32 v6, 32, v0
	v_subrev_u32_e32 v0, 28, v6
	v_bfe_u32 v5, v2, 3, 4
	v_lshlrev_b64 v[0:1], v0, v[2:3]
	v_sub_u32_e32 v1, 29, v6
	v_and_b32_e32 v0, 7, v0
	v_cmp_eq_u32_e64 s[4:5], 0, v5
	v_lshlrev_b32_e32 v2, 8, v2
	s_nop 0
	v_cndmask_b32_e64 v1, v5, v1, s[4:5]
	v_cndmask_b32_e64 v0, v4, v0, s[4:5]
	v_mov_b32_e32 v4, 0x1c00
	v_lshl_add_u32 v1, v1, 10, v4
	v_and_or_b32 v1, v2, s27, v1
	v_lshl_or_b32 v0, v0, 7, v1
	v_cvt_f32_f16_e32 v56, v0
.LBB280_61:                             ;   in Loop: Header=BB280_9 Depth=1
	s_or_b64 exec, exec, s[22:23]
	v_lshrrev_b32_e32 v2, 16, v8
	v_cmp_gt_i16_sdwa s[20:21], v2, s17 src0_sel:BYTE_0 src1_sel:DWORD
	s_mov_b64 s[4:5], 0
                                        ; implicit-def: $sgpr24
	s_and_saveexec_b64 s[22:23], s[20:21]
	s_xor_b64 s[20:21], exec, s[22:23]
	s_cbranch_execnz .LBB280_295
; %bb.62:                               ;   in Loop: Header=BB280_9 Depth=1
	s_or_saveexec_b64 s[20:21], s[20:21]
	v_mov_b32_e32 v58, s24
	s_xor_b64 exec, exec, s[20:21]
	s_cbranch_execnz .LBB280_298
.LBB280_63:                             ;   in Loop: Header=BB280_9 Depth=1
	s_or_b64 exec, exec, s[20:21]
	s_and_saveexec_b64 s[20:21], s[4:5]
	s_cbranch_execz .LBB280_65
.LBB280_64:                             ;   in Loop: Header=BB280_9 Depth=1
	v_bfe_u32 v4, v8, 16, 3
	v_ffbh_u32_e32 v0, v4
	v_min_u32_e32 v6, 32, v0
	v_subrev_u32_e32 v0, 28, v6
	v_bfe_u32 v5, v8, 19, 4
	v_lshlrev_b64 v[0:1], v0, v[2:3]
	v_sub_u32_e32 v1, 29, v6
	v_and_b32_e32 v0, 7, v0
	v_cmp_eq_u32_e64 s[4:5], 0, v5
	v_lshlrev_b32_e32 v2, 8, v2
	s_nop 0
	v_cndmask_b32_e64 v1, v5, v1, s[4:5]
	v_cndmask_b32_e64 v0, v4, v0, s[4:5]
	v_mov_b32_e32 v4, 0x1c00
	v_lshl_add_u32 v1, v1, 10, v4
	v_and_or_b32 v1, v2, s27, v1
	v_lshl_or_b32 v0, v0, 7, v1
	v_cvt_f32_f16_e32 v58, v0
.LBB280_65:                             ;   in Loop: Header=BB280_9 Depth=1
	s_or_b64 exec, exec, s[20:21]
	v_lshrrev_b32_e32 v2, 24, v8
	v_cmp_lt_i16_e64 s[4:5], s17, v2
	s_mov_b64 s[20:21], 0
                                        ; implicit-def: $sgpr28
	s_and_saveexec_b64 s[22:23], s[4:5]
	s_xor_b64 s[22:23], exec, s[22:23]
	s_cbranch_execnz .LBB280_299
; %bb.66:                               ;   in Loop: Header=BB280_9 Depth=1
	s_or_saveexec_b64 s[22:23], s[22:23]
	v_mov_b32_e32 v59, s28
	s_xor_b64 exec, exec, s[22:23]
	s_cbranch_execnz .LBB280_302
.LBB280_67:                             ;   in Loop: Header=BB280_9 Depth=1
	s_or_b64 exec, exec, s[22:23]
	s_and_saveexec_b64 s[22:23], s[20:21]
	s_cbranch_execz .LBB280_69
.LBB280_68:                             ;   in Loop: Header=BB280_9 Depth=1
	v_bfe_u32 v4, v8, 24, 3
	v_ffbh_u32_e32 v0, v4
	v_min_u32_e32 v6, 32, v0
	v_subrev_u32_e32 v0, 28, v6
	v_bfe_u32 v5, v8, 27, 4
	v_lshlrev_b64 v[0:1], v0, v[2:3]
	v_sub_u32_e32 v1, 29, v6
	v_and_b32_e32 v0, 7, v0
	v_cmp_eq_u32_e64 s[4:5], 0, v5
	v_lshlrev_b32_e32 v2, 8, v2
	s_nop 0
	v_cndmask_b32_e64 v1, v5, v1, s[4:5]
	v_cndmask_b32_e64 v0, v4, v0, s[4:5]
	v_mov_b32_e32 v4, 0x1c00
	v_lshl_add_u32 v1, v1, 10, v4
	v_and_or_b32 v1, v2, s27, v1
	v_lshl_or_b32 v0, v0, 7, v1
	v_cvt_f32_f16_e32 v59, v0
.LBB280_69:                             ;   in Loop: Header=BB280_9 Depth=1
	s_or_b64 exec, exec, s[22:23]
	flat_load_dword v8, v[30:31] offset:520
	s_mov_b64 s[4:5], 0
                                        ; implicit-def: $sgpr24
	s_waitcnt vmcnt(0) lgkmcnt(0)
	v_cmp_gt_i16_sdwa s[20:21], v8, s17 src0_sel:BYTE_0 src1_sel:DWORD
	s_and_saveexec_b64 s[22:23], s[20:21]
	s_xor_b64 s[20:21], exec, s[22:23]
	s_cbranch_execnz .LBB280_303
; %bb.70:                               ;   in Loop: Header=BB280_9 Depth=1
	s_or_saveexec_b64 s[20:21], s[20:21]
	v_mov_b32_e32 v0, s24
	s_xor_b64 exec, exec, s[20:21]
	s_cbranch_execnz .LBB280_306
.LBB280_71:                             ;   in Loop: Header=BB280_9 Depth=1
	s_or_b64 exec, exec, s[20:21]
	s_and_saveexec_b64 s[20:21], s[4:5]
	s_cbranch_execz .LBB280_73
.LBB280_72:                             ;   in Loop: Header=BB280_9 Depth=1
	v_and_b32_e32 v2, 7, v8
	v_ffbh_u32_e32 v0, v2
	v_min_u32_e32 v5, 32, v0
	v_subrev_u32_e32 v0, 28, v5
	v_bfe_u32 v4, v8, 3, 4
	v_lshlrev_b64 v[0:1], v0, v[8:9]
	v_sub_u32_e32 v1, 29, v5
	v_cmp_eq_u32_e64 s[4:5], 0, v4
	v_and_b32_e32 v0, 7, v0
	s_nop 0
	v_cndmask_b32_e64 v1, v4, v1, s[4:5]
	v_mov_b32_e32 v4, 0x1c00
	v_cndmask_b32_e64 v0, v2, v0, s[4:5]
	v_lshlrev_b32_e32 v2, 8, v8
	v_lshl_add_u32 v1, v1, 10, v4
	v_and_or_b32 v1, v2, s27, v1
	v_lshl_or_b32 v0, v0, 7, v1
	v_cvt_f32_f16_e32 v0, v0
.LBB280_73:                             ;   in Loop: Header=BB280_9 Depth=1
	s_or_b64 exec, exec, s[20:21]
	v_lshrrev_b16_e32 v2, 8, v8
	v_accvgpr_write_b32 a38, v0
	v_cmp_lt_i16_e64 s[4:5], s17, v2
	s_mov_b64 s[20:21], 0
                                        ; implicit-def: $sgpr28
	s_and_saveexec_b64 s[22:23], s[4:5]
	s_xor_b64 s[22:23], exec, s[22:23]
	s_cbranch_execnz .LBB280_307
; %bb.74:                               ;   in Loop: Header=BB280_9 Depth=1
	s_or_saveexec_b64 s[22:23], s[22:23]
	v_mov_b32_e32 v60, s28
	s_xor_b64 exec, exec, s[22:23]
	s_cbranch_execnz .LBB280_310
.LBB280_75:                             ;   in Loop: Header=BB280_9 Depth=1
	s_or_b64 exec, exec, s[22:23]
	s_and_saveexec_b64 s[22:23], s[20:21]
	s_cbranch_execz .LBB280_77
.LBB280_76:                             ;   in Loop: Header=BB280_9 Depth=1
	v_and_b32_e32 v4, 7, v2
	v_ffbh_u32_e32 v0, v4
	v_min_u32_e32 v6, 32, v0
	v_subrev_u32_e32 v0, 28, v6
	v_bfe_u32 v5, v2, 3, 4
	v_lshlrev_b64 v[0:1], v0, v[2:3]
	v_sub_u32_e32 v1, 29, v6
	v_and_b32_e32 v0, 7, v0
	v_cmp_eq_u32_e64 s[4:5], 0, v5
	v_lshlrev_b32_e32 v2, 8, v2
	s_nop 0
	v_cndmask_b32_e64 v1, v5, v1, s[4:5]
	v_cndmask_b32_e64 v0, v4, v0, s[4:5]
	v_mov_b32_e32 v4, 0x1c00
	v_lshl_add_u32 v1, v1, 10, v4
	v_and_or_b32 v1, v2, s27, v1
	v_lshl_or_b32 v0, v0, 7, v1
	v_cvt_f32_f16_e32 v60, v0
.LBB280_77:                             ;   in Loop: Header=BB280_9 Depth=1
	s_or_b64 exec, exec, s[22:23]
	v_lshrrev_b32_e32 v2, 16, v8
	v_cmp_gt_i16_sdwa s[20:21], v2, s17 src0_sel:BYTE_0 src1_sel:DWORD
	s_mov_b64 s[4:5], 0
                                        ; implicit-def: $sgpr24
	s_and_saveexec_b64 s[22:23], s[20:21]
	s_xor_b64 s[20:21], exec, s[22:23]
	s_cbranch_execnz .LBB280_311
; %bb.78:                               ;   in Loop: Header=BB280_9 Depth=1
	s_or_saveexec_b64 s[20:21], s[20:21]
	v_mov_b32_e32 v61, s24
	s_xor_b64 exec, exec, s[20:21]
	s_cbranch_execnz .LBB280_314
.LBB280_79:                             ;   in Loop: Header=BB280_9 Depth=1
	s_or_b64 exec, exec, s[20:21]
	s_and_saveexec_b64 s[20:21], s[4:5]
	s_cbranch_execz .LBB280_81
.LBB280_80:                             ;   in Loop: Header=BB280_9 Depth=1
	v_bfe_u32 v4, v8, 16, 3
	v_ffbh_u32_e32 v0, v4
	v_min_u32_e32 v6, 32, v0
	v_subrev_u32_e32 v0, 28, v6
	v_bfe_u32 v5, v8, 19, 4
	v_lshlrev_b64 v[0:1], v0, v[2:3]
	v_sub_u32_e32 v1, 29, v6
	v_and_b32_e32 v0, 7, v0
	v_cmp_eq_u32_e64 s[4:5], 0, v5
	v_lshlrev_b32_e32 v2, 8, v2
	s_nop 0
	v_cndmask_b32_e64 v1, v5, v1, s[4:5]
	v_cndmask_b32_e64 v0, v4, v0, s[4:5]
	v_mov_b32_e32 v4, 0x1c00
	v_lshl_add_u32 v1, v1, 10, v4
	v_and_or_b32 v1, v2, s27, v1
	v_lshl_or_b32 v0, v0, 7, v1
	v_cvt_f32_f16_e32 v61, v0
.LBB280_81:                             ;   in Loop: Header=BB280_9 Depth=1
	s_or_b64 exec, exec, s[20:21]
	v_lshrrev_b32_e32 v2, 24, v8
	v_cmp_lt_i16_e64 s[4:5], s17, v2
	s_mov_b64 s[20:21], 0
                                        ; implicit-def: $sgpr28
	s_and_saveexec_b64 s[22:23], s[4:5]
	s_xor_b64 s[22:23], exec, s[22:23]
	s_cbranch_execnz .LBB280_315
; %bb.82:                               ;   in Loop: Header=BB280_9 Depth=1
	s_or_saveexec_b64 s[22:23], s[22:23]
	v_mov_b32_e32 v37, s28
	s_xor_b64 exec, exec, s[22:23]
	s_cbranch_execnz .LBB280_318
.LBB280_83:                             ;   in Loop: Header=BB280_9 Depth=1
	s_or_b64 exec, exec, s[22:23]
	s_and_saveexec_b64 s[22:23], s[20:21]
	s_cbranch_execz .LBB280_85
.LBB280_84:                             ;   in Loop: Header=BB280_9 Depth=1
	v_bfe_u32 v4, v8, 24, 3
	v_ffbh_u32_e32 v0, v4
	v_min_u32_e32 v6, 32, v0
	v_subrev_u32_e32 v0, 28, v6
	v_bfe_u32 v5, v8, 27, 4
	v_lshlrev_b64 v[0:1], v0, v[2:3]
	v_sub_u32_e32 v1, 29, v6
	v_and_b32_e32 v0, 7, v0
	v_cmp_eq_u32_e64 s[4:5], 0, v5
	v_lshlrev_b32_e32 v2, 8, v2
	s_nop 0
	v_cndmask_b32_e64 v1, v5, v1, s[4:5]
	v_cndmask_b32_e64 v0, v4, v0, s[4:5]
	v_mov_b32_e32 v4, 0x1c00
	v_lshl_add_u32 v1, v1, 10, v4
	v_and_or_b32 v1, v2, s27, v1
	v_lshl_or_b32 v0, v0, 7, v1
	v_cvt_f32_f16_e32 v37, v0
.LBB280_85:                             ;   in Loop: Header=BB280_9 Depth=1
	s_or_b64 exec, exec, s[22:23]
	flat_load_dword v8, v[30:31] offset:1024
	s_mov_b64 s[4:5], 0
                                        ; implicit-def: $sgpr24
	s_waitcnt vmcnt(0) lgkmcnt(0)
	v_cmp_gt_i16_sdwa s[20:21], v8, s17 src0_sel:BYTE_0 src1_sel:DWORD
	s_and_saveexec_b64 s[22:23], s[20:21]
	s_xor_b64 s[20:21], exec, s[22:23]
	s_cbranch_execnz .LBB280_319
; %bb.86:                               ;   in Loop: Header=BB280_9 Depth=1
	s_or_saveexec_b64 s[20:21], s[20:21]
	v_mov_b32_e32 v0, s24
	s_xor_b64 exec, exec, s[20:21]
	s_cbranch_execnz .LBB280_322
.LBB280_87:                             ;   in Loop: Header=BB280_9 Depth=1
	s_or_b64 exec, exec, s[20:21]
	s_and_saveexec_b64 s[20:21], s[4:5]
	s_cbranch_execz .LBB280_89
.LBB280_88:                             ;   in Loop: Header=BB280_9 Depth=1
	v_and_b32_e32 v2, 7, v8
	v_ffbh_u32_e32 v0, v2
	v_min_u32_e32 v5, 32, v0
	v_subrev_u32_e32 v0, 28, v5
	v_bfe_u32 v4, v8, 3, 4
	v_lshlrev_b64 v[0:1], v0, v[8:9]
	v_sub_u32_e32 v1, 29, v5
	v_cmp_eq_u32_e64 s[4:5], 0, v4
	v_and_b32_e32 v0, 7, v0
	s_nop 0
	v_cndmask_b32_e64 v1, v4, v1, s[4:5]
	v_mov_b32_e32 v4, 0x1c00
	v_cndmask_b32_e64 v0, v2, v0, s[4:5]
	v_lshlrev_b32_e32 v2, 8, v8
	v_lshl_add_u32 v1, v1, 10, v4
	v_and_or_b32 v1, v2, s27, v1
	v_lshl_or_b32 v0, v0, 7, v1
	v_cvt_f32_f16_e32 v0, v0
.LBB280_89:                             ;   in Loop: Header=BB280_9 Depth=1
	s_or_b64 exec, exec, s[20:21]
	v_lshrrev_b16_e32 v2, 8, v8
	v_accvgpr_write_b32 a41, v0
	v_cmp_lt_i16_e64 s[4:5], s17, v2
	s_mov_b64 s[20:21], 0
                                        ; implicit-def: $sgpr28
	s_and_saveexec_b64 s[22:23], s[4:5]
	s_xor_b64 s[22:23], exec, s[22:23]
	s_cbranch_execnz .LBB280_323
; %bb.90:                               ;   in Loop: Header=BB280_9 Depth=1
	s_or_saveexec_b64 s[22:23], s[22:23]
	v_mov_b32_e32 v28, s28
	s_xor_b64 exec, exec, s[22:23]
	s_cbranch_execnz .LBB280_326
.LBB280_91:                             ;   in Loop: Header=BB280_9 Depth=1
	s_or_b64 exec, exec, s[22:23]
	s_and_saveexec_b64 s[22:23], s[20:21]
	s_cbranch_execz .LBB280_93
.LBB280_92:                             ;   in Loop: Header=BB280_9 Depth=1
	v_and_b32_e32 v4, 7, v2
	v_ffbh_u32_e32 v0, v4
	v_min_u32_e32 v6, 32, v0
	v_subrev_u32_e32 v0, 28, v6
	v_bfe_u32 v5, v2, 3, 4
	v_lshlrev_b64 v[0:1], v0, v[2:3]
	v_sub_u32_e32 v1, 29, v6
	v_and_b32_e32 v0, 7, v0
	v_cmp_eq_u32_e64 s[4:5], 0, v5
	v_lshlrev_b32_e32 v2, 8, v2
	s_nop 0
	v_cndmask_b32_e64 v1, v5, v1, s[4:5]
	v_cndmask_b32_e64 v0, v4, v0, s[4:5]
	v_mov_b32_e32 v4, 0x1c00
	v_lshl_add_u32 v1, v1, 10, v4
	v_and_or_b32 v1, v2, s27, v1
	v_lshl_or_b32 v0, v0, 7, v1
	v_cvt_f32_f16_e32 v28, v0
.LBB280_93:                             ;   in Loop: Header=BB280_9 Depth=1
	s_or_b64 exec, exec, s[22:23]
	v_lshrrev_b32_e32 v2, 16, v8
	v_cmp_gt_i16_sdwa s[20:21], v2, s17 src0_sel:BYTE_0 src1_sel:DWORD
	s_mov_b64 s[4:5], 0
                                        ; implicit-def: $sgpr24
	s_and_saveexec_b64 s[22:23], s[20:21]
	s_xor_b64 s[20:21], exec, s[22:23]
	s_cbranch_execnz .LBB280_327
; %bb.94:                               ;   in Loop: Header=BB280_9 Depth=1
	s_or_saveexec_b64 s[20:21], s[20:21]
	v_mov_b32_e32 v29, s24
	s_xor_b64 exec, exec, s[20:21]
	s_cbranch_execnz .LBB280_330
.LBB280_95:                             ;   in Loop: Header=BB280_9 Depth=1
	s_or_b64 exec, exec, s[20:21]
	s_and_saveexec_b64 s[20:21], s[4:5]
	s_cbranch_execz .LBB280_97
.LBB280_96:                             ;   in Loop: Header=BB280_9 Depth=1
	v_bfe_u32 v4, v8, 16, 3
	v_ffbh_u32_e32 v0, v4
	v_min_u32_e32 v6, 32, v0
	v_subrev_u32_e32 v0, 28, v6
	v_bfe_u32 v5, v8, 19, 4
	v_lshlrev_b64 v[0:1], v0, v[2:3]
	v_sub_u32_e32 v1, 29, v6
	v_and_b32_e32 v0, 7, v0
	v_cmp_eq_u32_e64 s[4:5], 0, v5
	v_lshlrev_b32_e32 v2, 8, v2
	s_nop 0
	v_cndmask_b32_e64 v1, v5, v1, s[4:5]
	v_cndmask_b32_e64 v0, v4, v0, s[4:5]
	v_mov_b32_e32 v4, 0x1c00
	v_lshl_add_u32 v1, v1, 10, v4
	v_and_or_b32 v1, v2, s27, v1
	v_lshl_or_b32 v0, v0, 7, v1
	v_cvt_f32_f16_e32 v29, v0
.LBB280_97:                             ;   in Loop: Header=BB280_9 Depth=1
	s_or_b64 exec, exec, s[20:21]
	v_lshrrev_b32_e32 v2, 24, v8
	v_cmp_lt_i16_e64 s[4:5], s17, v2
	s_mov_b64 s[20:21], 0
                                        ; implicit-def: $sgpr28
	s_and_saveexec_b64 s[22:23], s[4:5]
	s_xor_b64 s[22:23], exec, s[22:23]
	s_cbranch_execnz .LBB280_331
; %bb.98:                               ;   in Loop: Header=BB280_9 Depth=1
	s_or_saveexec_b64 s[22:23], s[22:23]
	v_mov_b32_e32 v35, s28
	s_xor_b64 exec, exec, s[22:23]
	s_cbranch_execnz .LBB280_334
.LBB280_99:                             ;   in Loop: Header=BB280_9 Depth=1
	s_or_b64 exec, exec, s[22:23]
	s_and_saveexec_b64 s[22:23], s[20:21]
	s_cbranch_execz .LBB280_101
.LBB280_100:                            ;   in Loop: Header=BB280_9 Depth=1
	v_bfe_u32 v4, v8, 24, 3
	v_ffbh_u32_e32 v0, v4
	v_min_u32_e32 v6, 32, v0
	v_subrev_u32_e32 v0, 28, v6
	v_bfe_u32 v5, v8, 27, 4
	v_lshlrev_b64 v[0:1], v0, v[2:3]
	v_sub_u32_e32 v1, 29, v6
	v_and_b32_e32 v0, 7, v0
	v_cmp_eq_u32_e64 s[4:5], 0, v5
	v_lshlrev_b32_e32 v2, 8, v2
	s_nop 0
	v_cndmask_b32_e64 v1, v5, v1, s[4:5]
	v_cndmask_b32_e64 v0, v4, v0, s[4:5]
	v_mov_b32_e32 v4, 0x1c00
	v_lshl_add_u32 v1, v1, 10, v4
	v_and_or_b32 v1, v2, s27, v1
	v_lshl_or_b32 v0, v0, 7, v1
	v_cvt_f32_f16_e32 v35, v0
.LBB280_101:                            ;   in Loop: Header=BB280_9 Depth=1
	s_or_b64 exec, exec, s[22:23]
	flat_load_dword v8, v[30:31] offset:1032
	s_mov_b64 s[4:5], 0
                                        ; implicit-def: $sgpr24
	s_waitcnt vmcnt(0) lgkmcnt(0)
	v_cmp_gt_i16_sdwa s[20:21], v8, s17 src0_sel:BYTE_0 src1_sel:DWORD
	s_and_saveexec_b64 s[22:23], s[20:21]
	s_xor_b64 s[20:21], exec, s[22:23]
	s_cbranch_execnz .LBB280_335
; %bb.102:                              ;   in Loop: Header=BB280_9 Depth=1
	s_or_saveexec_b64 s[20:21], s[20:21]
	v_mov_b32_e32 v32, s24
	s_xor_b64 exec, exec, s[20:21]
	s_cbranch_execnz .LBB280_338
.LBB280_103:                            ;   in Loop: Header=BB280_9 Depth=1
	s_or_b64 exec, exec, s[20:21]
	s_and_saveexec_b64 s[20:21], s[4:5]
	s_cbranch_execz .LBB280_105
.LBB280_104:                            ;   in Loop: Header=BB280_9 Depth=1
	v_and_b32_e32 v2, 7, v8
	v_ffbh_u32_e32 v0, v2
	v_min_u32_e32 v5, 32, v0
	v_subrev_u32_e32 v0, 28, v5
	v_bfe_u32 v4, v8, 3, 4
	v_lshlrev_b64 v[0:1], v0, v[8:9]
	v_sub_u32_e32 v1, 29, v5
	v_cmp_eq_u32_e64 s[4:5], 0, v4
	v_and_b32_e32 v0, 7, v0
	s_nop 0
	v_cndmask_b32_e64 v1, v4, v1, s[4:5]
	v_mov_b32_e32 v4, 0x1c00
	v_cndmask_b32_e64 v0, v2, v0, s[4:5]
	v_lshlrev_b32_e32 v2, 8, v8
	v_lshl_add_u32 v1, v1, 10, v4
	v_and_or_b32 v1, v2, s27, v1
	v_lshl_or_b32 v0, v0, 7, v1
	v_cvt_f32_f16_e32 v32, v0
.LBB280_105:                            ;   in Loop: Header=BB280_9 Depth=1
	s_or_b64 exec, exec, s[20:21]
	v_lshrrev_b16_e32 v2, 8, v8
	v_cmp_lt_i16_e64 s[4:5], s17, v2
	s_mov_b64 s[20:21], 0
                                        ; implicit-def: $sgpr28
	s_and_saveexec_b64 s[22:23], s[4:5]
	s_xor_b64 s[22:23], exec, s[22:23]
	s_cbranch_execnz .LBB280_339
; %bb.106:                              ;   in Loop: Header=BB280_9 Depth=1
	s_or_saveexec_b64 s[22:23], s[22:23]
	v_mov_b32_e32 v26, s28
	s_xor_b64 exec, exec, s[22:23]
	s_cbranch_execnz .LBB280_342
.LBB280_107:                            ;   in Loop: Header=BB280_9 Depth=1
	s_or_b64 exec, exec, s[22:23]
	s_and_saveexec_b64 s[22:23], s[20:21]
	s_cbranch_execz .LBB280_109
.LBB280_108:                            ;   in Loop: Header=BB280_9 Depth=1
	v_and_b32_e32 v4, 7, v2
	v_ffbh_u32_e32 v0, v4
	v_min_u32_e32 v6, 32, v0
	v_subrev_u32_e32 v0, 28, v6
	v_bfe_u32 v5, v2, 3, 4
	v_lshlrev_b64 v[0:1], v0, v[2:3]
	v_sub_u32_e32 v1, 29, v6
	v_and_b32_e32 v0, 7, v0
	v_cmp_eq_u32_e64 s[4:5], 0, v5
	v_lshlrev_b32_e32 v2, 8, v2
	s_nop 0
	v_cndmask_b32_e64 v1, v5, v1, s[4:5]
	v_cndmask_b32_e64 v0, v4, v0, s[4:5]
	v_mov_b32_e32 v4, 0x1c00
	v_lshl_add_u32 v1, v1, 10, v4
	v_and_or_b32 v1, v2, s27, v1
	v_lshl_or_b32 v0, v0, 7, v1
	v_cvt_f32_f16_e32 v26, v0
.LBB280_109:                            ;   in Loop: Header=BB280_9 Depth=1
	s_or_b64 exec, exec, s[22:23]
	v_lshrrev_b32_e32 v2, 16, v8
	v_cmp_gt_i16_sdwa s[20:21], v2, s17 src0_sel:BYTE_0 src1_sel:DWORD
	s_mov_b64 s[4:5], 0
                                        ; implicit-def: $sgpr24
	s_and_saveexec_b64 s[22:23], s[20:21]
	s_xor_b64 s[20:21], exec, s[22:23]
	s_cbranch_execnz .LBB280_343
; %bb.110:                              ;   in Loop: Header=BB280_9 Depth=1
	s_or_saveexec_b64 s[20:21], s[20:21]
	v_mov_b32_e32 v27, s24
	s_xor_b64 exec, exec, s[20:21]
	s_cbranch_execnz .LBB280_346
.LBB280_111:                            ;   in Loop: Header=BB280_9 Depth=1
	s_or_b64 exec, exec, s[20:21]
	s_and_saveexec_b64 s[20:21], s[4:5]
	s_cbranch_execz .LBB280_113
.LBB280_112:                            ;   in Loop: Header=BB280_9 Depth=1
	v_bfe_u32 v4, v8, 16, 3
	v_ffbh_u32_e32 v0, v4
	v_min_u32_e32 v6, 32, v0
	v_subrev_u32_e32 v0, 28, v6
	v_bfe_u32 v5, v8, 19, 4
	v_lshlrev_b64 v[0:1], v0, v[2:3]
	v_sub_u32_e32 v1, 29, v6
	v_and_b32_e32 v0, 7, v0
	v_cmp_eq_u32_e64 s[4:5], 0, v5
	v_lshlrev_b32_e32 v2, 8, v2
	s_nop 0
	v_cndmask_b32_e64 v1, v5, v1, s[4:5]
	v_cndmask_b32_e64 v0, v4, v0, s[4:5]
	v_mov_b32_e32 v4, 0x1c00
	v_lshl_add_u32 v1, v1, 10, v4
	v_and_or_b32 v1, v2, s27, v1
	v_lshl_or_b32 v0, v0, 7, v1
	v_cvt_f32_f16_e32 v27, v0
.LBB280_113:                            ;   in Loop: Header=BB280_9 Depth=1
	s_or_b64 exec, exec, s[20:21]
	v_lshrrev_b32_e32 v2, 24, v8
	v_cmp_lt_i16_e64 s[4:5], s17, v2
	s_mov_b64 s[20:21], 0
                                        ; implicit-def: $sgpr28
	s_and_saveexec_b64 s[22:23], s[4:5]
	s_xor_b64 s[22:23], exec, s[22:23]
	s_cbranch_execnz .LBB280_347
; %bb.114:                              ;   in Loop: Header=BB280_9 Depth=1
	s_or_saveexec_b64 s[22:23], s[22:23]
	v_mov_b32_e32 v12, s28
	s_xor_b64 exec, exec, s[22:23]
	s_cbranch_execnz .LBB280_350
.LBB280_115:                            ;   in Loop: Header=BB280_9 Depth=1
	s_or_b64 exec, exec, s[22:23]
	s_and_saveexec_b64 s[22:23], s[20:21]
	s_cbranch_execz .LBB280_117
.LBB280_116:                            ;   in Loop: Header=BB280_9 Depth=1
	v_bfe_u32 v4, v8, 24, 3
	v_ffbh_u32_e32 v0, v4
	v_min_u32_e32 v6, 32, v0
	v_subrev_u32_e32 v0, 28, v6
	v_bfe_u32 v5, v8, 27, 4
	v_lshlrev_b64 v[0:1], v0, v[2:3]
	v_sub_u32_e32 v1, 29, v6
	v_and_b32_e32 v0, 7, v0
	v_cmp_eq_u32_e64 s[4:5], 0, v5
	v_lshlrev_b32_e32 v2, 8, v2
	s_nop 0
	v_cndmask_b32_e64 v1, v5, v1, s[4:5]
	v_cndmask_b32_e64 v0, v4, v0, s[4:5]
	v_mov_b32_e32 v4, 0x1c00
	v_lshl_add_u32 v1, v1, 10, v4
	v_and_or_b32 v1, v2, s27, v1
	v_lshl_or_b32 v0, v0, 7, v1
	v_cvt_f32_f16_e32 v12, v0
.LBB280_117:                            ;   in Loop: Header=BB280_9 Depth=1
	s_or_b64 exec, exec, s[22:23]
	flat_load_dword v8, v[30:31] offset:1536
	s_mov_b64 s[4:5], 0
                                        ; implicit-def: $sgpr24
	s_waitcnt vmcnt(0) lgkmcnt(0)
	v_cmp_gt_i16_sdwa s[20:21], v8, s17 src0_sel:BYTE_0 src1_sel:DWORD
	s_and_saveexec_b64 s[22:23], s[20:21]
	s_xor_b64 s[20:21], exec, s[22:23]
	s_cbranch_execnz .LBB280_351
; %bb.118:                              ;   in Loop: Header=BB280_9 Depth=1
	s_or_saveexec_b64 s[20:21], s[20:21]
	v_mov_b32_e32 v1, s24
	s_xor_b64 exec, exec, s[20:21]
	s_cbranch_execnz .LBB280_354
.LBB280_119:                            ;   in Loop: Header=BB280_9 Depth=1
	s_or_b64 exec, exec, s[20:21]
	s_and_saveexec_b64 s[20:21], s[4:5]
	s_cbranch_execz .LBB280_121
.LBB280_120:                            ;   in Loop: Header=BB280_9 Depth=1
	v_and_b32_e32 v1, 7, v8
	v_ffbh_u32_e32 v4, v1
	v_min_u32_e32 v6, 32, v4
	v_subrev_u32_e32 v4, 28, v6
	v_bfe_u32 v2, v8, 3, 4
	v_lshlrev_b64 v[4:5], v4, v[8:9]
	v_sub_u32_e32 v5, 29, v6
	v_cmp_eq_u32_e64 s[4:5], 0, v2
	v_and_b32_e32 v4, 7, v4
	v_mov_b32_e32 v0, 0x1c00
	v_cndmask_b32_e64 v2, v2, v5, s[4:5]
	v_cndmask_b32_e64 v1, v1, v4, s[4:5]
	v_lshlrev_b32_e32 v4, 8, v8
	v_lshl_add_u32 v2, v2, 10, v0
	v_and_or_b32 v2, v4, s27, v2
	v_lshl_or_b32 v1, v1, 7, v2
	v_cvt_f32_f16_e32 v1, v1
.LBB280_121:                            ;   in Loop: Header=BB280_9 Depth=1
	s_or_b64 exec, exec, s[20:21]
	v_lshrrev_b16_e32 v2, 8, v8
	v_cmp_lt_i16_e64 s[4:5], s17, v2
	s_mov_b64 s[20:21], 0
                                        ; implicit-def: $sgpr28
	s_and_saveexec_b64 s[22:23], s[4:5]
	s_xor_b64 s[22:23], exec, s[22:23]
	s_cbranch_execnz .LBB280_355
; %bb.122:                              ;   in Loop: Header=BB280_9 Depth=1
	s_or_saveexec_b64 s[22:23], s[22:23]
	v_mov_b32_e32 v16, s28
	s_xor_b64 exec, exec, s[22:23]
	s_cbranch_execnz .LBB280_358
.LBB280_123:                            ;   in Loop: Header=BB280_9 Depth=1
	s_or_b64 exec, exec, s[22:23]
	s_and_saveexec_b64 s[22:23], s[20:21]
	s_cbranch_execz .LBB280_125
.LBB280_124:                            ;   in Loop: Header=BB280_9 Depth=1
	v_and_b32_e32 v6, 7, v2
	v_ffbh_u32_e32 v4, v6
	v_min_u32_e32 v9, 32, v4
	v_subrev_u32_e32 v4, 28, v9
	v_bfe_u32 v7, v2, 3, 4
	v_lshlrev_b64 v[4:5], v4, v[2:3]
	v_sub_u32_e32 v5, 29, v9
	v_cmp_eq_u32_e64 s[4:5], 0, v7
	v_mov_b32_e32 v0, 0x1c00
	v_and_b32_e32 v4, 7, v4
	v_cndmask_b32_e64 v5, v7, v5, s[4:5]
	v_lshlrev_b32_e32 v2, 8, v2
	v_lshl_add_u32 v5, v5, 10, v0
	v_cndmask_b32_e64 v4, v6, v4, s[4:5]
	v_and_or_b32 v2, v2, s27, v5
	v_lshl_or_b32 v2, v4, 7, v2
	v_cvt_f32_f16_e32 v16, v2
.LBB280_125:                            ;   in Loop: Header=BB280_9 Depth=1
	s_or_b64 exec, exec, s[22:23]
	v_lshrrev_b32_e32 v2, 16, v8
	v_cmp_gt_i16_sdwa s[20:21], v2, s17 src0_sel:BYTE_0 src1_sel:DWORD
	s_mov_b64 s[4:5], 0
                                        ; implicit-def: $sgpr24
	s_and_saveexec_b64 s[22:23], s[20:21]
	s_xor_b64 s[20:21], exec, s[22:23]
	s_cbranch_execnz .LBB280_359
; %bb.126:                              ;   in Loop: Header=BB280_9 Depth=1
	s_or_saveexec_b64 s[20:21], s[20:21]
	v_mov_b32_e32 v38, s24
	s_xor_b64 exec, exec, s[20:21]
	s_cbranch_execnz .LBB280_362
.LBB280_127:                            ;   in Loop: Header=BB280_9 Depth=1
	s_or_b64 exec, exec, s[20:21]
	s_and_saveexec_b64 s[20:21], s[4:5]
	s_cbranch_execz .LBB280_129
.LBB280_128:                            ;   in Loop: Header=BB280_9 Depth=1
	v_bfe_u32 v6, v8, 16, 3
	v_ffbh_u32_e32 v4, v6
	v_min_u32_e32 v9, 32, v4
	v_subrev_u32_e32 v4, 28, v9
	v_bfe_u32 v7, v8, 19, 4
	v_lshlrev_b64 v[4:5], v4, v[2:3]
	v_sub_u32_e32 v5, 29, v9
	v_cmp_eq_u32_e64 s[4:5], 0, v7
	v_mov_b32_e32 v0, 0x1c00
	v_and_b32_e32 v4, 7, v4
	v_cndmask_b32_e64 v5, v7, v5, s[4:5]
	v_lshlrev_b32_e32 v2, 8, v2
	v_lshl_add_u32 v5, v5, 10, v0
	v_cndmask_b32_e64 v4, v6, v4, s[4:5]
	v_and_or_b32 v2, v2, s27, v5
	v_lshl_or_b32 v2, v4, 7, v2
	v_cvt_f32_f16_e32 v38, v2
.LBB280_129:                            ;   in Loop: Header=BB280_9 Depth=1
	s_or_b64 exec, exec, s[20:21]
	v_lshrrev_b32_e32 v2, 24, v8
	v_cmp_lt_i16_e64 s[4:5], s17, v2
	s_mov_b64 s[20:21], 0
                                        ; implicit-def: $sgpr28
	s_and_saveexec_b64 s[22:23], s[4:5]
	s_xor_b64 s[22:23], exec, s[22:23]
	s_cbranch_execnz .LBB280_363
; %bb.130:                              ;   in Loop: Header=BB280_9 Depth=1
	s_or_saveexec_b64 s[22:23], s[22:23]
	v_mov_b32_e32 v14, s28
	s_xor_b64 exec, exec, s[22:23]
	s_cbranch_execnz .LBB280_366
.LBB280_131:                            ;   in Loop: Header=BB280_9 Depth=1
	s_or_b64 exec, exec, s[22:23]
	s_and_saveexec_b64 s[22:23], s[20:21]
	s_cbranch_execz .LBB280_133
.LBB280_132:                            ;   in Loop: Header=BB280_9 Depth=1
	v_bfe_u32 v6, v8, 24, 3
	v_ffbh_u32_e32 v4, v6
	v_bfe_u32 v7, v8, 27, 4
	v_min_u32_e32 v8, 32, v4
	v_subrev_u32_e32 v4, 28, v8
	v_lshlrev_b64 v[4:5], v4, v[2:3]
	v_sub_u32_e32 v5, 29, v8
	v_cmp_eq_u32_e64 s[4:5], 0, v7
	v_mov_b32_e32 v0, 0x1c00
	v_and_b32_e32 v4, 7, v4
	v_cndmask_b32_e64 v5, v7, v5, s[4:5]
	v_lshlrev_b32_e32 v2, 8, v2
	v_lshl_add_u32 v5, v5, 10, v0
	v_cndmask_b32_e64 v4, v6, v4, s[4:5]
	v_and_or_b32 v2, v2, s27, v5
	v_lshl_or_b32 v2, v4, 7, v2
	v_cvt_f32_f16_e32 v14, v2
.LBB280_133:                            ;   in Loop: Header=BB280_9 Depth=1
	s_or_b64 exec, exec, s[22:23]
	flat_load_dword v8, v[30:31] offset:1544
	s_mov_b64 s[4:5], 0
                                        ; implicit-def: $sgpr24
	s_waitcnt vmcnt(0) lgkmcnt(0)
	v_cmp_gt_i16_sdwa s[20:21], v8, s17 src0_sel:BYTE_0 src1_sel:DWORD
	s_and_saveexec_b64 s[22:23], s[20:21]
	s_xor_b64 s[20:21], exec, s[22:23]
	s_cbranch_execnz .LBB280_367
; %bb.134:                              ;   in Loop: Header=BB280_9 Depth=1
	s_or_saveexec_b64 s[20:21], s[20:21]
	v_mov_b32_e32 v15, s24
	s_xor_b64 exec, exec, s[20:21]
	s_cbranch_execnz .LBB280_370
.LBB280_135:                            ;   in Loop: Header=BB280_9 Depth=1
	s_or_b64 exec, exec, s[20:21]
	s_and_saveexec_b64 s[20:21], s[4:5]
	s_cbranch_execz .LBB280_137
.LBB280_136:                            ;   in Loop: Header=BB280_9 Depth=1
	v_and_b32_e32 v2, 7, v8
	v_ffbh_u32_e32 v4, v2
	v_min_u32_e32 v7, 32, v4
	v_subrev_u32_e32 v4, 28, v7
	v_bfe_u32 v6, v8, 3, 4
	v_lshlrev_b64 v[4:5], v4, v[8:9]
	v_sub_u32_e32 v5, 29, v7
	v_cmp_eq_u32_e64 s[4:5], 0, v6
	v_and_b32_e32 v4, 7, v4
	v_mov_b32_e32 v0, 0x1c00
	v_cndmask_b32_e64 v5, v6, v5, s[4:5]
	v_cndmask_b32_e64 v2, v2, v4, s[4:5]
	v_lshlrev_b32_e32 v4, 8, v8
	v_lshl_add_u32 v5, v5, 10, v0
	v_and_or_b32 v4, v4, s27, v5
	v_lshl_or_b32 v2, v2, 7, v4
	v_cvt_f32_f16_e32 v15, v2
.LBB280_137:                            ;   in Loop: Header=BB280_9 Depth=1
	s_or_b64 exec, exec, s[20:21]
	v_lshrrev_b16_e32 v2, 8, v8
	v_cmp_lt_i16_e64 s[4:5], s17, v2
	s_mov_b64 s[20:21], 0
                                        ; implicit-def: $sgpr28
	s_and_saveexec_b64 s[22:23], s[4:5]
	s_xor_b64 s[22:23], exec, s[22:23]
	s_cbranch_execnz .LBB280_371
; %bb.138:                              ;   in Loop: Header=BB280_9 Depth=1
	s_or_saveexec_b64 s[22:23], s[22:23]
	v_mov_b32_e32 v6, s28
	s_xor_b64 exec, exec, s[22:23]
	s_cbranch_execnz .LBB280_374
.LBB280_139:                            ;   in Loop: Header=BB280_9 Depth=1
	s_or_b64 exec, exec, s[22:23]
	s_and_saveexec_b64 s[22:23], s[20:21]
	s_cbranch_execz .LBB280_141
.LBB280_140:                            ;   in Loop: Header=BB280_9 Depth=1
	v_and_b32_e32 v6, 7, v2
	v_ffbh_u32_e32 v4, v6
	v_min_u32_e32 v9, 32, v4
	v_subrev_u32_e32 v4, 28, v9
	v_bfe_u32 v7, v2, 3, 4
	v_lshlrev_b64 v[4:5], v4, v[2:3]
	v_sub_u32_e32 v5, 29, v9
	v_cmp_eq_u32_e64 s[4:5], 0, v7
	v_mov_b32_e32 v0, 0x1c00
	v_and_b32_e32 v4, 7, v4
	v_cndmask_b32_e64 v5, v7, v5, s[4:5]
	v_lshlrev_b32_e32 v2, 8, v2
	v_lshl_add_u32 v5, v5, 10, v0
	v_cndmask_b32_e64 v4, v6, v4, s[4:5]
	v_and_or_b32 v2, v2, s27, v5
	v_lshl_or_b32 v2, v4, 7, v2
	v_cvt_f32_f16_e32 v6, v2
.LBB280_141:                            ;   in Loop: Header=BB280_9 Depth=1
	s_or_b64 exec, exec, s[22:23]
	v_lshrrev_b32_e32 v2, 16, v8
	v_cmp_gt_i16_sdwa s[20:21], v2, s17 src0_sel:BYTE_0 src1_sel:DWORD
	s_mov_b64 s[4:5], 0
                                        ; implicit-def: $sgpr24
	s_and_saveexec_b64 s[22:23], s[20:21]
	s_xor_b64 s[20:21], exec, s[22:23]
	s_cbranch_execnz .LBB280_375
; %bb.142:                              ;   in Loop: Header=BB280_9 Depth=1
	s_or_saveexec_b64 s[20:21], s[20:21]
	v_mov_b32_e32 v7, s24
	s_xor_b64 exec, exec, s[20:21]
	s_cbranch_execnz .LBB280_378
.LBB280_143:                            ;   in Loop: Header=BB280_9 Depth=1
	s_or_b64 exec, exec, s[20:21]
	s_and_saveexec_b64 s[20:21], s[4:5]
	s_cbranch_execz .LBB280_145
.LBB280_144:                            ;   in Loop: Header=BB280_9 Depth=1
	v_bfe_u32 v7, v8, 16, 3
	v_ffbh_u32_e32 v4, v7
	v_min_u32_e32 v10, 32, v4
	v_subrev_u32_e32 v4, 28, v10
	v_bfe_u32 v9, v8, 19, 4
	v_lshlrev_b64 v[4:5], v4, v[2:3]
	v_sub_u32_e32 v5, 29, v10
	v_cmp_eq_u32_e64 s[4:5], 0, v9
	v_mov_b32_e32 v0, 0x1c00
	v_and_b32_e32 v4, 7, v4
	v_cndmask_b32_e64 v5, v9, v5, s[4:5]
	v_lshlrev_b32_e32 v2, 8, v2
	v_lshl_add_u32 v5, v5, 10, v0
	v_cndmask_b32_e64 v4, v7, v4, s[4:5]
	v_and_or_b32 v2, v2, s27, v5
	v_lshl_or_b32 v2, v4, 7, v2
	v_cvt_f32_f16_e32 v7, v2
.LBB280_145:                            ;   in Loop: Header=BB280_9 Depth=1
	s_or_b64 exec, exec, s[20:21]
	v_lshrrev_b32_e32 v2, 24, v8
	v_cmp_lt_i16_e64 s[4:5], s17, v2
	s_mov_b64 s[20:21], 0
                                        ; implicit-def: $sgpr28
	s_and_saveexec_b64 s[22:23], s[4:5]
	s_xor_b64 s[22:23], exec, s[22:23]
	s_cbranch_execnz .LBB280_379
; %bb.146:                              ;   in Loop: Header=BB280_9 Depth=1
	s_or_saveexec_b64 s[22:23], s[22:23]
	v_mov_b32_e32 v10, s28
	s_xor_b64 exec, exec, s[22:23]
	s_cbranch_execnz .LBB280_382
.LBB280_147:                            ;   in Loop: Header=BB280_9 Depth=1
	s_or_b64 exec, exec, s[22:23]
	s_and_saveexec_b64 s[22:23], s[20:21]
	s_cbranch_execz .LBB280_149
.LBB280_148:                            ;   in Loop: Header=BB280_9 Depth=1
	v_bfe_u32 v9, v8, 24, 3
	v_ffbh_u32_e32 v4, v9
	v_min_u32_e32 v10, 32, v4
	v_subrev_u32_e32 v4, 28, v10
	v_bfe_u32 v8, v8, 27, 4
	v_lshlrev_b64 v[4:5], v4, v[2:3]
	v_sub_u32_e32 v5, 29, v10
	v_cmp_eq_u32_e64 s[4:5], 0, v8
	v_mov_b32_e32 v0, 0x1c00
	v_and_b32_e32 v4, 7, v4
	v_cndmask_b32_e64 v5, v8, v5, s[4:5]
	v_lshlrev_b32_e32 v2, 8, v2
	v_lshl_add_u32 v5, v5, 10, v0
	v_cndmask_b32_e64 v4, v9, v4, s[4:5]
	v_and_or_b32 v2, v2, s27, v5
	v_lshl_or_b32 v2, v4, 7, v2
	v_cvt_f32_f16_e32 v10, v2
.LBB280_149:                            ;   in Loop: Header=BB280_9 Depth=1
	s_or_b64 exec, exec, s[22:23]
	flat_load_dword v8, v[30:31] offset:2048
	s_mov_b64 s[4:5], 0
                                        ; implicit-def: $sgpr24
	s_waitcnt vmcnt(0) lgkmcnt(0)
	v_cmp_gt_i16_sdwa s[20:21], v8, s17 src0_sel:BYTE_0 src1_sel:DWORD
	s_and_saveexec_b64 s[22:23], s[20:21]
	s_xor_b64 s[20:21], exec, s[22:23]
	s_cbranch_execnz .LBB280_383
; %bb.150:                              ;   in Loop: Header=BB280_9 Depth=1
	s_or_saveexec_b64 s[20:21], s[20:21]
	v_mov_b32_e32 v11, s24
	s_xor_b64 exec, exec, s[20:21]
	s_cbranch_execnz .LBB280_386
.LBB280_151:                            ;   in Loop: Header=BB280_9 Depth=1
	s_or_b64 exec, exec, s[20:21]
	s_and_saveexec_b64 s[20:21], s[4:5]
	s_cbranch_execz .LBB280_153
.LBB280_152:                            ;   in Loop: Header=BB280_9 Depth=1
	v_and_b32_e32 v2, 7, v8
	v_ffbh_u32_e32 v4, v2
	v_min_u32_e32 v11, 32, v4
	v_bfe_u32 v9, v8, 3, 4
	v_subrev_u32_e32 v4, 28, v11
	v_lshlrev_b64 v[4:5], v4, v[8:9]
	v_sub_u32_e32 v5, 29, v11
	v_cmp_eq_u32_e64 s[4:5], 0, v9
	v_and_b32_e32 v4, 7, v4
	v_mov_b32_e32 v0, 0x1c00
	v_cndmask_b32_e64 v5, v9, v5, s[4:5]
	v_cndmask_b32_e64 v2, v2, v4, s[4:5]
	v_lshlrev_b32_e32 v4, 8, v8
	v_lshl_add_u32 v5, v5, 10, v0
	v_and_or_b32 v4, v4, s27, v5
	v_lshl_or_b32 v2, v2, 7, v4
	v_cvt_f32_f16_e32 v11, v2
.LBB280_153:                            ;   in Loop: Header=BB280_9 Depth=1
	s_or_b64 exec, exec, s[20:21]
	v_lshrrev_b16_e32 v2, 8, v8
	v_cmp_lt_i16_e64 s[4:5], s17, v2
	s_mov_b64 s[20:21], 0
                                        ; implicit-def: $sgpr28
	s_and_saveexec_b64 s[22:23], s[4:5]
	s_xor_b64 s[22:23], exec, s[22:23]
	s_cbranch_execnz .LBB280_387
; %bb.154:                              ;   in Loop: Header=BB280_9 Depth=1
	s_or_saveexec_b64 s[22:23], s[22:23]
	v_mov_b32_e32 v34, s28
	s_xor_b64 exec, exec, s[22:23]
	s_cbranch_execnz .LBB280_390
.LBB280_155:                            ;   in Loop: Header=BB280_9 Depth=1
	s_or_b64 exec, exec, s[22:23]
	s_and_saveexec_b64 s[22:23], s[20:21]
	s_cbranch_execz .LBB280_157
.LBB280_156:                            ;   in Loop: Header=BB280_9 Depth=1
	v_and_b32_e32 v9, 7, v2
	v_ffbh_u32_e32 v4, v9
	v_min_u32_e32 v17, 32, v4
	v_subrev_u32_e32 v4, 28, v17
	v_bfe_u32 v13, v2, 3, 4
	v_lshlrev_b64 v[4:5], v4, v[2:3]
	v_sub_u32_e32 v5, 29, v17
	v_cmp_eq_u32_e64 s[4:5], 0, v13
	v_mov_b32_e32 v0, 0x1c00
	v_and_b32_e32 v4, 7, v4
	v_cndmask_b32_e64 v5, v13, v5, s[4:5]
	v_lshlrev_b32_e32 v2, 8, v2
	v_lshl_add_u32 v5, v5, 10, v0
	v_cndmask_b32_e64 v4, v9, v4, s[4:5]
	v_and_or_b32 v2, v2, s27, v5
	v_lshl_or_b32 v2, v4, 7, v2
	v_cvt_f32_f16_e32 v34, v2
.LBB280_157:                            ;   in Loop: Header=BB280_9 Depth=1
	s_or_b64 exec, exec, s[22:23]
	v_lshrrev_b32_e32 v2, 16, v8
	v_cmp_gt_i16_sdwa s[20:21], v2, s17 src0_sel:BYTE_0 src1_sel:DWORD
	s_mov_b64 s[4:5], 0
                                        ; implicit-def: $sgpr24
	s_and_saveexec_b64 s[22:23], s[20:21]
	s_xor_b64 s[20:21], exec, s[22:23]
	s_cbranch_execnz .LBB280_391
; %bb.158:                              ;   in Loop: Header=BB280_9 Depth=1
	s_or_saveexec_b64 s[20:21], s[20:21]
	v_mov_b32_e32 v39, s24
	s_xor_b64 exec, exec, s[20:21]
	s_cbranch_execnz .LBB280_394
.LBB280_159:                            ;   in Loop: Header=BB280_9 Depth=1
	s_or_b64 exec, exec, s[20:21]
	s_and_saveexec_b64 s[20:21], s[4:5]
	s_cbranch_execz .LBB280_161
.LBB280_160:                            ;   in Loop: Header=BB280_9 Depth=1
	v_bfe_u32 v9, v8, 16, 3
	v_ffbh_u32_e32 v4, v9
	v_min_u32_e32 v17, 32, v4
	v_subrev_u32_e32 v4, 28, v17
	v_bfe_u32 v13, v8, 19, 4
	v_lshlrev_b64 v[4:5], v4, v[2:3]
	v_sub_u32_e32 v5, 29, v17
	v_cmp_eq_u32_e64 s[4:5], 0, v13
	v_mov_b32_e32 v0, 0x1c00
	v_and_b32_e32 v4, 7, v4
	v_cndmask_b32_e64 v5, v13, v5, s[4:5]
	v_lshlrev_b32_e32 v2, 8, v2
	v_lshl_add_u32 v5, v5, 10, v0
	v_cndmask_b32_e64 v4, v9, v4, s[4:5]
	v_and_or_b32 v2, v2, s27, v5
	v_lshl_or_b32 v2, v4, 7, v2
	v_cvt_f32_f16_e32 v39, v2
.LBB280_161:                            ;   in Loop: Header=BB280_9 Depth=1
	s_or_b64 exec, exec, s[20:21]
	v_lshrrev_b32_e32 v2, 24, v8
	v_cmp_lt_i16_e64 s[4:5], s17, v2
	s_mov_b64 s[20:21], 0
                                        ; implicit-def: $sgpr28
	s_and_saveexec_b64 s[22:23], s[4:5]
	s_xor_b64 s[22:23], exec, s[22:23]
	s_cbranch_execnz .LBB280_395
; %bb.162:                              ;   in Loop: Header=BB280_9 Depth=1
	s_or_saveexec_b64 s[22:23], s[22:23]
	v_mov_b32_e32 v13, s28
	s_xor_b64 exec, exec, s[22:23]
	s_cbranch_execnz .LBB280_398
.LBB280_163:                            ;   in Loop: Header=BB280_9 Depth=1
	s_or_b64 exec, exec, s[22:23]
	s_and_saveexec_b64 s[22:23], s[20:21]
	s_cbranch_execz .LBB280_165
.LBB280_164:                            ;   in Loop: Header=BB280_9 Depth=1
	v_bfe_u32 v9, v8, 24, 3
	v_ffbh_u32_e32 v4, v9
	v_min_u32_e32 v13, 32, v4
	v_subrev_u32_e32 v4, 28, v13
	v_bfe_u32 v8, v8, 27, 4
	v_lshlrev_b64 v[4:5], v4, v[2:3]
	v_sub_u32_e32 v5, 29, v13
	v_cmp_eq_u32_e64 s[4:5], 0, v8
	v_mov_b32_e32 v0, 0x1c00
	v_and_b32_e32 v4, 7, v4
	v_cndmask_b32_e64 v5, v8, v5, s[4:5]
	v_lshlrev_b32_e32 v2, 8, v2
	v_lshl_add_u32 v5, v5, 10, v0
	v_cndmask_b32_e64 v4, v9, v4, s[4:5]
	v_and_or_b32 v2, v2, s27, v5
	v_lshl_or_b32 v2, v4, 7, v2
	v_cvt_f32_f16_e32 v13, v2
.LBB280_165:                            ;   in Loop: Header=BB280_9 Depth=1
	s_or_b64 exec, exec, s[22:23]
	flat_load_dword v8, v[30:31] offset:2056
	s_mov_b64 s[4:5], 0
                                        ; implicit-def: $sgpr24
	s_waitcnt vmcnt(0) lgkmcnt(0)
	v_cmp_gt_i16_sdwa s[20:21], v8, s17 src0_sel:BYTE_0 src1_sel:DWORD
	s_and_saveexec_b64 s[22:23], s[20:21]
	s_xor_b64 s[20:21], exec, s[22:23]
	s_cbranch_execnz .LBB280_399
; %bb.166:                              ;   in Loop: Header=BB280_9 Depth=1
	s_or_saveexec_b64 s[20:21], s[20:21]
	v_mov_b32_e32 v9, s24
	s_xor_b64 exec, exec, s[20:21]
	s_cbranch_execnz .LBB280_402
.LBB280_167:                            ;   in Loop: Header=BB280_9 Depth=1
	s_or_b64 exec, exec, s[20:21]
	s_and_saveexec_b64 s[20:21], s[4:5]
	s_cbranch_execz .LBB280_169
.LBB280_168:                            ;   in Loop: Header=BB280_9 Depth=1
	v_and_b32_e32 v2, 7, v8
	v_ffbh_u32_e32 v4, v2
	v_min_u32_e32 v17, 32, v4
	v_bfe_u32 v9, v8, 3, 4
	v_subrev_u32_e32 v4, 28, v17
	v_lshlrev_b64 v[4:5], v4, v[8:9]
	v_sub_u32_e32 v5, 29, v17
	v_cmp_eq_u32_e64 s[4:5], 0, v9
	v_and_b32_e32 v4, 7, v4
	v_mov_b32_e32 v0, 0x1c00
	v_cndmask_b32_e64 v5, v9, v5, s[4:5]
	v_cndmask_b32_e64 v2, v2, v4, s[4:5]
	v_lshlrev_b32_e32 v4, 8, v8
	v_lshl_add_u32 v5, v5, 10, v0
	v_and_or_b32 v4, v4, s27, v5
	v_lshl_or_b32 v2, v2, 7, v4
	v_cvt_f32_f16_e32 v9, v2
.LBB280_169:                            ;   in Loop: Header=BB280_9 Depth=1
	s_or_b64 exec, exec, s[20:21]
	v_lshrrev_b16_e32 v2, 8, v8
	v_cmp_lt_i16_e64 s[4:5], s17, v2
	s_mov_b64 s[20:21], 0
                                        ; implicit-def: $sgpr28
	s_and_saveexec_b64 s[22:23], s[4:5]
	s_xor_b64 s[22:23], exec, s[22:23]
	s_cbranch_execnz .LBB280_403
; %bb.170:                              ;   in Loop: Header=BB280_9 Depth=1
	s_or_saveexec_b64 s[22:23], s[22:23]
	v_mov_b32_e32 v4, s28
	s_xor_b64 exec, exec, s[22:23]
	s_cbranch_execnz .LBB280_406
.LBB280_171:                            ;   in Loop: Header=BB280_9 Depth=1
	s_or_b64 exec, exec, s[22:23]
	s_and_saveexec_b64 s[22:23], s[20:21]
	s_cbranch_execz .LBB280_173
.LBB280_172:                            ;   in Loop: Header=BB280_9 Depth=1
	v_and_b32_e32 v17, 7, v2
	v_ffbh_u32_e32 v4, v17
	v_min_u32_e32 v20, 32, v4
	v_subrev_u32_e32 v4, 28, v20
	v_bfe_u32 v18, v2, 3, 4
	v_lshlrev_b64 v[4:5], v4, v[2:3]
	v_sub_u32_e32 v5, 29, v20
	v_cmp_eq_u32_e64 s[4:5], 0, v18
	v_mov_b32_e32 v0, 0x1c00
	v_and_b32_e32 v4, 7, v4
	v_cndmask_b32_e64 v5, v18, v5, s[4:5]
	v_lshlrev_b32_e32 v2, 8, v2
	v_lshl_add_u32 v5, v5, 10, v0
	v_cndmask_b32_e64 v4, v17, v4, s[4:5]
	v_and_or_b32 v2, v2, s27, v5
	v_lshl_or_b32 v2, v4, 7, v2
	v_cvt_f32_f16_e32 v4, v2
.LBB280_173:                            ;   in Loop: Header=BB280_9 Depth=1
	s_or_b64 exec, exec, s[22:23]
	v_lshrrev_b32_e32 v2, 16, v8
	v_cmp_gt_i16_sdwa s[20:21], v2, s17 src0_sel:BYTE_0 src1_sel:DWORD
	s_mov_b64 s[4:5], 0
                                        ; implicit-def: $sgpr24
	s_and_saveexec_b64 s[22:23], s[20:21]
	s_xor_b64 s[20:21], exec, s[22:23]
	s_cbranch_execnz .LBB280_407
; %bb.174:                              ;   in Loop: Header=BB280_9 Depth=1
	s_or_saveexec_b64 s[20:21], s[20:21]
	v_mov_b32_e32 v5, s24
	s_xor_b64 exec, exec, s[20:21]
	s_cbranch_execnz .LBB280_410
.LBB280_175:                            ;   in Loop: Header=BB280_9 Depth=1
	s_or_b64 exec, exec, s[20:21]
	s_and_saveexec_b64 s[20:21], s[4:5]
	s_cbranch_execz .LBB280_177
.LBB280_176:                            ;   in Loop: Header=BB280_9 Depth=1
	v_bfe_u32 v5, v8, 16, 3
	v_ffbh_u32_e32 v18, v5
	v_bfe_u32 v17, v8, 19, 4
	v_min_u32_e32 v18, 32, v18
	v_subrev_u32_e32 v20, 28, v18
	v_sub_u32_e32 v18, 29, v18
	v_cmp_eq_u32_e64 s[4:5], 0, v17
	v_lshlrev_b64 v[20:21], v20, v[2:3]
	v_mov_b32_e32 v0, 0x1c00
	v_cndmask_b32_e64 v17, v17, v18, s[4:5]
	v_and_b32_e32 v20, 7, v20
	v_lshlrev_b32_e32 v2, 8, v2
	v_lshl_add_u32 v17, v17, 10, v0
	v_cndmask_b32_e64 v5, v5, v20, s[4:5]
	v_and_or_b32 v2, v2, s27, v17
	v_lshl_or_b32 v2, v5, 7, v2
	v_cvt_f32_f16_e32 v5, v2
.LBB280_177:                            ;   in Loop: Header=BB280_9 Depth=1
	s_or_b64 exec, exec, s[20:21]
	v_lshrrev_b32_e32 v2, 24, v8
	v_cmp_lt_i16_e64 s[4:5], s17, v2
	s_mov_b64 s[20:21], 0
                                        ; implicit-def: $sgpr28
	s_and_saveexec_b64 s[22:23], s[4:5]
	s_xor_b64 s[22:23], exec, s[22:23]
	s_cbranch_execnz .LBB280_411
; %bb.178:                              ;   in Loop: Header=BB280_9 Depth=1
	s_or_saveexec_b64 s[22:23], s[22:23]
	v_mov_b32_e32 v24, s28
	s_xor_b64 exec, exec, s[22:23]
	s_cbranch_execnz .LBB280_414
.LBB280_179:                            ;   in Loop: Header=BB280_9 Depth=1
	s_or_b64 exec, exec, s[22:23]
	s_and_saveexec_b64 s[22:23], s[20:21]
	s_cbranch_execz .LBB280_181
.LBB280_180:                            ;   in Loop: Header=BB280_9 Depth=1
	v_bfe_u32 v17, v8, 24, 3
	v_ffbh_u32_e32 v18, v17
	v_bfe_u32 v8, v8, 27, 4
	v_min_u32_e32 v18, 32, v18
	v_subrev_u32_e32 v20, 28, v18
	v_sub_u32_e32 v18, 29, v18
	v_cmp_eq_u32_e64 s[4:5], 0, v8
	v_lshlrev_b64 v[20:21], v20, v[2:3]
	v_mov_b32_e32 v0, 0x1c00
	v_cndmask_b32_e64 v8, v8, v18, s[4:5]
	v_and_b32_e32 v20, 7, v20
	v_lshlrev_b32_e32 v2, 8, v2
	v_lshl_add_u32 v8, v8, 10, v0
	v_cndmask_b32_e64 v17, v17, v20, s[4:5]
	v_and_or_b32 v2, v2, s27, v8
	v_lshl_or_b32 v2, v17, 7, v2
	v_cvt_f32_f16_e32 v24, v2
.LBB280_181:                            ;   in Loop: Header=BB280_9 Depth=1
	s_or_b64 exec, exec, s[22:23]
	flat_load_dword v8, v[30:31] offset:2560
	s_mov_b64 s[4:5], 0
                                        ; implicit-def: $sgpr24
	s_waitcnt vmcnt(0) lgkmcnt(0)
	v_cmp_gt_i16_sdwa s[20:21], v8, s17 src0_sel:BYTE_0 src1_sel:DWORD
	s_and_saveexec_b64 s[22:23], s[20:21]
	s_xor_b64 s[20:21], exec, s[22:23]
	s_cbranch_execnz .LBB280_415
; %bb.182:                              ;   in Loop: Header=BB280_9 Depth=1
	s_or_saveexec_b64 s[20:21], s[20:21]
	v_mov_b32_e32 v25, s24
	s_xor_b64 exec, exec, s[20:21]
	s_cbranch_execnz .LBB280_418
.LBB280_183:                            ;   in Loop: Header=BB280_9 Depth=1
	s_or_b64 exec, exec, s[20:21]
	s_and_saveexec_b64 s[20:21], s[4:5]
	s_cbranch_execz .LBB280_185
.LBB280_184:                            ;   in Loop: Header=BB280_9 Depth=1
	v_and_b32_e32 v2, 7, v8
	v_ffbh_u32_e32 v18, v2
	v_bfe_u32 v17, v8, 3, 4
	v_min_u32_e32 v18, 32, v18
	v_subrev_u32_e32 v20, 28, v18
	v_sub_u32_e32 v18, 29, v18
	v_cmp_eq_u32_e64 s[4:5], 0, v17
	v_lshlrev_b64 v[20:21], v20, v[8:9]
	v_mov_b32_e32 v0, 0x1c00
	v_cndmask_b32_e64 v17, v17, v18, s[4:5]
	v_and_b32_e32 v20, 7, v20
	v_lshlrev_b32_e32 v18, 8, v8
	v_lshl_add_u32 v17, v17, 10, v0
	v_cndmask_b32_e64 v2, v2, v20, s[4:5]
	v_and_or_b32 v17, v18, s27, v17
	v_lshl_or_b32 v2, v2, 7, v17
	v_cvt_f32_f16_e32 v25, v2
.LBB280_185:                            ;   in Loop: Header=BB280_9 Depth=1
	s_or_b64 exec, exec, s[20:21]
	v_lshrrev_b16_e32 v2, 8, v8
	v_cmp_lt_i16_e64 s[4:5], s17, v2
	s_mov_b64 s[20:21], 0
                                        ; implicit-def: $sgpr28
	s_and_saveexec_b64 s[22:23], s[4:5]
	s_xor_b64 s[22:23], exec, s[22:23]
	s_cbranch_execnz .LBB280_419
; %bb.186:                              ;   in Loop: Header=BB280_9 Depth=1
	s_or_saveexec_b64 s[22:23], s[22:23]
	v_mov_b32_e32 v33, s28
	s_xor_b64 exec, exec, s[22:23]
	s_cbranch_execnz .LBB280_422
.LBB280_187:                            ;   in Loop: Header=BB280_9 Depth=1
	s_or_b64 exec, exec, s[22:23]
	s_and_saveexec_b64 s[22:23], s[20:21]
	s_cbranch_execz .LBB280_189
.LBB280_188:                            ;   in Loop: Header=BB280_9 Depth=1
	v_and_b32_e32 v17, 7, v2
	v_ffbh_u32_e32 v20, v17
	v_min_u32_e32 v22, 32, v20
	v_subrev_u32_e32 v20, 28, v22
	v_bfe_u32 v18, v2, 3, 4
	v_lshlrev_b64 v[20:21], v20, v[2:3]
	v_sub_u32_e32 v21, 29, v22
	v_cmp_eq_u32_e64 s[4:5], 0, v18
	v_mov_b32_e32 v0, 0x1c00
	v_and_b32_e32 v20, 7, v20
	v_cndmask_b32_e64 v18, v18, v21, s[4:5]
	v_lshlrev_b32_e32 v2, 8, v2
	v_lshl_add_u32 v18, v18, 10, v0
	v_cndmask_b32_e64 v17, v17, v20, s[4:5]
	v_and_or_b32 v2, v2, s27, v18
	v_lshl_or_b32 v2, v17, 7, v2
	v_cvt_f32_f16_e32 v33, v2
.LBB280_189:                            ;   in Loop: Header=BB280_9 Depth=1
	s_or_b64 exec, exec, s[22:23]
	v_lshrrev_b32_e32 v2, 16, v8
	v_cmp_gt_i16_sdwa s[20:21], v2, s17 src0_sel:BYTE_0 src1_sel:DWORD
	s_mov_b64 s[4:5], 0
                                        ; implicit-def: $sgpr24
	s_and_saveexec_b64 s[22:23], s[20:21]
	s_xor_b64 s[20:21], exec, s[22:23]
	s_cbranch_execnz .LBB280_423
; %bb.190:                              ;   in Loop: Header=BB280_9 Depth=1
	s_or_saveexec_b64 s[20:21], s[20:21]
	v_mov_b32_e32 v18, s24
	s_xor_b64 exec, exec, s[20:21]
	s_cbranch_execnz .LBB280_426
.LBB280_191:                            ;   in Loop: Header=BB280_9 Depth=1
	s_or_b64 exec, exec, s[20:21]
	s_and_saveexec_b64 s[20:21], s[4:5]
	s_cbranch_execz .LBB280_193
.LBB280_192:                            ;   in Loop: Header=BB280_9 Depth=1
	v_bfe_u32 v17, v8, 16, 3
	v_ffbh_u32_e32 v20, v17
	v_min_u32_e32 v22, 32, v20
	v_subrev_u32_e32 v20, 28, v22
	v_bfe_u32 v18, v8, 19, 4
	v_lshlrev_b64 v[20:21], v20, v[2:3]
	v_sub_u32_e32 v21, 29, v22
	v_cmp_eq_u32_e64 s[4:5], 0, v18
	v_mov_b32_e32 v0, 0x1c00
	v_and_b32_e32 v20, 7, v20
	v_cndmask_b32_e64 v18, v18, v21, s[4:5]
	v_lshlrev_b32_e32 v2, 8, v2
	v_lshl_add_u32 v18, v18, 10, v0
	v_cndmask_b32_e64 v17, v17, v20, s[4:5]
	v_and_or_b32 v2, v2, s27, v18
	v_lshl_or_b32 v2, v17, 7, v2
	v_cvt_f32_f16_e32 v18, v2
.LBB280_193:                            ;   in Loop: Header=BB280_9 Depth=1
	s_or_b64 exec, exec, s[20:21]
	v_lshrrev_b32_e32 v2, 24, v8
	v_cmp_lt_i16_e64 s[4:5], s17, v2
	s_mov_b64 s[20:21], 0
                                        ; implicit-def: $sgpr28
	s_and_saveexec_b64 s[22:23], s[4:5]
	s_xor_b64 s[22:23], exec, s[22:23]
	s_cbranch_execnz .LBB280_427
; %bb.194:                              ;   in Loop: Header=BB280_9 Depth=1
	s_or_saveexec_b64 s[22:23], s[22:23]
	v_mov_b32_e32 v21, s28
	s_xor_b64 exec, exec, s[22:23]
	s_cbranch_execnz .LBB280_430
.LBB280_195:                            ;   in Loop: Header=BB280_9 Depth=1
	s_or_b64 exec, exec, s[22:23]
	s_and_saveexec_b64 s[22:23], s[20:21]
	s_cbranch_execz .LBB280_197
.LBB280_196:                            ;   in Loop: Header=BB280_9 Depth=1
	v_bfe_u32 v17, v8, 24, 3
	v_ffbh_u32_e32 v20, v17
	v_min_u32_e32 v22, 32, v20
	v_subrev_u32_e32 v20, 28, v22
	v_bfe_u32 v8, v8, 27, 4
	v_lshlrev_b64 v[20:21], v20, v[2:3]
	v_sub_u32_e32 v21, 29, v22
	v_cmp_eq_u32_e64 s[4:5], 0, v8
	v_mov_b32_e32 v0, 0x1c00
	v_and_b32_e32 v20, 7, v20
	v_cndmask_b32_e64 v8, v8, v21, s[4:5]
	v_lshlrev_b32_e32 v2, 8, v2
	v_lshl_add_u32 v8, v8, 10, v0
	v_cndmask_b32_e64 v17, v17, v20, s[4:5]
	v_and_or_b32 v2, v2, s27, v8
	v_lshl_or_b32 v2, v17, 7, v2
	v_cvt_f32_f16_e32 v21, v2
.LBB280_197:                            ;   in Loop: Header=BB280_9 Depth=1
	s_or_b64 exec, exec, s[22:23]
	flat_load_dword v8, v[30:31] offset:2568
	s_mov_b64 s[4:5], 0
                                        ; implicit-def: $sgpr24
	s_waitcnt vmcnt(0) lgkmcnt(0)
	v_cmp_gt_i16_sdwa s[20:21], v8, s17 src0_sel:BYTE_0 src1_sel:DWORD
	s_and_saveexec_b64 s[22:23], s[20:21]
	s_xor_b64 s[20:21], exec, s[22:23]
	s_cbranch_execnz .LBB280_431
; %bb.198:                              ;   in Loop: Header=BB280_9 Depth=1
	s_or_saveexec_b64 s[20:21], s[20:21]
	v_mov_b32_e32 v20, s24
	s_xor_b64 exec, exec, s[20:21]
	s_cbranch_execnz .LBB280_434
.LBB280_199:                            ;   in Loop: Header=BB280_9 Depth=1
	s_or_b64 exec, exec, s[20:21]
	s_and_saveexec_b64 s[20:21], s[4:5]
	s_cbranch_execz .LBB280_201
.LBB280_200:                            ;   in Loop: Header=BB280_9 Depth=1
	v_and_b32_e32 v2, 7, v8
	v_ffbh_u32_e32 v20, v2
	v_bfe_u32 v17, v8, 3, 4
	v_min_u32_e32 v20, 32, v20
	v_subrev_u32_e32 v22, 28, v20
	v_sub_u32_e32 v20, 29, v20
	v_cmp_eq_u32_e64 s[4:5], 0, v17
	v_lshlrev_b64 v[22:23], v22, v[8:9]
	v_mov_b32_e32 v0, 0x1c00
	v_cndmask_b32_e64 v17, v17, v20, s[4:5]
	v_and_b32_e32 v22, 7, v22
	v_lshlrev_b32_e32 v20, 8, v8
	v_lshl_add_u32 v17, v17, 10, v0
	v_cndmask_b32_e64 v2, v2, v22, s[4:5]
	v_and_or_b32 v17, v20, s27, v17
	v_lshl_or_b32 v2, v2, 7, v17
	v_cvt_f32_f16_e32 v20, v2
.LBB280_201:                            ;   in Loop: Header=BB280_9 Depth=1
	s_or_b64 exec, exec, s[20:21]
	v_lshrrev_b16_e32 v2, 8, v8
	v_cmp_lt_i16_e64 s[4:5], s17, v2
	s_mov_b64 s[20:21], 0
                                        ; implicit-def: $sgpr28
	s_and_saveexec_b64 s[22:23], s[4:5]
	s_xor_b64 s[22:23], exec, s[22:23]
	s_cbranch_execnz .LBB280_435
; %bb.202:                              ;   in Loop: Header=BB280_9 Depth=1
	s_or_saveexec_b64 s[22:23], s[22:23]
	v_mov_b32_e32 v51, s28
	s_xor_b64 exec, exec, s[22:23]
	s_cbranch_execnz .LBB280_438
.LBB280_203:                            ;   in Loop: Header=BB280_9 Depth=1
	s_or_b64 exec, exec, s[22:23]
	s_and_saveexec_b64 s[22:23], s[20:21]
	s_cbranch_execz .LBB280_205
.LBB280_204:                            ;   in Loop: Header=BB280_9 Depth=1
	v_and_b32_e32 v17, 7, v2
	v_ffbh_u32_e32 v22, v17
	v_min_u32_e32 v51, 32, v22
	v_subrev_u32_e32 v22, 28, v51
	v_bfe_u32 v48, v2, 3, 4
	v_lshlrev_b64 v[22:23], v22, v[2:3]
	v_sub_u32_e32 v23, 29, v51
	v_cmp_eq_u32_e64 s[4:5], 0, v48
	v_and_b32_e32 v22, 7, v22
	v_mov_b32_e32 v0, 0x1c00
	v_cndmask_b32_e64 v23, v48, v23, s[4:5]
	v_cndmask_b32_e64 v17, v17, v22, s[4:5]
	v_lshlrev_b32_e32 v2, 8, v2
	v_lshl_add_u32 v22, v23, 10, v0
	v_and_or_b32 v2, v2, s27, v22
	v_lshl_or_b32 v2, v17, 7, v2
	v_cvt_f32_f16_e32 v51, v2
.LBB280_205:                            ;   in Loop: Header=BB280_9 Depth=1
	s_or_b64 exec, exec, s[22:23]
	v_lshrrev_b32_e32 v2, 16, v8
	v_cmp_gt_i16_sdwa s[20:21], v2, s17 src0_sel:BYTE_0 src1_sel:DWORD
	s_mov_b64 s[4:5], 0
                                        ; implicit-def: $sgpr24
	s_and_saveexec_b64 s[22:23], s[20:21]
	s_xor_b64 s[20:21], exec, s[22:23]
	s_cbranch_execnz .LBB280_439
; %bb.206:                              ;   in Loop: Header=BB280_9 Depth=1
	s_or_saveexec_b64 s[20:21], s[20:21]
	v_mov_b32_e32 v52, s24
	s_xor_b64 exec, exec, s[20:21]
	s_cbranch_execnz .LBB280_442
.LBB280_207:                            ;   in Loop: Header=BB280_9 Depth=1
	s_or_b64 exec, exec, s[20:21]
	s_and_saveexec_b64 s[20:21], s[4:5]
	s_cbranch_execz .LBB280_209
.LBB280_208:                            ;   in Loop: Header=BB280_9 Depth=1
	v_bfe_u32 v17, v8, 16, 3
	v_ffbh_u32_e32 v22, v17
	v_min_u32_e32 v52, 32, v22
	v_subrev_u32_e32 v22, 28, v52
	v_bfe_u32 v48, v8, 19, 4
	v_lshlrev_b64 v[22:23], v22, v[2:3]
	v_sub_u32_e32 v23, 29, v52
	v_cmp_eq_u32_e64 s[4:5], 0, v48
	v_and_b32_e32 v22, 7, v22
	v_mov_b32_e32 v0, 0x1c00
	v_cndmask_b32_e64 v23, v48, v23, s[4:5]
	v_cndmask_b32_e64 v17, v17, v22, s[4:5]
	v_lshlrev_b32_e32 v2, 8, v2
	v_lshl_add_u32 v22, v23, 10, v0
	v_and_or_b32 v2, v2, s27, v22
	v_lshl_or_b32 v2, v17, 7, v2
	v_cvt_f32_f16_e32 v52, v2
.LBB280_209:                            ;   in Loop: Header=BB280_9 Depth=1
	s_or_b64 exec, exec, s[20:21]
	v_lshrrev_b32_e32 v2, 24, v8
	v_cmp_lt_i16_e64 s[4:5], s17, v2
	s_mov_b64 s[20:21], 0
                                        ; implicit-def: $sgpr28
	s_and_saveexec_b64 s[22:23], s[4:5]
	s_xor_b64 s[22:23], exec, s[22:23]
	s_cbranch_execnz .LBB280_443
; %bb.210:                              ;   in Loop: Header=BB280_9 Depth=1
	s_or_saveexec_b64 s[22:23], s[22:23]
	v_mov_b32_e32 v53, s28
	s_xor_b64 exec, exec, s[22:23]
	s_cbranch_execnz .LBB280_446
.LBB280_211:                            ;   in Loop: Header=BB280_9 Depth=1
	s_or_b64 exec, exec, s[22:23]
	s_and_saveexec_b64 s[22:23], s[20:21]
	s_cbranch_execz .LBB280_213
.LBB280_212:                            ;   in Loop: Header=BB280_9 Depth=1
	v_bfe_u32 v17, v8, 24, 3
	v_ffbh_u32_e32 v22, v17
	v_min_u32_e32 v48, 32, v22
	v_subrev_u32_e32 v22, 28, v48
	v_bfe_u32 v8, v8, 27, 4
	v_lshlrev_b64 v[22:23], v22, v[2:3]
	v_sub_u32_e32 v23, 29, v48
	v_cmp_eq_u32_e64 s[4:5], 0, v8
	v_mov_b32_e32 v0, 0x1c00
	v_and_b32_e32 v22, 7, v22
	v_cndmask_b32_e64 v8, v8, v23, s[4:5]
	v_lshlrev_b32_e32 v2, 8, v2
	v_lshl_add_u32 v8, v8, 10, v0
	v_cndmask_b32_e64 v17, v17, v22, s[4:5]
	v_and_or_b32 v2, v2, s27, v8
	v_lshl_or_b32 v2, v17, 7, v2
	v_cvt_f32_f16_e32 v53, v2
.LBB280_213:                            ;   in Loop: Header=BB280_9 Depth=1
	s_or_b64 exec, exec, s[22:23]
	flat_load_dword v8, v[30:31] offset:3072
	s_mov_b64 s[4:5], 0
                                        ; implicit-def: $sgpr24
	s_waitcnt vmcnt(0) lgkmcnt(0)
	v_cmp_gt_i16_sdwa s[20:21], v8, s17 src0_sel:BYTE_0 src1_sel:DWORD
	s_and_saveexec_b64 s[22:23], s[20:21]
	s_xor_b64 s[20:21], exec, s[22:23]
	s_cbranch_execnz .LBB280_447
; %bb.214:                              ;   in Loop: Header=BB280_9 Depth=1
	s_or_saveexec_b64 s[20:21], s[20:21]
	v_mov_b32_e32 v23, s24
	s_xor_b64 exec, exec, s[20:21]
	s_cbranch_execnz .LBB280_450
.LBB280_215:                            ;   in Loop: Header=BB280_9 Depth=1
	s_or_b64 exec, exec, s[20:21]
	s_and_saveexec_b64 s[20:21], s[4:5]
	s_cbranch_execz .LBB280_217
.LBB280_216:                            ;   in Loop: Header=BB280_9 Depth=1
	v_and_b32_e32 v2, 7, v8
	v_ffbh_u32_e32 v22, v2
	v_min_u32_e32 v48, 32, v22
	v_subrev_u32_e32 v22, 28, v48
	v_bfe_u32 v17, v8, 3, 4
	v_lshlrev_b64 v[22:23], v22, v[8:9]
	v_sub_u32_e32 v23, 29, v48
	v_cmp_eq_u32_e64 s[4:5], 0, v17
	v_and_b32_e32 v22, 7, v22
	v_mov_b32_e32 v0, 0x1c00
	v_cndmask_b32_e64 v17, v17, v23, s[4:5]
	v_cndmask_b32_e64 v2, v2, v22, s[4:5]
	v_lshlrev_b32_e32 v22, 8, v8
	v_lshl_add_u32 v17, v17, 10, v0
	v_and_or_b32 v17, v22, s27, v17
	v_lshl_or_b32 v2, v2, 7, v17
	v_cvt_f32_f16_e32 v23, v2
.LBB280_217:                            ;   in Loop: Header=BB280_9 Depth=1
	s_or_b64 exec, exec, s[20:21]
	v_lshrrev_b16_e32 v2, 8, v8
	v_cmp_lt_i16_e64 s[4:5], s17, v2
	s_mov_b64 s[20:21], 0
                                        ; implicit-def: $sgpr28
	s_and_saveexec_b64 s[22:23], s[4:5]
	s_xor_b64 s[22:23], exec, s[22:23]
	s_cbranch_execnz .LBB280_451
; %bb.218:                              ;   in Loop: Header=BB280_9 Depth=1
	s_or_saveexec_b64 s[22:23], s[22:23]
	v_mov_b32_e32 v22, s28
	s_xor_b64 exec, exec, s[22:23]
	s_cbranch_execnz .LBB280_454
.LBB280_219:                            ;   in Loop: Header=BB280_9 Depth=1
	s_or_b64 exec, exec, s[22:23]
	s_and_saveexec_b64 s[22:23], s[20:21]
	s_cbranch_execz .LBB280_221
.LBB280_220:                            ;   in Loop: Header=BB280_9 Depth=1
	v_and_b32_e32 v17, 7, v2
	v_ffbh_u32_e32 v48, v17
	v_bfe_u32 v22, v2, 3, 4
	v_min_u32_e32 v48, 32, v48
	v_subrev_u32_e32 v54, 28, v48
	v_sub_u32_e32 v48, 29, v48
	v_cmp_eq_u32_e64 s[4:5], 0, v22
	v_lshlrev_b64 v[54:55], v54, v[2:3]
	v_mov_b32_e32 v0, 0x1c00
	v_cndmask_b32_e64 v22, v22, v48, s[4:5]
	v_and_b32_e32 v54, 7, v54
	v_lshlrev_b32_e32 v2, 8, v2
	v_lshl_add_u32 v22, v22, 10, v0
	v_cndmask_b32_e64 v17, v17, v54, s[4:5]
	v_and_or_b32 v2, v2, s27, v22
	v_lshl_or_b32 v2, v17, 7, v2
	v_cvt_f32_f16_e32 v22, v2
.LBB280_221:                            ;   in Loop: Header=BB280_9 Depth=1
	s_or_b64 exec, exec, s[22:23]
	v_lshrrev_b32_e32 v2, 16, v8
	v_cmp_gt_i16_sdwa s[20:21], v2, s17 src0_sel:BYTE_0 src1_sel:DWORD
	s_mov_b64 s[4:5], 0
                                        ; implicit-def: $sgpr24
	s_and_saveexec_b64 s[22:23], s[20:21]
	s_xor_b64 s[20:21], exec, s[22:23]
	s_cbranch_execnz .LBB280_455
; %bb.222:                              ;   in Loop: Header=BB280_9 Depth=1
	s_or_saveexec_b64 s[20:21], s[20:21]
	v_mov_b32_e32 v54, s24
	s_xor_b64 exec, exec, s[20:21]
	s_cbranch_execnz .LBB280_458
.LBB280_223:                            ;   in Loop: Header=BB280_9 Depth=1
	s_or_b64 exec, exec, s[20:21]
	s_and_saveexec_b64 s[20:21], s[4:5]
	s_cbranch_execz .LBB280_225
.LBB280_224:                            ;   in Loop: Header=BB280_9 Depth=1
	v_bfe_u32 v17, v8, 16, 3
	v_ffbh_u32_e32 v54, v17
	v_min_u32_e32 v40, 32, v54
	v_subrev_u32_e32 v54, 28, v40
	v_bfe_u32 v48, v8, 19, 4
	v_lshlrev_b64 v[54:55], v54, v[2:3]
	v_sub_u32_e32 v55, 29, v40
	v_cmp_eq_u32_e64 s[4:5], 0, v48
	v_mov_b32_e32 v0, 0x1c00
	v_and_b32_e32 v54, 7, v54
	v_cndmask_b32_e64 v48, v48, v55, s[4:5]
	v_lshlrev_b32_e32 v2, 8, v2
	v_lshl_add_u32 v48, v48, 10, v0
	v_cndmask_b32_e64 v17, v17, v54, s[4:5]
	v_and_or_b32 v2, v2, s27, v48
	v_lshl_or_b32 v2, v17, 7, v2
	v_cvt_f32_f16_e32 v54, v2
.LBB280_225:                            ;   in Loop: Header=BB280_9 Depth=1
	s_or_b64 exec, exec, s[20:21]
	v_lshrrev_b32_e32 v2, 24, v8
	v_cmp_lt_i16_e64 s[4:5], s17, v2
	s_mov_b64 s[20:21], 0
                                        ; implicit-def: $sgpr28
	s_and_saveexec_b64 s[22:23], s[4:5]
	s_xor_b64 s[22:23], exec, s[22:23]
	s_cbranch_execnz .LBB280_459
; %bb.226:                              ;   in Loop: Header=BB280_9 Depth=1
	s_or_saveexec_b64 s[22:23], s[22:23]
	v_mov_b32_e32 v55, s28
	s_xor_b64 exec, exec, s[22:23]
	s_cbranch_execnz .LBB280_462
.LBB280_227:                            ;   in Loop: Header=BB280_9 Depth=1
	s_or_b64 exec, exec, s[22:23]
	s_and_saveexec_b64 s[22:23], s[20:21]
	s_cbranch_execz .LBB280_229
.LBB280_228:                            ;   in Loop: Header=BB280_9 Depth=1
	v_bfe_u32 v17, v8, 24, 3
	v_ffbh_u32_e32 v48, v17
	v_bfe_u32 v8, v8, 27, 4
	v_min_u32_e32 v48, 32, v48
	v_subrev_u32_e32 v55, 28, v48
	v_sub_u32_e32 v48, 29, v48
	v_cmp_eq_u32_e64 s[4:5], 0, v8
	v_lshlrev_b64 v[40:41], v55, v[2:3]
	v_mov_b32_e32 v0, 0x1c00
	v_cndmask_b32_e64 v8, v8, v48, s[4:5]
	v_and_b32_e32 v55, 7, v40
	v_lshlrev_b32_e32 v2, 8, v2
	v_lshl_add_u32 v8, v8, 10, v0
	v_cndmask_b32_e64 v17, v17, v55, s[4:5]
	v_and_or_b32 v2, v2, s27, v8
	v_lshl_or_b32 v2, v17, 7, v2
	v_cvt_f32_f16_e32 v55, v2
.LBB280_229:                            ;   in Loop: Header=BB280_9 Depth=1
	s_or_b64 exec, exec, s[22:23]
	flat_load_dword v8, v[30:31] offset:3080
	s_mov_b64 s[4:5], 0
                                        ; implicit-def: $sgpr24
	s_waitcnt vmcnt(0) lgkmcnt(0)
	v_cmp_gt_i16_sdwa s[20:21], v8, s17 src0_sel:BYTE_0 src1_sel:DWORD
	s_and_saveexec_b64 s[22:23], s[20:21]
	s_xor_b64 s[20:21], exec, s[22:23]
	s_cbranch_execnz .LBB280_463
; %bb.230:                              ;   in Loop: Header=BB280_9 Depth=1
	s_or_saveexec_b64 s[20:21], s[20:21]
	v_mov_b32_e32 v40, s24
	s_xor_b64 exec, exec, s[20:21]
	s_cbranch_execnz .LBB280_466
.LBB280_231:                            ;   in Loop: Header=BB280_9 Depth=1
	s_or_b64 exec, exec, s[20:21]
	s_and_saveexec_b64 s[20:21], s[4:5]
	s_cbranch_execz .LBB280_233
.LBB280_232:                            ;   in Loop: Header=BB280_9 Depth=1
	v_and_b32_e32 v2, 7, v8
	v_ffbh_u32_e32 v48, v2
	v_bfe_u32 v17, v8, 3, 4
	v_min_u32_e32 v48, 32, v48
	v_subrev_u32_e32 v40, 28, v48
	v_sub_u32_e32 v48, 29, v48
	v_cmp_eq_u32_e64 s[4:5], 0, v17
	v_lshlrev_b64 v[40:41], v40, v[8:9]
	v_mov_b32_e32 v0, 0x1c00
	v_cndmask_b32_e64 v17, v17, v48, s[4:5]
	v_and_b32_e32 v40, 7, v40
	v_lshlrev_b32_e32 v48, 8, v8
	v_lshl_add_u32 v17, v17, 10, v0
	v_cndmask_b32_e64 v2, v2, v40, s[4:5]
	v_and_or_b32 v17, v48, s27, v17
	v_lshl_or_b32 v2, v2, 7, v17
	v_cvt_f32_f16_e32 v40, v2
.LBB280_233:                            ;   in Loop: Header=BB280_9 Depth=1
	s_or_b64 exec, exec, s[20:21]
	v_lshrrev_b16_e32 v2, 8, v8
	v_cmp_lt_i16_e64 s[4:5], s17, v2
	s_mov_b64 s[20:21], 0
                                        ; implicit-def: $sgpr28
	s_and_saveexec_b64 s[22:23], s[4:5]
	s_xor_b64 s[22:23], exec, s[22:23]
	s_cbranch_execnz .LBB280_467
; %bb.234:                              ;   in Loop: Header=BB280_9 Depth=1
	s_or_saveexec_b64 s[22:23], s[22:23]
	v_mov_b32_e32 v41, s28
	s_xor_b64 exec, exec, s[22:23]
	s_cbranch_execnz .LBB280_470
.LBB280_235:                            ;   in Loop: Header=BB280_9 Depth=1
	s_or_b64 exec, exec, s[22:23]
	s_and_saveexec_b64 s[22:23], s[20:21]
	s_cbranch_execz .LBB280_237
.LBB280_236:                            ;   in Loop: Header=BB280_9 Depth=1
	v_and_b32_e32 v17, 7, v2
	v_ffbh_u32_e32 v41, v17
	v_bfe_u32 v48, v2, 3, 4
	v_min_u32_e32 v41, 32, v41
	v_subrev_u32_e32 v42, 28, v41
	v_sub_u32_e32 v41, 29, v41
	v_cmp_eq_u32_e64 s[4:5], 0, v48
	v_lshlrev_b64 v[42:43], v42, v[2:3]
	v_mov_b32_e32 v0, 0x1c00
	v_cndmask_b32_e64 v48, v48, v41, s[4:5]
	v_and_b32_e32 v42, 7, v42
	v_lshlrev_b32_e32 v2, 8, v2
	v_lshl_add_u32 v48, v48, 10, v0
	v_cndmask_b32_e64 v17, v17, v42, s[4:5]
	v_and_or_b32 v2, v2, s27, v48
	v_lshl_or_b32 v2, v17, 7, v2
	v_cvt_f32_f16_e32 v41, v2
.LBB280_237:                            ;   in Loop: Header=BB280_9 Depth=1
	s_or_b64 exec, exec, s[22:23]
	v_lshrrev_b32_e32 v2, 16, v8
	v_cmp_gt_i16_sdwa s[20:21], v2, s17 src0_sel:BYTE_0 src1_sel:DWORD
	s_mov_b64 s[4:5], 0
                                        ; implicit-def: $sgpr24
	s_and_saveexec_b64 s[22:23], s[20:21]
	s_xor_b64 s[20:21], exec, s[22:23]
	s_cbranch_execnz .LBB280_471
; %bb.238:                              ;   in Loop: Header=BB280_9 Depth=1
	s_or_saveexec_b64 s[20:21], s[20:21]
	v_mov_b32_e32 v42, s24
	s_xor_b64 exec, exec, s[20:21]
	s_cbranch_execnz .LBB280_474
.LBB280_239:                            ;   in Loop: Header=BB280_9 Depth=1
	s_or_b64 exec, exec, s[20:21]
	s_and_saveexec_b64 s[20:21], s[4:5]
	s_cbranch_execz .LBB280_241
.LBB280_240:                            ;   in Loop: Header=BB280_9 Depth=1
	v_bfe_u32 v17, v8, 16, 3
	v_ffbh_u32_e32 v42, v17
	v_min_u32_e32 v44, 32, v42
	v_subrev_u32_e32 v42, 28, v44
	v_bfe_u32 v48, v8, 19, 4
	v_lshlrev_b64 v[42:43], v42, v[2:3]
	v_sub_u32_e32 v43, 29, v44
	v_cmp_eq_u32_e64 s[4:5], 0, v48
	v_mov_b32_e32 v0, 0x1c00
	v_and_b32_e32 v42, 7, v42
	v_cndmask_b32_e64 v48, v48, v43, s[4:5]
	v_lshlrev_b32_e32 v2, 8, v2
	v_lshl_add_u32 v48, v48, 10, v0
	v_cndmask_b32_e64 v17, v17, v42, s[4:5]
	v_and_or_b32 v2, v2, s27, v48
	v_lshl_or_b32 v2, v17, 7, v2
	v_cvt_f32_f16_e32 v42, v2
.LBB280_241:                            ;   in Loop: Header=BB280_9 Depth=1
	s_or_b64 exec, exec, s[20:21]
	v_lshrrev_b32_e32 v2, 24, v8
	v_cmp_lt_i16_e64 s[4:5], s17, v2
	s_mov_b64 s[20:21], 0
                                        ; implicit-def: $sgpr28
	s_and_saveexec_b64 s[22:23], s[4:5]
	s_xor_b64 s[22:23], exec, s[22:23]
	s_cbranch_execnz .LBB280_475
; %bb.242:                              ;   in Loop: Header=BB280_9 Depth=1
	s_or_saveexec_b64 s[22:23], s[22:23]
	v_mov_b32_e32 v17, s28
	s_xor_b64 exec, exec, s[22:23]
	s_cbranch_execnz .LBB280_478
.LBB280_243:                            ;   in Loop: Header=BB280_9 Depth=1
	s_or_b64 exec, exec, s[22:23]
	s_and_saveexec_b64 s[22:23], s[20:21]
	s_cbranch_execz .LBB280_245
.LBB280_244:                            ;   in Loop: Header=BB280_9 Depth=1
	v_bfe_u32 v17, v8, 24, 3
	v_ffbh_u32_e32 v48, v17
	v_bfe_u32 v8, v8, 27, 4
	v_min_u32_e32 v48, 32, v48
	v_subrev_u32_e32 v43, 28, v48
	v_sub_u32_e32 v48, 29, v48
	v_cmp_eq_u32_e64 s[4:5], 0, v8
	v_lshlrev_b64 v[44:45], v43, v[2:3]
	v_mov_b32_e32 v0, 0x1c00
	v_cndmask_b32_e64 v8, v8, v48, s[4:5]
	v_and_b32_e32 v43, 7, v44
	v_lshlrev_b32_e32 v2, 8, v2
	v_lshl_add_u32 v8, v8, 10, v0
	v_cndmask_b32_e64 v17, v17, v43, s[4:5]
	v_and_or_b32 v2, v2, s27, v8
	v_lshl_or_b32 v2, v17, 7, v2
	v_cvt_f32_f16_e32 v17, v2
.LBB280_245:                            ;   in Loop: Header=BB280_9 Depth=1
	s_or_b64 exec, exec, s[22:23]
	flat_load_dword v8, v[30:31] offset:3584
	s_mov_b64 s[4:5], 0
                                        ; implicit-def: $sgpr24
	s_waitcnt vmcnt(0) lgkmcnt(0)
	v_cmp_gt_i16_sdwa s[20:21], v8, s17 src0_sel:BYTE_0 src1_sel:DWORD
	s_and_saveexec_b64 s[22:23], s[20:21]
	s_xor_b64 s[20:21], exec, s[22:23]
	s_cbranch_execnz .LBB280_479
; %bb.246:                              ;   in Loop: Header=BB280_9 Depth=1
	s_or_saveexec_b64 s[20:21], s[20:21]
	v_mov_b32_e32 v43, s24
	s_xor_b64 exec, exec, s[20:21]
	s_cbranch_execnz .LBB280_482
.LBB280_247:                            ;   in Loop: Header=BB280_9 Depth=1
	s_or_b64 exec, exec, s[20:21]
	s_and_saveexec_b64 s[20:21], s[4:5]
	s_cbranch_execz .LBB280_249
.LBB280_248:                            ;   in Loop: Header=BB280_9 Depth=1
	v_and_b32_e32 v2, 7, v8
	v_ffbh_u32_e32 v30, v2
	v_min_u32_e32 v43, 32, v30
	v_subrev_u32_e32 v30, 28, v43
	v_bfe_u32 v48, v8, 3, 4
	v_lshlrev_b64 v[30:31], v30, v[8:9]
	v_sub_u32_e32 v31, 29, v43
	v_cmp_eq_u32_e64 s[4:5], 0, v48
	v_and_b32_e32 v30, 7, v30
	v_mov_b32_e32 v0, 0x1c00
	v_cndmask_b32_e64 v31, v48, v31, s[4:5]
	v_cndmask_b32_e64 v2, v2, v30, s[4:5]
	v_lshlrev_b32_e32 v30, 8, v8
	v_lshl_add_u32 v31, v31, 10, v0
	v_and_or_b32 v30, v30, s27, v31
	v_lshl_or_b32 v2, v2, 7, v30
	v_cvt_f32_f16_e32 v43, v2
.LBB280_249:                            ;   in Loop: Header=BB280_9 Depth=1
	s_or_b64 exec, exec, s[20:21]
	v_lshrrev_b16_e32 v2, 8, v8
	v_cmp_lt_i16_e64 s[4:5], s17, v2
	s_mov_b64 s[20:21], 0
                                        ; implicit-def: $sgpr28
	s_and_saveexec_b64 s[22:23], s[4:5]
	s_xor_b64 s[22:23], exec, s[22:23]
	s_cbranch_execnz .LBB280_483
; %bb.250:                              ;   in Loop: Header=BB280_9 Depth=1
	s_or_saveexec_b64 s[22:23], s[22:23]
	v_mov_b32_e32 v45, s28
	s_xor_b64 exec, exec, s[22:23]
	s_cbranch_execnz .LBB280_486
.LBB280_251:                            ;   in Loop: Header=BB280_9 Depth=1
	s_or_b64 exec, exec, s[22:23]
	s_and_saveexec_b64 s[22:23], s[20:21]
	s_cbranch_execz .LBB280_253
.LBB280_252:                            ;   in Loop: Header=BB280_9 Depth=1
	v_and_b32_e32 v48, 7, v2
	v_ffbh_u32_e32 v30, v48
	v_min_u32_e32 v45, 32, v30
	v_subrev_u32_e32 v30, 28, v45
	v_bfe_u32 v44, v2, 3, 4
	v_lshlrev_b64 v[30:31], v30, v[2:3]
	v_sub_u32_e32 v31, 29, v45
	v_cmp_eq_u32_e64 s[4:5], 0, v44
	v_mov_b32_e32 v0, 0x1c00
	v_and_b32_e32 v30, 7, v30
	v_cndmask_b32_e64 v31, v44, v31, s[4:5]
	v_lshlrev_b32_e32 v2, 8, v2
	v_lshl_add_u32 v31, v31, 10, v0
	v_cndmask_b32_e64 v30, v48, v30, s[4:5]
	v_and_or_b32 v2, v2, s27, v31
	v_lshl_or_b32 v2, v30, 7, v2
	v_cvt_f32_f16_e32 v45, v2
.LBB280_253:                            ;   in Loop: Header=BB280_9 Depth=1
	s_or_b64 exec, exec, s[22:23]
	v_lshrrev_b32_e32 v2, 16, v8
	v_cmp_gt_i16_sdwa s[20:21], v2, s17 src0_sel:BYTE_0 src1_sel:DWORD
	s_mov_b64 s[4:5], 0
                                        ; implicit-def: $sgpr24
	s_and_saveexec_b64 s[22:23], s[20:21]
	s_xor_b64 s[20:21], exec, s[22:23]
	s_cbranch_execnz .LBB280_487
; %bb.254:                              ;   in Loop: Header=BB280_9 Depth=1
	s_or_saveexec_b64 s[20:21], s[20:21]
	v_mov_b32_e32 v47, s24
	s_xor_b64 exec, exec, s[20:21]
	s_cbranch_execnz .LBB280_490
.LBB280_255:                            ;   in Loop: Header=BB280_9 Depth=1
	s_or_b64 exec, exec, s[20:21]
	s_and_saveexec_b64 s[20:21], s[4:5]
	s_cbranch_execz .LBB280_257
.LBB280_256:                            ;   in Loop: Header=BB280_9 Depth=1
	v_bfe_u32 v48, v8, 16, 3
	v_ffbh_u32_e32 v30, v48
	v_mov_b32_e32 v0, v46
	v_min_u32_e32 v46, 32, v30
	v_subrev_u32_e32 v30, 28, v46
	v_bfe_u32 v44, v8, 19, 4
	v_lshlrev_b64 v[30:31], v30, v[2:3]
	v_sub_u32_e32 v31, 29, v46
	v_cmp_eq_u32_e64 s[4:5], 0, v44
	v_mov_b32_e32 v46, v0
	v_mov_b32_e32 v0, 0x1c00
	v_cndmask_b32_e64 v31, v44, v31, s[4:5]
	v_and_b32_e32 v30, 7, v30
	v_lshlrev_b32_e32 v2, 8, v2
	v_lshl_add_u32 v31, v31, 10, v0
	v_cndmask_b32_e64 v30, v48, v30, s[4:5]
	v_and_or_b32 v2, v2, s27, v31
	v_lshl_or_b32 v2, v30, 7, v2
	v_cvt_f32_f16_e32 v47, v2
.LBB280_257:                            ;   in Loop: Header=BB280_9 Depth=1
	s_or_b64 exec, exec, s[20:21]
	v_lshrrev_b32_e32 v2, 24, v8
	v_cmp_lt_i16_e64 s[4:5], s17, v2
	s_mov_b64 s[20:21], 0
                                        ; implicit-def: $sgpr28
	s_and_saveexec_b64 s[22:23], s[4:5]
	s_xor_b64 s[22:23], exec, s[22:23]
	s_cbranch_execz .LBB280_261
; %bb.258:                              ;   in Loop: Header=BB280_9 Depth=1
	v_cmp_eq_u16_e64 s[4:5], s26, v2
	s_mov_b64 s[20:21], -1
                                        ; implicit-def: $sgpr28
	s_and_saveexec_b64 s[24:25], s[4:5]
; %bb.259:                              ;   in Loop: Header=BB280_9 Depth=1
	s_mov_b32 s28, 0x7fc02000
	s_xor_b64 s[20:21], exec, -1
; %bb.260:                              ;   in Loop: Header=BB280_9 Depth=1
	s_or_b64 exec, exec, s[24:25]
	s_and_b64 s[20:21], s[20:21], exec
.LBB280_261:                            ;   in Loop: Header=BB280_9 Depth=1
	s_or_saveexec_b64 s[22:23], s[22:23]
	v_mov_b32_e32 v57, s28
	s_xor_b64 exec, exec, s[22:23]
; %bb.262:                              ;   in Loop: Header=BB280_9 Depth=1
	v_cmp_ne_u16_e64 s[4:5], 0, v2
	s_andn2_b64 s[20:21], s[20:21], exec
	s_and_b64 s[4:5], s[4:5], exec
	v_mov_b32_e32 v57, 0
	s_or_b64 s[20:21], s[20:21], s[4:5]
; %bb.263:                              ;   in Loop: Header=BB280_9 Depth=1
	s_or_b64 exec, exec, s[22:23]
	v_accvgpr_write_b32 a40, v61
	v_accvgpr_write_b32 a39, v60
	;; [unrolled: 1-line block ×5, first 2 shown]
	s_and_saveexec_b64 s[22:23], s[20:21]
	s_cbranch_execz .LBB280_265
; %bb.264:                              ;   in Loop: Header=BB280_9 Depth=1
	v_bfe_u32 v48, v8, 24, 3
	v_ffbh_u32_e32 v30, v48
	v_min_u32_e32 v44, 32, v30
	v_subrev_u32_e32 v30, 28, v44
	v_bfe_u32 v8, v8, 27, 4
	v_lshlrev_b64 v[30:31], v30, v[2:3]
	v_sub_u32_e32 v31, 29, v44
	v_cmp_eq_u32_e64 s[4:5], 0, v8
	v_mov_b32_e32 v0, 0x1c00
	v_and_b32_e32 v30, 7, v30
	v_cndmask_b32_e64 v8, v8, v31, s[4:5]
	v_lshlrev_b32_e32 v2, 8, v2
	v_lshl_add_u32 v8, v8, 10, v0
	v_cndmask_b32_e64 v30, v48, v30, s[4:5]
	v_and_or_b32 v2, v2, s27, v8
	v_lshl_or_b32 v2, v30, 7, v2
	v_cvt_f32_f16_e32 v57, v2
.LBB280_265:                            ;   in Loop: Header=BB280_9 Depth=1
	s_or_b64 exec, exec, s[22:23]
	v_fma_mixlo_f16 v48, v50, v36, 0
	scratch_load_dword v36, off, s32 offset:100 ; 4-byte Folded Reload
	v_accvgpr_read_b32 v0, a23
	ds_read_b64 v[30:31], v0
	v_fma_mixlo_f16 v46, v50, v46, 0
	v_and_b32_e32 v48, 0xffff, v48
	v_fma_mixlo_f16 v41, v50, v41, 0
	v_fma_mixlo_f16 v40, v50, v40, 0
	s_waitcnt lgkmcnt(0)
	v_lshrrev_b32_e32 v2, 16, v30
	v_and_b32_e32 v8, 0xffff, v30
	v_lshrrev_b32_e32 v30, 16, v31
	v_and_b32_e32 v31, 0xffff, v31
	v_fma_mixlo_f16 v17, v50, v17, 0
	v_fma_mixlo_f16 v33, v50, v33, 0
	;; [unrolled: 1-line block ×6, first 2 shown]
	v_and_b32_e32 v7, 0xffff, v7
	s_waitcnt vmcnt(0)
	v_fma_mixlo_f16 v44, v50, v36, 0
	scratch_load_dword v36, off, s32 offset:104 ; 4-byte Folded Reload
	s_waitcnt vmcnt(0)
	v_fma_mixlo_f16 v56, v50, v36, 0
	scratch_load_dword v36, off, s32 offset:108 ; 4-byte Folded Reload
	;;#ASMSTART
	v_cvt_f32_f16 v8, v8;
	;;#ASMEND
	;;#ASMSTART
	v_cvt_f32_f16 v59, v2;
	;;#ASMEND
	v_and_b32_e32 v2, 0xffff, v46
	;;#ASMSTART
	v_cvt_f32_f16 v46, v2;
	;;#ASMEND
	v_and_b32_e32 v2, 0xffff, v44
	;; [unrolled: 4-line block ×3, first 2 shown]
	;;#ASMSTART
	v_cvt_f32_f16 v60, v31;
	;;#ASMEND
	;;#ASMSTART
	v_cvt_f32_f16 v61, v30;
	;;#ASMEND
	;; [unrolled: 3-line block ×3, first 2 shown]
	s_waitcnt vmcnt(0)
	v_fma_mixlo_f16 v58, v50, v36, 0
	v_and_b32_e32 v2, 0xffff, v58
	;;#ASMSTART
	v_cvt_f32_f16 v58, v2;
	;;#ASMEND
	ds_read_b64 v[30:31], v0 offset:8
	s_waitcnt lgkmcnt(0)
	v_and_b32_e32 v2, 0xffff, v30
	;;#ASMSTART
	v_cvt_f32_f16 v2, v2;
	;;#ASMEND
	v_lshrrev_b32_e32 v30, 16, v30
	;;#ASMSTART
	v_cvt_f32_f16 v30, v30;
	;;#ASMEND
	;;#ASMSTART
	v_cvt_f32_f16 v48, v48;
	;;#ASMEND
	s_nop 0
	v_mul_f32_e32 v2, v2, v48
	v_fmac_f32_e32 v2, v8, v46
	v_fma_mixlo_f16 v8, v50, v19, 0
	v_and_b32_e32 v8, 0xffff, v8
	;;#ASMSTART
	v_cvt_f32_f16 v8, v8;
	;;#ASMEND
	v_fma_mixlo_f16 v48, v50, v49, 0
	v_mul_f32_e32 v8, v30, v8
	v_lshrrev_b32_e32 v30, 16, v31
	v_and_b32_e32 v31, 0xffff, v31
	v_and_b32_e32 v48, 0xffff, v48
	;;#ASMSTART
	v_cvt_f32_f16 v31, v31;
	;;#ASMEND
	;;#ASMSTART
	v_cvt_f32_f16 v30, v30;
	;;#ASMEND
	;; [unrolled: 3-line block ×3, first 2 shown]
	v_fmac_f32_e32 v8, v59, v44
	v_mul_f32_e32 v48, v31, v48
	v_fma_mixlo_f16 v31, v50, v62, 0
	v_and_b32_e32 v31, 0xffff, v31
	;;#ASMSTART
	v_cvt_f32_f16 v31, v31;
	;;#ASMEND
	v_fma_mixlo_f16 v59, v50, v1, 0
	v_mul_f32_e32 v44, v30, v31
	ds_read_b64 v[30:31], v0 offset:16
	v_accvgpr_read_b32 v1, a41
	v_fma_mixlo_f16 v36, v50, v1, 0
	v_accvgpr_read_b32 v1, a39
	v_fmac_f32_e32 v44, v61, v58
	v_fma_mixlo_f16 v61, v50, v12, 0
	v_fma_mixlo_f16 v12, v50, v29, 0
	;; [unrolled: 1-line block ×3, first 2 shown]
	v_accvgpr_read_b32 v1, a38
	v_fma_mixlo_f16 v62, v50, v28, 0
	v_fma_mixlo_f16 v28, v50, v35, 0
	;; [unrolled: 1-line block ×3, first 2 shown]
	v_accvgpr_read_b32 v1, a40
	v_accvgpr_read_b32 v19, a34
	v_fma_mixlo_f16 v49, v50, v1, 0
	v_accvgpr_read_b32 v1, a35
	v_fmac_f32_e32 v48, v60, v56
	v_fma_mixlo_f16 v46, v50, v19, 0
	s_waitcnt lgkmcnt(0)
	v_and_b32_e32 v56, 0xffff, v30
	v_lshrrev_b32_e32 v30, 16, v30
	v_fma_mixlo_f16 v58, v50, v11, 0
	v_fma_mixlo_f16 v11, v50, v13, 0
	;; [unrolled: 1-line block ×7, first 2 shown]
	;;#ASMSTART
	v_cvt_f32_f16 v56, v56;
	;;#ASMEND
	;;#ASMSTART
	v_cvt_f32_f16 v60, v30;
	;;#ASMEND
	v_and_b32_e32 v30, 0xffff, v46
	v_and_b32_e32 v26, 0xffff, v26
	;;#ASMSTART
	v_cvt_f32_f16 v30, v30;
	;;#ASMEND
	v_accvgpr_read_b32 v1, a36
	;;#ASMSTART
	v_cvt_f32_f16 v26, v26;
	;;#ASMEND
	v_fmac_f32_e32 v2, v56, v30
	v_fma_mixlo_f16 v56, v50, v9, 0
	v_fma_mixlo_f16 v9, v50, v24, 0
	;; [unrolled: 1-line block ×7, first 2 shown]
	v_accvgpr_read_b32 v1, a37
	v_fmac_f32_e32 v8, v60, v26
	v_lshrrev_b32_e32 v26, 16, v31
	v_and_b32_e32 v31, 0xffff, v31
	v_fma_mixlo_f16 v30, v50, v42, 0
	v_fma_mixlo_f16 v42, v50, v22, 0
	;; [unrolled: 1-line block ×20, first 2 shown]
	;;#ASMSTART
	v_cvt_f32_f16 v31, v31;
	;;#ASMEND
	;;#ASMSTART
	v_cvt_f32_f16 v50, v26;
	;;#ASMEND
	v_and_b32_e32 v26, 0xffff, v27
	;;#ASMSTART
	v_cvt_f32_f16 v43, v26;
	;;#ASMEND
	v_and_b32_e32 v26, 0xffff, v37
	;;#ASMSTART
	v_cvt_f32_f16 v37, v26;
	;;#ASMEND
	ds_read_b64 v[26:27], v0 offset:24
	v_fmac_f32_e32 v48, v31, v43
	v_fmac_f32_e32 v44, v50, v37
	v_and_b32_e32 v19, 0xffff, v19
	v_and_b32_e32 v12, 0xffff, v12
	s_waitcnt lgkmcnt(0)
	v_lshrrev_b32_e32 v31, 16, v26
	v_and_b32_e32 v26, 0xffff, v26
	;;#ASMSTART
	v_cvt_f32_f16 v37, v26;
	;;#ASMEND
	v_and_b32_e32 v26, 0xffff, v35
	;;#ASMSTART
	v_cvt_f32_f16 v31, v31;
	;;#ASMEND
	;;#ASMSTART
	v_cvt_f32_f16 v35, v26;
	;;#ASMEND
	v_and_b32_e32 v26, 0xffff, v29
	;;#ASMSTART
	v_cvt_f32_f16 v29, v26;
	;;#ASMEND
	v_lshrrev_b32_e32 v26, 16, v27
	v_and_b32_e32 v27, 0xffff, v27
	;;#ASMSTART
	v_cvt_f32_f16 v50, v27;
	;;#ASMEND
	;;#ASMSTART
	v_cvt_f32_f16 v43, v26;
	;;#ASMEND
	v_and_b32_e32 v26, 0xffff, v49
	;;#ASMSTART
	v_cvt_f32_f16 v49, v26;
	;;#ASMEND
	;;#ASMSTART
	v_cvt_f32_f16 v19, v19;
	;;#ASMEND
	ds_read_b64 v[26:27], v0 offset:32
	v_fmac_f32_e32 v44, v43, v19
	v_fmac_f32_e32 v8, v31, v29
	;; [unrolled: 1-line block ×4, first 2 shown]
	s_waitcnt lgkmcnt(0)
	v_lshrrev_b32_e32 v19, 16, v26
	v_and_b32_e32 v26, 0xffff, v26
	;;#ASMSTART
	v_cvt_f32_f16 v29, v26;
	;;#ASMEND
	v_and_b32_e32 v26, 0xffff, v36
	;;#ASMSTART
	v_cvt_f32_f16 v19, v19;
	;;#ASMEND
	;;#ASMSTART
	v_cvt_f32_f16 v31, v26;
	;;#ASMEND
	v_and_b32_e32 v26, 0xffff, v62
	;;#ASMSTART
	v_cvt_f32_f16 v35, v26;
	;;#ASMEND
	v_lshrrev_b32_e32 v26, 16, v27
	v_and_b32_e32 v27, 0xffff, v27
	;;#ASMSTART
	v_cvt_f32_f16 v36, v27;
	;;#ASMEND
	;;#ASMSTART
	v_cvt_f32_f16 v37, v26;
	;;#ASMEND
	v_and_b32_e32 v26, 0xffff, v28
	;;#ASMSTART
	v_cvt_f32_f16 v12, v12;
	;;#ASMEND
	;;#ASMSTART
	v_cvt_f32_f16 v28, v26;
	;;#ASMEND
	ds_read_b64 v[26:27], v0 offset:40
	v_fmac_f32_e32 v8, v19, v35
	v_fmac_f32_e32 v48, v36, v12
	v_fmac_f32_e32 v44, v37, v28
	v_and_b32_e32 v14, 0xffff, v14
	s_waitcnt lgkmcnt(0)
	v_lshrrev_b32_e32 v12, 16, v26
	v_and_b32_e32 v19, 0xffff, v26
	v_and_b32_e32 v26, 0xffff, v32
	;;#ASMSTART
	v_cvt_f32_f16 v19, v19;
	;;#ASMEND
	;;#ASMSTART
	v_cvt_f32_f16 v12, v12;
	;;#ASMEND
	;; [unrolled: 3-line block ×3, first 2 shown]
	v_lshrrev_b32_e32 v26, 16, v27
	v_fmac_f32_e32 v2, v29, v31
	;;#ASMSTART
	v_cvt_f32_f16 v14, v14;
	;;#ASMEND
	v_and_b32_e32 v27, 0xffff, v27
	;;#ASMSTART
	v_cvt_f32_f16 v29, v27;
	;;#ASMEND
	;;#ASMSTART
	v_cvt_f32_f16 v31, v26;
	;;#ASMEND
	v_and_b32_e32 v26, 0xffff, v38
	;;#ASMSTART
	v_cvt_f32_f16 v32, v26;
	;;#ASMEND
	v_and_b32_e32 v26, 0xffff, v61
	;;#ASMSTART
	v_cvt_f32_f16 v35, v26;
	;;#ASMEND
	ds_read_b64 v[26:27], v0 offset:48
	v_fmac_f32_e32 v2, v19, v28
	v_fmac_f32_e32 v8, v12, v14
	v_and_b32_e32 v19, 0xffff, v59
	v_and_b32_e32 v16, 0xffff, v16
	s_waitcnt lgkmcnt(0)
	v_lshrrev_b32_e32 v12, 16, v26
	v_and_b32_e32 v14, 0xffff, v26
	v_and_b32_e32 v26, 0xffff, v39
	;;#ASMSTART
	v_cvt_f32_f16 v14, v14;
	;;#ASMEND
	;;#ASMSTART
	v_cvt_f32_f16 v12, v12;
	;;#ASMEND
	;;#ASMSTART
	v_cvt_f32_f16 v19, v19;
	;;#ASMEND
	;;#ASMSTART
	v_cvt_f32_f16 v28, v26;
	;;#ASMEND
	v_lshrrev_b32_e32 v26, 16, v27
	v_and_b32_e32 v27, 0xffff, v27
	v_and_b32_e32 v10, 0xffff, v10
	v_fmac_f32_e32 v48, v29, v32
	v_fmac_f32_e32 v44, v31, v35
	;;#ASMSTART
	v_cvt_f32_f16 v29, v27;
	;;#ASMEND
	;;#ASMSTART
	v_cvt_f32_f16 v31, v26;
	;;#ASMEND
	;; [unrolled: 3-line block ×4, first 2 shown]
	ds_read_b64 v[26:27], v0 offset:56
	v_fmac_f32_e32 v2, v14, v19
	v_fmac_f32_e32 v8, v12, v28
	v_fmac_f32_e32 v48, v29, v16
	v_fmac_f32_e32 v44, v31, v10
	s_waitcnt lgkmcnt(0)
	v_lshrrev_b32_e32 v10, 16, v26
	v_and_b32_e32 v12, 0xffff, v26
	v_and_b32_e32 v14, 0xffff, v15
	;; [unrolled: 1-line block ×3, first 2 shown]
	v_lshrrev_b32_e32 v15, 16, v27
	v_and_b32_e32 v16, 0xffff, v27
	v_and_b32_e32 v6, 0xffff, v6
	;;#ASMSTART
	v_cvt_f32_f16 v12, v12;
	;;#ASMEND
	;;#ASMSTART
	v_cvt_f32_f16 v10, v10;
	;;#ASMEND
	;; [unrolled: 3-line block ×8, first 2 shown]
	ds_read_b64 v[6:7], v0 offset:64
	v_fmac_f32_e32 v8, v10, v13
	v_fmac_f32_e32 v2, v12, v14
	v_fmac_f32_e32 v48, v16, v19
	v_fmac_f32_e32 v44, v15, v26
	s_waitcnt lgkmcnt(0)
	v_lshrrev_b32_e32 v10, 16, v6
	v_and_b32_e32 v6, 0xffff, v6
	;;#ASMSTART
	v_cvt_f32_f16 v12, v6;
	;;#ASMEND
	v_and_b32_e32 v6, 0xffff, v58
	;;#ASMSTART
	v_cvt_f32_f16 v10, v10;
	;;#ASMEND
	;;#ASMSTART
	v_cvt_f32_f16 v13, v6;
	;;#ASMEND
	v_and_b32_e32 v6, 0xffff, v34
	;;#ASMSTART
	v_cvt_f32_f16 v14, v6;
	;;#ASMEND
	v_lshrrev_b32_e32 v6, 16, v7
	v_and_b32_e32 v7, 0xffff, v7
	;;#ASMSTART
	v_cvt_f32_f16 v15, v7;
	;;#ASMEND
	;;#ASMSTART
	v_cvt_f32_f16 v16, v6;
	;;#ASMEND
	v_and_b32_e32 v6, 0xffff, v24
	;;#ASMSTART
	v_cvt_f32_f16 v19, v6;
	;;#ASMEND
	v_and_b32_e32 v6, 0xffff, v11
	;;#ASMSTART
	v_cvt_f32_f16 v11, v6;
	;;#ASMEND
	ds_read_b64 v[6:7], v0 offset:72
	v_fmac_f32_e32 v8, v10, v14
	v_fmac_f32_e32 v44, v16, v11
	v_fmac_f32_e32 v2, v12, v13
	v_fmac_f32_e32 v48, v15, v19
	s_waitcnt lgkmcnt(0)
	v_lshrrev_b32_e32 v10, 16, v6
	v_and_b32_e32 v6, 0xffff, v6
	;;#ASMSTART
	v_cvt_f32_f16 v11, v6;
	;;#ASMEND
	v_and_b32_e32 v6, 0xffff, v56
	;;#ASMSTART
	v_cvt_f32_f16 v10, v10;
	;;#ASMEND
	;;#ASMSTART
	v_cvt_f32_f16 v12, v6;
	;;#ASMEND
	v_and_b32_e32 v6, 0xffff, v53
	;;#ASMSTART
	v_cvt_f32_f16 v13, v6;
	;;#ASMEND
	v_lshrrev_b32_e32 v6, 16, v7
	v_and_b32_e32 v7, 0xffff, v7
	;;#ASMSTART
	v_cvt_f32_f16 v14, v7;
	;;#ASMEND
	;;#ASMSTART
	v_cvt_f32_f16 v15, v6;
	;;#ASMEND
	v_and_b32_e32 v6, 0xffff, v21
	;;#ASMSTART
	v_cvt_f32_f16 v16, v6;
	;;#ASMEND
	v_and_b32_e32 v6, 0xffff, v9
	;;#ASMSTART
	v_cvt_f32_f16 v9, v6;
	;;#ASMEND
	;; [unrolled: 38-line block ×6, first 2 shown]
	ds_read_b64 v[6:7], v0 offset:112
	v_fmac_f32_e32 v8, v9, v12
	v_and_b32_e32 v5, 0xffff, v5
	v_and_b32_e32 v4, 0xffff, v4
	v_fmac_f32_e32 v2, v10, v11
	s_waitcnt lgkmcnt(0)
	v_lshrrev_b32_e32 v9, 16, v6
	v_and_b32_e32 v6, 0xffff, v6
	;;#ASMSTART
	v_cvt_f32_f16 v6, v6;
	;;#ASMEND
	;;#ASMSTART
	v_cvt_f32_f16 v9, v9;
	;;#ASMEND
	;; [unrolled: 3-line block ×4, first 2 shown]
	v_fmac_f32_e32 v44, v14, v16
	v_fmac_f32_e32 v2, v6, v5
	;; [unrolled: 1-line block ×3, first 2 shown]
	v_lshrrev_b32_e32 v4, 16, v7
	v_and_b32_e32 v5, 0xffff, v7
	;;#ASMSTART
	v_cvt_f32_f16 v5, v5;
	;;#ASMEND
	;;#ASMSTART
	v_cvt_f32_f16 v4, v4;
	;;#ASMEND
	v_and_b32_e32 v1, 0xffff, v1
	v_and_b32_e32 v0, 0xffff, v45
	v_fmac_f32_e32 v48, v13, v15
	;;#ASMSTART
	v_cvt_f32_f16 v1, v1;
	;;#ASMEND
	;;#ASMSTART
	v_cvt_f32_f16 v0, v0;
	;;#ASMEND
	s_nop 0
	v_fmac_f32_e32 v44, v4, v0
	v_accvgpr_read_b32 v4, a22
	v_fmac_f32_e32 v48, v5, v1
	v_and_b32_e32 v1, 64, v4
	v_add_f32_e32 v0, v2, v8
	v_xor_b32_e32 v2, 1, v4
	v_add_u32_e32 v1, 64, v1
	v_cmp_lt_i32_e64 s[4:5], v2, v1
	v_add_f32_e32 v0, v0, v48
	v_add_f32_e32 v0, v44, v0
	v_cndmask_b32_e64 v2, v4, v2, s[4:5]
	v_lshlrev_b32_e32 v2, 2, v2
	ds_bpermute_b32 v2, v2, v0
	s_mov_b64 s[20:21], exec
	s_and_b64 s[4:5], s[20:21], vcc
	v_accvgpr_read_b32 v7, a33
	s_mov_b64 exec, s[4:5]
	s_cbranch_execz .LBB280_8
; %bb.266:                              ;   in Loop: Header=BB280_9 Depth=1
	s_waitcnt lgkmcnt(0)
	v_add_f32_e32 v0, v0, v2
	scratch_load_dword v2, off, s32 offset:116 ; 4-byte Folded Reload
	v_accvgpr_read_b32 v4, a30
	v_accvgpr_read_b32 v6, a31
	v_add_u32_e32 v4, v4, v6
	v_cvt_f32_i32_e32 v4, v4
	s_load_dword s4, s[8:9], 0x0
	v_accvgpr_read_b32 v5, a15
	s_waitcnt vmcnt(0)
	v_mul_f32_e32 v2, v2, v4
	v_cndmask_b32_e64 v2, 0, v2, s[2:3]
	v_accvgpr_read_b32 v4, a32
	v_fmac_f32_e32 v2, v0, v5
	v_accvgpr_read_b32 v0, a8
	s_waitcnt lgkmcnt(0)
	v_add_u32_e32 v4, s4, v4
	v_cmp_lt_i32_e64 s[4:5], v6, v0
	s_nop 1
	v_cndmask_b32_e64 v0, 0, v2, s[4:5]
	ds_write_b32 v4, v0
	scratch_load_dword v4, off, s32 offset:112 ; 4-byte Folded Reload
	s_waitcnt vmcnt(0)
	v_max_f32_e32 v0, v4, v4
	v_max_f32_e32 v0, v0, v2
	v_cndmask_b32_e64 v4, v4, v0, s[4:5]
	scratch_store_dword off, v4, s32 offset:112 ; 4-byte Folded Spill
	s_branch .LBB280_8
.LBB280_267:                            ;   in Loop: Header=BB280_9 Depth=1
	v_cmp_eq_u16_sdwa s[28:29], v8, s26 src0_sel:BYTE_0 src1_sel:DWORD
	s_mov_b64 s[4:5], -1
                                        ; implicit-def: $sgpr24
	s_and_saveexec_b64 s[22:23], s[28:29]
; %bb.268:                              ;   in Loop: Header=BB280_9 Depth=1
	s_mov_b32 s24, 0x7fc02000
	s_xor_b64 s[4:5], exec, -1
; %bb.269:                              ;   in Loop: Header=BB280_9 Depth=1
	s_or_b64 exec, exec, s[22:23]
	s_and_b64 s[4:5], s[4:5], exec
	s_or_saveexec_b64 s[20:21], s[20:21]
	v_mov_b32_e32 v46, s24
	s_xor_b64 exec, exec, s[20:21]
	s_cbranch_execz .LBB280_11
.LBB280_270:                            ;   in Loop: Header=BB280_9 Depth=1
	v_cmp_ne_u16_sdwa s[22:23], v8, v3 src0_sel:BYTE_0 src1_sel:DWORD
	s_andn2_b64 s[4:5], s[4:5], exec
	s_and_b64 s[22:23], s[22:23], exec
	v_mov_b32_e32 v46, 0
	s_or_b64 s[4:5], s[4:5], s[22:23]
	s_or_b64 exec, exec, s[20:21]
	s_and_saveexec_b64 s[20:21], s[4:5]
	s_cbranch_execnz .LBB280_12
	s_branch .LBB280_13
.LBB280_271:                            ;   in Loop: Header=BB280_9 Depth=1
	v_cmp_eq_u16_sdwa s[28:29], v8, s26 src0_sel:BYTE_0 src1_sel:DWORD
	s_mov_b64 s[4:5], -1
                                        ; implicit-def: $sgpr24
	s_and_saveexec_b64 s[22:23], s[28:29]
; %bb.272:                              ;   in Loop: Header=BB280_9 Depth=1
	s_mov_b32 s24, 0x7fc02000
	s_xor_b64 s[4:5], exec, -1
; %bb.273:                              ;   in Loop: Header=BB280_9 Depth=1
	s_or_b64 exec, exec, s[22:23]
	s_and_b64 s[4:5], s[4:5], exec
	s_or_saveexec_b64 s[20:21], s[20:21]
	v_mov_b32_e32 v36, s24
	s_xor_b64 exec, exec, s[20:21]
	s_cbranch_execz .LBB280_39
.LBB280_274:                            ;   in Loop: Header=BB280_9 Depth=1
	v_cmp_ne_u16_sdwa s[22:23], v8, v3 src0_sel:BYTE_0 src1_sel:DWORD
	s_andn2_b64 s[4:5], s[4:5], exec
	s_and_b64 s[22:23], s[22:23], exec
	v_mov_b32_e32 v36, 0
	s_or_b64 s[4:5], s[4:5], s[22:23]
	s_or_b64 exec, exec, s[20:21]
	s_and_saveexec_b64 s[20:21], s[4:5]
	s_cbranch_execnz .LBB280_40
	s_branch .LBB280_41
.LBB280_275:                            ;   in Loop: Header=BB280_9 Depth=1
	v_cmp_eq_u16_e64 s[4:5], s26, v2
	s_mov_b64 s[20:21], -1
                                        ; implicit-def: $sgpr28
	s_and_saveexec_b64 s[24:25], s[4:5]
; %bb.276:                              ;   in Loop: Header=BB280_9 Depth=1
	s_mov_b32 s28, 0x7fc02000
	s_xor_b64 s[20:21], exec, -1
; %bb.277:                              ;   in Loop: Header=BB280_9 Depth=1
	s_or_b64 exec, exec, s[24:25]
	s_and_b64 s[20:21], s[20:21], exec
	s_or_saveexec_b64 s[22:23], s[22:23]
	v_mov_b32_e32 v19, s28
	s_xor_b64 exec, exec, s[22:23]
	s_cbranch_execz .LBB280_43
.LBB280_278:                            ;   in Loop: Header=BB280_9 Depth=1
	v_cmp_ne_u16_e64 s[4:5], 0, v2
	s_andn2_b64 s[20:21], s[20:21], exec
	s_and_b64 s[4:5], s[4:5], exec
	v_mov_b32_e32 v19, 0
	s_or_b64 s[20:21], s[20:21], s[4:5]
	s_or_b64 exec, exec, s[22:23]
	s_and_saveexec_b64 s[22:23], s[20:21]
	s_cbranch_execnz .LBB280_44
	s_branch .LBB280_45
.LBB280_279:                            ;   in Loop: Header=BB280_9 Depth=1
	v_cmp_eq_u16_sdwa s[28:29], v2, s26 src0_sel:BYTE_0 src1_sel:DWORD
	s_mov_b64 s[4:5], -1
                                        ; implicit-def: $sgpr24
	s_and_saveexec_b64 s[22:23], s[28:29]
; %bb.280:                              ;   in Loop: Header=BB280_9 Depth=1
	s_mov_b32 s24, 0x7fc02000
	s_xor_b64 s[4:5], exec, -1
; %bb.281:                              ;   in Loop: Header=BB280_9 Depth=1
	s_or_b64 exec, exec, s[22:23]
	s_and_b64 s[4:5], s[4:5], exec
	s_or_saveexec_b64 s[20:21], s[20:21]
	v_mov_b32_e32 v49, s24
	s_xor_b64 exec, exec, s[20:21]
	s_cbranch_execz .LBB280_47
.LBB280_282:                            ;   in Loop: Header=BB280_9 Depth=1
	v_cmp_ne_u16_sdwa s[22:23], v2, v3 src0_sel:BYTE_0 src1_sel:DWORD
	s_andn2_b64 s[4:5], s[4:5], exec
	s_and_b64 s[22:23], s[22:23], exec
	v_mov_b32_e32 v49, 0
	s_or_b64 s[4:5], s[4:5], s[22:23]
	s_or_b64 exec, exec, s[20:21]
	s_and_saveexec_b64 s[20:21], s[4:5]
	s_cbranch_execnz .LBB280_48
	s_branch .LBB280_49
.LBB280_283:                            ;   in Loop: Header=BB280_9 Depth=1
	v_cmp_eq_u16_e64 s[4:5], s26, v2
	s_mov_b64 s[20:21], -1
                                        ; implicit-def: $sgpr28
	s_and_saveexec_b64 s[24:25], s[4:5]
; %bb.284:                              ;   in Loop: Header=BB280_9 Depth=1
	s_mov_b32 s28, 0x7fc02000
	s_xor_b64 s[20:21], exec, -1
; %bb.285:                              ;   in Loop: Header=BB280_9 Depth=1
	s_or_b64 exec, exec, s[24:25]
	s_and_b64 s[20:21], s[20:21], exec
	s_or_saveexec_b64 s[22:23], s[22:23]
	v_mov_b32_e32 v62, s28
	s_xor_b64 exec, exec, s[22:23]
	s_cbranch_execz .LBB280_51
.LBB280_286:                            ;   in Loop: Header=BB280_9 Depth=1
	v_cmp_ne_u16_e64 s[4:5], 0, v2
	s_andn2_b64 s[20:21], s[20:21], exec
	s_and_b64 s[4:5], s[4:5], exec
	v_mov_b32_e32 v62, 0
	s_or_b64 s[20:21], s[20:21], s[4:5]
	s_or_b64 exec, exec, s[22:23]
	s_and_saveexec_b64 s[22:23], s[20:21]
	s_cbranch_execnz .LBB280_52
	s_branch .LBB280_53
.LBB280_287:                            ;   in Loop: Header=BB280_9 Depth=1
	v_cmp_eq_u16_sdwa s[28:29], v8, s26 src0_sel:BYTE_0 src1_sel:DWORD
	s_mov_b64 s[4:5], -1
                                        ; implicit-def: $sgpr24
	s_and_saveexec_b64 s[22:23], s[28:29]
; %bb.288:                              ;   in Loop: Header=BB280_9 Depth=1
	s_mov_b32 s24, 0x7fc02000
	s_xor_b64 s[4:5], exec, -1
; %bb.289:                              ;   in Loop: Header=BB280_9 Depth=1
	s_or_b64 exec, exec, s[22:23]
	s_and_b64 s[4:5], s[4:5], exec
	s_or_saveexec_b64 s[20:21], s[20:21]
	v_mov_b32_e32 v0, s24
	s_xor_b64 exec, exec, s[20:21]
	s_cbranch_execz .LBB280_55
.LBB280_290:                            ;   in Loop: Header=BB280_9 Depth=1
	v_cmp_ne_u16_sdwa s[22:23], v8, v3 src0_sel:BYTE_0 src1_sel:DWORD
	s_andn2_b64 s[4:5], s[4:5], exec
	s_and_b64 s[22:23], s[22:23], exec
	v_mov_b32_e32 v0, 0
	s_or_b64 s[4:5], s[4:5], s[22:23]
	s_or_b64 exec, exec, s[20:21]
	s_and_saveexec_b64 s[20:21], s[4:5]
	s_cbranch_execnz .LBB280_56
	s_branch .LBB280_57
.LBB280_291:                            ;   in Loop: Header=BB280_9 Depth=1
	v_cmp_eq_u16_e64 s[4:5], s26, v2
	s_mov_b64 s[20:21], -1
                                        ; implicit-def: $sgpr28
	s_and_saveexec_b64 s[24:25], s[4:5]
; %bb.292:                              ;   in Loop: Header=BB280_9 Depth=1
	s_mov_b32 s28, 0x7fc02000
	s_xor_b64 s[20:21], exec, -1
; %bb.293:                              ;   in Loop: Header=BB280_9 Depth=1
	s_or_b64 exec, exec, s[24:25]
	s_and_b64 s[20:21], s[20:21], exec
	s_or_saveexec_b64 s[22:23], s[22:23]
	v_mov_b32_e32 v56, s28
	s_xor_b64 exec, exec, s[22:23]
	s_cbranch_execz .LBB280_59
.LBB280_294:                            ;   in Loop: Header=BB280_9 Depth=1
	v_cmp_ne_u16_e64 s[4:5], 0, v2
	s_andn2_b64 s[20:21], s[20:21], exec
	s_and_b64 s[4:5], s[4:5], exec
	v_mov_b32_e32 v56, 0
	s_or_b64 s[20:21], s[20:21], s[4:5]
	s_or_b64 exec, exec, s[22:23]
	s_and_saveexec_b64 s[22:23], s[20:21]
	s_cbranch_execnz .LBB280_60
	s_branch .LBB280_61
.LBB280_295:                            ;   in Loop: Header=BB280_9 Depth=1
	v_cmp_eq_u16_sdwa s[28:29], v2, s26 src0_sel:BYTE_0 src1_sel:DWORD
	s_mov_b64 s[4:5], -1
                                        ; implicit-def: $sgpr24
	s_and_saveexec_b64 s[22:23], s[28:29]
; %bb.296:                              ;   in Loop: Header=BB280_9 Depth=1
	s_mov_b32 s24, 0x7fc02000
	s_xor_b64 s[4:5], exec, -1
; %bb.297:                              ;   in Loop: Header=BB280_9 Depth=1
	s_or_b64 exec, exec, s[22:23]
	s_and_b64 s[4:5], s[4:5], exec
	s_or_saveexec_b64 s[20:21], s[20:21]
	v_mov_b32_e32 v58, s24
	s_xor_b64 exec, exec, s[20:21]
	s_cbranch_execz .LBB280_63
.LBB280_298:                            ;   in Loop: Header=BB280_9 Depth=1
	v_cmp_ne_u16_sdwa s[22:23], v2, v3 src0_sel:BYTE_0 src1_sel:DWORD
	s_andn2_b64 s[4:5], s[4:5], exec
	s_and_b64 s[22:23], s[22:23], exec
	v_mov_b32_e32 v58, 0
	s_or_b64 s[4:5], s[4:5], s[22:23]
	s_or_b64 exec, exec, s[20:21]
	s_and_saveexec_b64 s[20:21], s[4:5]
	s_cbranch_execnz .LBB280_64
	s_branch .LBB280_65
.LBB280_299:                            ;   in Loop: Header=BB280_9 Depth=1
	v_cmp_eq_u16_e64 s[4:5], s26, v2
	s_mov_b64 s[20:21], -1
                                        ; implicit-def: $sgpr28
	s_and_saveexec_b64 s[24:25], s[4:5]
; %bb.300:                              ;   in Loop: Header=BB280_9 Depth=1
	s_mov_b32 s28, 0x7fc02000
	s_xor_b64 s[20:21], exec, -1
; %bb.301:                              ;   in Loop: Header=BB280_9 Depth=1
	s_or_b64 exec, exec, s[24:25]
	s_and_b64 s[20:21], s[20:21], exec
	s_or_saveexec_b64 s[22:23], s[22:23]
	v_mov_b32_e32 v59, s28
	s_xor_b64 exec, exec, s[22:23]
	s_cbranch_execz .LBB280_67
.LBB280_302:                            ;   in Loop: Header=BB280_9 Depth=1
	v_cmp_ne_u16_e64 s[4:5], 0, v2
	s_andn2_b64 s[20:21], s[20:21], exec
	s_and_b64 s[4:5], s[4:5], exec
	v_mov_b32_e32 v59, 0
	s_or_b64 s[20:21], s[20:21], s[4:5]
	s_or_b64 exec, exec, s[22:23]
	s_and_saveexec_b64 s[22:23], s[20:21]
	s_cbranch_execnz .LBB280_68
	s_branch .LBB280_69
.LBB280_303:                            ;   in Loop: Header=BB280_9 Depth=1
	v_cmp_eq_u16_sdwa s[28:29], v8, s26 src0_sel:BYTE_0 src1_sel:DWORD
	s_mov_b64 s[4:5], -1
                                        ; implicit-def: $sgpr24
	s_and_saveexec_b64 s[22:23], s[28:29]
; %bb.304:                              ;   in Loop: Header=BB280_9 Depth=1
	s_mov_b32 s24, 0x7fc02000
	s_xor_b64 s[4:5], exec, -1
; %bb.305:                              ;   in Loop: Header=BB280_9 Depth=1
	s_or_b64 exec, exec, s[22:23]
	s_and_b64 s[4:5], s[4:5], exec
	s_or_saveexec_b64 s[20:21], s[20:21]
	v_mov_b32_e32 v0, s24
	s_xor_b64 exec, exec, s[20:21]
	s_cbranch_execz .LBB280_71
.LBB280_306:                            ;   in Loop: Header=BB280_9 Depth=1
	v_cmp_ne_u16_sdwa s[22:23], v8, v3 src0_sel:BYTE_0 src1_sel:DWORD
	s_andn2_b64 s[4:5], s[4:5], exec
	s_and_b64 s[22:23], s[22:23], exec
	v_mov_b32_e32 v0, 0
	s_or_b64 s[4:5], s[4:5], s[22:23]
	s_or_b64 exec, exec, s[20:21]
	s_and_saveexec_b64 s[20:21], s[4:5]
	s_cbranch_execnz .LBB280_72
	s_branch .LBB280_73
.LBB280_307:                            ;   in Loop: Header=BB280_9 Depth=1
	v_cmp_eq_u16_e64 s[4:5], s26, v2
	s_mov_b64 s[20:21], -1
                                        ; implicit-def: $sgpr28
	s_and_saveexec_b64 s[24:25], s[4:5]
; %bb.308:                              ;   in Loop: Header=BB280_9 Depth=1
	s_mov_b32 s28, 0x7fc02000
	s_xor_b64 s[20:21], exec, -1
; %bb.309:                              ;   in Loop: Header=BB280_9 Depth=1
	s_or_b64 exec, exec, s[24:25]
	s_and_b64 s[20:21], s[20:21], exec
	s_or_saveexec_b64 s[22:23], s[22:23]
	v_mov_b32_e32 v60, s28
	s_xor_b64 exec, exec, s[22:23]
	s_cbranch_execz .LBB280_75
.LBB280_310:                            ;   in Loop: Header=BB280_9 Depth=1
	v_cmp_ne_u16_e64 s[4:5], 0, v2
	s_andn2_b64 s[20:21], s[20:21], exec
	s_and_b64 s[4:5], s[4:5], exec
	v_mov_b32_e32 v60, 0
	s_or_b64 s[20:21], s[20:21], s[4:5]
	s_or_b64 exec, exec, s[22:23]
	s_and_saveexec_b64 s[22:23], s[20:21]
	s_cbranch_execnz .LBB280_76
	s_branch .LBB280_77
.LBB280_311:                            ;   in Loop: Header=BB280_9 Depth=1
	v_cmp_eq_u16_sdwa s[28:29], v2, s26 src0_sel:BYTE_0 src1_sel:DWORD
	s_mov_b64 s[4:5], -1
                                        ; implicit-def: $sgpr24
	s_and_saveexec_b64 s[22:23], s[28:29]
; %bb.312:                              ;   in Loop: Header=BB280_9 Depth=1
	s_mov_b32 s24, 0x7fc02000
	s_xor_b64 s[4:5], exec, -1
; %bb.313:                              ;   in Loop: Header=BB280_9 Depth=1
	s_or_b64 exec, exec, s[22:23]
	s_and_b64 s[4:5], s[4:5], exec
	s_or_saveexec_b64 s[20:21], s[20:21]
	v_mov_b32_e32 v61, s24
	s_xor_b64 exec, exec, s[20:21]
	s_cbranch_execz .LBB280_79
.LBB280_314:                            ;   in Loop: Header=BB280_9 Depth=1
	v_cmp_ne_u16_sdwa s[22:23], v2, v3 src0_sel:BYTE_0 src1_sel:DWORD
	s_andn2_b64 s[4:5], s[4:5], exec
	s_and_b64 s[22:23], s[22:23], exec
	v_mov_b32_e32 v61, 0
	s_or_b64 s[4:5], s[4:5], s[22:23]
	s_or_b64 exec, exec, s[20:21]
	s_and_saveexec_b64 s[20:21], s[4:5]
	s_cbranch_execnz .LBB280_80
	s_branch .LBB280_81
.LBB280_315:                            ;   in Loop: Header=BB280_9 Depth=1
	v_cmp_eq_u16_e64 s[4:5], s26, v2
	s_mov_b64 s[20:21], -1
                                        ; implicit-def: $sgpr28
	s_and_saveexec_b64 s[24:25], s[4:5]
; %bb.316:                              ;   in Loop: Header=BB280_9 Depth=1
	s_mov_b32 s28, 0x7fc02000
	s_xor_b64 s[20:21], exec, -1
; %bb.317:                              ;   in Loop: Header=BB280_9 Depth=1
	s_or_b64 exec, exec, s[24:25]
	s_and_b64 s[20:21], s[20:21], exec
	s_or_saveexec_b64 s[22:23], s[22:23]
	v_mov_b32_e32 v37, s28
	s_xor_b64 exec, exec, s[22:23]
	s_cbranch_execz .LBB280_83
.LBB280_318:                            ;   in Loop: Header=BB280_9 Depth=1
	v_cmp_ne_u16_e64 s[4:5], 0, v2
	s_andn2_b64 s[20:21], s[20:21], exec
	s_and_b64 s[4:5], s[4:5], exec
	v_mov_b32_e32 v37, 0
	s_or_b64 s[20:21], s[20:21], s[4:5]
	s_or_b64 exec, exec, s[22:23]
	s_and_saveexec_b64 s[22:23], s[20:21]
	s_cbranch_execnz .LBB280_84
	s_branch .LBB280_85
.LBB280_319:                            ;   in Loop: Header=BB280_9 Depth=1
	v_cmp_eq_u16_sdwa s[28:29], v8, s26 src0_sel:BYTE_0 src1_sel:DWORD
	s_mov_b64 s[4:5], -1
                                        ; implicit-def: $sgpr24
	s_and_saveexec_b64 s[22:23], s[28:29]
; %bb.320:                              ;   in Loop: Header=BB280_9 Depth=1
	s_mov_b32 s24, 0x7fc02000
	s_xor_b64 s[4:5], exec, -1
; %bb.321:                              ;   in Loop: Header=BB280_9 Depth=1
	s_or_b64 exec, exec, s[22:23]
	s_and_b64 s[4:5], s[4:5], exec
	s_or_saveexec_b64 s[20:21], s[20:21]
	v_mov_b32_e32 v0, s24
	s_xor_b64 exec, exec, s[20:21]
	s_cbranch_execz .LBB280_87
.LBB280_322:                            ;   in Loop: Header=BB280_9 Depth=1
	v_cmp_ne_u16_sdwa s[22:23], v8, v3 src0_sel:BYTE_0 src1_sel:DWORD
	s_andn2_b64 s[4:5], s[4:5], exec
	s_and_b64 s[22:23], s[22:23], exec
	v_mov_b32_e32 v0, 0
	s_or_b64 s[4:5], s[4:5], s[22:23]
	s_or_b64 exec, exec, s[20:21]
	s_and_saveexec_b64 s[20:21], s[4:5]
	s_cbranch_execnz .LBB280_88
	s_branch .LBB280_89
.LBB280_323:                            ;   in Loop: Header=BB280_9 Depth=1
	v_cmp_eq_u16_e64 s[4:5], s26, v2
	s_mov_b64 s[20:21], -1
                                        ; implicit-def: $sgpr28
	s_and_saveexec_b64 s[24:25], s[4:5]
; %bb.324:                              ;   in Loop: Header=BB280_9 Depth=1
	s_mov_b32 s28, 0x7fc02000
	s_xor_b64 s[20:21], exec, -1
; %bb.325:                              ;   in Loop: Header=BB280_9 Depth=1
	s_or_b64 exec, exec, s[24:25]
	s_and_b64 s[20:21], s[20:21], exec
	s_or_saveexec_b64 s[22:23], s[22:23]
	v_mov_b32_e32 v28, s28
	s_xor_b64 exec, exec, s[22:23]
	s_cbranch_execz .LBB280_91
.LBB280_326:                            ;   in Loop: Header=BB280_9 Depth=1
	v_cmp_ne_u16_e64 s[4:5], 0, v2
	s_andn2_b64 s[20:21], s[20:21], exec
	s_and_b64 s[4:5], s[4:5], exec
	v_mov_b32_e32 v28, 0
	s_or_b64 s[20:21], s[20:21], s[4:5]
	s_or_b64 exec, exec, s[22:23]
	s_and_saveexec_b64 s[22:23], s[20:21]
	s_cbranch_execnz .LBB280_92
	s_branch .LBB280_93
.LBB280_327:                            ;   in Loop: Header=BB280_9 Depth=1
	v_cmp_eq_u16_sdwa s[28:29], v2, s26 src0_sel:BYTE_0 src1_sel:DWORD
	s_mov_b64 s[4:5], -1
                                        ; implicit-def: $sgpr24
	s_and_saveexec_b64 s[22:23], s[28:29]
; %bb.328:                              ;   in Loop: Header=BB280_9 Depth=1
	s_mov_b32 s24, 0x7fc02000
	s_xor_b64 s[4:5], exec, -1
; %bb.329:                              ;   in Loop: Header=BB280_9 Depth=1
	s_or_b64 exec, exec, s[22:23]
	s_and_b64 s[4:5], s[4:5], exec
	s_or_saveexec_b64 s[20:21], s[20:21]
	v_mov_b32_e32 v29, s24
	s_xor_b64 exec, exec, s[20:21]
	s_cbranch_execz .LBB280_95
.LBB280_330:                            ;   in Loop: Header=BB280_9 Depth=1
	v_cmp_ne_u16_sdwa s[22:23], v2, v3 src0_sel:BYTE_0 src1_sel:DWORD
	s_andn2_b64 s[4:5], s[4:5], exec
	s_and_b64 s[22:23], s[22:23], exec
	v_mov_b32_e32 v29, 0
	s_or_b64 s[4:5], s[4:5], s[22:23]
	s_or_b64 exec, exec, s[20:21]
	s_and_saveexec_b64 s[20:21], s[4:5]
	s_cbranch_execnz .LBB280_96
	s_branch .LBB280_97
.LBB280_331:                            ;   in Loop: Header=BB280_9 Depth=1
	v_cmp_eq_u16_e64 s[4:5], s26, v2
	s_mov_b64 s[20:21], -1
                                        ; implicit-def: $sgpr28
	s_and_saveexec_b64 s[24:25], s[4:5]
; %bb.332:                              ;   in Loop: Header=BB280_9 Depth=1
	s_mov_b32 s28, 0x7fc02000
	s_xor_b64 s[20:21], exec, -1
; %bb.333:                              ;   in Loop: Header=BB280_9 Depth=1
	s_or_b64 exec, exec, s[24:25]
	s_and_b64 s[20:21], s[20:21], exec
	s_or_saveexec_b64 s[22:23], s[22:23]
	v_mov_b32_e32 v35, s28
	s_xor_b64 exec, exec, s[22:23]
	s_cbranch_execz .LBB280_99
.LBB280_334:                            ;   in Loop: Header=BB280_9 Depth=1
	v_cmp_ne_u16_e64 s[4:5], 0, v2
	s_andn2_b64 s[20:21], s[20:21], exec
	s_and_b64 s[4:5], s[4:5], exec
	v_mov_b32_e32 v35, 0
	s_or_b64 s[20:21], s[20:21], s[4:5]
	s_or_b64 exec, exec, s[22:23]
	s_and_saveexec_b64 s[22:23], s[20:21]
	s_cbranch_execnz .LBB280_100
	s_branch .LBB280_101
.LBB280_335:                            ;   in Loop: Header=BB280_9 Depth=1
	v_cmp_eq_u16_sdwa s[28:29], v8, s26 src0_sel:BYTE_0 src1_sel:DWORD
	s_mov_b64 s[4:5], -1
                                        ; implicit-def: $sgpr24
	s_and_saveexec_b64 s[22:23], s[28:29]
; %bb.336:                              ;   in Loop: Header=BB280_9 Depth=1
	s_mov_b32 s24, 0x7fc02000
	s_xor_b64 s[4:5], exec, -1
; %bb.337:                              ;   in Loop: Header=BB280_9 Depth=1
	s_or_b64 exec, exec, s[22:23]
	s_and_b64 s[4:5], s[4:5], exec
	s_or_saveexec_b64 s[20:21], s[20:21]
	v_mov_b32_e32 v32, s24
	s_xor_b64 exec, exec, s[20:21]
	s_cbranch_execz .LBB280_103
.LBB280_338:                            ;   in Loop: Header=BB280_9 Depth=1
	v_cmp_ne_u16_sdwa s[22:23], v8, v3 src0_sel:BYTE_0 src1_sel:DWORD
	s_andn2_b64 s[4:5], s[4:5], exec
	s_and_b64 s[22:23], s[22:23], exec
	v_mov_b32_e32 v32, 0
	s_or_b64 s[4:5], s[4:5], s[22:23]
	s_or_b64 exec, exec, s[20:21]
	s_and_saveexec_b64 s[20:21], s[4:5]
	s_cbranch_execnz .LBB280_104
	s_branch .LBB280_105
.LBB280_339:                            ;   in Loop: Header=BB280_9 Depth=1
	v_cmp_eq_u16_e64 s[4:5], s26, v2
	s_mov_b64 s[20:21], -1
                                        ; implicit-def: $sgpr28
	s_and_saveexec_b64 s[24:25], s[4:5]
; %bb.340:                              ;   in Loop: Header=BB280_9 Depth=1
	s_mov_b32 s28, 0x7fc02000
	s_xor_b64 s[20:21], exec, -1
; %bb.341:                              ;   in Loop: Header=BB280_9 Depth=1
	s_or_b64 exec, exec, s[24:25]
	s_and_b64 s[20:21], s[20:21], exec
	s_or_saveexec_b64 s[22:23], s[22:23]
	v_mov_b32_e32 v26, s28
	s_xor_b64 exec, exec, s[22:23]
	s_cbranch_execz .LBB280_107
.LBB280_342:                            ;   in Loop: Header=BB280_9 Depth=1
	v_cmp_ne_u16_e64 s[4:5], 0, v2
	s_andn2_b64 s[20:21], s[20:21], exec
	s_and_b64 s[4:5], s[4:5], exec
	v_mov_b32_e32 v26, 0
	s_or_b64 s[20:21], s[20:21], s[4:5]
	s_or_b64 exec, exec, s[22:23]
	s_and_saveexec_b64 s[22:23], s[20:21]
	s_cbranch_execnz .LBB280_108
	s_branch .LBB280_109
.LBB280_343:                            ;   in Loop: Header=BB280_9 Depth=1
	v_cmp_eq_u16_sdwa s[28:29], v2, s26 src0_sel:BYTE_0 src1_sel:DWORD
	s_mov_b64 s[4:5], -1
                                        ; implicit-def: $sgpr24
	s_and_saveexec_b64 s[22:23], s[28:29]
; %bb.344:                              ;   in Loop: Header=BB280_9 Depth=1
	s_mov_b32 s24, 0x7fc02000
	s_xor_b64 s[4:5], exec, -1
; %bb.345:                              ;   in Loop: Header=BB280_9 Depth=1
	s_or_b64 exec, exec, s[22:23]
	s_and_b64 s[4:5], s[4:5], exec
	s_or_saveexec_b64 s[20:21], s[20:21]
	v_mov_b32_e32 v27, s24
	s_xor_b64 exec, exec, s[20:21]
	s_cbranch_execz .LBB280_111
.LBB280_346:                            ;   in Loop: Header=BB280_9 Depth=1
	v_cmp_ne_u16_sdwa s[22:23], v2, v3 src0_sel:BYTE_0 src1_sel:DWORD
	s_andn2_b64 s[4:5], s[4:5], exec
	s_and_b64 s[22:23], s[22:23], exec
	v_mov_b32_e32 v27, 0
	s_or_b64 s[4:5], s[4:5], s[22:23]
	s_or_b64 exec, exec, s[20:21]
	s_and_saveexec_b64 s[20:21], s[4:5]
	s_cbranch_execnz .LBB280_112
	s_branch .LBB280_113
.LBB280_347:                            ;   in Loop: Header=BB280_9 Depth=1
	v_cmp_eq_u16_e64 s[4:5], s26, v2
	s_mov_b64 s[20:21], -1
                                        ; implicit-def: $sgpr28
	s_and_saveexec_b64 s[24:25], s[4:5]
; %bb.348:                              ;   in Loop: Header=BB280_9 Depth=1
	s_mov_b32 s28, 0x7fc02000
	s_xor_b64 s[20:21], exec, -1
; %bb.349:                              ;   in Loop: Header=BB280_9 Depth=1
	s_or_b64 exec, exec, s[24:25]
	s_and_b64 s[20:21], s[20:21], exec
	s_or_saveexec_b64 s[22:23], s[22:23]
	v_mov_b32_e32 v12, s28
	s_xor_b64 exec, exec, s[22:23]
	s_cbranch_execz .LBB280_115
.LBB280_350:                            ;   in Loop: Header=BB280_9 Depth=1
	v_cmp_ne_u16_e64 s[4:5], 0, v2
	s_andn2_b64 s[20:21], s[20:21], exec
	s_and_b64 s[4:5], s[4:5], exec
	v_mov_b32_e32 v12, 0
	s_or_b64 s[20:21], s[20:21], s[4:5]
	s_or_b64 exec, exec, s[22:23]
	s_and_saveexec_b64 s[22:23], s[20:21]
	s_cbranch_execnz .LBB280_116
	s_branch .LBB280_117
.LBB280_351:                            ;   in Loop: Header=BB280_9 Depth=1
	v_cmp_eq_u16_sdwa s[28:29], v8, s26 src0_sel:BYTE_0 src1_sel:DWORD
	s_mov_b64 s[4:5], -1
                                        ; implicit-def: $sgpr24
	s_and_saveexec_b64 s[22:23], s[28:29]
; %bb.352:                              ;   in Loop: Header=BB280_9 Depth=1
	s_mov_b32 s24, 0x7fc02000
	s_xor_b64 s[4:5], exec, -1
; %bb.353:                              ;   in Loop: Header=BB280_9 Depth=1
	s_or_b64 exec, exec, s[22:23]
	s_and_b64 s[4:5], s[4:5], exec
	s_or_saveexec_b64 s[20:21], s[20:21]
	v_mov_b32_e32 v1, s24
	s_xor_b64 exec, exec, s[20:21]
	s_cbranch_execz .LBB280_119
.LBB280_354:                            ;   in Loop: Header=BB280_9 Depth=1
	v_cmp_ne_u16_sdwa s[22:23], v8, v3 src0_sel:BYTE_0 src1_sel:DWORD
	s_andn2_b64 s[4:5], s[4:5], exec
	s_and_b64 s[22:23], s[22:23], exec
	v_mov_b32_e32 v1, 0
	s_or_b64 s[4:5], s[4:5], s[22:23]
	s_or_b64 exec, exec, s[20:21]
	s_and_saveexec_b64 s[20:21], s[4:5]
	s_cbranch_execnz .LBB280_120
	s_branch .LBB280_121
.LBB280_355:                            ;   in Loop: Header=BB280_9 Depth=1
	v_cmp_eq_u16_e64 s[4:5], s26, v2
	s_mov_b64 s[20:21], -1
                                        ; implicit-def: $sgpr28
	s_and_saveexec_b64 s[24:25], s[4:5]
; %bb.356:                              ;   in Loop: Header=BB280_9 Depth=1
	s_mov_b32 s28, 0x7fc02000
	s_xor_b64 s[20:21], exec, -1
; %bb.357:                              ;   in Loop: Header=BB280_9 Depth=1
	s_or_b64 exec, exec, s[24:25]
	s_and_b64 s[20:21], s[20:21], exec
	s_or_saveexec_b64 s[22:23], s[22:23]
	v_mov_b32_e32 v16, s28
	s_xor_b64 exec, exec, s[22:23]
	s_cbranch_execz .LBB280_123
.LBB280_358:                            ;   in Loop: Header=BB280_9 Depth=1
	v_cmp_ne_u16_e64 s[4:5], 0, v2
	s_andn2_b64 s[20:21], s[20:21], exec
	s_and_b64 s[4:5], s[4:5], exec
	v_mov_b32_e32 v16, 0
	s_or_b64 s[20:21], s[20:21], s[4:5]
	s_or_b64 exec, exec, s[22:23]
	s_and_saveexec_b64 s[22:23], s[20:21]
	s_cbranch_execnz .LBB280_124
	s_branch .LBB280_125
.LBB280_359:                            ;   in Loop: Header=BB280_9 Depth=1
	v_cmp_eq_u16_sdwa s[28:29], v2, s26 src0_sel:BYTE_0 src1_sel:DWORD
	s_mov_b64 s[4:5], -1
                                        ; implicit-def: $sgpr24
	s_and_saveexec_b64 s[22:23], s[28:29]
; %bb.360:                              ;   in Loop: Header=BB280_9 Depth=1
	s_mov_b32 s24, 0x7fc02000
	s_xor_b64 s[4:5], exec, -1
; %bb.361:                              ;   in Loop: Header=BB280_9 Depth=1
	s_or_b64 exec, exec, s[22:23]
	s_and_b64 s[4:5], s[4:5], exec
	s_or_saveexec_b64 s[20:21], s[20:21]
	v_mov_b32_e32 v38, s24
	s_xor_b64 exec, exec, s[20:21]
	s_cbranch_execz .LBB280_127
.LBB280_362:                            ;   in Loop: Header=BB280_9 Depth=1
	v_cmp_ne_u16_sdwa s[22:23], v2, v3 src0_sel:BYTE_0 src1_sel:DWORD
	s_andn2_b64 s[4:5], s[4:5], exec
	s_and_b64 s[22:23], s[22:23], exec
	v_mov_b32_e32 v38, 0
	s_or_b64 s[4:5], s[4:5], s[22:23]
	s_or_b64 exec, exec, s[20:21]
	s_and_saveexec_b64 s[20:21], s[4:5]
	s_cbranch_execnz .LBB280_128
	s_branch .LBB280_129
.LBB280_363:                            ;   in Loop: Header=BB280_9 Depth=1
	v_cmp_eq_u16_e64 s[4:5], s26, v2
	s_mov_b64 s[20:21], -1
                                        ; implicit-def: $sgpr28
	s_and_saveexec_b64 s[24:25], s[4:5]
; %bb.364:                              ;   in Loop: Header=BB280_9 Depth=1
	s_mov_b32 s28, 0x7fc02000
	s_xor_b64 s[20:21], exec, -1
; %bb.365:                              ;   in Loop: Header=BB280_9 Depth=1
	s_or_b64 exec, exec, s[24:25]
	s_and_b64 s[20:21], s[20:21], exec
	s_or_saveexec_b64 s[22:23], s[22:23]
	v_mov_b32_e32 v14, s28
	s_xor_b64 exec, exec, s[22:23]
	s_cbranch_execz .LBB280_131
.LBB280_366:                            ;   in Loop: Header=BB280_9 Depth=1
	v_cmp_ne_u16_e64 s[4:5], 0, v2
	s_andn2_b64 s[20:21], s[20:21], exec
	s_and_b64 s[4:5], s[4:5], exec
	v_mov_b32_e32 v14, 0
	s_or_b64 s[20:21], s[20:21], s[4:5]
	s_or_b64 exec, exec, s[22:23]
	s_and_saveexec_b64 s[22:23], s[20:21]
	s_cbranch_execnz .LBB280_132
	s_branch .LBB280_133
.LBB280_367:                            ;   in Loop: Header=BB280_9 Depth=1
	v_cmp_eq_u16_sdwa s[28:29], v8, s26 src0_sel:BYTE_0 src1_sel:DWORD
	s_mov_b64 s[4:5], -1
                                        ; implicit-def: $sgpr24
	s_and_saveexec_b64 s[22:23], s[28:29]
; %bb.368:                              ;   in Loop: Header=BB280_9 Depth=1
	s_mov_b32 s24, 0x7fc02000
	s_xor_b64 s[4:5], exec, -1
; %bb.369:                              ;   in Loop: Header=BB280_9 Depth=1
	s_or_b64 exec, exec, s[22:23]
	s_and_b64 s[4:5], s[4:5], exec
	s_or_saveexec_b64 s[20:21], s[20:21]
	v_mov_b32_e32 v15, s24
	s_xor_b64 exec, exec, s[20:21]
	s_cbranch_execz .LBB280_135
.LBB280_370:                            ;   in Loop: Header=BB280_9 Depth=1
	v_cmp_ne_u16_sdwa s[22:23], v8, v3 src0_sel:BYTE_0 src1_sel:DWORD
	s_andn2_b64 s[4:5], s[4:5], exec
	s_and_b64 s[22:23], s[22:23], exec
	v_mov_b32_e32 v15, 0
	s_or_b64 s[4:5], s[4:5], s[22:23]
	s_or_b64 exec, exec, s[20:21]
	s_and_saveexec_b64 s[20:21], s[4:5]
	s_cbranch_execnz .LBB280_136
	s_branch .LBB280_137
.LBB280_371:                            ;   in Loop: Header=BB280_9 Depth=1
	v_cmp_eq_u16_e64 s[4:5], s26, v2
	s_mov_b64 s[20:21], -1
                                        ; implicit-def: $sgpr28
	s_and_saveexec_b64 s[24:25], s[4:5]
; %bb.372:                              ;   in Loop: Header=BB280_9 Depth=1
	s_mov_b32 s28, 0x7fc02000
	s_xor_b64 s[20:21], exec, -1
; %bb.373:                              ;   in Loop: Header=BB280_9 Depth=1
	s_or_b64 exec, exec, s[24:25]
	s_and_b64 s[20:21], s[20:21], exec
	s_or_saveexec_b64 s[22:23], s[22:23]
	v_mov_b32_e32 v6, s28
	s_xor_b64 exec, exec, s[22:23]
	s_cbranch_execz .LBB280_139
.LBB280_374:                            ;   in Loop: Header=BB280_9 Depth=1
	v_cmp_ne_u16_e64 s[4:5], 0, v2
	s_andn2_b64 s[20:21], s[20:21], exec
	s_and_b64 s[4:5], s[4:5], exec
	v_mov_b32_e32 v6, 0
	s_or_b64 s[20:21], s[20:21], s[4:5]
	s_or_b64 exec, exec, s[22:23]
	s_and_saveexec_b64 s[22:23], s[20:21]
	s_cbranch_execnz .LBB280_140
	s_branch .LBB280_141
.LBB280_375:                            ;   in Loop: Header=BB280_9 Depth=1
	v_cmp_eq_u16_sdwa s[28:29], v2, s26 src0_sel:BYTE_0 src1_sel:DWORD
	s_mov_b64 s[4:5], -1
                                        ; implicit-def: $sgpr24
	s_and_saveexec_b64 s[22:23], s[28:29]
; %bb.376:                              ;   in Loop: Header=BB280_9 Depth=1
	s_mov_b32 s24, 0x7fc02000
	s_xor_b64 s[4:5], exec, -1
; %bb.377:                              ;   in Loop: Header=BB280_9 Depth=1
	s_or_b64 exec, exec, s[22:23]
	s_and_b64 s[4:5], s[4:5], exec
	s_or_saveexec_b64 s[20:21], s[20:21]
	v_mov_b32_e32 v7, s24
	s_xor_b64 exec, exec, s[20:21]
	s_cbranch_execz .LBB280_143
.LBB280_378:                            ;   in Loop: Header=BB280_9 Depth=1
	v_cmp_ne_u16_sdwa s[22:23], v2, v3 src0_sel:BYTE_0 src1_sel:DWORD
	s_andn2_b64 s[4:5], s[4:5], exec
	s_and_b64 s[22:23], s[22:23], exec
	v_mov_b32_e32 v7, 0
	s_or_b64 s[4:5], s[4:5], s[22:23]
	s_or_b64 exec, exec, s[20:21]
	s_and_saveexec_b64 s[20:21], s[4:5]
	s_cbranch_execnz .LBB280_144
	s_branch .LBB280_145
.LBB280_379:                            ;   in Loop: Header=BB280_9 Depth=1
	v_cmp_eq_u16_e64 s[4:5], s26, v2
	s_mov_b64 s[20:21], -1
                                        ; implicit-def: $sgpr28
	s_and_saveexec_b64 s[24:25], s[4:5]
; %bb.380:                              ;   in Loop: Header=BB280_9 Depth=1
	s_mov_b32 s28, 0x7fc02000
	s_xor_b64 s[20:21], exec, -1
; %bb.381:                              ;   in Loop: Header=BB280_9 Depth=1
	s_or_b64 exec, exec, s[24:25]
	s_and_b64 s[20:21], s[20:21], exec
	s_or_saveexec_b64 s[22:23], s[22:23]
	v_mov_b32_e32 v10, s28
	s_xor_b64 exec, exec, s[22:23]
	s_cbranch_execz .LBB280_147
.LBB280_382:                            ;   in Loop: Header=BB280_9 Depth=1
	v_cmp_ne_u16_e64 s[4:5], 0, v2
	s_andn2_b64 s[20:21], s[20:21], exec
	s_and_b64 s[4:5], s[4:5], exec
	v_mov_b32_e32 v10, 0
	s_or_b64 s[20:21], s[20:21], s[4:5]
	s_or_b64 exec, exec, s[22:23]
	s_and_saveexec_b64 s[22:23], s[20:21]
	s_cbranch_execnz .LBB280_148
	s_branch .LBB280_149
.LBB280_383:                            ;   in Loop: Header=BB280_9 Depth=1
	v_cmp_eq_u16_sdwa s[28:29], v8, s26 src0_sel:BYTE_0 src1_sel:DWORD
	s_mov_b64 s[4:5], -1
                                        ; implicit-def: $sgpr24
	s_and_saveexec_b64 s[22:23], s[28:29]
; %bb.384:                              ;   in Loop: Header=BB280_9 Depth=1
	s_mov_b32 s24, 0x7fc02000
	s_xor_b64 s[4:5], exec, -1
; %bb.385:                              ;   in Loop: Header=BB280_9 Depth=1
	s_or_b64 exec, exec, s[22:23]
	s_and_b64 s[4:5], s[4:5], exec
	s_or_saveexec_b64 s[20:21], s[20:21]
	v_mov_b32_e32 v11, s24
	s_xor_b64 exec, exec, s[20:21]
	s_cbranch_execz .LBB280_151
.LBB280_386:                            ;   in Loop: Header=BB280_9 Depth=1
	v_cmp_ne_u16_sdwa s[22:23], v8, v3 src0_sel:BYTE_0 src1_sel:DWORD
	s_andn2_b64 s[4:5], s[4:5], exec
	s_and_b64 s[22:23], s[22:23], exec
	v_mov_b32_e32 v11, 0
	s_or_b64 s[4:5], s[4:5], s[22:23]
	s_or_b64 exec, exec, s[20:21]
	s_and_saveexec_b64 s[20:21], s[4:5]
	s_cbranch_execnz .LBB280_152
	s_branch .LBB280_153
.LBB280_387:                            ;   in Loop: Header=BB280_9 Depth=1
	v_cmp_eq_u16_e64 s[4:5], s26, v2
	s_mov_b64 s[20:21], -1
                                        ; implicit-def: $sgpr28
	s_and_saveexec_b64 s[24:25], s[4:5]
; %bb.388:                              ;   in Loop: Header=BB280_9 Depth=1
	s_mov_b32 s28, 0x7fc02000
	s_xor_b64 s[20:21], exec, -1
; %bb.389:                              ;   in Loop: Header=BB280_9 Depth=1
	s_or_b64 exec, exec, s[24:25]
	s_and_b64 s[20:21], s[20:21], exec
	s_or_saveexec_b64 s[22:23], s[22:23]
	v_mov_b32_e32 v34, s28
	s_xor_b64 exec, exec, s[22:23]
	s_cbranch_execz .LBB280_155
.LBB280_390:                            ;   in Loop: Header=BB280_9 Depth=1
	v_cmp_ne_u16_e64 s[4:5], 0, v2
	s_andn2_b64 s[20:21], s[20:21], exec
	s_and_b64 s[4:5], s[4:5], exec
	v_mov_b32_e32 v34, 0
	s_or_b64 s[20:21], s[20:21], s[4:5]
	s_or_b64 exec, exec, s[22:23]
	s_and_saveexec_b64 s[22:23], s[20:21]
	s_cbranch_execnz .LBB280_156
	s_branch .LBB280_157
.LBB280_391:                            ;   in Loop: Header=BB280_9 Depth=1
	v_cmp_eq_u16_sdwa s[28:29], v2, s26 src0_sel:BYTE_0 src1_sel:DWORD
	s_mov_b64 s[4:5], -1
                                        ; implicit-def: $sgpr24
	s_and_saveexec_b64 s[22:23], s[28:29]
; %bb.392:                              ;   in Loop: Header=BB280_9 Depth=1
	s_mov_b32 s24, 0x7fc02000
	s_xor_b64 s[4:5], exec, -1
; %bb.393:                              ;   in Loop: Header=BB280_9 Depth=1
	s_or_b64 exec, exec, s[22:23]
	s_and_b64 s[4:5], s[4:5], exec
	s_or_saveexec_b64 s[20:21], s[20:21]
	v_mov_b32_e32 v39, s24
	s_xor_b64 exec, exec, s[20:21]
	s_cbranch_execz .LBB280_159
.LBB280_394:                            ;   in Loop: Header=BB280_9 Depth=1
	v_cmp_ne_u16_sdwa s[22:23], v2, v3 src0_sel:BYTE_0 src1_sel:DWORD
	s_andn2_b64 s[4:5], s[4:5], exec
	s_and_b64 s[22:23], s[22:23], exec
	v_mov_b32_e32 v39, 0
	s_or_b64 s[4:5], s[4:5], s[22:23]
	s_or_b64 exec, exec, s[20:21]
	s_and_saveexec_b64 s[20:21], s[4:5]
	s_cbranch_execnz .LBB280_160
	s_branch .LBB280_161
.LBB280_395:                            ;   in Loop: Header=BB280_9 Depth=1
	v_cmp_eq_u16_e64 s[4:5], s26, v2
	s_mov_b64 s[20:21], -1
                                        ; implicit-def: $sgpr28
	s_and_saveexec_b64 s[24:25], s[4:5]
; %bb.396:                              ;   in Loop: Header=BB280_9 Depth=1
	s_mov_b32 s28, 0x7fc02000
	s_xor_b64 s[20:21], exec, -1
; %bb.397:                              ;   in Loop: Header=BB280_9 Depth=1
	s_or_b64 exec, exec, s[24:25]
	s_and_b64 s[20:21], s[20:21], exec
	s_or_saveexec_b64 s[22:23], s[22:23]
	v_mov_b32_e32 v13, s28
	s_xor_b64 exec, exec, s[22:23]
	s_cbranch_execz .LBB280_163
.LBB280_398:                            ;   in Loop: Header=BB280_9 Depth=1
	v_cmp_ne_u16_e64 s[4:5], 0, v2
	s_andn2_b64 s[20:21], s[20:21], exec
	s_and_b64 s[4:5], s[4:5], exec
	v_mov_b32_e32 v13, 0
	s_or_b64 s[20:21], s[20:21], s[4:5]
	s_or_b64 exec, exec, s[22:23]
	s_and_saveexec_b64 s[22:23], s[20:21]
	s_cbranch_execnz .LBB280_164
	s_branch .LBB280_165
.LBB280_399:                            ;   in Loop: Header=BB280_9 Depth=1
	v_cmp_eq_u16_sdwa s[28:29], v8, s26 src0_sel:BYTE_0 src1_sel:DWORD
	s_mov_b64 s[4:5], -1
                                        ; implicit-def: $sgpr24
	s_and_saveexec_b64 s[22:23], s[28:29]
; %bb.400:                              ;   in Loop: Header=BB280_9 Depth=1
	s_mov_b32 s24, 0x7fc02000
	s_xor_b64 s[4:5], exec, -1
; %bb.401:                              ;   in Loop: Header=BB280_9 Depth=1
	s_or_b64 exec, exec, s[22:23]
	s_and_b64 s[4:5], s[4:5], exec
	s_or_saveexec_b64 s[20:21], s[20:21]
	v_mov_b32_e32 v9, s24
	s_xor_b64 exec, exec, s[20:21]
	s_cbranch_execz .LBB280_167
.LBB280_402:                            ;   in Loop: Header=BB280_9 Depth=1
	v_cmp_ne_u16_sdwa s[22:23], v8, v3 src0_sel:BYTE_0 src1_sel:DWORD
	s_andn2_b64 s[4:5], s[4:5], exec
	s_and_b64 s[22:23], s[22:23], exec
	v_mov_b32_e32 v9, 0
	s_or_b64 s[4:5], s[4:5], s[22:23]
	s_or_b64 exec, exec, s[20:21]
	s_and_saveexec_b64 s[20:21], s[4:5]
	s_cbranch_execnz .LBB280_168
	s_branch .LBB280_169
.LBB280_403:                            ;   in Loop: Header=BB280_9 Depth=1
	v_cmp_eq_u16_e64 s[4:5], s26, v2
	s_mov_b64 s[20:21], -1
                                        ; implicit-def: $sgpr28
	s_and_saveexec_b64 s[24:25], s[4:5]
; %bb.404:                              ;   in Loop: Header=BB280_9 Depth=1
	s_mov_b32 s28, 0x7fc02000
	s_xor_b64 s[20:21], exec, -1
; %bb.405:                              ;   in Loop: Header=BB280_9 Depth=1
	s_or_b64 exec, exec, s[24:25]
	s_and_b64 s[20:21], s[20:21], exec
	s_or_saveexec_b64 s[22:23], s[22:23]
	v_mov_b32_e32 v4, s28
	s_xor_b64 exec, exec, s[22:23]
	s_cbranch_execz .LBB280_171
.LBB280_406:                            ;   in Loop: Header=BB280_9 Depth=1
	v_cmp_ne_u16_e64 s[4:5], 0, v2
	s_andn2_b64 s[20:21], s[20:21], exec
	s_and_b64 s[4:5], s[4:5], exec
	v_mov_b32_e32 v4, 0
	s_or_b64 s[20:21], s[20:21], s[4:5]
	s_or_b64 exec, exec, s[22:23]
	s_and_saveexec_b64 s[22:23], s[20:21]
	s_cbranch_execnz .LBB280_172
	s_branch .LBB280_173
.LBB280_407:                            ;   in Loop: Header=BB280_9 Depth=1
	v_cmp_eq_u16_sdwa s[28:29], v2, s26 src0_sel:BYTE_0 src1_sel:DWORD
	s_mov_b64 s[4:5], -1
                                        ; implicit-def: $sgpr24
	s_and_saveexec_b64 s[22:23], s[28:29]
; %bb.408:                              ;   in Loop: Header=BB280_9 Depth=1
	s_mov_b32 s24, 0x7fc02000
	s_xor_b64 s[4:5], exec, -1
; %bb.409:                              ;   in Loop: Header=BB280_9 Depth=1
	s_or_b64 exec, exec, s[22:23]
	s_and_b64 s[4:5], s[4:5], exec
	s_or_saveexec_b64 s[20:21], s[20:21]
	v_mov_b32_e32 v5, s24
	s_xor_b64 exec, exec, s[20:21]
	s_cbranch_execz .LBB280_175
.LBB280_410:                            ;   in Loop: Header=BB280_9 Depth=1
	v_cmp_ne_u16_sdwa s[22:23], v2, v3 src0_sel:BYTE_0 src1_sel:DWORD
	s_andn2_b64 s[4:5], s[4:5], exec
	s_and_b64 s[22:23], s[22:23], exec
	v_mov_b32_e32 v5, 0
	s_or_b64 s[4:5], s[4:5], s[22:23]
	s_or_b64 exec, exec, s[20:21]
	s_and_saveexec_b64 s[20:21], s[4:5]
	s_cbranch_execnz .LBB280_176
	s_branch .LBB280_177
.LBB280_411:                            ;   in Loop: Header=BB280_9 Depth=1
	v_cmp_eq_u16_e64 s[4:5], s26, v2
	s_mov_b64 s[20:21], -1
                                        ; implicit-def: $sgpr28
	s_and_saveexec_b64 s[24:25], s[4:5]
; %bb.412:                              ;   in Loop: Header=BB280_9 Depth=1
	s_mov_b32 s28, 0x7fc02000
	s_xor_b64 s[20:21], exec, -1
; %bb.413:                              ;   in Loop: Header=BB280_9 Depth=1
	s_or_b64 exec, exec, s[24:25]
	s_and_b64 s[20:21], s[20:21], exec
	s_or_saveexec_b64 s[22:23], s[22:23]
	v_mov_b32_e32 v24, s28
	s_xor_b64 exec, exec, s[22:23]
	s_cbranch_execz .LBB280_179
.LBB280_414:                            ;   in Loop: Header=BB280_9 Depth=1
	v_cmp_ne_u16_e64 s[4:5], 0, v2
	s_andn2_b64 s[20:21], s[20:21], exec
	s_and_b64 s[4:5], s[4:5], exec
	v_mov_b32_e32 v24, 0
	s_or_b64 s[20:21], s[20:21], s[4:5]
	s_or_b64 exec, exec, s[22:23]
	s_and_saveexec_b64 s[22:23], s[20:21]
	s_cbranch_execnz .LBB280_180
	s_branch .LBB280_181
.LBB280_415:                            ;   in Loop: Header=BB280_9 Depth=1
	v_cmp_eq_u16_sdwa s[28:29], v8, s26 src0_sel:BYTE_0 src1_sel:DWORD
	s_mov_b64 s[4:5], -1
                                        ; implicit-def: $sgpr24
	s_and_saveexec_b64 s[22:23], s[28:29]
; %bb.416:                              ;   in Loop: Header=BB280_9 Depth=1
	s_mov_b32 s24, 0x7fc02000
	s_xor_b64 s[4:5], exec, -1
; %bb.417:                              ;   in Loop: Header=BB280_9 Depth=1
	s_or_b64 exec, exec, s[22:23]
	s_and_b64 s[4:5], s[4:5], exec
	s_or_saveexec_b64 s[20:21], s[20:21]
	v_mov_b32_e32 v25, s24
	s_xor_b64 exec, exec, s[20:21]
	s_cbranch_execz .LBB280_183
.LBB280_418:                            ;   in Loop: Header=BB280_9 Depth=1
	v_cmp_ne_u16_sdwa s[22:23], v8, v3 src0_sel:BYTE_0 src1_sel:DWORD
	s_andn2_b64 s[4:5], s[4:5], exec
	s_and_b64 s[22:23], s[22:23], exec
	v_mov_b32_e32 v25, 0
	s_or_b64 s[4:5], s[4:5], s[22:23]
	s_or_b64 exec, exec, s[20:21]
	s_and_saveexec_b64 s[20:21], s[4:5]
	s_cbranch_execnz .LBB280_184
	s_branch .LBB280_185
.LBB280_419:                            ;   in Loop: Header=BB280_9 Depth=1
	v_cmp_eq_u16_e64 s[4:5], s26, v2
	s_mov_b64 s[20:21], -1
                                        ; implicit-def: $sgpr28
	s_and_saveexec_b64 s[24:25], s[4:5]
; %bb.420:                              ;   in Loop: Header=BB280_9 Depth=1
	s_mov_b32 s28, 0x7fc02000
	s_xor_b64 s[20:21], exec, -1
; %bb.421:                              ;   in Loop: Header=BB280_9 Depth=1
	s_or_b64 exec, exec, s[24:25]
	s_and_b64 s[20:21], s[20:21], exec
	s_or_saveexec_b64 s[22:23], s[22:23]
	v_mov_b32_e32 v33, s28
	s_xor_b64 exec, exec, s[22:23]
	s_cbranch_execz .LBB280_187
.LBB280_422:                            ;   in Loop: Header=BB280_9 Depth=1
	v_cmp_ne_u16_e64 s[4:5], 0, v2
	s_andn2_b64 s[20:21], s[20:21], exec
	s_and_b64 s[4:5], s[4:5], exec
	v_mov_b32_e32 v33, 0
	s_or_b64 s[20:21], s[20:21], s[4:5]
	s_or_b64 exec, exec, s[22:23]
	s_and_saveexec_b64 s[22:23], s[20:21]
	s_cbranch_execnz .LBB280_188
	s_branch .LBB280_189
.LBB280_423:                            ;   in Loop: Header=BB280_9 Depth=1
	v_cmp_eq_u16_sdwa s[28:29], v2, s26 src0_sel:BYTE_0 src1_sel:DWORD
	s_mov_b64 s[4:5], -1
                                        ; implicit-def: $sgpr24
	s_and_saveexec_b64 s[22:23], s[28:29]
; %bb.424:                              ;   in Loop: Header=BB280_9 Depth=1
	s_mov_b32 s24, 0x7fc02000
	s_xor_b64 s[4:5], exec, -1
; %bb.425:                              ;   in Loop: Header=BB280_9 Depth=1
	s_or_b64 exec, exec, s[22:23]
	s_and_b64 s[4:5], s[4:5], exec
	s_or_saveexec_b64 s[20:21], s[20:21]
	v_mov_b32_e32 v18, s24
	s_xor_b64 exec, exec, s[20:21]
	s_cbranch_execz .LBB280_191
.LBB280_426:                            ;   in Loop: Header=BB280_9 Depth=1
	v_cmp_ne_u16_sdwa s[22:23], v2, v3 src0_sel:BYTE_0 src1_sel:DWORD
	s_andn2_b64 s[4:5], s[4:5], exec
	s_and_b64 s[22:23], s[22:23], exec
	v_mov_b32_e32 v18, 0
	s_or_b64 s[4:5], s[4:5], s[22:23]
	s_or_b64 exec, exec, s[20:21]
	s_and_saveexec_b64 s[20:21], s[4:5]
	s_cbranch_execnz .LBB280_192
	s_branch .LBB280_193
.LBB280_427:                            ;   in Loop: Header=BB280_9 Depth=1
	v_cmp_eq_u16_e64 s[4:5], s26, v2
	s_mov_b64 s[20:21], -1
                                        ; implicit-def: $sgpr28
	s_and_saveexec_b64 s[24:25], s[4:5]
; %bb.428:                              ;   in Loop: Header=BB280_9 Depth=1
	s_mov_b32 s28, 0x7fc02000
	s_xor_b64 s[20:21], exec, -1
; %bb.429:                              ;   in Loop: Header=BB280_9 Depth=1
	s_or_b64 exec, exec, s[24:25]
	s_and_b64 s[20:21], s[20:21], exec
	s_or_saveexec_b64 s[22:23], s[22:23]
	v_mov_b32_e32 v21, s28
	s_xor_b64 exec, exec, s[22:23]
	s_cbranch_execz .LBB280_195
.LBB280_430:                            ;   in Loop: Header=BB280_9 Depth=1
	v_cmp_ne_u16_e64 s[4:5], 0, v2
	s_andn2_b64 s[20:21], s[20:21], exec
	s_and_b64 s[4:5], s[4:5], exec
	v_mov_b32_e32 v21, 0
	s_or_b64 s[20:21], s[20:21], s[4:5]
	s_or_b64 exec, exec, s[22:23]
	s_and_saveexec_b64 s[22:23], s[20:21]
	s_cbranch_execnz .LBB280_196
	s_branch .LBB280_197
.LBB280_431:                            ;   in Loop: Header=BB280_9 Depth=1
	v_cmp_eq_u16_sdwa s[28:29], v8, s26 src0_sel:BYTE_0 src1_sel:DWORD
	s_mov_b64 s[4:5], -1
                                        ; implicit-def: $sgpr24
	s_and_saveexec_b64 s[22:23], s[28:29]
; %bb.432:                              ;   in Loop: Header=BB280_9 Depth=1
	s_mov_b32 s24, 0x7fc02000
	s_xor_b64 s[4:5], exec, -1
; %bb.433:                              ;   in Loop: Header=BB280_9 Depth=1
	s_or_b64 exec, exec, s[22:23]
	s_and_b64 s[4:5], s[4:5], exec
	s_or_saveexec_b64 s[20:21], s[20:21]
	v_mov_b32_e32 v20, s24
	s_xor_b64 exec, exec, s[20:21]
	s_cbranch_execz .LBB280_199
.LBB280_434:                            ;   in Loop: Header=BB280_9 Depth=1
	v_cmp_ne_u16_sdwa s[22:23], v8, v3 src0_sel:BYTE_0 src1_sel:DWORD
	s_andn2_b64 s[4:5], s[4:5], exec
	s_and_b64 s[22:23], s[22:23], exec
	v_mov_b32_e32 v20, 0
	s_or_b64 s[4:5], s[4:5], s[22:23]
	s_or_b64 exec, exec, s[20:21]
	s_and_saveexec_b64 s[20:21], s[4:5]
	s_cbranch_execnz .LBB280_200
	s_branch .LBB280_201
.LBB280_435:                            ;   in Loop: Header=BB280_9 Depth=1
	v_cmp_eq_u16_e64 s[4:5], s26, v2
	s_mov_b64 s[20:21], -1
                                        ; implicit-def: $sgpr28
	s_and_saveexec_b64 s[24:25], s[4:5]
; %bb.436:                              ;   in Loop: Header=BB280_9 Depth=1
	s_mov_b32 s28, 0x7fc02000
	s_xor_b64 s[20:21], exec, -1
; %bb.437:                              ;   in Loop: Header=BB280_9 Depth=1
	s_or_b64 exec, exec, s[24:25]
	s_and_b64 s[20:21], s[20:21], exec
	s_or_saveexec_b64 s[22:23], s[22:23]
	v_mov_b32_e32 v51, s28
	s_xor_b64 exec, exec, s[22:23]
	s_cbranch_execz .LBB280_203
.LBB280_438:                            ;   in Loop: Header=BB280_9 Depth=1
	v_cmp_ne_u16_e64 s[4:5], 0, v2
	s_andn2_b64 s[20:21], s[20:21], exec
	s_and_b64 s[4:5], s[4:5], exec
	v_mov_b32_e32 v51, 0
	s_or_b64 s[20:21], s[20:21], s[4:5]
	s_or_b64 exec, exec, s[22:23]
	s_and_saveexec_b64 s[22:23], s[20:21]
	s_cbranch_execnz .LBB280_204
	s_branch .LBB280_205
.LBB280_439:                            ;   in Loop: Header=BB280_9 Depth=1
	v_cmp_eq_u16_sdwa s[28:29], v2, s26 src0_sel:BYTE_0 src1_sel:DWORD
	s_mov_b64 s[4:5], -1
                                        ; implicit-def: $sgpr24
	s_and_saveexec_b64 s[22:23], s[28:29]
; %bb.440:                              ;   in Loop: Header=BB280_9 Depth=1
	s_mov_b32 s24, 0x7fc02000
	s_xor_b64 s[4:5], exec, -1
; %bb.441:                              ;   in Loop: Header=BB280_9 Depth=1
	s_or_b64 exec, exec, s[22:23]
	s_and_b64 s[4:5], s[4:5], exec
	s_or_saveexec_b64 s[20:21], s[20:21]
	v_mov_b32_e32 v52, s24
	s_xor_b64 exec, exec, s[20:21]
	s_cbranch_execz .LBB280_207
.LBB280_442:                            ;   in Loop: Header=BB280_9 Depth=1
	v_cmp_ne_u16_sdwa s[22:23], v2, v3 src0_sel:BYTE_0 src1_sel:DWORD
	s_andn2_b64 s[4:5], s[4:5], exec
	s_and_b64 s[22:23], s[22:23], exec
	v_mov_b32_e32 v52, 0
	s_or_b64 s[4:5], s[4:5], s[22:23]
	s_or_b64 exec, exec, s[20:21]
	s_and_saveexec_b64 s[20:21], s[4:5]
	s_cbranch_execnz .LBB280_208
	s_branch .LBB280_209
.LBB280_443:                            ;   in Loop: Header=BB280_9 Depth=1
	v_cmp_eq_u16_e64 s[4:5], s26, v2
	s_mov_b64 s[20:21], -1
                                        ; implicit-def: $sgpr28
	s_and_saveexec_b64 s[24:25], s[4:5]
; %bb.444:                              ;   in Loop: Header=BB280_9 Depth=1
	s_mov_b32 s28, 0x7fc02000
	s_xor_b64 s[20:21], exec, -1
; %bb.445:                              ;   in Loop: Header=BB280_9 Depth=1
	s_or_b64 exec, exec, s[24:25]
	s_and_b64 s[20:21], s[20:21], exec
	s_or_saveexec_b64 s[22:23], s[22:23]
	v_mov_b32_e32 v53, s28
	s_xor_b64 exec, exec, s[22:23]
	s_cbranch_execz .LBB280_211
.LBB280_446:                            ;   in Loop: Header=BB280_9 Depth=1
	v_cmp_ne_u16_e64 s[4:5], 0, v2
	s_andn2_b64 s[20:21], s[20:21], exec
	s_and_b64 s[4:5], s[4:5], exec
	v_mov_b32_e32 v53, 0
	s_or_b64 s[20:21], s[20:21], s[4:5]
	s_or_b64 exec, exec, s[22:23]
	s_and_saveexec_b64 s[22:23], s[20:21]
	s_cbranch_execnz .LBB280_212
	s_branch .LBB280_213
.LBB280_447:                            ;   in Loop: Header=BB280_9 Depth=1
	v_cmp_eq_u16_sdwa s[28:29], v8, s26 src0_sel:BYTE_0 src1_sel:DWORD
	s_mov_b64 s[4:5], -1
                                        ; implicit-def: $sgpr24
	s_and_saveexec_b64 s[22:23], s[28:29]
; %bb.448:                              ;   in Loop: Header=BB280_9 Depth=1
	s_mov_b32 s24, 0x7fc02000
	s_xor_b64 s[4:5], exec, -1
; %bb.449:                              ;   in Loop: Header=BB280_9 Depth=1
	s_or_b64 exec, exec, s[22:23]
	s_and_b64 s[4:5], s[4:5], exec
	s_or_saveexec_b64 s[20:21], s[20:21]
	v_mov_b32_e32 v23, s24
	s_xor_b64 exec, exec, s[20:21]
	s_cbranch_execz .LBB280_215
.LBB280_450:                            ;   in Loop: Header=BB280_9 Depth=1
	v_cmp_ne_u16_sdwa s[22:23], v8, v3 src0_sel:BYTE_0 src1_sel:DWORD
	s_andn2_b64 s[4:5], s[4:5], exec
	s_and_b64 s[22:23], s[22:23], exec
	v_mov_b32_e32 v23, 0
	s_or_b64 s[4:5], s[4:5], s[22:23]
	s_or_b64 exec, exec, s[20:21]
	s_and_saveexec_b64 s[20:21], s[4:5]
	s_cbranch_execnz .LBB280_216
	s_branch .LBB280_217
.LBB280_451:                            ;   in Loop: Header=BB280_9 Depth=1
	v_cmp_eq_u16_e64 s[4:5], s26, v2
	s_mov_b64 s[20:21], -1
                                        ; implicit-def: $sgpr28
	s_and_saveexec_b64 s[24:25], s[4:5]
; %bb.452:                              ;   in Loop: Header=BB280_9 Depth=1
	s_mov_b32 s28, 0x7fc02000
	s_xor_b64 s[20:21], exec, -1
; %bb.453:                              ;   in Loop: Header=BB280_9 Depth=1
	s_or_b64 exec, exec, s[24:25]
	s_and_b64 s[20:21], s[20:21], exec
	s_or_saveexec_b64 s[22:23], s[22:23]
	v_mov_b32_e32 v22, s28
	s_xor_b64 exec, exec, s[22:23]
	s_cbranch_execz .LBB280_219
.LBB280_454:                            ;   in Loop: Header=BB280_9 Depth=1
	v_cmp_ne_u16_e64 s[4:5], 0, v2
	s_andn2_b64 s[20:21], s[20:21], exec
	s_and_b64 s[4:5], s[4:5], exec
	v_mov_b32_e32 v22, 0
	s_or_b64 s[20:21], s[20:21], s[4:5]
	s_or_b64 exec, exec, s[22:23]
	s_and_saveexec_b64 s[22:23], s[20:21]
	s_cbranch_execnz .LBB280_220
	s_branch .LBB280_221
.LBB280_455:                            ;   in Loop: Header=BB280_9 Depth=1
	v_cmp_eq_u16_sdwa s[28:29], v2, s26 src0_sel:BYTE_0 src1_sel:DWORD
	s_mov_b64 s[4:5], -1
                                        ; implicit-def: $sgpr24
	s_and_saveexec_b64 s[22:23], s[28:29]
; %bb.456:                              ;   in Loop: Header=BB280_9 Depth=1
	s_mov_b32 s24, 0x7fc02000
	s_xor_b64 s[4:5], exec, -1
; %bb.457:                              ;   in Loop: Header=BB280_9 Depth=1
	s_or_b64 exec, exec, s[22:23]
	s_and_b64 s[4:5], s[4:5], exec
	s_or_saveexec_b64 s[20:21], s[20:21]
	v_mov_b32_e32 v54, s24
	s_xor_b64 exec, exec, s[20:21]
	s_cbranch_execz .LBB280_223
.LBB280_458:                            ;   in Loop: Header=BB280_9 Depth=1
	v_cmp_ne_u16_sdwa s[22:23], v2, v3 src0_sel:BYTE_0 src1_sel:DWORD
	s_andn2_b64 s[4:5], s[4:5], exec
	s_and_b64 s[22:23], s[22:23], exec
	v_mov_b32_e32 v54, 0
	s_or_b64 s[4:5], s[4:5], s[22:23]
	s_or_b64 exec, exec, s[20:21]
	s_and_saveexec_b64 s[20:21], s[4:5]
	s_cbranch_execnz .LBB280_224
	s_branch .LBB280_225
.LBB280_459:                            ;   in Loop: Header=BB280_9 Depth=1
	v_cmp_eq_u16_e64 s[4:5], s26, v2
	s_mov_b64 s[20:21], -1
                                        ; implicit-def: $sgpr28
	s_and_saveexec_b64 s[24:25], s[4:5]
; %bb.460:                              ;   in Loop: Header=BB280_9 Depth=1
	s_mov_b32 s28, 0x7fc02000
	s_xor_b64 s[20:21], exec, -1
; %bb.461:                              ;   in Loop: Header=BB280_9 Depth=1
	s_or_b64 exec, exec, s[24:25]
	s_and_b64 s[20:21], s[20:21], exec
	s_or_saveexec_b64 s[22:23], s[22:23]
	v_mov_b32_e32 v55, s28
	s_xor_b64 exec, exec, s[22:23]
	s_cbranch_execz .LBB280_227
.LBB280_462:                            ;   in Loop: Header=BB280_9 Depth=1
	v_cmp_ne_u16_e64 s[4:5], 0, v2
	s_andn2_b64 s[20:21], s[20:21], exec
	s_and_b64 s[4:5], s[4:5], exec
	v_mov_b32_e32 v55, 0
	s_or_b64 s[20:21], s[20:21], s[4:5]
	s_or_b64 exec, exec, s[22:23]
	s_and_saveexec_b64 s[22:23], s[20:21]
	s_cbranch_execnz .LBB280_228
	s_branch .LBB280_229
.LBB280_463:                            ;   in Loop: Header=BB280_9 Depth=1
	v_cmp_eq_u16_sdwa s[28:29], v8, s26 src0_sel:BYTE_0 src1_sel:DWORD
	s_mov_b64 s[4:5], -1
                                        ; implicit-def: $sgpr24
	s_and_saveexec_b64 s[22:23], s[28:29]
; %bb.464:                              ;   in Loop: Header=BB280_9 Depth=1
	s_mov_b32 s24, 0x7fc02000
	s_xor_b64 s[4:5], exec, -1
; %bb.465:                              ;   in Loop: Header=BB280_9 Depth=1
	s_or_b64 exec, exec, s[22:23]
	s_and_b64 s[4:5], s[4:5], exec
	s_or_saveexec_b64 s[20:21], s[20:21]
	v_mov_b32_e32 v40, s24
	s_xor_b64 exec, exec, s[20:21]
	s_cbranch_execz .LBB280_231
.LBB280_466:                            ;   in Loop: Header=BB280_9 Depth=1
	v_cmp_ne_u16_sdwa s[22:23], v8, v3 src0_sel:BYTE_0 src1_sel:DWORD
	s_andn2_b64 s[4:5], s[4:5], exec
	s_and_b64 s[22:23], s[22:23], exec
	v_mov_b32_e32 v40, 0
	s_or_b64 s[4:5], s[4:5], s[22:23]
	s_or_b64 exec, exec, s[20:21]
	s_and_saveexec_b64 s[20:21], s[4:5]
	s_cbranch_execnz .LBB280_232
	s_branch .LBB280_233
.LBB280_467:                            ;   in Loop: Header=BB280_9 Depth=1
	v_cmp_eq_u16_e64 s[4:5], s26, v2
	s_mov_b64 s[20:21], -1
                                        ; implicit-def: $sgpr28
	s_and_saveexec_b64 s[24:25], s[4:5]
; %bb.468:                              ;   in Loop: Header=BB280_9 Depth=1
	s_mov_b32 s28, 0x7fc02000
	s_xor_b64 s[20:21], exec, -1
; %bb.469:                              ;   in Loop: Header=BB280_9 Depth=1
	s_or_b64 exec, exec, s[24:25]
	s_and_b64 s[20:21], s[20:21], exec
	s_or_saveexec_b64 s[22:23], s[22:23]
	v_mov_b32_e32 v41, s28
	s_xor_b64 exec, exec, s[22:23]
	s_cbranch_execz .LBB280_235
.LBB280_470:                            ;   in Loop: Header=BB280_9 Depth=1
	v_cmp_ne_u16_e64 s[4:5], 0, v2
	s_andn2_b64 s[20:21], s[20:21], exec
	s_and_b64 s[4:5], s[4:5], exec
	v_mov_b32_e32 v41, 0
	s_or_b64 s[20:21], s[20:21], s[4:5]
	s_or_b64 exec, exec, s[22:23]
	s_and_saveexec_b64 s[22:23], s[20:21]
	s_cbranch_execnz .LBB280_236
	s_branch .LBB280_237
.LBB280_471:                            ;   in Loop: Header=BB280_9 Depth=1
	v_cmp_eq_u16_sdwa s[28:29], v2, s26 src0_sel:BYTE_0 src1_sel:DWORD
	s_mov_b64 s[4:5], -1
                                        ; implicit-def: $sgpr24
	s_and_saveexec_b64 s[22:23], s[28:29]
; %bb.472:                              ;   in Loop: Header=BB280_9 Depth=1
	s_mov_b32 s24, 0x7fc02000
	s_xor_b64 s[4:5], exec, -1
; %bb.473:                              ;   in Loop: Header=BB280_9 Depth=1
	s_or_b64 exec, exec, s[22:23]
	s_and_b64 s[4:5], s[4:5], exec
	s_or_saveexec_b64 s[20:21], s[20:21]
	v_mov_b32_e32 v42, s24
	s_xor_b64 exec, exec, s[20:21]
	s_cbranch_execz .LBB280_239
.LBB280_474:                            ;   in Loop: Header=BB280_9 Depth=1
	v_cmp_ne_u16_sdwa s[22:23], v2, v3 src0_sel:BYTE_0 src1_sel:DWORD
	s_andn2_b64 s[4:5], s[4:5], exec
	s_and_b64 s[22:23], s[22:23], exec
	v_mov_b32_e32 v42, 0
	s_or_b64 s[4:5], s[4:5], s[22:23]
	s_or_b64 exec, exec, s[20:21]
	s_and_saveexec_b64 s[20:21], s[4:5]
	s_cbranch_execnz .LBB280_240
	s_branch .LBB280_241
.LBB280_475:                            ;   in Loop: Header=BB280_9 Depth=1
	v_cmp_eq_u16_e64 s[4:5], s26, v2
	s_mov_b64 s[20:21], -1
                                        ; implicit-def: $sgpr28
	s_and_saveexec_b64 s[24:25], s[4:5]
; %bb.476:                              ;   in Loop: Header=BB280_9 Depth=1
	s_mov_b32 s28, 0x7fc02000
	s_xor_b64 s[20:21], exec, -1
; %bb.477:                              ;   in Loop: Header=BB280_9 Depth=1
	s_or_b64 exec, exec, s[24:25]
	s_and_b64 s[20:21], s[20:21], exec
	s_or_saveexec_b64 s[22:23], s[22:23]
	v_mov_b32_e32 v17, s28
	s_xor_b64 exec, exec, s[22:23]
	s_cbranch_execz .LBB280_243
.LBB280_478:                            ;   in Loop: Header=BB280_9 Depth=1
	v_cmp_ne_u16_e64 s[4:5], 0, v2
	s_andn2_b64 s[20:21], s[20:21], exec
	s_and_b64 s[4:5], s[4:5], exec
	v_mov_b32_e32 v17, 0
	s_or_b64 s[20:21], s[20:21], s[4:5]
	s_or_b64 exec, exec, s[22:23]
	s_and_saveexec_b64 s[22:23], s[20:21]
	s_cbranch_execnz .LBB280_244
	s_branch .LBB280_245
.LBB280_479:                            ;   in Loop: Header=BB280_9 Depth=1
	v_cmp_eq_u16_sdwa s[28:29], v8, s26 src0_sel:BYTE_0 src1_sel:DWORD
	s_mov_b64 s[4:5], -1
                                        ; implicit-def: $sgpr24
	s_and_saveexec_b64 s[22:23], s[28:29]
; %bb.480:                              ;   in Loop: Header=BB280_9 Depth=1
	s_mov_b32 s24, 0x7fc02000
	s_xor_b64 s[4:5], exec, -1
; %bb.481:                              ;   in Loop: Header=BB280_9 Depth=1
	s_or_b64 exec, exec, s[22:23]
	s_and_b64 s[4:5], s[4:5], exec
	s_or_saveexec_b64 s[20:21], s[20:21]
	v_mov_b32_e32 v43, s24
	s_xor_b64 exec, exec, s[20:21]
	s_cbranch_execz .LBB280_247
.LBB280_482:                            ;   in Loop: Header=BB280_9 Depth=1
	v_cmp_ne_u16_sdwa s[22:23], v8, v3 src0_sel:BYTE_0 src1_sel:DWORD
	s_andn2_b64 s[4:5], s[4:5], exec
	s_and_b64 s[22:23], s[22:23], exec
	v_mov_b32_e32 v43, 0
	s_or_b64 s[4:5], s[4:5], s[22:23]
	s_or_b64 exec, exec, s[20:21]
	s_and_saveexec_b64 s[20:21], s[4:5]
	s_cbranch_execnz .LBB280_248
	s_branch .LBB280_249
.LBB280_483:                            ;   in Loop: Header=BB280_9 Depth=1
	v_cmp_eq_u16_e64 s[4:5], s26, v2
	s_mov_b64 s[20:21], -1
                                        ; implicit-def: $sgpr28
	s_and_saveexec_b64 s[24:25], s[4:5]
; %bb.484:                              ;   in Loop: Header=BB280_9 Depth=1
	s_mov_b32 s28, 0x7fc02000
	s_xor_b64 s[20:21], exec, -1
; %bb.485:                              ;   in Loop: Header=BB280_9 Depth=1
	s_or_b64 exec, exec, s[24:25]
	s_and_b64 s[20:21], s[20:21], exec
	s_or_saveexec_b64 s[22:23], s[22:23]
	v_mov_b32_e32 v45, s28
	s_xor_b64 exec, exec, s[22:23]
	s_cbranch_execz .LBB280_251
.LBB280_486:                            ;   in Loop: Header=BB280_9 Depth=1
	v_cmp_ne_u16_e64 s[4:5], 0, v2
	s_andn2_b64 s[20:21], s[20:21], exec
	s_and_b64 s[4:5], s[4:5], exec
	v_mov_b32_e32 v45, 0
	s_or_b64 s[20:21], s[20:21], s[4:5]
	s_or_b64 exec, exec, s[22:23]
	s_and_saveexec_b64 s[22:23], s[20:21]
	s_cbranch_execnz .LBB280_252
	s_branch .LBB280_253
.LBB280_487:                            ;   in Loop: Header=BB280_9 Depth=1
	v_cmp_eq_u16_sdwa s[28:29], v2, s26 src0_sel:BYTE_0 src1_sel:DWORD
	s_mov_b64 s[4:5], -1
                                        ; implicit-def: $sgpr24
	s_and_saveexec_b64 s[22:23], s[28:29]
; %bb.488:                              ;   in Loop: Header=BB280_9 Depth=1
	s_mov_b32 s24, 0x7fc02000
	s_xor_b64 s[4:5], exec, -1
; %bb.489:                              ;   in Loop: Header=BB280_9 Depth=1
	s_or_b64 exec, exec, s[22:23]
	s_and_b64 s[4:5], s[4:5], exec
	s_or_saveexec_b64 s[20:21], s[20:21]
	v_mov_b32_e32 v47, s24
	s_xor_b64 exec, exec, s[20:21]
	s_cbranch_execz .LBB280_255
.LBB280_490:                            ;   in Loop: Header=BB280_9 Depth=1
	v_cmp_ne_u16_sdwa s[22:23], v2, v3 src0_sel:BYTE_0 src1_sel:DWORD
	s_andn2_b64 s[4:5], s[4:5], exec
	s_and_b64 s[22:23], s[22:23], exec
	v_mov_b32_e32 v47, 0
	s_or_b64 s[4:5], s[4:5], s[22:23]
	s_or_b64 exec, exec, s[20:21]
	s_and_saveexec_b64 s[20:21], s[4:5]
	s_cbranch_execnz .LBB280_256
	s_branch .LBB280_257
.LBB280_491:
	s_or_b64 exec, exec, s[18:19]
.LBB280_492:
	s_or_b64 exec, exec, s[6:7]
	scratch_load_dword v3, off, s32 offset:112 ; 4-byte Folded Reload
	v_accvgpr_read_b32 v9, a22
	v_xor_b32_e32 v0, 32, v9
	v_cmp_lt_i32_e32 vcc, v0, v1
	v_xor_b32_e32 v4, 16, v9
	v_xor_b32_e32 v5, 8, v9
	v_cndmask_b32_e32 v0, v9, v0, vcc
	s_waitcnt lgkmcnt(0)
	v_lshlrev_b32_e32 v2, 2, v0
	v_cmp_lt_i32_e32 vcc, v4, v1
	v_xor_b32_e32 v6, 4, v9
	v_xor_b32_e32 v8, 2, v9
	s_lshr_b32 s15, s15, 16
	s_waitcnt vmcnt(0)
	ds_bpermute_b32 v0, v2, v3
	v_max_f32_e32 v3, v3, v3
	s_waitcnt lgkmcnt(0)
	v_max_f32_e32 v0, v0, v0
	v_max_f32_e32 v0, v3, v0
	v_cndmask_b32_e32 v3, v9, v4, vcc
	v_lshlrev_b32_e32 v3, 2, v3
	ds_bpermute_b32 v4, v3, v0
	v_cmp_lt_i32_e32 vcc, v5, v1
	s_waitcnt lgkmcnt(0)
	v_max_f32_e32 v4, v4, v4
	v_max_f32_e32 v0, v0, v4
	v_cndmask_b32_e32 v4, v9, v5, vcc
	v_lshlrev_b32_e32 v4, 2, v4
	ds_bpermute_b32 v5, v4, v0
	v_cmp_lt_i32_e32 vcc, v6, v1
	;; [unrolled: 7-line block ×3, first 2 shown]
	s_waitcnt lgkmcnt(0)
	v_max_f32_e32 v6, v6, v6
	v_max_f32_e32 v7, v0, v6
	v_cndmask_b32_e32 v0, v9, v8, vcc
	v_lshlrev_b32_e32 v19, 2, v0
	ds_bpermute_b32 v8, v19, v7
	v_accvgpr_read_b32 v0, a2
	v_and_b32_e32 v0, 63, v0
	v_accvgpr_read_b32 v6, a7
	v_cmp_eq_u32_e32 vcc, 0, v0
	v_lshlrev_b32_e32 v6, 2, v6
	s_and_saveexec_b64 s[2:3], vcc
	s_cbranch_execz .LBB280_494
; %bb.493:
	s_waitcnt lgkmcnt(0)
	v_max_f32_e32 v8, v8, v8
	v_max_f32_e32 v7, v7, v7
	;; [unrolled: 1-line block ×3, first 2 shown]
	ds_write_b32 v6, v7 offset:240
.LBB280_494:
	s_or_b64 exec, exec, s[2:3]
	v_cmp_gt_u32_e64 s[2:3], 2, v0
	s_waitcnt lgkmcnt(0)
	v_mov_b32_e32 v8, 0xff7fffff
	v_lshlrev_b32_e32 v7, 2, v0
	s_barrier
	s_and_saveexec_b64 s[4:5], s[2:3]
	s_cbranch_execz .LBB280_496
; %bb.495:
	ds_read_b32 v8, v7 offset:240
.LBB280_496:
	s_or_b64 exec, exec, s[4:5]
	v_accvgpr_read_b32 v10, a22
	v_xor_b32_e32 v9, 1, v10
	v_cmp_lt_i32_e64 s[4:5], v9, v1
	s_nop 1
	v_cndmask_b32_e64 v1, v10, v9, s[4:5]
	v_lshlrev_b32_e32 v49, 2, v1
	s_waitcnt lgkmcnt(0)
	ds_bpermute_b32 v1, v49, v8
	v_max_f32_e32 v8, v8, v8
	v_lshlrev_b32_e32 v9, 2, v10
	v_accvgpr_read_b32 v10, a8
	s_waitcnt lgkmcnt(0)
	v_max_f32_e32 v1, v1, v1
	v_max_f32_e32 v1, v8, v1
	v_and_b32_e32 v8, 0xffffff00, v9
	ds_bpermute_b32 v9, v8, v1
	v_accvgpr_read_b32 v1, a3
	v_lshlrev_b32_e32 v1, 5, v1
	v_min_i32_e32 v1, v1, v10
	v_accvgpr_read_b32 v10, a2
	v_cmp_lt_i32_e64 s[4:5], v10, v1
	v_mov_b32_e32 v10, 0
	s_and_saveexec_b64 s[8:9], s[4:5]
	s_cbranch_execz .LBB280_500
; %bb.497:
	s_ashr_i32 s17, s16, 31
	s_lshl_b64 s[6:7], s[16:17], 2
	s_getpc_b64 s[18:19]
	s_add_u32 s18, s18, llvm.amdgcn.dynlds.offset.table@rel32@lo+4
	s_addc_u32 s19, s19, llvm.amdgcn.dynlds.offset.table@rel32@hi+12
	s_add_u32 s6, s6, s18
	s_addc_u32 s7, s7, s19
	s_load_dword s6, s[6:7], 0x0
	v_accvgpr_read_b32 v13, a2
	s_mov_b64 s[18:19], 0
	v_mov_b32_e32 v10, 0
	s_waitcnt lgkmcnt(0)
	v_lshl_add_u32 v11, v13, 2, s6
.LBB280_498:                            ; =>This Inner Loop Header: Depth=1
	ds_read_b32 v12, v11
	v_add_u32_e32 v13, 0x80, v13
	v_cmp_ge_i32_e64 s[6:7], v13, v1
	s_or_b64 s[18:19], s[6:7], s[18:19]
	s_waitcnt lgkmcnt(0)
	v_sub_f32_e32 v12, v12, v9
	v_mul_f32_e32 v12, 0x3fb8aa3b, v12
	v_exp_f32_e32 v12, v12
	ds_write_b32 v11, v12
	v_add_f32_e32 v10, v10, v12
	v_add_u32_e32 v11, 0x200, v11
	s_andn2_b64 exec, exec, s[18:19]
	s_cbranch_execnz .LBB280_498
; %bb.499:
	s_or_b64 exec, exec, s[18:19]
.LBB280_500:
	s_or_b64 exec, exec, s[8:9]
	ds_bpermute_b32 v2, v2, v10
	s_waitcnt lgkmcnt(0)
	v_add_f32_e32 v2, v10, v2
	ds_bpermute_b32 v3, v3, v2
	s_waitcnt lgkmcnt(0)
	v_add_f32_e32 v2, v2, v3
	;; [unrolled: 3-line block ×6, first 2 shown]
	s_and_saveexec_b64 s[6:7], vcc
	s_cbranch_execz .LBB280_502
; %bb.501:
	ds_write_b32 v6, v2 offset:248
.LBB280_502:
	s_or_b64 exec, exec, s[6:7]
	s_waitcnt lgkmcnt(0)
	s_barrier
	s_and_saveexec_b64 s[6:7], s[2:3]
	s_cbranch_execz .LBB280_504
; %bb.503:
	ds_read_b32 v2, v7 offset:248
.LBB280_504:
	s_or_b64 exec, exec, s[6:7]
	s_waitcnt lgkmcnt(0)
	ds_bpermute_b32 v3, v49, v2
	s_waitcnt lgkmcnt(0)
	v_add_f32_e32 v2, v2, v3
	ds_bpermute_b32 v2, v8, v2
	s_and_saveexec_b64 s[2:3], s[4:5]
	s_cbranch_execz .LBB280_517
; %bb.505:
	s_waitcnt lgkmcnt(0)
	v_add_f32_e32 v2, 0x358637bd, v2
	v_div_scale_f32 v3, s[4:5], v2, v2, 1.0
	v_rcp_f32_e32 v4, v3
	v_div_scale_f32 v5, vcc, 1.0, v2, 1.0
	s_movk_i32 s4, 0x7f
	v_fma_f32 v6, -v3, v4, 1.0
	v_fmac_f32_e32 v4, v6, v4
	v_mul_f32_e32 v6, v5, v4
	v_fma_f32 v7, -v3, v6, v5
	v_fmac_f32_e32 v6, v7, v4
	v_fma_f32 v3, -v3, v6, v5
	v_div_fmas_f32 v3, v3, v4, v6
	v_div_fixup_f32 v2, v3, v2, 1.0
	v_accvgpr_read_b32 v3, a2
	v_xad_u32 v4, v3, -1, v1
	v_cmp_lt_u32_e32 vcc, s4, v4
	s_mov_b64 s[6:7], -1
	s_and_saveexec_b64 s[4:5], vcc
	s_cbranch_execz .LBB280_514
; %bb.506:
	v_lshrrev_b32_e32 v4, 7, v4
	v_add_u32_e32 v6, -1, v4
	v_lshrrev_b32_e32 v5, 1, v6
	v_mov_b32_e32 v3, v2
	v_add_u32_e32 v5, 1, v5
	v_cmp_lt_u32_e32 vcc, 13, v6
	v_mov_b32_e32 v8, 0
	s_and_saveexec_b64 s[6:7], vcc
	s_cbranch_execz .LBB280_510
; %bb.507:
	s_ashr_i32 s17, s16, 31
	s_lshl_b64 s[8:9], s[16:17], 2
	s_getpc_b64 s[18:19]
	s_add_u32 s18, s18, llvm.amdgcn.dynlds.offset.table@rel32@lo+4
	s_addc_u32 s19, s19, llvm.amdgcn.dynlds.offset.table@rel32@hi+12
	s_add_u32 s8, s8, s18
	s_addc_u32 s9, s9, s19
	s_load_dword s8, s[8:9], 0x0
	v_accvgpr_read_b32 v7, a2
	v_and_b32_e32 v6, -8, v5
	s_mov_b32 s17, 0
	s_waitcnt lgkmcnt(0)
	v_lshl_add_u32 v7, v7, 2, s8
	s_mov_b64 s[8:9], 0
.LBB280_508:                            ; =>This Inner Loop Header: Depth=1
	ds_read2st64_b32 v[8:9], v7 offset1:2
	ds_read2st64_b32 v[10:11], v7 offset0:4 offset1:6
	ds_read2st64_b32 v[14:15], v7 offset0:8 offset1:10
	;; [unrolled: 1-line block ×3, first 2 shown]
	v_add_u32_e32 v6, -8, v6
	s_waitcnt lgkmcnt(3)
	v_pk_mul_f32 v[8:9], v[2:3], v[8:9]
	s_waitcnt lgkmcnt(2)
	v_pk_mul_f32 v[10:11], v[2:3], v[10:11]
	ds_write2st64_b32 v7, v8, v9 offset1:2
	ds_write2st64_b32 v7, v10, v11 offset0:4 offset1:6
	ds_read2st64_b32 v[10:11], v7 offset0:16 offset1:18
	s_waitcnt lgkmcnt(4)
	v_pk_mul_f32 v[8:9], v[2:3], v[14:15]
	ds_write2st64_b32 v7, v8, v9 offset0:8 offset1:10
	s_waitcnt lgkmcnt(4)
	v_pk_mul_f32 v[8:9], v[2:3], v[16:17]
	ds_write2st64_b32 v7, v8, v9 offset0:12 offset1:14
	ds_read2st64_b32 v[8:9], v7 offset0:20 offset1:22
	s_waitcnt lgkmcnt(3)
	v_pk_mul_f32 v[10:11], v[2:3], v[10:11]
	ds_read2st64_b32 v[14:15], v7 offset0:24 offset1:26
	ds_write2st64_b32 v7, v10, v11 offset0:16 offset1:18
	ds_read2st64_b32 v[10:11], v7 offset0:28 offset1:30
	s_waitcnt lgkmcnt(3)
	v_pk_mul_f32 v[8:9], v[2:3], v[8:9]
	ds_write2st64_b32 v7, v8, v9 offset0:20 offset1:22
	s_waitcnt lgkmcnt(3)
	v_pk_mul_f32 v[8:9], v[2:3], v[14:15]
	ds_write2st64_b32 v7, v8, v9 offset0:24 offset1:26
	s_waitcnt lgkmcnt(2)
	v_pk_mul_f32 v[8:9], v[2:3], v[10:11]
	s_add_i32 s17, s17, 16
	v_cmp_eq_u32_e32 vcc, 0, v6
	ds_write2st64_b32 v7, v8, v9 offset0:28 offset1:30
	v_add_u32_e32 v7, 0x2000, v7
	s_or_b64 s[8:9], vcc, s[8:9]
	v_mov_b32_e32 v8, s17
	s_andn2_b64 exec, exec, s[8:9]
	s_cbranch_execnz .LBB280_508
; %bb.509:
	s_or_b64 exec, exec, s[8:9]
.LBB280_510:
	s_or_b64 exec, exec, s[6:7]
	v_and_b32_e32 v5, 7, v5
	v_cmp_ne_u32_e32 vcc, 0, v5
	s_and_saveexec_b64 s[6:7], vcc
	s_cbranch_execz .LBB280_513
; %bb.511:
	s_ashr_i32 s17, s16, 31
	s_lshl_b64 s[8:9], s[16:17], 2
	s_getpc_b64 s[18:19]
	s_add_u32 s18, s18, llvm.amdgcn.dynlds.offset.table@rel32@lo+4
	s_addc_u32 s19, s19, llvm.amdgcn.dynlds.offset.table@rel32@hi+12
	s_add_u32 s8, s8, s18
	s_addc_u32 s9, s9, s19
	s_load_dword s8, s[8:9], 0x0
	v_accvgpr_read_b32 v7, a2
	v_lshlrev_b32_e32 v6, 9, v8
	v_lshlrev_b32_e32 v7, 2, v7
	s_waitcnt lgkmcnt(0)
	v_add3_u32 v6, v6, v7, s8
	s_mov_b64 s[8:9], 0
.LBB280_512:                            ; =>This Inner Loop Header: Depth=1
	ds_read2st64_b32 v[8:9], v6 offset1:2
	v_add_u32_e32 v5, -1, v5
	v_cmp_eq_u32_e32 vcc, 0, v5
	s_or_b64 s[8:9], vcc, s[8:9]
	s_waitcnt lgkmcnt(0)
	v_pk_mul_f32 v[8:9], v[2:3], v[8:9]
	ds_write2st64_b32 v6, v8, v9 offset1:2
	v_add_u32_e32 v6, 0x400, v6
	s_andn2_b64 exec, exec, s[8:9]
	s_cbranch_execnz .LBB280_512
.LBB280_513:
	s_or_b64 exec, exec, s[6:7]
	v_add_u32_e32 v4, 1, v4
	v_and_b32_e32 v5, 0x3fffffe, v4
	v_accvgpr_read_b32 v3, a2
	v_cmp_ne_u32_e32 vcc, v4, v5
	v_lshl_add_u32 v3, v5, 7, v3
	s_orn2_b64 s[6:7], vcc, exec
.LBB280_514:
	s_or_b64 exec, exec, s[4:5]
	s_and_b64 exec, exec, s[6:7]
	s_cbranch_execz .LBB280_517
; %bb.515:
	s_ashr_i32 s17, s16, 31
	s_lshl_b64 s[4:5], s[16:17], 2
	s_getpc_b64 s[6:7]
	s_add_u32 s6, s6, llvm.amdgcn.dynlds.offset.table@rel32@lo+4
	s_addc_u32 s7, s7, llvm.amdgcn.dynlds.offset.table@rel32@hi+12
	s_add_u32 s4, s4, s6
	s_addc_u32 s5, s5, s7
	s_load_dword s4, s[4:5], 0x0
	s_waitcnt lgkmcnt(0)
	v_lshl_add_u32 v4, v3, 2, s4
	s_mov_b64 s[4:5], 0
.LBB280_516:                            ; =>This Inner Loop Header: Depth=1
	ds_read_b32 v5, v4
	v_add_u32_e32 v3, 0x80, v3
	v_cmp_ge_i32_e32 vcc, v3, v1
	s_or_b64 s[4:5], vcc, s[4:5]
	s_waitcnt lgkmcnt(0)
	v_mul_f32_e32 v5, v2, v5
	ds_write_b32 v4, v5
	v_add_u32_e32 v4, 0x200, v4
	s_andn2_b64 exec, exec, s[4:5]
	s_cbranch_execnz .LBB280_516
.LBB280_517:
	s_or_b64 exec, exec, s[2:3]
	v_mov_b32_e32 v3, 0
	v_lshrrev_b32_e32 v51, 2, v0
	v_accvgpr_read_b32 v0, a2
	v_and_b32_e32 v50, 3, v0
	s_waitcnt lgkmcnt(0)
	v_mov_b32_e32 v2, v3
	v_mov_b32_e32 v5, v3
	;; [unrolled: 1-line block ×7, first 2 shown]
	s_barrier
	s_and_saveexec_b64 s[4:5], s[0:1]
	s_cbranch_execz .LBB280_1051
; %bb.518:
	v_accvgpr_read_b32 v0, a14
	v_and_b32_e32 v2, 24, v0
	v_accvgpr_read_b32 v0, a12
	v_accvgpr_read_b32 v4, a18
	;; [unrolled: 1-line block ×4, first 2 shown]
	v_lshl_add_u64 v[6:7], v[0:1], 0, v[4:5]
	v_accvgpr_read_b32 v0, a3
	v_add_u32_e32 v52, -1, v0
	v_or_b32_e32 v0, 0x70, v51
	s_movk_i32 s0, 0x78
	s_ashr_i32 s17, s16, 31
	v_cmp_gt_u32_e32 vcc, s0, v0
	s_lshl_b64 s[0:1], s[16:17], 2
	s_getpc_b64 s[2:3]
	s_add_u32 s2, s2, llvm.amdgcn.dynlds.offset.table@rel32@lo+4
	s_addc_u32 s3, s3, llvm.amdgcn.dynlds.offset.table@rel32@hi+12
	s_add_u32 s0, s0, s2
	v_lshl_or_b32 v24, v0, 5, v2
	s_addc_u32 s1, s1, s3
	v_accvgpr_read_b32 v0, a9
	s_load_dword s0, s[0:1], 0x0
	v_and_b32_e32 v16, 60, v0
	v_accvgpr_read_b32 v0, a16
	v_mov_b32_e32 v17, 0
	v_accvgpr_read_b32 v1, a17
	v_accvgpr_read_b32 v4, a10
	v_lshl_add_u64 v[0:1], v[0:1], 2, v[16:17]
	v_accvgpr_read_b32 v5, a11
	v_lshl_add_u64 v[10:11], v[4:5], 0, v[0:1]
	v_accvgpr_read_b32 v1, a7
	v_lshlrev_b32_e32 v0, 5, v50
	v_lshl_or_b32 v0, v1, 7, v0
	v_lshl_or_b32 v14, v51, 5, v2
	v_mov_b32_e32 v15, v17
	v_mov_b32_e32 v25, v17
	v_accvgpr_read_b32 v13, a8
	v_lshl_or_b32 v53, v1, 5, v2
	s_waitcnt lgkmcnt(0)
	v_add_u32_e32 v54, s0, v0
	s_mov_b64 s[6:7], 0
	s_movk_i32 s17, 0x7f
	s_movk_i32 s24, 0x80
	s_mov_b32 s25, 0x8000
	s_movk_i32 s26, 0x380
	s_mov_b32 s27, 0x3020706
	s_mov_b32 s28, 0x1000504
	;; [unrolled: 1-line block ×3, first 2 shown]
	v_mov_b32_e32 v55, 0x1c00
	v_mov_b32_e32 v20, v17
	v_mov_b32_e32 v21, v17
	v_mov_b32_e32 v8, v17
	v_mov_b32_e32 v9, v17
	v_mov_b32_e32 v4, v17
	v_mov_b32_e32 v5, v17
	v_mov_b32_e32 v2, v17
	v_mov_b32_e32 v3, v17
	s_branch .LBB280_521
.LBB280_519:                            ;   in Loop: Header=BB280_521 Depth=1
	s_or_b64 exec, exec, s[2:3]
	;;#ASMSTART
	v_pk_mul_f16 v12, v43, v22;

	;;#ASMEND
	;;#ASMSTART
	v_pk_mul_f16 v16, v42, v16;

	;;#ASMEND
	;; [unrolled: 4-line block ×4, first 2 shown]
	s_nop 0
	;;#ASMSTART
	v_pk_add_f16 v12, v12, v16;

	;;#ASMEND
	s_nop 0
	;;#ASMSTART
	v_pk_add_f16 v0, v12, v0;

	;;#ASMEND
	;; [unrolled: 5-line block ×3, first 2 shown]
	s_nop 0
	v_lshrrev_b32_e32 v1, 16, v0
	v_and_b32_e32 v0, 0xffff, v0
	;;#ASMSTART
	v_cvt_f32_f16 v0, v0;
	;;#ASMEND
	;;#ASMSTART
	v_cvt_f32_f16 v1, v1;
	;;#ASMEND
	s_nop 0
	v_add_f32_e32 v0, v0, v1
	v_add_f32_e32 v3, v3, v0
.LBB280_520:                            ;   in Loop: Header=BB280_521 Depth=1
	s_or_b64 exec, exec, s[8:9]
	v_accvgpr_read_b32 v1, a7
	v_add_u32_e32 v1, 2, v1
	v_accvgpr_read_b32 v0, a3
	v_cmp_ge_i32_e64 s[0:1], v1, v0
	v_lshl_add_u64 v[10:11], v[10:11], 0, 8
	v_add_u32_e32 v53, 64, v53
	v_accvgpr_write_b32 a7, v1
	s_or_b64 s[6:7], s[0:1], s[6:7]
	v_add_u32_e32 v54, 0x100, v54
	s_andn2_b64 exec, exec, s[6:7]
	s_cbranch_execz .LBB280_1050
.LBB280_521:                            ; =>This Inner Loop Header: Depth=1
	ds_read2_b64 v[26:29], v54 offset1:1
	ds_read2_b64 v[30:33], v54 offset0:2 offset1:3
	v_accvgpr_read_b32 v16, a6
	v_accvgpr_read_b32 v35, a5
	;; [unrolled: 1-line block ×3, first 2 shown]
	s_waitcnt lgkmcnt(1)
	;;#ASMSTART
	v_cvt_f16_f32 v0, v26;

	;;#ASMEND
	;;#ASMSTART
	v_cvt_f16_f32 v1, v27;

	;;#ASMEND
	;; [unrolled: 4-line block ×4, first 2 shown]
	s_waitcnt lgkmcnt(0)
	;;#ASMSTART
	v_cvt_f16_f32 v23, v30;

	;;#ASMEND
	;;#ASMSTART
	v_cvt_f16_f32 v31, v31;

	;;#ASMEND
	;; [unrolled: 4-line block ×4, first 2 shown]
	flat_load_dword v12, v[10:11]
	flat_load_dword v30, v[34:35]
                                        ; implicit-def: $sgpr18
	s_waitcnt vmcnt(0) lgkmcnt(0)
	v_mad_i64_i32 v[26:27], s[0:1], v12, v16, v[6:7]
	v_lshl_add_u64 v[28:29], v[26:27], 0, v[14:15]
	flat_load_dwordx2 v[32:33], v[28:29]
	s_mov_b64 s[0:1], 0
	s_waitcnt vmcnt(0) lgkmcnt(0)
	v_cmp_gt_i16_sdwa s[2:3], v32, s17 src0_sel:BYTE_0 src1_sel:DWORD
	s_and_saveexec_b64 s[8:9], s[2:3]
	s_xor_b64 s[2:3], exec, s[8:9]
	s_cbranch_execnz .LBB280_794
; %bb.522:                              ;   in Loop: Header=BB280_521 Depth=1
	s_or_saveexec_b64 s[2:3], s[2:3]
	v_mov_b32_e32 v34, s18
	s_xor_b64 exec, exec, s[2:3]
	s_cbranch_execnz .LBB280_797
.LBB280_523:                            ;   in Loop: Header=BB280_521 Depth=1
	s_or_b64 exec, exec, s[2:3]
	s_and_saveexec_b64 s[2:3], s[0:1]
	s_cbranch_execz .LBB280_525
.LBB280_524:                            ;   in Loop: Header=BB280_521 Depth=1
	v_and_b32_e32 v12, 7, v32
	v_ffbh_u32_e32 v12, v12
	v_bfe_u32 v16, v32, 3, 4
	v_min_u32_e32 v12, 32, v12
	v_subrev_u32_e32 v34, 28, v12
	v_sub_u32_e32 v12, 29, v12
	v_cmp_eq_u32_e64 s[0:1], 0, v16
	s_nop 1
	v_cndmask_b32_e64 v12, v16, v12, s[0:1]
	v_cndmask_b32_e64 v16, 0, v34, s[0:1]
	v_lshlrev_b64 v[34:35], v16, v[32:33]
	v_lshlrev_b32_e32 v16, 7, v34
	v_lshlrev_b32_e32 v34, 8, v32
	v_lshl_add_u32 v12, v12, 10, v55
	v_and_or_b32 v12, v34, s25, v12
	v_and_or_b32 v12, v16, s26, v12
	v_cvt_f32_f16_e32 v34, v12
.LBB280_525:                            ;   in Loop: Header=BB280_521 Depth=1
	s_or_b64 exec, exec, s[2:3]
	v_lshrrev_b16_e32 v16, 8, v32
	v_cmp_lt_i16_e64 s[0:1], s17, v16
	s_mov_b64 s[2:3], 0
                                        ; implicit-def: $sgpr20
	s_and_saveexec_b64 s[8:9], s[0:1]
	s_xor_b64 s[8:9], exec, s[8:9]
	s_cbranch_execnz .LBB280_798
; %bb.526:                              ;   in Loop: Header=BB280_521 Depth=1
	s_or_saveexec_b64 s[8:9], s[8:9]
	v_mov_b32_e32 v36, s20
	s_xor_b64 exec, exec, s[8:9]
	s_cbranch_execnz .LBB280_801
.LBB280_527:                            ;   in Loop: Header=BB280_521 Depth=1
	s_or_b64 exec, exec, s[8:9]
	s_and_saveexec_b64 s[8:9], s[2:3]
	s_cbranch_execz .LBB280_529
.LBB280_528:                            ;   in Loop: Header=BB280_521 Depth=1
	v_and_b32_e32 v12, 7, v16
	v_ffbh_u32_e32 v36, v12
	v_min_u32_e32 v48, 32, v36
	v_subrev_u32_e32 v36, 28, v48
	v_bfe_u32 v35, v16, 3, 4
	v_lshlrev_b64 v[36:37], v36, v[16:17]
	v_sub_u32_e32 v37, 29, v48
	v_cmp_eq_u32_e64 s[0:1], 0, v35
	v_and_b32_e32 v36, 7, v36
	v_lshlrev_b32_e32 v16, 8, v16
	v_cndmask_b32_e64 v35, v35, v37, s[0:1]
	v_lshl_add_u32 v35, v35, 10, v55
	v_cndmask_b32_e64 v12, v12, v36, s[0:1]
	v_and_or_b32 v16, v16, s25, v35
	v_lshl_or_b32 v12, v12, 7, v16
	v_cvt_f32_f16_e32 v36, v12
.LBB280_529:                            ;   in Loop: Header=BB280_521 Depth=1
	s_or_b64 exec, exec, s[8:9]
	v_lshrrev_b32_e32 v16, 16, v32
	v_cmp_gt_i16_sdwa s[2:3], v16, s17 src0_sel:BYTE_0 src1_sel:DWORD
	s_mov_b64 s[0:1], 0
                                        ; implicit-def: $sgpr18
	s_and_saveexec_b64 s[8:9], s[2:3]
	s_xor_b64 s[2:3], exec, s[8:9]
	s_cbranch_execnz .LBB280_802
; %bb.530:                              ;   in Loop: Header=BB280_521 Depth=1
	s_or_saveexec_b64 s[2:3], s[2:3]
	v_mov_b32_e32 v35, s18
	s_xor_b64 exec, exec, s[2:3]
	s_cbranch_execnz .LBB280_805
.LBB280_531:                            ;   in Loop: Header=BB280_521 Depth=1
	s_or_b64 exec, exec, s[2:3]
	s_and_saveexec_b64 s[2:3], s[0:1]
	s_cbranch_execz .LBB280_533
.LBB280_532:                            ;   in Loop: Header=BB280_521 Depth=1
	v_bfe_u32 v12, v32, 16, 3
	v_ffbh_u32_e32 v37, v12
	v_bfe_u32 v35, v32, 19, 4
	v_min_u32_e32 v37, 32, v37
	v_subrev_u32_e32 v48, 28, v37
	v_sub_u32_e32 v37, 29, v37
	v_cmp_eq_u32_e64 s[0:1], 0, v35
	v_lshlrev_b64 v[40:41], v48, v[16:17]
	v_and_b32_e32 v48, 7, v40
	v_cndmask_b32_e64 v35, v35, v37, s[0:1]
	v_lshlrev_b32_e32 v16, 8, v16
	v_lshl_add_u32 v35, v35, 10, v55
	v_cndmask_b32_e64 v12, v12, v48, s[0:1]
	v_and_or_b32 v16, v16, s25, v35
	v_lshl_or_b32 v12, v12, 7, v16
	v_cvt_f32_f16_e32 v35, v12
.LBB280_533:                            ;   in Loop: Header=BB280_521 Depth=1
	s_or_b64 exec, exec, s[2:3]
	v_lshrrev_b32_e32 v16, 24, v32
	v_cmp_lt_i16_e64 s[0:1], s17, v16
	s_mov_b64 s[2:3], 0
                                        ; implicit-def: $sgpr20
	s_and_saveexec_b64 s[8:9], s[0:1]
	s_xor_b64 s[8:9], exec, s[8:9]
	s_cbranch_execnz .LBB280_806
; %bb.534:                              ;   in Loop: Header=BB280_521 Depth=1
	s_or_saveexec_b64 s[8:9], s[8:9]
	v_mov_b32_e32 v37, s20
	s_xor_b64 exec, exec, s[8:9]
	s_cbranch_execnz .LBB280_809
.LBB280_535:                            ;   in Loop: Header=BB280_521 Depth=1
	s_or_b64 exec, exec, s[8:9]
	s_and_saveexec_b64 s[8:9], s[2:3]
	s_cbranch_execz .LBB280_537
.LBB280_536:                            ;   in Loop: Header=BB280_521 Depth=1
	v_bfe_u32 v12, v32, 24, 3
	v_ffbh_u32_e32 v37, v12
	v_bfe_u32 v32, v32, 27, 4
	v_min_u32_e32 v37, 32, v37
	v_subrev_u32_e32 v48, 28, v37
	v_sub_u32_e32 v37, 29, v37
	v_cmp_eq_u32_e64 s[0:1], 0, v32
	v_lshlrev_b64 v[40:41], v48, v[16:17]
	v_and_b32_e32 v48, 7, v40
	v_cndmask_b32_e64 v32, v32, v37, s[0:1]
	v_lshlrev_b32_e32 v16, 8, v16
	v_lshl_add_u32 v32, v32, 10, v55
	v_cndmask_b32_e64 v12, v12, v48, s[0:1]
	v_and_or_b32 v16, v16, s25, v32
	v_lshl_or_b32 v12, v12, 7, v16
	v_cvt_f32_f16_e32 v37, v12
.LBB280_537:                            ;   in Loop: Header=BB280_521 Depth=1
	s_or_b64 exec, exec, s[8:9]
	v_cmp_gt_i16_sdwa s[2:3], v33, s17 src0_sel:BYTE_0 src1_sel:DWORD
	s_mov_b64 s[0:1], 0
                                        ; implicit-def: $sgpr18
	s_and_saveexec_b64 s[8:9], s[2:3]
	s_xor_b64 s[2:3], exec, s[8:9]
	s_cbranch_execnz .LBB280_810
; %bb.538:                              ;   in Loop: Header=BB280_521 Depth=1
	s_or_saveexec_b64 s[2:3], s[2:3]
	v_mov_b32_e32 v32, s18
	s_xor_b64 exec, exec, s[2:3]
	s_cbranch_execnz .LBB280_813
.LBB280_539:                            ;   in Loop: Header=BB280_521 Depth=1
	s_or_b64 exec, exec, s[2:3]
	v_mov_b32_e32 v16, v33
	s_and_saveexec_b64 s[2:3], s[0:1]
	s_cbranch_execz .LBB280_541
.LBB280_540:                            ;   in Loop: Header=BB280_521 Depth=1
	v_and_b32_e32 v12, 7, v33
	v_ffbh_u32_e32 v12, v12
	v_bfe_u32 v32, v33, 3, 4
	v_min_u32_e32 v12, 32, v12
	v_subrev_u32_e32 v48, 28, v12
	v_sub_u32_e32 v12, 29, v12
	v_cmp_eq_u32_e64 s[0:1], 0, v32
	s_nop 1
	v_cndmask_b32_e64 v12, v32, v12, s[0:1]
	v_cndmask_b32_e64 v32, 0, v48, s[0:1]
	v_lshlrev_b64 v[40:41], v32, v[16:17]
	v_lshlrev_b32_e32 v48, 8, v33
	v_lshl_add_u32 v12, v12, 10, v55
	v_lshlrev_b32_e32 v32, 7, v40
	v_and_or_b32 v12, v48, s25, v12
	v_and_or_b32 v12, v32, s26, v12
	v_cvt_f32_f16_e32 v32, v12
.LBB280_541:                            ;   in Loop: Header=BB280_521 Depth=1
	s_or_b64 exec, exec, s[2:3]
	v_lshrrev_b16_e32 v16, 8, v16
	v_cmp_lt_i16_e64 s[0:1], s17, v16
	s_mov_b64 s[2:3], 0
                                        ; implicit-def: $sgpr20
	s_and_saveexec_b64 s[8:9], s[0:1]
	s_xor_b64 s[8:9], exec, s[8:9]
	s_cbranch_execnz .LBB280_814
; %bb.542:                              ;   in Loop: Header=BB280_521 Depth=1
	s_or_saveexec_b64 s[8:9], s[8:9]
	v_mov_b32_e32 v48, s20
	s_xor_b64 exec, exec, s[8:9]
	s_cbranch_execnz .LBB280_817
.LBB280_543:                            ;   in Loop: Header=BB280_521 Depth=1
	s_or_b64 exec, exec, s[8:9]
	s_and_saveexec_b64 s[8:9], s[2:3]
	s_cbranch_execz .LBB280_545
.LBB280_544:                            ;   in Loop: Header=BB280_521 Depth=1
	v_and_b32_e32 v12, 7, v16
	v_ffbh_u32_e32 v40, v12
	v_min_u32_e32 v42, 32, v40
	v_subrev_u32_e32 v40, 28, v42
	v_bfe_u32 v48, v16, 3, 4
	v_lshlrev_b64 v[40:41], v40, v[16:17]
	v_sub_u32_e32 v41, 29, v42
	v_cmp_eq_u32_e64 s[0:1], 0, v48
	v_and_b32_e32 v40, 7, v40
	v_lshlrev_b32_e32 v16, 8, v16
	v_cndmask_b32_e64 v48, v48, v41, s[0:1]
	v_lshl_add_u32 v48, v48, 10, v55
	v_cndmask_b32_e64 v12, v12, v40, s[0:1]
	v_and_or_b32 v16, v16, s25, v48
	v_lshl_or_b32 v12, v12, 7, v16
	v_cvt_f32_f16_e32 v48, v12
.LBB280_545:                            ;   in Loop: Header=BB280_521 Depth=1
	s_or_b64 exec, exec, s[8:9]
	v_lshrrev_b32_e32 v16, 16, v33
	v_cmp_gt_i16_sdwa s[2:3], v16, s17 src0_sel:BYTE_0 src1_sel:DWORD
	s_mov_b64 s[0:1], 0
                                        ; implicit-def: $sgpr18
	s_and_saveexec_b64 s[8:9], s[2:3]
	s_xor_b64 s[2:3], exec, s[8:9]
	s_cbranch_execnz .LBB280_818
; %bb.546:                              ;   in Loop: Header=BB280_521 Depth=1
	s_or_saveexec_b64 s[2:3], s[2:3]
	v_mov_b32_e32 v40, s18
	s_xor_b64 exec, exec, s[2:3]
	s_cbranch_execnz .LBB280_821
.LBB280_547:                            ;   in Loop: Header=BB280_521 Depth=1
	s_or_b64 exec, exec, s[2:3]
	s_and_saveexec_b64 s[2:3], s[0:1]
	s_cbranch_execz .LBB280_549
.LBB280_548:                            ;   in Loop: Header=BB280_521 Depth=1
	v_bfe_u32 v12, v33, 16, 3
	v_ffbh_u32_e32 v40, v12
	v_min_u32_e32 v43, 32, v40
	v_subrev_u32_e32 v40, 28, v43
	v_bfe_u32 v42, v33, 19, 4
	v_lshlrev_b64 v[40:41], v40, v[16:17]
	v_sub_u32_e32 v41, 29, v43
	v_cmp_eq_u32_e64 s[0:1], 0, v42
	v_and_b32_e32 v40, 7, v40
	v_lshlrev_b32_e32 v16, 8, v16
	v_cndmask_b32_e64 v41, v42, v41, s[0:1]
	v_cndmask_b32_e64 v12, v12, v40, s[0:1]
	v_lshl_add_u32 v40, v41, 10, v55
	v_and_or_b32 v16, v16, s25, v40
	v_lshl_or_b32 v12, v12, 7, v16
	v_cvt_f32_f16_e32 v40, v12
.LBB280_549:                            ;   in Loop: Header=BB280_521 Depth=1
	s_or_b64 exec, exec, s[2:3]
	v_lshrrev_b32_e32 v16, 24, v33
	v_cmp_lt_i16_e64 s[0:1], s17, v16
	s_mov_b64 s[2:3], 0
                                        ; implicit-def: $sgpr20
	s_and_saveexec_b64 s[8:9], s[0:1]
	s_xor_b64 s[8:9], exec, s[8:9]
	s_cbranch_execnz .LBB280_822
; %bb.550:                              ;   in Loop: Header=BB280_521 Depth=1
	s_or_saveexec_b64 s[8:9], s[8:9]
	v_mov_b32_e32 v41, s20
	s_xor_b64 exec, exec, s[8:9]
	s_cbranch_execnz .LBB280_825
.LBB280_551:                            ;   in Loop: Header=BB280_521 Depth=1
	s_or_b64 exec, exec, s[8:9]
	s_and_saveexec_b64 s[8:9], s[2:3]
	s_cbranch_execz .LBB280_553
.LBB280_552:                            ;   in Loop: Header=BB280_521 Depth=1
	v_bfe_u32 v12, v33, 24, 3
	v_ffbh_u32_e32 v41, v12
	v_bfe_u32 v33, v33, 27, 4
	v_min_u32_e32 v41, 32, v41
	v_subrev_u32_e32 v42, 28, v41
	v_sub_u32_e32 v41, 29, v41
	v_cmp_eq_u32_e64 s[0:1], 0, v33
	v_lshlrev_b64 v[42:43], v42, v[16:17]
	v_and_b32_e32 v42, 7, v42
	v_cndmask_b32_e64 v33, v33, v41, s[0:1]
	v_lshlrev_b32_e32 v16, 8, v16
	v_lshl_add_u32 v33, v33, 10, v55
	v_cndmask_b32_e64 v12, v12, v42, s[0:1]
	v_and_or_b32 v16, v16, s25, v33
	v_lshl_or_b32 v12, v12, 7, v16
	v_cvt_f32_f16_e32 v41, v12
.LBB280_553:                            ;   in Loop: Header=BB280_521 Depth=1
	s_or_b64 exec, exec, s[8:9]
	v_pk_mul_f32 v[36:37], v[30:31], v[36:37] op_sel_hi:[0,1]
	v_pk_mul_f32 v[34:35], v[30:31], v[34:35] op_sel_hi:[0,1]
	v_cvt_f16_f32_e32 v12, v37
	v_cvt_f16_f32_e32 v16, v36
	;; [unrolled: 1-line block ×4, first 2 shown]
	v_fma_mixlo_f16 v32, v30, v32, 0
	v_pack_b32_f16 v12, v16, v12
	v_accvgpr_read_b32 v35, a7
	v_pack_b32_f16 v33, v34, v33
	v_perm_b32 v16, v33, v12, s27
	v_perm_b32 v33, v33, v12, s28
	v_fma_mixlo_f16 v12, v30, v48, 0
	v_lshlrev_b32_e32 v12, 16, v12
	v_or_b32_sdwa v32, v12, v32 dst_sel:DWORD dst_unused:UNUSED_PAD src0_sel:DWORD src1_sel:WORD_0
	v_fma_mixlo_f16 v12, v30, v41, 0
	v_fma_mixlo_f16 v34, v30, v40, 0
	v_lshlrev_b32_e32 v12, 16, v12
	v_cmp_eq_u32_e64 s[0:1], v52, v35
	v_or_b32_sdwa v30, v12, v34 dst_sel:DWORD dst_unused:UNUSED_PAD src0_sel:DWORD src1_sel:WORD_0
	s_and_saveexec_b64 s[8:9], s[0:1]
	s_cbranch_execz .LBB280_555
; %bb.554:                              ;   in Loop: Header=BB280_521 Depth=1
	v_add_u32_e32 v12, 1, v53
	v_lshrrev_b32_e32 v35, 16, v33
	v_cmp_lt_i32_e64 s[2:3], v12, v13
	v_accvgpr_read_b32 v48, a8
	v_lshrrev_b32_e32 v36, 16, v16
	v_cndmask_b32_e64 v12, 0, v35, s[2:3]
	v_cmp_lt_i32_e64 s[2:3], v53, v48
	v_or_b32_e32 v35, 2, v53
	v_lshrrev_b32_e32 v30, 16, v30
	v_cndmask_b32_e64 v33, 0, v33, s[2:3]
	v_perm_b32 v33, v12, v33, s29
	v_or_b32_e32 v12, 3, v53
	v_cmp_lt_i32_e64 s[2:3], v12, v13
	s_nop 1
	v_cndmask_b32_e64 v12, 0, v36, s[2:3]
	v_cmp_lt_i32_e64 s[2:3], v35, v48
	v_or_b32_e32 v35, 4, v53
	v_lshrrev_b32_e32 v36, 16, v32
	v_cndmask_b32_e64 v16, 0, v16, s[2:3]
	v_perm_b32 v16, v12, v16, s29
	v_or_b32_e32 v12, 5, v53
	v_cmp_lt_i32_e64 s[2:3], v12, v13
	s_nop 1
	v_cndmask_b32_e64 v12, 0, v36, s[2:3]
	v_cmp_lt_i32_e64 s[2:3], v35, v48
	v_or_b32_e32 v35, 6, v53
	s_nop 0
	v_cndmask_b32_e64 v32, 0, v32, s[2:3]
	v_perm_b32 v32, v12, v32, s29
	v_or_b32_e32 v12, 7, v53
	v_cmp_lt_i32_e64 s[2:3], v12, v13
	s_nop 1
	v_cndmask_b32_e64 v12, 0, v30, s[2:3]
	v_cmp_lt_i32_e64 s[2:3], v35, v48
	s_nop 1
	v_cndmask_b32_e64 v30, 0, v34, s[2:3]
	v_perm_b32 v30, v12, v30, s29
.LBB280_555:                            ;   in Loop: Header=BB280_521 Depth=1
	s_or_b64 exec, exec, s[8:9]
	v_and_b32_e32 v0, 0xffff, v0
	v_lshl_or_b32 v43, v1, 16, v0
	v_and_b32_e32 v0, 0xffff, v18
	v_lshl_or_b32 v42, v22, 16, v0
	v_and_b32_e32 v0, 0xffff, v23
	v_lshl_or_b32 v41, v31, 16, v0
	v_and_b32_e32 v0, 0xffff, v38
	v_lshl_or_b32 v40, v39, 16, v0
	;;#ASMSTART
	v_pk_mul_f16 v0, v43, v33;

	;;#ASMEND
	;;#ASMSTART
	v_pk_mul_f16 v1, v42, v16;

	;;#ASMEND
	;; [unrolled: 4-line block ×4, first 2 shown]
	s_mov_b64 s[2:3], 0
	;;#ASMSTART
	v_pk_add_f16 v0, v0, v1;

	;;#ASMEND
                                        ; implicit-def: $sgpr20
	s_nop 0
	;;#ASMSTART
	v_pk_add_f16 v0, v0, v12;

	;;#ASMEND
	s_nop 0
	;;#ASMSTART
	v_pk_add_f16 v0, v0, v16;

	;;#ASMEND
	s_nop 0
	v_lshrrev_b32_e32 v1, 16, v0
	v_and_b32_e32 v0, 0xffff, v0
	;;#ASMSTART
	v_cvt_f32_f16 v44, v0;
	;;#ASMEND
	;;#ASMSTART
	v_cvt_f32_f16 v45, v1;
	;;#ASMEND
	v_accvgpr_read_b32 v0, a4
	flat_load_dwordx2 v[32:33], v[28:29] offset:512
	v_accvgpr_read_b32 v1, a5
	flat_load_dword v30, v[0:1]
	s_waitcnt vmcnt(0) lgkmcnt(0)
	v_cmp_gt_i16_sdwa s[8:9], v32, s17 src0_sel:BYTE_0 src1_sel:DWORD
	s_and_saveexec_b64 s[18:19], s[8:9]
	s_xor_b64 s[8:9], exec, s[18:19]
	s_cbranch_execnz .LBB280_826
; %bb.556:                              ;   in Loop: Header=BB280_521 Depth=1
	s_or_saveexec_b64 s[8:9], s[8:9]
	v_mov_b32_e32 v34, s20
	s_xor_b64 exec, exec, s[8:9]
	s_cbranch_execnz .LBB280_829
.LBB280_557:                            ;   in Loop: Header=BB280_521 Depth=1
	s_or_b64 exec, exec, s[8:9]
	s_and_saveexec_b64 s[8:9], s[2:3]
	s_cbranch_execz .LBB280_559
.LBB280_558:                            ;   in Loop: Header=BB280_521 Depth=1
	v_and_b32_e32 v0, 7, v32
	v_ffbh_u32_e32 v0, v0
	v_bfe_u32 v1, v32, 3, 4
	v_min_u32_e32 v0, 32, v0
	v_subrev_u32_e32 v12, 28, v0
	v_sub_u32_e32 v0, 29, v0
	v_cmp_eq_u32_e64 s[2:3], 0, v1
	s_nop 1
	v_cndmask_b32_e64 v16, v1, v0, s[2:3]
	v_cndmask_b32_e64 v0, 0, v12, s[2:3]
	v_lshlrev_b64 v[0:1], v0, v[32:33]
	v_lshlrev_b32_e32 v1, 8, v32
	v_lshl_add_u32 v12, v16, 10, v55
	v_lshlrev_b32_e32 v0, 7, v0
	v_and_or_b32 v1, v1, s25, v12
	v_and_or_b32 v0, v0, s26, v1
	v_cvt_f32_f16_e32 v34, v0
.LBB280_559:                            ;   in Loop: Header=BB280_521 Depth=1
	s_or_b64 exec, exec, s[8:9]
	v_lshrrev_b16_e32 v16, 8, v32
	v_cmp_lt_i16_e64 s[2:3], s17, v16
	s_mov_b64 s[8:9], 0
                                        ; implicit-def: $sgpr22
	s_and_saveexec_b64 s[18:19], s[2:3]
	s_xor_b64 s[18:19], exec, s[18:19]
	s_cbranch_execnz .LBB280_830
; %bb.560:                              ;   in Loop: Header=BB280_521 Depth=1
	s_or_saveexec_b64 s[18:19], s[18:19]
	v_mov_b32_e32 v36, s22
	s_xor_b64 exec, exec, s[18:19]
	s_cbranch_execnz .LBB280_833
.LBB280_561:                            ;   in Loop: Header=BB280_521 Depth=1
	s_or_b64 exec, exec, s[18:19]
	s_and_saveexec_b64 s[18:19], s[8:9]
	s_cbranch_execz .LBB280_563
.LBB280_562:                            ;   in Loop: Header=BB280_521 Depth=1
	v_and_b32_e32 v12, 7, v16
	v_ffbh_u32_e32 v0, v12
	v_min_u32_e32 v22, 32, v0
	v_subrev_u32_e32 v0, 28, v22
	v_bfe_u32 v18, v16, 3, 4
	v_lshlrev_b64 v[0:1], v0, v[16:17]
	v_sub_u32_e32 v1, 29, v22
	v_cmp_eq_u32_e64 s[2:3], 0, v18
	v_and_b32_e32 v0, 7, v0
	s_nop 0
	v_cndmask_b32_e64 v1, v18, v1, s[2:3]
	v_cndmask_b32_e64 v0, v12, v0, s[2:3]
	v_lshlrev_b32_e32 v12, 8, v16
	v_lshl_add_u32 v1, v1, 10, v55
	v_and_or_b32 v1, v12, s25, v1
	v_lshl_or_b32 v0, v0, 7, v1
	v_cvt_f32_f16_e32 v36, v0
.LBB280_563:                            ;   in Loop: Header=BB280_521 Depth=1
	s_or_b64 exec, exec, s[18:19]
	v_lshrrev_b32_e32 v16, 16, v32
	v_cmp_gt_i16_sdwa s[8:9], v16, s17 src0_sel:BYTE_0 src1_sel:DWORD
	s_mov_b64 s[2:3], 0
                                        ; implicit-def: $sgpr20
	s_and_saveexec_b64 s[18:19], s[8:9]
	s_xor_b64 s[8:9], exec, s[18:19]
	s_cbranch_execnz .LBB280_834
; %bb.564:                              ;   in Loop: Header=BB280_521 Depth=1
	s_or_saveexec_b64 s[8:9], s[8:9]
	v_mov_b32_e32 v35, s20
	s_xor_b64 exec, exec, s[8:9]
	s_cbranch_execnz .LBB280_837
.LBB280_565:                            ;   in Loop: Header=BB280_521 Depth=1
	s_or_b64 exec, exec, s[8:9]
	s_and_saveexec_b64 s[8:9], s[2:3]
	s_cbranch_execz .LBB280_567
.LBB280_566:                            ;   in Loop: Header=BB280_521 Depth=1
	v_bfe_u32 v12, v32, 16, 3
	v_ffbh_u32_e32 v0, v12
	v_min_u32_e32 v22, 32, v0
	v_subrev_u32_e32 v0, 28, v22
	v_bfe_u32 v18, v32, 19, 4
	v_lshlrev_b64 v[0:1], v0, v[16:17]
	v_sub_u32_e32 v1, 29, v22
	v_cmp_eq_u32_e64 s[2:3], 0, v18
	v_and_b32_e32 v0, 7, v0
	s_nop 0
	v_cndmask_b32_e64 v1, v18, v1, s[2:3]
	v_cndmask_b32_e64 v0, v12, v0, s[2:3]
	v_lshlrev_b32_e32 v12, 8, v16
	v_lshl_add_u32 v1, v1, 10, v55
	v_and_or_b32 v1, v12, s25, v1
	v_lshl_or_b32 v0, v0, 7, v1
	v_cvt_f32_f16_e32 v35, v0
.LBB280_567:                            ;   in Loop: Header=BB280_521 Depth=1
	s_or_b64 exec, exec, s[8:9]
	v_lshrrev_b32_e32 v16, 24, v32
	v_cmp_lt_i16_e64 s[2:3], s17, v16
	s_mov_b64 s[8:9], 0
                                        ; implicit-def: $sgpr22
	s_and_saveexec_b64 s[18:19], s[2:3]
	s_xor_b64 s[18:19], exec, s[18:19]
	s_cbranch_execnz .LBB280_838
; %bb.568:                              ;   in Loop: Header=BB280_521 Depth=1
	s_or_saveexec_b64 s[18:19], s[18:19]
	v_mov_b32_e32 v37, s22
	s_xor_b64 exec, exec, s[18:19]
	s_cbranch_execnz .LBB280_841
.LBB280_569:                            ;   in Loop: Header=BB280_521 Depth=1
	s_or_b64 exec, exec, s[18:19]
	s_and_saveexec_b64 s[18:19], s[8:9]
	s_cbranch_execz .LBB280_571
.LBB280_570:                            ;   in Loop: Header=BB280_521 Depth=1
	v_bfe_u32 v12, v32, 24, 3
	v_ffbh_u32_e32 v0, v12
	v_min_u32_e32 v22, 32, v0
	v_subrev_u32_e32 v0, 28, v22
	v_bfe_u32 v18, v32, 27, 4
	v_lshlrev_b64 v[0:1], v0, v[16:17]
	v_sub_u32_e32 v1, 29, v22
	v_cmp_eq_u32_e64 s[2:3], 0, v18
	v_and_b32_e32 v0, 7, v0
	s_nop 0
	v_cndmask_b32_e64 v1, v18, v1, s[2:3]
	v_cndmask_b32_e64 v0, v12, v0, s[2:3]
	v_lshlrev_b32_e32 v12, 8, v16
	v_lshl_add_u32 v1, v1, 10, v55
	v_and_or_b32 v1, v12, s25, v1
	v_lshl_or_b32 v0, v0, 7, v1
	v_cvt_f32_f16_e32 v37, v0
.LBB280_571:                            ;   in Loop: Header=BB280_521 Depth=1
	s_or_b64 exec, exec, s[18:19]
	v_cmp_gt_i16_sdwa s[8:9], v33, s17 src0_sel:BYTE_0 src1_sel:DWORD
	s_mov_b64 s[2:3], 0
                                        ; implicit-def: $sgpr20
	s_and_saveexec_b64 s[18:19], s[8:9]
	s_xor_b64 s[8:9], exec, s[18:19]
	s_cbranch_execnz .LBB280_842
; %bb.572:                              ;   in Loop: Header=BB280_521 Depth=1
	s_or_saveexec_b64 s[8:9], s[8:9]
	v_mov_b32_e32 v0, s20
	s_xor_b64 exec, exec, s[8:9]
	s_cbranch_execnz .LBB280_845
.LBB280_573:                            ;   in Loop: Header=BB280_521 Depth=1
	s_or_b64 exec, exec, s[8:9]
	v_mov_b32_e32 v16, v33
	s_and_saveexec_b64 s[8:9], s[2:3]
	s_cbranch_execz .LBB280_575
.LBB280_574:                            ;   in Loop: Header=BB280_521 Depth=1
	v_and_b32_e32 v0, 7, v33
	v_ffbh_u32_e32 v0, v0
	v_bfe_u32 v1, v33, 3, 4
	v_min_u32_e32 v0, 32, v0
	v_subrev_u32_e32 v12, 28, v0
	v_sub_u32_e32 v0, 29, v0
	v_cmp_eq_u32_e64 s[2:3], 0, v1
	s_nop 1
	v_cndmask_b32_e64 v18, v1, v0, s[2:3]
	v_cndmask_b32_e64 v0, 0, v12, s[2:3]
	v_lshlrev_b64 v[0:1], v0, v[16:17]
	v_lshlrev_b32_e32 v1, 8, v33
	v_lshl_add_u32 v12, v18, 10, v55
	v_lshlrev_b32_e32 v0, 7, v0
	v_and_or_b32 v1, v1, s25, v12
	v_and_or_b32 v0, v0, s26, v1
	v_cvt_f32_f16_e32 v0, v0
.LBB280_575:                            ;   in Loop: Header=BB280_521 Depth=1
	s_or_b64 exec, exec, s[8:9]
	v_lshrrev_b16_e32 v16, 8, v16
	v_cmp_lt_i16_e64 s[2:3], s17, v16
	s_mov_b64 s[8:9], 0
                                        ; implicit-def: $sgpr22
	s_and_saveexec_b64 s[18:19], s[2:3]
	s_xor_b64 s[18:19], exec, s[18:19]
	s_cbranch_execnz .LBB280_846
; %bb.576:                              ;   in Loop: Header=BB280_521 Depth=1
	s_or_saveexec_b64 s[18:19], s[18:19]
	v_mov_b32_e32 v1, s22
	s_xor_b64 exec, exec, s[18:19]
	s_cbranch_execnz .LBB280_849
.LBB280_577:                            ;   in Loop: Header=BB280_521 Depth=1
	s_or_b64 exec, exec, s[18:19]
	s_and_saveexec_b64 s[18:19], s[8:9]
	s_cbranch_execz .LBB280_579
.LBB280_578:                            ;   in Loop: Header=BB280_521 Depth=1
	v_and_b32_e32 v1, 7, v16
	v_ffbh_u32_e32 v18, v1
	v_bfe_u32 v12, v16, 3, 4
	v_min_u32_e32 v18, 32, v18
	v_subrev_u32_e32 v22, 28, v18
	v_sub_u32_e32 v18, 29, v18
	v_cmp_eq_u32_e64 s[2:3], 0, v12
	v_lshlrev_b64 v[22:23], v22, v[16:17]
	v_and_b32_e32 v22, 7, v22
	v_cndmask_b32_e64 v12, v12, v18, s[2:3]
	v_lshlrev_b32_e32 v16, 8, v16
	v_lshl_add_u32 v12, v12, 10, v55
	v_cndmask_b32_e64 v1, v1, v22, s[2:3]
	v_and_or_b32 v12, v16, s25, v12
	v_lshl_or_b32 v1, v1, 7, v12
	v_cvt_f32_f16_e32 v1, v1
.LBB280_579:                            ;   in Loop: Header=BB280_521 Depth=1
	s_or_b64 exec, exec, s[18:19]
	v_lshrrev_b32_e32 v16, 16, v33
	v_cmp_gt_i16_sdwa s[8:9], v16, s17 src0_sel:BYTE_0 src1_sel:DWORD
	s_mov_b64 s[2:3], 0
                                        ; implicit-def: $sgpr20
	s_and_saveexec_b64 s[18:19], s[8:9]
	s_xor_b64 s[8:9], exec, s[18:19]
	s_cbranch_execnz .LBB280_850
; %bb.580:                              ;   in Loop: Header=BB280_521 Depth=1
	s_or_saveexec_b64 s[8:9], s[8:9]
	v_mov_b32_e32 v18, s20
	s_xor_b64 exec, exec, s[8:9]
	s_cbranch_execnz .LBB280_853
.LBB280_581:                            ;   in Loop: Header=BB280_521 Depth=1
	s_or_b64 exec, exec, s[8:9]
	s_and_saveexec_b64 s[8:9], s[2:3]
	s_cbranch_execz .LBB280_583
.LBB280_582:                            ;   in Loop: Header=BB280_521 Depth=1
	v_bfe_u32 v12, v33, 16, 3
	v_ffbh_u32_e32 v22, v12
	v_min_u32_e32 v31, 32, v22
	v_subrev_u32_e32 v22, 28, v31
	v_bfe_u32 v18, v33, 19, 4
	v_lshlrev_b64 v[22:23], v22, v[16:17]
	v_sub_u32_e32 v23, 29, v31
	v_cmp_eq_u32_e64 s[2:3], 0, v18
	v_and_b32_e32 v22, 7, v22
	v_lshlrev_b32_e32 v16, 8, v16
	v_cndmask_b32_e64 v18, v18, v23, s[2:3]
	v_lshl_add_u32 v18, v18, 10, v55
	v_cndmask_b32_e64 v12, v12, v22, s[2:3]
	v_and_or_b32 v16, v16, s25, v18
	v_lshl_or_b32 v12, v12, 7, v16
	v_cvt_f32_f16_e32 v18, v12
.LBB280_583:                            ;   in Loop: Header=BB280_521 Depth=1
	s_or_b64 exec, exec, s[8:9]
	v_lshrrev_b32_e32 v16, 24, v33
	v_cmp_lt_i16_e64 s[2:3], s17, v16
	s_mov_b64 s[8:9], 0
                                        ; implicit-def: $sgpr22
	s_and_saveexec_b64 s[18:19], s[2:3]
	s_xor_b64 s[18:19], exec, s[18:19]
	s_cbranch_execnz .LBB280_854
; %bb.584:                              ;   in Loop: Header=BB280_521 Depth=1
	s_or_saveexec_b64 s[18:19], s[18:19]
	v_mov_b32_e32 v23, s22
	s_xor_b64 exec, exec, s[18:19]
	s_cbranch_execnz .LBB280_857
.LBB280_585:                            ;   in Loop: Header=BB280_521 Depth=1
	s_or_b64 exec, exec, s[18:19]
	s_and_saveexec_b64 s[18:19], s[8:9]
	s_cbranch_execz .LBB280_587
.LBB280_586:                            ;   in Loop: Header=BB280_521 Depth=1
	v_bfe_u32 v12, v33, 24, 3
	v_ffbh_u32_e32 v22, v12
	v_min_u32_e32 v32, 32, v22
	v_subrev_u32_e32 v22, 28, v32
	v_bfe_u32 v31, v33, 27, 4
	v_lshlrev_b64 v[22:23], v22, v[16:17]
	v_sub_u32_e32 v23, 29, v32
	v_cmp_eq_u32_e64 s[2:3], 0, v31
	v_and_b32_e32 v22, 7, v22
	v_lshlrev_b32_e32 v16, 8, v16
	v_cndmask_b32_e64 v23, v31, v23, s[2:3]
	v_cndmask_b32_e64 v12, v12, v22, s[2:3]
	v_lshl_add_u32 v22, v23, 10, v55
	v_and_or_b32 v16, v16, s25, v22
	v_lshl_or_b32 v12, v12, 7, v16
	v_cvt_f32_f16_e32 v23, v12
.LBB280_587:                            ;   in Loop: Header=BB280_521 Depth=1
	s_or_b64 exec, exec, s[18:19]
	v_pk_mul_f32 v[32:33], v[30:31], v[36:37] op_sel_hi:[0,1]
	v_pk_mul_f32 v[34:35], v[30:31], v[34:35] op_sel_hi:[0,1]
	v_cvt_f16_f32_e32 v12, v33
	v_cvt_f16_f32_e32 v16, v32
	;; [unrolled: 1-line block ×4, first 2 shown]
	v_fma_mixlo_f16 v1, v30, v1, 0
	v_lshlrev_b32_e32 v1, 16, v1
	v_fma_mixlo_f16 v0, v30, v0, 0
	v_or_b32_sdwa v0, v1, v0 dst_sel:DWORD dst_unused:UNUSED_PAD src0_sel:DWORD src1_sel:WORD_0
	v_fma_mixlo_f16 v1, v30, v23, 0
	v_pack_b32_f16 v12, v16, v12
	v_pack_b32_f16 v22, v31, v22
	v_fma_mixlo_f16 v18, v30, v18, 0
	v_lshlrev_b32_e32 v1, 16, v1
	v_perm_b32 v16, v22, v12, s27
	v_perm_b32 v22, v22, v12, s28
	v_or_b32_sdwa v1, v1, v18 dst_sel:DWORD dst_unused:UNUSED_PAD src0_sel:DWORD src1_sel:WORD_0
	s_and_saveexec_b64 s[8:9], s[0:1]
	s_cbranch_execz .LBB280_589
; %bb.588:                              ;   in Loop: Header=BB280_521 Depth=1
	v_add_u32_e32 v12, 1, v53
	v_lshrrev_b32_e32 v23, 16, v22
	v_cmp_lt_i32_e64 s[2:3], v12, v13
	v_accvgpr_read_b32 v32, a8
	v_lshrrev_b32_e32 v30, 16, v16
	v_cndmask_b32_e64 v12, 0, v23, s[2:3]
	v_cmp_lt_i32_e64 s[2:3], v53, v32
	v_or_b32_e32 v23, 2, v53
	v_lshrrev_b32_e32 v1, 16, v1
	v_cndmask_b32_e64 v22, 0, v22, s[2:3]
	v_perm_b32 v22, v12, v22, s29
	v_or_b32_e32 v12, 3, v53
	v_cmp_lt_i32_e64 s[2:3], v12, v13
	s_nop 1
	v_cndmask_b32_e64 v12, 0, v30, s[2:3]
	v_cmp_lt_i32_e64 s[2:3], v23, v32
	v_or_b32_e32 v23, 4, v53
	v_lshrrev_b32_e32 v30, 16, v0
	v_cndmask_b32_e64 v16, 0, v16, s[2:3]
	v_perm_b32 v16, v12, v16, s29
	v_or_b32_e32 v12, 5, v53
	v_cmp_lt_i32_e64 s[2:3], v12, v13
	s_nop 1
	v_cndmask_b32_e64 v12, 0, v30, s[2:3]
	v_cmp_lt_i32_e64 s[2:3], v23, v32
	v_or_b32_e32 v23, 6, v53
	s_nop 0
	v_cndmask_b32_e64 v0, 0, v0, s[2:3]
	v_perm_b32 v0, v12, v0, s29
	v_or_b32_e32 v12, 7, v53
	v_cmp_lt_i32_e64 s[2:3], v12, v13
	s_nop 1
	v_cndmask_b32_e64 v1, 0, v1, s[2:3]
	v_cmp_lt_i32_e64 s[2:3], v23, v32
	s_nop 1
	v_cndmask_b32_e64 v12, 0, v18, s[2:3]
	v_perm_b32 v1, v1, v12, s29
.LBB280_589:                            ;   in Loop: Header=BB280_521 Depth=1
	s_or_b64 exec, exec, s[8:9]
	;;#ASMSTART
	v_pk_mul_f16 v12, v43, v22;

	;;#ASMEND
	;;#ASMSTART
	v_pk_mul_f16 v16, v42, v16;

	;;#ASMEND
	;; [unrolled: 4-line block ×4, first 2 shown]
	s_mov_b64 s[2:3], 0
	;;#ASMSTART
	v_pk_add_f16 v12, v12, v16;

	;;#ASMEND
                                        ; implicit-def: $sgpr20
	s_nop 0
	;;#ASMSTART
	v_pk_add_f16 v0, v12, v0;

	;;#ASMEND
	s_nop 0
	;;#ASMSTART
	v_pk_add_f16 v0, v0, v1;

	;;#ASMEND
	s_nop 0
	v_lshrrev_b32_e32 v1, 16, v0
	v_and_b32_e32 v0, 0xffff, v0
	;;#ASMSTART
	v_cvt_f32_f16 v46, v0;
	;;#ASMEND
	;;#ASMSTART
	v_cvt_f32_f16 v47, v1;
	;;#ASMEND
	v_accvgpr_read_b32 v0, a4
	flat_load_dwordx2 v[32:33], v[28:29] offset:1024
	v_accvgpr_read_b32 v1, a5
	flat_load_dword v30, v[0:1]
	s_waitcnt vmcnt(0) lgkmcnt(0)
	v_cmp_gt_i16_sdwa s[8:9], v32, s17 src0_sel:BYTE_0 src1_sel:DWORD
	s_and_saveexec_b64 s[18:19], s[8:9]
	s_xor_b64 s[8:9], exec, s[18:19]
	s_cbranch_execnz .LBB280_858
; %bb.590:                              ;   in Loop: Header=BB280_521 Depth=1
	s_or_saveexec_b64 s[8:9], s[8:9]
	v_mov_b32_e32 v34, s20
	s_xor_b64 exec, exec, s[8:9]
	s_cbranch_execnz .LBB280_861
.LBB280_591:                            ;   in Loop: Header=BB280_521 Depth=1
	s_or_b64 exec, exec, s[8:9]
	s_and_saveexec_b64 s[8:9], s[2:3]
	s_cbranch_execz .LBB280_593
.LBB280_592:                            ;   in Loop: Header=BB280_521 Depth=1
	v_and_b32_e32 v0, 7, v32
	v_ffbh_u32_e32 v0, v0
	v_bfe_u32 v1, v32, 3, 4
	v_min_u32_e32 v0, 32, v0
	v_subrev_u32_e32 v12, 28, v0
	v_sub_u32_e32 v0, 29, v0
	v_cmp_eq_u32_e64 s[2:3], 0, v1
	s_nop 1
	v_cndmask_b32_e64 v16, v1, v0, s[2:3]
	v_cndmask_b32_e64 v0, 0, v12, s[2:3]
	v_lshlrev_b64 v[0:1], v0, v[32:33]
	v_lshlrev_b32_e32 v1, 8, v32
	v_lshl_add_u32 v12, v16, 10, v55
	v_lshlrev_b32_e32 v0, 7, v0
	v_and_or_b32 v1, v1, s25, v12
	v_and_or_b32 v0, v0, s26, v1
	v_cvt_f32_f16_e32 v34, v0
.LBB280_593:                            ;   in Loop: Header=BB280_521 Depth=1
	s_or_b64 exec, exec, s[8:9]
	v_lshrrev_b16_e32 v16, 8, v32
	v_cmp_lt_i16_e64 s[2:3], s17, v16
	s_mov_b64 s[8:9], 0
                                        ; implicit-def: $sgpr22
	s_and_saveexec_b64 s[18:19], s[2:3]
	s_xor_b64 s[18:19], exec, s[18:19]
	s_cbranch_execnz .LBB280_862
; %bb.594:                              ;   in Loop: Header=BB280_521 Depth=1
	s_or_saveexec_b64 s[18:19], s[18:19]
	v_mov_b32_e32 v36, s22
	s_xor_b64 exec, exec, s[18:19]
	s_cbranch_execnz .LBB280_865
.LBB280_595:                            ;   in Loop: Header=BB280_521 Depth=1
	s_or_b64 exec, exec, s[18:19]
	s_and_saveexec_b64 s[18:19], s[8:9]
	s_cbranch_execz .LBB280_597
.LBB280_596:                            ;   in Loop: Header=BB280_521 Depth=1
	v_and_b32_e32 v12, 7, v16
	v_ffbh_u32_e32 v0, v12
	v_min_u32_e32 v22, 32, v0
	v_subrev_u32_e32 v0, 28, v22
	v_bfe_u32 v18, v16, 3, 4
	v_lshlrev_b64 v[0:1], v0, v[16:17]
	v_sub_u32_e32 v1, 29, v22
	v_cmp_eq_u32_e64 s[2:3], 0, v18
	v_and_b32_e32 v0, 7, v0
	s_nop 0
	v_cndmask_b32_e64 v1, v18, v1, s[2:3]
	v_cndmask_b32_e64 v0, v12, v0, s[2:3]
	v_lshlrev_b32_e32 v12, 8, v16
	v_lshl_add_u32 v1, v1, 10, v55
	v_and_or_b32 v1, v12, s25, v1
	v_lshl_or_b32 v0, v0, 7, v1
	v_cvt_f32_f16_e32 v36, v0
.LBB280_597:                            ;   in Loop: Header=BB280_521 Depth=1
	s_or_b64 exec, exec, s[18:19]
	v_lshrrev_b32_e32 v16, 16, v32
	v_cmp_gt_i16_sdwa s[8:9], v16, s17 src0_sel:BYTE_0 src1_sel:DWORD
	s_mov_b64 s[2:3], 0
                                        ; implicit-def: $sgpr20
	s_and_saveexec_b64 s[18:19], s[8:9]
	s_xor_b64 s[8:9], exec, s[18:19]
	s_cbranch_execnz .LBB280_866
; %bb.598:                              ;   in Loop: Header=BB280_521 Depth=1
	s_or_saveexec_b64 s[8:9], s[8:9]
	v_mov_b32_e32 v35, s20
	s_xor_b64 exec, exec, s[8:9]
	s_cbranch_execnz .LBB280_869
.LBB280_599:                            ;   in Loop: Header=BB280_521 Depth=1
	s_or_b64 exec, exec, s[8:9]
	s_and_saveexec_b64 s[8:9], s[2:3]
	s_cbranch_execz .LBB280_601
.LBB280_600:                            ;   in Loop: Header=BB280_521 Depth=1
	v_bfe_u32 v12, v32, 16, 3
	v_ffbh_u32_e32 v0, v12
	v_min_u32_e32 v22, 32, v0
	v_subrev_u32_e32 v0, 28, v22
	v_bfe_u32 v18, v32, 19, 4
	v_lshlrev_b64 v[0:1], v0, v[16:17]
	v_sub_u32_e32 v1, 29, v22
	v_cmp_eq_u32_e64 s[2:3], 0, v18
	v_and_b32_e32 v0, 7, v0
	s_nop 0
	v_cndmask_b32_e64 v1, v18, v1, s[2:3]
	v_cndmask_b32_e64 v0, v12, v0, s[2:3]
	v_lshlrev_b32_e32 v12, 8, v16
	v_lshl_add_u32 v1, v1, 10, v55
	v_and_or_b32 v1, v12, s25, v1
	v_lshl_or_b32 v0, v0, 7, v1
	v_cvt_f32_f16_e32 v35, v0
.LBB280_601:                            ;   in Loop: Header=BB280_521 Depth=1
	s_or_b64 exec, exec, s[8:9]
	v_lshrrev_b32_e32 v16, 24, v32
	v_cmp_lt_i16_e64 s[2:3], s17, v16
	s_mov_b64 s[8:9], 0
                                        ; implicit-def: $sgpr22
	s_and_saveexec_b64 s[18:19], s[2:3]
	s_xor_b64 s[18:19], exec, s[18:19]
	s_cbranch_execnz .LBB280_870
; %bb.602:                              ;   in Loop: Header=BB280_521 Depth=1
	s_or_saveexec_b64 s[18:19], s[18:19]
	v_mov_b32_e32 v37, s22
	s_xor_b64 exec, exec, s[18:19]
	s_cbranch_execnz .LBB280_873
.LBB280_603:                            ;   in Loop: Header=BB280_521 Depth=1
	s_or_b64 exec, exec, s[18:19]
	s_and_saveexec_b64 s[18:19], s[8:9]
	s_cbranch_execz .LBB280_605
.LBB280_604:                            ;   in Loop: Header=BB280_521 Depth=1
	v_bfe_u32 v12, v32, 24, 3
	v_ffbh_u32_e32 v0, v12
	v_min_u32_e32 v22, 32, v0
	v_subrev_u32_e32 v0, 28, v22
	v_bfe_u32 v18, v32, 27, 4
	v_lshlrev_b64 v[0:1], v0, v[16:17]
	v_sub_u32_e32 v1, 29, v22
	v_cmp_eq_u32_e64 s[2:3], 0, v18
	v_and_b32_e32 v0, 7, v0
	s_nop 0
	v_cndmask_b32_e64 v1, v18, v1, s[2:3]
	v_cndmask_b32_e64 v0, v12, v0, s[2:3]
	v_lshlrev_b32_e32 v12, 8, v16
	v_lshl_add_u32 v1, v1, 10, v55
	v_and_or_b32 v1, v12, s25, v1
	v_lshl_or_b32 v0, v0, 7, v1
	v_cvt_f32_f16_e32 v37, v0
.LBB280_605:                            ;   in Loop: Header=BB280_521 Depth=1
	s_or_b64 exec, exec, s[18:19]
	v_cmp_gt_i16_sdwa s[8:9], v33, s17 src0_sel:BYTE_0 src1_sel:DWORD
	s_mov_b64 s[2:3], 0
                                        ; implicit-def: $sgpr20
	s_and_saveexec_b64 s[18:19], s[8:9]
	s_xor_b64 s[8:9], exec, s[18:19]
	s_cbranch_execnz .LBB280_874
; %bb.606:                              ;   in Loop: Header=BB280_521 Depth=1
	s_or_saveexec_b64 s[8:9], s[8:9]
	v_mov_b32_e32 v0, s20
	s_xor_b64 exec, exec, s[8:9]
	s_cbranch_execnz .LBB280_877
.LBB280_607:                            ;   in Loop: Header=BB280_521 Depth=1
	s_or_b64 exec, exec, s[8:9]
	v_mov_b32_e32 v16, v33
	s_and_saveexec_b64 s[8:9], s[2:3]
	s_cbranch_execz .LBB280_609
.LBB280_608:                            ;   in Loop: Header=BB280_521 Depth=1
	v_and_b32_e32 v0, 7, v33
	v_ffbh_u32_e32 v0, v0
	v_bfe_u32 v1, v33, 3, 4
	v_min_u32_e32 v0, 32, v0
	v_subrev_u32_e32 v12, 28, v0
	v_sub_u32_e32 v0, 29, v0
	v_cmp_eq_u32_e64 s[2:3], 0, v1
	s_nop 1
	v_cndmask_b32_e64 v18, v1, v0, s[2:3]
	v_cndmask_b32_e64 v0, 0, v12, s[2:3]
	v_lshlrev_b64 v[0:1], v0, v[16:17]
	v_lshlrev_b32_e32 v1, 8, v33
	v_lshl_add_u32 v12, v18, 10, v55
	v_lshlrev_b32_e32 v0, 7, v0
	v_and_or_b32 v1, v1, s25, v12
	v_and_or_b32 v0, v0, s26, v1
	v_cvt_f32_f16_e32 v0, v0
.LBB280_609:                            ;   in Loop: Header=BB280_521 Depth=1
	s_or_b64 exec, exec, s[8:9]
	v_lshrrev_b16_e32 v16, 8, v16
	v_cmp_lt_i16_e64 s[2:3], s17, v16
	s_mov_b64 s[8:9], 0
                                        ; implicit-def: $sgpr22
	s_and_saveexec_b64 s[18:19], s[2:3]
	s_xor_b64 s[18:19], exec, s[18:19]
	s_cbranch_execnz .LBB280_878
; %bb.610:                              ;   in Loop: Header=BB280_521 Depth=1
	s_or_saveexec_b64 s[18:19], s[18:19]
	v_mov_b32_e32 v1, s22
	s_xor_b64 exec, exec, s[18:19]
	s_cbranch_execnz .LBB280_881
.LBB280_611:                            ;   in Loop: Header=BB280_521 Depth=1
	s_or_b64 exec, exec, s[18:19]
	s_and_saveexec_b64 s[18:19], s[8:9]
	s_cbranch_execz .LBB280_613
.LBB280_612:                            ;   in Loop: Header=BB280_521 Depth=1
	v_and_b32_e32 v1, 7, v16
	v_ffbh_u32_e32 v18, v1
	v_bfe_u32 v12, v16, 3, 4
	v_min_u32_e32 v18, 32, v18
	v_subrev_u32_e32 v22, 28, v18
	v_sub_u32_e32 v18, 29, v18
	v_cmp_eq_u32_e64 s[2:3], 0, v12
	v_lshlrev_b64 v[22:23], v22, v[16:17]
	v_and_b32_e32 v22, 7, v22
	v_cndmask_b32_e64 v12, v12, v18, s[2:3]
	v_lshlrev_b32_e32 v16, 8, v16
	v_lshl_add_u32 v12, v12, 10, v55
	v_cndmask_b32_e64 v1, v1, v22, s[2:3]
	v_and_or_b32 v12, v16, s25, v12
	v_lshl_or_b32 v1, v1, 7, v12
	v_cvt_f32_f16_e32 v1, v1
.LBB280_613:                            ;   in Loop: Header=BB280_521 Depth=1
	s_or_b64 exec, exec, s[18:19]
	v_lshrrev_b32_e32 v16, 16, v33
	v_cmp_gt_i16_sdwa s[8:9], v16, s17 src0_sel:BYTE_0 src1_sel:DWORD
	s_mov_b64 s[2:3], 0
                                        ; implicit-def: $sgpr20
	s_and_saveexec_b64 s[18:19], s[8:9]
	s_xor_b64 s[8:9], exec, s[18:19]
	s_cbranch_execnz .LBB280_882
; %bb.614:                              ;   in Loop: Header=BB280_521 Depth=1
	s_or_saveexec_b64 s[8:9], s[8:9]
	v_mov_b32_e32 v18, s20
	s_xor_b64 exec, exec, s[8:9]
	s_cbranch_execnz .LBB280_885
.LBB280_615:                            ;   in Loop: Header=BB280_521 Depth=1
	s_or_b64 exec, exec, s[8:9]
	s_and_saveexec_b64 s[8:9], s[2:3]
	s_cbranch_execz .LBB280_617
.LBB280_616:                            ;   in Loop: Header=BB280_521 Depth=1
	v_bfe_u32 v12, v33, 16, 3
	v_ffbh_u32_e32 v22, v12
	v_min_u32_e32 v31, 32, v22
	v_subrev_u32_e32 v22, 28, v31
	v_bfe_u32 v18, v33, 19, 4
	v_lshlrev_b64 v[22:23], v22, v[16:17]
	v_sub_u32_e32 v23, 29, v31
	v_cmp_eq_u32_e64 s[2:3], 0, v18
	v_and_b32_e32 v22, 7, v22
	v_lshlrev_b32_e32 v16, 8, v16
	v_cndmask_b32_e64 v18, v18, v23, s[2:3]
	v_lshl_add_u32 v18, v18, 10, v55
	v_cndmask_b32_e64 v12, v12, v22, s[2:3]
	v_and_or_b32 v16, v16, s25, v18
	v_lshl_or_b32 v12, v12, 7, v16
	v_cvt_f32_f16_e32 v18, v12
.LBB280_617:                            ;   in Loop: Header=BB280_521 Depth=1
	s_or_b64 exec, exec, s[8:9]
	v_lshrrev_b32_e32 v16, 24, v33
	v_cmp_lt_i16_e64 s[2:3], s17, v16
	s_mov_b64 s[8:9], 0
                                        ; implicit-def: $sgpr22
	s_and_saveexec_b64 s[18:19], s[2:3]
	s_xor_b64 s[18:19], exec, s[18:19]
	s_cbranch_execnz .LBB280_886
; %bb.618:                              ;   in Loop: Header=BB280_521 Depth=1
	s_or_saveexec_b64 s[18:19], s[18:19]
	v_mov_b32_e32 v23, s22
	s_xor_b64 exec, exec, s[18:19]
	s_cbranch_execnz .LBB280_889
.LBB280_619:                            ;   in Loop: Header=BB280_521 Depth=1
	s_or_b64 exec, exec, s[18:19]
	s_and_saveexec_b64 s[18:19], s[8:9]
	s_cbranch_execz .LBB280_621
.LBB280_620:                            ;   in Loop: Header=BB280_521 Depth=1
	v_bfe_u32 v12, v33, 24, 3
	v_ffbh_u32_e32 v22, v12
	v_min_u32_e32 v32, 32, v22
	v_subrev_u32_e32 v22, 28, v32
	v_bfe_u32 v31, v33, 27, 4
	v_lshlrev_b64 v[22:23], v22, v[16:17]
	v_sub_u32_e32 v23, 29, v32
	v_cmp_eq_u32_e64 s[2:3], 0, v31
	v_and_b32_e32 v22, 7, v22
	v_lshlrev_b32_e32 v16, 8, v16
	v_cndmask_b32_e64 v23, v31, v23, s[2:3]
	v_cndmask_b32_e64 v12, v12, v22, s[2:3]
	v_lshl_add_u32 v22, v23, 10, v55
	v_and_or_b32 v16, v16, s25, v22
	v_lshl_or_b32 v12, v12, 7, v16
	v_cvt_f32_f16_e32 v23, v12
.LBB280_621:                            ;   in Loop: Header=BB280_521 Depth=1
	s_or_b64 exec, exec, s[18:19]
	v_pk_mul_f32 v[32:33], v[30:31], v[36:37] op_sel_hi:[0,1]
	v_pk_mul_f32 v[34:35], v[30:31], v[34:35] op_sel_hi:[0,1]
	v_cvt_f16_f32_e32 v12, v33
	v_cvt_f16_f32_e32 v16, v32
	;; [unrolled: 1-line block ×4, first 2 shown]
	v_fma_mixlo_f16 v1, v30, v1, 0
	v_lshlrev_b32_e32 v1, 16, v1
	v_fma_mixlo_f16 v0, v30, v0, 0
	v_or_b32_sdwa v0, v1, v0 dst_sel:DWORD dst_unused:UNUSED_PAD src0_sel:DWORD src1_sel:WORD_0
	v_fma_mixlo_f16 v1, v30, v23, 0
	v_pack_b32_f16 v12, v16, v12
	v_pack_b32_f16 v22, v31, v22
	v_fma_mixlo_f16 v18, v30, v18, 0
	v_lshlrev_b32_e32 v1, 16, v1
	v_perm_b32 v16, v22, v12, s27
	v_perm_b32 v22, v22, v12, s28
	v_or_b32_sdwa v1, v1, v18 dst_sel:DWORD dst_unused:UNUSED_PAD src0_sel:DWORD src1_sel:WORD_0
	s_and_saveexec_b64 s[8:9], s[0:1]
	s_cbranch_execz .LBB280_623
; %bb.622:                              ;   in Loop: Header=BB280_521 Depth=1
	v_add_u32_e32 v12, 1, v53
	v_lshrrev_b32_e32 v23, 16, v22
	v_cmp_lt_i32_e64 s[2:3], v12, v13
	v_accvgpr_read_b32 v32, a8
	v_lshrrev_b32_e32 v30, 16, v16
	v_cndmask_b32_e64 v12, 0, v23, s[2:3]
	v_cmp_lt_i32_e64 s[2:3], v53, v32
	v_or_b32_e32 v23, 2, v53
	v_lshrrev_b32_e32 v1, 16, v1
	v_cndmask_b32_e64 v22, 0, v22, s[2:3]
	v_perm_b32 v22, v12, v22, s29
	v_or_b32_e32 v12, 3, v53
	v_cmp_lt_i32_e64 s[2:3], v12, v13
	s_nop 1
	v_cndmask_b32_e64 v12, 0, v30, s[2:3]
	v_cmp_lt_i32_e64 s[2:3], v23, v32
	v_or_b32_e32 v23, 4, v53
	v_lshrrev_b32_e32 v30, 16, v0
	v_cndmask_b32_e64 v16, 0, v16, s[2:3]
	v_perm_b32 v16, v12, v16, s29
	v_or_b32_e32 v12, 5, v53
	v_cmp_lt_i32_e64 s[2:3], v12, v13
	s_nop 1
	v_cndmask_b32_e64 v12, 0, v30, s[2:3]
	v_cmp_lt_i32_e64 s[2:3], v23, v32
	v_or_b32_e32 v23, 6, v53
	s_nop 0
	v_cndmask_b32_e64 v0, 0, v0, s[2:3]
	v_perm_b32 v0, v12, v0, s29
	v_or_b32_e32 v12, 7, v53
	v_cmp_lt_i32_e64 s[2:3], v12, v13
	s_nop 1
	v_cndmask_b32_e64 v1, 0, v1, s[2:3]
	v_cmp_lt_i32_e64 s[2:3], v23, v32
	s_nop 1
	v_cndmask_b32_e64 v12, 0, v18, s[2:3]
	v_perm_b32 v1, v1, v12, s29
.LBB280_623:                            ;   in Loop: Header=BB280_521 Depth=1
	s_or_b64 exec, exec, s[8:9]
	;;#ASMSTART
	v_pk_mul_f16 v12, v43, v22;

	;;#ASMEND
	;;#ASMSTART
	v_pk_mul_f16 v16, v42, v16;

	;;#ASMEND
	;; [unrolled: 4-line block ×4, first 2 shown]
	v_accvgpr_read_b32 v23, a5
	;;#ASMSTART
	v_pk_add_f16 v12, v12, v16;

	;;#ASMEND
	v_accvgpr_read_b32 v22, a4
	;;#ASMSTART
	v_pk_add_f16 v0, v12, v0;

	;;#ASMEND
	s_mov_b64 s[2:3], 0
	;;#ASMSTART
	v_pk_add_f16 v0, v0, v1;

	;;#ASMEND
                                        ; implicit-def: $sgpr20
	s_nop 0
	v_lshrrev_b32_e32 v1, 16, v0
	v_and_b32_e32 v0, 0xffff, v0
	;;#ASMSTART
	v_cvt_f32_f16 v0, v0;
	;;#ASMEND
	;;#ASMSTART
	v_cvt_f32_f16 v1, v1;
	;;#ASMEND
	flat_load_dwordx2 v[32:33], v[28:29] offset:1536
	flat_load_dword v30, v[22:23]
	s_waitcnt vmcnt(0) lgkmcnt(0)
	v_cmp_gt_i16_sdwa s[8:9], v32, s17 src0_sel:BYTE_0 src1_sel:DWORD
	s_and_saveexec_b64 s[18:19], s[8:9]
	s_xor_b64 s[8:9], exec, s[18:19]
	s_cbranch_execnz .LBB280_890
; %bb.624:                              ;   in Loop: Header=BB280_521 Depth=1
	s_or_saveexec_b64 s[8:9], s[8:9]
	v_mov_b32_e32 v34, s20
	s_xor_b64 exec, exec, s[8:9]
	s_cbranch_execnz .LBB280_893
.LBB280_625:                            ;   in Loop: Header=BB280_521 Depth=1
	s_or_b64 exec, exec, s[8:9]
	s_and_saveexec_b64 s[8:9], s[2:3]
	s_cbranch_execz .LBB280_627
.LBB280_626:                            ;   in Loop: Header=BB280_521 Depth=1
	v_and_b32_e32 v12, 7, v32
	v_ffbh_u32_e32 v12, v12
	v_bfe_u32 v16, v32, 3, 4
	v_min_u32_e32 v12, 32, v12
	v_subrev_u32_e32 v18, 28, v12
	v_sub_u32_e32 v12, 29, v12
	v_cmp_eq_u32_e64 s[2:3], 0, v16
	s_nop 1
	v_cndmask_b32_e64 v12, v16, v12, s[2:3]
	v_cndmask_b32_e64 v16, 0, v18, s[2:3]
	v_lshlrev_b64 v[22:23], v16, v[32:33]
	v_lshlrev_b32_e32 v18, 8, v32
	v_lshl_add_u32 v12, v12, 10, v55
	v_lshlrev_b32_e32 v16, 7, v22
	v_and_or_b32 v12, v18, s25, v12
	v_and_or_b32 v12, v16, s26, v12
	v_cvt_f32_f16_e32 v34, v12
.LBB280_627:                            ;   in Loop: Header=BB280_521 Depth=1
	s_or_b64 exec, exec, s[8:9]
	v_lshrrev_b16_e32 v16, 8, v32
	v_cmp_lt_i16_e64 s[2:3], s17, v16
	s_mov_b64 s[8:9], 0
                                        ; implicit-def: $sgpr22
	s_and_saveexec_b64 s[18:19], s[2:3]
	s_xor_b64 s[18:19], exec, s[18:19]
	s_cbranch_execnz .LBB280_894
; %bb.628:                              ;   in Loop: Header=BB280_521 Depth=1
	s_or_saveexec_b64 s[18:19], s[18:19]
	v_mov_b32_e32 v36, s22
	s_xor_b64 exec, exec, s[18:19]
	s_cbranch_execnz .LBB280_897
.LBB280_629:                            ;   in Loop: Header=BB280_521 Depth=1
	s_or_b64 exec, exec, s[18:19]
	s_and_saveexec_b64 s[18:19], s[8:9]
	s_cbranch_execz .LBB280_631
.LBB280_630:                            ;   in Loop: Header=BB280_521 Depth=1
	v_and_b32_e32 v12, 7, v16
	v_ffbh_u32_e32 v22, v12
	v_min_u32_e32 v31, 32, v22
	v_subrev_u32_e32 v22, 28, v31
	v_bfe_u32 v18, v16, 3, 4
	v_lshlrev_b64 v[22:23], v22, v[16:17]
	v_sub_u32_e32 v23, 29, v31
	v_cmp_eq_u32_e64 s[2:3], 0, v18
	v_and_b32_e32 v22, 7, v22
	v_lshlrev_b32_e32 v16, 8, v16
	v_cndmask_b32_e64 v18, v18, v23, s[2:3]
	v_lshl_add_u32 v18, v18, 10, v55
	v_cndmask_b32_e64 v12, v12, v22, s[2:3]
	v_and_or_b32 v16, v16, s25, v18
	v_lshl_or_b32 v12, v12, 7, v16
	v_cvt_f32_f16_e32 v36, v12
.LBB280_631:                            ;   in Loop: Header=BB280_521 Depth=1
	s_or_b64 exec, exec, s[18:19]
	v_lshrrev_b32_e32 v16, 16, v32
	v_cmp_gt_i16_sdwa s[8:9], v16, s17 src0_sel:BYTE_0 src1_sel:DWORD
	s_mov_b64 s[2:3], 0
                                        ; implicit-def: $sgpr20
	s_and_saveexec_b64 s[18:19], s[8:9]
	s_xor_b64 s[8:9], exec, s[18:19]
	s_cbranch_execnz .LBB280_898
; %bb.632:                              ;   in Loop: Header=BB280_521 Depth=1
	s_or_saveexec_b64 s[8:9], s[8:9]
	v_mov_b32_e32 v35, s20
	s_xor_b64 exec, exec, s[8:9]
	s_cbranch_execnz .LBB280_901
.LBB280_633:                            ;   in Loop: Header=BB280_521 Depth=1
	s_or_b64 exec, exec, s[8:9]
	s_and_saveexec_b64 s[8:9], s[2:3]
	s_cbranch_execz .LBB280_635
.LBB280_634:                            ;   in Loop: Header=BB280_521 Depth=1
	v_bfe_u32 v12, v32, 16, 3
	v_ffbh_u32_e32 v22, v12
	v_min_u32_e32 v31, 32, v22
	v_subrev_u32_e32 v22, 28, v31
	v_bfe_u32 v18, v32, 19, 4
	v_lshlrev_b64 v[22:23], v22, v[16:17]
	v_sub_u32_e32 v23, 29, v31
	v_cmp_eq_u32_e64 s[2:3], 0, v18
	v_and_b32_e32 v22, 7, v22
	v_lshlrev_b32_e32 v16, 8, v16
	v_cndmask_b32_e64 v18, v18, v23, s[2:3]
	v_lshl_add_u32 v18, v18, 10, v55
	v_cndmask_b32_e64 v12, v12, v22, s[2:3]
	v_and_or_b32 v16, v16, s25, v18
	v_lshl_or_b32 v12, v12, 7, v16
	v_cvt_f32_f16_e32 v35, v12
.LBB280_635:                            ;   in Loop: Header=BB280_521 Depth=1
	s_or_b64 exec, exec, s[8:9]
	v_lshrrev_b32_e32 v16, 24, v32
	v_cmp_lt_i16_e64 s[2:3], s17, v16
	s_mov_b64 s[8:9], 0
                                        ; implicit-def: $sgpr22
	s_and_saveexec_b64 s[18:19], s[2:3]
	s_xor_b64 s[18:19], exec, s[18:19]
	s_cbranch_execnz .LBB280_902
; %bb.636:                              ;   in Loop: Header=BB280_521 Depth=1
	s_or_saveexec_b64 s[18:19], s[18:19]
	v_mov_b32_e32 v37, s22
	s_xor_b64 exec, exec, s[18:19]
	s_cbranch_execnz .LBB280_905
.LBB280_637:                            ;   in Loop: Header=BB280_521 Depth=1
	s_or_b64 exec, exec, s[18:19]
	s_and_saveexec_b64 s[18:19], s[8:9]
	s_cbranch_execz .LBB280_639
.LBB280_638:                            ;   in Loop: Header=BB280_521 Depth=1
	v_bfe_u32 v12, v32, 24, 3
	v_ffbh_u32_e32 v22, v12
	v_min_u32_e32 v31, 32, v22
	v_subrev_u32_e32 v22, 28, v31
	v_bfe_u32 v18, v32, 27, 4
	v_lshlrev_b64 v[22:23], v22, v[16:17]
	v_sub_u32_e32 v23, 29, v31
	v_cmp_eq_u32_e64 s[2:3], 0, v18
	v_and_b32_e32 v22, 7, v22
	v_lshlrev_b32_e32 v16, 8, v16
	v_cndmask_b32_e64 v18, v18, v23, s[2:3]
	v_lshl_add_u32 v18, v18, 10, v55
	v_cndmask_b32_e64 v12, v12, v22, s[2:3]
	v_and_or_b32 v16, v16, s25, v18
	v_lshl_or_b32 v12, v12, 7, v16
	v_cvt_f32_f16_e32 v37, v12
.LBB280_639:                            ;   in Loop: Header=BB280_521 Depth=1
	s_or_b64 exec, exec, s[18:19]
	v_cmp_gt_i16_sdwa s[8:9], v33, s17 src0_sel:BYTE_0 src1_sel:DWORD
	s_mov_b64 s[2:3], 0
                                        ; implicit-def: $sgpr20
	s_and_saveexec_b64 s[18:19], s[8:9]
	s_xor_b64 s[8:9], exec, s[18:19]
	s_cbranch_execnz .LBB280_906
; %bb.640:                              ;   in Loop: Header=BB280_521 Depth=1
	s_or_saveexec_b64 s[8:9], s[8:9]
	v_mov_b32_e32 v18, s20
	s_xor_b64 exec, exec, s[8:9]
	s_cbranch_execnz .LBB280_909
.LBB280_641:                            ;   in Loop: Header=BB280_521 Depth=1
	s_or_b64 exec, exec, s[8:9]
	v_mov_b32_e32 v16, v33
	s_and_saveexec_b64 s[8:9], s[2:3]
	s_cbranch_execz .LBB280_643
.LBB280_642:                            ;   in Loop: Header=BB280_521 Depth=1
	v_and_b32_e32 v12, 7, v33
	v_ffbh_u32_e32 v12, v12
	v_bfe_u32 v18, v33, 3, 4
	v_min_u32_e32 v12, 32, v12
	v_subrev_u32_e32 v22, 28, v12
	v_sub_u32_e32 v12, 29, v12
	v_cmp_eq_u32_e64 s[2:3], 0, v18
	s_nop 1
	v_cndmask_b32_e64 v12, v18, v12, s[2:3]
	v_cndmask_b32_e64 v18, 0, v22, s[2:3]
	v_lshlrev_b64 v[22:23], v18, v[16:17]
	v_lshlrev_b32_e32 v18, 7, v22
	v_lshlrev_b32_e32 v22, 8, v33
	v_lshl_add_u32 v12, v12, 10, v55
	v_and_or_b32 v12, v22, s25, v12
	v_and_or_b32 v12, v18, s26, v12
	v_cvt_f32_f16_e32 v18, v12
.LBB280_643:                            ;   in Loop: Header=BB280_521 Depth=1
	s_or_b64 exec, exec, s[8:9]
	v_lshrrev_b16_e32 v16, 8, v16
	v_cmp_lt_i16_e64 s[2:3], s17, v16
	s_mov_b64 s[8:9], 0
                                        ; implicit-def: $sgpr22
	s_and_saveexec_b64 s[18:19], s[2:3]
	s_xor_b64 s[18:19], exec, s[18:19]
	s_cbranch_execnz .LBB280_910
; %bb.644:                              ;   in Loop: Header=BB280_521 Depth=1
	s_or_saveexec_b64 s[18:19], s[18:19]
	v_mov_b32_e32 v22, s22
	s_xor_b64 exec, exec, s[18:19]
	s_cbranch_execnz .LBB280_913
.LBB280_645:                            ;   in Loop: Header=BB280_521 Depth=1
	s_or_b64 exec, exec, s[18:19]
	s_and_saveexec_b64 s[18:19], s[8:9]
	s_cbranch_execz .LBB280_647
.LBB280_646:                            ;   in Loop: Header=BB280_521 Depth=1
	v_and_b32_e32 v12, 7, v16
	v_ffbh_u32_e32 v22, v12
	v_min_u32_e32 v32, 32, v22
	v_subrev_u32_e32 v22, 28, v32
	v_bfe_u32 v31, v16, 3, 4
	v_lshlrev_b64 v[22:23], v22, v[16:17]
	v_sub_u32_e32 v23, 29, v32
	v_cmp_eq_u32_e64 s[2:3], 0, v31
	v_and_b32_e32 v22, 7, v22
	v_lshlrev_b32_e32 v16, 8, v16
	v_cndmask_b32_e64 v23, v31, v23, s[2:3]
	v_cndmask_b32_e64 v12, v12, v22, s[2:3]
	v_lshl_add_u32 v22, v23, 10, v55
	v_and_or_b32 v16, v16, s25, v22
	v_lshl_or_b32 v12, v12, 7, v16
	v_cvt_f32_f16_e32 v22, v12
.LBB280_647:                            ;   in Loop: Header=BB280_521 Depth=1
	s_or_b64 exec, exec, s[18:19]
	v_lshrrev_b32_e32 v16, 16, v33
	v_cmp_gt_i16_sdwa s[8:9], v16, s17 src0_sel:BYTE_0 src1_sel:DWORD
	s_mov_b64 s[2:3], 0
                                        ; implicit-def: $sgpr20
	s_and_saveexec_b64 s[18:19], s[8:9]
	s_xor_b64 s[8:9], exec, s[18:19]
	s_cbranch_execnz .LBB280_914
; %bb.648:                              ;   in Loop: Header=BB280_521 Depth=1
	s_or_saveexec_b64 s[8:9], s[8:9]
	v_mov_b32_e32 v23, s20
	s_xor_b64 exec, exec, s[8:9]
	s_cbranch_execnz .LBB280_917
.LBB280_649:                            ;   in Loop: Header=BB280_521 Depth=1
	s_or_b64 exec, exec, s[8:9]
	s_and_saveexec_b64 s[8:9], s[2:3]
	s_cbranch_execz .LBB280_651
.LBB280_650:                            ;   in Loop: Header=BB280_521 Depth=1
	v_bfe_u32 v12, v33, 16, 3
	v_ffbh_u32_e32 v31, v12
	v_bfe_u32 v23, v33, 19, 4
	v_min_u32_e32 v31, 32, v31
	v_subrev_u32_e32 v32, 28, v31
	v_sub_u32_e32 v31, 29, v31
	v_cmp_eq_u32_e64 s[2:3], 0, v23
	v_lshlrev_b64 v[38:39], v32, v[16:17]
	v_and_b32_e32 v32, 7, v38
	v_cndmask_b32_e64 v23, v23, v31, s[2:3]
	v_lshlrev_b32_e32 v16, 8, v16
	v_lshl_add_u32 v23, v23, 10, v55
	v_cndmask_b32_e64 v12, v12, v32, s[2:3]
	v_and_or_b32 v16, v16, s25, v23
	v_lshl_or_b32 v12, v12, 7, v16
	v_cvt_f32_f16_e32 v23, v12
.LBB280_651:                            ;   in Loop: Header=BB280_521 Depth=1
	s_or_b64 exec, exec, s[8:9]
	v_lshrrev_b32_e32 v16, 24, v33
	v_cmp_lt_i16_e64 s[2:3], s17, v16
	s_mov_b64 s[8:9], 0
                                        ; implicit-def: $sgpr22
	s_and_saveexec_b64 s[18:19], s[2:3]
	s_xor_b64 s[18:19], exec, s[18:19]
	s_cbranch_execnz .LBB280_918
; %bb.652:                              ;   in Loop: Header=BB280_521 Depth=1
	s_or_saveexec_b64 s[18:19], s[18:19]
	v_mov_b32_e32 v32, s22
	s_xor_b64 exec, exec, s[18:19]
	s_cbranch_execnz .LBB280_921
.LBB280_653:                            ;   in Loop: Header=BB280_521 Depth=1
	s_or_b64 exec, exec, s[18:19]
	s_and_saveexec_b64 s[18:19], s[8:9]
	s_cbranch_execz .LBB280_655
.LBB280_654:                            ;   in Loop: Header=BB280_521 Depth=1
	v_bfe_u32 v12, v33, 24, 3
	v_ffbh_u32_e32 v32, v12
	v_min_u32_e32 v38, 32, v32
	v_subrev_u32_e32 v32, 28, v38
	v_bfe_u32 v31, v33, 27, 4
	v_lshlrev_b64 v[32:33], v32, v[16:17]
	v_sub_u32_e32 v33, 29, v38
	v_cmp_eq_u32_e64 s[2:3], 0, v31
	v_and_b32_e32 v32, 7, v32
	v_lshlrev_b32_e32 v16, 8, v16
	v_cndmask_b32_e64 v31, v31, v33, s[2:3]
	v_lshl_add_u32 v31, v31, 10, v55
	v_cndmask_b32_e64 v12, v12, v32, s[2:3]
	v_and_or_b32 v16, v16, s25, v31
	v_lshl_or_b32 v12, v12, 7, v16
	v_cvt_f32_f16_e32 v32, v12
.LBB280_655:                            ;   in Loop: Header=BB280_521 Depth=1
	s_or_b64 exec, exec, s[18:19]
	v_pk_mul_f32 v[36:37], v[30:31], v[36:37] op_sel_hi:[0,1]
	v_pk_mul_f32 v[34:35], v[30:31], v[34:35] op_sel_hi:[0,1]
	v_cvt_f16_f32_e32 v12, v37
	v_cvt_f16_f32_e32 v16, v36
	;; [unrolled: 1-line block ×4, first 2 shown]
	v_fma_mixlo_f16 v18, v30, v18, 0
	v_pack_b32_f16 v12, v16, v12
	v_fma_mixlo_f16 v23, v30, v23, 0
	v_pack_b32_f16 v31, v33, v31
	v_perm_b32 v16, v31, v12, s27
	v_perm_b32 v31, v31, v12, s28
	v_fma_mixlo_f16 v12, v30, v22, 0
	v_lshlrev_b32_e32 v12, 16, v12
	v_or_b32_sdwa v18, v12, v18 dst_sel:DWORD dst_unused:UNUSED_PAD src0_sel:DWORD src1_sel:WORD_0
	v_fma_mixlo_f16 v12, v30, v32, 0
	v_lshlrev_b32_e32 v12, 16, v12
	v_or_b32_sdwa v22, v12, v23 dst_sel:DWORD dst_unused:UNUSED_PAD src0_sel:DWORD src1_sel:WORD_0
	s_and_saveexec_b64 s[8:9], s[0:1]
	s_cbranch_execz .LBB280_657
; %bb.656:                              ;   in Loop: Header=BB280_521 Depth=1
	v_add_u32_e32 v12, 1, v53
	v_lshrrev_b32_e32 v30, 16, v31
	v_cmp_lt_i32_e64 s[2:3], v12, v13
	v_accvgpr_read_b32 v34, a8
	v_lshrrev_b32_e32 v32, 16, v16
	v_cndmask_b32_e64 v12, 0, v30, s[2:3]
	v_cmp_lt_i32_e64 s[2:3], v53, v34
	v_lshrrev_b32_e32 v22, 16, v22
	s_nop 0
	v_cndmask_b32_e64 v30, 0, v31, s[2:3]
	v_perm_b32 v31, v12, v30, s29
	v_or_b32_e32 v12, 3, v53
	v_or_b32_e32 v30, 2, v53
	v_cmp_lt_i32_e64 s[2:3], v12, v13
	s_nop 1
	v_cndmask_b32_e64 v12, 0, v32, s[2:3]
	v_cmp_lt_i32_e64 s[2:3], v30, v34
	v_or_b32_e32 v30, 4, v53
	v_lshrrev_b32_e32 v32, 16, v18
	v_cndmask_b32_e64 v16, 0, v16, s[2:3]
	v_perm_b32 v16, v12, v16, s29
	v_or_b32_e32 v12, 5, v53
	v_cmp_lt_i32_e64 s[2:3], v12, v13
	s_nop 1
	v_cndmask_b32_e64 v12, 0, v32, s[2:3]
	v_cmp_lt_i32_e64 s[2:3], v30, v34
	v_or_b32_e32 v30, 6, v53
	s_nop 0
	v_cndmask_b32_e64 v18, 0, v18, s[2:3]
	v_perm_b32 v18, v12, v18, s29
	v_or_b32_e32 v12, 7, v53
	v_cmp_lt_i32_e64 s[2:3], v12, v13
	s_nop 1
	v_cndmask_b32_e64 v12, 0, v22, s[2:3]
	v_cmp_lt_i32_e64 s[2:3], v30, v34
	s_nop 1
	v_cndmask_b32_e64 v22, 0, v23, s[2:3]
	v_perm_b32 v22, v12, v22, s29
.LBB280_657:                            ;   in Loop: Header=BB280_521 Depth=1
	s_or_b64 exec, exec, s[8:9]
	;;#ASMSTART
	v_pk_mul_f16 v12, v43, v31;

	;;#ASMEND
	;;#ASMSTART
	v_pk_mul_f16 v16, v42, v16;

	;;#ASMEND
	;; [unrolled: 4-line block ×4, first 2 shown]
	s_mov_b64 s[2:3], 0
	;;#ASMSTART
	v_pk_add_f16 v12, v12, v16;

	;;#ASMEND
                                        ; implicit-def: $sgpr20
	s_nop 0
	;;#ASMSTART
	v_pk_add_f16 v12, v12, v18;

	;;#ASMEND
	s_nop 0
	;;#ASMSTART
	v_pk_add_f16 v12, v12, v22;

	;;#ASMEND
	v_accvgpr_read_b32 v23, a5
	v_lshrrev_b32_e32 v16, 16, v12
	v_and_b32_e32 v12, 0xffff, v12
	;;#ASMSTART
	v_cvt_f32_f16 v38, v12;
	;;#ASMEND
	;;#ASMSTART
	v_cvt_f32_f16 v56, v16;
	;;#ASMEND
	flat_load_dwordx2 v[32:33], v[28:29] offset:2048
	v_accvgpr_read_b32 v22, a4
	flat_load_dword v30, v[22:23]
	s_waitcnt vmcnt(0) lgkmcnt(0)
	v_cmp_gt_i16_sdwa s[8:9], v32, s17 src0_sel:BYTE_0 src1_sel:DWORD
	s_and_saveexec_b64 s[18:19], s[8:9]
	s_xor_b64 s[8:9], exec, s[18:19]
	s_cbranch_execnz .LBB280_922
; %bb.658:                              ;   in Loop: Header=BB280_521 Depth=1
	s_or_saveexec_b64 s[8:9], s[8:9]
	v_mov_b32_e32 v34, s20
	s_xor_b64 exec, exec, s[8:9]
	s_cbranch_execnz .LBB280_925
.LBB280_659:                            ;   in Loop: Header=BB280_521 Depth=1
	s_or_b64 exec, exec, s[8:9]
	s_and_saveexec_b64 s[8:9], s[2:3]
	s_cbranch_execz .LBB280_661
.LBB280_660:                            ;   in Loop: Header=BB280_521 Depth=1
	v_and_b32_e32 v12, 7, v32
	v_ffbh_u32_e32 v12, v12
	v_bfe_u32 v16, v32, 3, 4
	v_min_u32_e32 v12, 32, v12
	v_subrev_u32_e32 v18, 28, v12
	v_sub_u32_e32 v12, 29, v12
	v_cmp_eq_u32_e64 s[2:3], 0, v16
	s_nop 1
	v_cndmask_b32_e64 v12, v16, v12, s[2:3]
	v_cndmask_b32_e64 v16, 0, v18, s[2:3]
	v_lshlrev_b64 v[22:23], v16, v[32:33]
	v_lshlrev_b32_e32 v18, 8, v32
	v_lshl_add_u32 v12, v12, 10, v55
	v_lshlrev_b32_e32 v16, 7, v22
	v_and_or_b32 v12, v18, s25, v12
	v_and_or_b32 v12, v16, s26, v12
	v_cvt_f32_f16_e32 v34, v12
.LBB280_661:                            ;   in Loop: Header=BB280_521 Depth=1
	s_or_b64 exec, exec, s[8:9]
	v_lshrrev_b16_e32 v16, 8, v32
	v_cmp_lt_i16_e64 s[2:3], s17, v16
	s_mov_b64 s[8:9], 0
                                        ; implicit-def: $sgpr22
	s_and_saveexec_b64 s[18:19], s[2:3]
	s_xor_b64 s[18:19], exec, s[18:19]
	s_cbranch_execnz .LBB280_926
; %bb.662:                              ;   in Loop: Header=BB280_521 Depth=1
	s_or_saveexec_b64 s[18:19], s[18:19]
	v_mov_b32_e32 v36, s22
	s_xor_b64 exec, exec, s[18:19]
	s_cbranch_execnz .LBB280_929
.LBB280_663:                            ;   in Loop: Header=BB280_521 Depth=1
	s_or_b64 exec, exec, s[18:19]
	s_and_saveexec_b64 s[18:19], s[8:9]
	s_cbranch_execz .LBB280_665
.LBB280_664:                            ;   in Loop: Header=BB280_521 Depth=1
	v_and_b32_e32 v12, 7, v16
	v_ffbh_u32_e32 v22, v12
	v_min_u32_e32 v31, 32, v22
	v_subrev_u32_e32 v22, 28, v31
	v_bfe_u32 v18, v16, 3, 4
	v_lshlrev_b64 v[22:23], v22, v[16:17]
	v_sub_u32_e32 v23, 29, v31
	v_cmp_eq_u32_e64 s[2:3], 0, v18
	v_and_b32_e32 v22, 7, v22
	v_lshlrev_b32_e32 v16, 8, v16
	v_cndmask_b32_e64 v18, v18, v23, s[2:3]
	v_lshl_add_u32 v18, v18, 10, v55
	v_cndmask_b32_e64 v12, v12, v22, s[2:3]
	v_and_or_b32 v16, v16, s25, v18
	v_lshl_or_b32 v12, v12, 7, v16
	v_cvt_f32_f16_e32 v36, v12
.LBB280_665:                            ;   in Loop: Header=BB280_521 Depth=1
	s_or_b64 exec, exec, s[18:19]
	v_lshrrev_b32_e32 v16, 16, v32
	v_cmp_gt_i16_sdwa s[8:9], v16, s17 src0_sel:BYTE_0 src1_sel:DWORD
	s_mov_b64 s[2:3], 0
                                        ; implicit-def: $sgpr20
	s_and_saveexec_b64 s[18:19], s[8:9]
	s_xor_b64 s[8:9], exec, s[18:19]
	s_cbranch_execnz .LBB280_930
; %bb.666:                              ;   in Loop: Header=BB280_521 Depth=1
	s_or_saveexec_b64 s[8:9], s[8:9]
	v_mov_b32_e32 v35, s20
	s_xor_b64 exec, exec, s[8:9]
	s_cbranch_execnz .LBB280_933
.LBB280_667:                            ;   in Loop: Header=BB280_521 Depth=1
	s_or_b64 exec, exec, s[8:9]
	s_and_saveexec_b64 s[8:9], s[2:3]
	s_cbranch_execz .LBB280_669
.LBB280_668:                            ;   in Loop: Header=BB280_521 Depth=1
	v_bfe_u32 v12, v32, 16, 3
	v_ffbh_u32_e32 v22, v12
	v_min_u32_e32 v31, 32, v22
	v_subrev_u32_e32 v22, 28, v31
	v_bfe_u32 v18, v32, 19, 4
	v_lshlrev_b64 v[22:23], v22, v[16:17]
	v_sub_u32_e32 v23, 29, v31
	v_cmp_eq_u32_e64 s[2:3], 0, v18
	v_and_b32_e32 v22, 7, v22
	v_lshlrev_b32_e32 v16, 8, v16
	v_cndmask_b32_e64 v18, v18, v23, s[2:3]
	v_lshl_add_u32 v18, v18, 10, v55
	v_cndmask_b32_e64 v12, v12, v22, s[2:3]
	v_and_or_b32 v16, v16, s25, v18
	v_lshl_or_b32 v12, v12, 7, v16
	v_cvt_f32_f16_e32 v35, v12
.LBB280_669:                            ;   in Loop: Header=BB280_521 Depth=1
	s_or_b64 exec, exec, s[8:9]
	v_lshrrev_b32_e32 v16, 24, v32
	v_cmp_lt_i16_e64 s[2:3], s17, v16
	s_mov_b64 s[8:9], 0
                                        ; implicit-def: $sgpr22
	s_and_saveexec_b64 s[18:19], s[2:3]
	s_xor_b64 s[18:19], exec, s[18:19]
	s_cbranch_execnz .LBB280_934
; %bb.670:                              ;   in Loop: Header=BB280_521 Depth=1
	s_or_saveexec_b64 s[18:19], s[18:19]
	v_mov_b32_e32 v37, s22
	s_xor_b64 exec, exec, s[18:19]
	s_cbranch_execnz .LBB280_937
.LBB280_671:                            ;   in Loop: Header=BB280_521 Depth=1
	s_or_b64 exec, exec, s[18:19]
	s_and_saveexec_b64 s[18:19], s[8:9]
	s_cbranch_execz .LBB280_673
.LBB280_672:                            ;   in Loop: Header=BB280_521 Depth=1
	v_bfe_u32 v12, v32, 24, 3
	v_ffbh_u32_e32 v22, v12
	v_min_u32_e32 v31, 32, v22
	v_subrev_u32_e32 v22, 28, v31
	v_bfe_u32 v18, v32, 27, 4
	v_lshlrev_b64 v[22:23], v22, v[16:17]
	v_sub_u32_e32 v23, 29, v31
	v_cmp_eq_u32_e64 s[2:3], 0, v18
	v_and_b32_e32 v22, 7, v22
	v_lshlrev_b32_e32 v16, 8, v16
	v_cndmask_b32_e64 v18, v18, v23, s[2:3]
	v_lshl_add_u32 v18, v18, 10, v55
	v_cndmask_b32_e64 v12, v12, v22, s[2:3]
	v_and_or_b32 v16, v16, s25, v18
	v_lshl_or_b32 v12, v12, 7, v16
	v_cvt_f32_f16_e32 v37, v12
.LBB280_673:                            ;   in Loop: Header=BB280_521 Depth=1
	s_or_b64 exec, exec, s[18:19]
	v_cmp_gt_i16_sdwa s[8:9], v33, s17 src0_sel:BYTE_0 src1_sel:DWORD
	s_mov_b64 s[2:3], 0
                                        ; implicit-def: $sgpr20
	s_and_saveexec_b64 s[18:19], s[8:9]
	s_xor_b64 s[8:9], exec, s[18:19]
	s_cbranch_execnz .LBB280_938
; %bb.674:                              ;   in Loop: Header=BB280_521 Depth=1
	s_or_saveexec_b64 s[8:9], s[8:9]
	v_mov_b32_e32 v18, s20
	s_xor_b64 exec, exec, s[8:9]
	s_cbranch_execnz .LBB280_941
.LBB280_675:                            ;   in Loop: Header=BB280_521 Depth=1
	s_or_b64 exec, exec, s[8:9]
	v_mov_b32_e32 v16, v33
	s_and_saveexec_b64 s[8:9], s[2:3]
	s_cbranch_execz .LBB280_677
.LBB280_676:                            ;   in Loop: Header=BB280_521 Depth=1
	v_and_b32_e32 v12, 7, v33
	v_ffbh_u32_e32 v12, v12
	v_bfe_u32 v18, v33, 3, 4
	v_min_u32_e32 v12, 32, v12
	v_subrev_u32_e32 v22, 28, v12
	v_sub_u32_e32 v12, 29, v12
	v_cmp_eq_u32_e64 s[2:3], 0, v18
	s_nop 1
	v_cndmask_b32_e64 v12, v18, v12, s[2:3]
	v_cndmask_b32_e64 v18, 0, v22, s[2:3]
	v_lshlrev_b64 v[22:23], v18, v[16:17]
	v_lshlrev_b32_e32 v18, 7, v22
	v_lshlrev_b32_e32 v22, 8, v33
	v_lshl_add_u32 v12, v12, 10, v55
	v_and_or_b32 v12, v22, s25, v12
	v_and_or_b32 v12, v18, s26, v12
	v_cvt_f32_f16_e32 v18, v12
.LBB280_677:                            ;   in Loop: Header=BB280_521 Depth=1
	s_or_b64 exec, exec, s[8:9]
	v_lshrrev_b16_e32 v16, 8, v16
	v_cmp_lt_i16_e64 s[2:3], s17, v16
	s_mov_b64 s[8:9], 0
                                        ; implicit-def: $sgpr22
	s_and_saveexec_b64 s[18:19], s[2:3]
	s_xor_b64 s[18:19], exec, s[18:19]
	s_cbranch_execnz .LBB280_942
; %bb.678:                              ;   in Loop: Header=BB280_521 Depth=1
	s_or_saveexec_b64 s[18:19], s[18:19]
	v_mov_b32_e32 v22, s22
	s_xor_b64 exec, exec, s[18:19]
	s_cbranch_execnz .LBB280_945
.LBB280_679:                            ;   in Loop: Header=BB280_521 Depth=1
	s_or_b64 exec, exec, s[18:19]
	s_and_saveexec_b64 s[18:19], s[8:9]
	s_cbranch_execz .LBB280_681
.LBB280_680:                            ;   in Loop: Header=BB280_521 Depth=1
	v_and_b32_e32 v12, 7, v16
	v_ffbh_u32_e32 v22, v12
	v_min_u32_e32 v32, 32, v22
	v_subrev_u32_e32 v22, 28, v32
	v_bfe_u32 v31, v16, 3, 4
	v_lshlrev_b64 v[22:23], v22, v[16:17]
	v_sub_u32_e32 v23, 29, v32
	v_cmp_eq_u32_e64 s[2:3], 0, v31
	v_and_b32_e32 v22, 7, v22
	v_lshlrev_b32_e32 v16, 8, v16
	v_cndmask_b32_e64 v23, v31, v23, s[2:3]
	v_cndmask_b32_e64 v12, v12, v22, s[2:3]
	v_lshl_add_u32 v22, v23, 10, v55
	v_and_or_b32 v16, v16, s25, v22
	v_lshl_or_b32 v12, v12, 7, v16
	v_cvt_f32_f16_e32 v22, v12
.LBB280_681:                            ;   in Loop: Header=BB280_521 Depth=1
	s_or_b64 exec, exec, s[18:19]
	v_lshrrev_b32_e32 v16, 16, v33
	v_cmp_gt_i16_sdwa s[8:9], v16, s17 src0_sel:BYTE_0 src1_sel:DWORD
	s_mov_b64 s[2:3], 0
                                        ; implicit-def: $sgpr20
	s_and_saveexec_b64 s[18:19], s[8:9]
	s_xor_b64 s[8:9], exec, s[18:19]
	s_cbranch_execnz .LBB280_946
; %bb.682:                              ;   in Loop: Header=BB280_521 Depth=1
	s_or_saveexec_b64 s[8:9], s[8:9]
	v_mov_b32_e32 v23, s20
	s_xor_b64 exec, exec, s[8:9]
	s_cbranch_execnz .LBB280_949
.LBB280_683:                            ;   in Loop: Header=BB280_521 Depth=1
	s_or_b64 exec, exec, s[8:9]
	s_and_saveexec_b64 s[8:9], s[2:3]
	s_cbranch_execz .LBB280_685
.LBB280_684:                            ;   in Loop: Header=BB280_521 Depth=1
	v_bfe_u32 v12, v33, 16, 3
	v_ffbh_u32_e32 v31, v12
	v_bfe_u32 v23, v33, 19, 4
	v_min_u32_e32 v31, 32, v31
	v_subrev_u32_e32 v32, 28, v31
	v_sub_u32_e32 v31, 29, v31
	v_cmp_eq_u32_e64 s[2:3], 0, v23
	v_lshlrev_b64 v[58:59], v32, v[16:17]
	v_and_b32_e32 v32, 7, v58
	v_cndmask_b32_e64 v23, v23, v31, s[2:3]
	v_lshlrev_b32_e32 v16, 8, v16
	v_lshl_add_u32 v23, v23, 10, v55
	v_cndmask_b32_e64 v12, v12, v32, s[2:3]
	v_and_or_b32 v16, v16, s25, v23
	v_lshl_or_b32 v12, v12, 7, v16
	v_cvt_f32_f16_e32 v23, v12
.LBB280_685:                            ;   in Loop: Header=BB280_521 Depth=1
	s_or_b64 exec, exec, s[8:9]
	v_lshrrev_b32_e32 v16, 24, v33
	v_cmp_lt_i16_e64 s[2:3], s17, v16
	s_mov_b64 s[8:9], 0
                                        ; implicit-def: $sgpr22
	s_and_saveexec_b64 s[18:19], s[2:3]
	s_xor_b64 s[18:19], exec, s[18:19]
	s_cbranch_execnz .LBB280_950
; %bb.686:                              ;   in Loop: Header=BB280_521 Depth=1
	s_or_saveexec_b64 s[18:19], s[18:19]
	v_mov_b32_e32 v32, s22
	s_xor_b64 exec, exec, s[18:19]
	s_cbranch_execnz .LBB280_953
.LBB280_687:                            ;   in Loop: Header=BB280_521 Depth=1
	s_or_b64 exec, exec, s[18:19]
	s_and_saveexec_b64 s[18:19], s[8:9]
	s_cbranch_execz .LBB280_689
.LBB280_688:                            ;   in Loop: Header=BB280_521 Depth=1
	v_bfe_u32 v12, v33, 24, 3
	v_ffbh_u32_e32 v32, v12
	v_min_u32_e32 v39, 32, v32
	v_subrev_u32_e32 v32, 28, v39
	v_bfe_u32 v31, v33, 27, 4
	v_lshlrev_b64 v[32:33], v32, v[16:17]
	v_sub_u32_e32 v33, 29, v39
	v_cmp_eq_u32_e64 s[2:3], 0, v31
	v_and_b32_e32 v32, 7, v32
	v_lshlrev_b32_e32 v16, 8, v16
	v_cndmask_b32_e64 v31, v31, v33, s[2:3]
	v_lshl_add_u32 v31, v31, 10, v55
	v_cndmask_b32_e64 v12, v12, v32, s[2:3]
	v_and_or_b32 v16, v16, s25, v31
	v_lshl_or_b32 v12, v12, 7, v16
	v_cvt_f32_f16_e32 v32, v12
.LBB280_689:                            ;   in Loop: Header=BB280_521 Depth=1
	s_or_b64 exec, exec, s[18:19]
	v_pk_mul_f32 v[36:37], v[30:31], v[36:37] op_sel_hi:[0,1]
	v_pk_mul_f32 v[34:35], v[30:31], v[34:35] op_sel_hi:[0,1]
	v_cvt_f16_f32_e32 v12, v37
	v_cvt_f16_f32_e32 v16, v36
	;; [unrolled: 1-line block ×4, first 2 shown]
	v_fma_mixlo_f16 v18, v30, v18, 0
	v_pack_b32_f16 v12, v16, v12
	v_fma_mixlo_f16 v23, v30, v23, 0
	v_pack_b32_f16 v31, v33, v31
	v_perm_b32 v16, v31, v12, s27
	v_perm_b32 v31, v31, v12, s28
	v_fma_mixlo_f16 v12, v30, v22, 0
	v_lshlrev_b32_e32 v12, 16, v12
	v_or_b32_sdwa v18, v12, v18 dst_sel:DWORD dst_unused:UNUSED_PAD src0_sel:DWORD src1_sel:WORD_0
	v_fma_mixlo_f16 v12, v30, v32, 0
	v_lshlrev_b32_e32 v12, 16, v12
	v_or_b32_sdwa v22, v12, v23 dst_sel:DWORD dst_unused:UNUSED_PAD src0_sel:DWORD src1_sel:WORD_0
	s_and_saveexec_b64 s[8:9], s[0:1]
	s_cbranch_execz .LBB280_691
; %bb.690:                              ;   in Loop: Header=BB280_521 Depth=1
	v_add_u32_e32 v12, 1, v53
	v_lshrrev_b32_e32 v30, 16, v31
	v_cmp_lt_i32_e64 s[2:3], v12, v13
	v_accvgpr_read_b32 v34, a8
	v_lshrrev_b32_e32 v32, 16, v16
	v_cndmask_b32_e64 v12, 0, v30, s[2:3]
	v_cmp_lt_i32_e64 s[2:3], v53, v34
	v_lshrrev_b32_e32 v22, 16, v22
	s_nop 0
	v_cndmask_b32_e64 v30, 0, v31, s[2:3]
	v_perm_b32 v31, v12, v30, s29
	v_or_b32_e32 v12, 3, v53
	v_or_b32_e32 v30, 2, v53
	v_cmp_lt_i32_e64 s[2:3], v12, v13
	s_nop 1
	v_cndmask_b32_e64 v12, 0, v32, s[2:3]
	v_cmp_lt_i32_e64 s[2:3], v30, v34
	v_or_b32_e32 v30, 4, v53
	v_lshrrev_b32_e32 v32, 16, v18
	v_cndmask_b32_e64 v16, 0, v16, s[2:3]
	v_perm_b32 v16, v12, v16, s29
	v_or_b32_e32 v12, 5, v53
	v_cmp_lt_i32_e64 s[2:3], v12, v13
	s_nop 1
	v_cndmask_b32_e64 v12, 0, v32, s[2:3]
	v_cmp_lt_i32_e64 s[2:3], v30, v34
	v_or_b32_e32 v30, 6, v53
	s_nop 0
	v_cndmask_b32_e64 v18, 0, v18, s[2:3]
	v_perm_b32 v18, v12, v18, s29
	v_or_b32_e32 v12, 7, v53
	v_cmp_lt_i32_e64 s[2:3], v12, v13
	s_nop 1
	v_cndmask_b32_e64 v12, 0, v22, s[2:3]
	v_cmp_lt_i32_e64 s[2:3], v30, v34
	s_nop 1
	v_cndmask_b32_e64 v22, 0, v23, s[2:3]
	v_perm_b32 v22, v12, v22, s29
.LBB280_691:                            ;   in Loop: Header=BB280_521 Depth=1
	s_or_b64 exec, exec, s[8:9]
	;;#ASMSTART
	v_pk_mul_f16 v12, v43, v31;

	;;#ASMEND
	;;#ASMSTART
	v_pk_mul_f16 v16, v42, v16;

	;;#ASMEND
	;; [unrolled: 4-line block ×4, first 2 shown]
	s_mov_b64 s[2:3], 0
	;;#ASMSTART
	v_pk_add_f16 v12, v12, v16;

	;;#ASMEND
                                        ; implicit-def: $sgpr20
	s_nop 0
	;;#ASMSTART
	v_pk_add_f16 v12, v12, v18;

	;;#ASMEND
	s_nop 0
	;;#ASMSTART
	v_pk_add_f16 v12, v12, v22;

	;;#ASMEND
	v_accvgpr_read_b32 v23, a5
	v_lshrrev_b32_e32 v16, 16, v12
	v_and_b32_e32 v12, 0xffff, v12
	;;#ASMSTART
	v_cvt_f32_f16 v18, v12;
	;;#ASMEND
	;;#ASMSTART
	v_cvt_f32_f16 v39, v16;
	;;#ASMEND
	flat_load_dwordx2 v[32:33], v[28:29] offset:2560
	v_accvgpr_read_b32 v22, a4
	flat_load_dword v30, v[22:23]
	s_waitcnt vmcnt(0) lgkmcnt(0)
	v_cmp_gt_i16_sdwa s[8:9], v32, s17 src0_sel:BYTE_0 src1_sel:DWORD
	s_and_saveexec_b64 s[18:19], s[8:9]
	s_xor_b64 s[8:9], exec, s[18:19]
	s_cbranch_execnz .LBB280_954
; %bb.692:                              ;   in Loop: Header=BB280_521 Depth=1
	s_or_saveexec_b64 s[8:9], s[8:9]
	v_mov_b32_e32 v34, s20
	s_xor_b64 exec, exec, s[8:9]
	s_cbranch_execnz .LBB280_957
.LBB280_693:                            ;   in Loop: Header=BB280_521 Depth=1
	s_or_b64 exec, exec, s[8:9]
	s_and_saveexec_b64 s[8:9], s[2:3]
	s_cbranch_execz .LBB280_695
.LBB280_694:                            ;   in Loop: Header=BB280_521 Depth=1
	v_and_b32_e32 v12, 7, v32
	v_ffbh_u32_e32 v12, v12
	v_bfe_u32 v16, v32, 3, 4
	v_min_u32_e32 v12, 32, v12
	v_subrev_u32_e32 v22, 28, v12
	v_sub_u32_e32 v12, 29, v12
	v_cmp_eq_u32_e64 s[2:3], 0, v16
	s_nop 1
	v_cndmask_b32_e64 v12, v16, v12, s[2:3]
	v_cndmask_b32_e64 v16, 0, v22, s[2:3]
	v_lshlrev_b64 v[22:23], v16, v[32:33]
	v_lshlrev_b32_e32 v16, 7, v22
	v_lshlrev_b32_e32 v22, 8, v32
	v_lshl_add_u32 v12, v12, 10, v55
	v_and_or_b32 v12, v22, s25, v12
	v_and_or_b32 v12, v16, s26, v12
	v_cvt_f32_f16_e32 v34, v12
.LBB280_695:                            ;   in Loop: Header=BB280_521 Depth=1
	s_or_b64 exec, exec, s[8:9]
	v_lshrrev_b16_e32 v16, 8, v32
	v_cmp_lt_i16_e64 s[2:3], s17, v16
	s_mov_b64 s[8:9], 0
                                        ; implicit-def: $sgpr22
	s_and_saveexec_b64 s[18:19], s[2:3]
	s_xor_b64 s[18:19], exec, s[18:19]
	s_cbranch_execnz .LBB280_958
; %bb.696:                              ;   in Loop: Header=BB280_521 Depth=1
	s_or_saveexec_b64 s[18:19], s[18:19]
	v_mov_b32_e32 v36, s22
	s_xor_b64 exec, exec, s[18:19]
	s_cbranch_execnz .LBB280_961
.LBB280_697:                            ;   in Loop: Header=BB280_521 Depth=1
	s_or_b64 exec, exec, s[18:19]
	s_and_saveexec_b64 s[18:19], s[8:9]
	s_cbranch_execz .LBB280_699
.LBB280_698:                            ;   in Loop: Header=BB280_521 Depth=1
	v_and_b32_e32 v12, 7, v16
	v_ffbh_u32_e32 v22, v12
	v_min_u32_e32 v35, 32, v22
	v_subrev_u32_e32 v22, 28, v35
	v_bfe_u32 v31, v16, 3, 4
	v_lshlrev_b64 v[22:23], v22, v[16:17]
	v_sub_u32_e32 v23, 29, v35
	v_cmp_eq_u32_e64 s[2:3], 0, v31
	v_and_b32_e32 v22, 7, v22
	v_lshlrev_b32_e32 v16, 8, v16
	v_cndmask_b32_e64 v23, v31, v23, s[2:3]
	v_cndmask_b32_e64 v12, v12, v22, s[2:3]
	v_lshl_add_u32 v22, v23, 10, v55
	v_and_or_b32 v16, v16, s25, v22
	v_lshl_or_b32 v12, v12, 7, v16
	v_cvt_f32_f16_e32 v36, v12
.LBB280_699:                            ;   in Loop: Header=BB280_521 Depth=1
	s_or_b64 exec, exec, s[18:19]
	v_lshrrev_b32_e32 v16, 16, v32
	v_cmp_gt_i16_sdwa s[8:9], v16, s17 src0_sel:BYTE_0 src1_sel:DWORD
	s_mov_b64 s[2:3], 0
                                        ; implicit-def: $sgpr20
	s_and_saveexec_b64 s[18:19], s[8:9]
	s_xor_b64 s[8:9], exec, s[18:19]
	s_cbranch_execnz .LBB280_962
; %bb.700:                              ;   in Loop: Header=BB280_521 Depth=1
	s_or_saveexec_b64 s[8:9], s[8:9]
	v_mov_b32_e32 v35, s20
	s_xor_b64 exec, exec, s[8:9]
	s_cbranch_execnz .LBB280_965
.LBB280_701:                            ;   in Loop: Header=BB280_521 Depth=1
	s_or_b64 exec, exec, s[8:9]
	s_and_saveexec_b64 s[8:9], s[2:3]
	s_cbranch_execz .LBB280_703
.LBB280_702:                            ;   in Loop: Header=BB280_521 Depth=1
	v_bfe_u32 v12, v32, 16, 3
	v_ffbh_u32_e32 v22, v12
	v_min_u32_e32 v35, 32, v22
	v_subrev_u32_e32 v22, 28, v35
	v_bfe_u32 v31, v32, 19, 4
	v_lshlrev_b64 v[22:23], v22, v[16:17]
	v_sub_u32_e32 v23, 29, v35
	v_cmp_eq_u32_e64 s[2:3], 0, v31
	v_and_b32_e32 v22, 7, v22
	v_lshlrev_b32_e32 v16, 8, v16
	v_cndmask_b32_e64 v23, v31, v23, s[2:3]
	v_cndmask_b32_e64 v12, v12, v22, s[2:3]
	v_lshl_add_u32 v22, v23, 10, v55
	v_and_or_b32 v16, v16, s25, v22
	v_lshl_or_b32 v12, v12, 7, v16
	v_cvt_f32_f16_e32 v35, v12
.LBB280_703:                            ;   in Loop: Header=BB280_521 Depth=1
	s_or_b64 exec, exec, s[8:9]
	v_lshrrev_b32_e32 v16, 24, v32
	v_cmp_lt_i16_e64 s[2:3], s17, v16
	s_mov_b64 s[8:9], 0
                                        ; implicit-def: $sgpr22
	s_and_saveexec_b64 s[18:19], s[2:3]
	s_xor_b64 s[18:19], exec, s[18:19]
	s_cbranch_execnz .LBB280_966
; %bb.704:                              ;   in Loop: Header=BB280_521 Depth=1
	s_or_saveexec_b64 s[18:19], s[18:19]
	v_mov_b32_e32 v37, s22
	s_xor_b64 exec, exec, s[18:19]
	s_cbranch_execnz .LBB280_969
.LBB280_705:                            ;   in Loop: Header=BB280_521 Depth=1
	s_or_b64 exec, exec, s[18:19]
	s_and_saveexec_b64 s[18:19], s[8:9]
	s_cbranch_execz .LBB280_707
.LBB280_706:                            ;   in Loop: Header=BB280_521 Depth=1
	v_bfe_u32 v12, v32, 24, 3
	v_ffbh_u32_e32 v22, v12
	v_bfe_u32 v31, v32, 27, 4
	v_min_u32_e32 v32, 32, v22
	v_subrev_u32_e32 v22, 28, v32
	v_lshlrev_b64 v[22:23], v22, v[16:17]
	v_sub_u32_e32 v23, 29, v32
	v_cmp_eq_u32_e64 s[2:3], 0, v31
	v_and_b32_e32 v22, 7, v22
	v_lshlrev_b32_e32 v16, 8, v16
	v_cndmask_b32_e64 v23, v31, v23, s[2:3]
	v_cndmask_b32_e64 v12, v12, v22, s[2:3]
	v_lshl_add_u32 v22, v23, 10, v55
	v_and_or_b32 v16, v16, s25, v22
	v_lshl_or_b32 v12, v12, 7, v16
	v_cvt_f32_f16_e32 v37, v12
.LBB280_707:                            ;   in Loop: Header=BB280_521 Depth=1
	s_or_b64 exec, exec, s[18:19]
	v_cmp_gt_i16_sdwa s[8:9], v33, s17 src0_sel:BYTE_0 src1_sel:DWORD
	s_mov_b64 s[2:3], 0
                                        ; implicit-def: $sgpr20
	s_and_saveexec_b64 s[18:19], s[8:9]
	s_xor_b64 s[8:9], exec, s[18:19]
	s_cbranch_execnz .LBB280_970
; %bb.708:                              ;   in Loop: Header=BB280_521 Depth=1
	s_or_saveexec_b64 s[8:9], s[8:9]
	v_mov_b32_e32 v22, s20
	s_xor_b64 exec, exec, s[8:9]
	s_cbranch_execnz .LBB280_973
.LBB280_709:                            ;   in Loop: Header=BB280_521 Depth=1
	s_or_b64 exec, exec, s[8:9]
	v_mov_b32_e32 v16, v33
	s_and_saveexec_b64 s[8:9], s[2:3]
	s_cbranch_execz .LBB280_711
.LBB280_710:                            ;   in Loop: Header=BB280_521 Depth=1
	v_and_b32_e32 v12, 7, v33
	v_ffbh_u32_e32 v12, v12
	v_bfe_u32 v22, v33, 3, 4
	v_min_u32_e32 v12, 32, v12
	v_subrev_u32_e32 v23, 28, v12
	v_sub_u32_e32 v12, 29, v12
	v_cmp_eq_u32_e64 s[2:3], 0, v22
	s_nop 1
	v_cndmask_b32_e64 v12, v22, v12, s[2:3]
	v_cndmask_b32_e64 v22, 0, v23, s[2:3]
	v_lshlrev_b64 v[22:23], v22, v[16:17]
	v_lshlrev_b32_e32 v23, 8, v33
	v_lshl_add_u32 v12, v12, 10, v55
	v_lshlrev_b32_e32 v22, 7, v22
	v_and_or_b32 v12, v23, s25, v12
	v_and_or_b32 v12, v22, s26, v12
	v_cvt_f32_f16_e32 v22, v12
.LBB280_711:                            ;   in Loop: Header=BB280_521 Depth=1
	s_or_b64 exec, exec, s[8:9]
	v_lshrrev_b16_e32 v16, 8, v16
	v_cmp_lt_i16_e64 s[2:3], s17, v16
	s_mov_b64 s[8:9], 0
                                        ; implicit-def: $sgpr22
	s_and_saveexec_b64 s[18:19], s[2:3]
	s_xor_b64 s[18:19], exec, s[18:19]
	s_cbranch_execnz .LBB280_974
; %bb.712:                              ;   in Loop: Header=BB280_521 Depth=1
	s_or_saveexec_b64 s[18:19], s[18:19]
	v_mov_b32_e32 v23, s22
	s_xor_b64 exec, exec, s[18:19]
	s_cbranch_execnz .LBB280_977
.LBB280_713:                            ;   in Loop: Header=BB280_521 Depth=1
	s_or_b64 exec, exec, s[18:19]
	s_and_saveexec_b64 s[18:19], s[8:9]
	s_cbranch_execz .LBB280_715
.LBB280_714:                            ;   in Loop: Header=BB280_521 Depth=1
	v_and_b32_e32 v12, 7, v16
	v_ffbh_u32_e32 v31, v12
	v_bfe_u32 v23, v16, 3, 4
	v_min_u32_e32 v31, 32, v31
	v_subrev_u32_e32 v32, 28, v31
	v_sub_u32_e32 v31, 29, v31
	v_cmp_eq_u32_e64 s[2:3], 0, v23
	v_lshlrev_b64 v[58:59], v32, v[16:17]
	v_and_b32_e32 v32, 7, v58
	v_cndmask_b32_e64 v23, v23, v31, s[2:3]
	v_lshlrev_b32_e32 v16, 8, v16
	v_lshl_add_u32 v23, v23, 10, v55
	v_cndmask_b32_e64 v12, v12, v32, s[2:3]
	v_and_or_b32 v16, v16, s25, v23
	v_lshl_or_b32 v12, v12, 7, v16
	v_cvt_f32_f16_e32 v23, v12
.LBB280_715:                            ;   in Loop: Header=BB280_521 Depth=1
	s_or_b64 exec, exec, s[18:19]
	v_lshrrev_b32_e32 v16, 16, v33
	v_cmp_gt_i16_sdwa s[8:9], v16, s17 src0_sel:BYTE_0 src1_sel:DWORD
	s_mov_b64 s[2:3], 0
                                        ; implicit-def: $sgpr20
	s_and_saveexec_b64 s[18:19], s[8:9]
	s_xor_b64 s[8:9], exec, s[18:19]
	s_cbranch_execnz .LBB280_978
; %bb.716:                              ;   in Loop: Header=BB280_521 Depth=1
	s_or_saveexec_b64 s[8:9], s[8:9]
	v_mov_b32_e32 v31, s20
	s_xor_b64 exec, exec, s[8:9]
	s_cbranch_execnz .LBB280_981
.LBB280_717:                            ;   in Loop: Header=BB280_521 Depth=1
	s_or_b64 exec, exec, s[8:9]
	s_and_saveexec_b64 s[8:9], s[2:3]
	s_cbranch_execz .LBB280_719
.LBB280_718:                            ;   in Loop: Header=BB280_521 Depth=1
	v_bfe_u32 v12, v33, 16, 3
	v_ffbh_u32_e32 v32, v12
	v_bfe_u32 v31, v33, 19, 4
	v_min_u32_e32 v32, 32, v32
	v_subrev_u32_e32 v48, 28, v32
	v_sub_u32_e32 v32, 29, v32
	v_cmp_eq_u32_e64 s[2:3], 0, v31
	v_lshlrev_b64 v[58:59], v48, v[16:17]
	v_and_b32_e32 v48, 7, v58
	v_cndmask_b32_e64 v31, v31, v32, s[2:3]
	v_lshlrev_b32_e32 v16, 8, v16
	v_lshl_add_u32 v31, v31, 10, v55
	v_cndmask_b32_e64 v12, v12, v48, s[2:3]
	v_and_or_b32 v16, v16, s25, v31
	v_lshl_or_b32 v12, v12, 7, v16
	v_cvt_f32_f16_e32 v31, v12
.LBB280_719:                            ;   in Loop: Header=BB280_521 Depth=1
	s_or_b64 exec, exec, s[8:9]
	v_lshrrev_b32_e32 v16, 24, v33
	v_cmp_lt_i16_e64 s[2:3], s17, v16
	s_mov_b64 s[8:9], 0
                                        ; implicit-def: $sgpr22
	s_and_saveexec_b64 s[18:19], s[2:3]
	s_xor_b64 s[18:19], exec, s[18:19]
	s_cbranch_execnz .LBB280_982
; %bb.720:                              ;   in Loop: Header=BB280_521 Depth=1
	s_or_saveexec_b64 s[18:19], s[18:19]
	v_mov_b32_e32 v48, s22
	s_xor_b64 exec, exec, s[18:19]
	s_cbranch_execnz .LBB280_985
.LBB280_721:                            ;   in Loop: Header=BB280_521 Depth=1
	s_or_b64 exec, exec, s[18:19]
	s_and_saveexec_b64 s[18:19], s[8:9]
	s_cbranch_execz .LBB280_723
.LBB280_722:                            ;   in Loop: Header=BB280_521 Depth=1
	v_bfe_u32 v12, v33, 24, 3
	v_ffbh_u32_e32 v32, v12
	v_min_u32_e32 v57, 32, v32
	v_subrev_u32_e32 v32, 28, v57
	v_bfe_u32 v48, v33, 27, 4
	v_lshlrev_b64 v[32:33], v32, v[16:17]
	v_sub_u32_e32 v33, 29, v57
	v_cmp_eq_u32_e64 s[2:3], 0, v48
	v_and_b32_e32 v32, 7, v32
	v_lshlrev_b32_e32 v16, 8, v16
	v_cndmask_b32_e64 v33, v48, v33, s[2:3]
	v_cndmask_b32_e64 v12, v12, v32, s[2:3]
	v_lshl_add_u32 v32, v33, 10, v55
	v_and_or_b32 v16, v16, s25, v32
	v_lshl_or_b32 v12, v12, 7, v16
	v_cvt_f32_f16_e32 v48, v12
.LBB280_723:                            ;   in Loop: Header=BB280_521 Depth=1
	s_or_b64 exec, exec, s[18:19]
	v_pk_mul_f32 v[32:33], v[30:31], v[36:37] op_sel_hi:[0,1]
	v_pk_mul_f32 v[34:35], v[30:31], v[34:35] op_sel_hi:[0,1]
	v_cvt_f16_f32_e32 v12, v33
	v_cvt_f16_f32_e32 v16, v32
	;; [unrolled: 1-line block ×4, first 2 shown]
	v_fma_mixlo_f16 v22, v30, v22, 0
	v_pack_b32_f16 v12, v16, v12
	v_fma_mixlo_f16 v31, v30, v31, 0
	v_pack_b32_f16 v32, v33, v32
	v_perm_b32 v16, v32, v12, s27
	v_perm_b32 v32, v32, v12, s28
	v_fma_mixlo_f16 v12, v30, v23, 0
	v_lshlrev_b32_e32 v12, 16, v12
	v_or_b32_sdwa v22, v12, v22 dst_sel:DWORD dst_unused:UNUSED_PAD src0_sel:DWORD src1_sel:WORD_0
	v_fma_mixlo_f16 v12, v30, v48, 0
	v_lshlrev_b32_e32 v12, 16, v12
	v_or_b32_sdwa v23, v12, v31 dst_sel:DWORD dst_unused:UNUSED_PAD src0_sel:DWORD src1_sel:WORD_0
	s_and_saveexec_b64 s[8:9], s[0:1]
	s_cbranch_execz .LBB280_725
; %bb.724:                              ;   in Loop: Header=BB280_521 Depth=1
	v_add_u32_e32 v12, 1, v53
	v_lshrrev_b32_e32 v30, 16, v32
	v_cmp_lt_i32_e64 s[2:3], v12, v13
	v_accvgpr_read_b32 v34, a8
	v_lshrrev_b32_e32 v33, 16, v16
	v_cndmask_b32_e64 v12, 0, v30, s[2:3]
	v_cmp_lt_i32_e64 s[2:3], v53, v34
	v_lshrrev_b32_e32 v23, 16, v23
	s_nop 0
	v_cndmask_b32_e64 v30, 0, v32, s[2:3]
	v_perm_b32 v32, v12, v30, s29
	v_or_b32_e32 v12, 3, v53
	v_or_b32_e32 v30, 2, v53
	v_cmp_lt_i32_e64 s[2:3], v12, v13
	s_nop 1
	v_cndmask_b32_e64 v12, 0, v33, s[2:3]
	v_cmp_lt_i32_e64 s[2:3], v30, v34
	v_or_b32_e32 v30, 4, v53
	v_lshrrev_b32_e32 v33, 16, v22
	v_cndmask_b32_e64 v16, 0, v16, s[2:3]
	v_perm_b32 v16, v12, v16, s29
	v_or_b32_e32 v12, 5, v53
	v_cmp_lt_i32_e64 s[2:3], v12, v13
	s_nop 1
	v_cndmask_b32_e64 v12, 0, v33, s[2:3]
	v_cmp_lt_i32_e64 s[2:3], v30, v34
	v_or_b32_e32 v30, 6, v53
	s_nop 0
	v_cndmask_b32_e64 v22, 0, v22, s[2:3]
	v_perm_b32 v22, v12, v22, s29
	v_or_b32_e32 v12, 7, v53
	v_cmp_lt_i32_e64 s[2:3], v12, v13
	s_nop 1
	v_cndmask_b32_e64 v12, 0, v23, s[2:3]
	v_cmp_lt_i32_e64 s[2:3], v30, v34
	s_nop 1
	v_cndmask_b32_e64 v23, 0, v31, s[2:3]
	v_perm_b32 v23, v12, v23, s29
.LBB280_725:                            ;   in Loop: Header=BB280_521 Depth=1
	s_or_b64 exec, exec, s[8:9]
	;;#ASMSTART
	v_pk_mul_f16 v12, v43, v32;

	;;#ASMEND
	;;#ASMSTART
	v_pk_mul_f16 v16, v42, v16;

	;;#ASMEND
	;; [unrolled: 4-line block ×4, first 2 shown]
	s_mov_b64 s[2:3], 0
	;;#ASMSTART
	v_pk_add_f16 v12, v12, v16;

	;;#ASMEND
                                        ; implicit-def: $sgpr20
	s_nop 0
	;;#ASMSTART
	v_pk_add_f16 v12, v12, v22;

	;;#ASMEND
	s_nop 0
	;;#ASMSTART
	v_pk_add_f16 v12, v12, v23;

	;;#ASMEND
	s_nop 0
	v_lshrrev_b32_e32 v16, 16, v12
	v_and_b32_e32 v12, 0xffff, v12
	;;#ASMSTART
	v_cvt_f32_f16 v22, v12;
	;;#ASMEND
	;;#ASMSTART
	v_cvt_f32_f16 v23, v16;
	;;#ASMEND
	flat_load_dwordx2 v[30:31], v[28:29] offset:3072
	v_accvgpr_read_b32 v29, a5
	v_accvgpr_read_b32 v28, a4
	flat_load_dword v28, v[28:29]
	s_waitcnt vmcnt(0) lgkmcnt(0)
	v_cmp_gt_i16_sdwa s[8:9], v30, s17 src0_sel:BYTE_0 src1_sel:DWORD
	s_and_saveexec_b64 s[18:19], s[8:9]
	s_xor_b64 s[8:9], exec, s[18:19]
	s_cbranch_execnz .LBB280_986
; %bb.726:                              ;   in Loop: Header=BB280_521 Depth=1
	s_or_saveexec_b64 s[8:9], s[8:9]
	v_mov_b32_e32 v32, s20
	s_xor_b64 exec, exec, s[8:9]
	s_cbranch_execnz .LBB280_989
.LBB280_727:                            ;   in Loop: Header=BB280_521 Depth=1
	s_or_b64 exec, exec, s[8:9]
	s_and_saveexec_b64 s[8:9], s[2:3]
	s_cbranch_execz .LBB280_729
.LBB280_728:                            ;   in Loop: Header=BB280_521 Depth=1
	v_and_b32_e32 v12, 7, v30
	v_ffbh_u32_e32 v12, v12
	v_bfe_u32 v16, v30, 3, 4
	v_min_u32_e32 v12, 32, v12
	v_subrev_u32_e32 v29, 28, v12
	v_sub_u32_e32 v12, 29, v12
	v_cmp_eq_u32_e64 s[2:3], 0, v16
	s_nop 1
	v_cndmask_b32_e64 v12, v16, v12, s[2:3]
	v_cndmask_b32_e64 v16, 0, v29, s[2:3]
	v_lshlrev_b64 v[32:33], v16, v[30:31]
	v_lshlrev_b32_e32 v29, 8, v30
	v_lshl_add_u32 v12, v12, 10, v55
	v_lshlrev_b32_e32 v16, 7, v32
	v_and_or_b32 v12, v29, s25, v12
	v_and_or_b32 v12, v16, s26, v12
	v_cvt_f32_f16_e32 v32, v12
.LBB280_729:                            ;   in Loop: Header=BB280_521 Depth=1
	s_or_b64 exec, exec, s[8:9]
	v_lshrrev_b16_e32 v16, 8, v30
	v_cmp_lt_i16_e64 s[2:3], s17, v16
	s_mov_b64 s[8:9], 0
                                        ; implicit-def: $sgpr22
	s_and_saveexec_b64 s[18:19], s[2:3]
	s_xor_b64 s[18:19], exec, s[18:19]
	s_cbranch_execnz .LBB280_990
; %bb.730:                              ;   in Loop: Header=BB280_521 Depth=1
	s_or_saveexec_b64 s[18:19], s[18:19]
	v_mov_b32_e32 v34, s22
	s_xor_b64 exec, exec, s[18:19]
	s_cbranch_execnz .LBB280_993
.LBB280_731:                            ;   in Loop: Header=BB280_521 Depth=1
	s_or_b64 exec, exec, s[18:19]
	s_and_saveexec_b64 s[18:19], s[8:9]
	s_cbranch_execz .LBB280_733
.LBB280_732:                            ;   in Loop: Header=BB280_521 Depth=1
	v_and_b32_e32 v12, 7, v16
	v_ffbh_u32_e32 v33, v12
	v_bfe_u32 v29, v16, 3, 4
	v_min_u32_e32 v33, 32, v33
	v_subrev_u32_e32 v34, 28, v33
	v_sub_u32_e32 v33, 29, v33
	v_cmp_eq_u32_e64 s[2:3], 0, v29
	v_lshlrev_b64 v[34:35], v34, v[16:17]
	v_and_b32_e32 v34, 7, v34
	v_cndmask_b32_e64 v29, v29, v33, s[2:3]
	v_lshlrev_b32_e32 v16, 8, v16
	v_lshl_add_u32 v29, v29, 10, v55
	v_cndmask_b32_e64 v12, v12, v34, s[2:3]
	v_and_or_b32 v16, v16, s25, v29
	v_lshl_or_b32 v12, v12, 7, v16
	v_cvt_f32_f16_e32 v34, v12
.LBB280_733:                            ;   in Loop: Header=BB280_521 Depth=1
	s_or_b64 exec, exec, s[18:19]
	v_lshrrev_b32_e32 v16, 16, v30
	v_cmp_gt_i16_sdwa s[8:9], v16, s17 src0_sel:BYTE_0 src1_sel:DWORD
	s_mov_b64 s[2:3], 0
                                        ; implicit-def: $sgpr20
	s_and_saveexec_b64 s[18:19], s[8:9]
	s_xor_b64 s[8:9], exec, s[18:19]
	s_cbranch_execnz .LBB280_994
; %bb.734:                              ;   in Loop: Header=BB280_521 Depth=1
	s_or_saveexec_b64 s[8:9], s[8:9]
	v_mov_b32_e32 v33, s20
	s_xor_b64 exec, exec, s[8:9]
	s_cbranch_execnz .LBB280_997
.LBB280_735:                            ;   in Loop: Header=BB280_521 Depth=1
	s_or_b64 exec, exec, s[8:9]
	s_and_saveexec_b64 s[8:9], s[2:3]
	s_cbranch_execz .LBB280_737
.LBB280_736:                            ;   in Loop: Header=BB280_521 Depth=1
	v_bfe_u32 v12, v30, 16, 3
	v_ffbh_u32_e32 v33, v12
	v_bfe_u32 v29, v30, 19, 4
	v_min_u32_e32 v33, 32, v33
	v_subrev_u32_e32 v35, 28, v33
	v_sub_u32_e32 v33, 29, v33
	v_cmp_eq_u32_e64 s[2:3], 0, v29
	v_lshlrev_b64 v[36:37], v35, v[16:17]
	v_and_b32_e32 v35, 7, v36
	v_cndmask_b32_e64 v29, v29, v33, s[2:3]
	v_lshlrev_b32_e32 v16, 8, v16
	v_lshl_add_u32 v29, v29, 10, v55
	v_cndmask_b32_e64 v12, v12, v35, s[2:3]
	v_and_or_b32 v16, v16, s25, v29
	v_lshl_or_b32 v12, v12, 7, v16
	v_cvt_f32_f16_e32 v33, v12
.LBB280_737:                            ;   in Loop: Header=BB280_521 Depth=1
	s_or_b64 exec, exec, s[8:9]
	v_lshrrev_b32_e32 v16, 24, v30
	v_cmp_lt_i16_e64 s[2:3], s17, v16
	s_mov_b64 s[8:9], 0
                                        ; implicit-def: $sgpr22
	s_and_saveexec_b64 s[18:19], s[2:3]
	s_xor_b64 s[18:19], exec, s[18:19]
	s_cbranch_execnz .LBB280_998
; %bb.738:                              ;   in Loop: Header=BB280_521 Depth=1
	s_or_saveexec_b64 s[18:19], s[18:19]
	v_mov_b32_e32 v35, s22
	s_xor_b64 exec, exec, s[18:19]
	s_cbranch_execnz .LBB280_1001
.LBB280_739:                            ;   in Loop: Header=BB280_521 Depth=1
	s_or_b64 exec, exec, s[18:19]
	s_and_saveexec_b64 s[18:19], s[8:9]
	s_cbranch_execz .LBB280_741
.LBB280_740:                            ;   in Loop: Header=BB280_521 Depth=1
	v_bfe_u32 v12, v30, 24, 3
	v_bfe_u32 v29, v30, 27, 4
	v_ffbh_u32_e32 v30, v12
	v_min_u32_e32 v30, 32, v30
	v_subrev_u32_e32 v35, 28, v30
	v_sub_u32_e32 v30, 29, v30
	v_cmp_eq_u32_e64 s[2:3], 0, v29
	v_lshlrev_b64 v[36:37], v35, v[16:17]
	v_and_b32_e32 v35, 7, v36
	v_cndmask_b32_e64 v29, v29, v30, s[2:3]
	v_lshlrev_b32_e32 v16, 8, v16
	v_lshl_add_u32 v29, v29, 10, v55
	v_cndmask_b32_e64 v12, v12, v35, s[2:3]
	v_and_or_b32 v16, v16, s25, v29
	v_lshl_or_b32 v12, v12, 7, v16
	v_cvt_f32_f16_e32 v35, v12
.LBB280_741:                            ;   in Loop: Header=BB280_521 Depth=1
	s_or_b64 exec, exec, s[18:19]
	v_cmp_gt_i16_sdwa s[8:9], v31, s17 src0_sel:BYTE_0 src1_sel:DWORD
	s_mov_b64 s[2:3], 0
                                        ; implicit-def: $sgpr20
	s_and_saveexec_b64 s[18:19], s[8:9]
	s_xor_b64 s[8:9], exec, s[18:19]
	s_cbranch_execnz .LBB280_1002
; %bb.742:                              ;   in Loop: Header=BB280_521 Depth=1
	s_or_saveexec_b64 s[8:9], s[8:9]
	v_mov_b32_e32 v29, s20
	s_xor_b64 exec, exec, s[8:9]
	s_cbranch_execnz .LBB280_1005
.LBB280_743:                            ;   in Loop: Header=BB280_521 Depth=1
	s_or_b64 exec, exec, s[8:9]
	v_mov_b32_e32 v16, v31
	s_and_saveexec_b64 s[8:9], s[2:3]
	s_cbranch_execz .LBB280_745
.LBB280_744:                            ;   in Loop: Header=BB280_521 Depth=1
	v_and_b32_e32 v12, 7, v31
	v_ffbh_u32_e32 v12, v12
	v_bfe_u32 v29, v31, 3, 4
	v_min_u32_e32 v12, 32, v12
	v_subrev_u32_e32 v30, 28, v12
	v_sub_u32_e32 v12, 29, v12
	v_cmp_eq_u32_e64 s[2:3], 0, v29
	s_nop 1
	v_cndmask_b32_e64 v12, v29, v12, s[2:3]
	v_cndmask_b32_e64 v29, 0, v30, s[2:3]
	v_lshlrev_b64 v[36:37], v29, v[16:17]
	v_lshlrev_b32_e32 v30, 8, v31
	v_lshl_add_u32 v12, v12, 10, v55
	v_lshlrev_b32_e32 v29, 7, v36
	v_and_or_b32 v12, v30, s25, v12
	v_and_or_b32 v12, v29, s26, v12
	v_cvt_f32_f16_e32 v29, v12
.LBB280_745:                            ;   in Loop: Header=BB280_521 Depth=1
	s_or_b64 exec, exec, s[8:9]
	v_lshrrev_b16_e32 v16, 8, v16
	v_cmp_lt_i16_e64 s[2:3], s17, v16
	s_mov_b64 s[8:9], 0
                                        ; implicit-def: $sgpr22
	s_and_saveexec_b64 s[18:19], s[2:3]
	s_xor_b64 s[18:19], exec, s[18:19]
	s_cbranch_execnz .LBB280_1006
; %bb.746:                              ;   in Loop: Header=BB280_521 Depth=1
	s_or_saveexec_b64 s[18:19], s[18:19]
	v_mov_b32_e32 v30, s22
	s_xor_b64 exec, exec, s[18:19]
	s_cbranch_execnz .LBB280_1009
.LBB280_747:                            ;   in Loop: Header=BB280_521 Depth=1
	s_or_b64 exec, exec, s[18:19]
	s_and_saveexec_b64 s[18:19], s[8:9]
	s_cbranch_execz .LBB280_749
.LBB280_748:                            ;   in Loop: Header=BB280_521 Depth=1
	v_and_b32_e32 v12, 7, v16
	v_ffbh_u32_e32 v36, v12
	v_min_u32_e32 v48, 32, v36
	v_subrev_u32_e32 v36, 28, v48
	v_bfe_u32 v30, v16, 3, 4
	v_lshlrev_b64 v[36:37], v36, v[16:17]
	v_sub_u32_e32 v37, 29, v48
	v_cmp_eq_u32_e64 s[2:3], 0, v30
	v_and_b32_e32 v36, 7, v36
	v_lshlrev_b32_e32 v16, 8, v16
	v_cndmask_b32_e64 v30, v30, v37, s[2:3]
	v_lshl_add_u32 v30, v30, 10, v55
	v_cndmask_b32_e64 v12, v12, v36, s[2:3]
	v_and_or_b32 v16, v16, s25, v30
	v_lshl_or_b32 v12, v12, 7, v16
	v_cvt_f32_f16_e32 v30, v12
.LBB280_749:                            ;   in Loop: Header=BB280_521 Depth=1
	s_or_b64 exec, exec, s[18:19]
	v_lshrrev_b32_e32 v16, 16, v31
	v_cmp_gt_i16_sdwa s[8:9], v16, s17 src0_sel:BYTE_0 src1_sel:DWORD
	s_mov_b64 s[2:3], 0
                                        ; implicit-def: $sgpr20
	s_and_saveexec_b64 s[18:19], s[8:9]
	s_xor_b64 s[8:9], exec, s[18:19]
	s_cbranch_execnz .LBB280_1010
; %bb.750:                              ;   in Loop: Header=BB280_521 Depth=1
	s_or_saveexec_b64 s[8:9], s[8:9]
	v_mov_b32_e32 v36, s20
	s_xor_b64 exec, exec, s[8:9]
	s_cbranch_execnz .LBB280_1013
.LBB280_751:                            ;   in Loop: Header=BB280_521 Depth=1
	s_or_b64 exec, exec, s[8:9]
	s_and_saveexec_b64 s[8:9], s[2:3]
	s_cbranch_execz .LBB280_753
.LBB280_752:                            ;   in Loop: Header=BB280_521 Depth=1
	v_bfe_u32 v12, v31, 16, 3
	v_ffbh_u32_e32 v36, v12
	v_min_u32_e32 v57, 32, v36
	v_subrev_u32_e32 v36, 28, v57
	v_bfe_u32 v48, v31, 19, 4
	v_lshlrev_b64 v[36:37], v36, v[16:17]
	v_sub_u32_e32 v37, 29, v57
	v_cmp_eq_u32_e64 s[2:3], 0, v48
	v_and_b32_e32 v36, 7, v36
	v_lshlrev_b32_e32 v16, 8, v16
	v_cndmask_b32_e64 v37, v48, v37, s[2:3]
	v_cndmask_b32_e64 v12, v12, v36, s[2:3]
	v_lshl_add_u32 v36, v37, 10, v55
	v_and_or_b32 v16, v16, s25, v36
	v_lshl_or_b32 v12, v12, 7, v16
	v_cvt_f32_f16_e32 v36, v12
.LBB280_753:                            ;   in Loop: Header=BB280_521 Depth=1
	s_or_b64 exec, exec, s[8:9]
	v_lshrrev_b32_e32 v16, 24, v31
	v_cmp_lt_i16_e64 s[2:3], s17, v16
	s_mov_b64 s[8:9], 0
                                        ; implicit-def: $sgpr22
	s_and_saveexec_b64 s[18:19], s[2:3]
	s_xor_b64 s[18:19], exec, s[18:19]
	s_cbranch_execnz .LBB280_1014
; %bb.754:                              ;   in Loop: Header=BB280_521 Depth=1
	s_or_saveexec_b64 s[18:19], s[18:19]
	v_mov_b32_e32 v37, s22
	s_xor_b64 exec, exec, s[18:19]
	s_cbranch_execnz .LBB280_1017
.LBB280_755:                            ;   in Loop: Header=BB280_521 Depth=1
	s_or_b64 exec, exec, s[18:19]
	s_and_saveexec_b64 s[18:19], s[8:9]
	s_cbranch_execz .LBB280_757
.LBB280_756:                            ;   in Loop: Header=BB280_521 Depth=1
	v_bfe_u32 v12, v31, 24, 3
	v_ffbh_u32_e32 v37, v12
	v_bfe_u32 v31, v31, 27, 4
	v_min_u32_e32 v37, 32, v37
	v_subrev_u32_e32 v48, 28, v37
	v_sub_u32_e32 v37, 29, v37
	v_cmp_eq_u32_e64 s[2:3], 0, v31
	v_lshlrev_b64 v[58:59], v48, v[16:17]
	v_and_b32_e32 v48, 7, v58
	v_cndmask_b32_e64 v31, v31, v37, s[2:3]
	v_lshlrev_b32_e32 v16, 8, v16
	v_lshl_add_u32 v31, v31, 10, v55
	v_cndmask_b32_e64 v12, v12, v48, s[2:3]
	v_and_or_b32 v16, v16, s25, v31
	v_lshl_or_b32 v12, v12, 7, v16
	v_cvt_f32_f16_e32 v37, v12
.LBB280_757:                            ;   in Loop: Header=BB280_521 Depth=1
	s_or_b64 exec, exec, s[18:19]
	v_pk_mul_f32 v[34:35], v[28:29], v[34:35] op_sel_hi:[0,1]
	v_pk_mul_f32 v[32:33], v[28:29], v[32:33] op_sel_hi:[0,1]
	v_cvt_f16_f32_e32 v12, v35
	v_cvt_f16_f32_e32 v16, v34
	;; [unrolled: 1-line block ×4, first 2 shown]
	v_fma_mixlo_f16 v29, v28, v29, 0
	v_pack_b32_f16 v12, v16, v12
	v_pack_b32_f16 v31, v32, v31
	v_perm_b32 v16, v31, v12, s27
	v_perm_b32 v31, v31, v12, s28
	v_fma_mixlo_f16 v12, v28, v30, 0
	v_lshlrev_b32_e32 v12, 16, v12
	v_or_b32_sdwa v29, v12, v29 dst_sel:DWORD dst_unused:UNUSED_PAD src0_sel:DWORD src1_sel:WORD_0
	v_fma_mixlo_f16 v12, v28, v37, 0
	v_fma_mixlo_f16 v30, v28, v36, 0
	v_lshlrev_b32_e32 v12, 16, v12
	v_or_b32_sdwa v28, v12, v30 dst_sel:DWORD dst_unused:UNUSED_PAD src0_sel:DWORD src1_sel:WORD_0
	s_and_saveexec_b64 s[8:9], s[0:1]
	s_cbranch_execz .LBB280_759
; %bb.758:                              ;   in Loop: Header=BB280_521 Depth=1
	v_add_u32_e32 v12, 1, v53
	v_lshrrev_b32_e32 v32, 16, v31
	v_cmp_lt_i32_e64 s[2:3], v12, v13
	v_accvgpr_read_b32 v34, a8
	v_lshrrev_b32_e32 v33, 16, v16
	v_cndmask_b32_e64 v12, 0, v32, s[2:3]
	v_cmp_lt_i32_e64 s[2:3], v53, v34
	v_or_b32_e32 v32, 2, v53
	v_lshrrev_b32_e32 v28, 16, v28
	v_cndmask_b32_e64 v31, 0, v31, s[2:3]
	v_perm_b32 v31, v12, v31, s29
	v_or_b32_e32 v12, 3, v53
	v_cmp_lt_i32_e64 s[2:3], v12, v13
	s_nop 1
	v_cndmask_b32_e64 v12, 0, v33, s[2:3]
	v_cmp_lt_i32_e64 s[2:3], v32, v34
	v_or_b32_e32 v32, 4, v53
	v_lshrrev_b32_e32 v33, 16, v29
	v_cndmask_b32_e64 v16, 0, v16, s[2:3]
	v_perm_b32 v16, v12, v16, s29
	v_or_b32_e32 v12, 5, v53
	v_cmp_lt_i32_e64 s[2:3], v12, v13
	s_nop 1
	v_cndmask_b32_e64 v12, 0, v33, s[2:3]
	v_cmp_lt_i32_e64 s[2:3], v32, v34
	v_or_b32_e32 v32, 6, v53
	s_nop 0
	v_cndmask_b32_e64 v29, 0, v29, s[2:3]
	v_perm_b32 v29, v12, v29, s29
	v_or_b32_e32 v12, 7, v53
	v_cmp_lt_i32_e64 s[2:3], v12, v13
	s_nop 1
	v_cndmask_b32_e64 v12, 0, v28, s[2:3]
	v_cmp_lt_i32_e64 s[2:3], v32, v34
	s_nop 1
	v_cndmask_b32_e64 v28, 0, v30, s[2:3]
	v_perm_b32 v28, v12, v28, s29
.LBB280_759:                            ;   in Loop: Header=BB280_521 Depth=1
	s_or_b64 exec, exec, s[8:9]
	v_add_f32_e32 v0, v0, v1
	v_add_f32_e32 v8, v8, v0
	;; [unrolled: 1-line block ×11, first 2 shown]
	;;#ASMSTART
	v_pk_mul_f16 v0, v43, v31;

	;;#ASMEND
	v_add_f32_e32 v21, v21, v12
	;;#ASMSTART
	v_pk_mul_f16 v1, v42, v16;

	;;#ASMEND
	;;#ASMSTART
	v_pk_mul_f16 v12, v41, v29;

	;;#ASMEND
	;; [unrolled: 4-line block ×3, first 2 shown]
	s_nop 0
	;;#ASMSTART
	v_pk_add_f16 v0, v0, v1;

	;;#ASMEND
	s_nop 0
	;;#ASMSTART
	v_pk_add_f16 v0, v0, v12;

	;;#ASMEND
	;; [unrolled: 5-line block ×3, first 2 shown]
	s_nop 0
	v_lshrrev_b32_e32 v1, 16, v0
	v_and_b32_e32 v0, 0xffff, v0
	;;#ASMSTART
	v_cvt_f32_f16 v0, v0;
	;;#ASMEND
	;;#ASMSTART
	v_cvt_f32_f16 v1, v1;
	;;#ASMEND
	s_nop 0
	v_add_f32_e32 v0, v0, v1
	v_add_f32_e32 v2, v2, v0
	s_and_saveexec_b64 s[8:9], vcc
	s_cbranch_execz .LBB280_520
; %bb.760:                              ;   in Loop: Header=BB280_521 Depth=1
	v_lshl_add_u64 v[0:1], v[26:27], 0, v[24:25]
	flat_load_dwordx2 v[28:29], v[0:1]
	v_accvgpr_read_b32 v0, a4
	v_accvgpr_read_b32 v1, a5
	flat_load_dword v26, v[0:1]
	s_mov_b64 s[2:3], 0
                                        ; implicit-def: $sgpr22
	s_waitcnt vmcnt(0) lgkmcnt(0)
	v_cmp_gt_i16_sdwa s[18:19], v28, s17 src0_sel:BYTE_0 src1_sel:DWORD
	s_and_saveexec_b64 s[20:21], s[18:19]
	s_xor_b64 s[18:19], exec, s[20:21]
	s_cbranch_execnz .LBB280_1018
; %bb.761:                              ;   in Loop: Header=BB280_521 Depth=1
	s_or_saveexec_b64 s[18:19], s[18:19]
	v_mov_b32_e32 v30, s22
	s_xor_b64 exec, exec, s[18:19]
	s_cbranch_execnz .LBB280_1021
.LBB280_762:                            ;   in Loop: Header=BB280_521 Depth=1
	s_or_b64 exec, exec, s[18:19]
	s_and_saveexec_b64 s[18:19], s[2:3]
	s_cbranch_execz .LBB280_764
.LBB280_763:                            ;   in Loop: Header=BB280_521 Depth=1
	v_and_b32_e32 v0, 7, v28
	v_ffbh_u32_e32 v0, v0
	v_bfe_u32 v1, v28, 3, 4
	v_min_u32_e32 v0, 32, v0
	v_subrev_u32_e32 v12, 28, v0
	v_sub_u32_e32 v0, 29, v0
	v_cmp_eq_u32_e64 s[2:3], 0, v1
	s_nop 1
	v_cndmask_b32_e64 v16, v1, v0, s[2:3]
	v_cndmask_b32_e64 v0, 0, v12, s[2:3]
	v_lshlrev_b64 v[0:1], v0, v[28:29]
	v_lshlrev_b32_e32 v1, 8, v28
	v_lshl_add_u32 v12, v16, 10, v55
	v_lshlrev_b32_e32 v0, 7, v0
	v_and_or_b32 v1, v1, s25, v12
	v_and_or_b32 v0, v0, s26, v1
	v_cvt_f32_f16_e32 v30, v0
.LBB280_764:                            ;   in Loop: Header=BB280_521 Depth=1
	s_or_b64 exec, exec, s[18:19]
	v_lshrrev_b16_e32 v16, 8, v28
	v_cmp_lt_i16_e64 s[2:3], s17, v16
	s_mov_b64 s[18:19], 0
                                        ; implicit-def: $sgpr30
	s_and_saveexec_b64 s[20:21], s[2:3]
	s_xor_b64 s[20:21], exec, s[20:21]
	s_cbranch_execnz .LBB280_1022
; %bb.765:                              ;   in Loop: Header=BB280_521 Depth=1
	s_or_saveexec_b64 s[20:21], s[20:21]
	v_mov_b32_e32 v32, s30
	s_xor_b64 exec, exec, s[20:21]
	s_cbranch_execnz .LBB280_1025
.LBB280_766:                            ;   in Loop: Header=BB280_521 Depth=1
	s_or_b64 exec, exec, s[20:21]
	s_and_saveexec_b64 s[20:21], s[18:19]
	s_cbranch_execz .LBB280_768
.LBB280_767:                            ;   in Loop: Header=BB280_521 Depth=1
	v_and_b32_e32 v12, 7, v16
	v_ffbh_u32_e32 v0, v12
	v_min_u32_e32 v22, 32, v0
	v_subrev_u32_e32 v0, 28, v22
	v_bfe_u32 v18, v16, 3, 4
	v_lshlrev_b64 v[0:1], v0, v[16:17]
	v_sub_u32_e32 v1, 29, v22
	v_cmp_eq_u32_e64 s[2:3], 0, v18
	v_and_b32_e32 v0, 7, v0
	s_nop 0
	v_cndmask_b32_e64 v1, v18, v1, s[2:3]
	v_cndmask_b32_e64 v0, v12, v0, s[2:3]
	v_lshlrev_b32_e32 v12, 8, v16
	v_lshl_add_u32 v1, v1, 10, v55
	v_and_or_b32 v1, v12, s25, v1
	v_lshl_or_b32 v0, v0, 7, v1
	v_cvt_f32_f16_e32 v32, v0
.LBB280_768:                            ;   in Loop: Header=BB280_521 Depth=1
	s_or_b64 exec, exec, s[20:21]
	v_lshrrev_b32_e32 v16, 16, v28
	v_cmp_gt_i16_sdwa s[18:19], v16, s17 src0_sel:BYTE_0 src1_sel:DWORD
	s_mov_b64 s[2:3], 0
                                        ; implicit-def: $sgpr22
	s_and_saveexec_b64 s[20:21], s[18:19]
	s_xor_b64 s[18:19], exec, s[20:21]
	s_cbranch_execnz .LBB280_1026
; %bb.769:                              ;   in Loop: Header=BB280_521 Depth=1
	s_or_saveexec_b64 s[18:19], s[18:19]
	v_mov_b32_e32 v31, s22
	s_xor_b64 exec, exec, s[18:19]
	s_cbranch_execnz .LBB280_1029
.LBB280_770:                            ;   in Loop: Header=BB280_521 Depth=1
	s_or_b64 exec, exec, s[18:19]
	s_and_saveexec_b64 s[18:19], s[2:3]
	s_cbranch_execz .LBB280_772
.LBB280_771:                            ;   in Loop: Header=BB280_521 Depth=1
	v_bfe_u32 v12, v28, 16, 3
	v_ffbh_u32_e32 v0, v12
	v_min_u32_e32 v22, 32, v0
	v_subrev_u32_e32 v0, 28, v22
	v_bfe_u32 v18, v28, 19, 4
	v_lshlrev_b64 v[0:1], v0, v[16:17]
	v_sub_u32_e32 v1, 29, v22
	v_cmp_eq_u32_e64 s[2:3], 0, v18
	v_and_b32_e32 v0, 7, v0
	s_nop 0
	v_cndmask_b32_e64 v1, v18, v1, s[2:3]
	v_cndmask_b32_e64 v0, v12, v0, s[2:3]
	v_lshlrev_b32_e32 v12, 8, v16
	v_lshl_add_u32 v1, v1, 10, v55
	v_and_or_b32 v1, v12, s25, v1
	v_lshl_or_b32 v0, v0, 7, v1
	v_cvt_f32_f16_e32 v31, v0
.LBB280_772:                            ;   in Loop: Header=BB280_521 Depth=1
	s_or_b64 exec, exec, s[18:19]
	v_lshrrev_b32_e32 v16, 24, v28
	v_cmp_lt_i16_e64 s[2:3], s17, v16
	s_mov_b64 s[18:19], 0
                                        ; implicit-def: $sgpr30
	s_and_saveexec_b64 s[20:21], s[2:3]
	s_xor_b64 s[20:21], exec, s[20:21]
	s_cbranch_execnz .LBB280_1030
; %bb.773:                              ;   in Loop: Header=BB280_521 Depth=1
	s_or_saveexec_b64 s[20:21], s[20:21]
	v_mov_b32_e32 v33, s30
	s_xor_b64 exec, exec, s[20:21]
	s_cbranch_execnz .LBB280_1033
.LBB280_774:                            ;   in Loop: Header=BB280_521 Depth=1
	s_or_b64 exec, exec, s[20:21]
	s_and_saveexec_b64 s[20:21], s[18:19]
	s_cbranch_execz .LBB280_776
.LBB280_775:                            ;   in Loop: Header=BB280_521 Depth=1
	v_bfe_u32 v12, v28, 24, 3
	v_ffbh_u32_e32 v0, v12
	v_min_u32_e32 v22, 32, v0
	v_subrev_u32_e32 v0, 28, v22
	v_bfe_u32 v18, v28, 27, 4
	v_lshlrev_b64 v[0:1], v0, v[16:17]
	v_sub_u32_e32 v1, 29, v22
	v_cmp_eq_u32_e64 s[2:3], 0, v18
	v_and_b32_e32 v0, 7, v0
	s_nop 0
	v_cndmask_b32_e64 v1, v18, v1, s[2:3]
	v_cndmask_b32_e64 v0, v12, v0, s[2:3]
	v_lshlrev_b32_e32 v12, 8, v16
	v_lshl_add_u32 v1, v1, 10, v55
	v_and_or_b32 v1, v12, s25, v1
	v_lshl_or_b32 v0, v0, 7, v1
	v_cvt_f32_f16_e32 v33, v0
.LBB280_776:                            ;   in Loop: Header=BB280_521 Depth=1
	s_or_b64 exec, exec, s[20:21]
	v_cmp_gt_i16_sdwa s[18:19], v29, s17 src0_sel:BYTE_0 src1_sel:DWORD
	s_mov_b64 s[2:3], 0
                                        ; implicit-def: $sgpr22
	s_and_saveexec_b64 s[20:21], s[18:19]
	s_xor_b64 s[18:19], exec, s[20:21]
	s_cbranch_execnz .LBB280_1034
; %bb.777:                              ;   in Loop: Header=BB280_521 Depth=1
	s_or_saveexec_b64 s[18:19], s[18:19]
	v_mov_b32_e32 v0, s22
	s_xor_b64 exec, exec, s[18:19]
	s_cbranch_execnz .LBB280_1037
.LBB280_778:                            ;   in Loop: Header=BB280_521 Depth=1
	s_or_b64 exec, exec, s[18:19]
	v_mov_b32_e32 v16, v29
	s_and_saveexec_b64 s[18:19], s[2:3]
	s_cbranch_execz .LBB280_780
.LBB280_779:                            ;   in Loop: Header=BB280_521 Depth=1
	v_and_b32_e32 v0, 7, v29
	v_ffbh_u32_e32 v0, v0
	v_bfe_u32 v1, v29, 3, 4
	v_min_u32_e32 v0, 32, v0
	v_subrev_u32_e32 v12, 28, v0
	v_sub_u32_e32 v0, 29, v0
	v_cmp_eq_u32_e64 s[2:3], 0, v1
	s_nop 1
	v_cndmask_b32_e64 v18, v1, v0, s[2:3]
	v_cndmask_b32_e64 v0, 0, v12, s[2:3]
	v_lshlrev_b64 v[0:1], v0, v[16:17]
	v_lshlrev_b32_e32 v1, 8, v29
	v_lshl_add_u32 v12, v18, 10, v55
	v_lshlrev_b32_e32 v0, 7, v0
	v_and_or_b32 v1, v1, s25, v12
	v_and_or_b32 v0, v0, s26, v1
	v_cvt_f32_f16_e32 v0, v0
.LBB280_780:                            ;   in Loop: Header=BB280_521 Depth=1
	s_or_b64 exec, exec, s[18:19]
	v_lshrrev_b16_e32 v16, 8, v16
	v_cmp_lt_i16_e64 s[2:3], s17, v16
	s_mov_b64 s[18:19], 0
                                        ; implicit-def: $sgpr30
	s_and_saveexec_b64 s[20:21], s[2:3]
	s_xor_b64 s[20:21], exec, s[20:21]
	s_cbranch_execnz .LBB280_1038
; %bb.781:                              ;   in Loop: Header=BB280_521 Depth=1
	s_or_saveexec_b64 s[20:21], s[20:21]
	v_mov_b32_e32 v1, s30
	s_xor_b64 exec, exec, s[20:21]
	s_cbranch_execnz .LBB280_1041
.LBB280_782:                            ;   in Loop: Header=BB280_521 Depth=1
	s_or_b64 exec, exec, s[20:21]
	s_and_saveexec_b64 s[20:21], s[18:19]
	s_cbranch_execz .LBB280_784
.LBB280_783:                            ;   in Loop: Header=BB280_521 Depth=1
	v_and_b32_e32 v1, 7, v16
	v_ffbh_u32_e32 v18, v1
	v_bfe_u32 v12, v16, 3, 4
	v_min_u32_e32 v18, 32, v18
	v_subrev_u32_e32 v22, 28, v18
	v_sub_u32_e32 v18, 29, v18
	v_cmp_eq_u32_e64 s[2:3], 0, v12
	v_lshlrev_b64 v[22:23], v22, v[16:17]
	v_and_b32_e32 v22, 7, v22
	v_cndmask_b32_e64 v12, v12, v18, s[2:3]
	v_lshlrev_b32_e32 v16, 8, v16
	v_lshl_add_u32 v12, v12, 10, v55
	v_cndmask_b32_e64 v1, v1, v22, s[2:3]
	v_and_or_b32 v12, v16, s25, v12
	v_lshl_or_b32 v1, v1, 7, v12
	v_cvt_f32_f16_e32 v1, v1
.LBB280_784:                            ;   in Loop: Header=BB280_521 Depth=1
	s_or_b64 exec, exec, s[20:21]
	v_lshrrev_b32_e32 v16, 16, v29
	v_cmp_gt_i16_sdwa s[18:19], v16, s17 src0_sel:BYTE_0 src1_sel:DWORD
	s_mov_b64 s[2:3], 0
                                        ; implicit-def: $sgpr22
	s_and_saveexec_b64 s[20:21], s[18:19]
	s_xor_b64 s[18:19], exec, s[20:21]
	s_cbranch_execnz .LBB280_1042
; %bb.785:                              ;   in Loop: Header=BB280_521 Depth=1
	s_or_saveexec_b64 s[18:19], s[18:19]
	v_mov_b32_e32 v18, s22
	s_xor_b64 exec, exec, s[18:19]
	s_cbranch_execnz .LBB280_1045
.LBB280_786:                            ;   in Loop: Header=BB280_521 Depth=1
	s_or_b64 exec, exec, s[18:19]
	s_and_saveexec_b64 s[18:19], s[2:3]
	s_cbranch_execz .LBB280_788
.LBB280_787:                            ;   in Loop: Header=BB280_521 Depth=1
	v_bfe_u32 v12, v29, 16, 3
	v_ffbh_u32_e32 v22, v12
	v_min_u32_e32 v27, 32, v22
	v_subrev_u32_e32 v22, 28, v27
	v_bfe_u32 v18, v29, 19, 4
	v_lshlrev_b64 v[22:23], v22, v[16:17]
	v_sub_u32_e32 v23, 29, v27
	v_cmp_eq_u32_e64 s[2:3], 0, v18
	v_and_b32_e32 v22, 7, v22
	v_lshlrev_b32_e32 v16, 8, v16
	v_cndmask_b32_e64 v18, v18, v23, s[2:3]
	v_lshl_add_u32 v18, v18, 10, v55
	v_cndmask_b32_e64 v12, v12, v22, s[2:3]
	v_and_or_b32 v16, v16, s25, v18
	v_lshl_or_b32 v12, v12, 7, v16
	v_cvt_f32_f16_e32 v18, v12
.LBB280_788:                            ;   in Loop: Header=BB280_521 Depth=1
	s_or_b64 exec, exec, s[18:19]
	v_lshrrev_b32_e32 v16, 24, v29
	v_cmp_lt_i16_e64 s[2:3], s17, v16
	s_mov_b64 s[18:19], 0
                                        ; implicit-def: $sgpr30
	s_and_saveexec_b64 s[20:21], s[2:3]
	s_xor_b64 s[20:21], exec, s[20:21]
	s_cbranch_execnz .LBB280_1046
; %bb.789:                              ;   in Loop: Header=BB280_521 Depth=1
	s_or_saveexec_b64 s[20:21], s[20:21]
	v_mov_b32_e32 v23, s30
	s_xor_b64 exec, exec, s[20:21]
	s_cbranch_execnz .LBB280_1049
.LBB280_790:                            ;   in Loop: Header=BB280_521 Depth=1
	s_or_b64 exec, exec, s[20:21]
	s_and_saveexec_b64 s[20:21], s[18:19]
	s_cbranch_execz .LBB280_792
.LBB280_791:                            ;   in Loop: Header=BB280_521 Depth=1
	v_bfe_u32 v12, v29, 24, 3
	v_ffbh_u32_e32 v22, v12
	v_min_u32_e32 v28, 32, v22
	v_subrev_u32_e32 v22, 28, v28
	v_bfe_u32 v27, v29, 27, 4
	v_lshlrev_b64 v[22:23], v22, v[16:17]
	v_sub_u32_e32 v23, 29, v28
	v_cmp_eq_u32_e64 s[2:3], 0, v27
	v_and_b32_e32 v22, 7, v22
	v_lshlrev_b32_e32 v16, 8, v16
	v_cndmask_b32_e64 v23, v27, v23, s[2:3]
	v_cndmask_b32_e64 v12, v12, v22, s[2:3]
	v_lshl_add_u32 v22, v23, 10, v55
	v_and_or_b32 v16, v16, s25, v22
	v_lshl_or_b32 v12, v12, 7, v16
	v_cvt_f32_f16_e32 v23, v12
.LBB280_792:                            ;   in Loop: Header=BB280_521 Depth=1
	s_or_b64 exec, exec, s[20:21]
	v_pk_mul_f32 v[28:29], v[26:27], v[32:33] op_sel_hi:[0,1]
	v_pk_mul_f32 v[30:31], v[26:27], v[30:31] op_sel_hi:[0,1]
	v_cvt_f16_f32_e32 v12, v29
	v_cvt_f16_f32_e32 v16, v28
	;; [unrolled: 1-line block ×4, first 2 shown]
	v_fma_mixlo_f16 v1, v26, v1, 0
	v_lshlrev_b32_e32 v1, 16, v1
	v_fma_mixlo_f16 v0, v26, v0, 0
	v_or_b32_sdwa v0, v1, v0 dst_sel:DWORD dst_unused:UNUSED_PAD src0_sel:DWORD src1_sel:WORD_0
	v_fma_mixlo_f16 v1, v26, v23, 0
	v_pack_b32_f16 v12, v16, v12
	v_pack_b32_f16 v22, v27, v22
	v_fma_mixlo_f16 v18, v26, v18, 0
	v_lshlrev_b32_e32 v1, 16, v1
	v_perm_b32 v16, v22, v12, s27
	v_perm_b32 v22, v22, v12, s28
	v_or_b32_sdwa v1, v1, v18 dst_sel:DWORD dst_unused:UNUSED_PAD src0_sel:DWORD src1_sel:WORD_0
	s_and_saveexec_b64 s[2:3], s[0:1]
	s_cbranch_execz .LBB280_519
; %bb.793:                              ;   in Loop: Header=BB280_521 Depth=1
	v_add_u32_e32 v12, 1, v53
	v_lshrrev_b32_e32 v23, 16, v22
	v_cmp_lt_i32_e64 s[0:1], v12, v13
	v_accvgpr_read_b32 v28, a8
	v_lshrrev_b32_e32 v26, 16, v16
	v_cndmask_b32_e64 v12, 0, v23, s[0:1]
	v_cmp_lt_i32_e64 s[0:1], v53, v28
	v_or_b32_e32 v23, 2, v53
	v_lshrrev_b32_e32 v1, 16, v1
	v_cndmask_b32_e64 v22, 0, v22, s[0:1]
	v_perm_b32 v22, v12, v22, s29
	v_or_b32_e32 v12, 3, v53
	v_cmp_lt_i32_e64 s[0:1], v12, v13
	s_nop 1
	v_cndmask_b32_e64 v12, 0, v26, s[0:1]
	v_cmp_lt_i32_e64 s[0:1], v23, v28
	v_or_b32_e32 v23, 4, v53
	v_lshrrev_b32_e32 v26, 16, v0
	v_cndmask_b32_e64 v16, 0, v16, s[0:1]
	v_perm_b32 v16, v12, v16, s29
	v_or_b32_e32 v12, 5, v53
	v_cmp_lt_i32_e64 s[0:1], v12, v13
	s_nop 1
	v_cndmask_b32_e64 v12, 0, v26, s[0:1]
	v_cmp_lt_i32_e64 s[0:1], v23, v28
	v_or_b32_e32 v23, 6, v53
	s_nop 0
	v_cndmask_b32_e64 v0, 0, v0, s[0:1]
	v_perm_b32 v0, v12, v0, s29
	v_or_b32_e32 v12, 7, v53
	v_cmp_lt_i32_e64 s[0:1], v12, v13
	s_nop 1
	v_cndmask_b32_e64 v1, 0, v1, s[0:1]
	v_cmp_lt_i32_e64 s[0:1], v23, v28
	s_nop 1
	v_cndmask_b32_e64 v12, 0, v18, s[0:1]
	v_perm_b32 v1, v1, v12, s29
	s_branch .LBB280_519
.LBB280_794:                            ;   in Loop: Header=BB280_521 Depth=1
	v_cmp_eq_u16_sdwa s[20:21], v32, s24 src0_sel:BYTE_0 src1_sel:DWORD
	s_mov_b64 s[0:1], -1
                                        ; implicit-def: $sgpr18
	s_and_saveexec_b64 s[8:9], s[20:21]
; %bb.795:                              ;   in Loop: Header=BB280_521 Depth=1
	s_mov_b32 s18, 0x7fc02000
	s_xor_b64 s[0:1], exec, -1
; %bb.796:                              ;   in Loop: Header=BB280_521 Depth=1
	s_or_b64 exec, exec, s[8:9]
	s_and_b64 s[0:1], s[0:1], exec
	s_or_saveexec_b64 s[2:3], s[2:3]
	v_mov_b32_e32 v34, s18
	s_xor_b64 exec, exec, s[2:3]
	s_cbranch_execz .LBB280_523
.LBB280_797:                            ;   in Loop: Header=BB280_521 Depth=1
	v_cmp_ne_u16_sdwa s[8:9], v32, v17 src0_sel:BYTE_0 src1_sel:DWORD
	s_andn2_b64 s[0:1], s[0:1], exec
	s_and_b64 s[8:9], s[8:9], exec
	v_mov_b32_e32 v34, 0
	s_or_b64 s[0:1], s[0:1], s[8:9]
	s_or_b64 exec, exec, s[2:3]
	s_and_saveexec_b64 s[2:3], s[0:1]
	s_cbranch_execnz .LBB280_524
	s_branch .LBB280_525
.LBB280_798:                            ;   in Loop: Header=BB280_521 Depth=1
	v_cmp_eq_u16_e64 s[0:1], s24, v16
	s_mov_b64 s[2:3], -1
                                        ; implicit-def: $sgpr20
	s_and_saveexec_b64 s[18:19], s[0:1]
; %bb.799:                              ;   in Loop: Header=BB280_521 Depth=1
	s_mov_b32 s20, 0x7fc02000
	s_xor_b64 s[2:3], exec, -1
; %bb.800:                              ;   in Loop: Header=BB280_521 Depth=1
	s_or_b64 exec, exec, s[18:19]
	s_and_b64 s[2:3], s[2:3], exec
	s_or_saveexec_b64 s[8:9], s[8:9]
	v_mov_b32_e32 v36, s20
	s_xor_b64 exec, exec, s[8:9]
	s_cbranch_execz .LBB280_527
.LBB280_801:                            ;   in Loop: Header=BB280_521 Depth=1
	v_cmp_ne_u16_e64 s[0:1], 0, v16
	s_andn2_b64 s[2:3], s[2:3], exec
	s_and_b64 s[0:1], s[0:1], exec
	v_mov_b32_e32 v36, 0
	s_or_b64 s[2:3], s[2:3], s[0:1]
	s_or_b64 exec, exec, s[8:9]
	s_and_saveexec_b64 s[8:9], s[2:3]
	s_cbranch_execnz .LBB280_528
	s_branch .LBB280_529
.LBB280_802:                            ;   in Loop: Header=BB280_521 Depth=1
	v_cmp_eq_u16_sdwa s[20:21], v16, s24 src0_sel:BYTE_0 src1_sel:DWORD
	s_mov_b64 s[0:1], -1
                                        ; implicit-def: $sgpr18
	s_and_saveexec_b64 s[8:9], s[20:21]
; %bb.803:                              ;   in Loop: Header=BB280_521 Depth=1
	s_mov_b32 s18, 0x7fc02000
	s_xor_b64 s[0:1], exec, -1
; %bb.804:                              ;   in Loop: Header=BB280_521 Depth=1
	s_or_b64 exec, exec, s[8:9]
	s_and_b64 s[0:1], s[0:1], exec
	s_or_saveexec_b64 s[2:3], s[2:3]
	v_mov_b32_e32 v35, s18
	s_xor_b64 exec, exec, s[2:3]
	s_cbranch_execz .LBB280_531
.LBB280_805:                            ;   in Loop: Header=BB280_521 Depth=1
	v_cmp_ne_u16_sdwa s[8:9], v16, v17 src0_sel:BYTE_0 src1_sel:DWORD
	s_andn2_b64 s[0:1], s[0:1], exec
	s_and_b64 s[8:9], s[8:9], exec
	v_mov_b32_e32 v35, 0
	s_or_b64 s[0:1], s[0:1], s[8:9]
	s_or_b64 exec, exec, s[2:3]
	s_and_saveexec_b64 s[2:3], s[0:1]
	s_cbranch_execnz .LBB280_532
	s_branch .LBB280_533
.LBB280_806:                            ;   in Loop: Header=BB280_521 Depth=1
	v_cmp_eq_u16_e64 s[0:1], s24, v16
	s_mov_b64 s[2:3], -1
                                        ; implicit-def: $sgpr20
	s_and_saveexec_b64 s[18:19], s[0:1]
; %bb.807:                              ;   in Loop: Header=BB280_521 Depth=1
	s_mov_b32 s20, 0x7fc02000
	s_xor_b64 s[2:3], exec, -1
; %bb.808:                              ;   in Loop: Header=BB280_521 Depth=1
	s_or_b64 exec, exec, s[18:19]
	s_and_b64 s[2:3], s[2:3], exec
	s_or_saveexec_b64 s[8:9], s[8:9]
	v_mov_b32_e32 v37, s20
	s_xor_b64 exec, exec, s[8:9]
	s_cbranch_execz .LBB280_535
.LBB280_809:                            ;   in Loop: Header=BB280_521 Depth=1
	v_cmp_ne_u16_e64 s[0:1], 0, v16
	s_andn2_b64 s[2:3], s[2:3], exec
	s_and_b64 s[0:1], s[0:1], exec
	v_mov_b32_e32 v37, 0
	s_or_b64 s[2:3], s[2:3], s[0:1]
	s_or_b64 exec, exec, s[8:9]
	s_and_saveexec_b64 s[8:9], s[2:3]
	s_cbranch_execnz .LBB280_536
	s_branch .LBB280_537
.LBB280_810:                            ;   in Loop: Header=BB280_521 Depth=1
	v_cmp_eq_u16_sdwa s[20:21], v33, s24 src0_sel:BYTE_0 src1_sel:DWORD
	s_mov_b64 s[0:1], -1
                                        ; implicit-def: $sgpr18
	s_and_saveexec_b64 s[8:9], s[20:21]
; %bb.811:                              ;   in Loop: Header=BB280_521 Depth=1
	s_mov_b32 s18, 0x7fc02000
	s_xor_b64 s[0:1], exec, -1
; %bb.812:                              ;   in Loop: Header=BB280_521 Depth=1
	s_or_b64 exec, exec, s[8:9]
	s_and_b64 s[0:1], s[0:1], exec
	s_or_saveexec_b64 s[2:3], s[2:3]
	v_mov_b32_e32 v32, s18
	s_xor_b64 exec, exec, s[2:3]
	s_cbranch_execz .LBB280_539
.LBB280_813:                            ;   in Loop: Header=BB280_521 Depth=1
	v_cmp_ne_u16_sdwa s[8:9], v33, v17 src0_sel:BYTE_0 src1_sel:DWORD
	s_andn2_b64 s[0:1], s[0:1], exec
	s_and_b64 s[8:9], s[8:9], exec
	v_mov_b32_e32 v32, 0
	s_or_b64 s[0:1], s[0:1], s[8:9]
	s_or_b64 exec, exec, s[2:3]
	v_mov_b32_e32 v16, v33
	s_and_saveexec_b64 s[2:3], s[0:1]
	s_cbranch_execnz .LBB280_540
	s_branch .LBB280_541
.LBB280_814:                            ;   in Loop: Header=BB280_521 Depth=1
	v_cmp_eq_u16_e64 s[0:1], s24, v16
	s_mov_b64 s[2:3], -1
                                        ; implicit-def: $sgpr20
	s_and_saveexec_b64 s[18:19], s[0:1]
; %bb.815:                              ;   in Loop: Header=BB280_521 Depth=1
	s_mov_b32 s20, 0x7fc02000
	s_xor_b64 s[2:3], exec, -1
; %bb.816:                              ;   in Loop: Header=BB280_521 Depth=1
	s_or_b64 exec, exec, s[18:19]
	s_and_b64 s[2:3], s[2:3], exec
	s_or_saveexec_b64 s[8:9], s[8:9]
	v_mov_b32_e32 v48, s20
	s_xor_b64 exec, exec, s[8:9]
	s_cbranch_execz .LBB280_543
.LBB280_817:                            ;   in Loop: Header=BB280_521 Depth=1
	v_cmp_ne_u16_e64 s[0:1], 0, v16
	s_andn2_b64 s[2:3], s[2:3], exec
	s_and_b64 s[0:1], s[0:1], exec
	v_mov_b32_e32 v48, 0
	s_or_b64 s[2:3], s[2:3], s[0:1]
	s_or_b64 exec, exec, s[8:9]
	s_and_saveexec_b64 s[8:9], s[2:3]
	s_cbranch_execnz .LBB280_544
	s_branch .LBB280_545
.LBB280_818:                            ;   in Loop: Header=BB280_521 Depth=1
	v_cmp_eq_u16_sdwa s[20:21], v16, s24 src0_sel:BYTE_0 src1_sel:DWORD
	s_mov_b64 s[0:1], -1
                                        ; implicit-def: $sgpr18
	s_and_saveexec_b64 s[8:9], s[20:21]
; %bb.819:                              ;   in Loop: Header=BB280_521 Depth=1
	s_mov_b32 s18, 0x7fc02000
	s_xor_b64 s[0:1], exec, -1
; %bb.820:                              ;   in Loop: Header=BB280_521 Depth=1
	s_or_b64 exec, exec, s[8:9]
	s_and_b64 s[0:1], s[0:1], exec
	s_or_saveexec_b64 s[2:3], s[2:3]
	v_mov_b32_e32 v40, s18
	s_xor_b64 exec, exec, s[2:3]
	s_cbranch_execz .LBB280_547
.LBB280_821:                            ;   in Loop: Header=BB280_521 Depth=1
	v_cmp_ne_u16_sdwa s[8:9], v16, v17 src0_sel:BYTE_0 src1_sel:DWORD
	s_andn2_b64 s[0:1], s[0:1], exec
	s_and_b64 s[8:9], s[8:9], exec
	v_mov_b32_e32 v40, 0
	s_or_b64 s[0:1], s[0:1], s[8:9]
	s_or_b64 exec, exec, s[2:3]
	s_and_saveexec_b64 s[2:3], s[0:1]
	s_cbranch_execnz .LBB280_548
	s_branch .LBB280_549
.LBB280_822:                            ;   in Loop: Header=BB280_521 Depth=1
	v_cmp_eq_u16_e64 s[0:1], s24, v16
	s_mov_b64 s[2:3], -1
                                        ; implicit-def: $sgpr20
	s_and_saveexec_b64 s[18:19], s[0:1]
; %bb.823:                              ;   in Loop: Header=BB280_521 Depth=1
	s_mov_b32 s20, 0x7fc02000
	s_xor_b64 s[2:3], exec, -1
; %bb.824:                              ;   in Loop: Header=BB280_521 Depth=1
	s_or_b64 exec, exec, s[18:19]
	s_and_b64 s[2:3], s[2:3], exec
	s_or_saveexec_b64 s[8:9], s[8:9]
	v_mov_b32_e32 v41, s20
	s_xor_b64 exec, exec, s[8:9]
	s_cbranch_execz .LBB280_551
.LBB280_825:                            ;   in Loop: Header=BB280_521 Depth=1
	v_cmp_ne_u16_e64 s[0:1], 0, v16
	s_andn2_b64 s[2:3], s[2:3], exec
	s_and_b64 s[0:1], s[0:1], exec
	v_mov_b32_e32 v41, 0
	s_or_b64 s[2:3], s[2:3], s[0:1]
	s_or_b64 exec, exec, s[8:9]
	s_and_saveexec_b64 s[8:9], s[2:3]
	s_cbranch_execnz .LBB280_552
	s_branch .LBB280_553
.LBB280_826:                            ;   in Loop: Header=BB280_521 Depth=1
	v_cmp_eq_u16_sdwa s[22:23], v32, s24 src0_sel:BYTE_0 src1_sel:DWORD
	s_mov_b64 s[2:3], -1
                                        ; implicit-def: $sgpr20
	s_and_saveexec_b64 s[18:19], s[22:23]
; %bb.827:                              ;   in Loop: Header=BB280_521 Depth=1
	s_mov_b32 s20, 0x7fc02000
	s_xor_b64 s[2:3], exec, -1
; %bb.828:                              ;   in Loop: Header=BB280_521 Depth=1
	s_or_b64 exec, exec, s[18:19]
	s_and_b64 s[2:3], s[2:3], exec
	s_or_saveexec_b64 s[8:9], s[8:9]
	v_mov_b32_e32 v34, s20
	s_xor_b64 exec, exec, s[8:9]
	s_cbranch_execz .LBB280_557
.LBB280_829:                            ;   in Loop: Header=BB280_521 Depth=1
	v_cmp_ne_u16_sdwa s[18:19], v32, v17 src0_sel:BYTE_0 src1_sel:DWORD
	s_andn2_b64 s[2:3], s[2:3], exec
	s_and_b64 s[18:19], s[18:19], exec
	v_mov_b32_e32 v34, 0
	s_or_b64 s[2:3], s[2:3], s[18:19]
	s_or_b64 exec, exec, s[8:9]
	s_and_saveexec_b64 s[8:9], s[2:3]
	s_cbranch_execnz .LBB280_558
	s_branch .LBB280_559
.LBB280_830:                            ;   in Loop: Header=BB280_521 Depth=1
	v_cmp_eq_u16_e64 s[2:3], s24, v16
	s_mov_b64 s[8:9], -1
                                        ; implicit-def: $sgpr22
	s_and_saveexec_b64 s[20:21], s[2:3]
; %bb.831:                              ;   in Loop: Header=BB280_521 Depth=1
	s_mov_b32 s22, 0x7fc02000
	s_xor_b64 s[8:9], exec, -1
; %bb.832:                              ;   in Loop: Header=BB280_521 Depth=1
	s_or_b64 exec, exec, s[20:21]
	s_and_b64 s[8:9], s[8:9], exec
	s_or_saveexec_b64 s[18:19], s[18:19]
	v_mov_b32_e32 v36, s22
	s_xor_b64 exec, exec, s[18:19]
	s_cbranch_execz .LBB280_561
.LBB280_833:                            ;   in Loop: Header=BB280_521 Depth=1
	v_cmp_ne_u16_e64 s[2:3], 0, v16
	s_andn2_b64 s[8:9], s[8:9], exec
	s_and_b64 s[2:3], s[2:3], exec
	v_mov_b32_e32 v36, 0
	s_or_b64 s[8:9], s[8:9], s[2:3]
	s_or_b64 exec, exec, s[18:19]
	s_and_saveexec_b64 s[18:19], s[8:9]
	s_cbranch_execnz .LBB280_562
	s_branch .LBB280_563
.LBB280_834:                            ;   in Loop: Header=BB280_521 Depth=1
	v_cmp_eq_u16_sdwa s[22:23], v16, s24 src0_sel:BYTE_0 src1_sel:DWORD
	s_mov_b64 s[2:3], -1
                                        ; implicit-def: $sgpr20
	s_and_saveexec_b64 s[18:19], s[22:23]
; %bb.835:                              ;   in Loop: Header=BB280_521 Depth=1
	s_mov_b32 s20, 0x7fc02000
	s_xor_b64 s[2:3], exec, -1
; %bb.836:                              ;   in Loop: Header=BB280_521 Depth=1
	s_or_b64 exec, exec, s[18:19]
	s_and_b64 s[2:3], s[2:3], exec
	s_or_saveexec_b64 s[8:9], s[8:9]
	v_mov_b32_e32 v35, s20
	s_xor_b64 exec, exec, s[8:9]
	s_cbranch_execz .LBB280_565
.LBB280_837:                            ;   in Loop: Header=BB280_521 Depth=1
	v_cmp_ne_u16_sdwa s[18:19], v16, v17 src0_sel:BYTE_0 src1_sel:DWORD
	s_andn2_b64 s[2:3], s[2:3], exec
	s_and_b64 s[18:19], s[18:19], exec
	v_mov_b32_e32 v35, 0
	s_or_b64 s[2:3], s[2:3], s[18:19]
	s_or_b64 exec, exec, s[8:9]
	s_and_saveexec_b64 s[8:9], s[2:3]
	s_cbranch_execnz .LBB280_566
	s_branch .LBB280_567
.LBB280_838:                            ;   in Loop: Header=BB280_521 Depth=1
	v_cmp_eq_u16_e64 s[2:3], s24, v16
	s_mov_b64 s[8:9], -1
                                        ; implicit-def: $sgpr22
	s_and_saveexec_b64 s[20:21], s[2:3]
; %bb.839:                              ;   in Loop: Header=BB280_521 Depth=1
	s_mov_b32 s22, 0x7fc02000
	s_xor_b64 s[8:9], exec, -1
; %bb.840:                              ;   in Loop: Header=BB280_521 Depth=1
	s_or_b64 exec, exec, s[20:21]
	s_and_b64 s[8:9], s[8:9], exec
	s_or_saveexec_b64 s[18:19], s[18:19]
	v_mov_b32_e32 v37, s22
	s_xor_b64 exec, exec, s[18:19]
	s_cbranch_execz .LBB280_569
.LBB280_841:                            ;   in Loop: Header=BB280_521 Depth=1
	v_cmp_ne_u16_e64 s[2:3], 0, v16
	s_andn2_b64 s[8:9], s[8:9], exec
	s_and_b64 s[2:3], s[2:3], exec
	v_mov_b32_e32 v37, 0
	s_or_b64 s[8:9], s[8:9], s[2:3]
	s_or_b64 exec, exec, s[18:19]
	s_and_saveexec_b64 s[18:19], s[8:9]
	s_cbranch_execnz .LBB280_570
	s_branch .LBB280_571
.LBB280_842:                            ;   in Loop: Header=BB280_521 Depth=1
	v_cmp_eq_u16_sdwa s[22:23], v33, s24 src0_sel:BYTE_0 src1_sel:DWORD
	s_mov_b64 s[2:3], -1
                                        ; implicit-def: $sgpr20
	s_and_saveexec_b64 s[18:19], s[22:23]
; %bb.843:                              ;   in Loop: Header=BB280_521 Depth=1
	s_mov_b32 s20, 0x7fc02000
	s_xor_b64 s[2:3], exec, -1
; %bb.844:                              ;   in Loop: Header=BB280_521 Depth=1
	s_or_b64 exec, exec, s[18:19]
	s_and_b64 s[2:3], s[2:3], exec
	s_or_saveexec_b64 s[8:9], s[8:9]
	v_mov_b32_e32 v0, s20
	s_xor_b64 exec, exec, s[8:9]
	s_cbranch_execz .LBB280_573
.LBB280_845:                            ;   in Loop: Header=BB280_521 Depth=1
	v_cmp_ne_u16_sdwa s[18:19], v33, v17 src0_sel:BYTE_0 src1_sel:DWORD
	s_andn2_b64 s[2:3], s[2:3], exec
	s_and_b64 s[18:19], s[18:19], exec
	v_mov_b32_e32 v0, 0
	s_or_b64 s[2:3], s[2:3], s[18:19]
	s_or_b64 exec, exec, s[8:9]
	v_mov_b32_e32 v16, v33
	s_and_saveexec_b64 s[8:9], s[2:3]
	s_cbranch_execnz .LBB280_574
	s_branch .LBB280_575
.LBB280_846:                            ;   in Loop: Header=BB280_521 Depth=1
	v_cmp_eq_u16_e64 s[2:3], s24, v16
	s_mov_b64 s[8:9], -1
                                        ; implicit-def: $sgpr22
	s_and_saveexec_b64 s[20:21], s[2:3]
; %bb.847:                              ;   in Loop: Header=BB280_521 Depth=1
	s_mov_b32 s22, 0x7fc02000
	s_xor_b64 s[8:9], exec, -1
; %bb.848:                              ;   in Loop: Header=BB280_521 Depth=1
	s_or_b64 exec, exec, s[20:21]
	s_and_b64 s[8:9], s[8:9], exec
	s_or_saveexec_b64 s[18:19], s[18:19]
	v_mov_b32_e32 v1, s22
	s_xor_b64 exec, exec, s[18:19]
	s_cbranch_execz .LBB280_577
.LBB280_849:                            ;   in Loop: Header=BB280_521 Depth=1
	v_cmp_ne_u16_e64 s[2:3], 0, v16
	s_andn2_b64 s[8:9], s[8:9], exec
	s_and_b64 s[2:3], s[2:3], exec
	v_mov_b32_e32 v1, 0
	s_or_b64 s[8:9], s[8:9], s[2:3]
	s_or_b64 exec, exec, s[18:19]
	s_and_saveexec_b64 s[18:19], s[8:9]
	s_cbranch_execnz .LBB280_578
	s_branch .LBB280_579
.LBB280_850:                            ;   in Loop: Header=BB280_521 Depth=1
	v_cmp_eq_u16_sdwa s[22:23], v16, s24 src0_sel:BYTE_0 src1_sel:DWORD
	s_mov_b64 s[2:3], -1
                                        ; implicit-def: $sgpr20
	s_and_saveexec_b64 s[18:19], s[22:23]
; %bb.851:                              ;   in Loop: Header=BB280_521 Depth=1
	s_mov_b32 s20, 0x7fc02000
	s_xor_b64 s[2:3], exec, -1
; %bb.852:                              ;   in Loop: Header=BB280_521 Depth=1
	s_or_b64 exec, exec, s[18:19]
	s_and_b64 s[2:3], s[2:3], exec
	s_or_saveexec_b64 s[8:9], s[8:9]
	v_mov_b32_e32 v18, s20
	s_xor_b64 exec, exec, s[8:9]
	s_cbranch_execz .LBB280_581
.LBB280_853:                            ;   in Loop: Header=BB280_521 Depth=1
	v_cmp_ne_u16_sdwa s[18:19], v16, v17 src0_sel:BYTE_0 src1_sel:DWORD
	s_andn2_b64 s[2:3], s[2:3], exec
	s_and_b64 s[18:19], s[18:19], exec
	v_mov_b32_e32 v18, 0
	s_or_b64 s[2:3], s[2:3], s[18:19]
	s_or_b64 exec, exec, s[8:9]
	s_and_saveexec_b64 s[8:9], s[2:3]
	s_cbranch_execnz .LBB280_582
	s_branch .LBB280_583
.LBB280_854:                            ;   in Loop: Header=BB280_521 Depth=1
	v_cmp_eq_u16_e64 s[2:3], s24, v16
	s_mov_b64 s[8:9], -1
                                        ; implicit-def: $sgpr22
	s_and_saveexec_b64 s[20:21], s[2:3]
; %bb.855:                              ;   in Loop: Header=BB280_521 Depth=1
	s_mov_b32 s22, 0x7fc02000
	s_xor_b64 s[8:9], exec, -1
; %bb.856:                              ;   in Loop: Header=BB280_521 Depth=1
	s_or_b64 exec, exec, s[20:21]
	s_and_b64 s[8:9], s[8:9], exec
	s_or_saveexec_b64 s[18:19], s[18:19]
	v_mov_b32_e32 v23, s22
	s_xor_b64 exec, exec, s[18:19]
	s_cbranch_execz .LBB280_585
.LBB280_857:                            ;   in Loop: Header=BB280_521 Depth=1
	v_cmp_ne_u16_e64 s[2:3], 0, v16
	s_andn2_b64 s[8:9], s[8:9], exec
	s_and_b64 s[2:3], s[2:3], exec
	v_mov_b32_e32 v23, 0
	s_or_b64 s[8:9], s[8:9], s[2:3]
	s_or_b64 exec, exec, s[18:19]
	s_and_saveexec_b64 s[18:19], s[8:9]
	s_cbranch_execnz .LBB280_586
	s_branch .LBB280_587
.LBB280_858:                            ;   in Loop: Header=BB280_521 Depth=1
	v_cmp_eq_u16_sdwa s[22:23], v32, s24 src0_sel:BYTE_0 src1_sel:DWORD
	s_mov_b64 s[2:3], -1
                                        ; implicit-def: $sgpr20
	s_and_saveexec_b64 s[18:19], s[22:23]
; %bb.859:                              ;   in Loop: Header=BB280_521 Depth=1
	s_mov_b32 s20, 0x7fc02000
	s_xor_b64 s[2:3], exec, -1
; %bb.860:                              ;   in Loop: Header=BB280_521 Depth=1
	s_or_b64 exec, exec, s[18:19]
	s_and_b64 s[2:3], s[2:3], exec
	s_or_saveexec_b64 s[8:9], s[8:9]
	v_mov_b32_e32 v34, s20
	s_xor_b64 exec, exec, s[8:9]
	s_cbranch_execz .LBB280_591
.LBB280_861:                            ;   in Loop: Header=BB280_521 Depth=1
	v_cmp_ne_u16_sdwa s[18:19], v32, v17 src0_sel:BYTE_0 src1_sel:DWORD
	s_andn2_b64 s[2:3], s[2:3], exec
	s_and_b64 s[18:19], s[18:19], exec
	v_mov_b32_e32 v34, 0
	s_or_b64 s[2:3], s[2:3], s[18:19]
	s_or_b64 exec, exec, s[8:9]
	s_and_saveexec_b64 s[8:9], s[2:3]
	s_cbranch_execnz .LBB280_592
	s_branch .LBB280_593
.LBB280_862:                            ;   in Loop: Header=BB280_521 Depth=1
	v_cmp_eq_u16_e64 s[2:3], s24, v16
	s_mov_b64 s[8:9], -1
                                        ; implicit-def: $sgpr22
	s_and_saveexec_b64 s[20:21], s[2:3]
; %bb.863:                              ;   in Loop: Header=BB280_521 Depth=1
	s_mov_b32 s22, 0x7fc02000
	s_xor_b64 s[8:9], exec, -1
; %bb.864:                              ;   in Loop: Header=BB280_521 Depth=1
	s_or_b64 exec, exec, s[20:21]
	s_and_b64 s[8:9], s[8:9], exec
	s_or_saveexec_b64 s[18:19], s[18:19]
	v_mov_b32_e32 v36, s22
	s_xor_b64 exec, exec, s[18:19]
	s_cbranch_execz .LBB280_595
.LBB280_865:                            ;   in Loop: Header=BB280_521 Depth=1
	v_cmp_ne_u16_e64 s[2:3], 0, v16
	s_andn2_b64 s[8:9], s[8:9], exec
	s_and_b64 s[2:3], s[2:3], exec
	v_mov_b32_e32 v36, 0
	s_or_b64 s[8:9], s[8:9], s[2:3]
	s_or_b64 exec, exec, s[18:19]
	s_and_saveexec_b64 s[18:19], s[8:9]
	s_cbranch_execnz .LBB280_596
	s_branch .LBB280_597
.LBB280_866:                            ;   in Loop: Header=BB280_521 Depth=1
	v_cmp_eq_u16_sdwa s[22:23], v16, s24 src0_sel:BYTE_0 src1_sel:DWORD
	s_mov_b64 s[2:3], -1
                                        ; implicit-def: $sgpr20
	s_and_saveexec_b64 s[18:19], s[22:23]
; %bb.867:                              ;   in Loop: Header=BB280_521 Depth=1
	s_mov_b32 s20, 0x7fc02000
	s_xor_b64 s[2:3], exec, -1
; %bb.868:                              ;   in Loop: Header=BB280_521 Depth=1
	s_or_b64 exec, exec, s[18:19]
	s_and_b64 s[2:3], s[2:3], exec
	s_or_saveexec_b64 s[8:9], s[8:9]
	v_mov_b32_e32 v35, s20
	s_xor_b64 exec, exec, s[8:9]
	s_cbranch_execz .LBB280_599
.LBB280_869:                            ;   in Loop: Header=BB280_521 Depth=1
	v_cmp_ne_u16_sdwa s[18:19], v16, v17 src0_sel:BYTE_0 src1_sel:DWORD
	s_andn2_b64 s[2:3], s[2:3], exec
	s_and_b64 s[18:19], s[18:19], exec
	v_mov_b32_e32 v35, 0
	s_or_b64 s[2:3], s[2:3], s[18:19]
	s_or_b64 exec, exec, s[8:9]
	s_and_saveexec_b64 s[8:9], s[2:3]
	s_cbranch_execnz .LBB280_600
	s_branch .LBB280_601
.LBB280_870:                            ;   in Loop: Header=BB280_521 Depth=1
	v_cmp_eq_u16_e64 s[2:3], s24, v16
	s_mov_b64 s[8:9], -1
                                        ; implicit-def: $sgpr22
	s_and_saveexec_b64 s[20:21], s[2:3]
; %bb.871:                              ;   in Loop: Header=BB280_521 Depth=1
	s_mov_b32 s22, 0x7fc02000
	s_xor_b64 s[8:9], exec, -1
; %bb.872:                              ;   in Loop: Header=BB280_521 Depth=1
	s_or_b64 exec, exec, s[20:21]
	s_and_b64 s[8:9], s[8:9], exec
	s_or_saveexec_b64 s[18:19], s[18:19]
	v_mov_b32_e32 v37, s22
	s_xor_b64 exec, exec, s[18:19]
	s_cbranch_execz .LBB280_603
.LBB280_873:                            ;   in Loop: Header=BB280_521 Depth=1
	v_cmp_ne_u16_e64 s[2:3], 0, v16
	s_andn2_b64 s[8:9], s[8:9], exec
	s_and_b64 s[2:3], s[2:3], exec
	v_mov_b32_e32 v37, 0
	s_or_b64 s[8:9], s[8:9], s[2:3]
	s_or_b64 exec, exec, s[18:19]
	s_and_saveexec_b64 s[18:19], s[8:9]
	s_cbranch_execnz .LBB280_604
	s_branch .LBB280_605
.LBB280_874:                            ;   in Loop: Header=BB280_521 Depth=1
	v_cmp_eq_u16_sdwa s[22:23], v33, s24 src0_sel:BYTE_0 src1_sel:DWORD
	s_mov_b64 s[2:3], -1
                                        ; implicit-def: $sgpr20
	s_and_saveexec_b64 s[18:19], s[22:23]
; %bb.875:                              ;   in Loop: Header=BB280_521 Depth=1
	s_mov_b32 s20, 0x7fc02000
	s_xor_b64 s[2:3], exec, -1
; %bb.876:                              ;   in Loop: Header=BB280_521 Depth=1
	s_or_b64 exec, exec, s[18:19]
	s_and_b64 s[2:3], s[2:3], exec
	s_or_saveexec_b64 s[8:9], s[8:9]
	v_mov_b32_e32 v0, s20
	s_xor_b64 exec, exec, s[8:9]
	s_cbranch_execz .LBB280_607
.LBB280_877:                            ;   in Loop: Header=BB280_521 Depth=1
	v_cmp_ne_u16_sdwa s[18:19], v33, v17 src0_sel:BYTE_0 src1_sel:DWORD
	s_andn2_b64 s[2:3], s[2:3], exec
	s_and_b64 s[18:19], s[18:19], exec
	v_mov_b32_e32 v0, 0
	s_or_b64 s[2:3], s[2:3], s[18:19]
	s_or_b64 exec, exec, s[8:9]
	v_mov_b32_e32 v16, v33
	s_and_saveexec_b64 s[8:9], s[2:3]
	s_cbranch_execnz .LBB280_608
	s_branch .LBB280_609
.LBB280_878:                            ;   in Loop: Header=BB280_521 Depth=1
	v_cmp_eq_u16_e64 s[2:3], s24, v16
	s_mov_b64 s[8:9], -1
                                        ; implicit-def: $sgpr22
	s_and_saveexec_b64 s[20:21], s[2:3]
; %bb.879:                              ;   in Loop: Header=BB280_521 Depth=1
	s_mov_b32 s22, 0x7fc02000
	s_xor_b64 s[8:9], exec, -1
; %bb.880:                              ;   in Loop: Header=BB280_521 Depth=1
	s_or_b64 exec, exec, s[20:21]
	s_and_b64 s[8:9], s[8:9], exec
	s_or_saveexec_b64 s[18:19], s[18:19]
	v_mov_b32_e32 v1, s22
	s_xor_b64 exec, exec, s[18:19]
	s_cbranch_execz .LBB280_611
.LBB280_881:                            ;   in Loop: Header=BB280_521 Depth=1
	v_cmp_ne_u16_e64 s[2:3], 0, v16
	s_andn2_b64 s[8:9], s[8:9], exec
	s_and_b64 s[2:3], s[2:3], exec
	v_mov_b32_e32 v1, 0
	s_or_b64 s[8:9], s[8:9], s[2:3]
	s_or_b64 exec, exec, s[18:19]
	s_and_saveexec_b64 s[18:19], s[8:9]
	s_cbranch_execnz .LBB280_612
	s_branch .LBB280_613
.LBB280_882:                            ;   in Loop: Header=BB280_521 Depth=1
	v_cmp_eq_u16_sdwa s[22:23], v16, s24 src0_sel:BYTE_0 src1_sel:DWORD
	s_mov_b64 s[2:3], -1
                                        ; implicit-def: $sgpr20
	s_and_saveexec_b64 s[18:19], s[22:23]
; %bb.883:                              ;   in Loop: Header=BB280_521 Depth=1
	s_mov_b32 s20, 0x7fc02000
	s_xor_b64 s[2:3], exec, -1
; %bb.884:                              ;   in Loop: Header=BB280_521 Depth=1
	s_or_b64 exec, exec, s[18:19]
	s_and_b64 s[2:3], s[2:3], exec
	s_or_saveexec_b64 s[8:9], s[8:9]
	v_mov_b32_e32 v18, s20
	s_xor_b64 exec, exec, s[8:9]
	s_cbranch_execz .LBB280_615
.LBB280_885:                            ;   in Loop: Header=BB280_521 Depth=1
	v_cmp_ne_u16_sdwa s[18:19], v16, v17 src0_sel:BYTE_0 src1_sel:DWORD
	s_andn2_b64 s[2:3], s[2:3], exec
	s_and_b64 s[18:19], s[18:19], exec
	v_mov_b32_e32 v18, 0
	s_or_b64 s[2:3], s[2:3], s[18:19]
	s_or_b64 exec, exec, s[8:9]
	s_and_saveexec_b64 s[8:9], s[2:3]
	s_cbranch_execnz .LBB280_616
	s_branch .LBB280_617
.LBB280_886:                            ;   in Loop: Header=BB280_521 Depth=1
	v_cmp_eq_u16_e64 s[2:3], s24, v16
	s_mov_b64 s[8:9], -1
                                        ; implicit-def: $sgpr22
	s_and_saveexec_b64 s[20:21], s[2:3]
; %bb.887:                              ;   in Loop: Header=BB280_521 Depth=1
	s_mov_b32 s22, 0x7fc02000
	s_xor_b64 s[8:9], exec, -1
; %bb.888:                              ;   in Loop: Header=BB280_521 Depth=1
	s_or_b64 exec, exec, s[20:21]
	s_and_b64 s[8:9], s[8:9], exec
	s_or_saveexec_b64 s[18:19], s[18:19]
	v_mov_b32_e32 v23, s22
	s_xor_b64 exec, exec, s[18:19]
	s_cbranch_execz .LBB280_619
.LBB280_889:                            ;   in Loop: Header=BB280_521 Depth=1
	v_cmp_ne_u16_e64 s[2:3], 0, v16
	s_andn2_b64 s[8:9], s[8:9], exec
	s_and_b64 s[2:3], s[2:3], exec
	v_mov_b32_e32 v23, 0
	s_or_b64 s[8:9], s[8:9], s[2:3]
	s_or_b64 exec, exec, s[18:19]
	s_and_saveexec_b64 s[18:19], s[8:9]
	s_cbranch_execnz .LBB280_620
	s_branch .LBB280_621
.LBB280_890:                            ;   in Loop: Header=BB280_521 Depth=1
	v_cmp_eq_u16_sdwa s[22:23], v32, s24 src0_sel:BYTE_0 src1_sel:DWORD
	s_mov_b64 s[2:3], -1
                                        ; implicit-def: $sgpr20
	s_and_saveexec_b64 s[18:19], s[22:23]
; %bb.891:                              ;   in Loop: Header=BB280_521 Depth=1
	s_mov_b32 s20, 0x7fc02000
	s_xor_b64 s[2:3], exec, -1
; %bb.892:                              ;   in Loop: Header=BB280_521 Depth=1
	s_or_b64 exec, exec, s[18:19]
	s_and_b64 s[2:3], s[2:3], exec
	s_or_saveexec_b64 s[8:9], s[8:9]
	v_mov_b32_e32 v34, s20
	s_xor_b64 exec, exec, s[8:9]
	s_cbranch_execz .LBB280_625
.LBB280_893:                            ;   in Loop: Header=BB280_521 Depth=1
	v_cmp_ne_u16_sdwa s[18:19], v32, v17 src0_sel:BYTE_0 src1_sel:DWORD
	s_andn2_b64 s[2:3], s[2:3], exec
	s_and_b64 s[18:19], s[18:19], exec
	v_mov_b32_e32 v34, 0
	s_or_b64 s[2:3], s[2:3], s[18:19]
	s_or_b64 exec, exec, s[8:9]
	s_and_saveexec_b64 s[8:9], s[2:3]
	s_cbranch_execnz .LBB280_626
	s_branch .LBB280_627
.LBB280_894:                            ;   in Loop: Header=BB280_521 Depth=1
	v_cmp_eq_u16_e64 s[2:3], s24, v16
	s_mov_b64 s[8:9], -1
                                        ; implicit-def: $sgpr22
	s_and_saveexec_b64 s[20:21], s[2:3]
; %bb.895:                              ;   in Loop: Header=BB280_521 Depth=1
	s_mov_b32 s22, 0x7fc02000
	s_xor_b64 s[8:9], exec, -1
; %bb.896:                              ;   in Loop: Header=BB280_521 Depth=1
	s_or_b64 exec, exec, s[20:21]
	s_and_b64 s[8:9], s[8:9], exec
	s_or_saveexec_b64 s[18:19], s[18:19]
	v_mov_b32_e32 v36, s22
	s_xor_b64 exec, exec, s[18:19]
	s_cbranch_execz .LBB280_629
.LBB280_897:                            ;   in Loop: Header=BB280_521 Depth=1
	v_cmp_ne_u16_e64 s[2:3], 0, v16
	s_andn2_b64 s[8:9], s[8:9], exec
	s_and_b64 s[2:3], s[2:3], exec
	v_mov_b32_e32 v36, 0
	s_or_b64 s[8:9], s[8:9], s[2:3]
	s_or_b64 exec, exec, s[18:19]
	s_and_saveexec_b64 s[18:19], s[8:9]
	s_cbranch_execnz .LBB280_630
	s_branch .LBB280_631
.LBB280_898:                            ;   in Loop: Header=BB280_521 Depth=1
	v_cmp_eq_u16_sdwa s[22:23], v16, s24 src0_sel:BYTE_0 src1_sel:DWORD
	s_mov_b64 s[2:3], -1
                                        ; implicit-def: $sgpr20
	s_and_saveexec_b64 s[18:19], s[22:23]
; %bb.899:                              ;   in Loop: Header=BB280_521 Depth=1
	s_mov_b32 s20, 0x7fc02000
	s_xor_b64 s[2:3], exec, -1
; %bb.900:                              ;   in Loop: Header=BB280_521 Depth=1
	s_or_b64 exec, exec, s[18:19]
	s_and_b64 s[2:3], s[2:3], exec
	s_or_saveexec_b64 s[8:9], s[8:9]
	v_mov_b32_e32 v35, s20
	s_xor_b64 exec, exec, s[8:9]
	s_cbranch_execz .LBB280_633
.LBB280_901:                            ;   in Loop: Header=BB280_521 Depth=1
	v_cmp_ne_u16_sdwa s[18:19], v16, v17 src0_sel:BYTE_0 src1_sel:DWORD
	s_andn2_b64 s[2:3], s[2:3], exec
	s_and_b64 s[18:19], s[18:19], exec
	v_mov_b32_e32 v35, 0
	s_or_b64 s[2:3], s[2:3], s[18:19]
	s_or_b64 exec, exec, s[8:9]
	s_and_saveexec_b64 s[8:9], s[2:3]
	s_cbranch_execnz .LBB280_634
	s_branch .LBB280_635
.LBB280_902:                            ;   in Loop: Header=BB280_521 Depth=1
	v_cmp_eq_u16_e64 s[2:3], s24, v16
	s_mov_b64 s[8:9], -1
                                        ; implicit-def: $sgpr22
	s_and_saveexec_b64 s[20:21], s[2:3]
; %bb.903:                              ;   in Loop: Header=BB280_521 Depth=1
	s_mov_b32 s22, 0x7fc02000
	s_xor_b64 s[8:9], exec, -1
; %bb.904:                              ;   in Loop: Header=BB280_521 Depth=1
	s_or_b64 exec, exec, s[20:21]
	s_and_b64 s[8:9], s[8:9], exec
	s_or_saveexec_b64 s[18:19], s[18:19]
	v_mov_b32_e32 v37, s22
	s_xor_b64 exec, exec, s[18:19]
	s_cbranch_execz .LBB280_637
.LBB280_905:                            ;   in Loop: Header=BB280_521 Depth=1
	v_cmp_ne_u16_e64 s[2:3], 0, v16
	s_andn2_b64 s[8:9], s[8:9], exec
	s_and_b64 s[2:3], s[2:3], exec
	v_mov_b32_e32 v37, 0
	s_or_b64 s[8:9], s[8:9], s[2:3]
	s_or_b64 exec, exec, s[18:19]
	s_and_saveexec_b64 s[18:19], s[8:9]
	s_cbranch_execnz .LBB280_638
	s_branch .LBB280_639
.LBB280_906:                            ;   in Loop: Header=BB280_521 Depth=1
	v_cmp_eq_u16_sdwa s[22:23], v33, s24 src0_sel:BYTE_0 src1_sel:DWORD
	s_mov_b64 s[2:3], -1
                                        ; implicit-def: $sgpr20
	s_and_saveexec_b64 s[18:19], s[22:23]
; %bb.907:                              ;   in Loop: Header=BB280_521 Depth=1
	s_mov_b32 s20, 0x7fc02000
	s_xor_b64 s[2:3], exec, -1
; %bb.908:                              ;   in Loop: Header=BB280_521 Depth=1
	s_or_b64 exec, exec, s[18:19]
	s_and_b64 s[2:3], s[2:3], exec
	s_or_saveexec_b64 s[8:9], s[8:9]
	v_mov_b32_e32 v18, s20
	s_xor_b64 exec, exec, s[8:9]
	s_cbranch_execz .LBB280_641
.LBB280_909:                            ;   in Loop: Header=BB280_521 Depth=1
	v_cmp_ne_u16_sdwa s[18:19], v33, v17 src0_sel:BYTE_0 src1_sel:DWORD
	s_andn2_b64 s[2:3], s[2:3], exec
	s_and_b64 s[18:19], s[18:19], exec
	v_mov_b32_e32 v18, 0
	s_or_b64 s[2:3], s[2:3], s[18:19]
	s_or_b64 exec, exec, s[8:9]
	v_mov_b32_e32 v16, v33
	s_and_saveexec_b64 s[8:9], s[2:3]
	s_cbranch_execnz .LBB280_642
	s_branch .LBB280_643
.LBB280_910:                            ;   in Loop: Header=BB280_521 Depth=1
	v_cmp_eq_u16_e64 s[2:3], s24, v16
	s_mov_b64 s[8:9], -1
                                        ; implicit-def: $sgpr22
	s_and_saveexec_b64 s[20:21], s[2:3]
; %bb.911:                              ;   in Loop: Header=BB280_521 Depth=1
	s_mov_b32 s22, 0x7fc02000
	s_xor_b64 s[8:9], exec, -1
; %bb.912:                              ;   in Loop: Header=BB280_521 Depth=1
	s_or_b64 exec, exec, s[20:21]
	s_and_b64 s[8:9], s[8:9], exec
	s_or_saveexec_b64 s[18:19], s[18:19]
	v_mov_b32_e32 v22, s22
	s_xor_b64 exec, exec, s[18:19]
	s_cbranch_execz .LBB280_645
.LBB280_913:                            ;   in Loop: Header=BB280_521 Depth=1
	v_cmp_ne_u16_e64 s[2:3], 0, v16
	s_andn2_b64 s[8:9], s[8:9], exec
	s_and_b64 s[2:3], s[2:3], exec
	v_mov_b32_e32 v22, 0
	s_or_b64 s[8:9], s[8:9], s[2:3]
	s_or_b64 exec, exec, s[18:19]
	s_and_saveexec_b64 s[18:19], s[8:9]
	s_cbranch_execnz .LBB280_646
	s_branch .LBB280_647
.LBB280_914:                            ;   in Loop: Header=BB280_521 Depth=1
	v_cmp_eq_u16_sdwa s[22:23], v16, s24 src0_sel:BYTE_0 src1_sel:DWORD
	s_mov_b64 s[2:3], -1
                                        ; implicit-def: $sgpr20
	s_and_saveexec_b64 s[18:19], s[22:23]
; %bb.915:                              ;   in Loop: Header=BB280_521 Depth=1
	s_mov_b32 s20, 0x7fc02000
	s_xor_b64 s[2:3], exec, -1
; %bb.916:                              ;   in Loop: Header=BB280_521 Depth=1
	s_or_b64 exec, exec, s[18:19]
	s_and_b64 s[2:3], s[2:3], exec
	s_or_saveexec_b64 s[8:9], s[8:9]
	v_mov_b32_e32 v23, s20
	s_xor_b64 exec, exec, s[8:9]
	s_cbranch_execz .LBB280_649
.LBB280_917:                            ;   in Loop: Header=BB280_521 Depth=1
	v_cmp_ne_u16_sdwa s[18:19], v16, v17 src0_sel:BYTE_0 src1_sel:DWORD
	s_andn2_b64 s[2:3], s[2:3], exec
	s_and_b64 s[18:19], s[18:19], exec
	v_mov_b32_e32 v23, 0
	s_or_b64 s[2:3], s[2:3], s[18:19]
	s_or_b64 exec, exec, s[8:9]
	s_and_saveexec_b64 s[8:9], s[2:3]
	s_cbranch_execnz .LBB280_650
	s_branch .LBB280_651
.LBB280_918:                            ;   in Loop: Header=BB280_521 Depth=1
	v_cmp_eq_u16_e64 s[2:3], s24, v16
	s_mov_b64 s[8:9], -1
                                        ; implicit-def: $sgpr22
	s_and_saveexec_b64 s[20:21], s[2:3]
; %bb.919:                              ;   in Loop: Header=BB280_521 Depth=1
	s_mov_b32 s22, 0x7fc02000
	s_xor_b64 s[8:9], exec, -1
; %bb.920:                              ;   in Loop: Header=BB280_521 Depth=1
	s_or_b64 exec, exec, s[20:21]
	s_and_b64 s[8:9], s[8:9], exec
	s_or_saveexec_b64 s[18:19], s[18:19]
	v_mov_b32_e32 v32, s22
	s_xor_b64 exec, exec, s[18:19]
	s_cbranch_execz .LBB280_653
.LBB280_921:                            ;   in Loop: Header=BB280_521 Depth=1
	v_cmp_ne_u16_e64 s[2:3], 0, v16
	s_andn2_b64 s[8:9], s[8:9], exec
	s_and_b64 s[2:3], s[2:3], exec
	v_mov_b32_e32 v32, 0
	s_or_b64 s[8:9], s[8:9], s[2:3]
	s_or_b64 exec, exec, s[18:19]
	s_and_saveexec_b64 s[18:19], s[8:9]
	s_cbranch_execnz .LBB280_654
	s_branch .LBB280_655
.LBB280_922:                            ;   in Loop: Header=BB280_521 Depth=1
	v_cmp_eq_u16_sdwa s[22:23], v32, s24 src0_sel:BYTE_0 src1_sel:DWORD
	s_mov_b64 s[2:3], -1
                                        ; implicit-def: $sgpr20
	s_and_saveexec_b64 s[18:19], s[22:23]
; %bb.923:                              ;   in Loop: Header=BB280_521 Depth=1
	s_mov_b32 s20, 0x7fc02000
	s_xor_b64 s[2:3], exec, -1
; %bb.924:                              ;   in Loop: Header=BB280_521 Depth=1
	s_or_b64 exec, exec, s[18:19]
	s_and_b64 s[2:3], s[2:3], exec
	s_or_saveexec_b64 s[8:9], s[8:9]
	v_mov_b32_e32 v34, s20
	s_xor_b64 exec, exec, s[8:9]
	s_cbranch_execz .LBB280_659
.LBB280_925:                            ;   in Loop: Header=BB280_521 Depth=1
	v_cmp_ne_u16_sdwa s[18:19], v32, v17 src0_sel:BYTE_0 src1_sel:DWORD
	s_andn2_b64 s[2:3], s[2:3], exec
	s_and_b64 s[18:19], s[18:19], exec
	v_mov_b32_e32 v34, 0
	s_or_b64 s[2:3], s[2:3], s[18:19]
	s_or_b64 exec, exec, s[8:9]
	s_and_saveexec_b64 s[8:9], s[2:3]
	s_cbranch_execnz .LBB280_660
	s_branch .LBB280_661
.LBB280_926:                            ;   in Loop: Header=BB280_521 Depth=1
	v_cmp_eq_u16_e64 s[2:3], s24, v16
	s_mov_b64 s[8:9], -1
                                        ; implicit-def: $sgpr22
	s_and_saveexec_b64 s[20:21], s[2:3]
; %bb.927:                              ;   in Loop: Header=BB280_521 Depth=1
	s_mov_b32 s22, 0x7fc02000
	s_xor_b64 s[8:9], exec, -1
; %bb.928:                              ;   in Loop: Header=BB280_521 Depth=1
	s_or_b64 exec, exec, s[20:21]
	s_and_b64 s[8:9], s[8:9], exec
	s_or_saveexec_b64 s[18:19], s[18:19]
	v_mov_b32_e32 v36, s22
	s_xor_b64 exec, exec, s[18:19]
	s_cbranch_execz .LBB280_663
.LBB280_929:                            ;   in Loop: Header=BB280_521 Depth=1
	v_cmp_ne_u16_e64 s[2:3], 0, v16
	s_andn2_b64 s[8:9], s[8:9], exec
	s_and_b64 s[2:3], s[2:3], exec
	v_mov_b32_e32 v36, 0
	s_or_b64 s[8:9], s[8:9], s[2:3]
	s_or_b64 exec, exec, s[18:19]
	s_and_saveexec_b64 s[18:19], s[8:9]
	s_cbranch_execnz .LBB280_664
	s_branch .LBB280_665
.LBB280_930:                            ;   in Loop: Header=BB280_521 Depth=1
	v_cmp_eq_u16_sdwa s[22:23], v16, s24 src0_sel:BYTE_0 src1_sel:DWORD
	s_mov_b64 s[2:3], -1
                                        ; implicit-def: $sgpr20
	s_and_saveexec_b64 s[18:19], s[22:23]
; %bb.931:                              ;   in Loop: Header=BB280_521 Depth=1
	s_mov_b32 s20, 0x7fc02000
	s_xor_b64 s[2:3], exec, -1
; %bb.932:                              ;   in Loop: Header=BB280_521 Depth=1
	s_or_b64 exec, exec, s[18:19]
	s_and_b64 s[2:3], s[2:3], exec
	s_or_saveexec_b64 s[8:9], s[8:9]
	v_mov_b32_e32 v35, s20
	s_xor_b64 exec, exec, s[8:9]
	s_cbranch_execz .LBB280_667
.LBB280_933:                            ;   in Loop: Header=BB280_521 Depth=1
	v_cmp_ne_u16_sdwa s[18:19], v16, v17 src0_sel:BYTE_0 src1_sel:DWORD
	s_andn2_b64 s[2:3], s[2:3], exec
	s_and_b64 s[18:19], s[18:19], exec
	v_mov_b32_e32 v35, 0
	s_or_b64 s[2:3], s[2:3], s[18:19]
	s_or_b64 exec, exec, s[8:9]
	s_and_saveexec_b64 s[8:9], s[2:3]
	s_cbranch_execnz .LBB280_668
	s_branch .LBB280_669
.LBB280_934:                            ;   in Loop: Header=BB280_521 Depth=1
	v_cmp_eq_u16_e64 s[2:3], s24, v16
	s_mov_b64 s[8:9], -1
                                        ; implicit-def: $sgpr22
	s_and_saveexec_b64 s[20:21], s[2:3]
; %bb.935:                              ;   in Loop: Header=BB280_521 Depth=1
	s_mov_b32 s22, 0x7fc02000
	s_xor_b64 s[8:9], exec, -1
; %bb.936:                              ;   in Loop: Header=BB280_521 Depth=1
	s_or_b64 exec, exec, s[20:21]
	s_and_b64 s[8:9], s[8:9], exec
	s_or_saveexec_b64 s[18:19], s[18:19]
	v_mov_b32_e32 v37, s22
	s_xor_b64 exec, exec, s[18:19]
	s_cbranch_execz .LBB280_671
.LBB280_937:                            ;   in Loop: Header=BB280_521 Depth=1
	v_cmp_ne_u16_e64 s[2:3], 0, v16
	s_andn2_b64 s[8:9], s[8:9], exec
	s_and_b64 s[2:3], s[2:3], exec
	v_mov_b32_e32 v37, 0
	s_or_b64 s[8:9], s[8:9], s[2:3]
	s_or_b64 exec, exec, s[18:19]
	s_and_saveexec_b64 s[18:19], s[8:9]
	s_cbranch_execnz .LBB280_672
	s_branch .LBB280_673
.LBB280_938:                            ;   in Loop: Header=BB280_521 Depth=1
	v_cmp_eq_u16_sdwa s[22:23], v33, s24 src0_sel:BYTE_0 src1_sel:DWORD
	s_mov_b64 s[2:3], -1
                                        ; implicit-def: $sgpr20
	s_and_saveexec_b64 s[18:19], s[22:23]
; %bb.939:                              ;   in Loop: Header=BB280_521 Depth=1
	s_mov_b32 s20, 0x7fc02000
	s_xor_b64 s[2:3], exec, -1
; %bb.940:                              ;   in Loop: Header=BB280_521 Depth=1
	s_or_b64 exec, exec, s[18:19]
	s_and_b64 s[2:3], s[2:3], exec
	s_or_saveexec_b64 s[8:9], s[8:9]
	v_mov_b32_e32 v18, s20
	s_xor_b64 exec, exec, s[8:9]
	s_cbranch_execz .LBB280_675
.LBB280_941:                            ;   in Loop: Header=BB280_521 Depth=1
	v_cmp_ne_u16_sdwa s[18:19], v33, v17 src0_sel:BYTE_0 src1_sel:DWORD
	s_andn2_b64 s[2:3], s[2:3], exec
	s_and_b64 s[18:19], s[18:19], exec
	v_mov_b32_e32 v18, 0
	s_or_b64 s[2:3], s[2:3], s[18:19]
	s_or_b64 exec, exec, s[8:9]
	v_mov_b32_e32 v16, v33
	s_and_saveexec_b64 s[8:9], s[2:3]
	s_cbranch_execnz .LBB280_676
	s_branch .LBB280_677
.LBB280_942:                            ;   in Loop: Header=BB280_521 Depth=1
	v_cmp_eq_u16_e64 s[2:3], s24, v16
	s_mov_b64 s[8:9], -1
                                        ; implicit-def: $sgpr22
	s_and_saveexec_b64 s[20:21], s[2:3]
; %bb.943:                              ;   in Loop: Header=BB280_521 Depth=1
	s_mov_b32 s22, 0x7fc02000
	s_xor_b64 s[8:9], exec, -1
; %bb.944:                              ;   in Loop: Header=BB280_521 Depth=1
	s_or_b64 exec, exec, s[20:21]
	s_and_b64 s[8:9], s[8:9], exec
	s_or_saveexec_b64 s[18:19], s[18:19]
	v_mov_b32_e32 v22, s22
	s_xor_b64 exec, exec, s[18:19]
	s_cbranch_execz .LBB280_679
.LBB280_945:                            ;   in Loop: Header=BB280_521 Depth=1
	v_cmp_ne_u16_e64 s[2:3], 0, v16
	s_andn2_b64 s[8:9], s[8:9], exec
	s_and_b64 s[2:3], s[2:3], exec
	v_mov_b32_e32 v22, 0
	s_or_b64 s[8:9], s[8:9], s[2:3]
	s_or_b64 exec, exec, s[18:19]
	s_and_saveexec_b64 s[18:19], s[8:9]
	s_cbranch_execnz .LBB280_680
	s_branch .LBB280_681
.LBB280_946:                            ;   in Loop: Header=BB280_521 Depth=1
	v_cmp_eq_u16_sdwa s[22:23], v16, s24 src0_sel:BYTE_0 src1_sel:DWORD
	s_mov_b64 s[2:3], -1
                                        ; implicit-def: $sgpr20
	s_and_saveexec_b64 s[18:19], s[22:23]
; %bb.947:                              ;   in Loop: Header=BB280_521 Depth=1
	s_mov_b32 s20, 0x7fc02000
	s_xor_b64 s[2:3], exec, -1
; %bb.948:                              ;   in Loop: Header=BB280_521 Depth=1
	s_or_b64 exec, exec, s[18:19]
	s_and_b64 s[2:3], s[2:3], exec
	s_or_saveexec_b64 s[8:9], s[8:9]
	v_mov_b32_e32 v23, s20
	s_xor_b64 exec, exec, s[8:9]
	s_cbranch_execz .LBB280_683
.LBB280_949:                            ;   in Loop: Header=BB280_521 Depth=1
	v_cmp_ne_u16_sdwa s[18:19], v16, v17 src0_sel:BYTE_0 src1_sel:DWORD
	s_andn2_b64 s[2:3], s[2:3], exec
	s_and_b64 s[18:19], s[18:19], exec
	v_mov_b32_e32 v23, 0
	s_or_b64 s[2:3], s[2:3], s[18:19]
	s_or_b64 exec, exec, s[8:9]
	s_and_saveexec_b64 s[8:9], s[2:3]
	s_cbranch_execnz .LBB280_684
	s_branch .LBB280_685
.LBB280_950:                            ;   in Loop: Header=BB280_521 Depth=1
	v_cmp_eq_u16_e64 s[2:3], s24, v16
	s_mov_b64 s[8:9], -1
                                        ; implicit-def: $sgpr22
	s_and_saveexec_b64 s[20:21], s[2:3]
; %bb.951:                              ;   in Loop: Header=BB280_521 Depth=1
	s_mov_b32 s22, 0x7fc02000
	s_xor_b64 s[8:9], exec, -1
; %bb.952:                              ;   in Loop: Header=BB280_521 Depth=1
	s_or_b64 exec, exec, s[20:21]
	s_and_b64 s[8:9], s[8:9], exec
	s_or_saveexec_b64 s[18:19], s[18:19]
	v_mov_b32_e32 v32, s22
	s_xor_b64 exec, exec, s[18:19]
	s_cbranch_execz .LBB280_687
.LBB280_953:                            ;   in Loop: Header=BB280_521 Depth=1
	v_cmp_ne_u16_e64 s[2:3], 0, v16
	s_andn2_b64 s[8:9], s[8:9], exec
	s_and_b64 s[2:3], s[2:3], exec
	v_mov_b32_e32 v32, 0
	s_or_b64 s[8:9], s[8:9], s[2:3]
	s_or_b64 exec, exec, s[18:19]
	s_and_saveexec_b64 s[18:19], s[8:9]
	s_cbranch_execnz .LBB280_688
	s_branch .LBB280_689
.LBB280_954:                            ;   in Loop: Header=BB280_521 Depth=1
	v_cmp_eq_u16_sdwa s[22:23], v32, s24 src0_sel:BYTE_0 src1_sel:DWORD
	s_mov_b64 s[2:3], -1
                                        ; implicit-def: $sgpr20
	s_and_saveexec_b64 s[18:19], s[22:23]
; %bb.955:                              ;   in Loop: Header=BB280_521 Depth=1
	s_mov_b32 s20, 0x7fc02000
	s_xor_b64 s[2:3], exec, -1
; %bb.956:                              ;   in Loop: Header=BB280_521 Depth=1
	s_or_b64 exec, exec, s[18:19]
	s_and_b64 s[2:3], s[2:3], exec
	s_or_saveexec_b64 s[8:9], s[8:9]
	v_mov_b32_e32 v34, s20
	s_xor_b64 exec, exec, s[8:9]
	s_cbranch_execz .LBB280_693
.LBB280_957:                            ;   in Loop: Header=BB280_521 Depth=1
	v_cmp_ne_u16_sdwa s[18:19], v32, v17 src0_sel:BYTE_0 src1_sel:DWORD
	s_andn2_b64 s[2:3], s[2:3], exec
	s_and_b64 s[18:19], s[18:19], exec
	v_mov_b32_e32 v34, 0
	s_or_b64 s[2:3], s[2:3], s[18:19]
	s_or_b64 exec, exec, s[8:9]
	s_and_saveexec_b64 s[8:9], s[2:3]
	s_cbranch_execnz .LBB280_694
	s_branch .LBB280_695
.LBB280_958:                            ;   in Loop: Header=BB280_521 Depth=1
	v_cmp_eq_u16_e64 s[2:3], s24, v16
	s_mov_b64 s[8:9], -1
                                        ; implicit-def: $sgpr22
	s_and_saveexec_b64 s[20:21], s[2:3]
; %bb.959:                              ;   in Loop: Header=BB280_521 Depth=1
	s_mov_b32 s22, 0x7fc02000
	s_xor_b64 s[8:9], exec, -1
; %bb.960:                              ;   in Loop: Header=BB280_521 Depth=1
	s_or_b64 exec, exec, s[20:21]
	s_and_b64 s[8:9], s[8:9], exec
	s_or_saveexec_b64 s[18:19], s[18:19]
	v_mov_b32_e32 v36, s22
	s_xor_b64 exec, exec, s[18:19]
	s_cbranch_execz .LBB280_697
.LBB280_961:                            ;   in Loop: Header=BB280_521 Depth=1
	v_cmp_ne_u16_e64 s[2:3], 0, v16
	s_andn2_b64 s[8:9], s[8:9], exec
	s_and_b64 s[2:3], s[2:3], exec
	v_mov_b32_e32 v36, 0
	s_or_b64 s[8:9], s[8:9], s[2:3]
	s_or_b64 exec, exec, s[18:19]
	s_and_saveexec_b64 s[18:19], s[8:9]
	s_cbranch_execnz .LBB280_698
	s_branch .LBB280_699
.LBB280_962:                            ;   in Loop: Header=BB280_521 Depth=1
	v_cmp_eq_u16_sdwa s[22:23], v16, s24 src0_sel:BYTE_0 src1_sel:DWORD
	s_mov_b64 s[2:3], -1
                                        ; implicit-def: $sgpr20
	s_and_saveexec_b64 s[18:19], s[22:23]
; %bb.963:                              ;   in Loop: Header=BB280_521 Depth=1
	s_mov_b32 s20, 0x7fc02000
	s_xor_b64 s[2:3], exec, -1
; %bb.964:                              ;   in Loop: Header=BB280_521 Depth=1
	s_or_b64 exec, exec, s[18:19]
	s_and_b64 s[2:3], s[2:3], exec
	s_or_saveexec_b64 s[8:9], s[8:9]
	v_mov_b32_e32 v35, s20
	s_xor_b64 exec, exec, s[8:9]
	s_cbranch_execz .LBB280_701
.LBB280_965:                            ;   in Loop: Header=BB280_521 Depth=1
	v_cmp_ne_u16_sdwa s[18:19], v16, v17 src0_sel:BYTE_0 src1_sel:DWORD
	s_andn2_b64 s[2:3], s[2:3], exec
	s_and_b64 s[18:19], s[18:19], exec
	v_mov_b32_e32 v35, 0
	s_or_b64 s[2:3], s[2:3], s[18:19]
	s_or_b64 exec, exec, s[8:9]
	s_and_saveexec_b64 s[8:9], s[2:3]
	s_cbranch_execnz .LBB280_702
	s_branch .LBB280_703
.LBB280_966:                            ;   in Loop: Header=BB280_521 Depth=1
	v_cmp_eq_u16_e64 s[2:3], s24, v16
	s_mov_b64 s[8:9], -1
                                        ; implicit-def: $sgpr22
	s_and_saveexec_b64 s[20:21], s[2:3]
; %bb.967:                              ;   in Loop: Header=BB280_521 Depth=1
	s_mov_b32 s22, 0x7fc02000
	s_xor_b64 s[8:9], exec, -1
; %bb.968:                              ;   in Loop: Header=BB280_521 Depth=1
	s_or_b64 exec, exec, s[20:21]
	s_and_b64 s[8:9], s[8:9], exec
	s_or_saveexec_b64 s[18:19], s[18:19]
	v_mov_b32_e32 v37, s22
	s_xor_b64 exec, exec, s[18:19]
	s_cbranch_execz .LBB280_705
.LBB280_969:                            ;   in Loop: Header=BB280_521 Depth=1
	v_cmp_ne_u16_e64 s[2:3], 0, v16
	s_andn2_b64 s[8:9], s[8:9], exec
	s_and_b64 s[2:3], s[2:3], exec
	v_mov_b32_e32 v37, 0
	s_or_b64 s[8:9], s[8:9], s[2:3]
	s_or_b64 exec, exec, s[18:19]
	s_and_saveexec_b64 s[18:19], s[8:9]
	s_cbranch_execnz .LBB280_706
	s_branch .LBB280_707
.LBB280_970:                            ;   in Loop: Header=BB280_521 Depth=1
	v_cmp_eq_u16_sdwa s[22:23], v33, s24 src0_sel:BYTE_0 src1_sel:DWORD
	s_mov_b64 s[2:3], -1
                                        ; implicit-def: $sgpr20
	s_and_saveexec_b64 s[18:19], s[22:23]
; %bb.971:                              ;   in Loop: Header=BB280_521 Depth=1
	s_mov_b32 s20, 0x7fc02000
	s_xor_b64 s[2:3], exec, -1
; %bb.972:                              ;   in Loop: Header=BB280_521 Depth=1
	s_or_b64 exec, exec, s[18:19]
	s_and_b64 s[2:3], s[2:3], exec
	s_or_saveexec_b64 s[8:9], s[8:9]
	v_mov_b32_e32 v22, s20
	s_xor_b64 exec, exec, s[8:9]
	s_cbranch_execz .LBB280_709
.LBB280_973:                            ;   in Loop: Header=BB280_521 Depth=1
	v_cmp_ne_u16_sdwa s[18:19], v33, v17 src0_sel:BYTE_0 src1_sel:DWORD
	s_andn2_b64 s[2:3], s[2:3], exec
	s_and_b64 s[18:19], s[18:19], exec
	v_mov_b32_e32 v22, 0
	s_or_b64 s[2:3], s[2:3], s[18:19]
	s_or_b64 exec, exec, s[8:9]
	v_mov_b32_e32 v16, v33
	s_and_saveexec_b64 s[8:9], s[2:3]
	s_cbranch_execnz .LBB280_710
	s_branch .LBB280_711
.LBB280_974:                            ;   in Loop: Header=BB280_521 Depth=1
	v_cmp_eq_u16_e64 s[2:3], s24, v16
	s_mov_b64 s[8:9], -1
                                        ; implicit-def: $sgpr22
	s_and_saveexec_b64 s[20:21], s[2:3]
; %bb.975:                              ;   in Loop: Header=BB280_521 Depth=1
	s_mov_b32 s22, 0x7fc02000
	s_xor_b64 s[8:9], exec, -1
; %bb.976:                              ;   in Loop: Header=BB280_521 Depth=1
	s_or_b64 exec, exec, s[20:21]
	s_and_b64 s[8:9], s[8:9], exec
	s_or_saveexec_b64 s[18:19], s[18:19]
	v_mov_b32_e32 v23, s22
	s_xor_b64 exec, exec, s[18:19]
	s_cbranch_execz .LBB280_713
.LBB280_977:                            ;   in Loop: Header=BB280_521 Depth=1
	v_cmp_ne_u16_e64 s[2:3], 0, v16
	s_andn2_b64 s[8:9], s[8:9], exec
	s_and_b64 s[2:3], s[2:3], exec
	v_mov_b32_e32 v23, 0
	s_or_b64 s[8:9], s[8:9], s[2:3]
	s_or_b64 exec, exec, s[18:19]
	s_and_saveexec_b64 s[18:19], s[8:9]
	s_cbranch_execnz .LBB280_714
	s_branch .LBB280_715
.LBB280_978:                            ;   in Loop: Header=BB280_521 Depth=1
	v_cmp_eq_u16_sdwa s[22:23], v16, s24 src0_sel:BYTE_0 src1_sel:DWORD
	s_mov_b64 s[2:3], -1
                                        ; implicit-def: $sgpr20
	s_and_saveexec_b64 s[18:19], s[22:23]
; %bb.979:                              ;   in Loop: Header=BB280_521 Depth=1
	s_mov_b32 s20, 0x7fc02000
	s_xor_b64 s[2:3], exec, -1
; %bb.980:                              ;   in Loop: Header=BB280_521 Depth=1
	s_or_b64 exec, exec, s[18:19]
	s_and_b64 s[2:3], s[2:3], exec
	s_or_saveexec_b64 s[8:9], s[8:9]
	v_mov_b32_e32 v31, s20
	s_xor_b64 exec, exec, s[8:9]
	s_cbranch_execz .LBB280_717
.LBB280_981:                            ;   in Loop: Header=BB280_521 Depth=1
	v_cmp_ne_u16_sdwa s[18:19], v16, v17 src0_sel:BYTE_0 src1_sel:DWORD
	s_andn2_b64 s[2:3], s[2:3], exec
	s_and_b64 s[18:19], s[18:19], exec
	v_mov_b32_e32 v31, 0
	s_or_b64 s[2:3], s[2:3], s[18:19]
	s_or_b64 exec, exec, s[8:9]
	s_and_saveexec_b64 s[8:9], s[2:3]
	s_cbranch_execnz .LBB280_718
	s_branch .LBB280_719
.LBB280_982:                            ;   in Loop: Header=BB280_521 Depth=1
	v_cmp_eq_u16_e64 s[2:3], s24, v16
	s_mov_b64 s[8:9], -1
                                        ; implicit-def: $sgpr22
	s_and_saveexec_b64 s[20:21], s[2:3]
; %bb.983:                              ;   in Loop: Header=BB280_521 Depth=1
	s_mov_b32 s22, 0x7fc02000
	s_xor_b64 s[8:9], exec, -1
; %bb.984:                              ;   in Loop: Header=BB280_521 Depth=1
	s_or_b64 exec, exec, s[20:21]
	s_and_b64 s[8:9], s[8:9], exec
	s_or_saveexec_b64 s[18:19], s[18:19]
	v_mov_b32_e32 v48, s22
	s_xor_b64 exec, exec, s[18:19]
	s_cbranch_execz .LBB280_721
.LBB280_985:                            ;   in Loop: Header=BB280_521 Depth=1
	v_cmp_ne_u16_e64 s[2:3], 0, v16
	s_andn2_b64 s[8:9], s[8:9], exec
	s_and_b64 s[2:3], s[2:3], exec
	v_mov_b32_e32 v48, 0
	s_or_b64 s[8:9], s[8:9], s[2:3]
	s_or_b64 exec, exec, s[18:19]
	s_and_saveexec_b64 s[18:19], s[8:9]
	s_cbranch_execnz .LBB280_722
	s_branch .LBB280_723
.LBB280_986:                            ;   in Loop: Header=BB280_521 Depth=1
	v_cmp_eq_u16_sdwa s[22:23], v30, s24 src0_sel:BYTE_0 src1_sel:DWORD
	s_mov_b64 s[2:3], -1
                                        ; implicit-def: $sgpr20
	s_and_saveexec_b64 s[18:19], s[22:23]
; %bb.987:                              ;   in Loop: Header=BB280_521 Depth=1
	s_mov_b32 s20, 0x7fc02000
	s_xor_b64 s[2:3], exec, -1
; %bb.988:                              ;   in Loop: Header=BB280_521 Depth=1
	s_or_b64 exec, exec, s[18:19]
	s_and_b64 s[2:3], s[2:3], exec
	s_or_saveexec_b64 s[8:9], s[8:9]
	v_mov_b32_e32 v32, s20
	s_xor_b64 exec, exec, s[8:9]
	s_cbranch_execz .LBB280_727
.LBB280_989:                            ;   in Loop: Header=BB280_521 Depth=1
	v_cmp_ne_u16_sdwa s[18:19], v30, v17 src0_sel:BYTE_0 src1_sel:DWORD
	s_andn2_b64 s[2:3], s[2:3], exec
	s_and_b64 s[18:19], s[18:19], exec
	v_mov_b32_e32 v32, 0
	s_or_b64 s[2:3], s[2:3], s[18:19]
	s_or_b64 exec, exec, s[8:9]
	s_and_saveexec_b64 s[8:9], s[2:3]
	s_cbranch_execnz .LBB280_728
	s_branch .LBB280_729
.LBB280_990:                            ;   in Loop: Header=BB280_521 Depth=1
	v_cmp_eq_u16_e64 s[2:3], s24, v16
	s_mov_b64 s[8:9], -1
                                        ; implicit-def: $sgpr22
	s_and_saveexec_b64 s[20:21], s[2:3]
; %bb.991:                              ;   in Loop: Header=BB280_521 Depth=1
	s_mov_b32 s22, 0x7fc02000
	s_xor_b64 s[8:9], exec, -1
; %bb.992:                              ;   in Loop: Header=BB280_521 Depth=1
	s_or_b64 exec, exec, s[20:21]
	s_and_b64 s[8:9], s[8:9], exec
	s_or_saveexec_b64 s[18:19], s[18:19]
	v_mov_b32_e32 v34, s22
	s_xor_b64 exec, exec, s[18:19]
	s_cbranch_execz .LBB280_731
.LBB280_993:                            ;   in Loop: Header=BB280_521 Depth=1
	v_cmp_ne_u16_e64 s[2:3], 0, v16
	s_andn2_b64 s[8:9], s[8:9], exec
	s_and_b64 s[2:3], s[2:3], exec
	v_mov_b32_e32 v34, 0
	s_or_b64 s[8:9], s[8:9], s[2:3]
	s_or_b64 exec, exec, s[18:19]
	s_and_saveexec_b64 s[18:19], s[8:9]
	s_cbranch_execnz .LBB280_732
	s_branch .LBB280_733
.LBB280_994:                            ;   in Loop: Header=BB280_521 Depth=1
	v_cmp_eq_u16_sdwa s[22:23], v16, s24 src0_sel:BYTE_0 src1_sel:DWORD
	s_mov_b64 s[2:3], -1
                                        ; implicit-def: $sgpr20
	s_and_saveexec_b64 s[18:19], s[22:23]
; %bb.995:                              ;   in Loop: Header=BB280_521 Depth=1
	s_mov_b32 s20, 0x7fc02000
	s_xor_b64 s[2:3], exec, -1
; %bb.996:                              ;   in Loop: Header=BB280_521 Depth=1
	s_or_b64 exec, exec, s[18:19]
	s_and_b64 s[2:3], s[2:3], exec
	s_or_saveexec_b64 s[8:9], s[8:9]
	v_mov_b32_e32 v33, s20
	s_xor_b64 exec, exec, s[8:9]
	s_cbranch_execz .LBB280_735
.LBB280_997:                            ;   in Loop: Header=BB280_521 Depth=1
	v_cmp_ne_u16_sdwa s[18:19], v16, v17 src0_sel:BYTE_0 src1_sel:DWORD
	s_andn2_b64 s[2:3], s[2:3], exec
	s_and_b64 s[18:19], s[18:19], exec
	v_mov_b32_e32 v33, 0
	s_or_b64 s[2:3], s[2:3], s[18:19]
	s_or_b64 exec, exec, s[8:9]
	s_and_saveexec_b64 s[8:9], s[2:3]
	s_cbranch_execnz .LBB280_736
	s_branch .LBB280_737
.LBB280_998:                            ;   in Loop: Header=BB280_521 Depth=1
	v_cmp_eq_u16_e64 s[2:3], s24, v16
	s_mov_b64 s[8:9], -1
                                        ; implicit-def: $sgpr22
	s_and_saveexec_b64 s[20:21], s[2:3]
; %bb.999:                              ;   in Loop: Header=BB280_521 Depth=1
	s_mov_b32 s22, 0x7fc02000
	s_xor_b64 s[8:9], exec, -1
; %bb.1000:                             ;   in Loop: Header=BB280_521 Depth=1
	s_or_b64 exec, exec, s[20:21]
	s_and_b64 s[8:9], s[8:9], exec
	s_or_saveexec_b64 s[18:19], s[18:19]
	v_mov_b32_e32 v35, s22
	s_xor_b64 exec, exec, s[18:19]
	s_cbranch_execz .LBB280_739
.LBB280_1001:                           ;   in Loop: Header=BB280_521 Depth=1
	v_cmp_ne_u16_e64 s[2:3], 0, v16
	s_andn2_b64 s[8:9], s[8:9], exec
	s_and_b64 s[2:3], s[2:3], exec
	v_mov_b32_e32 v35, 0
	s_or_b64 s[8:9], s[8:9], s[2:3]
	s_or_b64 exec, exec, s[18:19]
	s_and_saveexec_b64 s[18:19], s[8:9]
	s_cbranch_execnz .LBB280_740
	s_branch .LBB280_741
.LBB280_1002:                           ;   in Loop: Header=BB280_521 Depth=1
	v_cmp_eq_u16_sdwa s[22:23], v31, s24 src0_sel:BYTE_0 src1_sel:DWORD
	s_mov_b64 s[2:3], -1
                                        ; implicit-def: $sgpr20
	s_and_saveexec_b64 s[18:19], s[22:23]
; %bb.1003:                             ;   in Loop: Header=BB280_521 Depth=1
	s_mov_b32 s20, 0x7fc02000
	s_xor_b64 s[2:3], exec, -1
; %bb.1004:                             ;   in Loop: Header=BB280_521 Depth=1
	s_or_b64 exec, exec, s[18:19]
	s_and_b64 s[2:3], s[2:3], exec
	s_or_saveexec_b64 s[8:9], s[8:9]
	v_mov_b32_e32 v29, s20
	s_xor_b64 exec, exec, s[8:9]
	s_cbranch_execz .LBB280_743
.LBB280_1005:                           ;   in Loop: Header=BB280_521 Depth=1
	v_cmp_ne_u16_sdwa s[18:19], v31, v17 src0_sel:BYTE_0 src1_sel:DWORD
	s_andn2_b64 s[2:3], s[2:3], exec
	s_and_b64 s[18:19], s[18:19], exec
	v_mov_b32_e32 v29, 0
	s_or_b64 s[2:3], s[2:3], s[18:19]
	s_or_b64 exec, exec, s[8:9]
	v_mov_b32_e32 v16, v31
	s_and_saveexec_b64 s[8:9], s[2:3]
	s_cbranch_execnz .LBB280_744
	s_branch .LBB280_745
.LBB280_1006:                           ;   in Loop: Header=BB280_521 Depth=1
	v_cmp_eq_u16_e64 s[2:3], s24, v16
	s_mov_b64 s[8:9], -1
                                        ; implicit-def: $sgpr22
	s_and_saveexec_b64 s[20:21], s[2:3]
; %bb.1007:                             ;   in Loop: Header=BB280_521 Depth=1
	s_mov_b32 s22, 0x7fc02000
	s_xor_b64 s[8:9], exec, -1
; %bb.1008:                             ;   in Loop: Header=BB280_521 Depth=1
	s_or_b64 exec, exec, s[20:21]
	s_and_b64 s[8:9], s[8:9], exec
	s_or_saveexec_b64 s[18:19], s[18:19]
	v_mov_b32_e32 v30, s22
	s_xor_b64 exec, exec, s[18:19]
	s_cbranch_execz .LBB280_747
.LBB280_1009:                           ;   in Loop: Header=BB280_521 Depth=1
	v_cmp_ne_u16_e64 s[2:3], 0, v16
	s_andn2_b64 s[8:9], s[8:9], exec
	s_and_b64 s[2:3], s[2:3], exec
	v_mov_b32_e32 v30, 0
	s_or_b64 s[8:9], s[8:9], s[2:3]
	s_or_b64 exec, exec, s[18:19]
	s_and_saveexec_b64 s[18:19], s[8:9]
	s_cbranch_execnz .LBB280_748
	s_branch .LBB280_749
.LBB280_1010:                           ;   in Loop: Header=BB280_521 Depth=1
	v_cmp_eq_u16_sdwa s[22:23], v16, s24 src0_sel:BYTE_0 src1_sel:DWORD
	s_mov_b64 s[2:3], -1
                                        ; implicit-def: $sgpr20
	s_and_saveexec_b64 s[18:19], s[22:23]
; %bb.1011:                             ;   in Loop: Header=BB280_521 Depth=1
	s_mov_b32 s20, 0x7fc02000
	s_xor_b64 s[2:3], exec, -1
; %bb.1012:                             ;   in Loop: Header=BB280_521 Depth=1
	s_or_b64 exec, exec, s[18:19]
	s_and_b64 s[2:3], s[2:3], exec
	s_or_saveexec_b64 s[8:9], s[8:9]
	v_mov_b32_e32 v36, s20
	s_xor_b64 exec, exec, s[8:9]
	s_cbranch_execz .LBB280_751
.LBB280_1013:                           ;   in Loop: Header=BB280_521 Depth=1
	v_cmp_ne_u16_sdwa s[18:19], v16, v17 src0_sel:BYTE_0 src1_sel:DWORD
	s_andn2_b64 s[2:3], s[2:3], exec
	s_and_b64 s[18:19], s[18:19], exec
	v_mov_b32_e32 v36, 0
	s_or_b64 s[2:3], s[2:3], s[18:19]
	s_or_b64 exec, exec, s[8:9]
	s_and_saveexec_b64 s[8:9], s[2:3]
	s_cbranch_execnz .LBB280_752
	s_branch .LBB280_753
.LBB280_1014:                           ;   in Loop: Header=BB280_521 Depth=1
	v_cmp_eq_u16_e64 s[2:3], s24, v16
	s_mov_b64 s[8:9], -1
                                        ; implicit-def: $sgpr22
	s_and_saveexec_b64 s[20:21], s[2:3]
; %bb.1015:                             ;   in Loop: Header=BB280_521 Depth=1
	s_mov_b32 s22, 0x7fc02000
	s_xor_b64 s[8:9], exec, -1
; %bb.1016:                             ;   in Loop: Header=BB280_521 Depth=1
	s_or_b64 exec, exec, s[20:21]
	s_and_b64 s[8:9], s[8:9], exec
	s_or_saveexec_b64 s[18:19], s[18:19]
	v_mov_b32_e32 v37, s22
	s_xor_b64 exec, exec, s[18:19]
	s_cbranch_execz .LBB280_755
.LBB280_1017:                           ;   in Loop: Header=BB280_521 Depth=1
	v_cmp_ne_u16_e64 s[2:3], 0, v16
	s_andn2_b64 s[8:9], s[8:9], exec
	s_and_b64 s[2:3], s[2:3], exec
	v_mov_b32_e32 v37, 0
	s_or_b64 s[8:9], s[8:9], s[2:3]
	s_or_b64 exec, exec, s[18:19]
	s_and_saveexec_b64 s[18:19], s[8:9]
	s_cbranch_execnz .LBB280_756
	s_branch .LBB280_757
.LBB280_1018:                           ;   in Loop: Header=BB280_521 Depth=1
	v_cmp_eq_u16_sdwa s[30:31], v28, s24 src0_sel:BYTE_0 src1_sel:DWORD
	s_mov_b64 s[2:3], -1
                                        ; implicit-def: $sgpr22
	s_and_saveexec_b64 s[20:21], s[30:31]
; %bb.1019:                             ;   in Loop: Header=BB280_521 Depth=1
	s_mov_b32 s22, 0x7fc02000
	s_xor_b64 s[2:3], exec, -1
; %bb.1020:                             ;   in Loop: Header=BB280_521 Depth=1
	s_or_b64 exec, exec, s[20:21]
	s_and_b64 s[2:3], s[2:3], exec
	s_or_saveexec_b64 s[18:19], s[18:19]
	v_mov_b32_e32 v30, s22
	s_xor_b64 exec, exec, s[18:19]
	s_cbranch_execz .LBB280_762
.LBB280_1021:                           ;   in Loop: Header=BB280_521 Depth=1
	v_cmp_ne_u16_sdwa s[20:21], v28, v17 src0_sel:BYTE_0 src1_sel:DWORD
	s_andn2_b64 s[2:3], s[2:3], exec
	s_and_b64 s[20:21], s[20:21], exec
	v_mov_b32_e32 v30, 0
	s_or_b64 s[2:3], s[2:3], s[20:21]
	s_or_b64 exec, exec, s[18:19]
	s_and_saveexec_b64 s[18:19], s[2:3]
	s_cbranch_execnz .LBB280_763
	s_branch .LBB280_764
.LBB280_1022:                           ;   in Loop: Header=BB280_521 Depth=1
	v_cmp_eq_u16_e64 s[2:3], s24, v16
	s_mov_b64 s[18:19], -1
                                        ; implicit-def: $sgpr30
	s_and_saveexec_b64 s[22:23], s[2:3]
; %bb.1023:                             ;   in Loop: Header=BB280_521 Depth=1
	s_mov_b32 s30, 0x7fc02000
	s_xor_b64 s[18:19], exec, -1
; %bb.1024:                             ;   in Loop: Header=BB280_521 Depth=1
	s_or_b64 exec, exec, s[22:23]
	s_and_b64 s[18:19], s[18:19], exec
	s_or_saveexec_b64 s[20:21], s[20:21]
	v_mov_b32_e32 v32, s30
	s_xor_b64 exec, exec, s[20:21]
	s_cbranch_execz .LBB280_766
.LBB280_1025:                           ;   in Loop: Header=BB280_521 Depth=1
	v_cmp_ne_u16_e64 s[2:3], 0, v16
	s_andn2_b64 s[18:19], s[18:19], exec
	s_and_b64 s[2:3], s[2:3], exec
	v_mov_b32_e32 v32, 0
	s_or_b64 s[18:19], s[18:19], s[2:3]
	s_or_b64 exec, exec, s[20:21]
	s_and_saveexec_b64 s[20:21], s[18:19]
	s_cbranch_execnz .LBB280_767
	s_branch .LBB280_768
.LBB280_1026:                           ;   in Loop: Header=BB280_521 Depth=1
	v_cmp_eq_u16_sdwa s[30:31], v16, s24 src0_sel:BYTE_0 src1_sel:DWORD
	s_mov_b64 s[2:3], -1
                                        ; implicit-def: $sgpr22
	s_and_saveexec_b64 s[20:21], s[30:31]
; %bb.1027:                             ;   in Loop: Header=BB280_521 Depth=1
	s_mov_b32 s22, 0x7fc02000
	s_xor_b64 s[2:3], exec, -1
; %bb.1028:                             ;   in Loop: Header=BB280_521 Depth=1
	s_or_b64 exec, exec, s[20:21]
	s_and_b64 s[2:3], s[2:3], exec
	s_or_saveexec_b64 s[18:19], s[18:19]
	v_mov_b32_e32 v31, s22
	s_xor_b64 exec, exec, s[18:19]
	s_cbranch_execz .LBB280_770
.LBB280_1029:                           ;   in Loop: Header=BB280_521 Depth=1
	v_cmp_ne_u16_sdwa s[20:21], v16, v17 src0_sel:BYTE_0 src1_sel:DWORD
	s_andn2_b64 s[2:3], s[2:3], exec
	s_and_b64 s[20:21], s[20:21], exec
	v_mov_b32_e32 v31, 0
	s_or_b64 s[2:3], s[2:3], s[20:21]
	s_or_b64 exec, exec, s[18:19]
	s_and_saveexec_b64 s[18:19], s[2:3]
	s_cbranch_execnz .LBB280_771
	s_branch .LBB280_772
.LBB280_1030:                           ;   in Loop: Header=BB280_521 Depth=1
	v_cmp_eq_u16_e64 s[2:3], s24, v16
	s_mov_b64 s[18:19], -1
                                        ; implicit-def: $sgpr30
	s_and_saveexec_b64 s[22:23], s[2:3]
; %bb.1031:                             ;   in Loop: Header=BB280_521 Depth=1
	s_mov_b32 s30, 0x7fc02000
	s_xor_b64 s[18:19], exec, -1
; %bb.1032:                             ;   in Loop: Header=BB280_521 Depth=1
	s_or_b64 exec, exec, s[22:23]
	s_and_b64 s[18:19], s[18:19], exec
	s_or_saveexec_b64 s[20:21], s[20:21]
	v_mov_b32_e32 v33, s30
	s_xor_b64 exec, exec, s[20:21]
	s_cbranch_execz .LBB280_774
.LBB280_1033:                           ;   in Loop: Header=BB280_521 Depth=1
	v_cmp_ne_u16_e64 s[2:3], 0, v16
	s_andn2_b64 s[18:19], s[18:19], exec
	s_and_b64 s[2:3], s[2:3], exec
	v_mov_b32_e32 v33, 0
	s_or_b64 s[18:19], s[18:19], s[2:3]
	s_or_b64 exec, exec, s[20:21]
	s_and_saveexec_b64 s[20:21], s[18:19]
	s_cbranch_execnz .LBB280_775
	s_branch .LBB280_776
.LBB280_1034:                           ;   in Loop: Header=BB280_521 Depth=1
	v_cmp_eq_u16_sdwa s[30:31], v29, s24 src0_sel:BYTE_0 src1_sel:DWORD
	s_mov_b64 s[2:3], -1
                                        ; implicit-def: $sgpr22
	s_and_saveexec_b64 s[20:21], s[30:31]
; %bb.1035:                             ;   in Loop: Header=BB280_521 Depth=1
	s_mov_b32 s22, 0x7fc02000
	s_xor_b64 s[2:3], exec, -1
; %bb.1036:                             ;   in Loop: Header=BB280_521 Depth=1
	s_or_b64 exec, exec, s[20:21]
	s_and_b64 s[2:3], s[2:3], exec
	s_or_saveexec_b64 s[18:19], s[18:19]
	v_mov_b32_e32 v0, s22
	s_xor_b64 exec, exec, s[18:19]
	s_cbranch_execz .LBB280_778
.LBB280_1037:                           ;   in Loop: Header=BB280_521 Depth=1
	v_cmp_ne_u16_sdwa s[20:21], v29, v17 src0_sel:BYTE_0 src1_sel:DWORD
	s_andn2_b64 s[2:3], s[2:3], exec
	s_and_b64 s[20:21], s[20:21], exec
	v_mov_b32_e32 v0, 0
	s_or_b64 s[2:3], s[2:3], s[20:21]
	s_or_b64 exec, exec, s[18:19]
	v_mov_b32_e32 v16, v29
	s_and_saveexec_b64 s[18:19], s[2:3]
	s_cbranch_execnz .LBB280_779
	s_branch .LBB280_780
.LBB280_1038:                           ;   in Loop: Header=BB280_521 Depth=1
	v_cmp_eq_u16_e64 s[2:3], s24, v16
	s_mov_b64 s[18:19], -1
                                        ; implicit-def: $sgpr30
	s_and_saveexec_b64 s[22:23], s[2:3]
; %bb.1039:                             ;   in Loop: Header=BB280_521 Depth=1
	s_mov_b32 s30, 0x7fc02000
	s_xor_b64 s[18:19], exec, -1
; %bb.1040:                             ;   in Loop: Header=BB280_521 Depth=1
	s_or_b64 exec, exec, s[22:23]
	s_and_b64 s[18:19], s[18:19], exec
	s_or_saveexec_b64 s[20:21], s[20:21]
	v_mov_b32_e32 v1, s30
	s_xor_b64 exec, exec, s[20:21]
	s_cbranch_execz .LBB280_782
.LBB280_1041:                           ;   in Loop: Header=BB280_521 Depth=1
	v_cmp_ne_u16_e64 s[2:3], 0, v16
	s_andn2_b64 s[18:19], s[18:19], exec
	s_and_b64 s[2:3], s[2:3], exec
	v_mov_b32_e32 v1, 0
	s_or_b64 s[18:19], s[18:19], s[2:3]
	s_or_b64 exec, exec, s[20:21]
	s_and_saveexec_b64 s[20:21], s[18:19]
	s_cbranch_execnz .LBB280_783
	s_branch .LBB280_784
.LBB280_1042:                           ;   in Loop: Header=BB280_521 Depth=1
	v_cmp_eq_u16_sdwa s[30:31], v16, s24 src0_sel:BYTE_0 src1_sel:DWORD
	s_mov_b64 s[2:3], -1
                                        ; implicit-def: $sgpr22
	s_and_saveexec_b64 s[20:21], s[30:31]
; %bb.1043:                             ;   in Loop: Header=BB280_521 Depth=1
	s_mov_b32 s22, 0x7fc02000
	s_xor_b64 s[2:3], exec, -1
; %bb.1044:                             ;   in Loop: Header=BB280_521 Depth=1
	s_or_b64 exec, exec, s[20:21]
	s_and_b64 s[2:3], s[2:3], exec
	s_or_saveexec_b64 s[18:19], s[18:19]
	v_mov_b32_e32 v18, s22
	s_xor_b64 exec, exec, s[18:19]
	s_cbranch_execz .LBB280_786
.LBB280_1045:                           ;   in Loop: Header=BB280_521 Depth=1
	v_cmp_ne_u16_sdwa s[20:21], v16, v17 src0_sel:BYTE_0 src1_sel:DWORD
	s_andn2_b64 s[2:3], s[2:3], exec
	s_and_b64 s[20:21], s[20:21], exec
	v_mov_b32_e32 v18, 0
	s_or_b64 s[2:3], s[2:3], s[20:21]
	s_or_b64 exec, exec, s[18:19]
	s_and_saveexec_b64 s[18:19], s[2:3]
	s_cbranch_execnz .LBB280_787
	s_branch .LBB280_788
.LBB280_1046:                           ;   in Loop: Header=BB280_521 Depth=1
	v_cmp_eq_u16_e64 s[2:3], s24, v16
	s_mov_b64 s[18:19], -1
                                        ; implicit-def: $sgpr30
	s_and_saveexec_b64 s[22:23], s[2:3]
; %bb.1047:                             ;   in Loop: Header=BB280_521 Depth=1
	s_mov_b32 s30, 0x7fc02000
	s_xor_b64 s[18:19], exec, -1
; %bb.1048:                             ;   in Loop: Header=BB280_521 Depth=1
	s_or_b64 exec, exec, s[22:23]
	s_and_b64 s[18:19], s[18:19], exec
	s_or_saveexec_b64 s[20:21], s[20:21]
	v_mov_b32_e32 v23, s30
	s_xor_b64 exec, exec, s[20:21]
	s_cbranch_execz .LBB280_790
.LBB280_1049:                           ;   in Loop: Header=BB280_521 Depth=1
	v_cmp_ne_u16_e64 s[2:3], 0, v16
	s_andn2_b64 s[18:19], s[18:19], exec
	s_and_b64 s[2:3], s[2:3], exec
	v_mov_b32_e32 v23, 0
	s_or_b64 s[18:19], s[18:19], s[2:3]
	s_or_b64 exec, exec, s[20:21]
	s_and_saveexec_b64 s[20:21], s[18:19]
	s_cbranch_execnz .LBB280_791
	s_branch .LBB280_792
.LBB280_1050:
	s_or_b64 exec, exec, s[6:7]
.LBB280_1051:
	s_or_b64 exec, exec, s[4:5]
	ds_bpermute_b32 v6, v19, v8
	ds_bpermute_b32 v7, v19, v9
	;; [unrolled: 1-line block ×6, first 2 shown]
	s_waitcnt lgkmcnt(4)
	v_pk_add_f32 v[6:7], v[8:9], v[6:7]
	ds_bpermute_b32 v8, v19, v4
	ds_bpermute_b32 v9, v19, v5
	s_waitcnt lgkmcnt(4)
	v_pk_add_f32 v[0:1], v[20:21], v[0:1]
	ds_bpermute_b32 v10, v49, v0
	ds_bpermute_b32 v11, v49, v1
	s_waitcnt lgkmcnt(4)
	v_pk_add_f32 v[2:3], v[2:3], v[14:15]
	s_waitcnt lgkmcnt(2)
	v_pk_add_f32 v[4:5], v[4:5], v[8:9]
	ds_bpermute_b32 v12, v49, v6
	ds_bpermute_b32 v13, v49, v7
	;; [unrolled: 1-line block ×6, first 2 shown]
	s_waitcnt lgkmcnt(6)
	v_pk_add_f32 v[8:9], v[0:1], v[10:11]
	v_accvgpr_read_b32 v1, a2
	v_and_b32_e32 v0, 0x3c0, v1
	s_waitcnt lgkmcnt(4)
	v_pk_add_f32 v[6:7], v[6:7], v[12:13]
	s_waitcnt lgkmcnt(2)
	v_pk_add_f32 v[4:5], v[4:5], v[16:17]
	s_waitcnt lgkmcnt(0)
	v_pk_add_f32 v[2:3], v[2:3], v[14:15]
	v_cmp_eq_u32_e32 vcc, 64, v0
	s_barrier
	s_and_saveexec_b64 s[2:3], vcc
	s_cbranch_execz .LBB280_1056
; %bb.1052:
	v_cmp_eq_u32_e32 vcc, 0, v50
	s_and_saveexec_b64 s[0:1], vcc
	s_cbranch_execz .LBB280_1054
; %bb.1053:
	s_ashr_i32 s17, s16, 31
	s_lshl_b64 s[4:5], s[16:17], 2
	s_getpc_b64 s[6:7]
	s_add_u32 s6, s6, llvm.amdgcn.dynlds.offset.table@rel32@lo+4
	s_addc_u32 s7, s7, llvm.amdgcn.dynlds.offset.table@rel32@hi+12
	s_add_u32 s4, s4, s6
	s_addc_u32 s5, s5, s7
	s_load_dword s4, s[4:5], 0x0
	s_waitcnt lgkmcnt(0)
	v_lshl_add_u32 v0, v51, 2, s4
	ds_write2_b32 v0, v8, v9 offset1:16
	ds_write2_b32 v0, v6, v7 offset0:32 offset1:48
	ds_write2_b32 v0, v4, v5 offset0:64 offset1:80
	ds_write_b32 v0, v2 offset:384
.LBB280_1054:
	s_or_b64 exec, exec, s[0:1]
	v_or_b32_e32 v0, 0x70, v51
	s_movk_i32 s0, 0x78
	v_cmp_gt_u32_e64 s[0:1], s0, v0
	s_and_b64 s[0:1], vcc, s[0:1]
	s_and_b64 exec, exec, s[0:1]
	s_cbranch_execz .LBB280_1056
; %bb.1055:
	s_ashr_i32 s17, s16, 31
	s_lshl_b64 s[0:1], s[16:17], 2
	s_getpc_b64 s[4:5]
	s_add_u32 s4, s4, llvm.amdgcn.dynlds.offset.table@rel32@lo+4
	s_addc_u32 s5, s5, llvm.amdgcn.dynlds.offset.table@rel32@hi+12
	s_add_u32 s0, s0, s4
	s_addc_u32 s1, s1, s5
	s_load_dword s0, s[0:1], 0x0
	s_waitcnt lgkmcnt(0)
	v_lshl_add_u32 v0, v51, 2, s0
	ds_write_b32 v0, v3 offset:448
.LBB280_1056:
	s_or_b64 exec, exec, s[2:3]
	v_cmp_gt_u32_e32 vcc, 64, v1
	v_lshrrev_b32_e32 v12, 2, v1
	s_waitcnt lgkmcnt(0)
	s_barrier
	s_and_saveexec_b64 s[4:5], vcc
	s_cbranch_execz .LBB280_1068
; %bb.1057:
	v_cmp_eq_u32_e64 s[0:1], 0, v50
	s_and_saveexec_b64 s[2:3], s[0:1]
	s_cbranch_execnz .LBB280_1074
; %bb.1058:
	s_or_b64 exec, exec, s[2:3]
	s_and_saveexec_b64 s[2:3], s[0:1]
	s_cbranch_execnz .LBB280_1075
.LBB280_1059:
	s_or_b64 exec, exec, s[2:3]
	s_and_saveexec_b64 s[2:3], s[0:1]
	s_cbranch_execnz .LBB280_1076
.LBB280_1060:
	s_or_b64 exec, exec, s[2:3]
	s_and_saveexec_b64 s[2:3], s[0:1]
	s_cbranch_execnz .LBB280_1077
.LBB280_1061:
	s_or_b64 exec, exec, s[2:3]
	s_and_saveexec_b64 s[2:3], s[0:1]
	s_cbranch_execnz .LBB280_1078
.LBB280_1062:
	s_or_b64 exec, exec, s[2:3]
	s_and_saveexec_b64 s[2:3], s[0:1]
	s_cbranch_execnz .LBB280_1079
.LBB280_1063:
	s_or_b64 exec, exec, s[2:3]
	s_and_saveexec_b64 s[2:3], s[0:1]
	s_cbranch_execz .LBB280_1065
.LBB280_1064:
	s_ashr_i32 s17, s16, 31
	s_lshl_b64 s[6:7], s[16:17], 2
	s_getpc_b64 s[8:9]
	s_add_u32 s8, s8, llvm.amdgcn.dynlds.offset.table@rel32@lo+4
	s_addc_u32 s9, s9, llvm.amdgcn.dynlds.offset.table@rel32@hi+12
	s_add_u32 s6, s6, s8
	s_addc_u32 s7, s7, s9
	s_load_dword s6, s[6:7], 0x0
	s_waitcnt lgkmcnt(0)
	v_lshl_add_u32 v0, v12, 2, s6
	ds_read_b32 v0, v0 offset:384
	s_waitcnt lgkmcnt(0)
	v_add_f32_e32 v2, v2, v0
.LBB280_1065:
	s_or_b64 exec, exec, s[2:3]
	v_or_b32_e32 v0, 0x70, v12
	s_movk_i32 s2, 0x78
	v_cmp_gt_u32_e64 s[2:3], s2, v0
	s_and_b64 s[2:3], s[0:1], s[2:3]
	s_and_saveexec_b64 s[0:1], s[2:3]
	s_cbranch_execz .LBB280_1067
; %bb.1066:
	s_ashr_i32 s17, s16, 31
	s_lshl_b64 s[2:3], s[16:17], 2
	s_getpc_b64 s[6:7]
	s_add_u32 s6, s6, llvm.amdgcn.dynlds.offset.table@rel32@lo+4
	s_addc_u32 s7, s7, llvm.amdgcn.dynlds.offset.table@rel32@hi+12
	s_add_u32 s2, s2, s6
	s_addc_u32 s3, s3, s7
	s_load_dword s2, s[2:3], 0x0
	s_waitcnt lgkmcnt(0)
	v_lshl_add_u32 v0, v12, 2, s2
	ds_read_b32 v0, v0 offset:448
	s_waitcnt lgkmcnt(0)
	v_add_f32_e32 v3, v3, v0
.LBB280_1067:
	s_or_b64 exec, exec, s[0:1]
.LBB280_1068:
	s_or_b64 exec, exec, s[4:5]
	s_barrier
	s_and_saveexec_b64 s[2:3], vcc
	s_cbranch_execz .LBB280_1073
; %bb.1069:
	v_cmp_ne_u16_e64 s[0:1], s15, 0
	s_cmp_lg_u64 s[0:1], 0
	s_addc_u32 s5, s13, 0
	s_mul_i32 s0, s5, s10
	s_mul_i32 s0, s0, s11
	s_mulk_i32 s0, 0x78
	s_mul_i32 s6, s12, s5
	s_mul_i32 s8, s14, 0x78
	s_ashr_i32 s1, s0, 31
	s_ashr_i32 s7, s6, 31
	;; [unrolled: 1-line block ×3, first 2 shown]
	s_lshl_b64 s[0:1], s[0:1], 1
	s_lshl_b64 s[6:7], s[6:7], 1
	;; [unrolled: 1-line block ×3, first 2 shown]
	s_add_u32 s5, s8, s6
	s_addc_u32 s6, s9, s7
	s_add_u32 s0, s5, s0
	v_accvgpr_read_b32 v0, a0
	s_addc_u32 s1, s6, s1
	v_accvgpr_read_b32 v1, a1
	s_movk_i32 s4, 0x78
	v_lshl_add_u64 v[0:1], s[0:1], 0, v[0:1]
	v_cmp_eq_u32_e32 vcc, 0, v50
	v_lshlrev_b32_e32 v10, 1, v12
	s_and_saveexec_b64 s[0:1], vcc
	s_cbranch_execz .LBB280_1071
; %bb.1070:
	v_mov_b32_e32 v11, 0
	v_lshl_add_u64 v[14:15], v[0:1], 0, v[10:11]
	;;#ASMSTART
	v_cvt_f16_f32 v8, v8;

	;;#ASMEND
	flat_store_short v[14:15], v8
	;;#ASMSTART
	v_cvt_f16_f32 v8, v9;

	;;#ASMEND
	flat_store_short v[14:15], v8 offset:32
	;;#ASMSTART
	v_cvt_f16_f32 v6, v6;

	;;#ASMEND
	flat_store_short v[14:15], v6 offset:64
	;; [unrolled: 5-line block ×6, first 2 shown]
.LBB280_1071:
	s_or_b64 exec, exec, s[0:1]
	v_or_b32_e32 v2, 0x70, v12
	v_cmp_gt_u32_e64 s[0:1], s4, v2
	s_and_b64 s[0:1], vcc, s[0:1]
	s_and_b64 exec, exec, s[0:1]
	s_cbranch_execz .LBB280_1073
; %bb.1072:
	v_mov_b32_e32 v11, 0
	v_lshl_add_u64 v[0:1], v[0:1], 0, v[10:11]
	;;#ASMSTART
	v_cvt_f16_f32 v2, v3;

	;;#ASMEND
	flat_store_short v[0:1], v2 offset:224
.LBB280_1073:
	s_or_b64 exec, exec, s[2:3]
	scratch_load_dword a41, off, s32        ; 4-byte Folded Reload
	scratch_load_dword a40, off, s32 offset:4 ; 4-byte Folded Reload
	scratch_load_dword a39, off, s32 offset:8 ; 4-byte Folded Reload
	;; [unrolled: 1-line block ×24, first 2 shown]
	v_readlane_b32 s30, v63, 0
	v_readlane_b32 s31, v63, 1
	s_or_saveexec_b64 s[0:1], -1
	scratch_load_dword v63, off, s32 offset:120 ; 4-byte Folded Reload
	s_mov_b64 exec, s[0:1]
	s_waitcnt vmcnt(0) lgkmcnt(0)
	s_setpc_b64 s[30:31]
.LBB280_1074:
	s_ashr_i32 s17, s16, 31
	s_lshl_b64 s[6:7], s[16:17], 2
	s_getpc_b64 s[8:9]
	s_add_u32 s8, s8, llvm.amdgcn.dynlds.offset.table@rel32@lo+4
	s_addc_u32 s9, s9, llvm.amdgcn.dynlds.offset.table@rel32@hi+12
	s_add_u32 s6, s6, s8
	s_addc_u32 s7, s7, s9
	s_load_dword s6, s[6:7], 0x0
	s_waitcnt lgkmcnt(0)
	v_lshl_add_u32 v0, v12, 2, s6
	ds_read_b32 v0, v0
	s_waitcnt lgkmcnt(0)
	v_add_f32_e32 v8, v8, v0
	s_or_b64 exec, exec, s[2:3]
	s_and_saveexec_b64 s[2:3], s[0:1]
	s_cbranch_execz .LBB280_1059
.LBB280_1075:
	s_ashr_i32 s17, s16, 31
	s_lshl_b64 s[6:7], s[16:17], 2
	s_getpc_b64 s[8:9]
	s_add_u32 s8, s8, llvm.amdgcn.dynlds.offset.table@rel32@lo+4
	s_addc_u32 s9, s9, llvm.amdgcn.dynlds.offset.table@rel32@hi+12
	s_add_u32 s6, s6, s8
	s_addc_u32 s7, s7, s9
	s_load_dword s6, s[6:7], 0x0
	s_waitcnt lgkmcnt(0)
	v_lshl_add_u32 v0, v12, 2, s6
	ds_read_b32 v0, v0 offset:64
	s_waitcnt lgkmcnt(0)
	v_add_f32_e32 v9, v9, v0
	s_or_b64 exec, exec, s[2:3]
	s_and_saveexec_b64 s[2:3], s[0:1]
	s_cbranch_execz .LBB280_1060
.LBB280_1076:
	s_ashr_i32 s17, s16, 31
	s_lshl_b64 s[6:7], s[16:17], 2
	s_getpc_b64 s[8:9]
	s_add_u32 s8, s8, llvm.amdgcn.dynlds.offset.table@rel32@lo+4
	s_addc_u32 s9, s9, llvm.amdgcn.dynlds.offset.table@rel32@hi+12
	s_add_u32 s6, s6, s8
	s_addc_u32 s7, s7, s9
	s_load_dword s6, s[6:7], 0x0
	s_waitcnt lgkmcnt(0)
	v_lshl_add_u32 v0, v12, 2, s6
	ds_read_b32 v0, v0 offset:128
	s_waitcnt lgkmcnt(0)
	v_add_f32_e32 v6, v6, v0
	s_or_b64 exec, exec, s[2:3]
	s_and_saveexec_b64 s[2:3], s[0:1]
	s_cbranch_execz .LBB280_1061
.LBB280_1077:
	s_ashr_i32 s17, s16, 31
	s_lshl_b64 s[6:7], s[16:17], 2
	s_getpc_b64 s[8:9]
	s_add_u32 s8, s8, llvm.amdgcn.dynlds.offset.table@rel32@lo+4
	s_addc_u32 s9, s9, llvm.amdgcn.dynlds.offset.table@rel32@hi+12
	s_add_u32 s6, s6, s8
	s_addc_u32 s7, s7, s9
	s_load_dword s6, s[6:7], 0x0
	s_waitcnt lgkmcnt(0)
	v_lshl_add_u32 v0, v12, 2, s6
	ds_read_b32 v0, v0 offset:192
	s_waitcnt lgkmcnt(0)
	v_add_f32_e32 v7, v7, v0
	s_or_b64 exec, exec, s[2:3]
	s_and_saveexec_b64 s[2:3], s[0:1]
	s_cbranch_execz .LBB280_1062
.LBB280_1078:
	s_ashr_i32 s17, s16, 31
	s_lshl_b64 s[6:7], s[16:17], 2
	s_getpc_b64 s[8:9]
	s_add_u32 s8, s8, llvm.amdgcn.dynlds.offset.table@rel32@lo+4
	s_addc_u32 s9, s9, llvm.amdgcn.dynlds.offset.table@rel32@hi+12
	s_add_u32 s6, s6, s8
	s_addc_u32 s7, s7, s9
	s_load_dword s6, s[6:7], 0x0
	s_waitcnt lgkmcnt(0)
	v_lshl_add_u32 v0, v12, 2, s6
	ds_read_b32 v0, v0 offset:256
	s_waitcnt lgkmcnt(0)
	v_add_f32_e32 v4, v4, v0
	s_or_b64 exec, exec, s[2:3]
	s_and_saveexec_b64 s[2:3], s[0:1]
	s_cbranch_execz .LBB280_1063
.LBB280_1079:
	s_ashr_i32 s17, s16, 31
	s_lshl_b64 s[6:7], s[16:17], 2
	s_getpc_b64 s[8:9]
	s_add_u32 s8, s8, llvm.amdgcn.dynlds.offset.table@rel32@lo+4
	s_addc_u32 s9, s9, llvm.amdgcn.dynlds.offset.table@rel32@hi+12
	s_add_u32 s6, s6, s8
	s_addc_u32 s7, s7, s9
	s_load_dword s6, s[6:7], 0x0
	s_waitcnt lgkmcnt(0)
	v_lshl_add_u32 v0, v12, 2, s6
	ds_read_b32 v0, v0 offset:320
	s_waitcnt lgkmcnt(0)
	v_add_f32_e32 v5, v5, v0
	s_or_b64 exec, exec, s[2:3]
	s_and_saveexec_b64 s[2:3], s[0:1]
	s_cbranch_execnz .LBB280_1064
	s_branch .LBB280_1065
.Lfunc_end280:
	.size	_ZN4vllm22paged_attention_kernelIthLi120ELi32ELi128ELNS_18Fp8KVCacheDataTypeE1ELb0ELi0EEEvPfS2_PT_PKS3_PKT0_S9_ifPKiSB_iPKfiiiSD_SD_iiiii, .Lfunc_end280-_ZN4vllm22paged_attention_kernelIthLi120ELi32ELi128ELNS_18Fp8KVCacheDataTypeE1ELb0ELi0EEEvPfS2_PT_PKS3_PKT0_S9_ifPKiSB_iPKfiiiSD_SD_iiiii
                                        ; -- End function
	.section	.AMDGPU.csdata,"",@progbits
; Function info:
; codeLenInByte = 44808
; NumSgprs: 39
; NumVgprs: 64
; NumAgprs: 42
; TotalNumVgprs: 106
; ScratchSize: 128
; MemoryBound: 0
	.section	.text._ZN4vllm25paged_attention_v1_kernelIthLi120ELi32ELi128ELNS_18Fp8KVCacheDataTypeE1ELb0EEEvPT_PKS2_PKT0_S8_ifPKiSA_iPKfiiiSC_SC_iiiii,"axG",@progbits,_ZN4vllm25paged_attention_v1_kernelIthLi120ELi32ELi128ELNS_18Fp8KVCacheDataTypeE1ELb0EEEvPT_PKS2_PKT0_S8_ifPKiSA_iPKfiiiSC_SC_iiiii,comdat
	.protected	_ZN4vllm25paged_attention_v1_kernelIthLi120ELi32ELi128ELNS_18Fp8KVCacheDataTypeE1ELb0EEEvPT_PKS2_PKT0_S8_ifPKiSA_iPKfiiiSC_SC_iiiii ; -- Begin function _ZN4vllm25paged_attention_v1_kernelIthLi120ELi32ELi128ELNS_18Fp8KVCacheDataTypeE1ELb0EEEvPT_PKS2_PKT0_S8_ifPKiSA_iPKfiiiSC_SC_iiiii
	.globl	_ZN4vllm25paged_attention_v1_kernelIthLi120ELi32ELi128ELNS_18Fp8KVCacheDataTypeE1ELb0EEEvPT_PKS2_PKT0_S8_ifPKiSA_iPKfiiiSC_SC_iiiii
	.p2align	8
	.type	_ZN4vllm25paged_attention_v1_kernelIthLi120ELi32ELi128ELNS_18Fp8KVCacheDataTypeE1ELb0EEEvPT_PKS2_PKT0_S8_ifPKiSA_iPKfiiiSC_SC_iiiii,@function
_ZN4vllm25paged_attention_v1_kernelIthLi120ELi32ELi128ELNS_18Fp8KVCacheDataTypeE1ELb0EEEvPT_PKS2_PKT0_S8_ifPKiSA_iPKfiiiSC_SC_iiiii: ; @_ZN4vllm25paged_attention_v1_kernelIthLi120ELi32ELi128ELNS_18Fp8KVCacheDataTypeE1ELb0EEEvPT_PKS2_PKT0_S8_ifPKiSA_iPKfiiiSC_SC_iiiii
; %bb.0:
	s_load_dwordx8 s[16:23], s[0:1], 0x0
	s_load_dwordx4 s[36:39], s[0:1], 0x20
	s_load_dwordx2 s[6:7], s[0:1], 0x30
	s_load_dword s5, s[0:1], 0x38
	s_load_dwordx2 s[10:11], s[0:1], 0x40
	s_load_dwordx8 s[24:31], s[0:1], 0x48
	s_add_u32 s8, s0, 0x80
	s_addc_u32 s9, s1, 0
	s_mov_b32 s12, s2
	s_mov_b32 s13, s3
	;; [unrolled: 1-line block ×4, first 2 shown]
	v_mov_b32_e32 v31, v0
	s_waitcnt lgkmcnt(0)
	v_mov_b32_e32 v0, s16
	v_mov_b32_e32 v1, s17
	;; [unrolled: 1-line block ×24, first 2 shown]
	s_mov_b32 s32, 0
	s_getpc_b64 s[0:1]
	s_add_u32 s0, s0, _ZN4vllm22paged_attention_kernelIthLi120ELi32ELi128ELNS_18Fp8KVCacheDataTypeE1ELb0ELi0EEEvPfS2_PT_PKS3_PKT0_S9_ifPKiSB_iPKfiiiSD_SD_iiiii@rel32@lo+4
	s_addc_u32 s1, s1, _ZN4vllm22paged_attention_kernelIthLi120ELi32ELi128ELNS_18Fp8KVCacheDataTypeE1ELb0ELi0EEEvPfS2_PT_PKS3_PKT0_S9_ifPKiSB_iPKfiiiSD_SD_iiiii@rel32@hi+12
	s_swappc_b64 s[30:31], s[0:1]
	s_endpgm
	.section	.rodata,"a",@progbits
	.p2align	6, 0x0
	.amdhsa_kernel _ZN4vllm25paged_attention_v1_kernelIthLi120ELi32ELi128ELNS_18Fp8KVCacheDataTypeE1ELb0EEEvPT_PKS2_PKT0_S8_ifPKiSA_iPKfiiiSC_SC_iiiii
		.amdhsa_group_segment_fixed_size 256
		.amdhsa_private_segment_fixed_size 128
		.amdhsa_kernarg_size 384
		.amdhsa_user_sgpr_count 2
		.amdhsa_user_sgpr_dispatch_ptr 0
		.amdhsa_user_sgpr_queue_ptr 0
		.amdhsa_user_sgpr_kernarg_segment_ptr 1
		.amdhsa_user_sgpr_dispatch_id 0
		.amdhsa_user_sgpr_kernarg_preload_length 0
		.amdhsa_user_sgpr_kernarg_preload_offset 0
		.amdhsa_user_sgpr_private_segment_size 0
		.amdhsa_uses_dynamic_stack 0
		.amdhsa_enable_private_segment 1
		.amdhsa_system_sgpr_workgroup_id_x 1
		.amdhsa_system_sgpr_workgroup_id_y 1
		.amdhsa_system_sgpr_workgroup_id_z 1
		.amdhsa_system_sgpr_workgroup_info 0
		.amdhsa_system_vgpr_workitem_id 0
		.amdhsa_next_free_vgpr 106
		.amdhsa_next_free_sgpr 40
		.amdhsa_accum_offset 64
		.amdhsa_reserve_vcc 1
		.amdhsa_float_round_mode_32 0
		.amdhsa_float_round_mode_16_64 0
		.amdhsa_float_denorm_mode_32 3
		.amdhsa_float_denorm_mode_16_64 3
		.amdhsa_dx10_clamp 1
		.amdhsa_ieee_mode 1
		.amdhsa_fp16_overflow 0
		.amdhsa_tg_split 0
		.amdhsa_exception_fp_ieee_invalid_op 0
		.amdhsa_exception_fp_denorm_src 0
		.amdhsa_exception_fp_ieee_div_zero 0
		.amdhsa_exception_fp_ieee_overflow 0
		.amdhsa_exception_fp_ieee_underflow 0
		.amdhsa_exception_fp_ieee_inexact 0
		.amdhsa_exception_int_div_zero 0
	.end_amdhsa_kernel
	.section	.text._ZN4vllm25paged_attention_v1_kernelIthLi120ELi32ELi128ELNS_18Fp8KVCacheDataTypeE1ELb0EEEvPT_PKS2_PKT0_S8_ifPKiSA_iPKfiiiSC_SC_iiiii,"axG",@progbits,_ZN4vllm25paged_attention_v1_kernelIthLi120ELi32ELi128ELNS_18Fp8KVCacheDataTypeE1ELb0EEEvPT_PKS2_PKT0_S8_ifPKiSA_iPKfiiiSC_SC_iiiii,comdat
.Lfunc_end281:
	.size	_ZN4vllm25paged_attention_v1_kernelIthLi120ELi32ELi128ELNS_18Fp8KVCacheDataTypeE1ELb0EEEvPT_PKS2_PKT0_S8_ifPKiSA_iPKfiiiSC_SC_iiiii, .Lfunc_end281-_ZN4vllm25paged_attention_v1_kernelIthLi120ELi32ELi128ELNS_18Fp8KVCacheDataTypeE1ELb0EEEvPT_PKS2_PKT0_S8_ifPKiSA_iPKfiiiSC_SC_iiiii
                                        ; -- End function
	.section	.AMDGPU.csdata,"",@progbits
; Kernel info:
; codeLenInByte = 212
; NumSgprs: 46
; NumVgprs: 64
; NumAgprs: 42
; TotalNumVgprs: 106
; ScratchSize: 128
; MemoryBound: 0
; FloatMode: 240
; IeeeMode: 1
; LDSByteSize: 256 bytes/workgroup (compile time only)
; SGPRBlocks: 5
; VGPRBlocks: 13
; NumSGPRsForWavesPerEU: 46
; NumVGPRsForWavesPerEU: 106
; AccumOffset: 64
; Occupancy: 4
; WaveLimiterHint : 1
; COMPUTE_PGM_RSRC2:SCRATCH_EN: 1
; COMPUTE_PGM_RSRC2:USER_SGPR: 2
; COMPUTE_PGM_RSRC2:TRAP_HANDLER: 0
; COMPUTE_PGM_RSRC2:TGID_X_EN: 1
; COMPUTE_PGM_RSRC2:TGID_Y_EN: 1
; COMPUTE_PGM_RSRC2:TGID_Z_EN: 1
; COMPUTE_PGM_RSRC2:TIDIG_COMP_CNT: 0
; COMPUTE_PGM_RSRC3_GFX90A:ACCUM_OFFSET: 15
; COMPUTE_PGM_RSRC3_GFX90A:TG_SPLIT: 0
	.text
	.p2align	2                               ; -- Begin function _ZN4vllm22paged_attention_kernelIthLi128ELi32ELi128ELNS_18Fp8KVCacheDataTypeE1ELb0ELi0EEEvPfS2_PT_PKS3_PKT0_S9_ifPKiSB_iPKfiiiSD_SD_iiiii
	.type	_ZN4vllm22paged_attention_kernelIthLi128ELi32ELi128ELNS_18Fp8KVCacheDataTypeE1ELb0ELi0EEEvPfS2_PT_PKS3_PKT0_S9_ifPKiSB_iPKfiiiSD_SD_iiiii,@function
_ZN4vllm22paged_attention_kernelIthLi128ELi32ELi128ELNS_18Fp8KVCacheDataTypeE1ELb0ELi0EEEvPfS2_PT_PKS3_PKT0_S9_ifPKiSB_iPKfiiiSD_SD_iiiii: ; @_ZN4vllm22paged_attention_kernelIthLi128ELi32ELi128ELNS_18Fp8KVCacheDataTypeE1ELb0ELi0EEEvPfS2_PT_PKS3_PKT0_S9_ifPKiSB_iPKfiiiSD_SD_iiiii
; %bb.0:
	s_waitcnt vmcnt(0) expcnt(0) lgkmcnt(0)
	scratch_store_dword off, v40, s32 offset:116 ; 4-byte Folded Spill
	scratch_store_dword off, v41, s32 offset:112 ; 4-byte Folded Spill
	;; [unrolled: 1-line block ×29, first 2 shown]
	scratch_store_dword off, a45, s32       ; 4-byte Folded Spill
	s_mov_b32 s10, s13
	v_accvgpr_write_b32 a0, v0
	s_ashr_i32 s11, s13, 31
	v_accvgpr_write_b32 a1, v1
	v_lshl_add_u64 v[0:1], s[10:11], 2, v[12:13]
	flat_load_dword a8, v[0:1]
	v_sub_u32_e32 v0, 0, v8
	v_max_i32_e32 v0, v8, v0
	v_cvt_f32_u32_e32 v1, v0
	s_load_dword s0, s[8:9], 0x10
	s_load_dword s2, s[8:9], 0x0
	v_accvgpr_write_b32 a4, v22
	v_accvgpr_write_b32 a5, v23
	v_rcp_iflag_f32_e32 v1, v1
	s_waitcnt lgkmcnt(0)
	s_lshr_b32 s0, s0, 16
	s_cmp_lg_u32 s0, 0
	v_mov_b32_e32 v23, v7
	v_mul_f32_e32 v1, 0x4f7ffffe, v1
	v_cvt_u32_f32_e32 v1, v1
	s_cselect_b64 s[0:1], -1, 0
	v_sub_u32_e32 v7, 0, v0
	s_cmp_lg_u64 s[0:1], 0
	v_mul_lo_u32 v7, v7, v1
	s_addc_u32 s11, s2, 0
	v_mul_hi_u32 v7, v1, v7
	s_abs_i32 s0, s11
	v_add_u32_e32 v1, v1, v7
	v_mul_hi_u32 v1, s0, v1
	v_mul_lo_u32 v7, v1, v0
	v_sub_u32_e32 v7, s0, v7
	v_mov_b32_e32 v22, v6
	v_xor_b32_e32 v6, s11, v8
	v_add_u32_e32 v8, 1, v1
	v_cmp_ge_u32_e32 vcc, v7, v0
	v_ashrrev_i32_e32 v6, 31, v6
	v_mov_b32_e32 v25, v16
	v_cndmask_b32_e32 v1, v1, v8, vcc
	v_sub_u32_e32 v8, v7, v0
	v_cndmask_b32_e32 v7, v7, v8, vcc
	v_add_u32_e32 v8, 1, v1
	v_cmp_ge_u32_e32 vcc, v7, v0
	v_mov_b32_e32 v24, v15
	v_accvgpr_write_b32 a20, v20
	v_cndmask_b32_e32 v0, v1, v8, vcc
	v_xor_b32_e32 v0, v0, v6
	v_sub_u32_e32 v1, v0, v6
	v_sub_u32_e32 v0, 0, v1
	v_max_i32_e32 v0, v1, v0
	v_cvt_f32_u32_e32 v6, v0
	v_sub_u32_e32 v7, 0, v0
	s_abs_i32 s2, s12
	v_accvgpr_write_b32 a21, v21
	v_rcp_iflag_f32_e32 v6, v6
	v_accvgpr_write_b32 a6, v18
	v_accvgpr_write_b32 a15, v9
	s_mov_b32 s16, s15
	v_mul_f32_e32 v6, 0x4f7ffffe, v6
	v_cvt_u32_f32_e32 v6, v6
	v_cmp_ne_u64_e32 vcc, 0, v[24:25]
	v_mul_lo_u32 v7, v7, v6
	v_mul_hi_u32 v7, v6, v7
	v_add_u32_e32 v6, v6, v7
	v_mad_u64_u32 v[26:27], s[0:1], s2, v6, 0
	v_mov_b32_e32 v6, 0
	scratch_store_dword off, v6, s32 offset:136 ; 4-byte Folded Spill
	s_and_saveexec_b64 s[0:1], vcc
	s_cbranch_execz .LBB282_2
; %bb.1:
	s_ashr_i32 s13, s12, 31
	v_lshl_add_u64 v[6:7], s[12:13], 2, v[24:25]
	flat_load_dword v6, v[6:7]
	s_waitcnt vmcnt(0) lgkmcnt(0)
	scratch_store_dword off, v6, s32 offset:136 ; 4-byte Folded Spill
.LBB282_2:
	s_or_b64 exec, exec, s[0:1]
	v_and_b32_e32 v18, 0x3ff, v31
	s_ashr_i32 s3, s12, 31
	v_ashrrev_i32_e32 v6, 31, v1
	v_and_b32_e32 v1, 1, v18
	s_lshl_b32 s12, s12, 7
	v_cmp_gt_u32_e32 vcc, 32, v18
	v_lshlrev_b32_e32 v28, 3, v18
	s_and_saveexec_b64 s[0:1], vcc
	s_cbranch_execz .LBB282_4
; %bb.3:
	v_mul_lo_u32 v8, s10, v17
	v_ashrrev_i32_e32 v9, 31, v8
	v_lshl_add_u64 v[2:3], v[8:9], 1, v[2:3]
	s_ashr_i32 s13, s12, 31
	v_lshl_add_u64 v[2:3], s[12:13], 1, v[2:3]
	v_mov_b32_e32 v29, 0
	v_lshl_add_u64 v[2:3], v[2:3], 0, v[28:29]
	flat_load_dwordx2 v[2:3], v[2:3]
	v_lshlrev_b32_e32 v7, 2, v18
	v_and_b32_e32 v7, 0xff8, v7
	v_lshl_add_u32 v7, v1, 7, v7
	s_waitcnt vmcnt(0) lgkmcnt(0)
	ds_write_b64 v7, v[2:3]
.LBB282_4:
	s_or_b64 exec, exec, s[0:1]
	s_waitcnt vmcnt(0)
	v_accvgpr_read_b32 v2, a8
	v_add_u32_e32 v2, 31, v2
	v_ashrrev_i32_e32 v3, 31, v2
	v_lshrrev_b32_e32 v3, 27, v3
	v_add_u32_e32 v2, v2, v3
	v_mul_lo_u32 v3, v27, v0
	v_sub_u32_e32 v3, s2, v3
	v_ashrrev_i32_e32 v8, 5, v2
	v_xor_b32_e32 v2, s3, v6
	v_add_u32_e32 v6, 1, v27
	v_cmp_ge_u32_e32 vcc, v3, v0
	v_sub_u32_e32 v7, v3, v0
	v_lshrrev_b32_e32 v9, 6, v18
	v_cndmask_b32_e32 v6, v27, v6, vcc
	v_cndmask_b32_e32 v3, v3, v7, vcc
	v_add_u32_e32 v7, 1, v6
	v_cmp_ge_u32_e32 vcc, v3, v0
	v_mul_lo_u32 v26, s10, v14
	v_ashrrev_i32_e32 v27, 31, v26
	v_cndmask_b32_e32 v0, v6, v7, vcc
	v_xor_b32_e32 v0, v0, v2
	v_sub_u32_e32 v3, v0, v2
	v_cmp_lt_i32_e64 s[0:1], v9, v8
	v_accvgpr_write_b32 a3, v8
	v_accvgpr_write_b32 a7, v9
	v_cmp_ge_i32_e32 vcc, v9, v8
	v_mbcnt_lo_u32_b32 v2, -1, 0
	s_waitcnt lgkmcnt(0)
	s_barrier
	s_waitcnt lgkmcnt(0)
                                        ; implicit-def: $sgpr4
                                        ; implicit-def: $agpr22
                                        ; implicit-def: $vgpr0
	s_and_saveexec_b64 s[2:3], vcc
	s_xor_b64 s[2:3], exec, s[2:3]
; %bb.5:
	v_mbcnt_hi_u32_b32 v0, -1, v2
	v_accvgpr_write_b32 a22, v0
	v_and_b32_e32 v0, 64, v0
	v_add_u32_e32 v0, 64, v0
	s_mov_b32 s4, 0xff7fffff
                                        ; implicit-def: $vgpr1
                                        ; kill: killed $vgpr1
                                        ; implicit-def: $agpr15
                                        ; implicit-def: $agpr20
                                        ; implicit-def: $vgpr4
                                        ; implicit-def: $vgpr1
                                        ; implicit-def: $vgpr2
; %bb.6:
	s_or_saveexec_b64 s[6:7], s[2:3]
	s_load_dword s15, s[8:9], 0x14
	s_load_dword s13, s[8:9], 0x8
	v_mul_lo_u32 v30, v3, v19
	v_mov_b32_e32 v6, s4
	v_ashrrev_i32_e32 v31, 31, v30
	v_lshrrev_b32_e32 v29, 4, v18
	s_xor_b64 exec, exec, s[6:7]
	s_cbranch_execz .LBB282_524
; %bb.7:
	v_lshlrev_b32_e32 v0, 7, v1
	v_accvgpr_write_b32 a23, v0
	scratch_load_dword v0, off, s32 offset:136 ; 4-byte Folded Reload
	v_bfe_u32 v3, v18, 1, 5
	v_lshl_add_u64 v[6:7], v[4:5], 0, v[30:31]
	v_lshlrev_b32_e32 v4, 4, v3
	v_mov_b32_e32 v5, 0
	v_lshl_add_u64 v[6:7], v[6:7], 0, v[4:5]
	v_accvgpr_write_b32 a25, v7
	v_and_b32_e32 v4, 60, v29
	v_accvgpr_write_b32 a24, v6
	v_lshlrev_b32_e32 v6, 2, v1
	v_cmp_eq_u32_e32 vcc, 0, v1
	s_ashr_i32 s17, s16, 31
	s_lshl_b64 s[4:5], s[16:17], 2
	v_mov_b32_e32 v7, v5
	s_getpc_b64 s[8:9]
	s_add_u32 s8, s8, llvm.amdgcn.dynlds.offset.table@rel32@lo+4
	s_addc_u32 s9, s9, llvm.amdgcn.dynlds.offset.table@rel32@hi+12
	v_accvgpr_write_b32 a12, v22
	v_accvgpr_write_b32 a18, v30
	v_accvgpr_write_b32 a27, v7
	s_add_u32 s8, s4, s8
	v_accvgpr_write_b32 a16, v26
	v_accvgpr_write_b32 a10, v10
	;; [unrolled: 1-line block ×7, first 2 shown]
	s_addc_u32 s9, s5, s9
	v_accvgpr_write_b32 a9, v29
	v_accvgpr_write_b32 a17, v27
	;; [unrolled: 1-line block ×3, first 2 shown]
	s_mov_b64 s[18:19], 0
	s_movk_i32 s17, 0x7f
	s_movk_i32 s26, 0x80
	s_mov_b32 s27, 0x8000
	v_accvgpr_read_b32 v7, a7
	s_waitcnt vmcnt(0)
	v_cmp_neq_f32_e64 s[2:3], 0, v0
	v_lshl_add_u64 v[0:1], v[26:27], 2, v[4:5]
	v_lshl_add_u64 v[0:1], v[10:11], 0, v[0:1]
	v_accvgpr_write_b32 a29, v1
	v_accvgpr_write_b32 a28, v0
	v_accvgpr_read_b32 v0, a8
	v_sub_u32_e32 v0, 1, v0
	v_accvgpr_read_b32 v1, a7
	v_accvgpr_write_b32 a30, v0
	v_lshl_or_b32 v0, v1, 5, v3
	v_accvgpr_write_b32 a31, v0
	v_lshlrev_b32_e32 v0, 2, v3
	v_lshl_or_b32 v0, v1, 7, v0
	v_accvgpr_write_b32 a32, v0
	v_mov_b32_e32 v0, 0xff7fffff
	scratch_store_dword off, v0, s32 offset:132 ; 4-byte Folded Spill
	v_mbcnt_hi_u32_b32 v0, -1, v2
	v_accvgpr_write_b32 a22, v0
	s_branch .LBB282_9
.LBB282_8:                              ;   in Loop: Header=BB282_9 Depth=1
	s_or_b64 exec, exec, s[20:21]
	v_accvgpr_read_b32 v1, a31
	s_waitcnt lgkmcnt(0)
	v_accvgpr_read_b32 v2, a28
	v_add_u32_e32 v1, 64, v1
	v_add_u32_e32 v7, 2, v7
	v_accvgpr_read_b32 v3, a29
	v_accvgpr_write_b32 a31, v1
	v_accvgpr_read_b32 v1, a3
	v_lshl_add_u64 v[2:3], v[2:3], 0, 8
	v_cmp_ge_i32_e64 s[4:5], v7, v1
	v_accvgpr_read_b32 v1, a32
	v_accvgpr_write_b32 a29, v3
	v_add_u32_e32 v1, 0x100, v1
	v_accvgpr_write_b32 a28, v2
	s_or_b64 s[18:19], s[4:5], s[18:19]
	v_accvgpr_write_b32 a32, v1
	s_andn2_b64 exec, exec, s[18:19]
	s_cbranch_execz .LBB282_523
.LBB282_9:                              ; =>This Inner Loop Header: Depth=1
	v_accvgpr_read_b32 v0, a28
	v_accvgpr_read_b32 v1, a29
	flat_load_dword v0, v[0:1]
	v_accvgpr_write_b32 a33, v7
	v_accvgpr_read_b32 v6, a24
	v_accvgpr_read_b32 v2, a6
	;; [unrolled: 1-line block ×3, first 2 shown]
                                        ; implicit-def: $sgpr24
	s_waitcnt vmcnt(0) lgkmcnt(0)
	v_mad_i64_i32 v[0:1], s[4:5], v0, v2, v[6:7]
	v_accvgpr_read_b32 v2, a26
	v_accvgpr_read_b32 v3, a27
	v_lshl_add_u64 v[30:31], v[0:1], 0, v[2:3]
	v_accvgpr_read_b32 v0, a20
	flat_load_dword v8, v[30:31]
	v_accvgpr_read_b32 v1, a21
	flat_load_dword v50, v[0:1]
	s_mov_b64 s[4:5], 0
	s_waitcnt vmcnt(0) lgkmcnt(0)
	v_cmp_gt_i16_sdwa s[20:21], v8, s17 src0_sel:BYTE_0 src1_sel:DWORD
	s_and_saveexec_b64 s[22:23], s[20:21]
	s_xor_b64 s[20:21], exec, s[22:23]
	s_cbranch_execnz .LBB282_283
; %bb.10:                               ;   in Loop: Header=BB282_9 Depth=1
	s_or_saveexec_b64 s[20:21], s[20:21]
	v_mov_b32_e32 v0, s24
	s_xor_b64 exec, exec, s[20:21]
	s_cbranch_execnz .LBB282_286
.LBB282_11:                             ;   in Loop: Header=BB282_9 Depth=1
	s_or_b64 exec, exec, s[20:21]
	s_and_saveexec_b64 s[20:21], s[4:5]
	s_cbranch_execz .LBB282_13
.LBB282_12:                             ;   in Loop: Header=BB282_9 Depth=1
	v_and_b32_e32 v2, 7, v8
	v_ffbh_u32_e32 v0, v2
	v_min_u32_e32 v4, 32, v0
	v_subrev_u32_e32 v0, 28, v4
	v_bfe_u32 v3, v8, 3, 4
	v_lshlrev_b64 v[0:1], v0, v[8:9]
	v_sub_u32_e32 v1, 29, v4
	v_cmp_eq_u32_e64 s[4:5], 0, v3
	v_and_b32_e32 v0, 7, v0
	s_nop 0
	v_cndmask_b32_e64 v1, v3, v1, s[4:5]
	v_mov_b32_e32 v3, 0x1c00
	v_cndmask_b32_e64 v0, v2, v0, s[4:5]
	v_lshlrev_b32_e32 v2, 8, v8
	v_lshl_add_u32 v1, v1, 10, v3
	v_and_or_b32 v1, v2, s27, v1
	v_lshl_or_b32 v0, v0, 7, v1
	v_cvt_f32_f16_e32 v0, v0
.LBB282_13:                             ;   in Loop: Header=BB282_9 Depth=1
	s_or_b64 exec, exec, s[20:21]
	v_lshrrev_b16_e32 v4, 8, v8
	v_accvgpr_write_b32 a42, v0
	v_cmp_lt_i16_e64 s[4:5], s17, v4
	s_mov_b64 s[20:21], 0
                                        ; implicit-def: $sgpr28
	s_and_saveexec_b64 s[22:23], s[4:5]
	s_xor_b64 s[22:23], exec, s[22:23]
	s_cbranch_execnz .LBB282_287
; %bb.14:                               ;   in Loop: Header=BB282_9 Depth=1
	s_or_saveexec_b64 s[22:23], s[22:23]
	v_mov_b32_e32 v17, s28
	s_xor_b64 exec, exec, s[22:23]
	s_cbranch_execnz .LBB282_290
.LBB282_15:                             ;   in Loop: Header=BB282_9 Depth=1
	s_or_b64 exec, exec, s[22:23]
	s_and_saveexec_b64 s[22:23], s[20:21]
	s_cbranch_execz .LBB282_17
.LBB282_16:                             ;   in Loop: Header=BB282_9 Depth=1
	v_and_b32_e32 v2, 7, v4
	v_ffbh_u32_e32 v0, v2
	v_min_u32_e32 v6, 32, v0
	v_subrev_u32_e32 v0, 28, v6
	v_bfe_u32 v3, v4, 3, 4
	v_lshlrev_b64 v[0:1], v0, v[4:5]
	v_sub_u32_e32 v1, 29, v6
	v_cmp_eq_u32_e64 s[4:5], 0, v3
	v_and_b32_e32 v0, 7, v0
	s_nop 0
	v_cndmask_b32_e64 v1, v3, v1, s[4:5]
	v_mov_b32_e32 v3, 0x1c00
	v_cndmask_b32_e64 v0, v2, v0, s[4:5]
	v_lshlrev_b32_e32 v2, 8, v4
	v_lshl_add_u32 v1, v1, 10, v3
	v_and_or_b32 v1, v2, s27, v1
	v_lshl_or_b32 v0, v0, 7, v1
	v_cvt_f32_f16_e32 v17, v0
.LBB282_17:                             ;   in Loop: Header=BB282_9 Depth=1
	s_or_b64 exec, exec, s[22:23]
	v_lshrrev_b32_e32 v4, 16, v8
	v_cmp_gt_i16_sdwa s[20:21], v4, s17 src0_sel:BYTE_0 src1_sel:DWORD
	s_mov_b64 s[4:5], 0
                                        ; implicit-def: $sgpr24
	s_and_saveexec_b64 s[22:23], s[20:21]
	s_xor_b64 s[20:21], exec, s[22:23]
	s_cbranch_execz .LBB282_21
; %bb.18:                               ;   in Loop: Header=BB282_9 Depth=1
	v_cmp_eq_u16_sdwa s[28:29], v4, s26 src0_sel:BYTE_0 src1_sel:DWORD
	s_mov_b64 s[4:5], -1
                                        ; implicit-def: $sgpr24
	s_and_saveexec_b64 s[22:23], s[28:29]
; %bb.19:                               ;   in Loop: Header=BB282_9 Depth=1
	s_mov_b32 s24, 0x7fc02000
	s_xor_b64 s[4:5], exec, -1
; %bb.20:                               ;   in Loop: Header=BB282_9 Depth=1
	s_or_b64 exec, exec, s[22:23]
	s_and_b64 s[4:5], s[4:5], exec
.LBB282_21:                             ;   in Loop: Header=BB282_9 Depth=1
	s_or_saveexec_b64 s[20:21], s[20:21]
	v_mov_b32_e32 v0, s24
	scratch_store_dword off, v0, s32 offset:120 ; 4-byte Folded Spill
	s_xor_b64 exec, exec, s[20:21]
	s_cbranch_execz .LBB282_23
; %bb.22:                               ;   in Loop: Header=BB282_9 Depth=1
	v_cmp_ne_u16_sdwa s[22:23], v4, v5 src0_sel:BYTE_0 src1_sel:DWORD
	s_andn2_b64 s[4:5], s[4:5], exec
	s_and_b64 s[22:23], s[22:23], exec
	v_mov_b32_e32 v0, 0
	s_or_b64 s[4:5], s[4:5], s[22:23]
	scratch_store_dword off, v0, s32 offset:120 ; 4-byte Folded Spill
.LBB282_23:                             ;   in Loop: Header=BB282_9 Depth=1
	s_or_b64 exec, exec, s[20:21]
	s_and_saveexec_b64 s[20:21], s[4:5]
	s_cbranch_execz .LBB282_25
; %bb.24:                               ;   in Loop: Header=BB282_9 Depth=1
	v_bfe_u32 v2, v8, 16, 3
	v_ffbh_u32_e32 v0, v2
	v_min_u32_e32 v6, 32, v0
	v_subrev_u32_e32 v0, 28, v6
	v_bfe_u32 v3, v8, 19, 4
	v_lshlrev_b64 v[0:1], v0, v[4:5]
	v_sub_u32_e32 v1, 29, v6
	v_cmp_eq_u32_e64 s[4:5], 0, v3
	v_and_b32_e32 v0, 7, v0
	s_nop 0
	v_cndmask_b32_e64 v1, v3, v1, s[4:5]
	v_mov_b32_e32 v3, 0x1c00
	v_cndmask_b32_e64 v0, v2, v0, s[4:5]
	v_lshlrev_b32_e32 v2, 8, v4
	v_lshl_add_u32 v1, v1, 10, v3
	v_and_or_b32 v1, v2, s27, v1
	v_lshl_or_b32 v0, v0, 7, v1
	v_cvt_f32_f16_e32 v0, v0
	scratch_store_dword off, v0, s32 offset:120 ; 4-byte Folded Spill
.LBB282_25:                             ;   in Loop: Header=BB282_9 Depth=1
	s_or_b64 exec, exec, s[20:21]
	v_lshrrev_b32_e32 v4, 24, v8
	v_cmp_lt_i16_e64 s[4:5], s17, v4
	s_mov_b64 s[20:21], 0
                                        ; implicit-def: $sgpr28
	s_and_saveexec_b64 s[22:23], s[4:5]
	s_xor_b64 s[22:23], exec, s[22:23]
	s_cbranch_execnz .LBB282_291
; %bb.26:                               ;   in Loop: Header=BB282_9 Depth=1
	s_or_saveexec_b64 s[22:23], s[22:23]
	v_mov_b32_e32 v28, s28
	s_xor_b64 exec, exec, s[22:23]
	s_cbranch_execnz .LBB282_294
.LBB282_27:                             ;   in Loop: Header=BB282_9 Depth=1
	s_or_b64 exec, exec, s[22:23]
	s_and_saveexec_b64 s[22:23], s[20:21]
	s_cbranch_execz .LBB282_29
.LBB282_28:                             ;   in Loop: Header=BB282_9 Depth=1
	v_bfe_u32 v2, v8, 24, 3
	v_ffbh_u32_e32 v0, v2
	v_min_u32_e32 v6, 32, v0
	v_subrev_u32_e32 v0, 28, v6
	v_bfe_u32 v3, v8, 27, 4
	v_lshlrev_b64 v[0:1], v0, v[4:5]
	v_sub_u32_e32 v1, 29, v6
	v_cmp_eq_u32_e64 s[4:5], 0, v3
	v_and_b32_e32 v0, 7, v0
	s_nop 0
	v_cndmask_b32_e64 v1, v3, v1, s[4:5]
	v_mov_b32_e32 v3, 0x1c00
	v_cndmask_b32_e64 v0, v2, v0, s[4:5]
	v_lshlrev_b32_e32 v2, 8, v4
	v_lshl_add_u32 v1, v1, 10, v3
	v_and_or_b32 v1, v2, s27, v1
	v_lshl_or_b32 v0, v0, 7, v1
	v_cvt_f32_f16_e32 v28, v0
.LBB282_29:                             ;   in Loop: Header=BB282_9 Depth=1
	s_or_b64 exec, exec, s[22:23]
	flat_load_dword v8, v[30:31] offset:8
	s_mov_b64 s[4:5], 0
                                        ; implicit-def: $sgpr24
	s_waitcnt vmcnt(0) lgkmcnt(0)
	v_cmp_gt_i16_sdwa s[20:21], v8, s17 src0_sel:BYTE_0 src1_sel:DWORD
	s_and_saveexec_b64 s[22:23], s[20:21]
	s_xor_b64 s[20:21], exec, s[22:23]
	s_cbranch_execnz .LBB282_295
; %bb.30:                               ;   in Loop: Header=BB282_9 Depth=1
	s_or_saveexec_b64 s[20:21], s[20:21]
	v_mov_b32_e32 v0, s24
	s_xor_b64 exec, exec, s[20:21]
	s_cbranch_execnz .LBB282_298
.LBB282_31:                             ;   in Loop: Header=BB282_9 Depth=1
	s_or_b64 exec, exec, s[20:21]
	s_and_saveexec_b64 s[20:21], s[4:5]
	s_cbranch_execz .LBB282_33
.LBB282_32:                             ;   in Loop: Header=BB282_9 Depth=1
	v_and_b32_e32 v2, 7, v8
	v_ffbh_u32_e32 v0, v2
	v_min_u32_e32 v4, 32, v0
	v_subrev_u32_e32 v0, 28, v4
	v_bfe_u32 v3, v8, 3, 4
	v_lshlrev_b64 v[0:1], v0, v[8:9]
	v_sub_u32_e32 v1, 29, v4
	v_cmp_eq_u32_e64 s[4:5], 0, v3
	v_and_b32_e32 v0, 7, v0
	s_nop 0
	v_cndmask_b32_e64 v1, v3, v1, s[4:5]
	v_mov_b32_e32 v3, 0x1c00
	v_cndmask_b32_e64 v0, v2, v0, s[4:5]
	v_lshlrev_b32_e32 v2, 8, v8
	v_lshl_add_u32 v1, v1, 10, v3
	v_and_or_b32 v1, v2, s27, v1
	v_lshl_or_b32 v0, v0, 7, v1
	v_cvt_f32_f16_e32 v0, v0
.LBB282_33:                             ;   in Loop: Header=BB282_9 Depth=1
	s_or_b64 exec, exec, s[20:21]
	v_lshrrev_b16_e32 v4, 8, v8
	v_accvgpr_write_b32 a44, v0
	v_cmp_lt_i16_e64 s[4:5], s17, v4
	s_mov_b64 s[20:21], 0
                                        ; implicit-def: $sgpr28
	s_and_saveexec_b64 s[22:23], s[4:5]
	s_xor_b64 s[22:23], exec, s[22:23]
	s_cbranch_execz .LBB282_37
; %bb.34:                               ;   in Loop: Header=BB282_9 Depth=1
	v_cmp_eq_u16_e64 s[4:5], s26, v4
	s_mov_b64 s[20:21], -1
                                        ; implicit-def: $sgpr28
	s_and_saveexec_b64 s[24:25], s[4:5]
; %bb.35:                               ;   in Loop: Header=BB282_9 Depth=1
	s_mov_b32 s28, 0x7fc02000
	s_xor_b64 s[20:21], exec, -1
; %bb.36:                               ;   in Loop: Header=BB282_9 Depth=1
	s_or_b64 exec, exec, s[24:25]
	s_and_b64 s[20:21], s[20:21], exec
.LBB282_37:                             ;   in Loop: Header=BB282_9 Depth=1
	s_or_saveexec_b64 s[22:23], s[22:23]
	v_mov_b32_e32 v0, s28
	scratch_store_dword off, v0, s32 offset:128 ; 4-byte Folded Spill
	s_xor_b64 exec, exec, s[22:23]
	s_cbranch_execz .LBB282_39
; %bb.38:                               ;   in Loop: Header=BB282_9 Depth=1
	v_cmp_ne_u16_e64 s[4:5], 0, v4
	s_andn2_b64 s[20:21], s[20:21], exec
	s_and_b64 s[4:5], s[4:5], exec
	v_mov_b32_e32 v0, 0
	s_or_b64 s[20:21], s[20:21], s[4:5]
	scratch_store_dword off, v0, s32 offset:128 ; 4-byte Folded Spill
.LBB282_39:                             ;   in Loop: Header=BB282_9 Depth=1
	s_or_b64 exec, exec, s[22:23]
	s_and_saveexec_b64 s[22:23], s[20:21]
	s_cbranch_execz .LBB282_41
; %bb.40:                               ;   in Loop: Header=BB282_9 Depth=1
	v_and_b32_e32 v2, 7, v4
	v_ffbh_u32_e32 v0, v2
	v_min_u32_e32 v6, 32, v0
	v_subrev_u32_e32 v0, 28, v6
	v_bfe_u32 v3, v4, 3, 4
	v_lshlrev_b64 v[0:1], v0, v[4:5]
	v_sub_u32_e32 v1, 29, v6
	v_cmp_eq_u32_e64 s[4:5], 0, v3
	v_and_b32_e32 v0, 7, v0
	s_nop 0
	v_cndmask_b32_e64 v1, v3, v1, s[4:5]
	v_mov_b32_e32 v3, 0x1c00
	v_cndmask_b32_e64 v0, v2, v0, s[4:5]
	v_lshlrev_b32_e32 v2, 8, v4
	v_lshl_add_u32 v1, v1, 10, v3
	v_and_or_b32 v1, v2, s27, v1
	v_lshl_or_b32 v0, v0, 7, v1
	v_cvt_f32_f16_e32 v0, v0
	scratch_store_dword off, v0, s32 offset:128 ; 4-byte Folded Spill
.LBB282_41:                             ;   in Loop: Header=BB282_9 Depth=1
	s_or_b64 exec, exec, s[22:23]
	v_lshrrev_b32_e32 v4, 16, v8
	v_cmp_gt_i16_sdwa s[20:21], v4, s17 src0_sel:BYTE_0 src1_sel:DWORD
	s_mov_b64 s[4:5], 0
                                        ; implicit-def: $sgpr24
	s_and_saveexec_b64 s[22:23], s[20:21]
	s_xor_b64 s[20:21], exec, s[22:23]
	s_cbranch_execnz .LBB282_299
; %bb.42:                               ;   in Loop: Header=BB282_9 Depth=1
	s_or_saveexec_b64 s[20:21], s[20:21]
	v_mov_b32_e32 v38, s24
	s_xor_b64 exec, exec, s[20:21]
	s_cbranch_execnz .LBB282_302
.LBB282_43:                             ;   in Loop: Header=BB282_9 Depth=1
	s_or_b64 exec, exec, s[20:21]
	s_and_saveexec_b64 s[20:21], s[4:5]
	s_cbranch_execz .LBB282_45
.LBB282_44:                             ;   in Loop: Header=BB282_9 Depth=1
	v_bfe_u32 v2, v8, 16, 3
	v_ffbh_u32_e32 v0, v2
	v_min_u32_e32 v6, 32, v0
	v_subrev_u32_e32 v0, 28, v6
	v_bfe_u32 v3, v8, 19, 4
	v_lshlrev_b64 v[0:1], v0, v[4:5]
	v_sub_u32_e32 v1, 29, v6
	v_cmp_eq_u32_e64 s[4:5], 0, v3
	v_and_b32_e32 v0, 7, v0
	s_nop 0
	v_cndmask_b32_e64 v1, v3, v1, s[4:5]
	v_mov_b32_e32 v3, 0x1c00
	v_cndmask_b32_e64 v0, v2, v0, s[4:5]
	v_lshlrev_b32_e32 v2, 8, v4
	v_lshl_add_u32 v1, v1, 10, v3
	v_and_or_b32 v1, v2, s27, v1
	v_lshl_or_b32 v0, v0, 7, v1
	v_cvt_f32_f16_e32 v38, v0
.LBB282_45:                             ;   in Loop: Header=BB282_9 Depth=1
	s_or_b64 exec, exec, s[20:21]
	v_lshrrev_b32_e32 v4, 24, v8
	v_cmp_lt_i16_e64 s[4:5], s17, v4
	s_mov_b64 s[20:21], 0
                                        ; implicit-def: $sgpr28
	s_and_saveexec_b64 s[22:23], s[4:5]
	s_xor_b64 s[22:23], exec, s[22:23]
	s_cbranch_execnz .LBB282_303
; %bb.46:                               ;   in Loop: Header=BB282_9 Depth=1
	s_or_saveexec_b64 s[22:23], s[22:23]
	v_mov_b32_e32 v48, s28
	s_xor_b64 exec, exec, s[22:23]
	s_cbranch_execnz .LBB282_306
.LBB282_47:                             ;   in Loop: Header=BB282_9 Depth=1
	s_or_b64 exec, exec, s[22:23]
	s_and_saveexec_b64 s[22:23], s[20:21]
	s_cbranch_execz .LBB282_49
.LBB282_48:                             ;   in Loop: Header=BB282_9 Depth=1
	v_bfe_u32 v2, v8, 24, 3
	v_ffbh_u32_e32 v0, v2
	v_min_u32_e32 v6, 32, v0
	v_subrev_u32_e32 v0, 28, v6
	v_bfe_u32 v3, v8, 27, 4
	v_lshlrev_b64 v[0:1], v0, v[4:5]
	v_sub_u32_e32 v1, 29, v6
	v_cmp_eq_u32_e64 s[4:5], 0, v3
	v_and_b32_e32 v0, 7, v0
	s_nop 0
	v_cndmask_b32_e64 v1, v3, v1, s[4:5]
	v_mov_b32_e32 v3, 0x1c00
	v_cndmask_b32_e64 v0, v2, v0, s[4:5]
	v_lshlrev_b32_e32 v2, 8, v4
	v_lshl_add_u32 v1, v1, 10, v3
	v_and_or_b32 v1, v2, s27, v1
	v_lshl_or_b32 v0, v0, 7, v1
	v_cvt_f32_f16_e32 v48, v0
.LBB282_49:                             ;   in Loop: Header=BB282_9 Depth=1
	s_or_b64 exec, exec, s[22:23]
	flat_load_dword v8, v[30:31] offset:512
	s_mov_b64 s[4:5], 0
                                        ; implicit-def: $sgpr24
	s_waitcnt vmcnt(0) lgkmcnt(0)
	v_cmp_gt_i16_sdwa s[20:21], v8, s17 src0_sel:BYTE_0 src1_sel:DWORD
	s_and_saveexec_b64 s[22:23], s[20:21]
	s_xor_b64 s[20:21], exec, s[22:23]
	s_cbranch_execnz .LBB282_307
; %bb.50:                               ;   in Loop: Header=BB282_9 Depth=1
	s_or_saveexec_b64 s[20:21], s[20:21]
	v_mov_b32_e32 v0, s24
	s_xor_b64 exec, exec, s[20:21]
	s_cbranch_execnz .LBB282_310
.LBB282_51:                             ;   in Loop: Header=BB282_9 Depth=1
	s_or_b64 exec, exec, s[20:21]
	s_and_saveexec_b64 s[20:21], s[4:5]
	s_cbranch_execz .LBB282_53
.LBB282_52:                             ;   in Loop: Header=BB282_9 Depth=1
	v_and_b32_e32 v2, 7, v8
	v_ffbh_u32_e32 v0, v2
	v_min_u32_e32 v4, 32, v0
	v_subrev_u32_e32 v0, 28, v4
	v_bfe_u32 v3, v8, 3, 4
	v_lshlrev_b64 v[0:1], v0, v[8:9]
	v_sub_u32_e32 v1, 29, v4
	v_cmp_eq_u32_e64 s[4:5], 0, v3
	v_and_b32_e32 v0, 7, v0
	s_nop 0
	v_cndmask_b32_e64 v1, v3, v1, s[4:5]
	v_mov_b32_e32 v3, 0x1c00
	v_cndmask_b32_e64 v0, v2, v0, s[4:5]
	v_lshlrev_b32_e32 v2, 8, v8
	v_lshl_add_u32 v1, v1, 10, v3
	v_and_or_b32 v1, v2, s27, v1
	v_lshl_or_b32 v0, v0, 7, v1
	v_cvt_f32_f16_e32 v0, v0
.LBB282_53:                             ;   in Loop: Header=BB282_9 Depth=1
	s_or_b64 exec, exec, s[20:21]
	v_lshrrev_b16_e32 v4, 8, v8
	v_accvgpr_write_b32 a35, v0
	v_cmp_lt_i16_e64 s[4:5], s17, v4
	s_mov_b64 s[20:21], 0
                                        ; implicit-def: $sgpr28
	s_and_saveexec_b64 s[22:23], s[4:5]
	s_xor_b64 s[22:23], exec, s[22:23]
	s_cbranch_execnz .LBB282_311
; %bb.54:                               ;   in Loop: Header=BB282_9 Depth=1
	s_or_saveexec_b64 s[22:23], s[22:23]
	v_mov_b32_e32 v58, s28
	s_xor_b64 exec, exec, s[22:23]
	s_cbranch_execnz .LBB282_314
.LBB282_55:                             ;   in Loop: Header=BB282_9 Depth=1
	s_or_b64 exec, exec, s[22:23]
	s_and_saveexec_b64 s[22:23], s[20:21]
	s_cbranch_execz .LBB282_57
.LBB282_56:                             ;   in Loop: Header=BB282_9 Depth=1
	v_and_b32_e32 v2, 7, v4
	v_ffbh_u32_e32 v0, v2
	v_min_u32_e32 v6, 32, v0
	v_subrev_u32_e32 v0, 28, v6
	v_bfe_u32 v3, v4, 3, 4
	v_lshlrev_b64 v[0:1], v0, v[4:5]
	v_sub_u32_e32 v1, 29, v6
	v_cmp_eq_u32_e64 s[4:5], 0, v3
	v_and_b32_e32 v0, 7, v0
	s_nop 0
	v_cndmask_b32_e64 v1, v3, v1, s[4:5]
	v_mov_b32_e32 v3, 0x1c00
	v_cndmask_b32_e64 v0, v2, v0, s[4:5]
	v_lshlrev_b32_e32 v2, 8, v4
	v_lshl_add_u32 v1, v1, 10, v3
	v_and_or_b32 v1, v2, s27, v1
	v_lshl_or_b32 v0, v0, 7, v1
	v_cvt_f32_f16_e32 v58, v0
.LBB282_57:                             ;   in Loop: Header=BB282_9 Depth=1
	s_or_b64 exec, exec, s[22:23]
	v_lshrrev_b32_e32 v4, 16, v8
	v_cmp_gt_i16_sdwa s[20:21], v4, s17 src0_sel:BYTE_0 src1_sel:DWORD
	s_mov_b64 s[4:5], 0
                                        ; implicit-def: $sgpr24
	s_and_saveexec_b64 s[22:23], s[20:21]
	s_xor_b64 s[20:21], exec, s[22:23]
	s_cbranch_execnz .LBB282_315
; %bb.58:                               ;   in Loop: Header=BB282_9 Depth=1
	s_or_saveexec_b64 s[20:21], s[20:21]
	v_mov_b32_e32 v60, s24
	s_xor_b64 exec, exec, s[20:21]
	s_cbranch_execnz .LBB282_318
.LBB282_59:                             ;   in Loop: Header=BB282_9 Depth=1
	s_or_b64 exec, exec, s[20:21]
	s_and_saveexec_b64 s[20:21], s[4:5]
	s_cbranch_execz .LBB282_61
.LBB282_60:                             ;   in Loop: Header=BB282_9 Depth=1
	v_bfe_u32 v2, v8, 16, 3
	v_ffbh_u32_e32 v0, v2
	v_min_u32_e32 v6, 32, v0
	v_subrev_u32_e32 v0, 28, v6
	v_bfe_u32 v3, v8, 19, 4
	v_lshlrev_b64 v[0:1], v0, v[4:5]
	v_sub_u32_e32 v1, 29, v6
	v_cmp_eq_u32_e64 s[4:5], 0, v3
	v_and_b32_e32 v0, 7, v0
	s_nop 0
	v_cndmask_b32_e64 v1, v3, v1, s[4:5]
	v_mov_b32_e32 v3, 0x1c00
	v_cndmask_b32_e64 v0, v2, v0, s[4:5]
	v_lshlrev_b32_e32 v2, 8, v4
	v_lshl_add_u32 v1, v1, 10, v3
	v_and_or_b32 v1, v2, s27, v1
	v_lshl_or_b32 v0, v0, 7, v1
	v_cvt_f32_f16_e32 v60, v0
.LBB282_61:                             ;   in Loop: Header=BB282_9 Depth=1
	s_or_b64 exec, exec, s[20:21]
	v_lshrrev_b32_e32 v4, 24, v8
	v_cmp_lt_i16_e64 s[4:5], s17, v4
	s_mov_b64 s[20:21], 0
                                        ; implicit-def: $sgpr28
	s_and_saveexec_b64 s[22:23], s[4:5]
	s_xor_b64 s[22:23], exec, s[22:23]
	s_cbranch_execnz .LBB282_319
; %bb.62:                               ;   in Loop: Header=BB282_9 Depth=1
	s_or_saveexec_b64 s[22:23], s[22:23]
	v_mov_b32_e32 v61, s28
	s_xor_b64 exec, exec, s[22:23]
	s_cbranch_execnz .LBB282_322
.LBB282_63:                             ;   in Loop: Header=BB282_9 Depth=1
	s_or_b64 exec, exec, s[22:23]
	s_and_saveexec_b64 s[22:23], s[20:21]
	s_cbranch_execz .LBB282_65
.LBB282_64:                             ;   in Loop: Header=BB282_9 Depth=1
	v_bfe_u32 v2, v8, 24, 3
	v_ffbh_u32_e32 v0, v2
	v_min_u32_e32 v6, 32, v0
	v_subrev_u32_e32 v0, 28, v6
	v_bfe_u32 v3, v8, 27, 4
	v_lshlrev_b64 v[0:1], v0, v[4:5]
	v_sub_u32_e32 v1, 29, v6
	v_cmp_eq_u32_e64 s[4:5], 0, v3
	v_and_b32_e32 v0, 7, v0
	s_nop 0
	v_cndmask_b32_e64 v1, v3, v1, s[4:5]
	v_mov_b32_e32 v3, 0x1c00
	v_cndmask_b32_e64 v0, v2, v0, s[4:5]
	v_lshlrev_b32_e32 v2, 8, v4
	v_lshl_add_u32 v1, v1, 10, v3
	v_and_or_b32 v1, v2, s27, v1
	v_lshl_or_b32 v0, v0, 7, v1
	v_cvt_f32_f16_e32 v61, v0
.LBB282_65:                             ;   in Loop: Header=BB282_9 Depth=1
	s_or_b64 exec, exec, s[22:23]
	flat_load_dword v8, v[30:31] offset:520
	s_mov_b64 s[4:5], 0
                                        ; implicit-def: $sgpr24
	s_waitcnt vmcnt(0) lgkmcnt(0)
	v_cmp_gt_i16_sdwa s[20:21], v8, s17 src0_sel:BYTE_0 src1_sel:DWORD
	s_and_saveexec_b64 s[22:23], s[20:21]
	s_xor_b64 s[20:21], exec, s[22:23]
	s_cbranch_execnz .LBB282_323
; %bb.66:                               ;   in Loop: Header=BB282_9 Depth=1
	s_or_saveexec_b64 s[20:21], s[20:21]
	v_mov_b32_e32 v0, s24
	s_xor_b64 exec, exec, s[20:21]
	s_cbranch_execnz .LBB282_326
.LBB282_67:                             ;   in Loop: Header=BB282_9 Depth=1
	s_or_b64 exec, exec, s[20:21]
	s_and_saveexec_b64 s[20:21], s[4:5]
	s_cbranch_execz .LBB282_69
.LBB282_68:                             ;   in Loop: Header=BB282_9 Depth=1
	v_and_b32_e32 v2, 7, v8
	v_ffbh_u32_e32 v0, v2
	v_min_u32_e32 v4, 32, v0
	v_subrev_u32_e32 v0, 28, v4
	v_bfe_u32 v3, v8, 3, 4
	v_lshlrev_b64 v[0:1], v0, v[8:9]
	v_sub_u32_e32 v1, 29, v4
	v_cmp_eq_u32_e64 s[4:5], 0, v3
	v_and_b32_e32 v0, 7, v0
	s_nop 0
	v_cndmask_b32_e64 v1, v3, v1, s[4:5]
	v_mov_b32_e32 v3, 0x1c00
	v_cndmask_b32_e64 v0, v2, v0, s[4:5]
	v_lshlrev_b32_e32 v2, 8, v8
	v_lshl_add_u32 v1, v1, 10, v3
	v_and_or_b32 v1, v2, s27, v1
	v_lshl_or_b32 v0, v0, 7, v1
	v_cvt_f32_f16_e32 v0, v0
.LBB282_69:                             ;   in Loop: Header=BB282_9 Depth=1
	s_or_b64 exec, exec, s[20:21]
	v_lshrrev_b16_e32 v4, 8, v8
	v_accvgpr_write_b32 a39, v0
	v_cmp_lt_i16_e64 s[4:5], s17, v4
	s_mov_b64 s[20:21], 0
                                        ; implicit-def: $sgpr28
	s_and_saveexec_b64 s[22:23], s[4:5]
	s_xor_b64 s[22:23], exec, s[22:23]
	s_cbranch_execnz .LBB282_327
; %bb.70:                               ;   in Loop: Header=BB282_9 Depth=1
	s_or_saveexec_b64 s[22:23], s[22:23]
	v_mov_b32_e32 v62, s28
	s_xor_b64 exec, exec, s[22:23]
	s_cbranch_execnz .LBB282_330
.LBB282_71:                             ;   in Loop: Header=BB282_9 Depth=1
	s_or_b64 exec, exec, s[22:23]
	s_and_saveexec_b64 s[22:23], s[20:21]
	s_cbranch_execz .LBB282_73
.LBB282_72:                             ;   in Loop: Header=BB282_9 Depth=1
	v_and_b32_e32 v2, 7, v4
	v_ffbh_u32_e32 v0, v2
	v_min_u32_e32 v6, 32, v0
	v_subrev_u32_e32 v0, 28, v6
	v_bfe_u32 v3, v4, 3, 4
	v_lshlrev_b64 v[0:1], v0, v[4:5]
	v_sub_u32_e32 v1, 29, v6
	v_cmp_eq_u32_e64 s[4:5], 0, v3
	v_and_b32_e32 v0, 7, v0
	s_nop 0
	v_cndmask_b32_e64 v1, v3, v1, s[4:5]
	v_mov_b32_e32 v3, 0x1c00
	v_cndmask_b32_e64 v0, v2, v0, s[4:5]
	v_lshlrev_b32_e32 v2, 8, v4
	v_lshl_add_u32 v1, v1, 10, v3
	v_and_or_b32 v1, v2, s27, v1
	v_lshl_or_b32 v0, v0, 7, v1
	v_cvt_f32_f16_e32 v62, v0
.LBB282_73:                             ;   in Loop: Header=BB282_9 Depth=1
	s_or_b64 exec, exec, s[22:23]
	v_lshrrev_b32_e32 v4, 16, v8
	v_cmp_gt_i16_sdwa s[20:21], v4, s17 src0_sel:BYTE_0 src1_sel:DWORD
	s_mov_b64 s[4:5], 0
                                        ; implicit-def: $sgpr24
	s_and_saveexec_b64 s[22:23], s[20:21]
	s_xor_b64 s[20:21], exec, s[22:23]
	s_cbranch_execnz .LBB282_331
; %bb.74:                               ;   in Loop: Header=BB282_9 Depth=1
	s_or_saveexec_b64 s[20:21], s[20:21]
	v_mov_b32_e32 v63, s24
	s_xor_b64 exec, exec, s[20:21]
	s_cbranch_execnz .LBB282_334
.LBB282_75:                             ;   in Loop: Header=BB282_9 Depth=1
	s_or_b64 exec, exec, s[20:21]
	s_and_saveexec_b64 s[20:21], s[4:5]
	s_cbranch_execz .LBB282_77
.LBB282_76:                             ;   in Loop: Header=BB282_9 Depth=1
	v_bfe_u32 v2, v8, 16, 3
	v_ffbh_u32_e32 v0, v2
	v_min_u32_e32 v6, 32, v0
	v_subrev_u32_e32 v0, 28, v6
	v_bfe_u32 v3, v8, 19, 4
	v_lshlrev_b64 v[0:1], v0, v[4:5]
	v_sub_u32_e32 v1, 29, v6
	v_cmp_eq_u32_e64 s[4:5], 0, v3
	v_and_b32_e32 v0, 7, v0
	s_nop 0
	v_cndmask_b32_e64 v1, v3, v1, s[4:5]
	v_mov_b32_e32 v3, 0x1c00
	v_cndmask_b32_e64 v0, v2, v0, s[4:5]
	v_lshlrev_b32_e32 v2, 8, v4
	v_lshl_add_u32 v1, v1, 10, v3
	v_and_or_b32 v1, v2, s27, v1
	v_lshl_or_b32 v0, v0, 7, v1
	v_cvt_f32_f16_e32 v63, v0
.LBB282_77:                             ;   in Loop: Header=BB282_9 Depth=1
	s_or_b64 exec, exec, s[20:21]
	v_lshrrev_b32_e32 v4, 24, v8
	v_cmp_lt_i16_e64 s[4:5], s17, v4
	s_mov_b64 s[20:21], 0
                                        ; implicit-def: $sgpr28
	s_and_saveexec_b64 s[22:23], s[4:5]
	s_xor_b64 s[22:23], exec, s[22:23]
	s_cbranch_execz .LBB282_81
; %bb.78:                               ;   in Loop: Header=BB282_9 Depth=1
	v_cmp_eq_u16_e64 s[4:5], s26, v4
	s_mov_b64 s[20:21], -1
                                        ; implicit-def: $sgpr28
	s_and_saveexec_b64 s[24:25], s[4:5]
; %bb.79:                               ;   in Loop: Header=BB282_9 Depth=1
	s_mov_b32 s28, 0x7fc02000
	s_xor_b64 s[20:21], exec, -1
; %bb.80:                               ;   in Loop: Header=BB282_9 Depth=1
	s_or_b64 exec, exec, s[24:25]
	s_and_b64 s[20:21], s[20:21], exec
.LBB282_81:                             ;   in Loop: Header=BB282_9 Depth=1
	s_or_saveexec_b64 s[22:23], s[22:23]
	v_mov_b32_e32 v0, s28
	scratch_store_dword off, v0, s32 offset:124 ; 4-byte Folded Spill
	s_xor_b64 exec, exec, s[22:23]
	s_cbranch_execz .LBB282_83
; %bb.82:                               ;   in Loop: Header=BB282_9 Depth=1
	v_cmp_ne_u16_e64 s[4:5], 0, v4
	s_andn2_b64 s[20:21], s[20:21], exec
	s_and_b64 s[4:5], s[4:5], exec
	v_mov_b32_e32 v0, 0
	s_or_b64 s[20:21], s[20:21], s[4:5]
	scratch_store_dword off, v0, s32 offset:124 ; 4-byte Folded Spill
.LBB282_83:                             ;   in Loop: Header=BB282_9 Depth=1
	s_or_b64 exec, exec, s[22:23]
	s_and_saveexec_b64 s[22:23], s[20:21]
	s_cbranch_execz .LBB282_85
; %bb.84:                               ;   in Loop: Header=BB282_9 Depth=1
	v_bfe_u32 v2, v8, 24, 3
	v_ffbh_u32_e32 v0, v2
	v_min_u32_e32 v6, 32, v0
	v_subrev_u32_e32 v0, 28, v6
	v_bfe_u32 v3, v8, 27, 4
	v_lshlrev_b64 v[0:1], v0, v[4:5]
	v_sub_u32_e32 v1, 29, v6
	v_cmp_eq_u32_e64 s[4:5], 0, v3
	v_and_b32_e32 v0, 7, v0
	s_nop 0
	v_cndmask_b32_e64 v1, v3, v1, s[4:5]
	v_mov_b32_e32 v3, 0x1c00
	v_cndmask_b32_e64 v0, v2, v0, s[4:5]
	v_lshlrev_b32_e32 v2, 8, v4
	v_lshl_add_u32 v1, v1, 10, v3
	v_and_or_b32 v1, v2, s27, v1
	v_lshl_or_b32 v0, v0, 7, v1
	v_cvt_f32_f16_e32 v0, v0
	scratch_store_dword off, v0, s32 offset:124 ; 4-byte Folded Spill
.LBB282_85:                             ;   in Loop: Header=BB282_9 Depth=1
	s_or_b64 exec, exec, s[22:23]
	flat_load_dword v8, v[30:31] offset:1024
	s_mov_b64 s[4:5], 0
                                        ; implicit-def: $sgpr24
	s_waitcnt vmcnt(0) lgkmcnt(0)
	v_cmp_gt_i16_sdwa s[20:21], v8, s17 src0_sel:BYTE_0 src1_sel:DWORD
	s_and_saveexec_b64 s[22:23], s[20:21]
	s_xor_b64 s[20:21], exec, s[22:23]
	s_cbranch_execnz .LBB282_335
; %bb.86:                               ;   in Loop: Header=BB282_9 Depth=1
	s_or_saveexec_b64 s[20:21], s[20:21]
	v_mov_b32_e32 v0, s24
	s_xor_b64 exec, exec, s[20:21]
	s_cbranch_execnz .LBB282_338
.LBB282_87:                             ;   in Loop: Header=BB282_9 Depth=1
	s_or_b64 exec, exec, s[20:21]
	s_and_saveexec_b64 s[20:21], s[4:5]
	s_cbranch_execz .LBB282_89
.LBB282_88:                             ;   in Loop: Header=BB282_9 Depth=1
	v_and_b32_e32 v2, 7, v8
	v_ffbh_u32_e32 v0, v2
	v_min_u32_e32 v4, 32, v0
	v_subrev_u32_e32 v0, 28, v4
	v_bfe_u32 v3, v8, 3, 4
	v_lshlrev_b64 v[0:1], v0, v[8:9]
	v_sub_u32_e32 v1, 29, v4
	v_cmp_eq_u32_e64 s[4:5], 0, v3
	v_and_b32_e32 v0, 7, v0
	s_nop 0
	v_cndmask_b32_e64 v1, v3, v1, s[4:5]
	v_mov_b32_e32 v3, 0x1c00
	v_cndmask_b32_e64 v0, v2, v0, s[4:5]
	v_lshlrev_b32_e32 v2, 8, v8
	v_lshl_add_u32 v1, v1, 10, v3
	v_and_or_b32 v1, v2, s27, v1
	v_lshl_or_b32 v0, v0, 7, v1
	v_cvt_f32_f16_e32 v0, v0
.LBB282_89:                             ;   in Loop: Header=BB282_9 Depth=1
	s_or_b64 exec, exec, s[20:21]
	v_lshrrev_b16_e32 v4, 8, v8
	v_accvgpr_write_b32 a43, v0
	v_cmp_lt_i16_e64 s[4:5], s17, v4
	s_mov_b64 s[20:21], 0
                                        ; implicit-def: $sgpr28
	s_and_saveexec_b64 s[22:23], s[4:5]
	s_xor_b64 s[22:23], exec, s[22:23]
	s_cbranch_execnz .LBB282_339
; %bb.90:                               ;   in Loop: Header=BB282_9 Depth=1
	s_or_saveexec_b64 s[22:23], s[22:23]
	v_mov_b32_e32 v29, s28
	s_xor_b64 exec, exec, s[22:23]
	s_cbranch_execnz .LBB282_342
.LBB282_91:                             ;   in Loop: Header=BB282_9 Depth=1
	s_or_b64 exec, exec, s[22:23]
	s_and_saveexec_b64 s[22:23], s[20:21]
	s_cbranch_execz .LBB282_93
.LBB282_92:                             ;   in Loop: Header=BB282_9 Depth=1
	v_and_b32_e32 v2, 7, v4
	v_ffbh_u32_e32 v0, v2
	v_min_u32_e32 v6, 32, v0
	v_subrev_u32_e32 v0, 28, v6
	v_bfe_u32 v3, v4, 3, 4
	v_lshlrev_b64 v[0:1], v0, v[4:5]
	v_sub_u32_e32 v1, 29, v6
	v_cmp_eq_u32_e64 s[4:5], 0, v3
	v_and_b32_e32 v0, 7, v0
	s_nop 0
	v_cndmask_b32_e64 v1, v3, v1, s[4:5]
	v_mov_b32_e32 v3, 0x1c00
	v_cndmask_b32_e64 v0, v2, v0, s[4:5]
	v_lshlrev_b32_e32 v2, 8, v4
	v_lshl_add_u32 v1, v1, 10, v3
	v_and_or_b32 v1, v2, s27, v1
	v_lshl_or_b32 v0, v0, 7, v1
	v_cvt_f32_f16_e32 v29, v0
.LBB282_93:                             ;   in Loop: Header=BB282_9 Depth=1
	s_or_b64 exec, exec, s[22:23]
	v_lshrrev_b32_e32 v4, 16, v8
	v_cmp_gt_i16_sdwa s[20:21], v4, s17 src0_sel:BYTE_0 src1_sel:DWORD
	s_mov_b64 s[4:5], 0
                                        ; implicit-def: $sgpr24
	s_and_saveexec_b64 s[22:23], s[20:21]
	s_xor_b64 s[20:21], exec, s[22:23]
	s_cbranch_execnz .LBB282_343
; %bb.94:                               ;   in Loop: Header=BB282_9 Depth=1
	s_or_saveexec_b64 s[20:21], s[20:21]
	v_mov_b32_e32 v49, s24
	s_xor_b64 exec, exec, s[20:21]
	s_cbranch_execnz .LBB282_346
.LBB282_95:                             ;   in Loop: Header=BB282_9 Depth=1
	s_or_b64 exec, exec, s[20:21]
	s_and_saveexec_b64 s[20:21], s[4:5]
	s_cbranch_execz .LBB282_97
.LBB282_96:                             ;   in Loop: Header=BB282_9 Depth=1
	v_bfe_u32 v2, v8, 16, 3
	v_ffbh_u32_e32 v0, v2
	v_min_u32_e32 v6, 32, v0
	v_subrev_u32_e32 v0, 28, v6
	v_bfe_u32 v3, v8, 19, 4
	v_lshlrev_b64 v[0:1], v0, v[4:5]
	v_sub_u32_e32 v1, 29, v6
	v_cmp_eq_u32_e64 s[4:5], 0, v3
	v_and_b32_e32 v0, 7, v0
	s_nop 0
	v_cndmask_b32_e64 v1, v3, v1, s[4:5]
	v_mov_b32_e32 v3, 0x1c00
	v_cndmask_b32_e64 v0, v2, v0, s[4:5]
	v_lshlrev_b32_e32 v2, 8, v4
	v_lshl_add_u32 v1, v1, 10, v3
	v_and_or_b32 v1, v2, s27, v1
	v_lshl_or_b32 v0, v0, 7, v1
	v_cvt_f32_f16_e32 v49, v0
.LBB282_97:                             ;   in Loop: Header=BB282_9 Depth=1
	s_or_b64 exec, exec, s[20:21]
	v_lshrrev_b32_e32 v4, 24, v8
	v_cmp_lt_i16_e64 s[4:5], s17, v4
	s_mov_b64 s[20:21], 0
                                        ; implicit-def: $sgpr28
	s_and_saveexec_b64 s[22:23], s[4:5]
	s_xor_b64 s[22:23], exec, s[22:23]
	s_cbranch_execnz .LBB282_347
; %bb.98:                               ;   in Loop: Header=BB282_9 Depth=1
	s_or_saveexec_b64 s[22:23], s[22:23]
	v_mov_b32_e32 v19, s28
	s_xor_b64 exec, exec, s[22:23]
	s_cbranch_execnz .LBB282_350
.LBB282_99:                             ;   in Loop: Header=BB282_9 Depth=1
	s_or_b64 exec, exec, s[22:23]
	s_and_saveexec_b64 s[22:23], s[20:21]
	s_cbranch_execz .LBB282_101
.LBB282_100:                            ;   in Loop: Header=BB282_9 Depth=1
	v_bfe_u32 v2, v8, 24, 3
	v_ffbh_u32_e32 v0, v2
	v_min_u32_e32 v6, 32, v0
	v_subrev_u32_e32 v0, 28, v6
	v_bfe_u32 v3, v8, 27, 4
	v_lshlrev_b64 v[0:1], v0, v[4:5]
	v_sub_u32_e32 v1, 29, v6
	v_cmp_eq_u32_e64 s[4:5], 0, v3
	v_and_b32_e32 v0, 7, v0
	s_nop 0
	v_cndmask_b32_e64 v1, v3, v1, s[4:5]
	v_mov_b32_e32 v3, 0x1c00
	v_cndmask_b32_e64 v0, v2, v0, s[4:5]
	v_lshlrev_b32_e32 v2, 8, v4
	v_lshl_add_u32 v1, v1, 10, v3
	v_and_or_b32 v1, v2, s27, v1
	v_lshl_or_b32 v0, v0, 7, v1
	v_cvt_f32_f16_e32 v19, v0
.LBB282_101:                            ;   in Loop: Header=BB282_9 Depth=1
	s_or_b64 exec, exec, s[22:23]
	flat_load_dword v8, v[30:31] offset:1032
	s_mov_b64 s[4:5], 0
                                        ; implicit-def: $sgpr24
	s_waitcnt vmcnt(0) lgkmcnt(0)
	v_cmp_gt_i16_sdwa s[20:21], v8, s17 src0_sel:BYTE_0 src1_sel:DWORD
	s_and_saveexec_b64 s[22:23], s[20:21]
	s_xor_b64 s[20:21], exec, s[22:23]
	s_cbranch_execnz .LBB282_351
; %bb.102:                              ;   in Loop: Header=BB282_9 Depth=1
	s_or_saveexec_b64 s[20:21], s[20:21]
	v_mov_b32_e32 v0, s24
	s_xor_b64 exec, exec, s[20:21]
	s_cbranch_execnz .LBB282_354
.LBB282_103:                            ;   in Loop: Header=BB282_9 Depth=1
	s_or_b64 exec, exec, s[20:21]
	s_and_saveexec_b64 s[20:21], s[4:5]
	s_cbranch_execz .LBB282_105
.LBB282_104:                            ;   in Loop: Header=BB282_9 Depth=1
	v_and_b32_e32 v2, 7, v8
	v_ffbh_u32_e32 v0, v2
	v_min_u32_e32 v4, 32, v0
	v_subrev_u32_e32 v0, 28, v4
	v_bfe_u32 v3, v8, 3, 4
	v_lshlrev_b64 v[0:1], v0, v[8:9]
	v_sub_u32_e32 v1, 29, v4
	v_cmp_eq_u32_e64 s[4:5], 0, v3
	v_and_b32_e32 v0, 7, v0
	s_nop 0
	v_cndmask_b32_e64 v1, v3, v1, s[4:5]
	v_mov_b32_e32 v3, 0x1c00
	v_cndmask_b32_e64 v0, v2, v0, s[4:5]
	v_lshlrev_b32_e32 v2, 8, v8
	v_lshl_add_u32 v1, v1, 10, v3
	v_and_or_b32 v1, v2, s27, v1
	v_lshl_or_b32 v0, v0, 7, v1
	v_cvt_f32_f16_e32 v0, v0
.LBB282_105:                            ;   in Loop: Header=BB282_9 Depth=1
	s_or_b64 exec, exec, s[20:21]
	v_lshrrev_b16_e32 v4, 8, v8
	v_accvgpr_write_b32 a45, v0
	v_cmp_lt_i16_e64 s[4:5], s17, v4
	s_mov_b64 s[20:21], 0
                                        ; implicit-def: $sgpr28
	s_and_saveexec_b64 s[22:23], s[4:5]
	s_xor_b64 s[22:23], exec, s[22:23]
	s_cbranch_execnz .LBB282_355
; %bb.106:                              ;   in Loop: Header=BB282_9 Depth=1
	s_or_saveexec_b64 s[22:23], s[22:23]
	v_mov_b32_e32 v39, s28
	s_xor_b64 exec, exec, s[22:23]
	s_cbranch_execnz .LBB282_358
.LBB282_107:                            ;   in Loop: Header=BB282_9 Depth=1
	s_or_b64 exec, exec, s[22:23]
	s_and_saveexec_b64 s[22:23], s[20:21]
	s_cbranch_execz .LBB282_109
.LBB282_108:                            ;   in Loop: Header=BB282_9 Depth=1
	v_and_b32_e32 v2, 7, v4
	v_ffbh_u32_e32 v0, v2
	v_min_u32_e32 v6, 32, v0
	v_subrev_u32_e32 v0, 28, v6
	v_bfe_u32 v3, v4, 3, 4
	v_lshlrev_b64 v[0:1], v0, v[4:5]
	v_sub_u32_e32 v1, 29, v6
	v_cmp_eq_u32_e64 s[4:5], 0, v3
	v_and_b32_e32 v0, 7, v0
	s_nop 0
	v_cndmask_b32_e64 v1, v3, v1, s[4:5]
	v_mov_b32_e32 v3, 0x1c00
	v_cndmask_b32_e64 v0, v2, v0, s[4:5]
	v_lshlrev_b32_e32 v2, 8, v4
	v_lshl_add_u32 v1, v1, 10, v3
	v_and_or_b32 v1, v2, s27, v1
	v_lshl_or_b32 v0, v0, 7, v1
	v_cvt_f32_f16_e32 v39, v0
.LBB282_109:                            ;   in Loop: Header=BB282_9 Depth=1
	s_or_b64 exec, exec, s[22:23]
	v_lshrrev_b32_e32 v4, 16, v8
	v_cmp_gt_i16_sdwa s[20:21], v4, s17 src0_sel:BYTE_0 src1_sel:DWORD
	s_mov_b64 s[4:5], 0
                                        ; implicit-def: $sgpr24
	s_and_saveexec_b64 s[22:23], s[20:21]
	s_xor_b64 s[20:21], exec, s[22:23]
	s_cbranch_execnz .LBB282_359
; %bb.110:                              ;   in Loop: Header=BB282_9 Depth=1
	s_or_saveexec_b64 s[20:21], s[20:21]
	v_mov_b32_e32 v2, s24
	s_xor_b64 exec, exec, s[20:21]
	s_cbranch_execnz .LBB282_362
.LBB282_111:                            ;   in Loop: Header=BB282_9 Depth=1
	s_or_b64 exec, exec, s[20:21]
	s_and_saveexec_b64 s[20:21], s[4:5]
	s_cbranch_execz .LBB282_113
.LBB282_112:                            ;   in Loop: Header=BB282_9 Depth=1
	v_bfe_u32 v2, v8, 16, 3
	v_ffbh_u32_e32 v0, v2
	v_min_u32_e32 v6, 32, v0
	v_subrev_u32_e32 v0, 28, v6
	v_bfe_u32 v3, v8, 19, 4
	v_lshlrev_b64 v[0:1], v0, v[4:5]
	v_sub_u32_e32 v1, 29, v6
	v_cmp_eq_u32_e64 s[4:5], 0, v3
	v_and_b32_e32 v0, 7, v0
	s_nop 0
	v_cndmask_b32_e64 v1, v3, v1, s[4:5]
	v_mov_b32_e32 v3, 0x1c00
	v_cndmask_b32_e64 v0, v2, v0, s[4:5]
	v_lshlrev_b32_e32 v2, 8, v4
	v_lshl_add_u32 v1, v1, 10, v3
	v_and_or_b32 v1, v2, s27, v1
	v_lshl_or_b32 v0, v0, 7, v1
	v_cvt_f32_f16_e32 v2, v0
.LBB282_113:                            ;   in Loop: Header=BB282_9 Depth=1
	s_or_b64 exec, exec, s[20:21]
	v_lshrrev_b32_e32 v4, 24, v8
	v_cmp_lt_i16_e64 s[4:5], s17, v4
	s_mov_b64 s[20:21], 0
                                        ; implicit-def: $sgpr28
	s_and_saveexec_b64 s[22:23], s[4:5]
	s_xor_b64 s[22:23], exec, s[22:23]
	s_cbranch_execnz .LBB282_363
; %bb.114:                              ;   in Loop: Header=BB282_9 Depth=1
	s_or_saveexec_b64 s[22:23], s[22:23]
	v_mov_b32_e32 v3, s28
	s_xor_b64 exec, exec, s[22:23]
	s_cbranch_execnz .LBB282_366
.LBB282_115:                            ;   in Loop: Header=BB282_9 Depth=1
	s_or_b64 exec, exec, s[22:23]
	s_and_saveexec_b64 s[22:23], s[20:21]
	s_cbranch_execz .LBB282_117
.LBB282_116:                            ;   in Loop: Header=BB282_9 Depth=1
	v_bfe_u32 v3, v8, 24, 3
	v_ffbh_u32_e32 v0, v3
	v_min_u32_e32 v7, 32, v0
	v_subrev_u32_e32 v0, 28, v7
	v_bfe_u32 v6, v8, 27, 4
	v_lshlrev_b64 v[0:1], v0, v[4:5]
	v_sub_u32_e32 v1, 29, v7
	v_and_b32_e32 v0, 7, v0
	v_cmp_eq_u32_e64 s[4:5], 0, v6
	s_nop 1
	v_cndmask_b32_e64 v1, v6, v1, s[4:5]
	v_cndmask_b32_e64 v0, v3, v0, s[4:5]
	v_lshlrev_b32_e32 v3, 8, v4
	v_mov_b32_e32 v4, 0x1c00
	v_lshl_add_u32 v1, v1, 10, v4
	v_and_or_b32 v1, v3, s27, v1
	v_lshl_or_b32 v0, v0, 7, v1
	v_cvt_f32_f16_e32 v3, v0
.LBB282_117:                            ;   in Loop: Header=BB282_9 Depth=1
	s_or_b64 exec, exec, s[22:23]
	flat_load_dword v8, v[30:31] offset:1536
	s_mov_b64 s[4:5], 0
                                        ; implicit-def: $sgpr24
	s_waitcnt vmcnt(0) lgkmcnt(0)
	v_cmp_gt_i16_sdwa s[20:21], v8, s17 src0_sel:BYTE_0 src1_sel:DWORD
	s_and_saveexec_b64 s[22:23], s[20:21]
	s_xor_b64 s[20:21], exec, s[22:23]
	s_cbranch_execnz .LBB282_367
; %bb.118:                              ;   in Loop: Header=BB282_9 Depth=1
	s_or_saveexec_b64 s[20:21], s[20:21]
	v_mov_b32_e32 v0, s24
	s_xor_b64 exec, exec, s[20:21]
	s_cbranch_execnz .LBB282_370
.LBB282_119:                            ;   in Loop: Header=BB282_9 Depth=1
	s_or_b64 exec, exec, s[20:21]
	s_and_saveexec_b64 s[20:21], s[4:5]
	s_cbranch_execz .LBB282_121
.LBB282_120:                            ;   in Loop: Header=BB282_9 Depth=1
	v_and_b32_e32 v4, 7, v8
	v_ffbh_u32_e32 v0, v4
	v_min_u32_e32 v7, 32, v0
	v_subrev_u32_e32 v0, 28, v7
	v_bfe_u32 v6, v8, 3, 4
	v_lshlrev_b64 v[0:1], v0, v[8:9]
	v_sub_u32_e32 v1, 29, v7
	v_cmp_eq_u32_e64 s[4:5], 0, v6
	v_and_b32_e32 v0, 7, v0
	s_nop 0
	v_cndmask_b32_e64 v1, v6, v1, s[4:5]
	v_mov_b32_e32 v6, 0x1c00
	v_cndmask_b32_e64 v0, v4, v0, s[4:5]
	v_lshlrev_b32_e32 v4, 8, v8
	v_lshl_add_u32 v1, v1, 10, v6
	v_and_or_b32 v1, v4, s27, v1
	v_lshl_or_b32 v0, v0, 7, v1
	v_cvt_f32_f16_e32 v0, v0
.LBB282_121:                            ;   in Loop: Header=BB282_9 Depth=1
	s_or_b64 exec, exec, s[20:21]
	v_lshrrev_b16_e32 v4, 8, v8
	v_cmp_lt_i16_e64 s[4:5], s17, v4
	s_mov_b64 s[20:21], 0
                                        ; implicit-def: $sgpr28
	s_and_saveexec_b64 s[22:23], s[4:5]
	s_xor_b64 s[22:23], exec, s[22:23]
	s_cbranch_execnz .LBB282_371
; %bb.122:                              ;   in Loop: Header=BB282_9 Depth=1
	s_or_saveexec_b64 s[22:23], s[22:23]
	v_mov_b32_e32 v1, s28
	s_xor_b64 exec, exec, s[22:23]
	s_cbranch_execnz .LBB282_374
.LBB282_123:                            ;   in Loop: Header=BB282_9 Depth=1
	s_or_b64 exec, exec, s[22:23]
	s_and_saveexec_b64 s[22:23], s[20:21]
	s_cbranch_execz .LBB282_125
.LBB282_124:                            ;   in Loop: Header=BB282_9 Depth=1
	v_and_b32_e32 v1, 7, v4
	v_ffbh_u32_e32 v6, v1
	v_min_u32_e32 v10, 32, v6
	v_subrev_u32_e32 v6, 28, v10
	v_bfe_u32 v9, v4, 3, 4
	v_lshlrev_b64 v[6:7], v6, v[4:5]
	v_sub_u32_e32 v7, 29, v10
	v_and_b32_e32 v6, 7, v6
	v_cmp_eq_u32_e64 s[4:5], 0, v9
	v_lshlrev_b32_e32 v4, 8, v4
	s_nop 0
	v_cndmask_b32_e64 v7, v9, v7, s[4:5]
	v_cndmask_b32_e64 v1, v1, v6, s[4:5]
	v_mov_b32_e32 v6, 0x1c00
	v_lshl_add_u32 v6, v7, 10, v6
	v_and_or_b32 v4, v4, s27, v6
	v_lshl_or_b32 v1, v1, 7, v4
	v_cvt_f32_f16_e32 v1, v1
.LBB282_125:                            ;   in Loop: Header=BB282_9 Depth=1
	s_or_b64 exec, exec, s[22:23]
	v_lshrrev_b32_e32 v4, 16, v8
	v_cmp_gt_i16_sdwa s[20:21], v4, s17 src0_sel:BYTE_0 src1_sel:DWORD
	s_mov_b64 s[4:5], 0
                                        ; implicit-def: $sgpr24
	s_and_saveexec_b64 s[22:23], s[20:21]
	s_xor_b64 s[20:21], exec, s[22:23]
	s_cbranch_execnz .LBB282_375
; %bb.126:                              ;   in Loop: Header=BB282_9 Depth=1
	s_or_saveexec_b64 s[20:21], s[20:21]
	v_mov_b32_e32 v16, s24
	s_xor_b64 exec, exec, s[20:21]
	s_cbranch_execnz .LBB282_378
.LBB282_127:                            ;   in Loop: Header=BB282_9 Depth=1
	s_or_b64 exec, exec, s[20:21]
	s_and_saveexec_b64 s[20:21], s[4:5]
	s_cbranch_execz .LBB282_129
.LBB282_128:                            ;   in Loop: Header=BB282_9 Depth=1
	v_bfe_u32 v9, v8, 16, 3
	v_ffbh_u32_e32 v6, v9
	v_min_u32_e32 v11, 32, v6
	v_subrev_u32_e32 v6, 28, v11
	v_bfe_u32 v10, v8, 19, 4
	v_lshlrev_b64 v[6:7], v6, v[4:5]
	v_sub_u32_e32 v7, 29, v11
	v_and_b32_e32 v6, 7, v6
	v_cmp_eq_u32_e64 s[4:5], 0, v10
	v_lshlrev_b32_e32 v4, 8, v4
	s_nop 0
	v_cndmask_b32_e64 v7, v10, v7, s[4:5]
	v_cndmask_b32_e64 v6, v9, v6, s[4:5]
	v_mov_b32_e32 v9, 0x1c00
	v_lshl_add_u32 v7, v7, 10, v9
	v_and_or_b32 v4, v4, s27, v7
	v_lshl_or_b32 v4, v6, 7, v4
	v_cvt_f32_f16_e32 v16, v4
.LBB282_129:                            ;   in Loop: Header=BB282_9 Depth=1
	s_or_b64 exec, exec, s[20:21]
	v_lshrrev_b32_e32 v4, 24, v8
	v_cmp_lt_i16_e64 s[4:5], s17, v4
	s_mov_b64 s[20:21], 0
                                        ; implicit-def: $sgpr28
	s_and_saveexec_b64 s[22:23], s[4:5]
	s_xor_b64 s[22:23], exec, s[22:23]
	s_cbranch_execnz .LBB282_379
; %bb.130:                              ;   in Loop: Header=BB282_9 Depth=1
	s_or_saveexec_b64 s[22:23], s[22:23]
	v_mov_b32_e32 v7, s28
	s_xor_b64 exec, exec, s[22:23]
	s_cbranch_execnz .LBB282_382
.LBB282_131:                            ;   in Loop: Header=BB282_9 Depth=1
	s_or_b64 exec, exec, s[22:23]
	s_and_saveexec_b64 s[22:23], s[20:21]
	s_cbranch_execz .LBB282_133
.LBB282_132:                            ;   in Loop: Header=BB282_9 Depth=1
	v_bfe_u32 v9, v8, 24, 3
	v_ffbh_u32_e32 v6, v9
	v_min_u32_e32 v10, 32, v6
	v_subrev_u32_e32 v6, 28, v10
	v_bfe_u32 v8, v8, 27, 4
	v_lshlrev_b64 v[6:7], v6, v[4:5]
	v_sub_u32_e32 v7, 29, v10
	v_cmp_eq_u32_e64 s[4:5], 0, v8
	v_and_b32_e32 v6, 7, v6
	v_lshlrev_b32_e32 v4, 8, v4
	v_cndmask_b32_e64 v7, v8, v7, s[4:5]
	v_mov_b32_e32 v8, 0x1c00
	v_lshl_add_u32 v7, v7, 10, v8
	v_cndmask_b32_e64 v6, v9, v6, s[4:5]
	v_and_or_b32 v4, v4, s27, v7
	v_lshl_or_b32 v4, v6, 7, v4
	v_cvt_f32_f16_e32 v7, v4
.LBB282_133:                            ;   in Loop: Header=BB282_9 Depth=1
	s_or_b64 exec, exec, s[22:23]
	flat_load_dword v8, v[30:31] offset:1544
	s_mov_b64 s[4:5], 0
                                        ; implicit-def: $sgpr24
	s_waitcnt vmcnt(0) lgkmcnt(0)
	v_cmp_gt_i16_sdwa s[20:21], v8, s17 src0_sel:BYTE_0 src1_sel:DWORD
	s_and_saveexec_b64 s[22:23], s[20:21]
	s_xor_b64 s[20:21], exec, s[22:23]
	s_cbranch_execnz .LBB282_383
; %bb.134:                              ;   in Loop: Header=BB282_9 Depth=1
	s_or_saveexec_b64 s[20:21], s[20:21]
	v_mov_b32_e32 v6, s24
	s_xor_b64 exec, exec, s[20:21]
	s_cbranch_execnz .LBB282_386
.LBB282_135:                            ;   in Loop: Header=BB282_9 Depth=1
	s_or_b64 exec, exec, s[20:21]
	s_and_saveexec_b64 s[20:21], s[4:5]
	s_cbranch_execz .LBB282_137
.LBB282_136:                            ;   in Loop: Header=BB282_9 Depth=1
	v_and_b32_e32 v4, 7, v8
	v_ffbh_u32_e32 v9, v4
	v_min_u32_e32 v9, 32, v9
	v_subrev_u32_e32 v10, 28, v9
	v_bfe_u32 v6, v8, 3, 4
	v_lshlrev_b64 v[10:11], v10, v[8:9]
	v_sub_u32_e32 v9, 29, v9
	v_and_b32_e32 v10, 7, v10
	v_cmp_eq_u32_e64 s[4:5], 0, v6
	s_nop 1
	v_cndmask_b32_e64 v6, v6, v9, s[4:5]
	v_cndmask_b32_e64 v4, v4, v10, s[4:5]
	v_mov_b32_e32 v10, 0x1c00
	v_lshlrev_b32_e32 v9, 8, v8
	v_lshl_add_u32 v6, v6, 10, v10
	v_and_or_b32 v6, v9, s27, v6
	v_lshl_or_b32 v4, v4, 7, v6
	v_cvt_f32_f16_e32 v6, v4
.LBB282_137:                            ;   in Loop: Header=BB282_9 Depth=1
	s_or_b64 exec, exec, s[20:21]
	v_lshrrev_b16_e32 v4, 8, v8
	v_cmp_lt_i16_e64 s[4:5], s17, v4
	s_mov_b64 s[20:21], 0
                                        ; implicit-def: $sgpr28
	s_and_saveexec_b64 s[22:23], s[4:5]
	s_xor_b64 s[22:23], exec, s[22:23]
	s_cbranch_execnz .LBB282_387
; %bb.138:                              ;   in Loop: Header=BB282_9 Depth=1
	s_or_saveexec_b64 s[22:23], s[22:23]
	v_mov_b32_e32 v32, s28
	s_xor_b64 exec, exec, s[22:23]
	s_cbranch_execnz .LBB282_390
.LBB282_139:                            ;   in Loop: Header=BB282_9 Depth=1
	s_or_b64 exec, exec, s[22:23]
	s_and_saveexec_b64 s[22:23], s[20:21]
	s_cbranch_execz .LBB282_141
.LBB282_140:                            ;   in Loop: Header=BB282_9 Depth=1
	v_and_b32_e32 v9, 7, v4
	v_ffbh_u32_e32 v10, v9
	v_min_u32_e32 v14, 32, v10
	v_subrev_u32_e32 v10, 28, v14
	v_bfe_u32 v13, v4, 3, 4
	v_lshlrev_b64 v[10:11], v10, v[4:5]
	v_sub_u32_e32 v11, 29, v14
	v_and_b32_e32 v10, 7, v10
	v_cmp_eq_u32_e64 s[4:5], 0, v13
	v_lshlrev_b32_e32 v4, 8, v4
	s_nop 0
	v_cndmask_b32_e64 v11, v13, v11, s[4:5]
	v_cndmask_b32_e64 v9, v9, v10, s[4:5]
	v_mov_b32_e32 v10, 0x1c00
	v_lshl_add_u32 v10, v11, 10, v10
	v_and_or_b32 v4, v4, s27, v10
	v_lshl_or_b32 v4, v9, 7, v4
	v_cvt_f32_f16_e32 v32, v4
.LBB282_141:                            ;   in Loop: Header=BB282_9 Depth=1
	s_or_b64 exec, exec, s[22:23]
	v_lshrrev_b32_e32 v4, 16, v8
	v_cmp_gt_i16_sdwa s[20:21], v4, s17 src0_sel:BYTE_0 src1_sel:DWORD
	s_mov_b64 s[4:5], 0
                                        ; implicit-def: $sgpr24
	s_and_saveexec_b64 s[22:23], s[20:21]
	s_xor_b64 s[20:21], exec, s[22:23]
	s_cbranch_execnz .LBB282_391
; %bb.142:                              ;   in Loop: Header=BB282_9 Depth=1
	s_or_saveexec_b64 s[20:21], s[20:21]
	v_mov_b32_e32 v14, s24
	s_xor_b64 exec, exec, s[20:21]
	s_cbranch_execnz .LBB282_394
.LBB282_143:                            ;   in Loop: Header=BB282_9 Depth=1
	s_or_b64 exec, exec, s[20:21]
	s_and_saveexec_b64 s[20:21], s[4:5]
	s_cbranch_execz .LBB282_145
.LBB282_144:                            ;   in Loop: Header=BB282_9 Depth=1
	v_bfe_u32 v9, v8, 16, 3
	v_ffbh_u32_e32 v10, v9
	v_min_u32_e32 v14, 32, v10
	v_subrev_u32_e32 v10, 28, v14
	v_bfe_u32 v13, v8, 19, 4
	v_lshlrev_b64 v[10:11], v10, v[4:5]
	v_sub_u32_e32 v11, 29, v14
	v_and_b32_e32 v10, 7, v10
	v_cmp_eq_u32_e64 s[4:5], 0, v13
	v_lshlrev_b32_e32 v4, 8, v4
	s_nop 0
	v_cndmask_b32_e64 v11, v13, v11, s[4:5]
	v_cndmask_b32_e64 v9, v9, v10, s[4:5]
	v_mov_b32_e32 v10, 0x1c00
	v_lshl_add_u32 v10, v11, 10, v10
	v_and_or_b32 v4, v4, s27, v10
	v_lshl_or_b32 v4, v9, 7, v4
	v_cvt_f32_f16_e32 v14, v4
.LBB282_145:                            ;   in Loop: Header=BB282_9 Depth=1
	s_or_b64 exec, exec, s[20:21]
	v_lshrrev_b32_e32 v4, 24, v8
	v_cmp_lt_i16_e64 s[4:5], s17, v4
	s_mov_b64 s[20:21], 0
                                        ; implicit-def: $sgpr28
	s_and_saveexec_b64 s[22:23], s[4:5]
	s_xor_b64 s[22:23], exec, s[22:23]
	s_cbranch_execnz .LBB282_395
; %bb.146:                              ;   in Loop: Header=BB282_9 Depth=1
	s_or_saveexec_b64 s[22:23], s[22:23]
	v_mov_b32_e32 v15, s28
	s_xor_b64 exec, exec, s[22:23]
	s_cbranch_execnz .LBB282_398
.LBB282_147:                            ;   in Loop: Header=BB282_9 Depth=1
	s_or_b64 exec, exec, s[22:23]
	s_and_saveexec_b64 s[22:23], s[20:21]
	s_cbranch_execz .LBB282_149
.LBB282_148:                            ;   in Loop: Header=BB282_9 Depth=1
	v_bfe_u32 v10, v8, 24, 3
	v_bfe_u32 v11, v8, 27, 4
	v_ffbh_u32_e32 v8, v10
	v_min_u32_e32 v13, 32, v8
	v_subrev_u32_e32 v8, 28, v13
	v_lshlrev_b64 v[8:9], v8, v[4:5]
	v_sub_u32_e32 v9, 29, v13
	v_and_b32_e32 v8, 7, v8
	v_cmp_eq_u32_e64 s[4:5], 0, v11
	v_lshlrev_b32_e32 v4, 8, v4
	s_nop 0
	v_cndmask_b32_e64 v9, v11, v9, s[4:5]
	v_cndmask_b32_e64 v8, v10, v8, s[4:5]
	v_mov_b32_e32 v10, 0x1c00
	v_lshl_add_u32 v9, v9, 10, v10
	v_and_or_b32 v4, v4, s27, v9
	v_lshl_or_b32 v4, v8, 7, v4
	v_cvt_f32_f16_e32 v15, v4
.LBB282_149:                            ;   in Loop: Header=BB282_9 Depth=1
	s_or_b64 exec, exec, s[22:23]
	flat_load_dword v8, v[30:31] offset:2048
	s_mov_b64 s[4:5], 0
                                        ; implicit-def: $sgpr24
	s_waitcnt vmcnt(0) lgkmcnt(0)
	v_cmp_gt_i16_sdwa s[20:21], v8, s17 src0_sel:BYTE_0 src1_sel:DWORD
	s_and_saveexec_b64 s[22:23], s[20:21]
	s_xor_b64 s[20:21], exec, s[22:23]
	s_cbranch_execnz .LBB282_399
; %bb.150:                              ;   in Loop: Header=BB282_9 Depth=1
	s_or_saveexec_b64 s[20:21], s[20:21]
	v_mov_b32_e32 v10, s24
	s_xor_b64 exec, exec, s[20:21]
	s_cbranch_execnz .LBB282_402
.LBB282_151:                            ;   in Loop: Header=BB282_9 Depth=1
	s_or_b64 exec, exec, s[20:21]
	s_and_saveexec_b64 s[20:21], s[4:5]
	s_cbranch_execz .LBB282_153
.LBB282_152:                            ;   in Loop: Header=BB282_9 Depth=1
	v_and_b32_e32 v4, 7, v8
	v_ffbh_u32_e32 v10, v4
	v_min_u32_e32 v13, 32, v10
	v_bfe_u32 v9, v8, 3, 4
	v_subrev_u32_e32 v10, 28, v13
	v_lshlrev_b64 v[10:11], v10, v[8:9]
	v_sub_u32_e32 v11, 29, v13
	v_cmp_eq_u32_e64 s[4:5], 0, v9
	v_and_b32_e32 v10, 7, v10
	s_nop 0
	v_cndmask_b32_e64 v9, v9, v11, s[4:5]
	v_mov_b32_e32 v11, 0x1c00
	v_cndmask_b32_e64 v4, v4, v10, s[4:5]
	v_lshlrev_b32_e32 v10, 8, v8
	v_lshl_add_u32 v9, v9, 10, v11
	v_and_or_b32 v9, v10, s27, v9
	v_lshl_or_b32 v4, v4, 7, v9
	v_cvt_f32_f16_e32 v10, v4
.LBB282_153:                            ;   in Loop: Header=BB282_9 Depth=1
	s_or_b64 exec, exec, s[20:21]
	v_lshrrev_b16_e32 v4, 8, v8
	v_cmp_lt_i16_e64 s[4:5], s17, v4
	s_mov_b64 s[20:21], 0
                                        ; implicit-def: $sgpr28
	s_and_saveexec_b64 s[22:23], s[4:5]
	s_xor_b64 s[22:23], exec, s[22:23]
	s_cbranch_execnz .LBB282_403
; %bb.154:                              ;   in Loop: Header=BB282_9 Depth=1
	s_or_saveexec_b64 s[22:23], s[22:23]
	v_mov_b32_e32 v11, s28
	s_xor_b64 exec, exec, s[22:23]
	s_cbranch_execnz .LBB282_406
.LBB282_155:                            ;   in Loop: Header=BB282_9 Depth=1
	s_or_b64 exec, exec, s[22:23]
	s_and_saveexec_b64 s[22:23], s[20:21]
	s_cbranch_execz .LBB282_157
.LBB282_156:                            ;   in Loop: Header=BB282_9 Depth=1
	v_and_b32_e32 v9, 7, v4
	v_ffbh_u32_e32 v13, v9
	v_bfe_u32 v11, v4, 3, 4
	v_min_u32_e32 v13, 32, v13
	v_subrev_u32_e32 v18, 28, v13
	v_sub_u32_e32 v13, 29, v13
	v_cmp_eq_u32_e64 s[4:5], 0, v11
	v_lshlrev_b64 v[20:21], v18, v[4:5]
	v_mov_b32_e32 v12, 0x1c00
	v_cndmask_b32_e64 v11, v11, v13, s[4:5]
	v_and_b32_e32 v18, 7, v20
	v_lshlrev_b32_e32 v4, 8, v4
	v_lshl_add_u32 v11, v11, 10, v12
	v_cndmask_b32_e64 v9, v9, v18, s[4:5]
	v_and_or_b32 v4, v4, s27, v11
	v_lshl_or_b32 v4, v9, 7, v4
	v_cvt_f32_f16_e32 v11, v4
.LBB282_157:                            ;   in Loop: Header=BB282_9 Depth=1
	s_or_b64 exec, exec, s[22:23]
	v_lshrrev_b32_e32 v4, 16, v8
	v_cmp_gt_i16_sdwa s[20:21], v4, s17 src0_sel:BYTE_0 src1_sel:DWORD
	s_mov_b64 s[4:5], 0
                                        ; implicit-def: $sgpr24
	s_and_saveexec_b64 s[22:23], s[20:21]
	s_xor_b64 s[20:21], exec, s[22:23]
	s_cbranch_execnz .LBB282_407
; %bb.158:                              ;   in Loop: Header=BB282_9 Depth=1
	s_or_saveexec_b64 s[20:21], s[20:21]
	v_mov_b32_e32 v36, s24
	s_xor_b64 exec, exec, s[20:21]
	s_cbranch_execnz .LBB282_410
.LBB282_159:                            ;   in Loop: Header=BB282_9 Depth=1
	s_or_b64 exec, exec, s[20:21]
	s_and_saveexec_b64 s[20:21], s[4:5]
	s_cbranch_execz .LBB282_161
.LBB282_160:                            ;   in Loop: Header=BB282_9 Depth=1
	v_bfe_u32 v9, v8, 16, 3
	v_ffbh_u32_e32 v18, v9
	v_bfe_u32 v13, v8, 19, 4
	v_min_u32_e32 v18, 32, v18
	v_subrev_u32_e32 v20, 28, v18
	v_sub_u32_e32 v18, 29, v18
	v_cmp_eq_u32_e64 s[4:5], 0, v13
	v_lshlrev_b64 v[20:21], v20, v[4:5]
	v_mov_b32_e32 v12, 0x1c00
	v_cndmask_b32_e64 v13, v13, v18, s[4:5]
	v_and_b32_e32 v20, 7, v20
	v_lshlrev_b32_e32 v4, 8, v4
	v_lshl_add_u32 v13, v13, 10, v12
	v_cndmask_b32_e64 v9, v9, v20, s[4:5]
	v_and_or_b32 v4, v4, s27, v13
	v_lshl_or_b32 v4, v9, 7, v4
	v_cvt_f32_f16_e32 v36, v4
.LBB282_161:                            ;   in Loop: Header=BB282_9 Depth=1
	s_or_b64 exec, exec, s[20:21]
	v_lshrrev_b32_e32 v4, 24, v8
	v_cmp_lt_i16_e64 s[4:5], s17, v4
	s_mov_b64 s[20:21], 0
                                        ; implicit-def: $sgpr28
	s_and_saveexec_b64 s[22:23], s[4:5]
	s_xor_b64 s[22:23], exec, s[22:23]
	s_cbranch_execnz .LBB282_411
; %bb.162:                              ;   in Loop: Header=BB282_9 Depth=1
	s_or_saveexec_b64 s[22:23], s[22:23]
	v_mov_b32_e32 v33, s28
	s_xor_b64 exec, exec, s[22:23]
	s_cbranch_execnz .LBB282_414
.LBB282_163:                            ;   in Loop: Header=BB282_9 Depth=1
	s_or_b64 exec, exec, s[22:23]
	s_and_saveexec_b64 s[22:23], s[20:21]
	s_cbranch_execz .LBB282_165
.LBB282_164:                            ;   in Loop: Header=BB282_9 Depth=1
	v_bfe_u32 v13, v8, 24, 3
	v_bfe_u32 v18, v8, 27, 4
	v_ffbh_u32_e32 v8, v13
	v_min_u32_e32 v20, 32, v8
	v_subrev_u32_e32 v8, 28, v20
	v_lshlrev_b64 v[8:9], v8, v[4:5]
	v_sub_u32_e32 v9, 29, v20
	v_cmp_eq_u32_e64 s[4:5], 0, v18
	v_mov_b32_e32 v12, 0x1c00
	v_and_b32_e32 v8, 7, v8
	v_cndmask_b32_e64 v9, v18, v9, s[4:5]
	v_lshlrev_b32_e32 v4, 8, v4
	v_lshl_add_u32 v9, v9, 10, v12
	v_cndmask_b32_e64 v8, v13, v8, s[4:5]
	v_and_or_b32 v4, v4, s27, v9
	v_lshl_or_b32 v4, v8, 7, v4
	v_cvt_f32_f16_e32 v33, v4
.LBB282_165:                            ;   in Loop: Header=BB282_9 Depth=1
	s_or_b64 exec, exec, s[22:23]
	flat_load_dword v8, v[30:31] offset:2056
	s_mov_b64 s[4:5], 0
                                        ; implicit-def: $sgpr24
	s_waitcnt vmcnt(0) lgkmcnt(0)
	v_cmp_gt_i16_sdwa s[20:21], v8, s17 src0_sel:BYTE_0 src1_sel:DWORD
	s_and_saveexec_b64 s[22:23], s[20:21]
	s_xor_b64 s[20:21], exec, s[22:23]
	s_cbranch_execnz .LBB282_415
; %bb.166:                              ;   in Loop: Header=BB282_9 Depth=1
	s_or_saveexec_b64 s[20:21], s[20:21]
	v_mov_b32_e32 v13, s24
	s_xor_b64 exec, exec, s[20:21]
	s_cbranch_execnz .LBB282_418
.LBB282_167:                            ;   in Loop: Header=BB282_9 Depth=1
	s_or_b64 exec, exec, s[20:21]
	s_and_saveexec_b64 s[20:21], s[4:5]
	s_cbranch_execz .LBB282_169
.LBB282_168:                            ;   in Loop: Header=BB282_9 Depth=1
	v_and_b32_e32 v4, 7, v8
	v_ffbh_u32_e32 v13, v4
	v_bfe_u32 v9, v8, 3, 4
	v_min_u32_e32 v13, 32, v13
	v_subrev_u32_e32 v18, 28, v13
	v_sub_u32_e32 v13, 29, v13
	v_cmp_eq_u32_e64 s[4:5], 0, v9
	v_lshlrev_b64 v[20:21], v18, v[8:9]
	v_mov_b32_e32 v12, 0x1c00
	v_cndmask_b32_e64 v9, v9, v13, s[4:5]
	v_and_b32_e32 v18, 7, v20
	v_lshlrev_b32_e32 v13, 8, v8
	v_lshl_add_u32 v9, v9, 10, v12
	v_cndmask_b32_e64 v4, v4, v18, s[4:5]
	v_and_or_b32 v9, v13, s27, v9
	v_lshl_or_b32 v4, v4, 7, v9
	v_cvt_f32_f16_e32 v13, v4
.LBB282_169:                            ;   in Loop: Header=BB282_9 Depth=1
	s_or_b64 exec, exec, s[20:21]
	v_lshrrev_b16_e32 v4, 8, v8
	v_cmp_lt_i16_e64 s[4:5], s17, v4
	s_mov_b64 s[20:21], 0
                                        ; implicit-def: $sgpr28
	s_and_saveexec_b64 s[22:23], s[4:5]
	s_xor_b64 s[22:23], exec, s[22:23]
	s_cbranch_execnz .LBB282_419
; %bb.170:                              ;   in Loop: Header=BB282_9 Depth=1
	s_or_saveexec_b64 s[22:23], s[22:23]
	v_mov_b32_e32 v9, s28
	s_xor_b64 exec, exec, s[22:23]
	s_cbranch_execnz .LBB282_422
.LBB282_171:                            ;   in Loop: Header=BB282_9 Depth=1
	s_or_b64 exec, exec, s[22:23]
	s_and_saveexec_b64 s[22:23], s[20:21]
	s_cbranch_execz .LBB282_173
.LBB282_172:                            ;   in Loop: Header=BB282_9 Depth=1
	v_and_b32_e32 v9, 7, v4
	v_ffbh_u32_e32 v20, v9
	v_min_u32_e32 v22, 32, v20
	v_subrev_u32_e32 v20, 28, v22
	v_bfe_u32 v18, v4, 3, 4
	v_lshlrev_b64 v[20:21], v20, v[4:5]
	v_sub_u32_e32 v21, 29, v22
	v_cmp_eq_u32_e64 s[4:5], 0, v18
	v_mov_b32_e32 v12, 0x1c00
	v_and_b32_e32 v20, 7, v20
	v_cndmask_b32_e64 v18, v18, v21, s[4:5]
	v_lshlrev_b32_e32 v4, 8, v4
	v_lshl_add_u32 v18, v18, 10, v12
	v_cndmask_b32_e64 v9, v9, v20, s[4:5]
	v_and_or_b32 v4, v4, s27, v18
	v_lshl_or_b32 v4, v9, 7, v4
	v_cvt_f32_f16_e32 v9, v4
.LBB282_173:                            ;   in Loop: Header=BB282_9 Depth=1
	s_or_b64 exec, exec, s[22:23]
	v_lshrrev_b32_e32 v4, 16, v8
	v_cmp_gt_i16_sdwa s[20:21], v4, s17 src0_sel:BYTE_0 src1_sel:DWORD
	s_mov_b64 s[4:5], 0
                                        ; implicit-def: $sgpr24
	s_and_saveexec_b64 s[22:23], s[20:21]
	s_xor_b64 s[20:21], exec, s[22:23]
	s_cbranch_execnz .LBB282_423
; %bb.174:                              ;   in Loop: Header=BB282_9 Depth=1
	s_or_saveexec_b64 s[20:21], s[20:21]
	v_mov_b32_e32 v24, s24
	s_xor_b64 exec, exec, s[20:21]
	s_cbranch_execnz .LBB282_426
.LBB282_175:                            ;   in Loop: Header=BB282_9 Depth=1
	s_or_b64 exec, exec, s[20:21]
	s_and_saveexec_b64 s[20:21], s[4:5]
	s_cbranch_execz .LBB282_177
.LBB282_176:                            ;   in Loop: Header=BB282_9 Depth=1
	v_bfe_u32 v18, v8, 16, 3
	v_ffbh_u32_e32 v20, v18
	v_min_u32_e32 v23, 32, v20
	v_subrev_u32_e32 v20, 28, v23
	v_bfe_u32 v22, v8, 19, 4
	v_lshlrev_b64 v[20:21], v20, v[4:5]
	v_sub_u32_e32 v21, 29, v23
	v_cmp_eq_u32_e64 s[4:5], 0, v22
	v_and_b32_e32 v20, 7, v20
	v_mov_b32_e32 v12, 0x1c00
	v_cndmask_b32_e64 v21, v22, v21, s[4:5]
	v_cndmask_b32_e64 v18, v18, v20, s[4:5]
	v_lshlrev_b32_e32 v4, 8, v4
	v_lshl_add_u32 v20, v21, 10, v12
	v_and_or_b32 v4, v4, s27, v20
	v_lshl_or_b32 v4, v18, 7, v4
	v_cvt_f32_f16_e32 v24, v4
.LBB282_177:                            ;   in Loop: Header=BB282_9 Depth=1
	s_or_b64 exec, exec, s[20:21]
	v_lshrrev_b32_e32 v4, 24, v8
	v_cmp_lt_i16_e64 s[4:5], s17, v4
	s_mov_b64 s[20:21], 0
                                        ; implicit-def: $sgpr28
	s_and_saveexec_b64 s[22:23], s[4:5]
	s_xor_b64 s[22:23], exec, s[22:23]
	s_cbranch_execnz .LBB282_427
; %bb.178:                              ;   in Loop: Header=BB282_9 Depth=1
	s_or_saveexec_b64 s[22:23], s[22:23]
	v_mov_b32_e32 v25, s28
	s_xor_b64 exec, exec, s[22:23]
	s_cbranch_execnz .LBB282_430
.LBB282_179:                            ;   in Loop: Header=BB282_9 Depth=1
	s_or_b64 exec, exec, s[22:23]
	s_and_saveexec_b64 s[22:23], s[20:21]
	s_cbranch_execz .LBB282_181
.LBB282_180:                            ;   in Loop: Header=BB282_9 Depth=1
	v_bfe_u32 v18, v8, 24, 3
	v_ffbh_u32_e32 v20, v18
	v_min_u32_e32 v22, 32, v20
	v_subrev_u32_e32 v20, 28, v22
	v_bfe_u32 v8, v8, 27, 4
	v_lshlrev_b64 v[20:21], v20, v[4:5]
	v_sub_u32_e32 v21, 29, v22
	v_cmp_eq_u32_e64 s[4:5], 0, v8
	v_mov_b32_e32 v12, 0x1c00
	v_and_b32_e32 v20, 7, v20
	v_cndmask_b32_e64 v8, v8, v21, s[4:5]
	v_lshlrev_b32_e32 v4, 8, v4
	v_lshl_add_u32 v8, v8, 10, v12
	v_cndmask_b32_e64 v18, v18, v20, s[4:5]
	v_and_or_b32 v4, v4, s27, v8
	v_lshl_or_b32 v4, v18, 7, v4
	v_cvt_f32_f16_e32 v25, v4
.LBB282_181:                            ;   in Loop: Header=BB282_9 Depth=1
	s_or_b64 exec, exec, s[22:23]
	flat_load_dword v8, v[30:31] offset:2560
	s_mov_b64 s[4:5], 0
                                        ; implicit-def: $sgpr24
	s_waitcnt vmcnt(0) lgkmcnt(0)
	v_cmp_gt_i16_sdwa s[20:21], v8, s17 src0_sel:BYTE_0 src1_sel:DWORD
	s_and_saveexec_b64 s[22:23], s[20:21]
	s_xor_b64 s[20:21], exec, s[22:23]
	s_cbranch_execnz .LBB282_431
; %bb.182:                              ;   in Loop: Header=BB282_9 Depth=1
	s_or_saveexec_b64 s[20:21], s[20:21]
	v_mov_b32_e32 v26, s24
	s_xor_b64 exec, exec, s[20:21]
	s_cbranch_execnz .LBB282_434
.LBB282_183:                            ;   in Loop: Header=BB282_9 Depth=1
	s_or_b64 exec, exec, s[20:21]
	s_and_saveexec_b64 s[20:21], s[4:5]
	s_cbranch_execz .LBB282_185
.LBB282_184:                            ;   in Loop: Header=BB282_9 Depth=1
	v_and_b32_e32 v4, 7, v8
	v_ffbh_u32_e32 v20, v4
	v_min_u32_e32 v22, 32, v20
	v_subrev_u32_e32 v20, 28, v22
	v_bfe_u32 v18, v8, 3, 4
	v_lshlrev_b64 v[20:21], v20, v[8:9]
	v_sub_u32_e32 v21, 29, v22
	v_cmp_eq_u32_e64 s[4:5], 0, v18
	v_and_b32_e32 v20, 7, v20
	v_mov_b32_e32 v12, 0x1c00
	v_cndmask_b32_e64 v18, v18, v21, s[4:5]
	v_cndmask_b32_e64 v4, v4, v20, s[4:5]
	v_lshlrev_b32_e32 v20, 8, v8
	v_lshl_add_u32 v18, v18, 10, v12
	v_and_or_b32 v18, v20, s27, v18
	v_lshl_or_b32 v4, v4, 7, v18
	v_cvt_f32_f16_e32 v26, v4
.LBB282_185:                            ;   in Loop: Header=BB282_9 Depth=1
	s_or_b64 exec, exec, s[20:21]
	v_lshrrev_b16_e32 v4, 8, v8
	v_cmp_lt_i16_e64 s[4:5], s17, v4
	s_mov_b64 s[20:21], 0
                                        ; implicit-def: $sgpr28
	s_and_saveexec_b64 s[22:23], s[4:5]
	s_xor_b64 s[22:23], exec, s[22:23]
	s_cbranch_execnz .LBB282_435
; %bb.186:                              ;   in Loop: Header=BB282_9 Depth=1
	s_or_saveexec_b64 s[22:23], s[22:23]
	v_mov_b32_e32 v27, s28
	s_xor_b64 exec, exec, s[22:23]
	s_cbranch_execnz .LBB282_438
.LBB282_187:                            ;   in Loop: Header=BB282_9 Depth=1
	s_or_b64 exec, exec, s[22:23]
	s_and_saveexec_b64 s[22:23], s[20:21]
	s_cbranch_execz .LBB282_189
.LBB282_188:                            ;   in Loop: Header=BB282_9 Depth=1
	v_and_b32_e32 v18, 7, v4
	v_ffbh_u32_e32 v20, v18
	v_min_u32_e32 v23, 32, v20
	v_subrev_u32_e32 v20, 28, v23
	v_bfe_u32 v22, v4, 3, 4
	v_lshlrev_b64 v[20:21], v20, v[4:5]
	v_sub_u32_e32 v21, 29, v23
	v_cmp_eq_u32_e64 s[4:5], 0, v22
	v_and_b32_e32 v20, 7, v20
	v_mov_b32_e32 v12, 0x1c00
	v_cndmask_b32_e64 v21, v22, v21, s[4:5]
	v_cndmask_b32_e64 v18, v18, v20, s[4:5]
	v_lshlrev_b32_e32 v4, 8, v4
	v_lshl_add_u32 v20, v21, 10, v12
	v_and_or_b32 v4, v4, s27, v20
	v_lshl_or_b32 v4, v18, 7, v4
	v_cvt_f32_f16_e32 v27, v4
.LBB282_189:                            ;   in Loop: Header=BB282_9 Depth=1
	s_or_b64 exec, exec, s[22:23]
	v_lshrrev_b32_e32 v4, 16, v8
	v_cmp_gt_i16_sdwa s[20:21], v4, s17 src0_sel:BYTE_0 src1_sel:DWORD
	s_mov_b64 s[4:5], 0
                                        ; implicit-def: $sgpr24
	s_and_saveexec_b64 s[22:23], s[20:21]
	s_xor_b64 s[20:21], exec, s[22:23]
	s_cbranch_execnz .LBB282_439
; %bb.190:                              ;   in Loop: Header=BB282_9 Depth=1
	s_or_saveexec_b64 s[20:21], s[20:21]
	v_mov_b32_e32 v35, s24
	s_xor_b64 exec, exec, s[20:21]
	s_cbranch_execnz .LBB282_442
.LBB282_191:                            ;   in Loop: Header=BB282_9 Depth=1
	s_or_b64 exec, exec, s[20:21]
	s_and_saveexec_b64 s[20:21], s[4:5]
	s_cbranch_execz .LBB282_193
.LBB282_192:                            ;   in Loop: Header=BB282_9 Depth=1
	v_bfe_u32 v18, v8, 16, 3
	v_ffbh_u32_e32 v20, v18
	v_min_u32_e32 v23, 32, v20
	v_subrev_u32_e32 v20, 28, v23
	v_bfe_u32 v22, v8, 19, 4
	v_lshlrev_b64 v[20:21], v20, v[4:5]
	v_sub_u32_e32 v21, 29, v23
	v_cmp_eq_u32_e64 s[4:5], 0, v22
	v_and_b32_e32 v20, 7, v20
	v_mov_b32_e32 v12, 0x1c00
	v_cndmask_b32_e64 v21, v22, v21, s[4:5]
	v_cndmask_b32_e64 v18, v18, v20, s[4:5]
	v_lshlrev_b32_e32 v4, 8, v4
	v_lshl_add_u32 v20, v21, 10, v12
	v_and_or_b32 v4, v4, s27, v20
	v_lshl_or_b32 v4, v18, 7, v4
	v_cvt_f32_f16_e32 v35, v4
.LBB282_193:                            ;   in Loop: Header=BB282_9 Depth=1
	s_or_b64 exec, exec, s[20:21]
	v_lshrrev_b32_e32 v4, 24, v8
	v_cmp_lt_i16_e64 s[4:5], s17, v4
	s_mov_b64 s[20:21], 0
                                        ; implicit-def: $sgpr28
	s_and_saveexec_b64 s[22:23], s[4:5]
	s_xor_b64 s[22:23], exec, s[22:23]
	s_cbranch_execnz .LBB282_443
; %bb.194:                              ;   in Loop: Header=BB282_9 Depth=1
	s_or_saveexec_b64 s[22:23], s[22:23]
	v_mov_b32_e32 v18, s28
	s_xor_b64 exec, exec, s[22:23]
	s_cbranch_execnz .LBB282_446
.LBB282_195:                            ;   in Loop: Header=BB282_9 Depth=1
	s_or_b64 exec, exec, s[22:23]
	s_and_saveexec_b64 s[22:23], s[20:21]
	s_cbranch_execz .LBB282_197
.LBB282_196:                            ;   in Loop: Header=BB282_9 Depth=1
	v_bfe_u32 v18, v8, 24, 3
	v_ffbh_u32_e32 v20, v18
	v_min_u32_e32 v22, 32, v20
	v_subrev_u32_e32 v20, 28, v22
	v_bfe_u32 v8, v8, 27, 4
	v_lshlrev_b64 v[20:21], v20, v[4:5]
	v_sub_u32_e32 v21, 29, v22
	v_cmp_eq_u32_e64 s[4:5], 0, v8
	v_mov_b32_e32 v12, 0x1c00
	v_and_b32_e32 v20, 7, v20
	v_cndmask_b32_e64 v8, v8, v21, s[4:5]
	v_lshlrev_b32_e32 v4, 8, v4
	v_lshl_add_u32 v8, v8, 10, v12
	v_cndmask_b32_e64 v18, v18, v20, s[4:5]
	v_and_or_b32 v4, v4, s27, v8
	v_lshl_or_b32 v4, v18, 7, v4
	v_cvt_f32_f16_e32 v18, v4
.LBB282_197:                            ;   in Loop: Header=BB282_9 Depth=1
	s_or_b64 exec, exec, s[22:23]
	flat_load_dword v8, v[30:31] offset:2568
	s_mov_b64 s[4:5], 0
                                        ; implicit-def: $sgpr24
	s_waitcnt vmcnt(0) lgkmcnt(0)
	v_cmp_gt_i16_sdwa s[20:21], v8, s17 src0_sel:BYTE_0 src1_sel:DWORD
	s_and_saveexec_b64 s[22:23], s[20:21]
	s_xor_b64 s[20:21], exec, s[22:23]
	s_cbranch_execnz .LBB282_447
; %bb.198:                              ;   in Loop: Header=BB282_9 Depth=1
	s_or_saveexec_b64 s[20:21], s[20:21]
	v_mov_b32_e32 v21, s24
	s_xor_b64 exec, exec, s[20:21]
	s_cbranch_execnz .LBB282_450
.LBB282_199:                            ;   in Loop: Header=BB282_9 Depth=1
	s_or_b64 exec, exec, s[20:21]
	s_and_saveexec_b64 s[20:21], s[4:5]
	s_cbranch_execz .LBB282_201
.LBB282_200:                            ;   in Loop: Header=BB282_9 Depth=1
	v_and_b32_e32 v4, 7, v8
	v_ffbh_u32_e32 v20, v4
	v_min_u32_e32 v23, 32, v20
	v_subrev_u32_e32 v20, 28, v23
	v_bfe_u32 v22, v8, 3, 4
	v_lshlrev_b64 v[20:21], v20, v[8:9]
	v_sub_u32_e32 v21, 29, v23
	v_cmp_eq_u32_e64 s[4:5], 0, v22
	v_and_b32_e32 v20, 7, v20
	v_mov_b32_e32 v12, 0x1c00
	v_cndmask_b32_e64 v21, v22, v21, s[4:5]
	v_cndmask_b32_e64 v4, v4, v20, s[4:5]
	v_lshlrev_b32_e32 v20, 8, v8
	v_lshl_add_u32 v21, v21, 10, v12
	v_and_or_b32 v20, v20, s27, v21
	v_lshl_or_b32 v4, v4, 7, v20
	v_cvt_f32_f16_e32 v21, v4
.LBB282_201:                            ;   in Loop: Header=BB282_9 Depth=1
	s_or_b64 exec, exec, s[20:21]
	v_lshrrev_b16_e32 v4, 8, v8
	v_cmp_lt_i16_e64 s[4:5], s17, v4
	s_mov_b64 s[20:21], 0
                                        ; implicit-def: $sgpr28
	s_and_saveexec_b64 s[22:23], s[4:5]
	s_xor_b64 s[22:23], exec, s[22:23]
	s_cbranch_execnz .LBB282_451
; %bb.202:                              ;   in Loop: Header=BB282_9 Depth=1
	s_or_saveexec_b64 s[22:23], s[22:23]
	v_mov_b32_e32 v20, s28
	s_xor_b64 exec, exec, s[22:23]
	s_cbranch_execnz .LBB282_454
.LBB282_203:                            ;   in Loop: Header=BB282_9 Depth=1
	s_or_b64 exec, exec, s[22:23]
	s_and_saveexec_b64 s[22:23], s[20:21]
	s_cbranch_execz .LBB282_205
.LBB282_204:                            ;   in Loop: Header=BB282_9 Depth=1
	v_and_b32_e32 v20, 7, v4
	v_ffbh_u32_e32 v22, v20
	v_min_u32_e32 v37, 32, v22
	v_subrev_u32_e32 v22, 28, v37
	v_bfe_u32 v34, v4, 3, 4
	v_lshlrev_b64 v[22:23], v22, v[4:5]
	v_sub_u32_e32 v23, 29, v37
	v_cmp_eq_u32_e64 s[4:5], 0, v34
	v_and_b32_e32 v22, 7, v22
	v_mov_b32_e32 v12, 0x1c00
	v_cndmask_b32_e64 v23, v34, v23, s[4:5]
	v_cndmask_b32_e64 v20, v20, v22, s[4:5]
	v_lshlrev_b32_e32 v4, 8, v4
	v_lshl_add_u32 v22, v23, 10, v12
	v_and_or_b32 v4, v4, s27, v22
	v_lshl_or_b32 v4, v20, 7, v4
	v_cvt_f32_f16_e32 v20, v4
.LBB282_205:                            ;   in Loop: Header=BB282_9 Depth=1
	s_or_b64 exec, exec, s[22:23]
	v_lshrrev_b32_e32 v4, 16, v8
	v_cmp_gt_i16_sdwa s[20:21], v4, s17 src0_sel:BYTE_0 src1_sel:DWORD
	s_mov_b64 s[4:5], 0
                                        ; implicit-def: $sgpr24
	s_and_saveexec_b64 s[22:23], s[20:21]
	s_xor_b64 s[20:21], exec, s[22:23]
	s_cbranch_execnz .LBB282_455
; %bb.206:                              ;   in Loop: Header=BB282_9 Depth=1
	s_or_saveexec_b64 s[20:21], s[20:21]
	v_mov_b32_e32 v51, s24
	s_xor_b64 exec, exec, s[20:21]
	s_cbranch_execnz .LBB282_458
.LBB282_207:                            ;   in Loop: Header=BB282_9 Depth=1
	s_or_b64 exec, exec, s[20:21]
	s_and_saveexec_b64 s[20:21], s[4:5]
	s_cbranch_execz .LBB282_209
.LBB282_208:                            ;   in Loop: Header=BB282_9 Depth=1
	v_bfe_u32 v34, v8, 16, 3
	v_ffbh_u32_e32 v22, v34
	v_min_u32_e32 v51, 32, v22
	v_subrev_u32_e32 v22, 28, v51
	v_bfe_u32 v37, v8, 19, 4
	v_lshlrev_b64 v[22:23], v22, v[4:5]
	v_sub_u32_e32 v23, 29, v51
	v_cmp_eq_u32_e64 s[4:5], 0, v37
	v_mov_b32_e32 v12, 0x1c00
	v_and_b32_e32 v22, 7, v22
	v_cndmask_b32_e64 v23, v37, v23, s[4:5]
	v_lshlrev_b32_e32 v4, 8, v4
	v_lshl_add_u32 v23, v23, 10, v12
	v_cndmask_b32_e64 v22, v34, v22, s[4:5]
	v_and_or_b32 v4, v4, s27, v23
	v_lshl_or_b32 v4, v22, 7, v4
	v_cvt_f32_f16_e32 v51, v4
.LBB282_209:                            ;   in Loop: Header=BB282_9 Depth=1
	s_or_b64 exec, exec, s[20:21]
	v_lshrrev_b32_e32 v4, 24, v8
	v_cmp_lt_i16_e64 s[4:5], s17, v4
	s_mov_b64 s[20:21], 0
                                        ; implicit-def: $sgpr28
	s_and_saveexec_b64 s[22:23], s[4:5]
	s_xor_b64 s[22:23], exec, s[22:23]
	s_cbranch_execnz .LBB282_459
; %bb.210:                              ;   in Loop: Header=BB282_9 Depth=1
	s_or_saveexec_b64 s[22:23], s[22:23]
	v_mov_b32_e32 v52, s28
	s_xor_b64 exec, exec, s[22:23]
	s_cbranch_execnz .LBB282_462
.LBB282_211:                            ;   in Loop: Header=BB282_9 Depth=1
	s_or_b64 exec, exec, s[22:23]
	s_and_saveexec_b64 s[22:23], s[20:21]
	s_cbranch_execz .LBB282_213
.LBB282_212:                            ;   in Loop: Header=BB282_9 Depth=1
	v_bfe_u32 v34, v8, 24, 3
	v_ffbh_u32_e32 v22, v34
	v_min_u32_e32 v37, 32, v22
	v_subrev_u32_e32 v22, 28, v37
	v_bfe_u32 v8, v8, 27, 4
	v_lshlrev_b64 v[22:23], v22, v[4:5]
	v_sub_u32_e32 v23, 29, v37
	v_cmp_eq_u32_e64 s[4:5], 0, v8
	v_mov_b32_e32 v12, 0x1c00
	v_and_b32_e32 v22, 7, v22
	v_cndmask_b32_e64 v8, v8, v23, s[4:5]
	v_lshlrev_b32_e32 v4, 8, v4
	v_lshl_add_u32 v8, v8, 10, v12
	v_cndmask_b32_e64 v22, v34, v22, s[4:5]
	v_and_or_b32 v4, v4, s27, v8
	v_lshl_or_b32 v4, v22, 7, v4
	v_cvt_f32_f16_e32 v52, v4
.LBB282_213:                            ;   in Loop: Header=BB282_9 Depth=1
	s_or_b64 exec, exec, s[22:23]
	flat_load_dword v8, v[30:31] offset:3072
	s_mov_b64 s[4:5], 0
                                        ; implicit-def: $sgpr24
	s_waitcnt vmcnt(0) lgkmcnt(0)
	v_cmp_gt_i16_sdwa s[20:21], v8, s17 src0_sel:BYTE_0 src1_sel:DWORD
	s_and_saveexec_b64 s[22:23], s[20:21]
	s_xor_b64 s[20:21], exec, s[22:23]
	s_cbranch_execnz .LBB282_463
; %bb.214:                              ;   in Loop: Header=BB282_9 Depth=1
	s_or_saveexec_b64 s[20:21], s[20:21]
	v_mov_b32_e32 v53, s24
	s_xor_b64 exec, exec, s[20:21]
	s_cbranch_execnz .LBB282_466
.LBB282_215:                            ;   in Loop: Header=BB282_9 Depth=1
	s_or_b64 exec, exec, s[20:21]
	s_and_saveexec_b64 s[20:21], s[4:5]
	s_cbranch_execz .LBB282_217
.LBB282_216:                            ;   in Loop: Header=BB282_9 Depth=1
	v_and_b32_e32 v4, 7, v8
	v_ffbh_u32_e32 v22, v4
	v_min_u32_e32 v37, 32, v22
	v_subrev_u32_e32 v22, 28, v37
	v_bfe_u32 v34, v8, 3, 4
	v_lshlrev_b64 v[22:23], v22, v[8:9]
	v_sub_u32_e32 v23, 29, v37
	v_cmp_eq_u32_e64 s[4:5], 0, v34
	v_and_b32_e32 v22, 7, v22
	v_mov_b32_e32 v12, 0x1c00
	v_cndmask_b32_e64 v23, v34, v23, s[4:5]
	v_cndmask_b32_e64 v4, v4, v22, s[4:5]
	v_lshlrev_b32_e32 v22, 8, v8
	v_lshl_add_u32 v23, v23, 10, v12
	v_and_or_b32 v22, v22, s27, v23
	v_lshl_or_b32 v4, v4, 7, v22
	v_cvt_f32_f16_e32 v53, v4
.LBB282_217:                            ;   in Loop: Header=BB282_9 Depth=1
	s_or_b64 exec, exec, s[20:21]
	v_lshrrev_b16_e32 v4, 8, v8
	v_cmp_lt_i16_e64 s[4:5], s17, v4
	s_mov_b64 s[20:21], 0
                                        ; implicit-def: $sgpr28
	s_and_saveexec_b64 s[22:23], s[4:5]
	s_xor_b64 s[22:23], exec, s[22:23]
	s_cbranch_execnz .LBB282_467
; %bb.218:                              ;   in Loop: Header=BB282_9 Depth=1
	s_or_saveexec_b64 s[22:23], s[22:23]
	v_mov_b32_e32 v54, s28
	s_xor_b64 exec, exec, s[22:23]
	s_cbranch_execnz .LBB282_470
.LBB282_219:                            ;   in Loop: Header=BB282_9 Depth=1
	s_or_b64 exec, exec, s[22:23]
	s_and_saveexec_b64 s[22:23], s[20:21]
	s_cbranch_execz .LBB282_221
.LBB282_220:                            ;   in Loop: Header=BB282_9 Depth=1
	v_and_b32_e32 v34, 7, v4
	v_ffbh_u32_e32 v22, v34
	v_min_u32_e32 v54, 32, v22
	v_subrev_u32_e32 v22, 28, v54
	v_bfe_u32 v37, v4, 3, 4
	v_lshlrev_b64 v[22:23], v22, v[4:5]
	v_sub_u32_e32 v23, 29, v54
	v_cmp_eq_u32_e64 s[4:5], 0, v37
	v_mov_b32_e32 v12, 0x1c00
	v_and_b32_e32 v22, 7, v22
	v_cndmask_b32_e64 v23, v37, v23, s[4:5]
	v_lshlrev_b32_e32 v4, 8, v4
	v_lshl_add_u32 v23, v23, 10, v12
	v_cndmask_b32_e64 v22, v34, v22, s[4:5]
	v_and_or_b32 v4, v4, s27, v23
	v_lshl_or_b32 v4, v22, 7, v4
	v_cvt_f32_f16_e32 v54, v4
.LBB282_221:                            ;   in Loop: Header=BB282_9 Depth=1
	s_or_b64 exec, exec, s[22:23]
	v_lshrrev_b32_e32 v4, 16, v8
	v_cmp_gt_i16_sdwa s[20:21], v4, s17 src0_sel:BYTE_0 src1_sel:DWORD
	s_mov_b64 s[4:5], 0
                                        ; implicit-def: $sgpr24
	s_and_saveexec_b64 s[22:23], s[20:21]
	s_xor_b64 s[20:21], exec, s[22:23]
	s_cbranch_execnz .LBB282_471
; %bb.222:                              ;   in Loop: Header=BB282_9 Depth=1
	s_or_saveexec_b64 s[20:21], s[20:21]
	v_mov_b32_e32 v55, s24
	s_xor_b64 exec, exec, s[20:21]
	s_cbranch_execnz .LBB282_474
.LBB282_223:                            ;   in Loop: Header=BB282_9 Depth=1
	s_or_b64 exec, exec, s[20:21]
	s_and_saveexec_b64 s[20:21], s[4:5]
	s_cbranch_execz .LBB282_225
.LBB282_224:                            ;   in Loop: Header=BB282_9 Depth=1
	v_bfe_u32 v34, v8, 16, 3
	v_ffbh_u32_e32 v22, v34
	v_min_u32_e32 v55, 32, v22
	v_subrev_u32_e32 v22, 28, v55
	v_bfe_u32 v37, v8, 19, 4
	v_lshlrev_b64 v[22:23], v22, v[4:5]
	v_sub_u32_e32 v23, 29, v55
	v_cmp_eq_u32_e64 s[4:5], 0, v37
	v_mov_b32_e32 v12, 0x1c00
	v_and_b32_e32 v22, 7, v22
	v_cndmask_b32_e64 v23, v37, v23, s[4:5]
	v_lshlrev_b32_e32 v4, 8, v4
	v_lshl_add_u32 v23, v23, 10, v12
	v_cndmask_b32_e64 v22, v34, v22, s[4:5]
	v_and_or_b32 v4, v4, s27, v23
	v_lshl_or_b32 v4, v22, 7, v4
	v_cvt_f32_f16_e32 v55, v4
.LBB282_225:                            ;   in Loop: Header=BB282_9 Depth=1
	s_or_b64 exec, exec, s[20:21]
	v_lshrrev_b32_e32 v4, 24, v8
	v_cmp_lt_i16_e64 s[4:5], s17, v4
	s_mov_b64 s[20:21], 0
                                        ; implicit-def: $sgpr28
	s_and_saveexec_b64 s[22:23], s[4:5]
	s_xor_b64 s[22:23], exec, s[22:23]
	s_cbranch_execnz .LBB282_475
; %bb.226:                              ;   in Loop: Header=BB282_9 Depth=1
	s_or_saveexec_b64 s[22:23], s[22:23]
	v_mov_b32_e32 v40, s28
	s_xor_b64 exec, exec, s[22:23]
	s_cbranch_execnz .LBB282_478
.LBB282_227:                            ;   in Loop: Header=BB282_9 Depth=1
	s_or_b64 exec, exec, s[22:23]
	s_and_saveexec_b64 s[22:23], s[20:21]
	s_cbranch_execz .LBB282_229
.LBB282_228:                            ;   in Loop: Header=BB282_9 Depth=1
	v_bfe_u32 v34, v8, 24, 3
	v_ffbh_u32_e32 v22, v34
	v_min_u32_e32 v37, 32, v22
	v_subrev_u32_e32 v22, 28, v37
	v_bfe_u32 v8, v8, 27, 4
	v_lshlrev_b64 v[22:23], v22, v[4:5]
	v_sub_u32_e32 v23, 29, v37
	v_cmp_eq_u32_e64 s[4:5], 0, v8
	v_mov_b32_e32 v12, 0x1c00
	v_and_b32_e32 v22, 7, v22
	v_cndmask_b32_e64 v8, v8, v23, s[4:5]
	v_lshlrev_b32_e32 v4, 8, v4
	v_lshl_add_u32 v8, v8, 10, v12
	v_cndmask_b32_e64 v22, v34, v22, s[4:5]
	v_and_or_b32 v4, v4, s27, v8
	v_lshl_or_b32 v4, v22, 7, v4
	v_cvt_f32_f16_e32 v40, v4
.LBB282_229:                            ;   in Loop: Header=BB282_9 Depth=1
	s_or_b64 exec, exec, s[22:23]
	flat_load_dword v8, v[30:31] offset:3080
	s_mov_b64 s[4:5], 0
                                        ; implicit-def: $sgpr24
	s_waitcnt vmcnt(0) lgkmcnt(0)
	v_cmp_gt_i16_sdwa s[20:21], v8, s17 src0_sel:BYTE_0 src1_sel:DWORD
	s_and_saveexec_b64 s[22:23], s[20:21]
	s_xor_b64 s[20:21], exec, s[22:23]
	s_cbranch_execnz .LBB282_479
; %bb.230:                              ;   in Loop: Header=BB282_9 Depth=1
	s_or_saveexec_b64 s[20:21], s[20:21]
	v_mov_b32_e32 v41, s24
	s_xor_b64 exec, exec, s[20:21]
	s_cbranch_execnz .LBB282_482
.LBB282_231:                            ;   in Loop: Header=BB282_9 Depth=1
	s_or_b64 exec, exec, s[20:21]
	s_and_saveexec_b64 s[20:21], s[4:5]
	s_cbranch_execz .LBB282_233
.LBB282_232:                            ;   in Loop: Header=BB282_9 Depth=1
	v_and_b32_e32 v4, 7, v8
	v_ffbh_u32_e32 v22, v4
	v_min_u32_e32 v37, 32, v22
	v_subrev_u32_e32 v22, 28, v37
	v_bfe_u32 v34, v8, 3, 4
	v_lshlrev_b64 v[22:23], v22, v[8:9]
	v_sub_u32_e32 v23, 29, v37
	v_cmp_eq_u32_e64 s[4:5], 0, v34
	v_and_b32_e32 v22, 7, v22
	v_mov_b32_e32 v12, 0x1c00
	v_cndmask_b32_e64 v23, v34, v23, s[4:5]
	v_cndmask_b32_e64 v4, v4, v22, s[4:5]
	v_lshlrev_b32_e32 v22, 8, v8
	v_lshl_add_u32 v23, v23, 10, v12
	v_and_or_b32 v22, v22, s27, v23
	v_lshl_or_b32 v4, v4, 7, v22
	v_cvt_f32_f16_e32 v41, v4
.LBB282_233:                            ;   in Loop: Header=BB282_9 Depth=1
	s_or_b64 exec, exec, s[20:21]
	v_lshrrev_b16_e32 v4, 8, v8
	v_cmp_lt_i16_e64 s[4:5], s17, v4
	s_mov_b64 s[20:21], 0
                                        ; implicit-def: $sgpr28
	s_and_saveexec_b64 s[22:23], s[4:5]
	s_xor_b64 s[22:23], exec, s[22:23]
	s_cbranch_execnz .LBB282_483
; %bb.234:                              ;   in Loop: Header=BB282_9 Depth=1
	s_or_saveexec_b64 s[22:23], s[22:23]
	v_mov_b32_e32 v42, s28
	s_xor_b64 exec, exec, s[22:23]
	s_cbranch_execnz .LBB282_486
.LBB282_235:                            ;   in Loop: Header=BB282_9 Depth=1
	s_or_b64 exec, exec, s[22:23]
	s_and_saveexec_b64 s[22:23], s[20:21]
	s_cbranch_execz .LBB282_237
.LBB282_236:                            ;   in Loop: Header=BB282_9 Depth=1
	v_and_b32_e32 v34, 7, v4
	v_ffbh_u32_e32 v22, v34
	v_min_u32_e32 v42, 32, v22
	v_subrev_u32_e32 v22, 28, v42
	v_bfe_u32 v37, v4, 3, 4
	v_lshlrev_b64 v[22:23], v22, v[4:5]
	v_sub_u32_e32 v23, 29, v42
	v_cmp_eq_u32_e64 s[4:5], 0, v37
	v_mov_b32_e32 v12, 0x1c00
	v_and_b32_e32 v22, 7, v22
	v_cndmask_b32_e64 v23, v37, v23, s[4:5]
	v_lshlrev_b32_e32 v4, 8, v4
	v_lshl_add_u32 v23, v23, 10, v12
	v_cndmask_b32_e64 v22, v34, v22, s[4:5]
	v_and_or_b32 v4, v4, s27, v23
	v_lshl_or_b32 v4, v22, 7, v4
	v_cvt_f32_f16_e32 v42, v4
.LBB282_237:                            ;   in Loop: Header=BB282_9 Depth=1
	s_or_b64 exec, exec, s[22:23]
	v_lshrrev_b32_e32 v4, 16, v8
	v_cmp_gt_i16_sdwa s[20:21], v4, s17 src0_sel:BYTE_0 src1_sel:DWORD
	s_mov_b64 s[4:5], 0
                                        ; implicit-def: $sgpr24
	s_and_saveexec_b64 s[22:23], s[20:21]
	s_xor_b64 s[20:21], exec, s[22:23]
	s_cbranch_execnz .LBB282_487
; %bb.238:                              ;   in Loop: Header=BB282_9 Depth=1
	s_or_saveexec_b64 s[20:21], s[20:21]
	v_mov_b32_e32 v43, s24
	s_xor_b64 exec, exec, s[20:21]
	s_cbranch_execnz .LBB282_490
.LBB282_239:                            ;   in Loop: Header=BB282_9 Depth=1
	s_or_b64 exec, exec, s[20:21]
	s_and_saveexec_b64 s[20:21], s[4:5]
	s_cbranch_execz .LBB282_241
.LBB282_240:                            ;   in Loop: Header=BB282_9 Depth=1
	v_bfe_u32 v34, v8, 16, 3
	v_ffbh_u32_e32 v22, v34
	v_min_u32_e32 v43, 32, v22
	v_subrev_u32_e32 v22, 28, v43
	v_bfe_u32 v37, v8, 19, 4
	v_lshlrev_b64 v[22:23], v22, v[4:5]
	v_sub_u32_e32 v23, 29, v43
	v_cmp_eq_u32_e64 s[4:5], 0, v37
	v_mov_b32_e32 v12, 0x1c00
	v_and_b32_e32 v22, 7, v22
	v_cndmask_b32_e64 v23, v37, v23, s[4:5]
	v_lshlrev_b32_e32 v4, 8, v4
	v_lshl_add_u32 v23, v23, 10, v12
	v_cndmask_b32_e64 v22, v34, v22, s[4:5]
	v_and_or_b32 v4, v4, s27, v23
	v_lshl_or_b32 v4, v22, 7, v4
	v_cvt_f32_f16_e32 v43, v4
.LBB282_241:                            ;   in Loop: Header=BB282_9 Depth=1
	s_or_b64 exec, exec, s[20:21]
	v_lshrrev_b32_e32 v4, 24, v8
	v_cmp_lt_i16_e64 s[4:5], s17, v4
	s_mov_b64 s[20:21], 0
                                        ; implicit-def: $sgpr28
	s_and_saveexec_b64 s[22:23], s[4:5]
	s_xor_b64 s[22:23], exec, s[22:23]
	s_cbranch_execnz .LBB282_491
; %bb.242:                              ;   in Loop: Header=BB282_9 Depth=1
	s_or_saveexec_b64 s[22:23], s[22:23]
	v_mov_b32_e32 v37, s28
	s_xor_b64 exec, exec, s[22:23]
	s_cbranch_execnz .LBB282_494
.LBB282_243:                            ;   in Loop: Header=BB282_9 Depth=1
	s_or_b64 exec, exec, s[22:23]
	s_and_saveexec_b64 s[22:23], s[20:21]
	s_cbranch_execz .LBB282_245
.LBB282_244:                            ;   in Loop: Header=BB282_9 Depth=1
	v_bfe_u32 v34, v8, 24, 3
	v_ffbh_u32_e32 v22, v34
	v_min_u32_e32 v37, 32, v22
	v_subrev_u32_e32 v22, 28, v37
	v_bfe_u32 v8, v8, 27, 4
	v_lshlrev_b64 v[22:23], v22, v[4:5]
	v_sub_u32_e32 v23, 29, v37
	v_cmp_eq_u32_e64 s[4:5], 0, v8
	v_mov_b32_e32 v12, 0x1c00
	v_and_b32_e32 v22, 7, v22
	v_cndmask_b32_e64 v8, v8, v23, s[4:5]
	v_lshlrev_b32_e32 v4, 8, v4
	v_lshl_add_u32 v8, v8, 10, v12
	v_cndmask_b32_e64 v22, v34, v22, s[4:5]
	v_and_or_b32 v4, v4, s27, v8
	v_lshl_or_b32 v4, v22, 7, v4
	v_cvt_f32_f16_e32 v37, v4
.LBB282_245:                            ;   in Loop: Header=BB282_9 Depth=1
	s_or_b64 exec, exec, s[22:23]
	flat_load_dword v8, v[30:31] offset:3584
	s_mov_b64 s[4:5], 0
                                        ; implicit-def: $sgpr24
	s_waitcnt vmcnt(0) lgkmcnt(0)
	v_cmp_gt_i16_sdwa s[20:21], v8, s17 src0_sel:BYTE_0 src1_sel:DWORD
	s_and_saveexec_b64 s[22:23], s[20:21]
	s_xor_b64 s[20:21], exec, s[22:23]
	s_cbranch_execnz .LBB282_495
; %bb.246:                              ;   in Loop: Header=BB282_9 Depth=1
	s_or_saveexec_b64 s[20:21], s[20:21]
	v_mov_b32_e32 v44, s24
	s_xor_b64 exec, exec, s[20:21]
	s_cbranch_execnz .LBB282_498
.LBB282_247:                            ;   in Loop: Header=BB282_9 Depth=1
	s_or_b64 exec, exec, s[20:21]
	s_and_saveexec_b64 s[20:21], s[4:5]
	s_cbranch_execz .LBB282_249
.LBB282_248:                            ;   in Loop: Header=BB282_9 Depth=1
	v_and_b32_e32 v4, 7, v8
	v_ffbh_u32_e32 v22, v4
	v_min_u32_e32 v44, 32, v22
	v_subrev_u32_e32 v22, 28, v44
	v_bfe_u32 v34, v8, 3, 4
	v_lshlrev_b64 v[22:23], v22, v[8:9]
	v_sub_u32_e32 v23, 29, v44
	v_cmp_eq_u32_e64 s[4:5], 0, v34
	v_and_b32_e32 v22, 7, v22
	v_mov_b32_e32 v12, 0x1c00
	v_cndmask_b32_e64 v23, v34, v23, s[4:5]
	v_cndmask_b32_e64 v4, v4, v22, s[4:5]
	v_lshlrev_b32_e32 v22, 8, v8
	v_lshl_add_u32 v23, v23, 10, v12
	v_and_or_b32 v22, v22, s27, v23
	v_lshl_or_b32 v4, v4, 7, v22
	v_cvt_f32_f16_e32 v44, v4
.LBB282_249:                            ;   in Loop: Header=BB282_9 Depth=1
	s_or_b64 exec, exec, s[20:21]
	v_lshrrev_b16_e32 v4, 8, v8
	v_cmp_lt_i16_e64 s[4:5], s17, v4
	s_mov_b64 s[20:21], 0
                                        ; implicit-def: $sgpr28
	s_and_saveexec_b64 s[22:23], s[4:5]
	s_xor_b64 s[22:23], exec, s[22:23]
	s_cbranch_execnz .LBB282_499
; %bb.250:                              ;   in Loop: Header=BB282_9 Depth=1
	s_or_saveexec_b64 s[22:23], s[22:23]
	v_mov_b32_e32 v23, s28
	s_xor_b64 exec, exec, s[22:23]
	s_cbranch_execnz .LBB282_502
.LBB282_251:                            ;   in Loop: Header=BB282_9 Depth=1
	s_or_b64 exec, exec, s[22:23]
	s_and_saveexec_b64 s[22:23], s[20:21]
	s_cbranch_execz .LBB282_253
.LBB282_252:                            ;   in Loop: Header=BB282_9 Depth=1
	v_and_b32_e32 v34, 7, v4
	v_ffbh_u32_e32 v22, v34
	v_min_u32_e32 v46, 32, v22
	v_subrev_u32_e32 v22, 28, v46
	v_bfe_u32 v45, v4, 3, 4
	v_lshlrev_b64 v[22:23], v22, v[4:5]
	v_sub_u32_e32 v23, 29, v46
	v_cmp_eq_u32_e64 s[4:5], 0, v45
	v_mov_b32_e32 v12, 0x1c00
	v_and_b32_e32 v22, 7, v22
	v_cndmask_b32_e64 v23, v45, v23, s[4:5]
	v_lshlrev_b32_e32 v4, 8, v4
	v_lshl_add_u32 v23, v23, 10, v12
	v_cndmask_b32_e64 v22, v34, v22, s[4:5]
	v_and_or_b32 v4, v4, s27, v23
	v_lshl_or_b32 v4, v22, 7, v4
	v_cvt_f32_f16_e32 v23, v4
.LBB282_253:                            ;   in Loop: Header=BB282_9 Depth=1
	s_or_b64 exec, exec, s[22:23]
	v_lshrrev_b32_e32 v4, 16, v8
	v_cmp_gt_i16_sdwa s[20:21], v4, s17 src0_sel:BYTE_0 src1_sel:DWORD
	s_mov_b64 s[4:5], 0
                                        ; implicit-def: $sgpr24
	s_and_saveexec_b64 s[22:23], s[20:21]
	s_xor_b64 s[20:21], exec, s[22:23]
	s_cbranch_execnz .LBB282_503
; %bb.254:                              ;   in Loop: Header=BB282_9 Depth=1
	s_or_saveexec_b64 s[20:21], s[20:21]
	v_mov_b32_e32 v22, s24
	s_xor_b64 exec, exec, s[20:21]
	s_cbranch_execnz .LBB282_506
.LBB282_255:                            ;   in Loop: Header=BB282_9 Depth=1
	s_or_b64 exec, exec, s[20:21]
	s_and_saveexec_b64 s[20:21], s[4:5]
	s_cbranch_execz .LBB282_257
.LBB282_256:                            ;   in Loop: Header=BB282_9 Depth=1
	v_bfe_u32 v22, v8, 16, 3
	v_ffbh_u32_e32 v45, v22
	v_bfe_u32 v34, v8, 19, 4
	v_min_u32_e32 v45, 32, v45
	v_subrev_u32_e32 v46, 28, v45
	v_sub_u32_e32 v45, 29, v45
	v_cmp_eq_u32_e64 s[4:5], 0, v34
	v_lshlrev_b64 v[46:47], v46, v[4:5]
	v_mov_b32_e32 v12, 0x1c00
	v_cndmask_b32_e64 v34, v34, v45, s[4:5]
	v_and_b32_e32 v46, 7, v46
	v_lshlrev_b32_e32 v4, 8, v4
	v_lshl_add_u32 v34, v34, 10, v12
	v_cndmask_b32_e64 v22, v22, v46, s[4:5]
	v_and_or_b32 v4, v4, s27, v34
	v_lshl_or_b32 v4, v22, 7, v4
	v_cvt_f32_f16_e32 v22, v4
.LBB282_257:                            ;   in Loop: Header=BB282_9 Depth=1
	s_or_b64 exec, exec, s[20:21]
	v_lshrrev_b32_e32 v4, 24, v8
	v_cmp_lt_i16_e64 s[4:5], s17, v4
	s_mov_b64 s[20:21], 0
                                        ; implicit-def: $sgpr28
	s_and_saveexec_b64 s[22:23], s[4:5]
	s_xor_b64 s[22:23], exec, s[22:23]
	s_cbranch_execnz .LBB282_507
; %bb.258:                              ;   in Loop: Header=BB282_9 Depth=1
	s_or_saveexec_b64 s[22:23], s[22:23]
	v_mov_b32_e32 v45, s28
	s_xor_b64 exec, exec, s[22:23]
	s_cbranch_execnz .LBB282_510
.LBB282_259:                            ;   in Loop: Header=BB282_9 Depth=1
	s_or_b64 exec, exec, s[22:23]
	s_and_saveexec_b64 s[22:23], s[20:21]
	s_cbranch_execz .LBB282_261
.LBB282_260:                            ;   in Loop: Header=BB282_9 Depth=1
	v_bfe_u32 v34, v8, 24, 3
	v_ffbh_u32_e32 v45, v34
	v_bfe_u32 v8, v8, 27, 4
	v_min_u32_e32 v45, 32, v45
	v_subrev_u32_e32 v46, 28, v45
	v_sub_u32_e32 v45, 29, v45
	v_cmp_eq_u32_e64 s[4:5], 0, v8
	v_lshlrev_b64 v[46:47], v46, v[4:5]
	v_mov_b32_e32 v12, 0x1c00
	v_cndmask_b32_e64 v8, v8, v45, s[4:5]
	v_and_b32_e32 v46, 7, v46
	v_lshlrev_b32_e32 v4, 8, v4
	v_lshl_add_u32 v8, v8, 10, v12
	v_cndmask_b32_e64 v34, v34, v46, s[4:5]
	v_and_or_b32 v4, v4, s27, v8
	v_lshl_or_b32 v4, v34, 7, v4
	v_cvt_f32_f16_e32 v45, v4
.LBB282_261:                            ;   in Loop: Header=BB282_9 Depth=1
	s_or_b64 exec, exec, s[22:23]
	flat_load_dword v8, v[30:31] offset:3592
	s_mov_b64 s[4:5], 0
                                        ; implicit-def: $sgpr24
	s_waitcnt vmcnt(0) lgkmcnt(0)
	v_cmp_gt_i16_sdwa s[20:21], v8, s17 src0_sel:BYTE_0 src1_sel:DWORD
	s_and_saveexec_b64 s[22:23], s[20:21]
	s_xor_b64 s[20:21], exec, s[22:23]
	s_cbranch_execnz .LBB282_511
; %bb.262:                              ;   in Loop: Header=BB282_9 Depth=1
	s_or_saveexec_b64 s[20:21], s[20:21]
	v_mov_b32_e32 v46, s24
	s_xor_b64 exec, exec, s[20:21]
	s_cbranch_execnz .LBB282_514
.LBB282_263:                            ;   in Loop: Header=BB282_9 Depth=1
	s_or_b64 exec, exec, s[20:21]
	s_and_saveexec_b64 s[20:21], s[4:5]
	s_cbranch_execz .LBB282_265
.LBB282_264:                            ;   in Loop: Header=BB282_9 Depth=1
	v_and_b32_e32 v4, 7, v8
	v_ffbh_u32_e32 v30, v4
	v_min_u32_e32 v46, 32, v30
	v_subrev_u32_e32 v30, 28, v46
	v_bfe_u32 v34, v8, 3, 4
	v_lshlrev_b64 v[30:31], v30, v[8:9]
	v_sub_u32_e32 v31, 29, v46
	v_cmp_eq_u32_e64 s[4:5], 0, v34
	v_and_b32_e32 v30, 7, v30
	v_mov_b32_e32 v12, 0x1c00
	v_cndmask_b32_e64 v31, v34, v31, s[4:5]
	v_cndmask_b32_e64 v4, v4, v30, s[4:5]
	v_lshlrev_b32_e32 v30, 8, v8
	v_lshl_add_u32 v31, v31, 10, v12
	v_and_or_b32 v30, v30, s27, v31
	v_lshl_or_b32 v4, v4, 7, v30
	v_cvt_f32_f16_e32 v46, v4
.LBB282_265:                            ;   in Loop: Header=BB282_9 Depth=1
	s_or_b64 exec, exec, s[20:21]
	v_lshrrev_b16_e32 v4, 8, v8
	v_cmp_lt_i16_e64 s[4:5], s17, v4
	s_mov_b64 s[20:21], 0
                                        ; implicit-def: $sgpr28
	s_and_saveexec_b64 s[22:23], s[4:5]
	s_xor_b64 s[22:23], exec, s[22:23]
	s_cbranch_execnz .LBB282_515
; %bb.266:                              ;   in Loop: Header=BB282_9 Depth=1
	s_or_saveexec_b64 s[22:23], s[22:23]
	v_mov_b32_e32 v56, s28
	s_xor_b64 exec, exec, s[22:23]
	s_cbranch_execnz .LBB282_518
.LBB282_267:                            ;   in Loop: Header=BB282_9 Depth=1
	s_or_b64 exec, exec, s[22:23]
	s_and_saveexec_b64 s[22:23], s[20:21]
	s_cbranch_execz .LBB282_269
.LBB282_268:                            ;   in Loop: Header=BB282_9 Depth=1
	v_and_b32_e32 v34, 7, v4
	v_ffbh_u32_e32 v30, v34
	v_min_u32_e32 v56, 32, v30
	v_subrev_u32_e32 v30, 28, v56
	v_bfe_u32 v47, v4, 3, 4
	v_lshlrev_b64 v[30:31], v30, v[4:5]
	v_sub_u32_e32 v31, 29, v56
	v_cmp_eq_u32_e64 s[4:5], 0, v47
	v_mov_b32_e32 v12, 0x1c00
	v_and_b32_e32 v30, 7, v30
	v_cndmask_b32_e64 v31, v47, v31, s[4:5]
	v_lshlrev_b32_e32 v4, 8, v4
	v_lshl_add_u32 v31, v31, 10, v12
	v_cndmask_b32_e64 v30, v34, v30, s[4:5]
	v_and_or_b32 v4, v4, s27, v31
	v_lshl_or_b32 v4, v30, 7, v4
	v_cvt_f32_f16_e32 v56, v4
.LBB282_269:                            ;   in Loop: Header=BB282_9 Depth=1
	s_or_b64 exec, exec, s[22:23]
	v_lshrrev_b32_e32 v4, 16, v8
	v_cmp_gt_i16_sdwa s[20:21], v4, s17 src0_sel:BYTE_0 src1_sel:DWORD
	s_mov_b64 s[4:5], 0
                                        ; implicit-def: $sgpr24
	s_and_saveexec_b64 s[22:23], s[20:21]
	s_xor_b64 s[20:21], exec, s[22:23]
	s_cbranch_execnz .LBB282_519
; %bb.270:                              ;   in Loop: Header=BB282_9 Depth=1
	s_or_saveexec_b64 s[20:21], s[20:21]
	v_mov_b32_e32 v57, s24
	s_xor_b64 exec, exec, s[20:21]
	s_cbranch_execnz .LBB282_522
.LBB282_271:                            ;   in Loop: Header=BB282_9 Depth=1
	s_or_b64 exec, exec, s[20:21]
	s_and_saveexec_b64 s[20:21], s[4:5]
	s_cbranch_execz .LBB282_273
.LBB282_272:                            ;   in Loop: Header=BB282_9 Depth=1
	v_bfe_u32 v34, v8, 16, 3
	v_ffbh_u32_e32 v30, v34
	v_min_u32_e32 v57, 32, v30
	v_subrev_u32_e32 v30, 28, v57
	v_bfe_u32 v47, v8, 19, 4
	v_lshlrev_b64 v[30:31], v30, v[4:5]
	v_sub_u32_e32 v31, 29, v57
	v_cmp_eq_u32_e64 s[4:5], 0, v47
	v_mov_b32_e32 v12, 0x1c00
	v_and_b32_e32 v30, 7, v30
	v_cndmask_b32_e64 v31, v47, v31, s[4:5]
	v_lshlrev_b32_e32 v4, 8, v4
	v_lshl_add_u32 v31, v31, 10, v12
	v_cndmask_b32_e64 v30, v34, v30, s[4:5]
	v_and_or_b32 v4, v4, s27, v31
	v_lshl_or_b32 v4, v30, 7, v4
	v_cvt_f32_f16_e32 v57, v4
.LBB282_273:                            ;   in Loop: Header=BB282_9 Depth=1
	s_or_b64 exec, exec, s[20:21]
	v_lshrrev_b32_e32 v4, 24, v8
	v_cmp_lt_i16_e64 s[4:5], s17, v4
	s_mov_b64 s[20:21], 0
                                        ; implicit-def: $sgpr28
	s_and_saveexec_b64 s[22:23], s[4:5]
	s_xor_b64 s[22:23], exec, s[22:23]
	s_cbranch_execz .LBB282_277
; %bb.274:                              ;   in Loop: Header=BB282_9 Depth=1
	v_cmp_eq_u16_e64 s[4:5], s26, v4
	s_mov_b64 s[20:21], -1
                                        ; implicit-def: $sgpr28
	s_and_saveexec_b64 s[24:25], s[4:5]
; %bb.275:                              ;   in Loop: Header=BB282_9 Depth=1
	s_mov_b32 s28, 0x7fc02000
	s_xor_b64 s[20:21], exec, -1
; %bb.276:                              ;   in Loop: Header=BB282_9 Depth=1
	s_or_b64 exec, exec, s[24:25]
	s_and_b64 s[20:21], s[20:21], exec
.LBB282_277:                            ;   in Loop: Header=BB282_9 Depth=1
	s_or_saveexec_b64 s[22:23], s[22:23]
	v_mov_b32_e32 v59, s28
	s_xor_b64 exec, exec, s[22:23]
; %bb.278:                              ;   in Loop: Header=BB282_9 Depth=1
	v_cmp_ne_u16_e64 s[4:5], 0, v4
	s_andn2_b64 s[20:21], s[20:21], exec
	s_and_b64 s[4:5], s[4:5], exec
	v_mov_b32_e32 v59, 0
	s_or_b64 s[20:21], s[20:21], s[4:5]
; %bb.279:                              ;   in Loop: Header=BB282_9 Depth=1
	s_or_b64 exec, exec, s[22:23]
	v_accvgpr_write_b32 a41, v63
	v_accvgpr_write_b32 a40, v62
	;; [unrolled: 1-line block ×6, first 2 shown]
	s_and_saveexec_b64 s[22:23], s[20:21]
	s_cbranch_execz .LBB282_281
; %bb.280:                              ;   in Loop: Header=BB282_9 Depth=1
	v_bfe_u32 v34, v8, 24, 3
	v_ffbh_u32_e32 v30, v34
	v_min_u32_e32 v47, 32, v30
	v_subrev_u32_e32 v30, 28, v47
	v_bfe_u32 v8, v8, 27, 4
	v_lshlrev_b64 v[30:31], v30, v[4:5]
	v_sub_u32_e32 v31, 29, v47
	v_cmp_eq_u32_e64 s[4:5], 0, v8
	v_mov_b32_e32 v12, 0x1c00
	v_and_b32_e32 v30, 7, v30
	v_cndmask_b32_e64 v8, v8, v31, s[4:5]
	v_lshlrev_b32_e32 v4, 8, v4
	v_lshl_add_u32 v8, v8, 10, v12
	v_cndmask_b32_e64 v30, v34, v30, s[4:5]
	v_and_or_b32 v4, v4, s27, v8
	v_lshl_or_b32 v4, v30, 7, v4
	v_cvt_f32_f16_e32 v59, v4
.LBB282_281:                            ;   in Loop: Header=BB282_9 Depth=1
	s_or_b64 exec, exec, s[22:23]
	v_accvgpr_read_b32 v12, a44
	v_fma_mixlo_f16 v34, v50, v12, 0
	v_accvgpr_read_b32 v12, a42
	v_fma_mixlo_f16 v58, v50, v12, 0
	scratch_load_dword v12, off, s32 offset:120 ; 4-byte Folded Reload
	v_accvgpr_read_b32 v48, a23
	ds_read_b64 v[30:31], v48
	v_fma_mixlo_f16 v47, v50, v17, 0
	v_fma_mixlo_f16 v61, v50, v28, 0
	v_and_b32_e32 v34, 0xffff, v34
	v_fma_mixlo_f16 v44, v50, v44, 0
	s_waitcnt lgkmcnt(0)
	v_lshrrev_b32_e32 v4, 16, v30
	v_and_b32_e32 v8, 0xffff, v30
	;;#ASMSTART
	v_cvt_f32_f16 v8, v8;
	;;#ASMEND
	;;#ASMSTART
	v_cvt_f32_f16 v62, v4;
	;;#ASMEND
	v_and_b32_e32 v4, 0xffff, v58
	;;#ASMSTART
	v_cvt_f32_f16 v58, v4;
	;;#ASMEND
	v_and_b32_e32 v4, 0xffff, v47
	v_lshrrev_b32_e32 v30, 16, v31
	v_and_b32_e32 v31, 0xffff, v31
	;;#ASMSTART
	v_cvt_f32_f16 v47, v4;
	;;#ASMEND
	;;#ASMSTART
	v_cvt_f32_f16 v63, v31;
	;;#ASMEND
	;; [unrolled: 3-line block ×3, first 2 shown]
	v_fma_mixlo_f16 v42, v50, v42, 0
	v_fma_mixlo_f16 v37, v50, v37, 0
	;; [unrolled: 1-line block ×11, first 2 shown]
	v_and_b32_e32 v7, 0xffff, v7
	v_and_b32_e32 v3, 0xffff, v3
	s_waitcnt vmcnt(0)
	v_fma_mixlo_f16 v60, v50, v12, 0
	v_and_b32_e32 v4, 0xffff, v60
	;;#ASMSTART
	v_cvt_f32_f16 v60, v4;
	;;#ASMEND
	v_and_b32_e32 v4, 0xffff, v61
	;;#ASMSTART
	v_cvt_f32_f16 v61, v4;
	;;#ASMEND
	ds_read_b64 v[30:31], v48 offset:8
	v_accvgpr_read_b32 v12, a34
	s_waitcnt lgkmcnt(0)
	v_and_b32_e32 v4, 0xffff, v30
	;;#ASMSTART
	v_cvt_f32_f16 v4, v4;
	;;#ASMEND
	v_lshrrev_b32_e32 v30, 16, v30
	;;#ASMSTART
	v_cvt_f32_f16 v30, v30;
	;;#ASMEND
	;;#ASMSTART
	v_cvt_f32_f16 v34, v34;
	;;#ASMEND
	s_nop 0
	v_mul_f32_e32 v4, v4, v34
	v_fmac_f32_e32 v4, v8, v58
	scratch_load_dword v8, off, s32 offset:128 ; 4-byte Folded Reload
	v_fma_mixlo_f16 v34, v50, v38, 0
	v_and_b32_e32 v34, 0xffff, v34
	s_waitcnt vmcnt(0)
	v_fma_mixlo_f16 v8, v50, v8, 0
	v_and_b32_e32 v8, 0xffff, v8
	;;#ASMSTART
	v_cvt_f32_f16 v8, v8;
	;;#ASMEND
	s_nop 0
	v_mul_f32_e32 v8, v30, v8
	v_lshrrev_b32_e32 v30, 16, v31
	v_and_b32_e32 v31, 0xffff, v31
	;;#ASMSTART
	v_cvt_f32_f16 v31, v31;
	;;#ASMEND
	;;#ASMSTART
	v_cvt_f32_f16 v30, v30;
	;;#ASMEND
	;; [unrolled: 3-line block ×3, first 2 shown]
	v_fmac_f32_e32 v8, v62, v47
	v_mul_f32_e32 v34, v31, v34
	v_fma_mixlo_f16 v31, v50, v12, 0
	v_and_b32_e32 v31, 0xffff, v31
	;;#ASMSTART
	v_cvt_f32_f16 v31, v31;
	;;#ASMEND
	v_accvgpr_read_b32 v12, a35
	v_mul_f32_e32 v47, v30, v31
	ds_read_b64 v[30:31], v48 offset:16
	v_fmac_f32_e32 v47, v17, v61
	v_fma_mixlo_f16 v17, v50, v12, 0
	v_and_b32_e32 v17, 0xffff, v17
	v_accvgpr_read_b32 v12, a36
	s_waitcnt lgkmcnt(0)
	v_and_b32_e32 v58, 0xffff, v30
	v_lshrrev_b32_e32 v30, 16, v30
	;;#ASMSTART
	v_cvt_f32_f16 v58, v58;
	;;#ASMEND
	;;#ASMSTART
	v_cvt_f32_f16 v30, v30;
	;;#ASMEND
	;; [unrolled: 3-line block ×3, first 2 shown]
	v_fmac_f32_e32 v34, v63, v60
	v_fmac_f32_e32 v4, v58, v17
	v_fma_mixlo_f16 v17, v50, v12, 0
	v_and_b32_e32 v17, 0xffff, v17
	;;#ASMSTART
	v_cvt_f32_f16 v17, v17;
	;;#ASMEND
	v_accvgpr_read_b32 v12, a37
	v_fmac_f32_e32 v8, v30, v17
	v_lshrrev_b32_e32 v17, 16, v31
	v_and_b32_e32 v30, 0xffff, v31
	v_fma_mixlo_f16 v31, v50, v12, 0
	;;#ASMSTART
	v_cvt_f32_f16 v30, v30;
	;;#ASMEND
	v_and_b32_e32 v31, 0xffff, v31
	v_accvgpr_read_b32 v12, a38
	;;#ASMSTART
	v_cvt_f32_f16 v17, v17;
	;;#ASMEND
	;;#ASMSTART
	v_cvt_f32_f16 v31, v31;
	;;#ASMEND
	v_fma_mixlo_f16 v61, v50, v16, 0
	v_fmac_f32_e32 v34, v30, v31
	v_fma_mixlo_f16 v30, v50, v12, 0
	v_and_b32_e32 v30, 0xffff, v30
	;;#ASMSTART
	v_cvt_f32_f16 v30, v30;
	;;#ASMEND
	v_accvgpr_read_b32 v12, a39
	v_fmac_f32_e32 v47, v17, v30
	ds_read_b64 v[30:31], v48 offset:24
	v_fma_mixlo_f16 v17, v50, v12, 0
	v_and_b32_e32 v17, 0xffff, v17
	v_fma_mixlo_f16 v62, v50, v39, 0
	v_fma_mixlo_f16 v39, v50, v2, 0
	s_waitcnt lgkmcnt(0)
	v_and_b32_e32 v58, 0xffff, v30
	v_lshrrev_b32_e32 v30, 16, v30
	;;#ASMSTART
	v_cvt_f32_f16 v58, v58;
	;;#ASMEND
	;;#ASMSTART
	v_cvt_f32_f16 v60, v30;
	;;#ASMEND
	v_fma_mixlo_f16 v30, v50, v23, 0
	v_fma_mixlo_f16 v23, v50, v22, 0
	;; [unrolled: 1-line block ×14, first 2 shown]
	v_accvgpr_read_b32 v0, a45
	v_fma_mixlo_f16 v63, v50, v0, 0
	v_accvgpr_read_b32 v0, a43
	v_fma_mixlo_f16 v38, v50, v0, 0
	v_accvgpr_read_b32 v0, a40
	;;#ASMSTART
	v_cvt_f32_f16 v17, v17;
	;;#ASMEND
	v_fma_mixlo_f16 v16, v50, v0, 0
	v_accvgpr_read_b32 v0, a41
	v_fmac_f32_e32 v4, v58, v17
	v_fma_mixlo_f16 v17, v50, v0, 0
	scratch_load_dword v0, off, s32 offset:124 ; 4-byte Folded Reload
	v_and_b32_e32 v16, 0xffff, v16
	;;#ASMSTART
	v_cvt_f32_f16 v16, v16;
	;;#ASMEND
	v_fma_mixlo_f16 v58, v50, v53, 0
	v_fmac_f32_e32 v8, v60, v16
	v_lshrrev_b32_e32 v16, 16, v31
	v_and_b32_e32 v31, 0xffff, v31
	v_fma_mixlo_f16 v53, v50, v40, 0
	v_fma_mixlo_f16 v40, v50, v21, 0
	;; [unrolled: 1-line block ×15, first 2 shown]
	;;#ASMSTART
	v_cvt_f32_f16 v31, v31;
	;;#ASMEND
	v_and_b32_e32 v12, 0xffff, v12
	v_and_b32_e32 v15, 0xffff, v15
	;; [unrolled: 1-line block ×5, first 2 shown]
	s_waitcnt vmcnt(0)
	v_fma_mixlo_f16 v19, v50, v0, 0
	v_fma_mixlo_f16 v0, v50, v59, 0
	;;#ASMSTART
	v_cvt_f32_f16 v50, v16;
	;;#ASMEND
	v_and_b32_e32 v16, 0xffff, v17
	;;#ASMSTART
	v_cvt_f32_f16 v46, v16;
	;;#ASMEND
	v_and_b32_e32 v16, 0xffff, v19
	;;#ASMSTART
	v_cvt_f32_f16 v19, v16;
	;;#ASMEND
	ds_read_b64 v[16:17], v48 offset:32
	v_fmac_f32_e32 v47, v50, v19
	v_fmac_f32_e32 v34, v31, v46
	v_and_b32_e32 v0, 0xffff, v0
	s_waitcnt lgkmcnt(0)
	v_lshrrev_b32_e32 v19, 16, v16
	v_and_b32_e32 v16, 0xffff, v16
	;;#ASMSTART
	v_cvt_f32_f16 v31, v16;
	;;#ASMEND
	v_and_b32_e32 v16, 0xffff, v38
	;;#ASMSTART
	v_cvt_f32_f16 v19, v19;
	;;#ASMEND
	;;#ASMSTART
	v_cvt_f32_f16 v38, v16;
	;;#ASMEND
	v_and_b32_e32 v16, 0xffff, v29
	;;#ASMSTART
	v_cvt_f32_f16 v29, v16;
	;;#ASMEND
	v_lshrrev_b32_e32 v16, 16, v17
	v_and_b32_e32 v17, 0xffff, v17
	;;#ASMSTART
	v_cvt_f32_f16 v50, v17;
	;;#ASMEND
	;;#ASMSTART
	v_cvt_f32_f16 v46, v16;
	;;#ASMEND
	v_and_b32_e32 v16, 0xffff, v49
	;;#ASMSTART
	v_cvt_f32_f16 v49, v16;
	;;#ASMEND
	;;#ASMSTART
	v_cvt_f32_f16 v12, v12;
	;;#ASMEND
	ds_read_b64 v[16:17], v48 offset:40
	v_fmac_f32_e32 v47, v46, v12
	v_fmac_f32_e32 v8, v19, v29
	;; [unrolled: 1-line block ×4, first 2 shown]
	s_waitcnt lgkmcnt(0)
	v_lshrrev_b32_e32 v12, 16, v16
	v_and_b32_e32 v16, 0xffff, v16
	;;#ASMSTART
	v_cvt_f32_f16 v19, v16;
	;;#ASMEND
	v_and_b32_e32 v16, 0xffff, v63
	;;#ASMSTART
	v_cvt_f32_f16 v12, v12;
	;;#ASMEND
	;;#ASMSTART
	v_cvt_f32_f16 v29, v16;
	;;#ASMEND
	v_and_b32_e32 v16, 0xffff, v62
	;;#ASMSTART
	v_cvt_f32_f16 v31, v16;
	;;#ASMEND
	v_lshrrev_b32_e32 v16, 16, v17
	v_and_b32_e32 v17, 0xffff, v17
	;;#ASMSTART
	v_cvt_f32_f16 v38, v17;
	;;#ASMEND
	;;#ASMSTART
	v_cvt_f32_f16 v49, v16;
	;;#ASMEND
	v_and_b32_e32 v16, 0xffff, v39
	;;#ASMSTART
	v_cvt_f32_f16 v39, v16;
	;;#ASMEND
	v_and_b32_e32 v16, 0xffff, v28
	;;#ASMSTART
	v_cvt_f32_f16 v28, v16;
	;;#ASMEND
	ds_read_b64 v[16:17], v48 offset:48
	v_fmac_f32_e32 v8, v12, v31
	v_fmac_f32_e32 v4, v19, v29
	;; [unrolled: 1-line block ×4, first 2 shown]
	s_waitcnt lgkmcnt(0)
	v_lshrrev_b32_e32 v12, 16, v16
	v_and_b32_e32 v16, 0xffff, v16
	;;#ASMSTART
	v_cvt_f32_f16 v19, v16;
	;;#ASMEND
	v_and_b32_e32 v16, 0xffff, v36
	;;#ASMSTART
	v_cvt_f32_f16 v12, v12;
	;;#ASMEND
	;;#ASMSTART
	v_cvt_f32_f16 v28, v16;
	;;#ASMEND
	v_lshrrev_b32_e32 v16, 16, v17
	;;#ASMSTART
	v_cvt_f32_f16 v15, v15;
	;;#ASMEND
	v_and_b32_e32 v17, 0xffff, v17
	;;#ASMSTART
	v_cvt_f32_f16 v29, v17;
	;;#ASMEND
	;;#ASMSTART
	v_cvt_f32_f16 v31, v16;
	;;#ASMEND
	v_and_b32_e32 v16, 0xffff, v61
	;;#ASMSTART
	v_cvt_f32_f16 v36, v16;
	;;#ASMEND
	;;#ASMSTART
	v_cvt_f32_f16 v7, v7;
	;;#ASMEND
	ds_read_b64 v[16:17], v48 offset:56
	v_fmac_f32_e32 v8, v12, v15
	v_fmac_f32_e32 v47, v31, v7
	;; [unrolled: 1-line block ×4, first 2 shown]
	s_waitcnt lgkmcnt(0)
	v_lshrrev_b32_e32 v7, 16, v16
	v_and_b32_e32 v12, 0xffff, v16
	;;#ASMSTART
	v_cvt_f32_f16 v12, v12;
	;;#ASMEND
	;;#ASMSTART
	v_cvt_f32_f16 v15, v7;
	;;#ASMEND
	v_and_b32_e32 v7, 0xffff, v33
	;;#ASMSTART
	v_cvt_f32_f16 v16, v7;
	;;#ASMEND
	v_and_b32_e32 v7, 0xffff, v32
	;;#ASMSTART
	v_cvt_f32_f16 v19, v7;
	;;#ASMEND
	v_lshrrev_b32_e32 v7, 16, v17
	v_and_b32_e32 v17, 0xffff, v17
	;;#ASMSTART
	v_cvt_f32_f16 v17, v17;
	;;#ASMEND
	;;#ASMSTART
	v_cvt_f32_f16 v28, v7;
	;;#ASMEND
	v_and_b32_e32 v7, 0xffff, v14
	;;#ASMSTART
	v_cvt_f32_f16 v14, v7;
	;;#ASMEND
	;;#ASMSTART
	v_cvt_f32_f16 v29, v6;
	;;#ASMEND
	ds_read_b64 v[6:7], v48 offset:64
	v_fmac_f32_e32 v4, v12, v16
	v_fmac_f32_e32 v34, v17, v14
	v_fmac_f32_e32 v8, v15, v19
	v_fmac_f32_e32 v47, v28, v29
	s_waitcnt lgkmcnt(0)
	v_lshrrev_b32_e32 v12, 16, v6
	v_and_b32_e32 v6, 0xffff, v6
	;;#ASMSTART
	v_cvt_f32_f16 v14, v6;
	;;#ASMEND
	v_and_b32_e32 v6, 0xffff, v25
	;;#ASMSTART
	v_cvt_f32_f16 v12, v12;
	;;#ASMEND
	;;#ASMSTART
	v_cvt_f32_f16 v15, v6;
	;;#ASMEND
	v_and_b32_e32 v6, 0xffff, v24
	;;#ASMSTART
	v_cvt_f32_f16 v16, v6;
	;;#ASMEND
	v_lshrrev_b32_e32 v6, 16, v7
	v_and_b32_e32 v7, 0xffff, v7
	;;#ASMSTART
	v_cvt_f32_f16 v17, v7;
	;;#ASMEND
	;;#ASMSTART
	v_cvt_f32_f16 v19, v6;
	;;#ASMEND
	v_and_b32_e32 v6, 0xffff, v11
	;;#ASMSTART
	v_cvt_f32_f16 v11, v6;
	;;#ASMEND
	v_and_b32_e32 v6, 0xffff, v10
	;;#ASMSTART
	v_cvt_f32_f16 v10, v6;
	;;#ASMEND
	ds_read_b64 v[6:7], v48 offset:72
	v_fmac_f32_e32 v47, v19, v10
	v_fmac_f32_e32 v34, v17, v11
	v_fmac_f32_e32 v8, v12, v16
	v_fmac_f32_e32 v4, v14, v15
	s_waitcnt lgkmcnt(0)
	v_lshrrev_b32_e32 v10, 16, v6
	v_and_b32_e32 v6, 0xffff, v6
	;;#ASMSTART
	v_cvt_f32_f16 v11, v6;
	;;#ASMEND
	v_and_b32_e32 v6, 0xffff, v52
	;;#ASMSTART
	v_cvt_f32_f16 v10, v10;
	;;#ASMEND
	;;#ASMSTART
	v_cvt_f32_f16 v12, v6;
	;;#ASMEND
	v_and_b32_e32 v6, 0xffff, v35
	;;#ASMSTART
	v_cvt_f32_f16 v14, v6;
	;;#ASMEND
	v_lshrrev_b32_e32 v6, 16, v7
	v_and_b32_e32 v7, 0xffff, v7
	;;#ASMSTART
	v_cvt_f32_f16 v15, v7;
	;;#ASMEND
	;;#ASMSTART
	v_cvt_f32_f16 v16, v6;
	;;#ASMEND
	v_and_b32_e32 v6, 0xffff, v13
	;;#ASMSTART
	v_cvt_f32_f16 v13, v6;
	;;#ASMEND
	v_and_b32_e32 v6, 0xffff, v9
	;; [unrolled: 38-line block ×7, first 2 shown]
	;;#ASMSTART
	v_cvt_f32_f16 v16, v6;
	;;#ASMEND
	ds_read_b64 v[6:7], v48 offset:120
	v_fmac_f32_e32 v8, v9, v12
	v_fmac_f32_e32 v4, v10, v11
	;; [unrolled: 1-line block ×4, first 2 shown]
	s_waitcnt lgkmcnt(0)
	v_lshrrev_b32_e32 v9, 16, v6
	v_and_b32_e32 v6, 0xffff, v6
	;;#ASMSTART
	v_cvt_f32_f16 v6, v6;
	;;#ASMEND
	;;#ASMSTART
	v_cvt_f32_f16 v9, v9;
	;;#ASMEND
	;; [unrolled: 3-line block ×4, first 2 shown]
	s_nop 0
	v_fmac_f32_e32 v4, v6, v3
	v_fmac_f32_e32 v8, v9, v2
	v_lshrrev_b32_e32 v2, 16, v7
	v_and_b32_e32 v3, 0xffff, v7
	;;#ASMSTART
	v_cvt_f32_f16 v3, v3;
	;;#ASMEND
	;;#ASMSTART
	v_cvt_f32_f16 v2, v2;
	;;#ASMEND
	;; [unrolled: 3-line block ×4, first 2 shown]
	s_nop 0
	v_fmac_f32_e32 v34, v3, v1
	v_fmac_f32_e32 v47, v2, v0
	v_add_f32_e32 v0, v4, v8
	v_add_f32_e32 v0, v0, v34
	v_accvgpr_read_b32 v3, a22
	v_add_f32_e32 v1, v47, v0
	v_and_b32_e32 v0, 64, v3
	v_xor_b32_e32 v2, 1, v3
	v_add_u32_e32 v0, 64, v0
	v_cmp_lt_i32_e64 s[4:5], v2, v0
	s_nop 1
	v_cndmask_b32_e64 v2, v3, v2, s[4:5]
	v_lshlrev_b32_e32 v2, 2, v2
	ds_bpermute_b32 v2, v2, v1
	s_mov_b64 s[20:21], exec
	s_and_b64 s[4:5], s[20:21], vcc
	v_accvgpr_read_b32 v7, a33
	s_mov_b64 exec, s[4:5]
	s_cbranch_execz .LBB282_8
; %bb.282:                              ;   in Loop: Header=BB282_9 Depth=1
	s_waitcnt lgkmcnt(0)
	v_add_f32_e32 v1, v1, v2
	scratch_load_dword v2, off, s32 offset:136 ; 4-byte Folded Reload
	v_accvgpr_read_b32 v3, a30
	v_accvgpr_read_b32 v6, a31
	v_add_u32_e32 v3, v3, v6
	v_cvt_f32_i32_e32 v3, v3
	s_load_dword s4, s[8:9], 0x0
	v_accvgpr_read_b32 v4, a15
	s_waitcnt vmcnt(0)
	v_mul_f32_e32 v2, v2, v3
	v_cndmask_b32_e64 v2, 0, v2, s[2:3]
	v_accvgpr_read_b32 v3, a32
	v_fmac_f32_e32 v2, v1, v4
	v_accvgpr_read_b32 v4, a8
	s_waitcnt lgkmcnt(0)
	v_add_u32_e32 v3, s4, v3
	v_cmp_lt_i32_e64 s[4:5], v6, v4
	s_nop 1
	v_cndmask_b32_e64 v1, 0, v2, s[4:5]
	ds_write_b32 v3, v1
	scratch_load_dword v3, off, s32 offset:132 ; 4-byte Folded Reload
	s_waitcnt vmcnt(0)
	v_max_f32_e32 v1, v3, v3
	v_max_f32_e32 v1, v1, v2
	v_cndmask_b32_e64 v3, v3, v1, s[4:5]
	scratch_store_dword off, v3, s32 offset:132 ; 4-byte Folded Spill
	s_branch .LBB282_8
.LBB282_283:                            ;   in Loop: Header=BB282_9 Depth=1
	v_cmp_eq_u16_sdwa s[28:29], v8, s26 src0_sel:BYTE_0 src1_sel:DWORD
	s_mov_b64 s[4:5], -1
                                        ; implicit-def: $sgpr24
	s_and_saveexec_b64 s[22:23], s[28:29]
; %bb.284:                              ;   in Loop: Header=BB282_9 Depth=1
	s_mov_b32 s24, 0x7fc02000
	s_xor_b64 s[4:5], exec, -1
; %bb.285:                              ;   in Loop: Header=BB282_9 Depth=1
	s_or_b64 exec, exec, s[22:23]
	s_and_b64 s[4:5], s[4:5], exec
	s_or_saveexec_b64 s[20:21], s[20:21]
	v_mov_b32_e32 v0, s24
	s_xor_b64 exec, exec, s[20:21]
	s_cbranch_execz .LBB282_11
.LBB282_286:                            ;   in Loop: Header=BB282_9 Depth=1
	v_cmp_ne_u16_sdwa s[22:23], v8, v5 src0_sel:BYTE_0 src1_sel:DWORD
	s_andn2_b64 s[4:5], s[4:5], exec
	s_and_b64 s[22:23], s[22:23], exec
	v_mov_b32_e32 v0, 0
	s_or_b64 s[4:5], s[4:5], s[22:23]
	s_or_b64 exec, exec, s[20:21]
	s_and_saveexec_b64 s[20:21], s[4:5]
	s_cbranch_execnz .LBB282_12
	s_branch .LBB282_13
.LBB282_287:                            ;   in Loop: Header=BB282_9 Depth=1
	v_cmp_eq_u16_e64 s[4:5], s26, v4
	s_mov_b64 s[20:21], -1
                                        ; implicit-def: $sgpr28
	s_and_saveexec_b64 s[24:25], s[4:5]
; %bb.288:                              ;   in Loop: Header=BB282_9 Depth=1
	s_mov_b32 s28, 0x7fc02000
	s_xor_b64 s[20:21], exec, -1
; %bb.289:                              ;   in Loop: Header=BB282_9 Depth=1
	s_or_b64 exec, exec, s[24:25]
	s_and_b64 s[20:21], s[20:21], exec
	s_or_saveexec_b64 s[22:23], s[22:23]
	v_mov_b32_e32 v17, s28
	s_xor_b64 exec, exec, s[22:23]
	s_cbranch_execz .LBB282_15
.LBB282_290:                            ;   in Loop: Header=BB282_9 Depth=1
	v_cmp_ne_u16_e64 s[4:5], 0, v4
	s_andn2_b64 s[20:21], s[20:21], exec
	s_and_b64 s[4:5], s[4:5], exec
	v_mov_b32_e32 v17, 0
	s_or_b64 s[20:21], s[20:21], s[4:5]
	s_or_b64 exec, exec, s[22:23]
	s_and_saveexec_b64 s[22:23], s[20:21]
	s_cbranch_execnz .LBB282_16
	s_branch .LBB282_17
.LBB282_291:                            ;   in Loop: Header=BB282_9 Depth=1
	v_cmp_eq_u16_e64 s[4:5], s26, v4
	s_mov_b64 s[20:21], -1
                                        ; implicit-def: $sgpr28
	s_and_saveexec_b64 s[24:25], s[4:5]
; %bb.292:                              ;   in Loop: Header=BB282_9 Depth=1
	s_mov_b32 s28, 0x7fc02000
	s_xor_b64 s[20:21], exec, -1
; %bb.293:                              ;   in Loop: Header=BB282_9 Depth=1
	s_or_b64 exec, exec, s[24:25]
	s_and_b64 s[20:21], s[20:21], exec
	s_or_saveexec_b64 s[22:23], s[22:23]
	v_mov_b32_e32 v28, s28
	s_xor_b64 exec, exec, s[22:23]
	s_cbranch_execz .LBB282_27
.LBB282_294:                            ;   in Loop: Header=BB282_9 Depth=1
	v_cmp_ne_u16_e64 s[4:5], 0, v4
	s_andn2_b64 s[20:21], s[20:21], exec
	s_and_b64 s[4:5], s[4:5], exec
	v_mov_b32_e32 v28, 0
	s_or_b64 s[20:21], s[20:21], s[4:5]
	s_or_b64 exec, exec, s[22:23]
	s_and_saveexec_b64 s[22:23], s[20:21]
	s_cbranch_execnz .LBB282_28
	s_branch .LBB282_29
.LBB282_295:                            ;   in Loop: Header=BB282_9 Depth=1
	v_cmp_eq_u16_sdwa s[28:29], v8, s26 src0_sel:BYTE_0 src1_sel:DWORD
	s_mov_b64 s[4:5], -1
                                        ; implicit-def: $sgpr24
	s_and_saveexec_b64 s[22:23], s[28:29]
; %bb.296:                              ;   in Loop: Header=BB282_9 Depth=1
	s_mov_b32 s24, 0x7fc02000
	s_xor_b64 s[4:5], exec, -1
; %bb.297:                              ;   in Loop: Header=BB282_9 Depth=1
	s_or_b64 exec, exec, s[22:23]
	s_and_b64 s[4:5], s[4:5], exec
	s_or_saveexec_b64 s[20:21], s[20:21]
	v_mov_b32_e32 v0, s24
	s_xor_b64 exec, exec, s[20:21]
	s_cbranch_execz .LBB282_31
.LBB282_298:                            ;   in Loop: Header=BB282_9 Depth=1
	v_cmp_ne_u16_sdwa s[22:23], v8, v5 src0_sel:BYTE_0 src1_sel:DWORD
	s_andn2_b64 s[4:5], s[4:5], exec
	s_and_b64 s[22:23], s[22:23], exec
	v_mov_b32_e32 v0, 0
	s_or_b64 s[4:5], s[4:5], s[22:23]
	s_or_b64 exec, exec, s[20:21]
	s_and_saveexec_b64 s[20:21], s[4:5]
	s_cbranch_execnz .LBB282_32
	s_branch .LBB282_33
.LBB282_299:                            ;   in Loop: Header=BB282_9 Depth=1
	v_cmp_eq_u16_sdwa s[28:29], v4, s26 src0_sel:BYTE_0 src1_sel:DWORD
	s_mov_b64 s[4:5], -1
                                        ; implicit-def: $sgpr24
	s_and_saveexec_b64 s[22:23], s[28:29]
; %bb.300:                              ;   in Loop: Header=BB282_9 Depth=1
	s_mov_b32 s24, 0x7fc02000
	s_xor_b64 s[4:5], exec, -1
; %bb.301:                              ;   in Loop: Header=BB282_9 Depth=1
	s_or_b64 exec, exec, s[22:23]
	s_and_b64 s[4:5], s[4:5], exec
	s_or_saveexec_b64 s[20:21], s[20:21]
	v_mov_b32_e32 v38, s24
	s_xor_b64 exec, exec, s[20:21]
	s_cbranch_execz .LBB282_43
.LBB282_302:                            ;   in Loop: Header=BB282_9 Depth=1
	v_cmp_ne_u16_sdwa s[22:23], v4, v5 src0_sel:BYTE_0 src1_sel:DWORD
	s_andn2_b64 s[4:5], s[4:5], exec
	s_and_b64 s[22:23], s[22:23], exec
	v_mov_b32_e32 v38, 0
	s_or_b64 s[4:5], s[4:5], s[22:23]
	s_or_b64 exec, exec, s[20:21]
	s_and_saveexec_b64 s[20:21], s[4:5]
	s_cbranch_execnz .LBB282_44
	s_branch .LBB282_45
.LBB282_303:                            ;   in Loop: Header=BB282_9 Depth=1
	v_cmp_eq_u16_e64 s[4:5], s26, v4
	s_mov_b64 s[20:21], -1
                                        ; implicit-def: $sgpr28
	s_and_saveexec_b64 s[24:25], s[4:5]
; %bb.304:                              ;   in Loop: Header=BB282_9 Depth=1
	s_mov_b32 s28, 0x7fc02000
	s_xor_b64 s[20:21], exec, -1
; %bb.305:                              ;   in Loop: Header=BB282_9 Depth=1
	s_or_b64 exec, exec, s[24:25]
	s_and_b64 s[20:21], s[20:21], exec
	s_or_saveexec_b64 s[22:23], s[22:23]
	v_mov_b32_e32 v48, s28
	s_xor_b64 exec, exec, s[22:23]
	s_cbranch_execz .LBB282_47
.LBB282_306:                            ;   in Loop: Header=BB282_9 Depth=1
	v_cmp_ne_u16_e64 s[4:5], 0, v4
	s_andn2_b64 s[20:21], s[20:21], exec
	s_and_b64 s[4:5], s[4:5], exec
	v_mov_b32_e32 v48, 0
	s_or_b64 s[20:21], s[20:21], s[4:5]
	s_or_b64 exec, exec, s[22:23]
	s_and_saveexec_b64 s[22:23], s[20:21]
	s_cbranch_execnz .LBB282_48
	s_branch .LBB282_49
.LBB282_307:                            ;   in Loop: Header=BB282_9 Depth=1
	v_cmp_eq_u16_sdwa s[28:29], v8, s26 src0_sel:BYTE_0 src1_sel:DWORD
	s_mov_b64 s[4:5], -1
                                        ; implicit-def: $sgpr24
	s_and_saveexec_b64 s[22:23], s[28:29]
; %bb.308:                              ;   in Loop: Header=BB282_9 Depth=1
	s_mov_b32 s24, 0x7fc02000
	s_xor_b64 s[4:5], exec, -1
; %bb.309:                              ;   in Loop: Header=BB282_9 Depth=1
	s_or_b64 exec, exec, s[22:23]
	s_and_b64 s[4:5], s[4:5], exec
	s_or_saveexec_b64 s[20:21], s[20:21]
	v_mov_b32_e32 v0, s24
	s_xor_b64 exec, exec, s[20:21]
	s_cbranch_execz .LBB282_51
.LBB282_310:                            ;   in Loop: Header=BB282_9 Depth=1
	v_cmp_ne_u16_sdwa s[22:23], v8, v5 src0_sel:BYTE_0 src1_sel:DWORD
	s_andn2_b64 s[4:5], s[4:5], exec
	s_and_b64 s[22:23], s[22:23], exec
	v_mov_b32_e32 v0, 0
	s_or_b64 s[4:5], s[4:5], s[22:23]
	s_or_b64 exec, exec, s[20:21]
	s_and_saveexec_b64 s[20:21], s[4:5]
	s_cbranch_execnz .LBB282_52
	s_branch .LBB282_53
.LBB282_311:                            ;   in Loop: Header=BB282_9 Depth=1
	v_cmp_eq_u16_e64 s[4:5], s26, v4
	s_mov_b64 s[20:21], -1
                                        ; implicit-def: $sgpr28
	s_and_saveexec_b64 s[24:25], s[4:5]
; %bb.312:                              ;   in Loop: Header=BB282_9 Depth=1
	s_mov_b32 s28, 0x7fc02000
	s_xor_b64 s[20:21], exec, -1
; %bb.313:                              ;   in Loop: Header=BB282_9 Depth=1
	s_or_b64 exec, exec, s[24:25]
	s_and_b64 s[20:21], s[20:21], exec
	s_or_saveexec_b64 s[22:23], s[22:23]
	v_mov_b32_e32 v58, s28
	s_xor_b64 exec, exec, s[22:23]
	s_cbranch_execz .LBB282_55
.LBB282_314:                            ;   in Loop: Header=BB282_9 Depth=1
	v_cmp_ne_u16_e64 s[4:5], 0, v4
	s_andn2_b64 s[20:21], s[20:21], exec
	s_and_b64 s[4:5], s[4:5], exec
	v_mov_b32_e32 v58, 0
	s_or_b64 s[20:21], s[20:21], s[4:5]
	s_or_b64 exec, exec, s[22:23]
	s_and_saveexec_b64 s[22:23], s[20:21]
	s_cbranch_execnz .LBB282_56
	s_branch .LBB282_57
.LBB282_315:                            ;   in Loop: Header=BB282_9 Depth=1
	v_cmp_eq_u16_sdwa s[28:29], v4, s26 src0_sel:BYTE_0 src1_sel:DWORD
	s_mov_b64 s[4:5], -1
                                        ; implicit-def: $sgpr24
	s_and_saveexec_b64 s[22:23], s[28:29]
; %bb.316:                              ;   in Loop: Header=BB282_9 Depth=1
	s_mov_b32 s24, 0x7fc02000
	s_xor_b64 s[4:5], exec, -1
; %bb.317:                              ;   in Loop: Header=BB282_9 Depth=1
	s_or_b64 exec, exec, s[22:23]
	s_and_b64 s[4:5], s[4:5], exec
	s_or_saveexec_b64 s[20:21], s[20:21]
	v_mov_b32_e32 v60, s24
	s_xor_b64 exec, exec, s[20:21]
	s_cbranch_execz .LBB282_59
.LBB282_318:                            ;   in Loop: Header=BB282_9 Depth=1
	v_cmp_ne_u16_sdwa s[22:23], v4, v5 src0_sel:BYTE_0 src1_sel:DWORD
	s_andn2_b64 s[4:5], s[4:5], exec
	s_and_b64 s[22:23], s[22:23], exec
	v_mov_b32_e32 v60, 0
	s_or_b64 s[4:5], s[4:5], s[22:23]
	s_or_b64 exec, exec, s[20:21]
	s_and_saveexec_b64 s[20:21], s[4:5]
	s_cbranch_execnz .LBB282_60
	s_branch .LBB282_61
.LBB282_319:                            ;   in Loop: Header=BB282_9 Depth=1
	v_cmp_eq_u16_e64 s[4:5], s26, v4
	s_mov_b64 s[20:21], -1
                                        ; implicit-def: $sgpr28
	s_and_saveexec_b64 s[24:25], s[4:5]
; %bb.320:                              ;   in Loop: Header=BB282_9 Depth=1
	s_mov_b32 s28, 0x7fc02000
	s_xor_b64 s[20:21], exec, -1
; %bb.321:                              ;   in Loop: Header=BB282_9 Depth=1
	s_or_b64 exec, exec, s[24:25]
	s_and_b64 s[20:21], s[20:21], exec
	s_or_saveexec_b64 s[22:23], s[22:23]
	v_mov_b32_e32 v61, s28
	s_xor_b64 exec, exec, s[22:23]
	s_cbranch_execz .LBB282_63
.LBB282_322:                            ;   in Loop: Header=BB282_9 Depth=1
	v_cmp_ne_u16_e64 s[4:5], 0, v4
	s_andn2_b64 s[20:21], s[20:21], exec
	s_and_b64 s[4:5], s[4:5], exec
	v_mov_b32_e32 v61, 0
	s_or_b64 s[20:21], s[20:21], s[4:5]
	s_or_b64 exec, exec, s[22:23]
	s_and_saveexec_b64 s[22:23], s[20:21]
	s_cbranch_execnz .LBB282_64
	s_branch .LBB282_65
.LBB282_323:                            ;   in Loop: Header=BB282_9 Depth=1
	v_cmp_eq_u16_sdwa s[28:29], v8, s26 src0_sel:BYTE_0 src1_sel:DWORD
	s_mov_b64 s[4:5], -1
                                        ; implicit-def: $sgpr24
	s_and_saveexec_b64 s[22:23], s[28:29]
; %bb.324:                              ;   in Loop: Header=BB282_9 Depth=1
	s_mov_b32 s24, 0x7fc02000
	s_xor_b64 s[4:5], exec, -1
; %bb.325:                              ;   in Loop: Header=BB282_9 Depth=1
	s_or_b64 exec, exec, s[22:23]
	s_and_b64 s[4:5], s[4:5], exec
	s_or_saveexec_b64 s[20:21], s[20:21]
	v_mov_b32_e32 v0, s24
	s_xor_b64 exec, exec, s[20:21]
	s_cbranch_execz .LBB282_67
.LBB282_326:                            ;   in Loop: Header=BB282_9 Depth=1
	v_cmp_ne_u16_sdwa s[22:23], v8, v5 src0_sel:BYTE_0 src1_sel:DWORD
	s_andn2_b64 s[4:5], s[4:5], exec
	s_and_b64 s[22:23], s[22:23], exec
	v_mov_b32_e32 v0, 0
	s_or_b64 s[4:5], s[4:5], s[22:23]
	s_or_b64 exec, exec, s[20:21]
	s_and_saveexec_b64 s[20:21], s[4:5]
	s_cbranch_execnz .LBB282_68
	s_branch .LBB282_69
.LBB282_327:                            ;   in Loop: Header=BB282_9 Depth=1
	v_cmp_eq_u16_e64 s[4:5], s26, v4
	s_mov_b64 s[20:21], -1
                                        ; implicit-def: $sgpr28
	s_and_saveexec_b64 s[24:25], s[4:5]
; %bb.328:                              ;   in Loop: Header=BB282_9 Depth=1
	s_mov_b32 s28, 0x7fc02000
	s_xor_b64 s[20:21], exec, -1
; %bb.329:                              ;   in Loop: Header=BB282_9 Depth=1
	s_or_b64 exec, exec, s[24:25]
	s_and_b64 s[20:21], s[20:21], exec
	s_or_saveexec_b64 s[22:23], s[22:23]
	v_mov_b32_e32 v62, s28
	s_xor_b64 exec, exec, s[22:23]
	s_cbranch_execz .LBB282_71
.LBB282_330:                            ;   in Loop: Header=BB282_9 Depth=1
	v_cmp_ne_u16_e64 s[4:5], 0, v4
	s_andn2_b64 s[20:21], s[20:21], exec
	s_and_b64 s[4:5], s[4:5], exec
	v_mov_b32_e32 v62, 0
	s_or_b64 s[20:21], s[20:21], s[4:5]
	s_or_b64 exec, exec, s[22:23]
	s_and_saveexec_b64 s[22:23], s[20:21]
	s_cbranch_execnz .LBB282_72
	s_branch .LBB282_73
.LBB282_331:                            ;   in Loop: Header=BB282_9 Depth=1
	v_cmp_eq_u16_sdwa s[28:29], v4, s26 src0_sel:BYTE_0 src1_sel:DWORD
	s_mov_b64 s[4:5], -1
                                        ; implicit-def: $sgpr24
	s_and_saveexec_b64 s[22:23], s[28:29]
; %bb.332:                              ;   in Loop: Header=BB282_9 Depth=1
	s_mov_b32 s24, 0x7fc02000
	s_xor_b64 s[4:5], exec, -1
; %bb.333:                              ;   in Loop: Header=BB282_9 Depth=1
	s_or_b64 exec, exec, s[22:23]
	s_and_b64 s[4:5], s[4:5], exec
	s_or_saveexec_b64 s[20:21], s[20:21]
	v_mov_b32_e32 v63, s24
	s_xor_b64 exec, exec, s[20:21]
	s_cbranch_execz .LBB282_75
.LBB282_334:                            ;   in Loop: Header=BB282_9 Depth=1
	v_cmp_ne_u16_sdwa s[22:23], v4, v5 src0_sel:BYTE_0 src1_sel:DWORD
	s_andn2_b64 s[4:5], s[4:5], exec
	s_and_b64 s[22:23], s[22:23], exec
	v_mov_b32_e32 v63, 0
	s_or_b64 s[4:5], s[4:5], s[22:23]
	s_or_b64 exec, exec, s[20:21]
	s_and_saveexec_b64 s[20:21], s[4:5]
	s_cbranch_execnz .LBB282_76
	s_branch .LBB282_77
.LBB282_335:                            ;   in Loop: Header=BB282_9 Depth=1
	v_cmp_eq_u16_sdwa s[28:29], v8, s26 src0_sel:BYTE_0 src1_sel:DWORD
	s_mov_b64 s[4:5], -1
                                        ; implicit-def: $sgpr24
	s_and_saveexec_b64 s[22:23], s[28:29]
; %bb.336:                              ;   in Loop: Header=BB282_9 Depth=1
	s_mov_b32 s24, 0x7fc02000
	s_xor_b64 s[4:5], exec, -1
; %bb.337:                              ;   in Loop: Header=BB282_9 Depth=1
	s_or_b64 exec, exec, s[22:23]
	s_and_b64 s[4:5], s[4:5], exec
	s_or_saveexec_b64 s[20:21], s[20:21]
	v_mov_b32_e32 v0, s24
	s_xor_b64 exec, exec, s[20:21]
	s_cbranch_execz .LBB282_87
.LBB282_338:                            ;   in Loop: Header=BB282_9 Depth=1
	v_cmp_ne_u16_sdwa s[22:23], v8, v5 src0_sel:BYTE_0 src1_sel:DWORD
	s_andn2_b64 s[4:5], s[4:5], exec
	s_and_b64 s[22:23], s[22:23], exec
	v_mov_b32_e32 v0, 0
	s_or_b64 s[4:5], s[4:5], s[22:23]
	s_or_b64 exec, exec, s[20:21]
	s_and_saveexec_b64 s[20:21], s[4:5]
	s_cbranch_execnz .LBB282_88
	s_branch .LBB282_89
.LBB282_339:                            ;   in Loop: Header=BB282_9 Depth=1
	v_cmp_eq_u16_e64 s[4:5], s26, v4
	s_mov_b64 s[20:21], -1
                                        ; implicit-def: $sgpr28
	s_and_saveexec_b64 s[24:25], s[4:5]
; %bb.340:                              ;   in Loop: Header=BB282_9 Depth=1
	s_mov_b32 s28, 0x7fc02000
	s_xor_b64 s[20:21], exec, -1
; %bb.341:                              ;   in Loop: Header=BB282_9 Depth=1
	s_or_b64 exec, exec, s[24:25]
	s_and_b64 s[20:21], s[20:21], exec
	s_or_saveexec_b64 s[22:23], s[22:23]
	v_mov_b32_e32 v29, s28
	s_xor_b64 exec, exec, s[22:23]
	s_cbranch_execz .LBB282_91
.LBB282_342:                            ;   in Loop: Header=BB282_9 Depth=1
	v_cmp_ne_u16_e64 s[4:5], 0, v4
	s_andn2_b64 s[20:21], s[20:21], exec
	s_and_b64 s[4:5], s[4:5], exec
	v_mov_b32_e32 v29, 0
	s_or_b64 s[20:21], s[20:21], s[4:5]
	s_or_b64 exec, exec, s[22:23]
	s_and_saveexec_b64 s[22:23], s[20:21]
	s_cbranch_execnz .LBB282_92
	s_branch .LBB282_93
.LBB282_343:                            ;   in Loop: Header=BB282_9 Depth=1
	v_cmp_eq_u16_sdwa s[28:29], v4, s26 src0_sel:BYTE_0 src1_sel:DWORD
	s_mov_b64 s[4:5], -1
                                        ; implicit-def: $sgpr24
	s_and_saveexec_b64 s[22:23], s[28:29]
; %bb.344:                              ;   in Loop: Header=BB282_9 Depth=1
	s_mov_b32 s24, 0x7fc02000
	s_xor_b64 s[4:5], exec, -1
; %bb.345:                              ;   in Loop: Header=BB282_9 Depth=1
	s_or_b64 exec, exec, s[22:23]
	s_and_b64 s[4:5], s[4:5], exec
	s_or_saveexec_b64 s[20:21], s[20:21]
	v_mov_b32_e32 v49, s24
	s_xor_b64 exec, exec, s[20:21]
	s_cbranch_execz .LBB282_95
.LBB282_346:                            ;   in Loop: Header=BB282_9 Depth=1
	v_cmp_ne_u16_sdwa s[22:23], v4, v5 src0_sel:BYTE_0 src1_sel:DWORD
	s_andn2_b64 s[4:5], s[4:5], exec
	s_and_b64 s[22:23], s[22:23], exec
	v_mov_b32_e32 v49, 0
	s_or_b64 s[4:5], s[4:5], s[22:23]
	s_or_b64 exec, exec, s[20:21]
	s_and_saveexec_b64 s[20:21], s[4:5]
	s_cbranch_execnz .LBB282_96
	s_branch .LBB282_97
.LBB282_347:                            ;   in Loop: Header=BB282_9 Depth=1
	v_cmp_eq_u16_e64 s[4:5], s26, v4
	s_mov_b64 s[20:21], -1
                                        ; implicit-def: $sgpr28
	s_and_saveexec_b64 s[24:25], s[4:5]
; %bb.348:                              ;   in Loop: Header=BB282_9 Depth=1
	s_mov_b32 s28, 0x7fc02000
	s_xor_b64 s[20:21], exec, -1
; %bb.349:                              ;   in Loop: Header=BB282_9 Depth=1
	s_or_b64 exec, exec, s[24:25]
	s_and_b64 s[20:21], s[20:21], exec
	s_or_saveexec_b64 s[22:23], s[22:23]
	v_mov_b32_e32 v19, s28
	s_xor_b64 exec, exec, s[22:23]
	s_cbranch_execz .LBB282_99
.LBB282_350:                            ;   in Loop: Header=BB282_9 Depth=1
	v_cmp_ne_u16_e64 s[4:5], 0, v4
	s_andn2_b64 s[20:21], s[20:21], exec
	s_and_b64 s[4:5], s[4:5], exec
	v_mov_b32_e32 v19, 0
	s_or_b64 s[20:21], s[20:21], s[4:5]
	s_or_b64 exec, exec, s[22:23]
	s_and_saveexec_b64 s[22:23], s[20:21]
	s_cbranch_execnz .LBB282_100
	s_branch .LBB282_101
.LBB282_351:                            ;   in Loop: Header=BB282_9 Depth=1
	v_cmp_eq_u16_sdwa s[28:29], v8, s26 src0_sel:BYTE_0 src1_sel:DWORD
	s_mov_b64 s[4:5], -1
                                        ; implicit-def: $sgpr24
	s_and_saveexec_b64 s[22:23], s[28:29]
; %bb.352:                              ;   in Loop: Header=BB282_9 Depth=1
	s_mov_b32 s24, 0x7fc02000
	s_xor_b64 s[4:5], exec, -1
; %bb.353:                              ;   in Loop: Header=BB282_9 Depth=1
	s_or_b64 exec, exec, s[22:23]
	s_and_b64 s[4:5], s[4:5], exec
	s_or_saveexec_b64 s[20:21], s[20:21]
	v_mov_b32_e32 v0, s24
	s_xor_b64 exec, exec, s[20:21]
	s_cbranch_execz .LBB282_103
.LBB282_354:                            ;   in Loop: Header=BB282_9 Depth=1
	v_cmp_ne_u16_sdwa s[22:23], v8, v5 src0_sel:BYTE_0 src1_sel:DWORD
	s_andn2_b64 s[4:5], s[4:5], exec
	s_and_b64 s[22:23], s[22:23], exec
	v_mov_b32_e32 v0, 0
	s_or_b64 s[4:5], s[4:5], s[22:23]
	s_or_b64 exec, exec, s[20:21]
	s_and_saveexec_b64 s[20:21], s[4:5]
	s_cbranch_execnz .LBB282_104
	s_branch .LBB282_105
.LBB282_355:                            ;   in Loop: Header=BB282_9 Depth=1
	v_cmp_eq_u16_e64 s[4:5], s26, v4
	s_mov_b64 s[20:21], -1
                                        ; implicit-def: $sgpr28
	s_and_saveexec_b64 s[24:25], s[4:5]
; %bb.356:                              ;   in Loop: Header=BB282_9 Depth=1
	s_mov_b32 s28, 0x7fc02000
	s_xor_b64 s[20:21], exec, -1
; %bb.357:                              ;   in Loop: Header=BB282_9 Depth=1
	s_or_b64 exec, exec, s[24:25]
	s_and_b64 s[20:21], s[20:21], exec
	s_or_saveexec_b64 s[22:23], s[22:23]
	v_mov_b32_e32 v39, s28
	s_xor_b64 exec, exec, s[22:23]
	s_cbranch_execz .LBB282_107
.LBB282_358:                            ;   in Loop: Header=BB282_9 Depth=1
	v_cmp_ne_u16_e64 s[4:5], 0, v4
	s_andn2_b64 s[20:21], s[20:21], exec
	s_and_b64 s[4:5], s[4:5], exec
	v_mov_b32_e32 v39, 0
	s_or_b64 s[20:21], s[20:21], s[4:5]
	s_or_b64 exec, exec, s[22:23]
	s_and_saveexec_b64 s[22:23], s[20:21]
	s_cbranch_execnz .LBB282_108
	s_branch .LBB282_109
.LBB282_359:                            ;   in Loop: Header=BB282_9 Depth=1
	v_cmp_eq_u16_sdwa s[28:29], v4, s26 src0_sel:BYTE_0 src1_sel:DWORD
	s_mov_b64 s[4:5], -1
                                        ; implicit-def: $sgpr24
	s_and_saveexec_b64 s[22:23], s[28:29]
; %bb.360:                              ;   in Loop: Header=BB282_9 Depth=1
	s_mov_b32 s24, 0x7fc02000
	s_xor_b64 s[4:5], exec, -1
; %bb.361:                              ;   in Loop: Header=BB282_9 Depth=1
	s_or_b64 exec, exec, s[22:23]
	s_and_b64 s[4:5], s[4:5], exec
	s_or_saveexec_b64 s[20:21], s[20:21]
	v_mov_b32_e32 v2, s24
	s_xor_b64 exec, exec, s[20:21]
	s_cbranch_execz .LBB282_111
.LBB282_362:                            ;   in Loop: Header=BB282_9 Depth=1
	v_cmp_ne_u16_sdwa s[22:23], v4, v5 src0_sel:BYTE_0 src1_sel:DWORD
	s_andn2_b64 s[4:5], s[4:5], exec
	s_and_b64 s[22:23], s[22:23], exec
	v_mov_b32_e32 v2, 0
	s_or_b64 s[4:5], s[4:5], s[22:23]
	s_or_b64 exec, exec, s[20:21]
	s_and_saveexec_b64 s[20:21], s[4:5]
	s_cbranch_execnz .LBB282_112
	s_branch .LBB282_113
.LBB282_363:                            ;   in Loop: Header=BB282_9 Depth=1
	v_cmp_eq_u16_e64 s[4:5], s26, v4
	s_mov_b64 s[20:21], -1
                                        ; implicit-def: $sgpr28
	s_and_saveexec_b64 s[24:25], s[4:5]
; %bb.364:                              ;   in Loop: Header=BB282_9 Depth=1
	s_mov_b32 s28, 0x7fc02000
	s_xor_b64 s[20:21], exec, -1
; %bb.365:                              ;   in Loop: Header=BB282_9 Depth=1
	s_or_b64 exec, exec, s[24:25]
	s_and_b64 s[20:21], s[20:21], exec
	s_or_saveexec_b64 s[22:23], s[22:23]
	v_mov_b32_e32 v3, s28
	s_xor_b64 exec, exec, s[22:23]
	s_cbranch_execz .LBB282_115
.LBB282_366:                            ;   in Loop: Header=BB282_9 Depth=1
	v_cmp_ne_u16_e64 s[4:5], 0, v4
	s_andn2_b64 s[20:21], s[20:21], exec
	s_and_b64 s[4:5], s[4:5], exec
	v_mov_b32_e32 v3, 0
	s_or_b64 s[20:21], s[20:21], s[4:5]
	s_or_b64 exec, exec, s[22:23]
	s_and_saveexec_b64 s[22:23], s[20:21]
	s_cbranch_execnz .LBB282_116
	s_branch .LBB282_117
.LBB282_367:                            ;   in Loop: Header=BB282_9 Depth=1
	v_cmp_eq_u16_sdwa s[28:29], v8, s26 src0_sel:BYTE_0 src1_sel:DWORD
	s_mov_b64 s[4:5], -1
                                        ; implicit-def: $sgpr24
	s_and_saveexec_b64 s[22:23], s[28:29]
; %bb.368:                              ;   in Loop: Header=BB282_9 Depth=1
	s_mov_b32 s24, 0x7fc02000
	s_xor_b64 s[4:5], exec, -1
; %bb.369:                              ;   in Loop: Header=BB282_9 Depth=1
	s_or_b64 exec, exec, s[22:23]
	s_and_b64 s[4:5], s[4:5], exec
	s_or_saveexec_b64 s[20:21], s[20:21]
	v_mov_b32_e32 v0, s24
	s_xor_b64 exec, exec, s[20:21]
	s_cbranch_execz .LBB282_119
.LBB282_370:                            ;   in Loop: Header=BB282_9 Depth=1
	v_cmp_ne_u16_sdwa s[22:23], v8, v5 src0_sel:BYTE_0 src1_sel:DWORD
	s_andn2_b64 s[4:5], s[4:5], exec
	s_and_b64 s[22:23], s[22:23], exec
	v_mov_b32_e32 v0, 0
	s_or_b64 s[4:5], s[4:5], s[22:23]
	s_or_b64 exec, exec, s[20:21]
	s_and_saveexec_b64 s[20:21], s[4:5]
	s_cbranch_execnz .LBB282_120
	s_branch .LBB282_121
.LBB282_371:                            ;   in Loop: Header=BB282_9 Depth=1
	v_cmp_eq_u16_e64 s[4:5], s26, v4
	s_mov_b64 s[20:21], -1
                                        ; implicit-def: $sgpr28
	s_and_saveexec_b64 s[24:25], s[4:5]
; %bb.372:                              ;   in Loop: Header=BB282_9 Depth=1
	s_mov_b32 s28, 0x7fc02000
	s_xor_b64 s[20:21], exec, -1
; %bb.373:                              ;   in Loop: Header=BB282_9 Depth=1
	s_or_b64 exec, exec, s[24:25]
	s_and_b64 s[20:21], s[20:21], exec
	s_or_saveexec_b64 s[22:23], s[22:23]
	v_mov_b32_e32 v1, s28
	s_xor_b64 exec, exec, s[22:23]
	s_cbranch_execz .LBB282_123
.LBB282_374:                            ;   in Loop: Header=BB282_9 Depth=1
	v_cmp_ne_u16_e64 s[4:5], 0, v4
	s_andn2_b64 s[20:21], s[20:21], exec
	s_and_b64 s[4:5], s[4:5], exec
	v_mov_b32_e32 v1, 0
	s_or_b64 s[20:21], s[20:21], s[4:5]
	s_or_b64 exec, exec, s[22:23]
	s_and_saveexec_b64 s[22:23], s[20:21]
	s_cbranch_execnz .LBB282_124
	s_branch .LBB282_125
.LBB282_375:                            ;   in Loop: Header=BB282_9 Depth=1
	v_cmp_eq_u16_sdwa s[28:29], v4, s26 src0_sel:BYTE_0 src1_sel:DWORD
	s_mov_b64 s[4:5], -1
                                        ; implicit-def: $sgpr24
	s_and_saveexec_b64 s[22:23], s[28:29]
; %bb.376:                              ;   in Loop: Header=BB282_9 Depth=1
	s_mov_b32 s24, 0x7fc02000
	s_xor_b64 s[4:5], exec, -1
; %bb.377:                              ;   in Loop: Header=BB282_9 Depth=1
	s_or_b64 exec, exec, s[22:23]
	s_and_b64 s[4:5], s[4:5], exec
	s_or_saveexec_b64 s[20:21], s[20:21]
	v_mov_b32_e32 v16, s24
	s_xor_b64 exec, exec, s[20:21]
	s_cbranch_execz .LBB282_127
.LBB282_378:                            ;   in Loop: Header=BB282_9 Depth=1
	v_cmp_ne_u16_sdwa s[22:23], v4, v5 src0_sel:BYTE_0 src1_sel:DWORD
	s_andn2_b64 s[4:5], s[4:5], exec
	s_and_b64 s[22:23], s[22:23], exec
	v_mov_b32_e32 v16, 0
	s_or_b64 s[4:5], s[4:5], s[22:23]
	s_or_b64 exec, exec, s[20:21]
	s_and_saveexec_b64 s[20:21], s[4:5]
	s_cbranch_execnz .LBB282_128
	s_branch .LBB282_129
.LBB282_379:                            ;   in Loop: Header=BB282_9 Depth=1
	v_cmp_eq_u16_e64 s[4:5], s26, v4
	s_mov_b64 s[20:21], -1
                                        ; implicit-def: $sgpr28
	s_and_saveexec_b64 s[24:25], s[4:5]
; %bb.380:                              ;   in Loop: Header=BB282_9 Depth=1
	s_mov_b32 s28, 0x7fc02000
	s_xor_b64 s[20:21], exec, -1
; %bb.381:                              ;   in Loop: Header=BB282_9 Depth=1
	s_or_b64 exec, exec, s[24:25]
	s_and_b64 s[20:21], s[20:21], exec
	s_or_saveexec_b64 s[22:23], s[22:23]
	v_mov_b32_e32 v7, s28
	s_xor_b64 exec, exec, s[22:23]
	s_cbranch_execz .LBB282_131
.LBB282_382:                            ;   in Loop: Header=BB282_9 Depth=1
	v_cmp_ne_u16_e64 s[4:5], 0, v4
	s_andn2_b64 s[20:21], s[20:21], exec
	s_and_b64 s[4:5], s[4:5], exec
	v_mov_b32_e32 v7, 0
	s_or_b64 s[20:21], s[20:21], s[4:5]
	s_or_b64 exec, exec, s[22:23]
	s_and_saveexec_b64 s[22:23], s[20:21]
	s_cbranch_execnz .LBB282_132
	s_branch .LBB282_133
.LBB282_383:                            ;   in Loop: Header=BB282_9 Depth=1
	v_cmp_eq_u16_sdwa s[28:29], v8, s26 src0_sel:BYTE_0 src1_sel:DWORD
	s_mov_b64 s[4:5], -1
                                        ; implicit-def: $sgpr24
	s_and_saveexec_b64 s[22:23], s[28:29]
; %bb.384:                              ;   in Loop: Header=BB282_9 Depth=1
	s_mov_b32 s24, 0x7fc02000
	s_xor_b64 s[4:5], exec, -1
; %bb.385:                              ;   in Loop: Header=BB282_9 Depth=1
	s_or_b64 exec, exec, s[22:23]
	s_and_b64 s[4:5], s[4:5], exec
	s_or_saveexec_b64 s[20:21], s[20:21]
	v_mov_b32_e32 v6, s24
	s_xor_b64 exec, exec, s[20:21]
	s_cbranch_execz .LBB282_135
.LBB282_386:                            ;   in Loop: Header=BB282_9 Depth=1
	v_cmp_ne_u16_sdwa s[22:23], v8, v5 src0_sel:BYTE_0 src1_sel:DWORD
	s_andn2_b64 s[4:5], s[4:5], exec
	s_and_b64 s[22:23], s[22:23], exec
	v_mov_b32_e32 v6, 0
	s_or_b64 s[4:5], s[4:5], s[22:23]
	s_or_b64 exec, exec, s[20:21]
	s_and_saveexec_b64 s[20:21], s[4:5]
	s_cbranch_execnz .LBB282_136
	s_branch .LBB282_137
.LBB282_387:                            ;   in Loop: Header=BB282_9 Depth=1
	v_cmp_eq_u16_e64 s[4:5], s26, v4
	s_mov_b64 s[20:21], -1
                                        ; implicit-def: $sgpr28
	s_and_saveexec_b64 s[24:25], s[4:5]
; %bb.388:                              ;   in Loop: Header=BB282_9 Depth=1
	s_mov_b32 s28, 0x7fc02000
	s_xor_b64 s[20:21], exec, -1
; %bb.389:                              ;   in Loop: Header=BB282_9 Depth=1
	s_or_b64 exec, exec, s[24:25]
	s_and_b64 s[20:21], s[20:21], exec
	s_or_saveexec_b64 s[22:23], s[22:23]
	v_mov_b32_e32 v32, s28
	s_xor_b64 exec, exec, s[22:23]
	s_cbranch_execz .LBB282_139
.LBB282_390:                            ;   in Loop: Header=BB282_9 Depth=1
	v_cmp_ne_u16_e64 s[4:5], 0, v4
	s_andn2_b64 s[20:21], s[20:21], exec
	s_and_b64 s[4:5], s[4:5], exec
	v_mov_b32_e32 v32, 0
	s_or_b64 s[20:21], s[20:21], s[4:5]
	s_or_b64 exec, exec, s[22:23]
	s_and_saveexec_b64 s[22:23], s[20:21]
	s_cbranch_execnz .LBB282_140
	s_branch .LBB282_141
.LBB282_391:                            ;   in Loop: Header=BB282_9 Depth=1
	v_cmp_eq_u16_sdwa s[28:29], v4, s26 src0_sel:BYTE_0 src1_sel:DWORD
	s_mov_b64 s[4:5], -1
                                        ; implicit-def: $sgpr24
	s_and_saveexec_b64 s[22:23], s[28:29]
; %bb.392:                              ;   in Loop: Header=BB282_9 Depth=1
	s_mov_b32 s24, 0x7fc02000
	s_xor_b64 s[4:5], exec, -1
; %bb.393:                              ;   in Loop: Header=BB282_9 Depth=1
	s_or_b64 exec, exec, s[22:23]
	s_and_b64 s[4:5], s[4:5], exec
	s_or_saveexec_b64 s[20:21], s[20:21]
	v_mov_b32_e32 v14, s24
	s_xor_b64 exec, exec, s[20:21]
	s_cbranch_execz .LBB282_143
.LBB282_394:                            ;   in Loop: Header=BB282_9 Depth=1
	v_cmp_ne_u16_sdwa s[22:23], v4, v5 src0_sel:BYTE_0 src1_sel:DWORD
	s_andn2_b64 s[4:5], s[4:5], exec
	s_and_b64 s[22:23], s[22:23], exec
	v_mov_b32_e32 v14, 0
	s_or_b64 s[4:5], s[4:5], s[22:23]
	s_or_b64 exec, exec, s[20:21]
	s_and_saveexec_b64 s[20:21], s[4:5]
	s_cbranch_execnz .LBB282_144
	s_branch .LBB282_145
.LBB282_395:                            ;   in Loop: Header=BB282_9 Depth=1
	v_cmp_eq_u16_e64 s[4:5], s26, v4
	s_mov_b64 s[20:21], -1
                                        ; implicit-def: $sgpr28
	s_and_saveexec_b64 s[24:25], s[4:5]
; %bb.396:                              ;   in Loop: Header=BB282_9 Depth=1
	s_mov_b32 s28, 0x7fc02000
	s_xor_b64 s[20:21], exec, -1
; %bb.397:                              ;   in Loop: Header=BB282_9 Depth=1
	s_or_b64 exec, exec, s[24:25]
	s_and_b64 s[20:21], s[20:21], exec
	s_or_saveexec_b64 s[22:23], s[22:23]
	v_mov_b32_e32 v15, s28
	s_xor_b64 exec, exec, s[22:23]
	s_cbranch_execz .LBB282_147
.LBB282_398:                            ;   in Loop: Header=BB282_9 Depth=1
	v_cmp_ne_u16_e64 s[4:5], 0, v4
	s_andn2_b64 s[20:21], s[20:21], exec
	s_and_b64 s[4:5], s[4:5], exec
	v_mov_b32_e32 v15, 0
	s_or_b64 s[20:21], s[20:21], s[4:5]
	s_or_b64 exec, exec, s[22:23]
	s_and_saveexec_b64 s[22:23], s[20:21]
	s_cbranch_execnz .LBB282_148
	s_branch .LBB282_149
.LBB282_399:                            ;   in Loop: Header=BB282_9 Depth=1
	v_cmp_eq_u16_sdwa s[28:29], v8, s26 src0_sel:BYTE_0 src1_sel:DWORD
	s_mov_b64 s[4:5], -1
                                        ; implicit-def: $sgpr24
	s_and_saveexec_b64 s[22:23], s[28:29]
; %bb.400:                              ;   in Loop: Header=BB282_9 Depth=1
	s_mov_b32 s24, 0x7fc02000
	s_xor_b64 s[4:5], exec, -1
; %bb.401:                              ;   in Loop: Header=BB282_9 Depth=1
	s_or_b64 exec, exec, s[22:23]
	s_and_b64 s[4:5], s[4:5], exec
	s_or_saveexec_b64 s[20:21], s[20:21]
	v_mov_b32_e32 v10, s24
	s_xor_b64 exec, exec, s[20:21]
	s_cbranch_execz .LBB282_151
.LBB282_402:                            ;   in Loop: Header=BB282_9 Depth=1
	v_cmp_ne_u16_sdwa s[22:23], v8, v5 src0_sel:BYTE_0 src1_sel:DWORD
	s_andn2_b64 s[4:5], s[4:5], exec
	s_and_b64 s[22:23], s[22:23], exec
	v_mov_b32_e32 v10, 0
	s_or_b64 s[4:5], s[4:5], s[22:23]
	s_or_b64 exec, exec, s[20:21]
	s_and_saveexec_b64 s[20:21], s[4:5]
	s_cbranch_execnz .LBB282_152
	s_branch .LBB282_153
.LBB282_403:                            ;   in Loop: Header=BB282_9 Depth=1
	v_cmp_eq_u16_e64 s[4:5], s26, v4
	s_mov_b64 s[20:21], -1
                                        ; implicit-def: $sgpr28
	s_and_saveexec_b64 s[24:25], s[4:5]
; %bb.404:                              ;   in Loop: Header=BB282_9 Depth=1
	s_mov_b32 s28, 0x7fc02000
	s_xor_b64 s[20:21], exec, -1
; %bb.405:                              ;   in Loop: Header=BB282_9 Depth=1
	s_or_b64 exec, exec, s[24:25]
	s_and_b64 s[20:21], s[20:21], exec
	s_or_saveexec_b64 s[22:23], s[22:23]
	v_mov_b32_e32 v11, s28
	s_xor_b64 exec, exec, s[22:23]
	s_cbranch_execz .LBB282_155
.LBB282_406:                            ;   in Loop: Header=BB282_9 Depth=1
	v_cmp_ne_u16_e64 s[4:5], 0, v4
	s_andn2_b64 s[20:21], s[20:21], exec
	s_and_b64 s[4:5], s[4:5], exec
	v_mov_b32_e32 v11, 0
	s_or_b64 s[20:21], s[20:21], s[4:5]
	s_or_b64 exec, exec, s[22:23]
	s_and_saveexec_b64 s[22:23], s[20:21]
	s_cbranch_execnz .LBB282_156
	s_branch .LBB282_157
.LBB282_407:                            ;   in Loop: Header=BB282_9 Depth=1
	v_cmp_eq_u16_sdwa s[28:29], v4, s26 src0_sel:BYTE_0 src1_sel:DWORD
	s_mov_b64 s[4:5], -1
                                        ; implicit-def: $sgpr24
	s_and_saveexec_b64 s[22:23], s[28:29]
; %bb.408:                              ;   in Loop: Header=BB282_9 Depth=1
	s_mov_b32 s24, 0x7fc02000
	s_xor_b64 s[4:5], exec, -1
; %bb.409:                              ;   in Loop: Header=BB282_9 Depth=1
	s_or_b64 exec, exec, s[22:23]
	s_and_b64 s[4:5], s[4:5], exec
	s_or_saveexec_b64 s[20:21], s[20:21]
	v_mov_b32_e32 v36, s24
	s_xor_b64 exec, exec, s[20:21]
	s_cbranch_execz .LBB282_159
.LBB282_410:                            ;   in Loop: Header=BB282_9 Depth=1
	v_cmp_ne_u16_sdwa s[22:23], v4, v5 src0_sel:BYTE_0 src1_sel:DWORD
	s_andn2_b64 s[4:5], s[4:5], exec
	s_and_b64 s[22:23], s[22:23], exec
	v_mov_b32_e32 v36, 0
	s_or_b64 s[4:5], s[4:5], s[22:23]
	s_or_b64 exec, exec, s[20:21]
	s_and_saveexec_b64 s[20:21], s[4:5]
	s_cbranch_execnz .LBB282_160
	s_branch .LBB282_161
.LBB282_411:                            ;   in Loop: Header=BB282_9 Depth=1
	v_cmp_eq_u16_e64 s[4:5], s26, v4
	s_mov_b64 s[20:21], -1
                                        ; implicit-def: $sgpr28
	s_and_saveexec_b64 s[24:25], s[4:5]
; %bb.412:                              ;   in Loop: Header=BB282_9 Depth=1
	s_mov_b32 s28, 0x7fc02000
	s_xor_b64 s[20:21], exec, -1
; %bb.413:                              ;   in Loop: Header=BB282_9 Depth=1
	s_or_b64 exec, exec, s[24:25]
	s_and_b64 s[20:21], s[20:21], exec
	s_or_saveexec_b64 s[22:23], s[22:23]
	v_mov_b32_e32 v33, s28
	s_xor_b64 exec, exec, s[22:23]
	s_cbranch_execz .LBB282_163
.LBB282_414:                            ;   in Loop: Header=BB282_9 Depth=1
	v_cmp_ne_u16_e64 s[4:5], 0, v4
	s_andn2_b64 s[20:21], s[20:21], exec
	s_and_b64 s[4:5], s[4:5], exec
	v_mov_b32_e32 v33, 0
	s_or_b64 s[20:21], s[20:21], s[4:5]
	s_or_b64 exec, exec, s[22:23]
	s_and_saveexec_b64 s[22:23], s[20:21]
	s_cbranch_execnz .LBB282_164
	s_branch .LBB282_165
.LBB282_415:                            ;   in Loop: Header=BB282_9 Depth=1
	v_cmp_eq_u16_sdwa s[28:29], v8, s26 src0_sel:BYTE_0 src1_sel:DWORD
	s_mov_b64 s[4:5], -1
                                        ; implicit-def: $sgpr24
	s_and_saveexec_b64 s[22:23], s[28:29]
; %bb.416:                              ;   in Loop: Header=BB282_9 Depth=1
	s_mov_b32 s24, 0x7fc02000
	s_xor_b64 s[4:5], exec, -1
; %bb.417:                              ;   in Loop: Header=BB282_9 Depth=1
	s_or_b64 exec, exec, s[22:23]
	s_and_b64 s[4:5], s[4:5], exec
	s_or_saveexec_b64 s[20:21], s[20:21]
	v_mov_b32_e32 v13, s24
	s_xor_b64 exec, exec, s[20:21]
	s_cbranch_execz .LBB282_167
.LBB282_418:                            ;   in Loop: Header=BB282_9 Depth=1
	v_cmp_ne_u16_sdwa s[22:23], v8, v5 src0_sel:BYTE_0 src1_sel:DWORD
	s_andn2_b64 s[4:5], s[4:5], exec
	s_and_b64 s[22:23], s[22:23], exec
	v_mov_b32_e32 v13, 0
	s_or_b64 s[4:5], s[4:5], s[22:23]
	s_or_b64 exec, exec, s[20:21]
	s_and_saveexec_b64 s[20:21], s[4:5]
	s_cbranch_execnz .LBB282_168
	s_branch .LBB282_169
.LBB282_419:                            ;   in Loop: Header=BB282_9 Depth=1
	v_cmp_eq_u16_e64 s[4:5], s26, v4
	s_mov_b64 s[20:21], -1
                                        ; implicit-def: $sgpr28
	s_and_saveexec_b64 s[24:25], s[4:5]
; %bb.420:                              ;   in Loop: Header=BB282_9 Depth=1
	s_mov_b32 s28, 0x7fc02000
	s_xor_b64 s[20:21], exec, -1
; %bb.421:                              ;   in Loop: Header=BB282_9 Depth=1
	s_or_b64 exec, exec, s[24:25]
	s_and_b64 s[20:21], s[20:21], exec
	s_or_saveexec_b64 s[22:23], s[22:23]
	v_mov_b32_e32 v9, s28
	s_xor_b64 exec, exec, s[22:23]
	s_cbranch_execz .LBB282_171
.LBB282_422:                            ;   in Loop: Header=BB282_9 Depth=1
	v_cmp_ne_u16_e64 s[4:5], 0, v4
	s_andn2_b64 s[20:21], s[20:21], exec
	s_and_b64 s[4:5], s[4:5], exec
	v_mov_b32_e32 v9, 0
	s_or_b64 s[20:21], s[20:21], s[4:5]
	s_or_b64 exec, exec, s[22:23]
	s_and_saveexec_b64 s[22:23], s[20:21]
	s_cbranch_execnz .LBB282_172
	s_branch .LBB282_173
.LBB282_423:                            ;   in Loop: Header=BB282_9 Depth=1
	v_cmp_eq_u16_sdwa s[28:29], v4, s26 src0_sel:BYTE_0 src1_sel:DWORD
	s_mov_b64 s[4:5], -1
                                        ; implicit-def: $sgpr24
	s_and_saveexec_b64 s[22:23], s[28:29]
; %bb.424:                              ;   in Loop: Header=BB282_9 Depth=1
	s_mov_b32 s24, 0x7fc02000
	s_xor_b64 s[4:5], exec, -1
; %bb.425:                              ;   in Loop: Header=BB282_9 Depth=1
	s_or_b64 exec, exec, s[22:23]
	s_and_b64 s[4:5], s[4:5], exec
	s_or_saveexec_b64 s[20:21], s[20:21]
	v_mov_b32_e32 v24, s24
	s_xor_b64 exec, exec, s[20:21]
	s_cbranch_execz .LBB282_175
.LBB282_426:                            ;   in Loop: Header=BB282_9 Depth=1
	v_cmp_ne_u16_sdwa s[22:23], v4, v5 src0_sel:BYTE_0 src1_sel:DWORD
	s_andn2_b64 s[4:5], s[4:5], exec
	s_and_b64 s[22:23], s[22:23], exec
	v_mov_b32_e32 v24, 0
	s_or_b64 s[4:5], s[4:5], s[22:23]
	s_or_b64 exec, exec, s[20:21]
	s_and_saveexec_b64 s[20:21], s[4:5]
	s_cbranch_execnz .LBB282_176
	s_branch .LBB282_177
.LBB282_427:                            ;   in Loop: Header=BB282_9 Depth=1
	v_cmp_eq_u16_e64 s[4:5], s26, v4
	s_mov_b64 s[20:21], -1
                                        ; implicit-def: $sgpr28
	s_and_saveexec_b64 s[24:25], s[4:5]
; %bb.428:                              ;   in Loop: Header=BB282_9 Depth=1
	s_mov_b32 s28, 0x7fc02000
	s_xor_b64 s[20:21], exec, -1
; %bb.429:                              ;   in Loop: Header=BB282_9 Depth=1
	s_or_b64 exec, exec, s[24:25]
	s_and_b64 s[20:21], s[20:21], exec
	s_or_saveexec_b64 s[22:23], s[22:23]
	v_mov_b32_e32 v25, s28
	s_xor_b64 exec, exec, s[22:23]
	s_cbranch_execz .LBB282_179
.LBB282_430:                            ;   in Loop: Header=BB282_9 Depth=1
	v_cmp_ne_u16_e64 s[4:5], 0, v4
	s_andn2_b64 s[20:21], s[20:21], exec
	s_and_b64 s[4:5], s[4:5], exec
	v_mov_b32_e32 v25, 0
	s_or_b64 s[20:21], s[20:21], s[4:5]
	s_or_b64 exec, exec, s[22:23]
	s_and_saveexec_b64 s[22:23], s[20:21]
	s_cbranch_execnz .LBB282_180
	s_branch .LBB282_181
.LBB282_431:                            ;   in Loop: Header=BB282_9 Depth=1
	v_cmp_eq_u16_sdwa s[28:29], v8, s26 src0_sel:BYTE_0 src1_sel:DWORD
	s_mov_b64 s[4:5], -1
                                        ; implicit-def: $sgpr24
	s_and_saveexec_b64 s[22:23], s[28:29]
; %bb.432:                              ;   in Loop: Header=BB282_9 Depth=1
	s_mov_b32 s24, 0x7fc02000
	s_xor_b64 s[4:5], exec, -1
; %bb.433:                              ;   in Loop: Header=BB282_9 Depth=1
	s_or_b64 exec, exec, s[22:23]
	s_and_b64 s[4:5], s[4:5], exec
	s_or_saveexec_b64 s[20:21], s[20:21]
	v_mov_b32_e32 v26, s24
	s_xor_b64 exec, exec, s[20:21]
	s_cbranch_execz .LBB282_183
.LBB282_434:                            ;   in Loop: Header=BB282_9 Depth=1
	v_cmp_ne_u16_sdwa s[22:23], v8, v5 src0_sel:BYTE_0 src1_sel:DWORD
	s_andn2_b64 s[4:5], s[4:5], exec
	s_and_b64 s[22:23], s[22:23], exec
	v_mov_b32_e32 v26, 0
	s_or_b64 s[4:5], s[4:5], s[22:23]
	s_or_b64 exec, exec, s[20:21]
	s_and_saveexec_b64 s[20:21], s[4:5]
	s_cbranch_execnz .LBB282_184
	s_branch .LBB282_185
.LBB282_435:                            ;   in Loop: Header=BB282_9 Depth=1
	v_cmp_eq_u16_e64 s[4:5], s26, v4
	s_mov_b64 s[20:21], -1
                                        ; implicit-def: $sgpr28
	s_and_saveexec_b64 s[24:25], s[4:5]
; %bb.436:                              ;   in Loop: Header=BB282_9 Depth=1
	s_mov_b32 s28, 0x7fc02000
	s_xor_b64 s[20:21], exec, -1
; %bb.437:                              ;   in Loop: Header=BB282_9 Depth=1
	s_or_b64 exec, exec, s[24:25]
	s_and_b64 s[20:21], s[20:21], exec
	s_or_saveexec_b64 s[22:23], s[22:23]
	v_mov_b32_e32 v27, s28
	s_xor_b64 exec, exec, s[22:23]
	s_cbranch_execz .LBB282_187
.LBB282_438:                            ;   in Loop: Header=BB282_9 Depth=1
	v_cmp_ne_u16_e64 s[4:5], 0, v4
	s_andn2_b64 s[20:21], s[20:21], exec
	s_and_b64 s[4:5], s[4:5], exec
	v_mov_b32_e32 v27, 0
	s_or_b64 s[20:21], s[20:21], s[4:5]
	s_or_b64 exec, exec, s[22:23]
	s_and_saveexec_b64 s[22:23], s[20:21]
	s_cbranch_execnz .LBB282_188
	s_branch .LBB282_189
.LBB282_439:                            ;   in Loop: Header=BB282_9 Depth=1
	v_cmp_eq_u16_sdwa s[28:29], v4, s26 src0_sel:BYTE_0 src1_sel:DWORD
	s_mov_b64 s[4:5], -1
                                        ; implicit-def: $sgpr24
	s_and_saveexec_b64 s[22:23], s[28:29]
; %bb.440:                              ;   in Loop: Header=BB282_9 Depth=1
	s_mov_b32 s24, 0x7fc02000
	s_xor_b64 s[4:5], exec, -1
; %bb.441:                              ;   in Loop: Header=BB282_9 Depth=1
	s_or_b64 exec, exec, s[22:23]
	s_and_b64 s[4:5], s[4:5], exec
	s_or_saveexec_b64 s[20:21], s[20:21]
	v_mov_b32_e32 v35, s24
	s_xor_b64 exec, exec, s[20:21]
	s_cbranch_execz .LBB282_191
.LBB282_442:                            ;   in Loop: Header=BB282_9 Depth=1
	v_cmp_ne_u16_sdwa s[22:23], v4, v5 src0_sel:BYTE_0 src1_sel:DWORD
	s_andn2_b64 s[4:5], s[4:5], exec
	s_and_b64 s[22:23], s[22:23], exec
	v_mov_b32_e32 v35, 0
	s_or_b64 s[4:5], s[4:5], s[22:23]
	s_or_b64 exec, exec, s[20:21]
	s_and_saveexec_b64 s[20:21], s[4:5]
	s_cbranch_execnz .LBB282_192
	s_branch .LBB282_193
.LBB282_443:                            ;   in Loop: Header=BB282_9 Depth=1
	v_cmp_eq_u16_e64 s[4:5], s26, v4
	s_mov_b64 s[20:21], -1
                                        ; implicit-def: $sgpr28
	s_and_saveexec_b64 s[24:25], s[4:5]
; %bb.444:                              ;   in Loop: Header=BB282_9 Depth=1
	s_mov_b32 s28, 0x7fc02000
	s_xor_b64 s[20:21], exec, -1
; %bb.445:                              ;   in Loop: Header=BB282_9 Depth=1
	s_or_b64 exec, exec, s[24:25]
	s_and_b64 s[20:21], s[20:21], exec
	s_or_saveexec_b64 s[22:23], s[22:23]
	v_mov_b32_e32 v18, s28
	s_xor_b64 exec, exec, s[22:23]
	s_cbranch_execz .LBB282_195
.LBB282_446:                            ;   in Loop: Header=BB282_9 Depth=1
	v_cmp_ne_u16_e64 s[4:5], 0, v4
	s_andn2_b64 s[20:21], s[20:21], exec
	s_and_b64 s[4:5], s[4:5], exec
	v_mov_b32_e32 v18, 0
	s_or_b64 s[20:21], s[20:21], s[4:5]
	s_or_b64 exec, exec, s[22:23]
	s_and_saveexec_b64 s[22:23], s[20:21]
	s_cbranch_execnz .LBB282_196
	s_branch .LBB282_197
.LBB282_447:                            ;   in Loop: Header=BB282_9 Depth=1
	v_cmp_eq_u16_sdwa s[28:29], v8, s26 src0_sel:BYTE_0 src1_sel:DWORD
	s_mov_b64 s[4:5], -1
                                        ; implicit-def: $sgpr24
	s_and_saveexec_b64 s[22:23], s[28:29]
; %bb.448:                              ;   in Loop: Header=BB282_9 Depth=1
	s_mov_b32 s24, 0x7fc02000
	s_xor_b64 s[4:5], exec, -1
; %bb.449:                              ;   in Loop: Header=BB282_9 Depth=1
	s_or_b64 exec, exec, s[22:23]
	s_and_b64 s[4:5], s[4:5], exec
	s_or_saveexec_b64 s[20:21], s[20:21]
	v_mov_b32_e32 v21, s24
	s_xor_b64 exec, exec, s[20:21]
	s_cbranch_execz .LBB282_199
.LBB282_450:                            ;   in Loop: Header=BB282_9 Depth=1
	v_cmp_ne_u16_sdwa s[22:23], v8, v5 src0_sel:BYTE_0 src1_sel:DWORD
	s_andn2_b64 s[4:5], s[4:5], exec
	s_and_b64 s[22:23], s[22:23], exec
	v_mov_b32_e32 v21, 0
	s_or_b64 s[4:5], s[4:5], s[22:23]
	s_or_b64 exec, exec, s[20:21]
	s_and_saveexec_b64 s[20:21], s[4:5]
	s_cbranch_execnz .LBB282_200
	s_branch .LBB282_201
.LBB282_451:                            ;   in Loop: Header=BB282_9 Depth=1
	v_cmp_eq_u16_e64 s[4:5], s26, v4
	s_mov_b64 s[20:21], -1
                                        ; implicit-def: $sgpr28
	s_and_saveexec_b64 s[24:25], s[4:5]
; %bb.452:                              ;   in Loop: Header=BB282_9 Depth=1
	s_mov_b32 s28, 0x7fc02000
	s_xor_b64 s[20:21], exec, -1
; %bb.453:                              ;   in Loop: Header=BB282_9 Depth=1
	s_or_b64 exec, exec, s[24:25]
	s_and_b64 s[20:21], s[20:21], exec
	s_or_saveexec_b64 s[22:23], s[22:23]
	v_mov_b32_e32 v20, s28
	s_xor_b64 exec, exec, s[22:23]
	s_cbranch_execz .LBB282_203
.LBB282_454:                            ;   in Loop: Header=BB282_9 Depth=1
	v_cmp_ne_u16_e64 s[4:5], 0, v4
	s_andn2_b64 s[20:21], s[20:21], exec
	s_and_b64 s[4:5], s[4:5], exec
	v_mov_b32_e32 v20, 0
	s_or_b64 s[20:21], s[20:21], s[4:5]
	s_or_b64 exec, exec, s[22:23]
	s_and_saveexec_b64 s[22:23], s[20:21]
	s_cbranch_execnz .LBB282_204
	s_branch .LBB282_205
.LBB282_455:                            ;   in Loop: Header=BB282_9 Depth=1
	v_cmp_eq_u16_sdwa s[28:29], v4, s26 src0_sel:BYTE_0 src1_sel:DWORD
	s_mov_b64 s[4:5], -1
                                        ; implicit-def: $sgpr24
	s_and_saveexec_b64 s[22:23], s[28:29]
; %bb.456:                              ;   in Loop: Header=BB282_9 Depth=1
	s_mov_b32 s24, 0x7fc02000
	s_xor_b64 s[4:5], exec, -1
; %bb.457:                              ;   in Loop: Header=BB282_9 Depth=1
	s_or_b64 exec, exec, s[22:23]
	s_and_b64 s[4:5], s[4:5], exec
	s_or_saveexec_b64 s[20:21], s[20:21]
	v_mov_b32_e32 v51, s24
	s_xor_b64 exec, exec, s[20:21]
	s_cbranch_execz .LBB282_207
.LBB282_458:                            ;   in Loop: Header=BB282_9 Depth=1
	v_cmp_ne_u16_sdwa s[22:23], v4, v5 src0_sel:BYTE_0 src1_sel:DWORD
	s_andn2_b64 s[4:5], s[4:5], exec
	s_and_b64 s[22:23], s[22:23], exec
	v_mov_b32_e32 v51, 0
	s_or_b64 s[4:5], s[4:5], s[22:23]
	s_or_b64 exec, exec, s[20:21]
	s_and_saveexec_b64 s[20:21], s[4:5]
	s_cbranch_execnz .LBB282_208
	s_branch .LBB282_209
.LBB282_459:                            ;   in Loop: Header=BB282_9 Depth=1
	v_cmp_eq_u16_e64 s[4:5], s26, v4
	s_mov_b64 s[20:21], -1
                                        ; implicit-def: $sgpr28
	s_and_saveexec_b64 s[24:25], s[4:5]
; %bb.460:                              ;   in Loop: Header=BB282_9 Depth=1
	s_mov_b32 s28, 0x7fc02000
	s_xor_b64 s[20:21], exec, -1
; %bb.461:                              ;   in Loop: Header=BB282_9 Depth=1
	s_or_b64 exec, exec, s[24:25]
	s_and_b64 s[20:21], s[20:21], exec
	s_or_saveexec_b64 s[22:23], s[22:23]
	v_mov_b32_e32 v52, s28
	s_xor_b64 exec, exec, s[22:23]
	s_cbranch_execz .LBB282_211
.LBB282_462:                            ;   in Loop: Header=BB282_9 Depth=1
	v_cmp_ne_u16_e64 s[4:5], 0, v4
	s_andn2_b64 s[20:21], s[20:21], exec
	s_and_b64 s[4:5], s[4:5], exec
	v_mov_b32_e32 v52, 0
	s_or_b64 s[20:21], s[20:21], s[4:5]
	s_or_b64 exec, exec, s[22:23]
	s_and_saveexec_b64 s[22:23], s[20:21]
	s_cbranch_execnz .LBB282_212
	s_branch .LBB282_213
.LBB282_463:                            ;   in Loop: Header=BB282_9 Depth=1
	v_cmp_eq_u16_sdwa s[28:29], v8, s26 src0_sel:BYTE_0 src1_sel:DWORD
	s_mov_b64 s[4:5], -1
                                        ; implicit-def: $sgpr24
	s_and_saveexec_b64 s[22:23], s[28:29]
; %bb.464:                              ;   in Loop: Header=BB282_9 Depth=1
	s_mov_b32 s24, 0x7fc02000
	s_xor_b64 s[4:5], exec, -1
; %bb.465:                              ;   in Loop: Header=BB282_9 Depth=1
	s_or_b64 exec, exec, s[22:23]
	s_and_b64 s[4:5], s[4:5], exec
	s_or_saveexec_b64 s[20:21], s[20:21]
	v_mov_b32_e32 v53, s24
	s_xor_b64 exec, exec, s[20:21]
	s_cbranch_execz .LBB282_215
.LBB282_466:                            ;   in Loop: Header=BB282_9 Depth=1
	v_cmp_ne_u16_sdwa s[22:23], v8, v5 src0_sel:BYTE_0 src1_sel:DWORD
	s_andn2_b64 s[4:5], s[4:5], exec
	s_and_b64 s[22:23], s[22:23], exec
	v_mov_b32_e32 v53, 0
	s_or_b64 s[4:5], s[4:5], s[22:23]
	s_or_b64 exec, exec, s[20:21]
	s_and_saveexec_b64 s[20:21], s[4:5]
	s_cbranch_execnz .LBB282_216
	s_branch .LBB282_217
.LBB282_467:                            ;   in Loop: Header=BB282_9 Depth=1
	v_cmp_eq_u16_e64 s[4:5], s26, v4
	s_mov_b64 s[20:21], -1
                                        ; implicit-def: $sgpr28
	s_and_saveexec_b64 s[24:25], s[4:5]
; %bb.468:                              ;   in Loop: Header=BB282_9 Depth=1
	s_mov_b32 s28, 0x7fc02000
	s_xor_b64 s[20:21], exec, -1
; %bb.469:                              ;   in Loop: Header=BB282_9 Depth=1
	s_or_b64 exec, exec, s[24:25]
	s_and_b64 s[20:21], s[20:21], exec
	s_or_saveexec_b64 s[22:23], s[22:23]
	v_mov_b32_e32 v54, s28
	s_xor_b64 exec, exec, s[22:23]
	s_cbranch_execz .LBB282_219
.LBB282_470:                            ;   in Loop: Header=BB282_9 Depth=1
	v_cmp_ne_u16_e64 s[4:5], 0, v4
	s_andn2_b64 s[20:21], s[20:21], exec
	s_and_b64 s[4:5], s[4:5], exec
	v_mov_b32_e32 v54, 0
	s_or_b64 s[20:21], s[20:21], s[4:5]
	s_or_b64 exec, exec, s[22:23]
	s_and_saveexec_b64 s[22:23], s[20:21]
	s_cbranch_execnz .LBB282_220
	s_branch .LBB282_221
.LBB282_471:                            ;   in Loop: Header=BB282_9 Depth=1
	v_cmp_eq_u16_sdwa s[28:29], v4, s26 src0_sel:BYTE_0 src1_sel:DWORD
	s_mov_b64 s[4:5], -1
                                        ; implicit-def: $sgpr24
	s_and_saveexec_b64 s[22:23], s[28:29]
; %bb.472:                              ;   in Loop: Header=BB282_9 Depth=1
	s_mov_b32 s24, 0x7fc02000
	s_xor_b64 s[4:5], exec, -1
; %bb.473:                              ;   in Loop: Header=BB282_9 Depth=1
	s_or_b64 exec, exec, s[22:23]
	s_and_b64 s[4:5], s[4:5], exec
	s_or_saveexec_b64 s[20:21], s[20:21]
	v_mov_b32_e32 v55, s24
	s_xor_b64 exec, exec, s[20:21]
	s_cbranch_execz .LBB282_223
.LBB282_474:                            ;   in Loop: Header=BB282_9 Depth=1
	v_cmp_ne_u16_sdwa s[22:23], v4, v5 src0_sel:BYTE_0 src1_sel:DWORD
	s_andn2_b64 s[4:5], s[4:5], exec
	s_and_b64 s[22:23], s[22:23], exec
	v_mov_b32_e32 v55, 0
	s_or_b64 s[4:5], s[4:5], s[22:23]
	s_or_b64 exec, exec, s[20:21]
	s_and_saveexec_b64 s[20:21], s[4:5]
	s_cbranch_execnz .LBB282_224
	s_branch .LBB282_225
.LBB282_475:                            ;   in Loop: Header=BB282_9 Depth=1
	v_cmp_eq_u16_e64 s[4:5], s26, v4
	s_mov_b64 s[20:21], -1
                                        ; implicit-def: $sgpr28
	s_and_saveexec_b64 s[24:25], s[4:5]
; %bb.476:                              ;   in Loop: Header=BB282_9 Depth=1
	s_mov_b32 s28, 0x7fc02000
	s_xor_b64 s[20:21], exec, -1
; %bb.477:                              ;   in Loop: Header=BB282_9 Depth=1
	s_or_b64 exec, exec, s[24:25]
	s_and_b64 s[20:21], s[20:21], exec
	s_or_saveexec_b64 s[22:23], s[22:23]
	v_mov_b32_e32 v40, s28
	s_xor_b64 exec, exec, s[22:23]
	s_cbranch_execz .LBB282_227
.LBB282_478:                            ;   in Loop: Header=BB282_9 Depth=1
	v_cmp_ne_u16_e64 s[4:5], 0, v4
	s_andn2_b64 s[20:21], s[20:21], exec
	s_and_b64 s[4:5], s[4:5], exec
	v_mov_b32_e32 v40, 0
	s_or_b64 s[20:21], s[20:21], s[4:5]
	s_or_b64 exec, exec, s[22:23]
	s_and_saveexec_b64 s[22:23], s[20:21]
	s_cbranch_execnz .LBB282_228
	s_branch .LBB282_229
.LBB282_479:                            ;   in Loop: Header=BB282_9 Depth=1
	v_cmp_eq_u16_sdwa s[28:29], v8, s26 src0_sel:BYTE_0 src1_sel:DWORD
	s_mov_b64 s[4:5], -1
                                        ; implicit-def: $sgpr24
	s_and_saveexec_b64 s[22:23], s[28:29]
; %bb.480:                              ;   in Loop: Header=BB282_9 Depth=1
	s_mov_b32 s24, 0x7fc02000
	s_xor_b64 s[4:5], exec, -1
; %bb.481:                              ;   in Loop: Header=BB282_9 Depth=1
	s_or_b64 exec, exec, s[22:23]
	s_and_b64 s[4:5], s[4:5], exec
	s_or_saveexec_b64 s[20:21], s[20:21]
	v_mov_b32_e32 v41, s24
	s_xor_b64 exec, exec, s[20:21]
	s_cbranch_execz .LBB282_231
.LBB282_482:                            ;   in Loop: Header=BB282_9 Depth=1
	v_cmp_ne_u16_sdwa s[22:23], v8, v5 src0_sel:BYTE_0 src1_sel:DWORD
	s_andn2_b64 s[4:5], s[4:5], exec
	s_and_b64 s[22:23], s[22:23], exec
	v_mov_b32_e32 v41, 0
	s_or_b64 s[4:5], s[4:5], s[22:23]
	s_or_b64 exec, exec, s[20:21]
	s_and_saveexec_b64 s[20:21], s[4:5]
	s_cbranch_execnz .LBB282_232
	s_branch .LBB282_233
.LBB282_483:                            ;   in Loop: Header=BB282_9 Depth=1
	v_cmp_eq_u16_e64 s[4:5], s26, v4
	s_mov_b64 s[20:21], -1
                                        ; implicit-def: $sgpr28
	s_and_saveexec_b64 s[24:25], s[4:5]
; %bb.484:                              ;   in Loop: Header=BB282_9 Depth=1
	s_mov_b32 s28, 0x7fc02000
	s_xor_b64 s[20:21], exec, -1
; %bb.485:                              ;   in Loop: Header=BB282_9 Depth=1
	s_or_b64 exec, exec, s[24:25]
	s_and_b64 s[20:21], s[20:21], exec
	s_or_saveexec_b64 s[22:23], s[22:23]
	v_mov_b32_e32 v42, s28
	s_xor_b64 exec, exec, s[22:23]
	s_cbranch_execz .LBB282_235
.LBB282_486:                            ;   in Loop: Header=BB282_9 Depth=1
	v_cmp_ne_u16_e64 s[4:5], 0, v4
	s_andn2_b64 s[20:21], s[20:21], exec
	s_and_b64 s[4:5], s[4:5], exec
	v_mov_b32_e32 v42, 0
	s_or_b64 s[20:21], s[20:21], s[4:5]
	s_or_b64 exec, exec, s[22:23]
	s_and_saveexec_b64 s[22:23], s[20:21]
	s_cbranch_execnz .LBB282_236
	s_branch .LBB282_237
.LBB282_487:                            ;   in Loop: Header=BB282_9 Depth=1
	v_cmp_eq_u16_sdwa s[28:29], v4, s26 src0_sel:BYTE_0 src1_sel:DWORD
	s_mov_b64 s[4:5], -1
                                        ; implicit-def: $sgpr24
	s_and_saveexec_b64 s[22:23], s[28:29]
; %bb.488:                              ;   in Loop: Header=BB282_9 Depth=1
	s_mov_b32 s24, 0x7fc02000
	s_xor_b64 s[4:5], exec, -1
; %bb.489:                              ;   in Loop: Header=BB282_9 Depth=1
	s_or_b64 exec, exec, s[22:23]
	s_and_b64 s[4:5], s[4:5], exec
	s_or_saveexec_b64 s[20:21], s[20:21]
	v_mov_b32_e32 v43, s24
	s_xor_b64 exec, exec, s[20:21]
	s_cbranch_execz .LBB282_239
.LBB282_490:                            ;   in Loop: Header=BB282_9 Depth=1
	v_cmp_ne_u16_sdwa s[22:23], v4, v5 src0_sel:BYTE_0 src1_sel:DWORD
	s_andn2_b64 s[4:5], s[4:5], exec
	s_and_b64 s[22:23], s[22:23], exec
	v_mov_b32_e32 v43, 0
	s_or_b64 s[4:5], s[4:5], s[22:23]
	s_or_b64 exec, exec, s[20:21]
	s_and_saveexec_b64 s[20:21], s[4:5]
	s_cbranch_execnz .LBB282_240
	s_branch .LBB282_241
.LBB282_491:                            ;   in Loop: Header=BB282_9 Depth=1
	v_cmp_eq_u16_e64 s[4:5], s26, v4
	s_mov_b64 s[20:21], -1
                                        ; implicit-def: $sgpr28
	s_and_saveexec_b64 s[24:25], s[4:5]
; %bb.492:                              ;   in Loop: Header=BB282_9 Depth=1
	s_mov_b32 s28, 0x7fc02000
	s_xor_b64 s[20:21], exec, -1
; %bb.493:                              ;   in Loop: Header=BB282_9 Depth=1
	s_or_b64 exec, exec, s[24:25]
	s_and_b64 s[20:21], s[20:21], exec
	s_or_saveexec_b64 s[22:23], s[22:23]
	v_mov_b32_e32 v37, s28
	s_xor_b64 exec, exec, s[22:23]
	s_cbranch_execz .LBB282_243
.LBB282_494:                            ;   in Loop: Header=BB282_9 Depth=1
	v_cmp_ne_u16_e64 s[4:5], 0, v4
	s_andn2_b64 s[20:21], s[20:21], exec
	s_and_b64 s[4:5], s[4:5], exec
	v_mov_b32_e32 v37, 0
	s_or_b64 s[20:21], s[20:21], s[4:5]
	s_or_b64 exec, exec, s[22:23]
	s_and_saveexec_b64 s[22:23], s[20:21]
	s_cbranch_execnz .LBB282_244
	s_branch .LBB282_245
.LBB282_495:                            ;   in Loop: Header=BB282_9 Depth=1
	v_cmp_eq_u16_sdwa s[28:29], v8, s26 src0_sel:BYTE_0 src1_sel:DWORD
	s_mov_b64 s[4:5], -1
                                        ; implicit-def: $sgpr24
	s_and_saveexec_b64 s[22:23], s[28:29]
; %bb.496:                              ;   in Loop: Header=BB282_9 Depth=1
	s_mov_b32 s24, 0x7fc02000
	s_xor_b64 s[4:5], exec, -1
; %bb.497:                              ;   in Loop: Header=BB282_9 Depth=1
	s_or_b64 exec, exec, s[22:23]
	s_and_b64 s[4:5], s[4:5], exec
	s_or_saveexec_b64 s[20:21], s[20:21]
	v_mov_b32_e32 v44, s24
	s_xor_b64 exec, exec, s[20:21]
	s_cbranch_execz .LBB282_247
.LBB282_498:                            ;   in Loop: Header=BB282_9 Depth=1
	v_cmp_ne_u16_sdwa s[22:23], v8, v5 src0_sel:BYTE_0 src1_sel:DWORD
	s_andn2_b64 s[4:5], s[4:5], exec
	s_and_b64 s[22:23], s[22:23], exec
	v_mov_b32_e32 v44, 0
	s_or_b64 s[4:5], s[4:5], s[22:23]
	s_or_b64 exec, exec, s[20:21]
	s_and_saveexec_b64 s[20:21], s[4:5]
	s_cbranch_execnz .LBB282_248
	s_branch .LBB282_249
.LBB282_499:                            ;   in Loop: Header=BB282_9 Depth=1
	v_cmp_eq_u16_e64 s[4:5], s26, v4
	s_mov_b64 s[20:21], -1
                                        ; implicit-def: $sgpr28
	s_and_saveexec_b64 s[24:25], s[4:5]
; %bb.500:                              ;   in Loop: Header=BB282_9 Depth=1
	s_mov_b32 s28, 0x7fc02000
	s_xor_b64 s[20:21], exec, -1
; %bb.501:                              ;   in Loop: Header=BB282_9 Depth=1
	s_or_b64 exec, exec, s[24:25]
	s_and_b64 s[20:21], s[20:21], exec
	s_or_saveexec_b64 s[22:23], s[22:23]
	v_mov_b32_e32 v23, s28
	s_xor_b64 exec, exec, s[22:23]
	s_cbranch_execz .LBB282_251
.LBB282_502:                            ;   in Loop: Header=BB282_9 Depth=1
	v_cmp_ne_u16_e64 s[4:5], 0, v4
	s_andn2_b64 s[20:21], s[20:21], exec
	s_and_b64 s[4:5], s[4:5], exec
	v_mov_b32_e32 v23, 0
	s_or_b64 s[20:21], s[20:21], s[4:5]
	s_or_b64 exec, exec, s[22:23]
	s_and_saveexec_b64 s[22:23], s[20:21]
	s_cbranch_execnz .LBB282_252
	s_branch .LBB282_253
.LBB282_503:                            ;   in Loop: Header=BB282_9 Depth=1
	v_cmp_eq_u16_sdwa s[28:29], v4, s26 src0_sel:BYTE_0 src1_sel:DWORD
	s_mov_b64 s[4:5], -1
                                        ; implicit-def: $sgpr24
	s_and_saveexec_b64 s[22:23], s[28:29]
; %bb.504:                              ;   in Loop: Header=BB282_9 Depth=1
	s_mov_b32 s24, 0x7fc02000
	s_xor_b64 s[4:5], exec, -1
; %bb.505:                              ;   in Loop: Header=BB282_9 Depth=1
	s_or_b64 exec, exec, s[22:23]
	s_and_b64 s[4:5], s[4:5], exec
	s_or_saveexec_b64 s[20:21], s[20:21]
	v_mov_b32_e32 v22, s24
	s_xor_b64 exec, exec, s[20:21]
	s_cbranch_execz .LBB282_255
.LBB282_506:                            ;   in Loop: Header=BB282_9 Depth=1
	v_cmp_ne_u16_sdwa s[22:23], v4, v5 src0_sel:BYTE_0 src1_sel:DWORD
	s_andn2_b64 s[4:5], s[4:5], exec
	s_and_b64 s[22:23], s[22:23], exec
	v_mov_b32_e32 v22, 0
	s_or_b64 s[4:5], s[4:5], s[22:23]
	s_or_b64 exec, exec, s[20:21]
	s_and_saveexec_b64 s[20:21], s[4:5]
	s_cbranch_execnz .LBB282_256
	s_branch .LBB282_257
.LBB282_507:                            ;   in Loop: Header=BB282_9 Depth=1
	v_cmp_eq_u16_e64 s[4:5], s26, v4
	s_mov_b64 s[20:21], -1
                                        ; implicit-def: $sgpr28
	s_and_saveexec_b64 s[24:25], s[4:5]
; %bb.508:                              ;   in Loop: Header=BB282_9 Depth=1
	s_mov_b32 s28, 0x7fc02000
	s_xor_b64 s[20:21], exec, -1
; %bb.509:                              ;   in Loop: Header=BB282_9 Depth=1
	s_or_b64 exec, exec, s[24:25]
	s_and_b64 s[20:21], s[20:21], exec
	s_or_saveexec_b64 s[22:23], s[22:23]
	v_mov_b32_e32 v45, s28
	s_xor_b64 exec, exec, s[22:23]
	s_cbranch_execz .LBB282_259
.LBB282_510:                            ;   in Loop: Header=BB282_9 Depth=1
	v_cmp_ne_u16_e64 s[4:5], 0, v4
	s_andn2_b64 s[20:21], s[20:21], exec
	s_and_b64 s[4:5], s[4:5], exec
	v_mov_b32_e32 v45, 0
	s_or_b64 s[20:21], s[20:21], s[4:5]
	s_or_b64 exec, exec, s[22:23]
	s_and_saveexec_b64 s[22:23], s[20:21]
	s_cbranch_execnz .LBB282_260
	s_branch .LBB282_261
.LBB282_511:                            ;   in Loop: Header=BB282_9 Depth=1
	v_cmp_eq_u16_sdwa s[28:29], v8, s26 src0_sel:BYTE_0 src1_sel:DWORD
	s_mov_b64 s[4:5], -1
                                        ; implicit-def: $sgpr24
	s_and_saveexec_b64 s[22:23], s[28:29]
; %bb.512:                              ;   in Loop: Header=BB282_9 Depth=1
	s_mov_b32 s24, 0x7fc02000
	s_xor_b64 s[4:5], exec, -1
; %bb.513:                              ;   in Loop: Header=BB282_9 Depth=1
	s_or_b64 exec, exec, s[22:23]
	s_and_b64 s[4:5], s[4:5], exec
	s_or_saveexec_b64 s[20:21], s[20:21]
	v_mov_b32_e32 v46, s24
	s_xor_b64 exec, exec, s[20:21]
	s_cbranch_execz .LBB282_263
.LBB282_514:                            ;   in Loop: Header=BB282_9 Depth=1
	v_cmp_ne_u16_sdwa s[22:23], v8, v5 src0_sel:BYTE_0 src1_sel:DWORD
	s_andn2_b64 s[4:5], s[4:5], exec
	s_and_b64 s[22:23], s[22:23], exec
	v_mov_b32_e32 v46, 0
	s_or_b64 s[4:5], s[4:5], s[22:23]
	s_or_b64 exec, exec, s[20:21]
	s_and_saveexec_b64 s[20:21], s[4:5]
	s_cbranch_execnz .LBB282_264
	s_branch .LBB282_265
.LBB282_515:                            ;   in Loop: Header=BB282_9 Depth=1
	v_cmp_eq_u16_e64 s[4:5], s26, v4
	s_mov_b64 s[20:21], -1
                                        ; implicit-def: $sgpr28
	s_and_saveexec_b64 s[24:25], s[4:5]
; %bb.516:                              ;   in Loop: Header=BB282_9 Depth=1
	s_mov_b32 s28, 0x7fc02000
	s_xor_b64 s[20:21], exec, -1
; %bb.517:                              ;   in Loop: Header=BB282_9 Depth=1
	s_or_b64 exec, exec, s[24:25]
	s_and_b64 s[20:21], s[20:21], exec
	s_or_saveexec_b64 s[22:23], s[22:23]
	v_mov_b32_e32 v56, s28
	s_xor_b64 exec, exec, s[22:23]
	s_cbranch_execz .LBB282_267
.LBB282_518:                            ;   in Loop: Header=BB282_9 Depth=1
	v_cmp_ne_u16_e64 s[4:5], 0, v4
	s_andn2_b64 s[20:21], s[20:21], exec
	s_and_b64 s[4:5], s[4:5], exec
	v_mov_b32_e32 v56, 0
	s_or_b64 s[20:21], s[20:21], s[4:5]
	s_or_b64 exec, exec, s[22:23]
	s_and_saveexec_b64 s[22:23], s[20:21]
	s_cbranch_execnz .LBB282_268
	s_branch .LBB282_269
.LBB282_519:                            ;   in Loop: Header=BB282_9 Depth=1
	v_cmp_eq_u16_sdwa s[28:29], v4, s26 src0_sel:BYTE_0 src1_sel:DWORD
	s_mov_b64 s[4:5], -1
                                        ; implicit-def: $sgpr24
	s_and_saveexec_b64 s[22:23], s[28:29]
; %bb.520:                              ;   in Loop: Header=BB282_9 Depth=1
	s_mov_b32 s24, 0x7fc02000
	s_xor_b64 s[4:5], exec, -1
; %bb.521:                              ;   in Loop: Header=BB282_9 Depth=1
	s_or_b64 exec, exec, s[22:23]
	s_and_b64 s[4:5], s[4:5], exec
	s_or_saveexec_b64 s[20:21], s[20:21]
	v_mov_b32_e32 v57, s24
	s_xor_b64 exec, exec, s[20:21]
	s_cbranch_execz .LBB282_271
.LBB282_522:                            ;   in Loop: Header=BB282_9 Depth=1
	v_cmp_ne_u16_sdwa s[22:23], v4, v5 src0_sel:BYTE_0 src1_sel:DWORD
	s_andn2_b64 s[4:5], s[4:5], exec
	s_and_b64 s[22:23], s[22:23], exec
	v_mov_b32_e32 v57, 0
	s_or_b64 s[4:5], s[4:5], s[22:23]
	s_or_b64 exec, exec, s[20:21]
	s_and_saveexec_b64 s[20:21], s[4:5]
	s_cbranch_execnz .LBB282_272
	s_branch .LBB282_273
.LBB282_523:
	s_or_b64 exec, exec, s[18:19]
	scratch_load_dword v6, off, s32 offset:132 ; 4-byte Folded Reload
	v_accvgpr_read_b32 v10, a10
	v_accvgpr_read_b32 v23, a13
	;; [unrolled: 1-line block ×11, first 2 shown]
.LBB282_524:
	s_or_b64 exec, exec, s[6:7]
	v_accvgpr_read_b32 v8, a22
	v_xor_b32_e32 v1, 32, v8
	v_cmp_lt_i32_e32 vcc, v1, v0
	v_xor_b32_e32 v4, 16, v8
	s_waitcnt vmcnt(0)
	v_max_f32_e32 v3, v6, v6
	v_cndmask_b32_e32 v1, v8, v1, vcc
	v_lshlrev_b32_e32 v1, 2, v1
	ds_bpermute_b32 v2, v1, v6
	v_cmp_lt_i32_e32 vcc, v4, v0
	v_xor_b32_e32 v5, 8, v8
	v_xor_b32_e32 v6, 4, v8
	;; [unrolled: 1-line block ×3, first 2 shown]
	s_waitcnt lgkmcnt(0)
	v_max_f32_e32 v2, v2, v2
	v_max_f32_e32 v3, v3, v2
	v_cndmask_b32_e32 v2, v8, v4, vcc
	v_lshlrev_b32_e32 v2, 2, v2
	ds_bpermute_b32 v4, v2, v3
	v_cmp_lt_i32_e32 vcc, v5, v0
	v_and_b32_e32 v19, 63, v18
	s_lshr_b32 s15, s15, 16
	s_waitcnt lgkmcnt(0)
	v_max_f32_e32 v4, v4, v4
	v_max_f32_e32 v4, v3, v4
	v_cndmask_b32_e32 v3, v8, v5, vcc
	v_lshlrev_b32_e32 v3, 2, v3
	ds_bpermute_b32 v5, v3, v4
	v_cmp_lt_i32_e32 vcc, v6, v0
	s_waitcnt lgkmcnt(0)
	v_max_f32_e32 v5, v5, v5
	v_max_f32_e32 v5, v4, v5
	v_cndmask_b32_e32 v4, v8, v6, vcc
	v_lshlrev_b32_e32 v4, 2, v4
	ds_bpermute_b32 v6, v4, v5
	v_cmp_lt_i32_e32 vcc, v7, v0
	s_waitcnt lgkmcnt(0)
	v_max_f32_e32 v6, v6, v6
	v_max_f32_e32 v6, v5, v6
	v_cndmask_b32_e32 v5, v8, v7, vcc
	v_lshlrev_b32_e32 v35, 2, v5
	ds_bpermute_b32 v7, v35, v6
	v_accvgpr_read_b32 v5, a7
	v_cmp_eq_u32_e32 vcc, 0, v19
	v_lshlrev_b32_e32 v5, 2, v5
	s_and_saveexec_b64 s[2:3], vcc
	s_cbranch_execz .LBB282_526
; %bb.525:
	s_waitcnt lgkmcnt(0)
	v_max_f32_e32 v7, v7, v7
	v_max_f32_e32 v6, v6, v6
	;; [unrolled: 1-line block ×3, first 2 shown]
	ds_write_b32 v5, v6 offset:256
.LBB282_526:
	s_or_b64 exec, exec, s[2:3]
	v_cmp_gt_u32_e64 s[2:3], 2, v19
	s_waitcnt lgkmcnt(0)
	v_mov_b32_e32 v7, 0xff7fffff
	v_lshlrev_b32_e32 v6, 2, v19
	s_barrier
	s_and_saveexec_b64 s[4:5], s[2:3]
	s_cbranch_execz .LBB282_528
; %bb.527:
	ds_read_b32 v7, v6 offset:256
.LBB282_528:
	s_or_b64 exec, exec, s[4:5]
	v_accvgpr_read_b32 v9, a22
	v_xor_b32_e32 v8, 1, v9
	v_cmp_lt_i32_e64 s[4:5], v8, v0
	v_accvgpr_read_b32 v12, a8
	s_nop 0
	v_cndmask_b32_e64 v0, v9, v8, s[4:5]
	v_lshlrev_b32_e32 v36, 2, v0
	s_waitcnt lgkmcnt(0)
	ds_bpermute_b32 v0, v36, v7
	v_max_f32_e32 v7, v7, v7
	v_lshlrev_b32_e32 v8, 2, v9
	v_mov_b32_e32 v9, 0
	s_waitcnt lgkmcnt(0)
	v_max_f32_e32 v0, v0, v0
	v_max_f32_e32 v0, v7, v0
	v_and_b32_e32 v7, 0xffffff00, v8
	ds_bpermute_b32 v8, v7, v0
	v_accvgpr_read_b32 v0, a3
	v_lshlrev_b32_e32 v0, 5, v0
	v_min_i32_e32 v0, v0, v12
	v_cmp_lt_i32_e64 s[4:5], v18, v0
	s_and_saveexec_b64 s[8:9], s[4:5]
	s_cbranch_execz .LBB282_532
; %bb.529:
	s_ashr_i32 s17, s16, 31
	s_lshl_b64 s[6:7], s[16:17], 2
	s_getpc_b64 s[18:19]
	s_add_u32 s18, s18, llvm.amdgcn.dynlds.offset.table@rel32@lo+4
	s_addc_u32 s19, s19, llvm.amdgcn.dynlds.offset.table@rel32@hi+12
	s_add_u32 s6, s6, s18
	s_addc_u32 s7, s7, s19
	s_load_dword s6, s[6:7], 0x0
	s_mov_b64 s[18:19], 0
	v_mov_b32_e32 v9, 0
	v_mov_b32_e32 v14, v18
	s_waitcnt lgkmcnt(0)
	v_lshl_add_u32 v13, v18, 2, s6
.LBB282_530:                            ; =>This Inner Loop Header: Depth=1
	ds_read_b32 v12, v13
	v_add_u32_e32 v14, 0x80, v14
	v_cmp_ge_i32_e64 s[6:7], v14, v0
	s_or_b64 s[18:19], s[6:7], s[18:19]
	s_waitcnt lgkmcnt(0)
	v_sub_f32_e32 v12, v12, v8
	v_mul_f32_e32 v12, 0x3fb8aa3b, v12
	v_exp_f32_e32 v12, v12
	ds_write_b32 v13, v12
	v_add_f32_e32 v9, v9, v12
	v_add_u32_e32 v13, 0x200, v13
	s_andn2_b64 exec, exec, s[18:19]
	s_cbranch_execnz .LBB282_530
; %bb.531:
	s_or_b64 exec, exec, s[18:19]
.LBB282_532:
	s_or_b64 exec, exec, s[8:9]
	ds_bpermute_b32 v1, v1, v9
	s_waitcnt lgkmcnt(0)
	v_add_f32_e32 v1, v9, v1
	ds_bpermute_b32 v2, v2, v1
	s_waitcnt lgkmcnt(0)
	v_add_f32_e32 v1, v1, v2
	;; [unrolled: 3-line block ×6, first 2 shown]
	s_and_saveexec_b64 s[6:7], vcc
	s_cbranch_execz .LBB282_534
; %bb.533:
	ds_write_b32 v5, v1 offset:264
.LBB282_534:
	s_or_b64 exec, exec, s[6:7]
	s_waitcnt lgkmcnt(0)
	s_barrier
	s_and_saveexec_b64 s[6:7], s[2:3]
	s_cbranch_execz .LBB282_536
; %bb.535:
	ds_read_b32 v1, v6 offset:264
.LBB282_536:
	s_or_b64 exec, exec, s[6:7]
	s_waitcnt lgkmcnt(0)
	ds_bpermute_b32 v2, v36, v1
	s_waitcnt lgkmcnt(0)
	v_add_f32_e32 v1, v1, v2
	ds_bpermute_b32 v1, v7, v1
	s_and_saveexec_b64 s[2:3], s[4:5]
	s_cbranch_execz .LBB282_549
; %bb.537:
	s_waitcnt lgkmcnt(0)
	v_add_f32_e32 v1, 0x358637bd, v1
	v_div_scale_f32 v2, s[4:5], v1, v1, 1.0
	v_rcp_f32_e32 v3, v2
	v_div_scale_f32 v4, vcc, 1.0, v1, 1.0
	s_movk_i32 s4, 0x7f
	v_fma_f32 v5, -v2, v3, 1.0
	v_fmac_f32_e32 v3, v5, v3
	v_mul_f32_e32 v5, v4, v3
	v_fma_f32 v6, -v2, v5, v4
	v_fmac_f32_e32 v5, v6, v3
	v_fma_f32 v2, -v2, v5, v4
	v_div_fmas_f32 v2, v2, v3, v5
	v_div_fixup_f32 v4, v2, v1, 1.0
	v_xad_u32 v2, v18, -1, v0
	v_cmp_lt_u32_e32 vcc, s4, v2
	s_mov_b64 s[6:7], -1
	v_mov_b32_e32 v1, v18
	s_and_saveexec_b64 s[4:5], vcc
	s_cbranch_execz .LBB282_546
; %bb.538:
	v_lshrrev_b32_e32 v1, 7, v2
	v_add_u32_e32 v3, -1, v1
	v_lshrrev_b32_e32 v2, 1, v3
	v_mov_b32_e32 v5, v4
	v_add_u32_e32 v2, 1, v2
	v_cmp_lt_u32_e32 vcc, 13, v3
	v_mov_b32_e32 v7, 0
	s_and_saveexec_b64 s[6:7], vcc
	s_cbranch_execz .LBB282_542
; %bb.539:
	s_ashr_i32 s17, s16, 31
	s_lshl_b64 s[8:9], s[16:17], 2
	s_getpc_b64 s[18:19]
	s_add_u32 s18, s18, llvm.amdgcn.dynlds.offset.table@rel32@lo+4
	s_addc_u32 s19, s19, llvm.amdgcn.dynlds.offset.table@rel32@hi+12
	s_add_u32 s8, s8, s18
	s_addc_u32 s9, s9, s19
	s_load_dword s8, s[8:9], 0x0
	v_and_b32_e32 v3, -8, v2
	s_mov_b32 s17, 0
	s_waitcnt lgkmcnt(0)
	v_lshl_add_u32 v6, v18, 2, s8
	s_mov_b64 s[8:9], 0
.LBB282_540:                            ; =>This Inner Loop Header: Depth=1
	ds_read2st64_b32 v[8:9], v6 offset1:2
	ds_read2st64_b32 v[12:13], v6 offset0:4 offset1:6
	ds_read2st64_b32 v[14:15], v6 offset0:8 offset1:10
	;; [unrolled: 1-line block ×3, first 2 shown]
	v_add_u32_e32 v3, -8, v3
	s_waitcnt lgkmcnt(3)
	v_pk_mul_f32 v[8:9], v[4:5], v[8:9]
	s_waitcnt lgkmcnt(2)
	v_pk_mul_f32 v[12:13], v[4:5], v[12:13]
	ds_write2st64_b32 v6, v8, v9 offset1:2
	ds_write2st64_b32 v6, v12, v13 offset0:4 offset1:6
	ds_read2st64_b32 v[12:13], v6 offset0:16 offset1:18
	s_waitcnt lgkmcnt(4)
	v_pk_mul_f32 v[8:9], v[4:5], v[14:15]
	ds_write2st64_b32 v6, v8, v9 offset0:8 offset1:10
	s_waitcnt lgkmcnt(4)
	v_pk_mul_f32 v[8:9], v[4:5], v[16:17]
	ds_write2st64_b32 v6, v8, v9 offset0:12 offset1:14
	ds_read2st64_b32 v[8:9], v6 offset0:20 offset1:22
	s_waitcnt lgkmcnt(3)
	v_pk_mul_f32 v[12:13], v[4:5], v[12:13]
	ds_read2st64_b32 v[14:15], v6 offset0:24 offset1:26
	ds_write2st64_b32 v6, v12, v13 offset0:16 offset1:18
	ds_read2st64_b32 v[12:13], v6 offset0:28 offset1:30
	s_waitcnt lgkmcnt(3)
	v_pk_mul_f32 v[8:9], v[4:5], v[8:9]
	ds_write2st64_b32 v6, v8, v9 offset0:20 offset1:22
	s_waitcnt lgkmcnt(3)
	v_pk_mul_f32 v[8:9], v[4:5], v[14:15]
	ds_write2st64_b32 v6, v8, v9 offset0:24 offset1:26
	s_waitcnt lgkmcnt(2)
	v_pk_mul_f32 v[8:9], v[4:5], v[12:13]
	s_add_i32 s17, s17, 16
	v_cmp_eq_u32_e32 vcc, 0, v3
	ds_write2st64_b32 v6, v8, v9 offset0:28 offset1:30
	v_add_u32_e32 v6, 0x2000, v6
	s_or_b64 s[8:9], vcc, s[8:9]
	v_mov_b32_e32 v7, s17
	s_andn2_b64 exec, exec, s[8:9]
	s_cbranch_execnz .LBB282_540
; %bb.541:
	s_or_b64 exec, exec, s[8:9]
.LBB282_542:
	s_or_b64 exec, exec, s[6:7]
	v_and_b32_e32 v2, 7, v2
	v_cmp_ne_u32_e32 vcc, 0, v2
	s_and_saveexec_b64 s[6:7], vcc
	s_cbranch_execz .LBB282_545
; %bb.543:
	s_ashr_i32 s17, s16, 31
	s_lshl_b64 s[8:9], s[16:17], 2
	s_getpc_b64 s[18:19]
	s_add_u32 s18, s18, llvm.amdgcn.dynlds.offset.table@rel32@lo+4
	s_addc_u32 s19, s19, llvm.amdgcn.dynlds.offset.table@rel32@hi+12
	s_add_u32 s8, s8, s18
	s_addc_u32 s9, s9, s19
	s_load_dword s8, s[8:9], 0x0
	v_lshlrev_b32_e32 v3, 9, v7
	v_lshlrev_b32_e32 v6, 2, v18
	s_waitcnt lgkmcnt(0)
	v_add3_u32 v3, v3, v6, s8
	s_mov_b64 s[8:9], 0
.LBB282_544:                            ; =>This Inner Loop Header: Depth=1
	ds_read2st64_b32 v[6:7], v3 offset1:2
	v_add_u32_e32 v2, -1, v2
	v_cmp_eq_u32_e32 vcc, 0, v2
	s_or_b64 s[8:9], vcc, s[8:9]
	s_waitcnt lgkmcnt(0)
	v_pk_mul_f32 v[6:7], v[4:5], v[6:7]
	ds_write2st64_b32 v3, v6, v7 offset1:2
	v_add_u32_e32 v3, 0x400, v3
	s_andn2_b64 exec, exec, s[8:9]
	s_cbranch_execnz .LBB282_544
.LBB282_545:
	s_or_b64 exec, exec, s[6:7]
	v_add_u32_e32 v2, 1, v1
	v_and_b32_e32 v3, 0x3fffffe, v2
	v_cmp_ne_u32_e32 vcc, v2, v3
	v_lshl_add_u32 v1, v3, 7, v18
	s_orn2_b64 s[6:7], vcc, exec
.LBB282_546:
	s_or_b64 exec, exec, s[4:5]
	s_and_b64 exec, exec, s[6:7]
	s_cbranch_execz .LBB282_549
; %bb.547:
	s_ashr_i32 s17, s16, 31
	s_lshl_b64 s[4:5], s[16:17], 2
	s_getpc_b64 s[6:7]
	s_add_u32 s6, s6, llvm.amdgcn.dynlds.offset.table@rel32@lo+4
	s_addc_u32 s7, s7, llvm.amdgcn.dynlds.offset.table@rel32@hi+12
	s_add_u32 s4, s4, s6
	s_addc_u32 s5, s5, s7
	s_load_dword s4, s[4:5], 0x0
	s_waitcnt lgkmcnt(0)
	v_lshl_add_u32 v2, v1, 2, s4
	s_mov_b64 s[4:5], 0
.LBB282_548:                            ; =>This Inner Loop Header: Depth=1
	ds_read_b32 v3, v2
	v_add_u32_e32 v1, 0x80, v1
	v_cmp_ge_i32_e32 vcc, v1, v0
	s_or_b64 s[4:5], vcc, s[4:5]
	s_waitcnt lgkmcnt(0)
	v_mul_f32_e32 v3, v4, v3
	ds_write_b32 v2, v3
	v_add_u32_e32 v2, 0x200, v2
	s_andn2_b64 exec, exec, s[4:5]
	s_cbranch_execnz .LBB282_548
.LBB282_549:
	s_or_b64 exec, exec, s[2:3]
	v_mov_b32_e32 v5, 0
	v_and_b32_e32 v37, 3, v18
	v_mov_b32_e32 v4, 0
	v_mov_b32_e32 v9, 0
	;; [unrolled: 1-line block ×7, first 2 shown]
	s_waitcnt lgkmcnt(0)
	s_barrier
	s_and_saveexec_b64 s[2:3], s[0:1]
	s_cbranch_execz .LBB282_1081
; %bb.550:
	s_ashr_i32 s17, s16, 31
	s_lshl_b64 s[0:1], s[16:17], 2
	s_getpc_b64 s[4:5]
	s_add_u32 s4, s4, llvm.amdgcn.dynlds.offset.table@rel32@lo+4
	s_addc_u32 s5, s5, llvm.amdgcn.dynlds.offset.table@rel32@hi+12
	s_add_u32 s0, s0, s4
	s_addc_u32 s1, s1, s5
	v_lshl_add_u64 v[0:1], v[22:23], 0, v[30:31]
	v_and_b32_e32 v6, 0x1f8, v28
	v_mov_b32_e32 v7, 0
	s_load_dword s0, s[0:1], 0x0
	v_lshl_add_u64 v[14:15], v[0:1], 0, v[6:7]
	v_and_b32_e32 v6, 60, v29
	v_accvgpr_read_b32 v2, a3
	v_lshl_add_u64 v[0:1], v[26:27], 2, v[6:7]
	v_add_u32_e32 v38, -1, v2
	v_lshl_add_u64 v[2:3], v[10:11], 0, v[0:1]
	v_accvgpr_read_b32 v1, a7
	v_lshlrev_b32_e32 v0, 5, v37
	v_and_b32_e32 v4, 24, v28
	v_lshl_or_b32 v0, v1, 7, v0
	v_accvgpr_write_b32 a2, v18
	v_accvgpr_read_b32 v13, a8
	v_lshl_or_b32 v39, v1, 5, v4
	s_waitcnt lgkmcnt(0)
	v_add_u32_e32 v48, s0, v0
	s_mov_b64 s[4:5], 0
	s_movk_i32 s17, 0x7f
	s_movk_i32 s20, 0x80
	s_mov_b32 s21, 0x8000
	s_movk_i32 s22, 0x380
	s_mov_b32 s23, 0x3020706
	s_mov_b32 s24, 0x1000504
	;; [unrolled: 1-line block ×3, first 2 shown]
	v_mov_b32_e32 v49, 0x1c00
	v_mov_b32_e32 v24, 0
	;; [unrolled: 1-line block ×9, first 2 shown]
	s_branch .LBB282_552
.LBB282_551:                            ;   in Loop: Header=BB282_552 Depth=1
	s_or_b64 exec, exec, s[0:1]
	v_add_f32_e32 v0, v0, v1
	v_add_f32_e32 v21, v21, v0
	;; [unrolled: 1-line block ×8, first 2 shown]
	;;#ASMSTART
	v_pk_mul_f16 v0, v40, v17;

	;;#ASMEND
	;;#ASMSTART
	v_pk_mul_f16 v1, v41, v6;

	;;#ASMEND
	;; [unrolled: 4-line block ×4, first 2 shown]
	v_add_f32_e32 v12, v45, v46
	;;#ASMSTART
	v_pk_add_f16 v0, v0, v1;

	;;#ASMEND
	v_add_f32_e32 v24, v24, v12
	;;#ASMSTART
	v_pk_add_f16 v0, v0, v6;

	;;#ASMEND
	;; [unrolled: 5-line block ×3, first 2 shown]
	v_add_f32_e32 v25, v25, v12
	v_lshrrev_b32_e32 v1, 16, v0
	v_and_b32_e32 v0, 0xffff, v0
	;;#ASMSTART
	v_cvt_f32_f16 v0, v0;
	;;#ASMEND
	;;#ASMSTART
	v_cvt_f32_f16 v1, v1;
	;;#ASMEND
	v_add_f32_e32 v12, v57, v58
	v_add_f32_e32 v0, v0, v1
	v_accvgpr_read_b32 v1, a7
	v_add_f32_e32 v5, v5, v0
	v_add_u32_e32 v1, 2, v1
	v_accvgpr_read_b32 v0, a3
	v_cmp_ge_i32_e32 vcc, v1, v0
	v_add_f32_e32 v20, v20, v12
	v_lshl_add_u64 v[2:3], v[2:3], 0, 8
	v_add_u32_e32 v39, 64, v39
	v_accvgpr_write_b32 a7, v1
	s_or_b64 s[4:5], vcc, s[4:5]
	v_add_u32_e32 v48, 0x100, v48
	s_andn2_b64 exec, exec, s[4:5]
	s_cbranch_execz .LBB282_1080
.LBB282_552:                            ; =>This Inner Loop Header: Depth=1
	ds_read2_b64 v[26:29], v48 offset1:1
	ds_read2_b64 v[30:33], v48 offset0:2 offset1:3
	v_accvgpr_read_b32 v10, a6
                                        ; implicit-def: $sgpr18
	s_waitcnt lgkmcnt(1)
	;;#ASMSTART
	v_cvt_f16_f32 v0, v26;

	;;#ASMEND
	;;#ASMSTART
	v_cvt_f16_f32 v1, v27;

	;;#ASMEND
	;; [unrolled: 4-line block ×4, first 2 shown]
	s_waitcnt lgkmcnt(0)
	;;#ASMSTART
	v_cvt_f16_f32 v22, v30;

	;;#ASMEND
	;;#ASMSTART
	v_cvt_f16_f32 v23, v31;

	;;#ASMEND
	;;#ASMSTART
	v_cvt_f16_f32 v32, v32;

	;;#ASMEND
	;;#ASMSTART
	v_cvt_f16_f32 v33, v33;

	;;#ASMEND
	flat_load_dword v6, v[2:3]
	v_accvgpr_read_b32 v29, a5
	v_accvgpr_read_b32 v28, a4
	flat_load_dword v16, v[28:29]
	s_waitcnt vmcnt(0) lgkmcnt(0)
	v_mad_i64_i32 v[10:11], s[0:1], v6, v10, v[14:15]
	flat_load_dwordx2 v[26:27], v[10:11]
	s_mov_b64 s[0:1], 0
	s_waitcnt vmcnt(0) lgkmcnt(0)
	v_cmp_gt_i16_sdwa s[6:7], v26, s17 src0_sel:BYTE_0 src1_sel:DWORD
	s_and_saveexec_b64 s[8:9], s[6:7]
	s_xor_b64 s[6:7], exec, s[8:9]
	s_cbranch_execnz .LBB282_824
; %bb.553:                              ;   in Loop: Header=BB282_552 Depth=1
	s_or_saveexec_b64 s[6:7], s[6:7]
	v_mov_b32_e32 v28, s18
	s_xor_b64 exec, exec, s[6:7]
	s_cbranch_execnz .LBB282_827
.LBB282_554:                            ;   in Loop: Header=BB282_552 Depth=1
	s_or_b64 exec, exec, s[6:7]
	s_and_saveexec_b64 s[6:7], s[0:1]
	s_cbranch_execz .LBB282_556
.LBB282_555:                            ;   in Loop: Header=BB282_552 Depth=1
	v_and_b32_e32 v6, 7, v26
	v_ffbh_u32_e32 v6, v6
	v_bfe_u32 v12, v26, 3, 4
	v_min_u32_e32 v6, 32, v6
	v_subrev_u32_e32 v28, 28, v6
	v_sub_u32_e32 v6, 29, v6
	v_cmp_eq_u32_e32 vcc, 0, v12
	s_nop 1
	v_cndmask_b32_e32 v6, v12, v6, vcc
	v_cndmask_b32_e32 v12, 0, v28, vcc
	v_lshlrev_b64 v[28:29], v12, v[26:27]
	v_lshlrev_b32_e32 v12, 7, v28
	v_lshlrev_b32_e32 v28, 8, v26
	v_lshl_add_u32 v6, v6, 10, v49
	v_and_or_b32 v6, v28, s21, v6
	v_and_or_b32 v6, v12, s22, v6
	v_cvt_f32_f16_e32 v28, v6
.LBB282_556:                            ;   in Loop: Header=BB282_552 Depth=1
	s_or_b64 exec, exec, s[6:7]
	v_lshrrev_b16_e32 v6, 8, v26
	v_cmp_lt_i16_e32 vcc, s17, v6
	s_mov_b64 s[0:1], 0
                                        ; implicit-def: $sgpr18
	s_and_saveexec_b64 s[6:7], vcc
	s_xor_b64 s[6:7], exec, s[6:7]
	s_cbranch_execnz .LBB282_828
; %bb.557:                              ;   in Loop: Header=BB282_552 Depth=1
	s_or_saveexec_b64 s[6:7], s[6:7]
	v_mov_b32_e32 v30, s18
	s_xor_b64 exec, exec, s[6:7]
	s_cbranch_execnz .LBB282_831
.LBB282_558:                            ;   in Loop: Header=BB282_552 Depth=1
	s_or_b64 exec, exec, s[6:7]
	s_and_saveexec_b64 s[6:7], s[0:1]
	s_cbranch_execz .LBB282_560
.LBB282_559:                            ;   in Loop: Header=BB282_552 Depth=1
	v_and_b32_e32 v12, 7, v6
	v_ffbh_u32_e32 v30, v12
	v_min_u32_e32 v34, 32, v30
	v_subrev_u32_e32 v30, 28, v34
	v_bfe_u32 v29, v6, 3, 4
	v_lshlrev_b64 v[30:31], v30, v[6:7]
	v_sub_u32_e32 v31, 29, v34
	v_cmp_eq_u32_e32 vcc, 0, v29
	v_and_b32_e32 v30, 7, v30
	v_lshlrev_b32_e32 v6, 8, v6
	v_cndmask_b32_e32 v29, v29, v31, vcc
	v_lshl_add_u32 v29, v29, 10, v49
	v_cndmask_b32_e32 v12, v12, v30, vcc
	v_and_or_b32 v6, v6, s21, v29
	v_lshl_or_b32 v6, v12, 7, v6
	v_cvt_f32_f16_e32 v30, v6
.LBB282_560:                            ;   in Loop: Header=BB282_552 Depth=1
	s_or_b64 exec, exec, s[6:7]
	v_lshrrev_b32_e32 v6, 16, v26
	v_cmp_gt_i16_sdwa s[6:7], v6, s17 src0_sel:BYTE_0 src1_sel:DWORD
	s_mov_b64 s[0:1], 0
                                        ; implicit-def: $sgpr18
	s_and_saveexec_b64 s[8:9], s[6:7]
	s_xor_b64 s[6:7], exec, s[8:9]
	s_cbranch_execnz .LBB282_832
; %bb.561:                              ;   in Loop: Header=BB282_552 Depth=1
	s_or_saveexec_b64 s[6:7], s[6:7]
	v_mov_b32_e32 v29, s18
	s_xor_b64 exec, exec, s[6:7]
	s_cbranch_execnz .LBB282_835
.LBB282_562:                            ;   in Loop: Header=BB282_552 Depth=1
	s_or_b64 exec, exec, s[6:7]
	s_and_saveexec_b64 s[6:7], s[0:1]
	s_cbranch_execz .LBB282_564
.LBB282_563:                            ;   in Loop: Header=BB282_552 Depth=1
	v_bfe_u32 v12, v26, 16, 3
	v_ffbh_u32_e32 v31, v12
	v_bfe_u32 v29, v26, 19, 4
	v_min_u32_e32 v31, 32, v31
	v_subrev_u32_e32 v34, 28, v31
	v_sub_u32_e32 v31, 29, v31
	v_cmp_eq_u32_e32 vcc, 0, v29
	v_lshlrev_b64 v[50:51], v34, v[6:7]
	v_and_b32_e32 v34, 7, v50
	v_cndmask_b32_e32 v29, v29, v31, vcc
	v_lshlrev_b32_e32 v6, 8, v6
	v_lshl_add_u32 v29, v29, 10, v49
	v_cndmask_b32_e32 v12, v12, v34, vcc
	v_and_or_b32 v6, v6, s21, v29
	v_lshl_or_b32 v6, v12, 7, v6
	v_cvt_f32_f16_e32 v29, v6
.LBB282_564:                            ;   in Loop: Header=BB282_552 Depth=1
	s_or_b64 exec, exec, s[6:7]
	v_lshrrev_b32_e32 v6, 24, v26
	v_cmp_lt_i16_e32 vcc, s17, v6
	s_mov_b64 s[0:1], 0
                                        ; implicit-def: $sgpr18
	s_and_saveexec_b64 s[6:7], vcc
	s_xor_b64 s[6:7], exec, s[6:7]
	s_cbranch_execnz .LBB282_836
; %bb.565:                              ;   in Loop: Header=BB282_552 Depth=1
	s_or_saveexec_b64 s[6:7], s[6:7]
	v_mov_b32_e32 v31, s18
	s_xor_b64 exec, exec, s[6:7]
	s_cbranch_execnz .LBB282_839
.LBB282_566:                            ;   in Loop: Header=BB282_552 Depth=1
	s_or_b64 exec, exec, s[6:7]
	s_and_saveexec_b64 s[6:7], s[0:1]
	s_cbranch_execz .LBB282_568
.LBB282_567:                            ;   in Loop: Header=BB282_552 Depth=1
	v_bfe_u32 v12, v26, 24, 3
	v_ffbh_u32_e32 v31, v12
	v_bfe_u32 v26, v26, 27, 4
	v_min_u32_e32 v31, 32, v31
	v_subrev_u32_e32 v34, 28, v31
	v_sub_u32_e32 v31, 29, v31
	v_cmp_eq_u32_e32 vcc, 0, v26
	v_lshlrev_b64 v[50:51], v34, v[6:7]
	v_and_b32_e32 v34, 7, v50
	v_cndmask_b32_e32 v26, v26, v31, vcc
	v_lshlrev_b32_e32 v6, 8, v6
	v_lshl_add_u32 v26, v26, 10, v49
	v_cndmask_b32_e32 v12, v12, v34, vcc
	v_and_or_b32 v6, v6, s21, v26
	v_lshl_or_b32 v6, v12, 7, v6
	v_cvt_f32_f16_e32 v31, v6
.LBB282_568:                            ;   in Loop: Header=BB282_552 Depth=1
	s_or_b64 exec, exec, s[6:7]
	v_cmp_gt_i16_sdwa s[6:7], v27, s17 src0_sel:BYTE_0 src1_sel:DWORD
	s_mov_b64 s[0:1], 0
                                        ; implicit-def: $sgpr18
	s_and_saveexec_b64 s[8:9], s[6:7]
	s_xor_b64 s[6:7], exec, s[8:9]
	s_cbranch_execnz .LBB282_840
; %bb.569:                              ;   in Loop: Header=BB282_552 Depth=1
	s_or_saveexec_b64 s[6:7], s[6:7]
	v_mov_b32_e32 v26, s18
	s_xor_b64 exec, exec, s[6:7]
	s_cbranch_execnz .LBB282_843
.LBB282_570:                            ;   in Loop: Header=BB282_552 Depth=1
	s_or_b64 exec, exec, s[6:7]
	v_mov_b32_e32 v6, v27
	s_and_saveexec_b64 s[6:7], s[0:1]
	s_cbranch_execz .LBB282_572
.LBB282_571:                            ;   in Loop: Header=BB282_552 Depth=1
	v_and_b32_e32 v12, 7, v27
	v_ffbh_u32_e32 v12, v12
	v_bfe_u32 v26, v27, 3, 4
	v_min_u32_e32 v12, 32, v12
	v_subrev_u32_e32 v34, 28, v12
	v_sub_u32_e32 v12, 29, v12
	v_cmp_eq_u32_e32 vcc, 0, v26
	s_nop 1
	v_cndmask_b32_e32 v12, v26, v12, vcc
	v_cndmask_b32_e32 v26, 0, v34, vcc
	v_lshlrev_b64 v[50:51], v26, v[6:7]
	v_lshlrev_b32_e32 v34, 8, v27
	v_lshl_add_u32 v12, v12, 10, v49
	v_lshlrev_b32_e32 v26, 7, v50
	v_and_or_b32 v12, v34, s21, v12
	v_and_or_b32 v12, v26, s22, v12
	v_cvt_f32_f16_e32 v26, v12
.LBB282_572:                            ;   in Loop: Header=BB282_552 Depth=1
	s_or_b64 exec, exec, s[6:7]
	v_lshrrev_b16_e32 v6, 8, v6
	v_cmp_lt_i16_e32 vcc, s17, v6
	s_mov_b64 s[0:1], 0
                                        ; implicit-def: $sgpr18
	s_and_saveexec_b64 s[6:7], vcc
	s_xor_b64 s[6:7], exec, s[6:7]
	s_cbranch_execnz .LBB282_844
; %bb.573:                              ;   in Loop: Header=BB282_552 Depth=1
	s_or_saveexec_b64 s[6:7], s[6:7]
	v_mov_b32_e32 v34, s18
	s_xor_b64 exec, exec, s[6:7]
	s_cbranch_execnz .LBB282_847
.LBB282_574:                            ;   in Loop: Header=BB282_552 Depth=1
	s_or_b64 exec, exec, s[6:7]
	s_and_saveexec_b64 s[6:7], s[0:1]
	s_cbranch_execz .LBB282_576
.LBB282_575:                            ;   in Loop: Header=BB282_552 Depth=1
	v_and_b32_e32 v12, 7, v6
	v_ffbh_u32_e32 v50, v12
	v_min_u32_e32 v52, 32, v50
	v_subrev_u32_e32 v50, 28, v52
	v_bfe_u32 v34, v6, 3, 4
	v_lshlrev_b64 v[50:51], v50, v[6:7]
	v_sub_u32_e32 v51, 29, v52
	v_cmp_eq_u32_e32 vcc, 0, v34
	v_and_b32_e32 v50, 7, v50
	v_lshlrev_b32_e32 v6, 8, v6
	v_cndmask_b32_e32 v34, v34, v51, vcc
	v_lshl_add_u32 v34, v34, 10, v49
	v_cndmask_b32_e32 v12, v12, v50, vcc
	v_and_or_b32 v6, v6, s21, v34
	v_lshl_or_b32 v6, v12, 7, v6
	v_cvt_f32_f16_e32 v34, v6
.LBB282_576:                            ;   in Loop: Header=BB282_552 Depth=1
	s_or_b64 exec, exec, s[6:7]
	v_lshrrev_b32_e32 v6, 16, v27
	v_cmp_gt_i16_sdwa s[6:7], v6, s17 src0_sel:BYTE_0 src1_sel:DWORD
	s_mov_b64 s[0:1], 0
                                        ; implicit-def: $sgpr18
	s_and_saveexec_b64 s[8:9], s[6:7]
	s_xor_b64 s[6:7], exec, s[8:9]
	s_cbranch_execnz .LBB282_848
; %bb.577:                              ;   in Loop: Header=BB282_552 Depth=1
	s_or_saveexec_b64 s[6:7], s[6:7]
	v_mov_b32_e32 v50, s18
	s_xor_b64 exec, exec, s[6:7]
	s_cbranch_execnz .LBB282_851
.LBB282_578:                            ;   in Loop: Header=BB282_552 Depth=1
	s_or_b64 exec, exec, s[6:7]
	s_and_saveexec_b64 s[6:7], s[0:1]
	s_cbranch_execz .LBB282_580
.LBB282_579:                            ;   in Loop: Header=BB282_552 Depth=1
	v_bfe_u32 v12, v27, 16, 3
	v_ffbh_u32_e32 v50, v12
	v_min_u32_e32 v53, 32, v50
	v_subrev_u32_e32 v50, 28, v53
	v_bfe_u32 v52, v27, 19, 4
	v_lshlrev_b64 v[50:51], v50, v[6:7]
	v_sub_u32_e32 v51, 29, v53
	v_cmp_eq_u32_e32 vcc, 0, v52
	v_and_b32_e32 v50, 7, v50
	v_lshlrev_b32_e32 v6, 8, v6
	v_cndmask_b32_e32 v51, v52, v51, vcc
	v_cndmask_b32_e32 v12, v12, v50, vcc
	v_lshl_add_u32 v50, v51, 10, v49
	v_and_or_b32 v6, v6, s21, v50
	v_lshl_or_b32 v6, v12, 7, v6
	v_cvt_f32_f16_e32 v50, v6
.LBB282_580:                            ;   in Loop: Header=BB282_552 Depth=1
	s_or_b64 exec, exec, s[6:7]
	v_lshrrev_b32_e32 v6, 24, v27
	v_cmp_lt_i16_e32 vcc, s17, v6
	s_mov_b64 s[0:1], 0
                                        ; implicit-def: $sgpr18
	s_and_saveexec_b64 s[6:7], vcc
	s_xor_b64 s[6:7], exec, s[6:7]
	s_cbranch_execnz .LBB282_852
; %bb.581:                              ;   in Loop: Header=BB282_552 Depth=1
	s_or_saveexec_b64 s[6:7], s[6:7]
	v_mov_b32_e32 v51, s18
	s_xor_b64 exec, exec, s[6:7]
	s_cbranch_execnz .LBB282_855
.LBB282_582:                            ;   in Loop: Header=BB282_552 Depth=1
	s_or_b64 exec, exec, s[6:7]
	s_and_saveexec_b64 s[6:7], s[0:1]
	s_cbranch_execz .LBB282_584
.LBB282_583:                            ;   in Loop: Header=BB282_552 Depth=1
	v_bfe_u32 v12, v27, 24, 3
	v_ffbh_u32_e32 v51, v12
	v_bfe_u32 v27, v27, 27, 4
	v_min_u32_e32 v51, 32, v51
	v_subrev_u32_e32 v52, 28, v51
	v_sub_u32_e32 v51, 29, v51
	v_cmp_eq_u32_e32 vcc, 0, v27
	v_lshlrev_b64 v[52:53], v52, v[6:7]
	v_and_b32_e32 v52, 7, v52
	v_cndmask_b32_e32 v27, v27, v51, vcc
	v_lshlrev_b32_e32 v6, 8, v6
	v_lshl_add_u32 v27, v27, 10, v49
	v_cndmask_b32_e32 v12, v12, v52, vcc
	v_and_or_b32 v6, v6, s21, v27
	v_lshl_or_b32 v6, v12, 7, v6
	v_cvt_f32_f16_e32 v51, v6
.LBB282_584:                            ;   in Loop: Header=BB282_552 Depth=1
	s_or_b64 exec, exec, s[6:7]
	v_pk_mul_f32 v[30:31], v[16:17], v[30:31] op_sel_hi:[0,1]
	v_pk_mul_f32 v[28:29], v[16:17], v[28:29] op_sel_hi:[0,1]
	v_cvt_f16_f32_e32 v6, v31
	v_cvt_f16_f32_e32 v12, v30
	;; [unrolled: 1-line block ×4, first 2 shown]
	v_fma_mixlo_f16 v26, v16, v26, 0
	v_pack_b32_f16 v12, v12, v6
	v_accvgpr_read_b32 v29, a7
	v_pack_b32_f16 v27, v28, v27
	v_perm_b32 v6, v27, v12, s23
	v_perm_b32 v27, v27, v12, s24
	v_fma_mixlo_f16 v12, v16, v34, 0
	v_lshlrev_b32_e32 v12, 16, v12
	v_or_b32_sdwa v26, v12, v26 dst_sel:DWORD dst_unused:UNUSED_PAD src0_sel:DWORD src1_sel:WORD_0
	v_fma_mixlo_f16 v12, v16, v51, 0
	v_fma_mixlo_f16 v28, v16, v50, 0
	v_lshlrev_b32_e32 v12, 16, v12
	v_cmp_eq_u32_e32 vcc, v38, v29
	v_or_b32_sdwa v16, v12, v28 dst_sel:DWORD dst_unused:UNUSED_PAD src0_sel:DWORD src1_sel:WORD_0
	v_add_u32_e32 v44, 1, v39
	v_or_b32_e32 v55, 3, v39
	v_or_b32_e32 v54, 2, v39
	;; [unrolled: 1-line block ×6, first 2 shown]
	s_and_saveexec_b64 s[6:7], vcc
	s_cbranch_execz .LBB282_586
; %bb.585:                              ;   in Loop: Header=BB282_552 Depth=1
	v_lshrrev_b32_e32 v12, 16, v27
	v_cmp_lt_i32_e64 s[0:1], v44, v13
	v_accvgpr_read_b32 v30, a8
	s_nop 0
	v_cndmask_b32_e64 v12, 0, v12, s[0:1]
	v_cmp_lt_i32_e64 s[0:1], v39, v30
	s_nop 1
	v_cndmask_b32_e64 v27, 0, v27, s[0:1]
	v_perm_b32 v27, v12, v27, s25
	v_lshrrev_b32_e32 v12, 16, v6
	v_cmp_lt_i32_e64 s[0:1], v55, v13
	s_nop 1
	v_cndmask_b32_e64 v12, 0, v12, s[0:1]
	v_cmp_lt_i32_e64 s[0:1], v54, v30
	s_nop 1
	v_cndmask_b32_e64 v6, 0, v6, s[0:1]
	v_perm_b32 v6, v12, v6, s25
	v_lshrrev_b32_e32 v12, 16, v26
	v_cmp_lt_i32_e64 s[0:1], v53, v13
	;; [unrolled: 8-line block ×3, first 2 shown]
	s_nop 1
	v_cndmask_b32_e64 v12, 0, v12, s[0:1]
	v_cmp_lt_i32_e64 s[0:1], v50, v30
	s_nop 1
	v_cndmask_b32_e64 v16, 0, v28, s[0:1]
	v_perm_b32 v16, v12, v16, s25
.LBB282_586:                            ;   in Loop: Header=BB282_552 Depth=1
	s_or_b64 exec, exec, s[6:7]
	v_and_b32_e32 v0, 0xffff, v0
	v_lshl_or_b32 v40, v1, 16, v0
	v_and_b32_e32 v0, 0xffff, v17
	v_lshl_or_b32 v41, v18, 16, v0
	;; [unrolled: 2-line block ×4, first 2 shown]
	;;#ASMSTART
	v_pk_mul_f16 v0, v40, v27;

	;;#ASMEND
	;;#ASMSTART
	v_pk_mul_f16 v1, v41, v6;

	;;#ASMEND
	;; [unrolled: 4-line block ×4, first 2 shown]
	s_mov_b64 s[0:1], 0
	;;#ASMSTART
	v_pk_add_f16 v0, v0, v1;

	;;#ASMEND
                                        ; implicit-def: $sgpr18
	s_nop 0
	;;#ASMSTART
	v_pk_add_f16 v0, v0, v6;

	;;#ASMEND
	s_nop 0
	;;#ASMSTART
	v_pk_add_f16 v0, v0, v12;

	;;#ASMEND
	s_nop 0
	v_lshrrev_b32_e32 v1, 16, v0
	v_and_b32_e32 v0, 0xffff, v0
	;;#ASMSTART
	v_cvt_f32_f16 v45, v0;
	;;#ASMEND
	;;#ASMSTART
	v_cvt_f32_f16 v46, v1;
	;;#ASMEND
	v_accvgpr_read_b32 v0, a4
	flat_load_dwordx2 v[26:27], v[10:11] offset:512
	v_accvgpr_read_b32 v1, a5
	flat_load_dword v16, v[0:1]
	s_waitcnt vmcnt(0) lgkmcnt(0)
	v_cmp_gt_i16_sdwa s[6:7], v26, s17 src0_sel:BYTE_0 src1_sel:DWORD
	s_and_saveexec_b64 s[8:9], s[6:7]
	s_xor_b64 s[6:7], exec, s[8:9]
	s_cbranch_execnz .LBB282_856
; %bb.587:                              ;   in Loop: Header=BB282_552 Depth=1
	s_or_saveexec_b64 s[6:7], s[6:7]
	v_mov_b32_e32 v28, s18
	s_xor_b64 exec, exec, s[6:7]
	s_cbranch_execnz .LBB282_859
.LBB282_588:                            ;   in Loop: Header=BB282_552 Depth=1
	s_or_b64 exec, exec, s[6:7]
	s_and_saveexec_b64 s[6:7], s[0:1]
	s_cbranch_execz .LBB282_590
.LBB282_589:                            ;   in Loop: Header=BB282_552 Depth=1
	v_and_b32_e32 v0, 7, v26
	v_ffbh_u32_e32 v0, v0
	v_bfe_u32 v1, v26, 3, 4
	v_min_u32_e32 v0, 32, v0
	v_subrev_u32_e32 v6, 28, v0
	v_sub_u32_e32 v0, 29, v0
	v_cmp_eq_u32_e64 s[0:1], 0, v1
	s_nop 1
	v_cndmask_b32_e64 v12, v1, v0, s[0:1]
	v_cndmask_b32_e64 v0, 0, v6, s[0:1]
	v_lshlrev_b64 v[0:1], v0, v[26:27]
	v_lshlrev_b32_e32 v1, 8, v26
	v_lshl_add_u32 v6, v12, 10, v49
	v_lshlrev_b32_e32 v0, 7, v0
	v_and_or_b32 v1, v1, s21, v6
	v_and_or_b32 v0, v0, s22, v1
	v_cvt_f32_f16_e32 v28, v0
.LBB282_590:                            ;   in Loop: Header=BB282_552 Depth=1
	s_or_b64 exec, exec, s[6:7]
	v_lshrrev_b16_e32 v6, 8, v26
	v_cmp_lt_i16_e64 s[0:1], s17, v6
	s_mov_b64 s[6:7], 0
                                        ; implicit-def: $sgpr26
	s_and_saveexec_b64 s[8:9], s[0:1]
	s_xor_b64 s[8:9], exec, s[8:9]
	s_cbranch_execnz .LBB282_860
; %bb.591:                              ;   in Loop: Header=BB282_552 Depth=1
	s_or_saveexec_b64 s[8:9], s[8:9]
	v_mov_b32_e32 v30, s26
	s_xor_b64 exec, exec, s[8:9]
	s_cbranch_execnz .LBB282_863
.LBB282_592:                            ;   in Loop: Header=BB282_552 Depth=1
	s_or_b64 exec, exec, s[8:9]
	s_and_saveexec_b64 s[8:9], s[6:7]
	s_cbranch_execz .LBB282_594
.LBB282_593:                            ;   in Loop: Header=BB282_552 Depth=1
	v_and_b32_e32 v12, 7, v6
	v_ffbh_u32_e32 v0, v12
	v_min_u32_e32 v18, 32, v0
	v_subrev_u32_e32 v0, 28, v18
	v_bfe_u32 v17, v6, 3, 4
	v_lshlrev_b64 v[0:1], v0, v[6:7]
	v_sub_u32_e32 v1, 29, v18
	v_cmp_eq_u32_e64 s[0:1], 0, v17
	v_and_b32_e32 v0, 7, v0
	v_lshlrev_b32_e32 v6, 8, v6
	v_cndmask_b32_e64 v1, v17, v1, s[0:1]
	v_lshl_add_u32 v1, v1, 10, v49
	v_cndmask_b32_e64 v0, v12, v0, s[0:1]
	v_and_or_b32 v1, v6, s21, v1
	v_lshl_or_b32 v0, v0, 7, v1
	v_cvt_f32_f16_e32 v30, v0
.LBB282_594:                            ;   in Loop: Header=BB282_552 Depth=1
	s_or_b64 exec, exec, s[8:9]
	v_lshrrev_b32_e32 v6, 16, v26
	v_cmp_gt_i16_sdwa s[6:7], v6, s17 src0_sel:BYTE_0 src1_sel:DWORD
	s_mov_b64 s[0:1], 0
                                        ; implicit-def: $sgpr18
	s_and_saveexec_b64 s[8:9], s[6:7]
	s_xor_b64 s[6:7], exec, s[8:9]
	s_cbranch_execnz .LBB282_864
; %bb.595:                              ;   in Loop: Header=BB282_552 Depth=1
	s_or_saveexec_b64 s[6:7], s[6:7]
	v_mov_b32_e32 v29, s18
	s_xor_b64 exec, exec, s[6:7]
	s_cbranch_execnz .LBB282_867
.LBB282_596:                            ;   in Loop: Header=BB282_552 Depth=1
	s_or_b64 exec, exec, s[6:7]
	s_and_saveexec_b64 s[6:7], s[0:1]
	s_cbranch_execz .LBB282_598
.LBB282_597:                            ;   in Loop: Header=BB282_552 Depth=1
	v_bfe_u32 v12, v26, 16, 3
	v_ffbh_u32_e32 v0, v12
	v_min_u32_e32 v18, 32, v0
	v_subrev_u32_e32 v0, 28, v18
	v_bfe_u32 v17, v26, 19, 4
	v_lshlrev_b64 v[0:1], v0, v[6:7]
	v_sub_u32_e32 v1, 29, v18
	v_cmp_eq_u32_e64 s[0:1], 0, v17
	v_and_b32_e32 v0, 7, v0
	v_lshlrev_b32_e32 v6, 8, v6
	v_cndmask_b32_e64 v1, v17, v1, s[0:1]
	v_lshl_add_u32 v1, v1, 10, v49
	v_cndmask_b32_e64 v0, v12, v0, s[0:1]
	v_and_or_b32 v1, v6, s21, v1
	v_lshl_or_b32 v0, v0, 7, v1
	v_cvt_f32_f16_e32 v29, v0
.LBB282_598:                            ;   in Loop: Header=BB282_552 Depth=1
	s_or_b64 exec, exec, s[6:7]
	v_lshrrev_b32_e32 v6, 24, v26
	v_cmp_lt_i16_e64 s[0:1], s17, v6
	s_mov_b64 s[6:7], 0
                                        ; implicit-def: $sgpr26
	s_and_saveexec_b64 s[8:9], s[0:1]
	s_xor_b64 s[8:9], exec, s[8:9]
	s_cbranch_execnz .LBB282_868
; %bb.599:                              ;   in Loop: Header=BB282_552 Depth=1
	s_or_saveexec_b64 s[8:9], s[8:9]
	v_mov_b32_e32 v31, s26
	s_xor_b64 exec, exec, s[8:9]
	s_cbranch_execnz .LBB282_871
.LBB282_600:                            ;   in Loop: Header=BB282_552 Depth=1
	s_or_b64 exec, exec, s[8:9]
	s_and_saveexec_b64 s[8:9], s[6:7]
	s_cbranch_execz .LBB282_602
.LBB282_601:                            ;   in Loop: Header=BB282_552 Depth=1
	v_bfe_u32 v12, v26, 24, 3
	v_ffbh_u32_e32 v0, v12
	v_min_u32_e32 v18, 32, v0
	v_subrev_u32_e32 v0, 28, v18
	v_bfe_u32 v17, v26, 27, 4
	v_lshlrev_b64 v[0:1], v0, v[6:7]
	v_sub_u32_e32 v1, 29, v18
	v_cmp_eq_u32_e64 s[0:1], 0, v17
	v_and_b32_e32 v0, 7, v0
	v_lshlrev_b32_e32 v6, 8, v6
	v_cndmask_b32_e64 v1, v17, v1, s[0:1]
	v_lshl_add_u32 v1, v1, 10, v49
	v_cndmask_b32_e64 v0, v12, v0, s[0:1]
	v_and_or_b32 v1, v6, s21, v1
	v_lshl_or_b32 v0, v0, 7, v1
	v_cvt_f32_f16_e32 v31, v0
.LBB282_602:                            ;   in Loop: Header=BB282_552 Depth=1
	s_or_b64 exec, exec, s[8:9]
	v_cmp_gt_i16_sdwa s[6:7], v27, s17 src0_sel:BYTE_0 src1_sel:DWORD
	s_mov_b64 s[0:1], 0
                                        ; implicit-def: $sgpr18
	s_and_saveexec_b64 s[8:9], s[6:7]
	s_xor_b64 s[6:7], exec, s[8:9]
	s_cbranch_execnz .LBB282_872
; %bb.603:                              ;   in Loop: Header=BB282_552 Depth=1
	s_or_saveexec_b64 s[6:7], s[6:7]
	v_mov_b32_e32 v0, s18
	s_xor_b64 exec, exec, s[6:7]
	s_cbranch_execnz .LBB282_875
.LBB282_604:                            ;   in Loop: Header=BB282_552 Depth=1
	s_or_b64 exec, exec, s[6:7]
	v_mov_b32_e32 v6, v27
	s_and_saveexec_b64 s[6:7], s[0:1]
	s_cbranch_execz .LBB282_606
.LBB282_605:                            ;   in Loop: Header=BB282_552 Depth=1
	v_and_b32_e32 v0, 7, v27
	v_ffbh_u32_e32 v0, v0
	v_bfe_u32 v1, v27, 3, 4
	v_min_u32_e32 v0, 32, v0
	v_subrev_u32_e32 v12, 28, v0
	v_sub_u32_e32 v0, 29, v0
	v_cmp_eq_u32_e64 s[0:1], 0, v1
	s_nop 1
	v_cndmask_b32_e64 v17, v1, v0, s[0:1]
	v_cndmask_b32_e64 v0, 0, v12, s[0:1]
	v_lshlrev_b64 v[0:1], v0, v[6:7]
	v_lshlrev_b32_e32 v1, 8, v27
	v_lshl_add_u32 v12, v17, 10, v49
	v_lshlrev_b32_e32 v0, 7, v0
	v_and_or_b32 v1, v1, s21, v12
	v_and_or_b32 v0, v0, s22, v1
	v_cvt_f32_f16_e32 v0, v0
.LBB282_606:                            ;   in Loop: Header=BB282_552 Depth=1
	s_or_b64 exec, exec, s[6:7]
	v_lshrrev_b16_e32 v6, 8, v6
	v_cmp_lt_i16_e64 s[0:1], s17, v6
	s_mov_b64 s[6:7], 0
                                        ; implicit-def: $sgpr26
	s_and_saveexec_b64 s[8:9], s[0:1]
	s_xor_b64 s[8:9], exec, s[8:9]
	s_cbranch_execnz .LBB282_876
; %bb.607:                              ;   in Loop: Header=BB282_552 Depth=1
	s_or_saveexec_b64 s[8:9], s[8:9]
	v_mov_b32_e32 v1, s26
	s_xor_b64 exec, exec, s[8:9]
	s_cbranch_execnz .LBB282_879
.LBB282_608:                            ;   in Loop: Header=BB282_552 Depth=1
	s_or_b64 exec, exec, s[8:9]
	s_and_saveexec_b64 s[8:9], s[6:7]
	s_cbranch_execz .LBB282_610
.LBB282_609:                            ;   in Loop: Header=BB282_552 Depth=1
	v_and_b32_e32 v1, 7, v6
	v_ffbh_u32_e32 v17, v1
	v_bfe_u32 v12, v6, 3, 4
	v_min_u32_e32 v17, 32, v17
	v_subrev_u32_e32 v18, 28, v17
	v_sub_u32_e32 v17, 29, v17
	v_cmp_eq_u32_e64 s[0:1], 0, v12
	v_lshlrev_b64 v[22:23], v18, v[6:7]
	v_and_b32_e32 v18, 7, v22
	v_cndmask_b32_e64 v12, v12, v17, s[0:1]
	v_lshlrev_b32_e32 v6, 8, v6
	v_lshl_add_u32 v12, v12, 10, v49
	v_cndmask_b32_e64 v1, v1, v18, s[0:1]
	v_and_or_b32 v6, v6, s21, v12
	v_lshl_or_b32 v1, v1, 7, v6
	v_cvt_f32_f16_e32 v1, v1
.LBB282_610:                            ;   in Loop: Header=BB282_552 Depth=1
	s_or_b64 exec, exec, s[8:9]
	v_lshrrev_b32_e32 v6, 16, v27
	v_cmp_gt_i16_sdwa s[6:7], v6, s17 src0_sel:BYTE_0 src1_sel:DWORD
	s_mov_b64 s[0:1], 0
                                        ; implicit-def: $sgpr18
	s_and_saveexec_b64 s[8:9], s[6:7]
	s_xor_b64 s[6:7], exec, s[8:9]
	s_cbranch_execnz .LBB282_880
; %bb.611:                              ;   in Loop: Header=BB282_552 Depth=1
	s_or_saveexec_b64 s[6:7], s[6:7]
	v_mov_b32_e32 v17, s18
	s_xor_b64 exec, exec, s[6:7]
	s_cbranch_execnz .LBB282_883
.LBB282_612:                            ;   in Loop: Header=BB282_552 Depth=1
	s_or_b64 exec, exec, s[6:7]
	s_and_saveexec_b64 s[6:7], s[0:1]
	s_cbranch_execz .LBB282_614
.LBB282_613:                            ;   in Loop: Header=BB282_552 Depth=1
	v_bfe_u32 v12, v27, 16, 3
	v_ffbh_u32_e32 v18, v12
	v_bfe_u32 v17, v27, 19, 4
	v_min_u32_e32 v18, 32, v18
	v_subrev_u32_e32 v22, 28, v18
	v_sub_u32_e32 v18, 29, v18
	v_cmp_eq_u32_e64 s[0:1], 0, v17
	v_lshlrev_b64 v[22:23], v22, v[6:7]
	v_and_b32_e32 v22, 7, v22
	v_cndmask_b32_e64 v17, v17, v18, s[0:1]
	v_lshlrev_b32_e32 v6, 8, v6
	v_lshl_add_u32 v17, v17, 10, v49
	v_cndmask_b32_e64 v12, v12, v22, s[0:1]
	v_and_or_b32 v6, v6, s21, v17
	v_lshl_or_b32 v6, v12, 7, v6
	v_cvt_f32_f16_e32 v17, v6
.LBB282_614:                            ;   in Loop: Header=BB282_552 Depth=1
	s_or_b64 exec, exec, s[6:7]
	v_lshrrev_b32_e32 v6, 24, v27
	v_cmp_lt_i16_e64 s[0:1], s17, v6
	s_mov_b64 s[6:7], 0
                                        ; implicit-def: $sgpr26
	s_and_saveexec_b64 s[8:9], s[0:1]
	s_xor_b64 s[8:9], exec, s[8:9]
	s_cbranch_execnz .LBB282_884
; %bb.615:                              ;   in Loop: Header=BB282_552 Depth=1
	s_or_saveexec_b64 s[8:9], s[8:9]
	v_mov_b32_e32 v22, s26
	s_xor_b64 exec, exec, s[8:9]
	s_cbranch_execnz .LBB282_887
.LBB282_616:                            ;   in Loop: Header=BB282_552 Depth=1
	s_or_b64 exec, exec, s[8:9]
	s_and_saveexec_b64 s[8:9], s[6:7]
	s_cbranch_execz .LBB282_618
.LBB282_617:                            ;   in Loop: Header=BB282_552 Depth=1
	v_bfe_u32 v12, v27, 24, 3
	v_ffbh_u32_e32 v22, v12
	v_min_u32_e32 v26, 32, v22
	v_subrev_u32_e32 v22, 28, v26
	v_bfe_u32 v18, v27, 27, 4
	v_lshlrev_b64 v[22:23], v22, v[6:7]
	v_sub_u32_e32 v23, 29, v26
	v_cmp_eq_u32_e64 s[0:1], 0, v18
	v_and_b32_e32 v22, 7, v22
	v_lshlrev_b32_e32 v6, 8, v6
	v_cndmask_b32_e64 v18, v18, v23, s[0:1]
	v_lshl_add_u32 v18, v18, 10, v49
	v_cndmask_b32_e64 v12, v12, v22, s[0:1]
	v_and_or_b32 v6, v6, s21, v18
	v_lshl_or_b32 v6, v12, 7, v6
	v_cvt_f32_f16_e32 v22, v6
.LBB282_618:                            ;   in Loop: Header=BB282_552 Depth=1
	s_or_b64 exec, exec, s[8:9]
	v_pk_mul_f32 v[26:27], v[16:17], v[30:31] op_sel_hi:[0,1]
	v_pk_mul_f32 v[28:29], v[16:17], v[28:29] op_sel_hi:[0,1]
	v_cvt_f16_f32_e32 v6, v27
	v_cvt_f16_f32_e32 v12, v26
	;; [unrolled: 1-line block ×4, first 2 shown]
	v_fma_mixlo_f16 v1, v16, v1, 0
	v_lshlrev_b32_e32 v1, 16, v1
	v_fma_mixlo_f16 v0, v16, v0, 0
	v_or_b32_sdwa v0, v1, v0 dst_sel:DWORD dst_unused:UNUSED_PAD src0_sel:DWORD src1_sel:WORD_0
	v_fma_mixlo_f16 v1, v16, v22, 0
	v_pack_b32_f16 v12, v12, v6
	v_pack_b32_f16 v18, v23, v18
	v_fma_mixlo_f16 v17, v16, v17, 0
	v_lshlrev_b32_e32 v1, 16, v1
	v_perm_b32 v6, v18, v12, s23
	v_perm_b32 v18, v18, v12, s24
	v_or_b32_sdwa v1, v1, v17 dst_sel:DWORD dst_unused:UNUSED_PAD src0_sel:DWORD src1_sel:WORD_0
	s_and_saveexec_b64 s[6:7], vcc
	s_cbranch_execz .LBB282_620
; %bb.619:                              ;   in Loop: Header=BB282_552 Depth=1
	v_lshrrev_b32_e32 v12, 16, v18
	v_cmp_lt_i32_e64 s[0:1], v44, v13
	v_accvgpr_read_b32 v22, a8
	v_lshrrev_b32_e32 v1, 16, v1
	v_cndmask_b32_e64 v12, 0, v12, s[0:1]
	v_cmp_lt_i32_e64 s[0:1], v39, v22
	s_nop 1
	v_cndmask_b32_e64 v16, 0, v18, s[0:1]
	v_perm_b32 v18, v12, v16, s25
	v_lshrrev_b32_e32 v12, 16, v6
	v_cmp_lt_i32_e64 s[0:1], v55, v13
	s_nop 1
	v_cndmask_b32_e64 v12, 0, v12, s[0:1]
	v_cmp_lt_i32_e64 s[0:1], v54, v22
	s_nop 1
	v_cndmask_b32_e64 v6, 0, v6, s[0:1]
	v_perm_b32 v6, v12, v6, s25
	v_lshrrev_b32_e32 v12, 16, v0
	v_cmp_lt_i32_e64 s[0:1], v53, v13
	s_nop 1
	v_cndmask_b32_e64 v12, 0, v12, s[0:1]
	v_cmp_lt_i32_e64 s[0:1], v52, v22
	s_nop 1
	v_cndmask_b32_e64 v0, 0, v0, s[0:1]
	v_cmp_lt_i32_e64 s[0:1], v51, v13
	v_perm_b32 v0, v12, v0, s25
	s_nop 0
	v_cndmask_b32_e64 v1, 0, v1, s[0:1]
	v_cmp_lt_i32_e64 s[0:1], v50, v22
	s_nop 1
	v_cndmask_b32_e64 v12, 0, v17, s[0:1]
	v_perm_b32 v1, v1, v12, s25
.LBB282_620:                            ;   in Loop: Header=BB282_552 Depth=1
	s_or_b64 exec, exec, s[6:7]
	;;#ASMSTART
	v_pk_mul_f16 v12, v40, v18;

	;;#ASMEND
	;;#ASMSTART
	v_pk_mul_f16 v6, v41, v6;

	;;#ASMEND
	;; [unrolled: 4-line block ×4, first 2 shown]
	s_mov_b64 s[0:1], 0
	;;#ASMSTART
	v_pk_add_f16 v6, v12, v6;

	;;#ASMEND
                                        ; implicit-def: $sgpr18
	s_nop 0
	;;#ASMSTART
	v_pk_add_f16 v0, v6, v0;

	;;#ASMEND
	s_nop 0
	;;#ASMSTART
	v_pk_add_f16 v0, v0, v1;

	;;#ASMEND
	s_nop 0
	v_lshrrev_b32_e32 v1, 16, v0
	v_and_b32_e32 v0, 0xffff, v0
	;;#ASMSTART
	v_cvt_f32_f16 v47, v0;
	;;#ASMEND
	;;#ASMSTART
	v_cvt_f32_f16 v56, v1;
	;;#ASMEND
	v_accvgpr_read_b32 v0, a4
	flat_load_dwordx2 v[26:27], v[10:11] offset:1024
	v_accvgpr_read_b32 v1, a5
	flat_load_dword v16, v[0:1]
	s_waitcnt vmcnt(0) lgkmcnt(0)
	v_cmp_gt_i16_sdwa s[6:7], v26, s17 src0_sel:BYTE_0 src1_sel:DWORD
	s_and_saveexec_b64 s[8:9], s[6:7]
	s_xor_b64 s[6:7], exec, s[8:9]
	s_cbranch_execnz .LBB282_888
; %bb.621:                              ;   in Loop: Header=BB282_552 Depth=1
	s_or_saveexec_b64 s[6:7], s[6:7]
	v_mov_b32_e32 v28, s18
	s_xor_b64 exec, exec, s[6:7]
	s_cbranch_execnz .LBB282_891
.LBB282_622:                            ;   in Loop: Header=BB282_552 Depth=1
	s_or_b64 exec, exec, s[6:7]
	s_and_saveexec_b64 s[6:7], s[0:1]
	s_cbranch_execz .LBB282_624
.LBB282_623:                            ;   in Loop: Header=BB282_552 Depth=1
	v_and_b32_e32 v0, 7, v26
	v_ffbh_u32_e32 v0, v0
	v_bfe_u32 v1, v26, 3, 4
	v_min_u32_e32 v0, 32, v0
	v_subrev_u32_e32 v6, 28, v0
	v_sub_u32_e32 v0, 29, v0
	v_cmp_eq_u32_e64 s[0:1], 0, v1
	s_nop 1
	v_cndmask_b32_e64 v12, v1, v0, s[0:1]
	v_cndmask_b32_e64 v0, 0, v6, s[0:1]
	v_lshlrev_b64 v[0:1], v0, v[26:27]
	v_lshlrev_b32_e32 v1, 8, v26
	v_lshl_add_u32 v6, v12, 10, v49
	v_lshlrev_b32_e32 v0, 7, v0
	v_and_or_b32 v1, v1, s21, v6
	v_and_or_b32 v0, v0, s22, v1
	v_cvt_f32_f16_e32 v28, v0
.LBB282_624:                            ;   in Loop: Header=BB282_552 Depth=1
	s_or_b64 exec, exec, s[6:7]
	v_lshrrev_b16_e32 v6, 8, v26
	v_cmp_lt_i16_e64 s[0:1], s17, v6
	s_mov_b64 s[6:7], 0
                                        ; implicit-def: $sgpr26
	s_and_saveexec_b64 s[8:9], s[0:1]
	s_xor_b64 s[8:9], exec, s[8:9]
	s_cbranch_execnz .LBB282_892
; %bb.625:                              ;   in Loop: Header=BB282_552 Depth=1
	s_or_saveexec_b64 s[8:9], s[8:9]
	v_mov_b32_e32 v30, s26
	s_xor_b64 exec, exec, s[8:9]
	s_cbranch_execnz .LBB282_895
.LBB282_626:                            ;   in Loop: Header=BB282_552 Depth=1
	s_or_b64 exec, exec, s[8:9]
	s_and_saveexec_b64 s[8:9], s[6:7]
	s_cbranch_execz .LBB282_628
.LBB282_627:                            ;   in Loop: Header=BB282_552 Depth=1
	v_and_b32_e32 v12, 7, v6
	v_ffbh_u32_e32 v0, v12
	v_min_u32_e32 v18, 32, v0
	v_subrev_u32_e32 v0, 28, v18
	v_bfe_u32 v17, v6, 3, 4
	v_lshlrev_b64 v[0:1], v0, v[6:7]
	v_sub_u32_e32 v1, 29, v18
	v_cmp_eq_u32_e64 s[0:1], 0, v17
	v_and_b32_e32 v0, 7, v0
	v_lshlrev_b32_e32 v6, 8, v6
	v_cndmask_b32_e64 v1, v17, v1, s[0:1]
	v_lshl_add_u32 v1, v1, 10, v49
	v_cndmask_b32_e64 v0, v12, v0, s[0:1]
	v_and_or_b32 v1, v6, s21, v1
	v_lshl_or_b32 v0, v0, 7, v1
	v_cvt_f32_f16_e32 v30, v0
.LBB282_628:                            ;   in Loop: Header=BB282_552 Depth=1
	s_or_b64 exec, exec, s[8:9]
	v_lshrrev_b32_e32 v6, 16, v26
	v_cmp_gt_i16_sdwa s[6:7], v6, s17 src0_sel:BYTE_0 src1_sel:DWORD
	s_mov_b64 s[0:1], 0
                                        ; implicit-def: $sgpr18
	s_and_saveexec_b64 s[8:9], s[6:7]
	s_xor_b64 s[6:7], exec, s[8:9]
	s_cbranch_execnz .LBB282_896
; %bb.629:                              ;   in Loop: Header=BB282_552 Depth=1
	s_or_saveexec_b64 s[6:7], s[6:7]
	v_mov_b32_e32 v29, s18
	s_xor_b64 exec, exec, s[6:7]
	s_cbranch_execnz .LBB282_899
.LBB282_630:                            ;   in Loop: Header=BB282_552 Depth=1
	s_or_b64 exec, exec, s[6:7]
	s_and_saveexec_b64 s[6:7], s[0:1]
	s_cbranch_execz .LBB282_632
.LBB282_631:                            ;   in Loop: Header=BB282_552 Depth=1
	v_bfe_u32 v12, v26, 16, 3
	v_ffbh_u32_e32 v0, v12
	v_min_u32_e32 v18, 32, v0
	v_subrev_u32_e32 v0, 28, v18
	v_bfe_u32 v17, v26, 19, 4
	v_lshlrev_b64 v[0:1], v0, v[6:7]
	v_sub_u32_e32 v1, 29, v18
	v_cmp_eq_u32_e64 s[0:1], 0, v17
	v_and_b32_e32 v0, 7, v0
	v_lshlrev_b32_e32 v6, 8, v6
	v_cndmask_b32_e64 v1, v17, v1, s[0:1]
	v_lshl_add_u32 v1, v1, 10, v49
	v_cndmask_b32_e64 v0, v12, v0, s[0:1]
	v_and_or_b32 v1, v6, s21, v1
	v_lshl_or_b32 v0, v0, 7, v1
	v_cvt_f32_f16_e32 v29, v0
.LBB282_632:                            ;   in Loop: Header=BB282_552 Depth=1
	s_or_b64 exec, exec, s[6:7]
	v_lshrrev_b32_e32 v6, 24, v26
	v_cmp_lt_i16_e64 s[0:1], s17, v6
	s_mov_b64 s[6:7], 0
                                        ; implicit-def: $sgpr26
	s_and_saveexec_b64 s[8:9], s[0:1]
	s_xor_b64 s[8:9], exec, s[8:9]
	s_cbranch_execnz .LBB282_900
; %bb.633:                              ;   in Loop: Header=BB282_552 Depth=1
	s_or_saveexec_b64 s[8:9], s[8:9]
	v_mov_b32_e32 v31, s26
	s_xor_b64 exec, exec, s[8:9]
	s_cbranch_execnz .LBB282_903
.LBB282_634:                            ;   in Loop: Header=BB282_552 Depth=1
	s_or_b64 exec, exec, s[8:9]
	s_and_saveexec_b64 s[8:9], s[6:7]
	s_cbranch_execz .LBB282_636
.LBB282_635:                            ;   in Loop: Header=BB282_552 Depth=1
	v_bfe_u32 v12, v26, 24, 3
	v_ffbh_u32_e32 v0, v12
	v_min_u32_e32 v18, 32, v0
	v_subrev_u32_e32 v0, 28, v18
	v_bfe_u32 v17, v26, 27, 4
	v_lshlrev_b64 v[0:1], v0, v[6:7]
	v_sub_u32_e32 v1, 29, v18
	v_cmp_eq_u32_e64 s[0:1], 0, v17
	v_and_b32_e32 v0, 7, v0
	v_lshlrev_b32_e32 v6, 8, v6
	v_cndmask_b32_e64 v1, v17, v1, s[0:1]
	v_lshl_add_u32 v1, v1, 10, v49
	v_cndmask_b32_e64 v0, v12, v0, s[0:1]
	v_and_or_b32 v1, v6, s21, v1
	v_lshl_or_b32 v0, v0, 7, v1
	v_cvt_f32_f16_e32 v31, v0
.LBB282_636:                            ;   in Loop: Header=BB282_552 Depth=1
	s_or_b64 exec, exec, s[8:9]
	v_cmp_gt_i16_sdwa s[6:7], v27, s17 src0_sel:BYTE_0 src1_sel:DWORD
	s_mov_b64 s[0:1], 0
                                        ; implicit-def: $sgpr18
	s_and_saveexec_b64 s[8:9], s[6:7]
	s_xor_b64 s[6:7], exec, s[8:9]
	s_cbranch_execnz .LBB282_904
; %bb.637:                              ;   in Loop: Header=BB282_552 Depth=1
	s_or_saveexec_b64 s[6:7], s[6:7]
	v_mov_b32_e32 v0, s18
	s_xor_b64 exec, exec, s[6:7]
	s_cbranch_execnz .LBB282_907
.LBB282_638:                            ;   in Loop: Header=BB282_552 Depth=1
	s_or_b64 exec, exec, s[6:7]
	v_mov_b32_e32 v6, v27
	s_and_saveexec_b64 s[6:7], s[0:1]
	s_cbranch_execz .LBB282_640
.LBB282_639:                            ;   in Loop: Header=BB282_552 Depth=1
	v_and_b32_e32 v0, 7, v27
	v_ffbh_u32_e32 v0, v0
	v_bfe_u32 v1, v27, 3, 4
	v_min_u32_e32 v0, 32, v0
	v_subrev_u32_e32 v12, 28, v0
	v_sub_u32_e32 v0, 29, v0
	v_cmp_eq_u32_e64 s[0:1], 0, v1
	s_nop 1
	v_cndmask_b32_e64 v17, v1, v0, s[0:1]
	v_cndmask_b32_e64 v0, 0, v12, s[0:1]
	v_lshlrev_b64 v[0:1], v0, v[6:7]
	v_lshlrev_b32_e32 v1, 8, v27
	v_lshl_add_u32 v12, v17, 10, v49
	v_lshlrev_b32_e32 v0, 7, v0
	v_and_or_b32 v1, v1, s21, v12
	v_and_or_b32 v0, v0, s22, v1
	v_cvt_f32_f16_e32 v0, v0
.LBB282_640:                            ;   in Loop: Header=BB282_552 Depth=1
	s_or_b64 exec, exec, s[6:7]
	v_lshrrev_b16_e32 v6, 8, v6
	v_cmp_lt_i16_e64 s[0:1], s17, v6
	s_mov_b64 s[6:7], 0
                                        ; implicit-def: $sgpr26
	s_and_saveexec_b64 s[8:9], s[0:1]
	s_xor_b64 s[8:9], exec, s[8:9]
	s_cbranch_execnz .LBB282_908
; %bb.641:                              ;   in Loop: Header=BB282_552 Depth=1
	s_or_saveexec_b64 s[8:9], s[8:9]
	v_mov_b32_e32 v1, s26
	s_xor_b64 exec, exec, s[8:9]
	s_cbranch_execnz .LBB282_911
.LBB282_642:                            ;   in Loop: Header=BB282_552 Depth=1
	s_or_b64 exec, exec, s[8:9]
	s_and_saveexec_b64 s[8:9], s[6:7]
	s_cbranch_execz .LBB282_644
.LBB282_643:                            ;   in Loop: Header=BB282_552 Depth=1
	v_and_b32_e32 v1, 7, v6
	v_ffbh_u32_e32 v17, v1
	v_bfe_u32 v12, v6, 3, 4
	v_min_u32_e32 v17, 32, v17
	v_subrev_u32_e32 v18, 28, v17
	v_sub_u32_e32 v17, 29, v17
	v_cmp_eq_u32_e64 s[0:1], 0, v12
	v_lshlrev_b64 v[22:23], v18, v[6:7]
	v_and_b32_e32 v18, 7, v22
	v_cndmask_b32_e64 v12, v12, v17, s[0:1]
	v_lshlrev_b32_e32 v6, 8, v6
	v_lshl_add_u32 v12, v12, 10, v49
	v_cndmask_b32_e64 v1, v1, v18, s[0:1]
	v_and_or_b32 v6, v6, s21, v12
	v_lshl_or_b32 v1, v1, 7, v6
	v_cvt_f32_f16_e32 v1, v1
.LBB282_644:                            ;   in Loop: Header=BB282_552 Depth=1
	s_or_b64 exec, exec, s[8:9]
	v_lshrrev_b32_e32 v6, 16, v27
	v_cmp_gt_i16_sdwa s[6:7], v6, s17 src0_sel:BYTE_0 src1_sel:DWORD
	s_mov_b64 s[0:1], 0
                                        ; implicit-def: $sgpr18
	s_and_saveexec_b64 s[8:9], s[6:7]
	s_xor_b64 s[6:7], exec, s[8:9]
	s_cbranch_execnz .LBB282_912
; %bb.645:                              ;   in Loop: Header=BB282_552 Depth=1
	s_or_saveexec_b64 s[6:7], s[6:7]
	v_mov_b32_e32 v17, s18
	s_xor_b64 exec, exec, s[6:7]
	s_cbranch_execnz .LBB282_915
.LBB282_646:                            ;   in Loop: Header=BB282_552 Depth=1
	s_or_b64 exec, exec, s[6:7]
	s_and_saveexec_b64 s[6:7], s[0:1]
	s_cbranch_execz .LBB282_648
.LBB282_647:                            ;   in Loop: Header=BB282_552 Depth=1
	v_bfe_u32 v12, v27, 16, 3
	v_ffbh_u32_e32 v18, v12
	v_bfe_u32 v17, v27, 19, 4
	v_min_u32_e32 v18, 32, v18
	v_subrev_u32_e32 v22, 28, v18
	v_sub_u32_e32 v18, 29, v18
	v_cmp_eq_u32_e64 s[0:1], 0, v17
	v_lshlrev_b64 v[22:23], v22, v[6:7]
	v_and_b32_e32 v22, 7, v22
	v_cndmask_b32_e64 v17, v17, v18, s[0:1]
	v_lshlrev_b32_e32 v6, 8, v6
	v_lshl_add_u32 v17, v17, 10, v49
	v_cndmask_b32_e64 v12, v12, v22, s[0:1]
	v_and_or_b32 v6, v6, s21, v17
	v_lshl_or_b32 v6, v12, 7, v6
	v_cvt_f32_f16_e32 v17, v6
.LBB282_648:                            ;   in Loop: Header=BB282_552 Depth=1
	s_or_b64 exec, exec, s[6:7]
	v_lshrrev_b32_e32 v6, 24, v27
	v_cmp_lt_i16_e64 s[0:1], s17, v6
	s_mov_b64 s[6:7], 0
                                        ; implicit-def: $sgpr26
	s_and_saveexec_b64 s[8:9], s[0:1]
	s_xor_b64 s[8:9], exec, s[8:9]
	s_cbranch_execnz .LBB282_916
; %bb.649:                              ;   in Loop: Header=BB282_552 Depth=1
	s_or_saveexec_b64 s[8:9], s[8:9]
	v_mov_b32_e32 v22, s26
	s_xor_b64 exec, exec, s[8:9]
	s_cbranch_execnz .LBB282_919
.LBB282_650:                            ;   in Loop: Header=BB282_552 Depth=1
	s_or_b64 exec, exec, s[8:9]
	s_and_saveexec_b64 s[8:9], s[6:7]
	s_cbranch_execz .LBB282_652
.LBB282_651:                            ;   in Loop: Header=BB282_552 Depth=1
	v_bfe_u32 v12, v27, 24, 3
	v_ffbh_u32_e32 v22, v12
	v_min_u32_e32 v26, 32, v22
	v_subrev_u32_e32 v22, 28, v26
	v_bfe_u32 v18, v27, 27, 4
	v_lshlrev_b64 v[22:23], v22, v[6:7]
	v_sub_u32_e32 v23, 29, v26
	v_cmp_eq_u32_e64 s[0:1], 0, v18
	v_and_b32_e32 v22, 7, v22
	v_lshlrev_b32_e32 v6, 8, v6
	v_cndmask_b32_e64 v18, v18, v23, s[0:1]
	v_lshl_add_u32 v18, v18, 10, v49
	v_cndmask_b32_e64 v12, v12, v22, s[0:1]
	v_and_or_b32 v6, v6, s21, v18
	v_lshl_or_b32 v6, v12, 7, v6
	v_cvt_f32_f16_e32 v22, v6
.LBB282_652:                            ;   in Loop: Header=BB282_552 Depth=1
	s_or_b64 exec, exec, s[8:9]
	v_pk_mul_f32 v[26:27], v[16:17], v[30:31] op_sel_hi:[0,1]
	v_pk_mul_f32 v[28:29], v[16:17], v[28:29] op_sel_hi:[0,1]
	v_cvt_f16_f32_e32 v6, v27
	v_cvt_f16_f32_e32 v12, v26
	;; [unrolled: 1-line block ×4, first 2 shown]
	v_fma_mixlo_f16 v1, v16, v1, 0
	v_lshlrev_b32_e32 v1, 16, v1
	v_fma_mixlo_f16 v0, v16, v0, 0
	v_or_b32_sdwa v0, v1, v0 dst_sel:DWORD dst_unused:UNUSED_PAD src0_sel:DWORD src1_sel:WORD_0
	v_fma_mixlo_f16 v1, v16, v22, 0
	v_pack_b32_f16 v12, v12, v6
	v_pack_b32_f16 v18, v23, v18
	v_fma_mixlo_f16 v17, v16, v17, 0
	v_lshlrev_b32_e32 v1, 16, v1
	v_perm_b32 v6, v18, v12, s23
	v_perm_b32 v18, v18, v12, s24
	v_or_b32_sdwa v1, v1, v17 dst_sel:DWORD dst_unused:UNUSED_PAD src0_sel:DWORD src1_sel:WORD_0
	s_and_saveexec_b64 s[6:7], vcc
	s_cbranch_execz .LBB282_654
; %bb.653:                              ;   in Loop: Header=BB282_552 Depth=1
	v_lshrrev_b32_e32 v12, 16, v18
	v_cmp_lt_i32_e64 s[0:1], v44, v13
	v_accvgpr_read_b32 v22, a8
	v_lshrrev_b32_e32 v1, 16, v1
	v_cndmask_b32_e64 v12, 0, v12, s[0:1]
	v_cmp_lt_i32_e64 s[0:1], v39, v22
	s_nop 1
	v_cndmask_b32_e64 v16, 0, v18, s[0:1]
	v_perm_b32 v18, v12, v16, s25
	v_lshrrev_b32_e32 v12, 16, v6
	v_cmp_lt_i32_e64 s[0:1], v55, v13
	s_nop 1
	v_cndmask_b32_e64 v12, 0, v12, s[0:1]
	v_cmp_lt_i32_e64 s[0:1], v54, v22
	s_nop 1
	v_cndmask_b32_e64 v6, 0, v6, s[0:1]
	v_perm_b32 v6, v12, v6, s25
	v_lshrrev_b32_e32 v12, 16, v0
	v_cmp_lt_i32_e64 s[0:1], v53, v13
	s_nop 1
	v_cndmask_b32_e64 v12, 0, v12, s[0:1]
	v_cmp_lt_i32_e64 s[0:1], v52, v22
	s_nop 1
	v_cndmask_b32_e64 v0, 0, v0, s[0:1]
	v_cmp_lt_i32_e64 s[0:1], v51, v13
	v_perm_b32 v0, v12, v0, s25
	s_nop 0
	v_cndmask_b32_e64 v1, 0, v1, s[0:1]
	v_cmp_lt_i32_e64 s[0:1], v50, v22
	s_nop 1
	v_cndmask_b32_e64 v12, 0, v17, s[0:1]
	v_perm_b32 v1, v1, v12, s25
.LBB282_654:                            ;   in Loop: Header=BB282_552 Depth=1
	s_or_b64 exec, exec, s[6:7]
	;;#ASMSTART
	v_pk_mul_f16 v12, v40, v18;

	;;#ASMEND
	;;#ASMSTART
	v_pk_mul_f16 v6, v41, v6;

	;;#ASMEND
	;; [unrolled: 4-line block ×4, first 2 shown]
	s_mov_b64 s[0:1], 0
	;;#ASMSTART
	v_pk_add_f16 v6, v12, v6;

	;;#ASMEND
                                        ; implicit-def: $sgpr18
	s_nop 0
	;;#ASMSTART
	v_pk_add_f16 v0, v6, v0;

	;;#ASMEND
	s_nop 0
	;;#ASMSTART
	v_pk_add_f16 v0, v0, v1;

	;;#ASMEND
	s_nop 0
	v_lshrrev_b32_e32 v1, 16, v0
	v_and_b32_e32 v0, 0xffff, v0
	;;#ASMSTART
	v_cvt_f32_f16 v57, v0;
	;;#ASMEND
	;;#ASMSTART
	v_cvt_f32_f16 v58, v1;
	;;#ASMEND
	v_accvgpr_read_b32 v0, a4
	flat_load_dwordx2 v[26:27], v[10:11] offset:1536
	v_accvgpr_read_b32 v1, a5
	flat_load_dword v16, v[0:1]
	s_waitcnt vmcnt(0) lgkmcnt(0)
	v_cmp_gt_i16_sdwa s[6:7], v26, s17 src0_sel:BYTE_0 src1_sel:DWORD
	s_and_saveexec_b64 s[8:9], s[6:7]
	s_xor_b64 s[6:7], exec, s[8:9]
	s_cbranch_execnz .LBB282_920
; %bb.655:                              ;   in Loop: Header=BB282_552 Depth=1
	s_or_saveexec_b64 s[6:7], s[6:7]
	v_mov_b32_e32 v28, s18
	s_xor_b64 exec, exec, s[6:7]
	s_cbranch_execnz .LBB282_923
.LBB282_656:                            ;   in Loop: Header=BB282_552 Depth=1
	s_or_b64 exec, exec, s[6:7]
	s_and_saveexec_b64 s[6:7], s[0:1]
	s_cbranch_execz .LBB282_658
.LBB282_657:                            ;   in Loop: Header=BB282_552 Depth=1
	v_and_b32_e32 v0, 7, v26
	v_ffbh_u32_e32 v0, v0
	v_bfe_u32 v1, v26, 3, 4
	v_min_u32_e32 v0, 32, v0
	v_subrev_u32_e32 v6, 28, v0
	v_sub_u32_e32 v0, 29, v0
	v_cmp_eq_u32_e64 s[0:1], 0, v1
	s_nop 1
	v_cndmask_b32_e64 v12, v1, v0, s[0:1]
	v_cndmask_b32_e64 v0, 0, v6, s[0:1]
	v_lshlrev_b64 v[0:1], v0, v[26:27]
	v_lshlrev_b32_e32 v1, 8, v26
	v_lshl_add_u32 v6, v12, 10, v49
	v_lshlrev_b32_e32 v0, 7, v0
	v_and_or_b32 v1, v1, s21, v6
	v_and_or_b32 v0, v0, s22, v1
	v_cvt_f32_f16_e32 v28, v0
.LBB282_658:                            ;   in Loop: Header=BB282_552 Depth=1
	s_or_b64 exec, exec, s[6:7]
	v_lshrrev_b16_e32 v6, 8, v26
	v_cmp_lt_i16_e64 s[0:1], s17, v6
	s_mov_b64 s[6:7], 0
                                        ; implicit-def: $sgpr26
	s_and_saveexec_b64 s[8:9], s[0:1]
	s_xor_b64 s[8:9], exec, s[8:9]
	s_cbranch_execnz .LBB282_924
; %bb.659:                              ;   in Loop: Header=BB282_552 Depth=1
	s_or_saveexec_b64 s[8:9], s[8:9]
	v_mov_b32_e32 v30, s26
	s_xor_b64 exec, exec, s[8:9]
	s_cbranch_execnz .LBB282_927
.LBB282_660:                            ;   in Loop: Header=BB282_552 Depth=1
	s_or_b64 exec, exec, s[8:9]
	s_and_saveexec_b64 s[8:9], s[6:7]
	s_cbranch_execz .LBB282_662
.LBB282_661:                            ;   in Loop: Header=BB282_552 Depth=1
	v_and_b32_e32 v12, 7, v6
	v_ffbh_u32_e32 v0, v12
	v_min_u32_e32 v18, 32, v0
	v_subrev_u32_e32 v0, 28, v18
	v_bfe_u32 v17, v6, 3, 4
	v_lshlrev_b64 v[0:1], v0, v[6:7]
	v_sub_u32_e32 v1, 29, v18
	v_cmp_eq_u32_e64 s[0:1], 0, v17
	v_and_b32_e32 v0, 7, v0
	v_lshlrev_b32_e32 v6, 8, v6
	v_cndmask_b32_e64 v1, v17, v1, s[0:1]
	v_lshl_add_u32 v1, v1, 10, v49
	v_cndmask_b32_e64 v0, v12, v0, s[0:1]
	v_and_or_b32 v1, v6, s21, v1
	v_lshl_or_b32 v0, v0, 7, v1
	v_cvt_f32_f16_e32 v30, v0
.LBB282_662:                            ;   in Loop: Header=BB282_552 Depth=1
	s_or_b64 exec, exec, s[8:9]
	v_lshrrev_b32_e32 v6, 16, v26
	v_cmp_gt_i16_sdwa s[6:7], v6, s17 src0_sel:BYTE_0 src1_sel:DWORD
	s_mov_b64 s[0:1], 0
                                        ; implicit-def: $sgpr18
	s_and_saveexec_b64 s[8:9], s[6:7]
	s_xor_b64 s[6:7], exec, s[8:9]
	s_cbranch_execnz .LBB282_928
; %bb.663:                              ;   in Loop: Header=BB282_552 Depth=1
	s_or_saveexec_b64 s[6:7], s[6:7]
	v_mov_b32_e32 v29, s18
	s_xor_b64 exec, exec, s[6:7]
	s_cbranch_execnz .LBB282_931
.LBB282_664:                            ;   in Loop: Header=BB282_552 Depth=1
	s_or_b64 exec, exec, s[6:7]
	s_and_saveexec_b64 s[6:7], s[0:1]
	s_cbranch_execz .LBB282_666
.LBB282_665:                            ;   in Loop: Header=BB282_552 Depth=1
	v_bfe_u32 v12, v26, 16, 3
	v_ffbh_u32_e32 v0, v12
	v_min_u32_e32 v18, 32, v0
	v_subrev_u32_e32 v0, 28, v18
	v_bfe_u32 v17, v26, 19, 4
	v_lshlrev_b64 v[0:1], v0, v[6:7]
	v_sub_u32_e32 v1, 29, v18
	v_cmp_eq_u32_e64 s[0:1], 0, v17
	v_and_b32_e32 v0, 7, v0
	v_lshlrev_b32_e32 v6, 8, v6
	v_cndmask_b32_e64 v1, v17, v1, s[0:1]
	v_lshl_add_u32 v1, v1, 10, v49
	v_cndmask_b32_e64 v0, v12, v0, s[0:1]
	v_and_or_b32 v1, v6, s21, v1
	v_lshl_or_b32 v0, v0, 7, v1
	v_cvt_f32_f16_e32 v29, v0
.LBB282_666:                            ;   in Loop: Header=BB282_552 Depth=1
	s_or_b64 exec, exec, s[6:7]
	v_lshrrev_b32_e32 v6, 24, v26
	v_cmp_lt_i16_e64 s[0:1], s17, v6
	s_mov_b64 s[6:7], 0
                                        ; implicit-def: $sgpr26
	s_and_saveexec_b64 s[8:9], s[0:1]
	s_xor_b64 s[8:9], exec, s[8:9]
	s_cbranch_execnz .LBB282_932
; %bb.667:                              ;   in Loop: Header=BB282_552 Depth=1
	s_or_saveexec_b64 s[8:9], s[8:9]
	v_mov_b32_e32 v31, s26
	s_xor_b64 exec, exec, s[8:9]
	s_cbranch_execnz .LBB282_935
.LBB282_668:                            ;   in Loop: Header=BB282_552 Depth=1
	s_or_b64 exec, exec, s[8:9]
	s_and_saveexec_b64 s[8:9], s[6:7]
	s_cbranch_execz .LBB282_670
.LBB282_669:                            ;   in Loop: Header=BB282_552 Depth=1
	v_bfe_u32 v12, v26, 24, 3
	v_ffbh_u32_e32 v0, v12
	v_min_u32_e32 v18, 32, v0
	v_subrev_u32_e32 v0, 28, v18
	v_bfe_u32 v17, v26, 27, 4
	v_lshlrev_b64 v[0:1], v0, v[6:7]
	v_sub_u32_e32 v1, 29, v18
	v_cmp_eq_u32_e64 s[0:1], 0, v17
	v_and_b32_e32 v0, 7, v0
	v_lshlrev_b32_e32 v6, 8, v6
	v_cndmask_b32_e64 v1, v17, v1, s[0:1]
	v_lshl_add_u32 v1, v1, 10, v49
	v_cndmask_b32_e64 v0, v12, v0, s[0:1]
	v_and_or_b32 v1, v6, s21, v1
	v_lshl_or_b32 v0, v0, 7, v1
	v_cvt_f32_f16_e32 v31, v0
.LBB282_670:                            ;   in Loop: Header=BB282_552 Depth=1
	s_or_b64 exec, exec, s[8:9]
	v_cmp_gt_i16_sdwa s[6:7], v27, s17 src0_sel:BYTE_0 src1_sel:DWORD
	s_mov_b64 s[0:1], 0
                                        ; implicit-def: $sgpr18
	s_and_saveexec_b64 s[8:9], s[6:7]
	s_xor_b64 s[6:7], exec, s[8:9]
	s_cbranch_execnz .LBB282_936
; %bb.671:                              ;   in Loop: Header=BB282_552 Depth=1
	s_or_saveexec_b64 s[6:7], s[6:7]
	v_mov_b32_e32 v0, s18
	s_xor_b64 exec, exec, s[6:7]
	s_cbranch_execnz .LBB282_939
.LBB282_672:                            ;   in Loop: Header=BB282_552 Depth=1
	s_or_b64 exec, exec, s[6:7]
	v_mov_b32_e32 v6, v27
	s_and_saveexec_b64 s[6:7], s[0:1]
	s_cbranch_execz .LBB282_674
.LBB282_673:                            ;   in Loop: Header=BB282_552 Depth=1
	v_and_b32_e32 v0, 7, v27
	v_ffbh_u32_e32 v0, v0
	v_bfe_u32 v1, v27, 3, 4
	v_min_u32_e32 v0, 32, v0
	v_subrev_u32_e32 v12, 28, v0
	v_sub_u32_e32 v0, 29, v0
	v_cmp_eq_u32_e64 s[0:1], 0, v1
	s_nop 1
	v_cndmask_b32_e64 v17, v1, v0, s[0:1]
	v_cndmask_b32_e64 v0, 0, v12, s[0:1]
	v_lshlrev_b64 v[0:1], v0, v[6:7]
	v_lshlrev_b32_e32 v1, 8, v27
	v_lshl_add_u32 v12, v17, 10, v49
	v_lshlrev_b32_e32 v0, 7, v0
	v_and_or_b32 v1, v1, s21, v12
	v_and_or_b32 v0, v0, s22, v1
	v_cvt_f32_f16_e32 v0, v0
.LBB282_674:                            ;   in Loop: Header=BB282_552 Depth=1
	s_or_b64 exec, exec, s[6:7]
	v_lshrrev_b16_e32 v6, 8, v6
	v_cmp_lt_i16_e64 s[0:1], s17, v6
	s_mov_b64 s[6:7], 0
                                        ; implicit-def: $sgpr26
	s_and_saveexec_b64 s[8:9], s[0:1]
	s_xor_b64 s[8:9], exec, s[8:9]
	s_cbranch_execnz .LBB282_940
; %bb.675:                              ;   in Loop: Header=BB282_552 Depth=1
	s_or_saveexec_b64 s[8:9], s[8:9]
	v_mov_b32_e32 v1, s26
	s_xor_b64 exec, exec, s[8:9]
	s_cbranch_execnz .LBB282_943
.LBB282_676:                            ;   in Loop: Header=BB282_552 Depth=1
	s_or_b64 exec, exec, s[8:9]
	s_and_saveexec_b64 s[8:9], s[6:7]
	s_cbranch_execz .LBB282_678
.LBB282_677:                            ;   in Loop: Header=BB282_552 Depth=1
	v_and_b32_e32 v1, 7, v6
	v_ffbh_u32_e32 v17, v1
	v_bfe_u32 v12, v6, 3, 4
	v_min_u32_e32 v17, 32, v17
	v_subrev_u32_e32 v18, 28, v17
	v_sub_u32_e32 v17, 29, v17
	v_cmp_eq_u32_e64 s[0:1], 0, v12
	v_lshlrev_b64 v[22:23], v18, v[6:7]
	v_and_b32_e32 v18, 7, v22
	v_cndmask_b32_e64 v12, v12, v17, s[0:1]
	v_lshlrev_b32_e32 v6, 8, v6
	v_lshl_add_u32 v12, v12, 10, v49
	v_cndmask_b32_e64 v1, v1, v18, s[0:1]
	v_and_or_b32 v6, v6, s21, v12
	v_lshl_or_b32 v1, v1, 7, v6
	v_cvt_f32_f16_e32 v1, v1
.LBB282_678:                            ;   in Loop: Header=BB282_552 Depth=1
	s_or_b64 exec, exec, s[8:9]
	v_lshrrev_b32_e32 v6, 16, v27
	v_cmp_gt_i16_sdwa s[6:7], v6, s17 src0_sel:BYTE_0 src1_sel:DWORD
	s_mov_b64 s[0:1], 0
                                        ; implicit-def: $sgpr18
	s_and_saveexec_b64 s[8:9], s[6:7]
	s_xor_b64 s[6:7], exec, s[8:9]
	s_cbranch_execnz .LBB282_944
; %bb.679:                              ;   in Loop: Header=BB282_552 Depth=1
	s_or_saveexec_b64 s[6:7], s[6:7]
	v_mov_b32_e32 v17, s18
	s_xor_b64 exec, exec, s[6:7]
	s_cbranch_execnz .LBB282_947
.LBB282_680:                            ;   in Loop: Header=BB282_552 Depth=1
	s_or_b64 exec, exec, s[6:7]
	s_and_saveexec_b64 s[6:7], s[0:1]
	s_cbranch_execz .LBB282_682
.LBB282_681:                            ;   in Loop: Header=BB282_552 Depth=1
	v_bfe_u32 v12, v27, 16, 3
	v_ffbh_u32_e32 v18, v12
	v_bfe_u32 v17, v27, 19, 4
	v_min_u32_e32 v18, 32, v18
	v_subrev_u32_e32 v22, 28, v18
	v_sub_u32_e32 v18, 29, v18
	v_cmp_eq_u32_e64 s[0:1], 0, v17
	v_lshlrev_b64 v[22:23], v22, v[6:7]
	v_and_b32_e32 v22, 7, v22
	v_cndmask_b32_e64 v17, v17, v18, s[0:1]
	v_lshlrev_b32_e32 v6, 8, v6
	v_lshl_add_u32 v17, v17, 10, v49
	v_cndmask_b32_e64 v12, v12, v22, s[0:1]
	v_and_or_b32 v6, v6, s21, v17
	v_lshl_or_b32 v6, v12, 7, v6
	v_cvt_f32_f16_e32 v17, v6
.LBB282_682:                            ;   in Loop: Header=BB282_552 Depth=1
	s_or_b64 exec, exec, s[6:7]
	v_lshrrev_b32_e32 v6, 24, v27
	v_cmp_lt_i16_e64 s[0:1], s17, v6
	s_mov_b64 s[6:7], 0
                                        ; implicit-def: $sgpr26
	s_and_saveexec_b64 s[8:9], s[0:1]
	s_xor_b64 s[8:9], exec, s[8:9]
	s_cbranch_execnz .LBB282_948
; %bb.683:                              ;   in Loop: Header=BB282_552 Depth=1
	s_or_saveexec_b64 s[8:9], s[8:9]
	v_mov_b32_e32 v22, s26
	s_xor_b64 exec, exec, s[8:9]
	s_cbranch_execnz .LBB282_951
.LBB282_684:                            ;   in Loop: Header=BB282_552 Depth=1
	s_or_b64 exec, exec, s[8:9]
	s_and_saveexec_b64 s[8:9], s[6:7]
	s_cbranch_execz .LBB282_686
.LBB282_685:                            ;   in Loop: Header=BB282_552 Depth=1
	v_bfe_u32 v12, v27, 24, 3
	v_ffbh_u32_e32 v22, v12
	v_min_u32_e32 v26, 32, v22
	v_subrev_u32_e32 v22, 28, v26
	v_bfe_u32 v18, v27, 27, 4
	v_lshlrev_b64 v[22:23], v22, v[6:7]
	v_sub_u32_e32 v23, 29, v26
	v_cmp_eq_u32_e64 s[0:1], 0, v18
	v_and_b32_e32 v22, 7, v22
	v_lshlrev_b32_e32 v6, 8, v6
	v_cndmask_b32_e64 v18, v18, v23, s[0:1]
	v_lshl_add_u32 v18, v18, 10, v49
	v_cndmask_b32_e64 v12, v12, v22, s[0:1]
	v_and_or_b32 v6, v6, s21, v18
	v_lshl_or_b32 v6, v12, 7, v6
	v_cvt_f32_f16_e32 v22, v6
.LBB282_686:                            ;   in Loop: Header=BB282_552 Depth=1
	s_or_b64 exec, exec, s[8:9]
	v_pk_mul_f32 v[26:27], v[16:17], v[30:31] op_sel_hi:[0,1]
	v_pk_mul_f32 v[28:29], v[16:17], v[28:29] op_sel_hi:[0,1]
	v_cvt_f16_f32_e32 v6, v27
	v_cvt_f16_f32_e32 v12, v26
	;; [unrolled: 1-line block ×4, first 2 shown]
	v_fma_mixlo_f16 v1, v16, v1, 0
	v_lshlrev_b32_e32 v1, 16, v1
	v_fma_mixlo_f16 v0, v16, v0, 0
	v_or_b32_sdwa v0, v1, v0 dst_sel:DWORD dst_unused:UNUSED_PAD src0_sel:DWORD src1_sel:WORD_0
	v_fma_mixlo_f16 v1, v16, v22, 0
	v_pack_b32_f16 v12, v12, v6
	v_pack_b32_f16 v18, v23, v18
	v_fma_mixlo_f16 v17, v16, v17, 0
	v_lshlrev_b32_e32 v1, 16, v1
	v_perm_b32 v6, v18, v12, s23
	v_perm_b32 v18, v18, v12, s24
	v_or_b32_sdwa v1, v1, v17 dst_sel:DWORD dst_unused:UNUSED_PAD src0_sel:DWORD src1_sel:WORD_0
	s_and_saveexec_b64 s[6:7], vcc
	s_cbranch_execz .LBB282_688
; %bb.687:                              ;   in Loop: Header=BB282_552 Depth=1
	v_lshrrev_b32_e32 v12, 16, v18
	v_cmp_lt_i32_e64 s[0:1], v44, v13
	v_accvgpr_read_b32 v22, a8
	v_lshrrev_b32_e32 v1, 16, v1
	v_cndmask_b32_e64 v12, 0, v12, s[0:1]
	v_cmp_lt_i32_e64 s[0:1], v39, v22
	s_nop 1
	v_cndmask_b32_e64 v16, 0, v18, s[0:1]
	v_perm_b32 v18, v12, v16, s25
	v_lshrrev_b32_e32 v12, 16, v6
	v_cmp_lt_i32_e64 s[0:1], v55, v13
	s_nop 1
	v_cndmask_b32_e64 v12, 0, v12, s[0:1]
	v_cmp_lt_i32_e64 s[0:1], v54, v22
	s_nop 1
	v_cndmask_b32_e64 v6, 0, v6, s[0:1]
	v_perm_b32 v6, v12, v6, s25
	v_lshrrev_b32_e32 v12, 16, v0
	v_cmp_lt_i32_e64 s[0:1], v53, v13
	s_nop 1
	v_cndmask_b32_e64 v12, 0, v12, s[0:1]
	v_cmp_lt_i32_e64 s[0:1], v52, v22
	s_nop 1
	v_cndmask_b32_e64 v0, 0, v0, s[0:1]
	v_cmp_lt_i32_e64 s[0:1], v51, v13
	v_perm_b32 v0, v12, v0, s25
	s_nop 0
	v_cndmask_b32_e64 v1, 0, v1, s[0:1]
	v_cmp_lt_i32_e64 s[0:1], v50, v22
	s_nop 1
	v_cndmask_b32_e64 v12, 0, v17, s[0:1]
	v_perm_b32 v1, v1, v12, s25
.LBB282_688:                            ;   in Loop: Header=BB282_552 Depth=1
	s_or_b64 exec, exec, s[6:7]
	;;#ASMSTART
	v_pk_mul_f16 v12, v40, v18;

	;;#ASMEND
	;;#ASMSTART
	v_pk_mul_f16 v6, v41, v6;

	;;#ASMEND
	;; [unrolled: 4-line block ×4, first 2 shown]
	v_accvgpr_read_b32 v17, a5
	;;#ASMSTART
	v_pk_add_f16 v6, v12, v6;

	;;#ASMEND
	v_accvgpr_read_b32 v16, a4
	;;#ASMSTART
	v_pk_add_f16 v0, v6, v0;

	;;#ASMEND
	s_mov_b64 s[0:1], 0
	;;#ASMSTART
	v_pk_add_f16 v0, v0, v1;

	;;#ASMEND
                                        ; implicit-def: $sgpr18
	s_nop 0
	v_lshrrev_b32_e32 v1, 16, v0
	v_and_b32_e32 v0, 0xffff, v0
	;;#ASMSTART
	v_cvt_f32_f16 v0, v0;
	;;#ASMEND
	;;#ASMSTART
	v_cvt_f32_f16 v1, v1;
	;;#ASMEND
	flat_load_dwordx2 v[26:27], v[10:11] offset:2048
	s_waitcnt vmcnt(0) lgkmcnt(0)
	v_cmp_gt_i16_sdwa s[6:7], v26, s17 src0_sel:BYTE_0 src1_sel:DWORD
	flat_load_dword v16, v[16:17]
	s_and_saveexec_b64 s[8:9], s[6:7]
	s_xor_b64 s[6:7], exec, s[8:9]
	s_cbranch_execnz .LBB282_952
; %bb.689:                              ;   in Loop: Header=BB282_552 Depth=1
	s_or_saveexec_b64 s[6:7], s[6:7]
	v_mov_b32_e32 v28, s18
	s_xor_b64 exec, exec, s[6:7]
	s_cbranch_execnz .LBB282_955
.LBB282_690:                            ;   in Loop: Header=BB282_552 Depth=1
	s_or_b64 exec, exec, s[6:7]
	s_and_saveexec_b64 s[6:7], s[0:1]
	s_cbranch_execz .LBB282_692
.LBB282_691:                            ;   in Loop: Header=BB282_552 Depth=1
	v_and_b32_e32 v6, 7, v26
	v_ffbh_u32_e32 v6, v6
	v_bfe_u32 v12, v26, 3, 4
	v_min_u32_e32 v6, 32, v6
	v_subrev_u32_e32 v17, 28, v6
	v_sub_u32_e32 v6, 29, v6
	v_cmp_eq_u32_e64 s[0:1], 0, v12
	s_nop 1
	v_cndmask_b32_e64 v6, v12, v6, s[0:1]
	v_cndmask_b32_e64 v12, 0, v17, s[0:1]
	v_lshlrev_b64 v[22:23], v12, v[26:27]
	v_lshlrev_b32_e32 v17, 8, v26
	v_lshl_add_u32 v6, v6, 10, v49
	v_lshlrev_b32_e32 v12, 7, v22
	v_and_or_b32 v6, v17, s21, v6
	v_and_or_b32 v6, v12, s22, v6
	v_cvt_f32_f16_e32 v28, v6
.LBB282_692:                            ;   in Loop: Header=BB282_552 Depth=1
	s_or_b64 exec, exec, s[6:7]
	v_lshrrev_b16_e32 v6, 8, v26
	v_cmp_lt_i16_e64 s[0:1], s17, v6
	s_mov_b64 s[6:7], 0
                                        ; implicit-def: $sgpr26
	s_and_saveexec_b64 s[8:9], s[0:1]
	s_xor_b64 s[8:9], exec, s[8:9]
	s_cbranch_execnz .LBB282_956
; %bb.693:                              ;   in Loop: Header=BB282_552 Depth=1
	s_or_saveexec_b64 s[8:9], s[8:9]
	v_mov_b32_e32 v30, s26
	s_xor_b64 exec, exec, s[8:9]
	s_cbranch_execnz .LBB282_959
.LBB282_694:                            ;   in Loop: Header=BB282_552 Depth=1
	s_or_b64 exec, exec, s[8:9]
	s_and_saveexec_b64 s[8:9], s[6:7]
	s_cbranch_execz .LBB282_696
.LBB282_695:                            ;   in Loop: Header=BB282_552 Depth=1
	v_and_b32_e32 v12, 7, v6
	v_ffbh_u32_e32 v18, v12
	v_bfe_u32 v17, v6, 3, 4
	v_min_u32_e32 v18, 32, v18
	v_subrev_u32_e32 v22, 28, v18
	v_sub_u32_e32 v18, 29, v18
	v_cmp_eq_u32_e64 s[0:1], 0, v17
	v_lshlrev_b64 v[22:23], v22, v[6:7]
	v_and_b32_e32 v22, 7, v22
	v_cndmask_b32_e64 v17, v17, v18, s[0:1]
	v_lshlrev_b32_e32 v6, 8, v6
	v_lshl_add_u32 v17, v17, 10, v49
	v_cndmask_b32_e64 v12, v12, v22, s[0:1]
	v_and_or_b32 v6, v6, s21, v17
	v_lshl_or_b32 v6, v12, 7, v6
	v_cvt_f32_f16_e32 v30, v6
.LBB282_696:                            ;   in Loop: Header=BB282_552 Depth=1
	s_or_b64 exec, exec, s[8:9]
	v_lshrrev_b32_e32 v6, 16, v26
	v_cmp_gt_i16_sdwa s[6:7], v6, s17 src0_sel:BYTE_0 src1_sel:DWORD
	s_mov_b64 s[0:1], 0
                                        ; implicit-def: $sgpr18
	s_and_saveexec_b64 s[8:9], s[6:7]
	s_xor_b64 s[6:7], exec, s[8:9]
	s_cbranch_execnz .LBB282_960
; %bb.697:                              ;   in Loop: Header=BB282_552 Depth=1
	s_or_saveexec_b64 s[6:7], s[6:7]
	v_mov_b32_e32 v29, s18
	s_xor_b64 exec, exec, s[6:7]
	s_cbranch_execnz .LBB282_963
.LBB282_698:                            ;   in Loop: Header=BB282_552 Depth=1
	s_or_b64 exec, exec, s[6:7]
	s_and_saveexec_b64 s[6:7], s[0:1]
	s_cbranch_execz .LBB282_700
.LBB282_699:                            ;   in Loop: Header=BB282_552 Depth=1
	v_bfe_u32 v12, v26, 16, 3
	v_ffbh_u32_e32 v18, v12
	v_bfe_u32 v17, v26, 19, 4
	v_min_u32_e32 v18, 32, v18
	v_subrev_u32_e32 v22, 28, v18
	v_sub_u32_e32 v18, 29, v18
	v_cmp_eq_u32_e64 s[0:1], 0, v17
	v_lshlrev_b64 v[22:23], v22, v[6:7]
	v_and_b32_e32 v22, 7, v22
	v_cndmask_b32_e64 v17, v17, v18, s[0:1]
	v_lshlrev_b32_e32 v6, 8, v6
	v_lshl_add_u32 v17, v17, 10, v49
	v_cndmask_b32_e64 v12, v12, v22, s[0:1]
	v_and_or_b32 v6, v6, s21, v17
	v_lshl_or_b32 v6, v12, 7, v6
	v_cvt_f32_f16_e32 v29, v6
.LBB282_700:                            ;   in Loop: Header=BB282_552 Depth=1
	s_or_b64 exec, exec, s[6:7]
	v_lshrrev_b32_e32 v6, 24, v26
	v_cmp_lt_i16_e64 s[0:1], s17, v6
	s_mov_b64 s[6:7], 0
                                        ; implicit-def: $sgpr26
	s_and_saveexec_b64 s[8:9], s[0:1]
	s_xor_b64 s[8:9], exec, s[8:9]
	s_cbranch_execnz .LBB282_964
; %bb.701:                              ;   in Loop: Header=BB282_552 Depth=1
	s_or_saveexec_b64 s[8:9], s[8:9]
	v_mov_b32_e32 v31, s26
	s_xor_b64 exec, exec, s[8:9]
	s_cbranch_execnz .LBB282_967
.LBB282_702:                            ;   in Loop: Header=BB282_552 Depth=1
	s_or_b64 exec, exec, s[8:9]
	s_and_saveexec_b64 s[8:9], s[6:7]
	s_cbranch_execz .LBB282_704
.LBB282_703:                            ;   in Loop: Header=BB282_552 Depth=1
	v_bfe_u32 v12, v26, 24, 3
	v_ffbh_u32_e32 v18, v12
	v_bfe_u32 v17, v26, 27, 4
	v_min_u32_e32 v18, 32, v18
	v_subrev_u32_e32 v22, 28, v18
	v_sub_u32_e32 v18, 29, v18
	v_cmp_eq_u32_e64 s[0:1], 0, v17
	v_lshlrev_b64 v[22:23], v22, v[6:7]
	v_and_b32_e32 v22, 7, v22
	v_cndmask_b32_e64 v17, v17, v18, s[0:1]
	v_lshlrev_b32_e32 v6, 8, v6
	v_lshl_add_u32 v17, v17, 10, v49
	v_cndmask_b32_e64 v12, v12, v22, s[0:1]
	v_and_or_b32 v6, v6, s21, v17
	v_lshl_or_b32 v6, v12, 7, v6
	v_cvt_f32_f16_e32 v31, v6
.LBB282_704:                            ;   in Loop: Header=BB282_552 Depth=1
	s_or_b64 exec, exec, s[8:9]
	v_cmp_gt_i16_sdwa s[6:7], v27, s17 src0_sel:BYTE_0 src1_sel:DWORD
	s_mov_b64 s[0:1], 0
                                        ; implicit-def: $sgpr18
	s_and_saveexec_b64 s[8:9], s[6:7]
	s_xor_b64 s[6:7], exec, s[8:9]
	s_cbranch_execnz .LBB282_968
; %bb.705:                              ;   in Loop: Header=BB282_552 Depth=1
	s_or_saveexec_b64 s[6:7], s[6:7]
	v_mov_b32_e32 v17, s18
	s_xor_b64 exec, exec, s[6:7]
	s_cbranch_execnz .LBB282_971
.LBB282_706:                            ;   in Loop: Header=BB282_552 Depth=1
	s_or_b64 exec, exec, s[6:7]
	v_mov_b32_e32 v6, v27
	s_and_saveexec_b64 s[6:7], s[0:1]
	s_cbranch_execz .LBB282_708
.LBB282_707:                            ;   in Loop: Header=BB282_552 Depth=1
	v_and_b32_e32 v12, 7, v27
	v_ffbh_u32_e32 v12, v12
	v_bfe_u32 v17, v27, 3, 4
	v_min_u32_e32 v12, 32, v12
	v_subrev_u32_e32 v18, 28, v12
	v_sub_u32_e32 v12, 29, v12
	v_cmp_eq_u32_e64 s[0:1], 0, v17
	s_nop 1
	v_cndmask_b32_e64 v12, v17, v12, s[0:1]
	v_cndmask_b32_e64 v17, 0, v18, s[0:1]
	v_lshlrev_b64 v[22:23], v17, v[6:7]
	v_lshlrev_b32_e32 v18, 8, v27
	v_lshl_add_u32 v12, v12, 10, v49
	v_lshlrev_b32_e32 v17, 7, v22
	v_and_or_b32 v12, v18, s21, v12
	v_and_or_b32 v12, v17, s22, v12
	v_cvt_f32_f16_e32 v17, v12
.LBB282_708:                            ;   in Loop: Header=BB282_552 Depth=1
	s_or_b64 exec, exec, s[6:7]
	v_lshrrev_b16_e32 v6, 8, v6
	v_cmp_lt_i16_e64 s[0:1], s17, v6
	s_mov_b64 s[6:7], 0
                                        ; implicit-def: $sgpr26
	s_and_saveexec_b64 s[8:9], s[0:1]
	s_xor_b64 s[8:9], exec, s[8:9]
	s_cbranch_execnz .LBB282_972
; %bb.709:                              ;   in Loop: Header=BB282_552 Depth=1
	s_or_saveexec_b64 s[8:9], s[8:9]
	v_mov_b32_e32 v18, s26
	s_xor_b64 exec, exec, s[8:9]
	s_cbranch_execnz .LBB282_975
.LBB282_710:                            ;   in Loop: Header=BB282_552 Depth=1
	s_or_b64 exec, exec, s[8:9]
	s_and_saveexec_b64 s[8:9], s[6:7]
	s_cbranch_execz .LBB282_712
.LBB282_711:                            ;   in Loop: Header=BB282_552 Depth=1
	v_and_b32_e32 v12, 7, v6
	v_ffbh_u32_e32 v22, v12
	v_min_u32_e32 v26, 32, v22
	v_subrev_u32_e32 v22, 28, v26
	v_bfe_u32 v18, v6, 3, 4
	v_lshlrev_b64 v[22:23], v22, v[6:7]
	v_sub_u32_e32 v23, 29, v26
	v_cmp_eq_u32_e64 s[0:1], 0, v18
	v_and_b32_e32 v22, 7, v22
	v_lshlrev_b32_e32 v6, 8, v6
	v_cndmask_b32_e64 v18, v18, v23, s[0:1]
	v_lshl_add_u32 v18, v18, 10, v49
	v_cndmask_b32_e64 v12, v12, v22, s[0:1]
	v_and_or_b32 v6, v6, s21, v18
	v_lshl_or_b32 v6, v12, 7, v6
	v_cvt_f32_f16_e32 v18, v6
.LBB282_712:                            ;   in Loop: Header=BB282_552 Depth=1
	s_or_b64 exec, exec, s[8:9]
	v_lshrrev_b32_e32 v6, 16, v27
	v_cmp_gt_i16_sdwa s[6:7], v6, s17 src0_sel:BYTE_0 src1_sel:DWORD
	s_mov_b64 s[0:1], 0
                                        ; implicit-def: $sgpr18
	s_and_saveexec_b64 s[8:9], s[6:7]
	s_xor_b64 s[6:7], exec, s[8:9]
	s_cbranch_execnz .LBB282_976
; %bb.713:                              ;   in Loop: Header=BB282_552 Depth=1
	s_or_saveexec_b64 s[6:7], s[6:7]
	v_mov_b32_e32 v22, s18
	s_xor_b64 exec, exec, s[6:7]
	s_cbranch_execnz .LBB282_979
.LBB282_714:                            ;   in Loop: Header=BB282_552 Depth=1
	s_or_b64 exec, exec, s[6:7]
	s_and_saveexec_b64 s[6:7], s[0:1]
	s_cbranch_execz .LBB282_716
.LBB282_715:                            ;   in Loop: Header=BB282_552 Depth=1
	v_bfe_u32 v12, v27, 16, 3
	v_ffbh_u32_e32 v22, v12
	v_min_u32_e32 v32, 32, v22
	v_subrev_u32_e32 v22, 28, v32
	v_bfe_u32 v26, v27, 19, 4
	v_lshlrev_b64 v[22:23], v22, v[6:7]
	v_sub_u32_e32 v23, 29, v32
	v_cmp_eq_u32_e64 s[0:1], 0, v26
	v_and_b32_e32 v22, 7, v22
	v_lshlrev_b32_e32 v6, 8, v6
	v_cndmask_b32_e64 v23, v26, v23, s[0:1]
	v_cndmask_b32_e64 v12, v12, v22, s[0:1]
	v_lshl_add_u32 v22, v23, 10, v49
	v_and_or_b32 v6, v6, s21, v22
	v_lshl_or_b32 v6, v12, 7, v6
	v_cvt_f32_f16_e32 v22, v6
.LBB282_716:                            ;   in Loop: Header=BB282_552 Depth=1
	s_or_b64 exec, exec, s[6:7]
	v_lshrrev_b32_e32 v6, 24, v27
	v_cmp_lt_i16_e64 s[0:1], s17, v6
	s_mov_b64 s[6:7], 0
                                        ; implicit-def: $sgpr26
	s_and_saveexec_b64 s[8:9], s[0:1]
	s_xor_b64 s[8:9], exec, s[8:9]
	s_cbranch_execnz .LBB282_980
; %bb.717:                              ;   in Loop: Header=BB282_552 Depth=1
	s_or_saveexec_b64 s[8:9], s[8:9]
	v_mov_b32_e32 v26, s26
	s_xor_b64 exec, exec, s[8:9]
	s_cbranch_execnz .LBB282_983
.LBB282_718:                            ;   in Loop: Header=BB282_552 Depth=1
	s_or_b64 exec, exec, s[8:9]
	s_and_saveexec_b64 s[8:9], s[6:7]
	s_cbranch_execz .LBB282_720
.LBB282_719:                            ;   in Loop: Header=BB282_552 Depth=1
	v_bfe_u32 v12, v27, 24, 3
	v_ffbh_u32_e32 v26, v12
	v_min_u32_e32 v32, 32, v26
	v_subrev_u32_e32 v26, 28, v32
	v_bfe_u32 v23, v27, 27, 4
	v_lshlrev_b64 v[26:27], v26, v[6:7]
	v_sub_u32_e32 v27, 29, v32
	v_cmp_eq_u32_e64 s[0:1], 0, v23
	v_and_b32_e32 v26, 7, v26
	v_lshlrev_b32_e32 v6, 8, v6
	v_cndmask_b32_e64 v23, v23, v27, s[0:1]
	v_lshl_add_u32 v23, v23, 10, v49
	v_cndmask_b32_e64 v12, v12, v26, s[0:1]
	v_and_or_b32 v6, v6, s21, v23
	v_lshl_or_b32 v6, v12, 7, v6
	v_cvt_f32_f16_e32 v26, v6
.LBB282_720:                            ;   in Loop: Header=BB282_552 Depth=1
	s_or_b64 exec, exec, s[8:9]
	s_waitcnt vmcnt(0) lgkmcnt(0)
	v_pk_mul_f32 v[30:31], v[16:17], v[30:31] op_sel_hi:[0,1]
	v_pk_mul_f32 v[28:29], v[16:17], v[28:29] op_sel_hi:[0,1]
	v_cvt_f16_f32_e32 v6, v31
	v_cvt_f16_f32_e32 v12, v30
	;; [unrolled: 1-line block ×4, first 2 shown]
	v_fma_mixlo_f16 v17, v16, v17, 0
	v_pack_b32_f16 v12, v12, v6
	v_pack_b32_f16 v23, v27, v23
	v_perm_b32 v6, v23, v12, s23
	v_perm_b32 v23, v23, v12, s24
	v_fma_mixlo_f16 v12, v16, v18, 0
	v_lshlrev_b32_e32 v12, 16, v12
	v_or_b32_sdwa v17, v12, v17 dst_sel:DWORD dst_unused:UNUSED_PAD src0_sel:DWORD src1_sel:WORD_0
	v_fma_mixlo_f16 v12, v16, v26, 0
	v_fma_mixlo_f16 v18, v16, v22, 0
	v_lshlrev_b32_e32 v12, 16, v12
	v_or_b32_sdwa v16, v12, v18 dst_sel:DWORD dst_unused:UNUSED_PAD src0_sel:DWORD src1_sel:WORD_0
	s_and_saveexec_b64 s[6:7], vcc
	s_cbranch_execz .LBB282_722
; %bb.721:                              ;   in Loop: Header=BB282_552 Depth=1
	v_lshrrev_b32_e32 v12, 16, v23
	v_cmp_lt_i32_e64 s[0:1], v44, v13
	v_accvgpr_read_b32 v26, a8
	s_nop 0
	v_cndmask_b32_e64 v12, 0, v12, s[0:1]
	v_cmp_lt_i32_e64 s[0:1], v39, v26
	s_nop 1
	v_cndmask_b32_e64 v22, 0, v23, s[0:1]
	v_perm_b32 v23, v12, v22, s25
	v_lshrrev_b32_e32 v12, 16, v6
	v_cmp_lt_i32_e64 s[0:1], v55, v13
	s_nop 1
	v_cndmask_b32_e64 v12, 0, v12, s[0:1]
	v_cmp_lt_i32_e64 s[0:1], v54, v26
	s_nop 1
	v_cndmask_b32_e64 v6, 0, v6, s[0:1]
	v_perm_b32 v6, v12, v6, s25
	v_lshrrev_b32_e32 v12, 16, v17
	v_cmp_lt_i32_e64 s[0:1], v53, v13
	;; [unrolled: 8-line block ×3, first 2 shown]
	s_nop 1
	v_cndmask_b32_e64 v12, 0, v12, s[0:1]
	v_cmp_lt_i32_e64 s[0:1], v50, v26
	s_nop 1
	v_cndmask_b32_e64 v16, 0, v18, s[0:1]
	v_perm_b32 v16, v12, v16, s25
.LBB282_722:                            ;   in Loop: Header=BB282_552 Depth=1
	s_or_b64 exec, exec, s[6:7]
	;;#ASMSTART
	v_pk_mul_f16 v12, v40, v23;

	;;#ASMEND
	;;#ASMSTART
	v_pk_mul_f16 v6, v41, v6;

	;;#ASMEND
	;; [unrolled: 4-line block ×4, first 2 shown]
	s_mov_b64 s[0:1], 0
	;;#ASMSTART
	v_pk_add_f16 v6, v12, v6;

	;;#ASMEND
                                        ; implicit-def: $sgpr18
	s_nop 0
	;;#ASMSTART
	v_pk_add_f16 v6, v6, v17;

	;;#ASMEND
	s_nop 0
	;;#ASMSTART
	v_pk_add_f16 v6, v6, v16;

	;;#ASMEND
	v_accvgpr_read_b32 v17, a5
	v_lshrrev_b32_e32 v12, 16, v6
	v_and_b32_e32 v6, 0xffff, v6
	;;#ASMSTART
	v_cvt_f32_f16 v32, v6;
	;;#ASMEND
	;;#ASMSTART
	v_cvt_f32_f16 v33, v12;
	;;#ASMEND
	flat_load_dwordx2 v[26:27], v[10:11] offset:2560
	v_accvgpr_read_b32 v16, a4
	flat_load_dword v16, v[16:17]
	s_waitcnt vmcnt(0) lgkmcnt(0)
	v_cmp_gt_i16_sdwa s[6:7], v26, s17 src0_sel:BYTE_0 src1_sel:DWORD
	s_and_saveexec_b64 s[8:9], s[6:7]
	s_xor_b64 s[6:7], exec, s[8:9]
	s_cbranch_execnz .LBB282_984
; %bb.723:                              ;   in Loop: Header=BB282_552 Depth=1
	s_or_saveexec_b64 s[6:7], s[6:7]
	v_mov_b32_e32 v28, s18
	s_xor_b64 exec, exec, s[6:7]
	s_cbranch_execnz .LBB282_987
.LBB282_724:                            ;   in Loop: Header=BB282_552 Depth=1
	s_or_b64 exec, exec, s[6:7]
	s_and_saveexec_b64 s[6:7], s[0:1]
	s_cbranch_execz .LBB282_726
.LBB282_725:                            ;   in Loop: Header=BB282_552 Depth=1
	v_and_b32_e32 v6, 7, v26
	v_ffbh_u32_e32 v6, v6
	v_bfe_u32 v12, v26, 3, 4
	v_min_u32_e32 v6, 32, v6
	v_subrev_u32_e32 v17, 28, v6
	v_sub_u32_e32 v6, 29, v6
	v_cmp_eq_u32_e64 s[0:1], 0, v12
	s_nop 1
	v_cndmask_b32_e64 v6, v12, v6, s[0:1]
	v_cndmask_b32_e64 v12, 0, v17, s[0:1]
	v_lshlrev_b64 v[22:23], v12, v[26:27]
	v_lshlrev_b32_e32 v17, 8, v26
	v_lshl_add_u32 v6, v6, 10, v49
	v_lshlrev_b32_e32 v12, 7, v22
	v_and_or_b32 v6, v17, s21, v6
	v_and_or_b32 v6, v12, s22, v6
	v_cvt_f32_f16_e32 v28, v6
.LBB282_726:                            ;   in Loop: Header=BB282_552 Depth=1
	s_or_b64 exec, exec, s[6:7]
	v_lshrrev_b16_e32 v6, 8, v26
	v_cmp_lt_i16_e64 s[0:1], s17, v6
	s_mov_b64 s[6:7], 0
                                        ; implicit-def: $sgpr26
	s_and_saveexec_b64 s[8:9], s[0:1]
	s_xor_b64 s[8:9], exec, s[8:9]
	s_cbranch_execnz .LBB282_988
; %bb.727:                              ;   in Loop: Header=BB282_552 Depth=1
	s_or_saveexec_b64 s[8:9], s[8:9]
	v_mov_b32_e32 v30, s26
	s_xor_b64 exec, exec, s[8:9]
	s_cbranch_execnz .LBB282_991
.LBB282_728:                            ;   in Loop: Header=BB282_552 Depth=1
	s_or_b64 exec, exec, s[8:9]
	s_and_saveexec_b64 s[8:9], s[6:7]
	s_cbranch_execz .LBB282_730
.LBB282_729:                            ;   in Loop: Header=BB282_552 Depth=1
	v_and_b32_e32 v12, 7, v6
	v_ffbh_u32_e32 v18, v12
	v_bfe_u32 v17, v6, 3, 4
	v_min_u32_e32 v18, 32, v18
	v_subrev_u32_e32 v22, 28, v18
	v_sub_u32_e32 v18, 29, v18
	v_cmp_eq_u32_e64 s[0:1], 0, v17
	v_lshlrev_b64 v[22:23], v22, v[6:7]
	v_and_b32_e32 v22, 7, v22
	v_cndmask_b32_e64 v17, v17, v18, s[0:1]
	v_lshlrev_b32_e32 v6, 8, v6
	v_lshl_add_u32 v17, v17, 10, v49
	v_cndmask_b32_e64 v12, v12, v22, s[0:1]
	v_and_or_b32 v6, v6, s21, v17
	v_lshl_or_b32 v6, v12, 7, v6
	v_cvt_f32_f16_e32 v30, v6
.LBB282_730:                            ;   in Loop: Header=BB282_552 Depth=1
	s_or_b64 exec, exec, s[8:9]
	v_lshrrev_b32_e32 v6, 16, v26
	v_cmp_gt_i16_sdwa s[6:7], v6, s17 src0_sel:BYTE_0 src1_sel:DWORD
	s_mov_b64 s[0:1], 0
                                        ; implicit-def: $sgpr18
	s_and_saveexec_b64 s[8:9], s[6:7]
	s_xor_b64 s[6:7], exec, s[8:9]
	s_cbranch_execnz .LBB282_992
; %bb.731:                              ;   in Loop: Header=BB282_552 Depth=1
	s_or_saveexec_b64 s[6:7], s[6:7]
	v_mov_b32_e32 v29, s18
	s_xor_b64 exec, exec, s[6:7]
	s_cbranch_execnz .LBB282_995
.LBB282_732:                            ;   in Loop: Header=BB282_552 Depth=1
	s_or_b64 exec, exec, s[6:7]
	s_and_saveexec_b64 s[6:7], s[0:1]
	s_cbranch_execz .LBB282_734
.LBB282_733:                            ;   in Loop: Header=BB282_552 Depth=1
	v_bfe_u32 v12, v26, 16, 3
	v_ffbh_u32_e32 v18, v12
	v_bfe_u32 v17, v26, 19, 4
	v_min_u32_e32 v18, 32, v18
	v_subrev_u32_e32 v22, 28, v18
	v_sub_u32_e32 v18, 29, v18
	v_cmp_eq_u32_e64 s[0:1], 0, v17
	v_lshlrev_b64 v[22:23], v22, v[6:7]
	v_and_b32_e32 v22, 7, v22
	v_cndmask_b32_e64 v17, v17, v18, s[0:1]
	v_lshlrev_b32_e32 v6, 8, v6
	v_lshl_add_u32 v17, v17, 10, v49
	v_cndmask_b32_e64 v12, v12, v22, s[0:1]
	v_and_or_b32 v6, v6, s21, v17
	v_lshl_or_b32 v6, v12, 7, v6
	v_cvt_f32_f16_e32 v29, v6
.LBB282_734:                            ;   in Loop: Header=BB282_552 Depth=1
	s_or_b64 exec, exec, s[6:7]
	v_lshrrev_b32_e32 v6, 24, v26
	v_cmp_lt_i16_e64 s[0:1], s17, v6
	s_mov_b64 s[6:7], 0
                                        ; implicit-def: $sgpr26
	s_and_saveexec_b64 s[8:9], s[0:1]
	s_xor_b64 s[8:9], exec, s[8:9]
	s_cbranch_execnz .LBB282_996
; %bb.735:                              ;   in Loop: Header=BB282_552 Depth=1
	s_or_saveexec_b64 s[8:9], s[8:9]
	v_mov_b32_e32 v31, s26
	s_xor_b64 exec, exec, s[8:9]
	s_cbranch_execnz .LBB282_999
.LBB282_736:                            ;   in Loop: Header=BB282_552 Depth=1
	s_or_b64 exec, exec, s[8:9]
	s_and_saveexec_b64 s[8:9], s[6:7]
	s_cbranch_execz .LBB282_738
.LBB282_737:                            ;   in Loop: Header=BB282_552 Depth=1
	v_bfe_u32 v12, v26, 24, 3
	v_ffbh_u32_e32 v18, v12
	v_bfe_u32 v17, v26, 27, 4
	v_min_u32_e32 v18, 32, v18
	v_subrev_u32_e32 v22, 28, v18
	v_sub_u32_e32 v18, 29, v18
	v_cmp_eq_u32_e64 s[0:1], 0, v17
	v_lshlrev_b64 v[22:23], v22, v[6:7]
	v_and_b32_e32 v22, 7, v22
	v_cndmask_b32_e64 v17, v17, v18, s[0:1]
	v_lshlrev_b32_e32 v6, 8, v6
	v_lshl_add_u32 v17, v17, 10, v49
	v_cndmask_b32_e64 v12, v12, v22, s[0:1]
	v_and_or_b32 v6, v6, s21, v17
	v_lshl_or_b32 v6, v12, 7, v6
	v_cvt_f32_f16_e32 v31, v6
.LBB282_738:                            ;   in Loop: Header=BB282_552 Depth=1
	s_or_b64 exec, exec, s[8:9]
	v_cmp_gt_i16_sdwa s[6:7], v27, s17 src0_sel:BYTE_0 src1_sel:DWORD
	s_mov_b64 s[0:1], 0
                                        ; implicit-def: $sgpr18
	s_and_saveexec_b64 s[8:9], s[6:7]
	s_xor_b64 s[6:7], exec, s[8:9]
	s_cbranch_execnz .LBB282_1000
; %bb.739:                              ;   in Loop: Header=BB282_552 Depth=1
	s_or_saveexec_b64 s[6:7], s[6:7]
	v_mov_b32_e32 v17, s18
	s_xor_b64 exec, exec, s[6:7]
	s_cbranch_execnz .LBB282_1003
.LBB282_740:                            ;   in Loop: Header=BB282_552 Depth=1
	s_or_b64 exec, exec, s[6:7]
	v_mov_b32_e32 v6, v27
	s_and_saveexec_b64 s[6:7], s[0:1]
	s_cbranch_execz .LBB282_742
.LBB282_741:                            ;   in Loop: Header=BB282_552 Depth=1
	v_and_b32_e32 v12, 7, v27
	v_ffbh_u32_e32 v12, v12
	v_bfe_u32 v17, v27, 3, 4
	v_min_u32_e32 v12, 32, v12
	v_subrev_u32_e32 v18, 28, v12
	v_sub_u32_e32 v12, 29, v12
	v_cmp_eq_u32_e64 s[0:1], 0, v17
	s_nop 1
	v_cndmask_b32_e64 v12, v17, v12, s[0:1]
	v_cndmask_b32_e64 v17, 0, v18, s[0:1]
	v_lshlrev_b64 v[22:23], v17, v[6:7]
	v_lshlrev_b32_e32 v18, 8, v27
	v_lshl_add_u32 v12, v12, 10, v49
	v_lshlrev_b32_e32 v17, 7, v22
	v_and_or_b32 v12, v18, s21, v12
	v_and_or_b32 v12, v17, s22, v12
	v_cvt_f32_f16_e32 v17, v12
.LBB282_742:                            ;   in Loop: Header=BB282_552 Depth=1
	s_or_b64 exec, exec, s[6:7]
	v_lshrrev_b16_e32 v6, 8, v6
	v_cmp_lt_i16_e64 s[0:1], s17, v6
	s_mov_b64 s[6:7], 0
                                        ; implicit-def: $sgpr26
	s_and_saveexec_b64 s[8:9], s[0:1]
	s_xor_b64 s[8:9], exec, s[8:9]
	s_cbranch_execnz .LBB282_1004
; %bb.743:                              ;   in Loop: Header=BB282_552 Depth=1
	s_or_saveexec_b64 s[8:9], s[8:9]
	v_mov_b32_e32 v18, s26
	s_xor_b64 exec, exec, s[8:9]
	s_cbranch_execnz .LBB282_1007
.LBB282_744:                            ;   in Loop: Header=BB282_552 Depth=1
	s_or_b64 exec, exec, s[8:9]
	s_and_saveexec_b64 s[8:9], s[6:7]
	s_cbranch_execz .LBB282_746
.LBB282_745:                            ;   in Loop: Header=BB282_552 Depth=1
	v_and_b32_e32 v12, 7, v6
	v_ffbh_u32_e32 v22, v12
	v_min_u32_e32 v26, 32, v22
	v_subrev_u32_e32 v22, 28, v26
	v_bfe_u32 v18, v6, 3, 4
	v_lshlrev_b64 v[22:23], v22, v[6:7]
	v_sub_u32_e32 v23, 29, v26
	v_cmp_eq_u32_e64 s[0:1], 0, v18
	v_and_b32_e32 v22, 7, v22
	v_lshlrev_b32_e32 v6, 8, v6
	v_cndmask_b32_e64 v18, v18, v23, s[0:1]
	v_lshl_add_u32 v18, v18, 10, v49
	v_cndmask_b32_e64 v12, v12, v22, s[0:1]
	v_and_or_b32 v6, v6, s21, v18
	v_lshl_or_b32 v6, v12, 7, v6
	v_cvt_f32_f16_e32 v18, v6
.LBB282_746:                            ;   in Loop: Header=BB282_552 Depth=1
	s_or_b64 exec, exec, s[8:9]
	v_lshrrev_b32_e32 v6, 16, v27
	v_cmp_gt_i16_sdwa s[6:7], v6, s17 src0_sel:BYTE_0 src1_sel:DWORD
	s_mov_b64 s[0:1], 0
                                        ; implicit-def: $sgpr18
	s_and_saveexec_b64 s[8:9], s[6:7]
	s_xor_b64 s[6:7], exec, s[8:9]
	s_cbranch_execnz .LBB282_1008
; %bb.747:                              ;   in Loop: Header=BB282_552 Depth=1
	s_or_saveexec_b64 s[6:7], s[6:7]
	v_mov_b32_e32 v22, s18
	s_xor_b64 exec, exec, s[6:7]
	s_cbranch_execnz .LBB282_1011
.LBB282_748:                            ;   in Loop: Header=BB282_552 Depth=1
	s_or_b64 exec, exec, s[6:7]
	s_and_saveexec_b64 s[6:7], s[0:1]
	s_cbranch_execz .LBB282_750
.LBB282_749:                            ;   in Loop: Header=BB282_552 Depth=1
	v_bfe_u32 v12, v27, 16, 3
	v_ffbh_u32_e32 v22, v12
	v_min_u32_e32 v34, 32, v22
	v_subrev_u32_e32 v22, 28, v34
	v_bfe_u32 v26, v27, 19, 4
	v_lshlrev_b64 v[22:23], v22, v[6:7]
	v_sub_u32_e32 v23, 29, v34
	v_cmp_eq_u32_e64 s[0:1], 0, v26
	v_and_b32_e32 v22, 7, v22
	v_lshlrev_b32_e32 v6, 8, v6
	v_cndmask_b32_e64 v23, v26, v23, s[0:1]
	v_cndmask_b32_e64 v12, v12, v22, s[0:1]
	v_lshl_add_u32 v22, v23, 10, v49
	v_and_or_b32 v6, v6, s21, v22
	v_lshl_or_b32 v6, v12, 7, v6
	v_cvt_f32_f16_e32 v22, v6
.LBB282_750:                            ;   in Loop: Header=BB282_552 Depth=1
	s_or_b64 exec, exec, s[6:7]
	v_lshrrev_b32_e32 v6, 24, v27
	v_cmp_lt_i16_e64 s[0:1], s17, v6
	s_mov_b64 s[6:7], 0
                                        ; implicit-def: $sgpr26
	s_and_saveexec_b64 s[8:9], s[0:1]
	s_xor_b64 s[8:9], exec, s[8:9]
	s_cbranch_execnz .LBB282_1012
; %bb.751:                              ;   in Loop: Header=BB282_552 Depth=1
	s_or_saveexec_b64 s[8:9], s[8:9]
	v_mov_b32_e32 v26, s26
	s_xor_b64 exec, exec, s[8:9]
	s_cbranch_execnz .LBB282_1015
.LBB282_752:                            ;   in Loop: Header=BB282_552 Depth=1
	s_or_b64 exec, exec, s[8:9]
	s_and_saveexec_b64 s[8:9], s[6:7]
	s_cbranch_execz .LBB282_754
.LBB282_753:                            ;   in Loop: Header=BB282_552 Depth=1
	v_bfe_u32 v12, v27, 24, 3
	v_ffbh_u32_e32 v26, v12
	v_min_u32_e32 v34, 32, v26
	v_subrev_u32_e32 v26, 28, v34
	v_bfe_u32 v23, v27, 27, 4
	v_lshlrev_b64 v[26:27], v26, v[6:7]
	v_sub_u32_e32 v27, 29, v34
	v_cmp_eq_u32_e64 s[0:1], 0, v23
	v_and_b32_e32 v26, 7, v26
	v_lshlrev_b32_e32 v6, 8, v6
	v_cndmask_b32_e64 v23, v23, v27, s[0:1]
	v_lshl_add_u32 v23, v23, 10, v49
	v_cndmask_b32_e64 v12, v12, v26, s[0:1]
	v_and_or_b32 v6, v6, s21, v23
	v_lshl_or_b32 v6, v12, 7, v6
	v_cvt_f32_f16_e32 v26, v6
.LBB282_754:                            ;   in Loop: Header=BB282_552 Depth=1
	s_or_b64 exec, exec, s[8:9]
	v_pk_mul_f32 v[30:31], v[16:17], v[30:31] op_sel_hi:[0,1]
	v_pk_mul_f32 v[28:29], v[16:17], v[28:29] op_sel_hi:[0,1]
	v_cvt_f16_f32_e32 v6, v31
	v_cvt_f16_f32_e32 v12, v30
	;; [unrolled: 1-line block ×4, first 2 shown]
	v_fma_mixlo_f16 v17, v16, v17, 0
	v_pack_b32_f16 v12, v12, v6
	v_pack_b32_f16 v23, v27, v23
	v_perm_b32 v6, v23, v12, s23
	v_perm_b32 v23, v23, v12, s24
	v_fma_mixlo_f16 v12, v16, v18, 0
	v_lshlrev_b32_e32 v12, 16, v12
	v_or_b32_sdwa v17, v12, v17 dst_sel:DWORD dst_unused:UNUSED_PAD src0_sel:DWORD src1_sel:WORD_0
	v_fma_mixlo_f16 v12, v16, v26, 0
	v_fma_mixlo_f16 v18, v16, v22, 0
	v_lshlrev_b32_e32 v12, 16, v12
	v_or_b32_sdwa v16, v12, v18 dst_sel:DWORD dst_unused:UNUSED_PAD src0_sel:DWORD src1_sel:WORD_0
	s_and_saveexec_b64 s[6:7], vcc
	s_cbranch_execz .LBB282_756
; %bb.755:                              ;   in Loop: Header=BB282_552 Depth=1
	v_lshrrev_b32_e32 v12, 16, v23
	v_cmp_lt_i32_e64 s[0:1], v44, v13
	v_accvgpr_read_b32 v26, a8
	s_nop 0
	v_cndmask_b32_e64 v12, 0, v12, s[0:1]
	v_cmp_lt_i32_e64 s[0:1], v39, v26
	s_nop 1
	v_cndmask_b32_e64 v22, 0, v23, s[0:1]
	v_perm_b32 v23, v12, v22, s25
	v_lshrrev_b32_e32 v12, 16, v6
	v_cmp_lt_i32_e64 s[0:1], v55, v13
	s_nop 1
	v_cndmask_b32_e64 v12, 0, v12, s[0:1]
	v_cmp_lt_i32_e64 s[0:1], v54, v26
	s_nop 1
	v_cndmask_b32_e64 v6, 0, v6, s[0:1]
	v_perm_b32 v6, v12, v6, s25
	v_lshrrev_b32_e32 v12, 16, v17
	v_cmp_lt_i32_e64 s[0:1], v53, v13
	;; [unrolled: 8-line block ×3, first 2 shown]
	s_nop 1
	v_cndmask_b32_e64 v12, 0, v12, s[0:1]
	v_cmp_lt_i32_e64 s[0:1], v50, v26
	s_nop 1
	v_cndmask_b32_e64 v16, 0, v18, s[0:1]
	v_perm_b32 v16, v12, v16, s25
.LBB282_756:                            ;   in Loop: Header=BB282_552 Depth=1
	s_or_b64 exec, exec, s[6:7]
	;;#ASMSTART
	v_pk_mul_f16 v12, v40, v23;

	;;#ASMEND
	;;#ASMSTART
	v_pk_mul_f16 v6, v41, v6;

	;;#ASMEND
	;; [unrolled: 4-line block ×4, first 2 shown]
	s_mov_b64 s[0:1], 0
	;;#ASMSTART
	v_pk_add_f16 v6, v12, v6;

	;;#ASMEND
                                        ; implicit-def: $sgpr18
	s_nop 0
	;;#ASMSTART
	v_pk_add_f16 v6, v6, v17;

	;;#ASMEND
	s_nop 0
	;;#ASMSTART
	v_pk_add_f16 v6, v6, v16;

	;;#ASMEND
	v_accvgpr_read_b32 v17, a5
	v_lshrrev_b32_e32 v12, 16, v6
	v_and_b32_e32 v6, 0xffff, v6
	;;#ASMSTART
	v_cvt_f32_f16 v18, v6;
	;;#ASMEND
	;;#ASMSTART
	v_cvt_f32_f16 v59, v12;
	;;#ASMEND
	flat_load_dwordx2 v[26:27], v[10:11] offset:3072
	v_accvgpr_read_b32 v16, a4
	flat_load_dword v16, v[16:17]
	s_waitcnt vmcnt(0) lgkmcnt(0)
	v_cmp_gt_i16_sdwa s[6:7], v26, s17 src0_sel:BYTE_0 src1_sel:DWORD
	s_and_saveexec_b64 s[8:9], s[6:7]
	s_xor_b64 s[6:7], exec, s[8:9]
	s_cbranch_execnz .LBB282_1016
; %bb.757:                              ;   in Loop: Header=BB282_552 Depth=1
	s_or_saveexec_b64 s[6:7], s[6:7]
	v_mov_b32_e32 v28, s18
	s_xor_b64 exec, exec, s[6:7]
	s_cbranch_execnz .LBB282_1019
.LBB282_758:                            ;   in Loop: Header=BB282_552 Depth=1
	s_or_b64 exec, exec, s[6:7]
	s_and_saveexec_b64 s[6:7], s[0:1]
	s_cbranch_execz .LBB282_760
.LBB282_759:                            ;   in Loop: Header=BB282_552 Depth=1
	v_and_b32_e32 v6, 7, v26
	v_ffbh_u32_e32 v6, v6
	v_bfe_u32 v12, v26, 3, 4
	v_min_u32_e32 v6, 32, v6
	v_subrev_u32_e32 v17, 28, v6
	v_sub_u32_e32 v6, 29, v6
	v_cmp_eq_u32_e64 s[0:1], 0, v12
	s_nop 1
	v_cndmask_b32_e64 v6, v12, v6, s[0:1]
	v_cndmask_b32_e64 v12, 0, v17, s[0:1]
	v_lshlrev_b64 v[22:23], v12, v[26:27]
	v_lshlrev_b32_e32 v17, 8, v26
	v_lshl_add_u32 v6, v6, 10, v49
	v_lshlrev_b32_e32 v12, 7, v22
	v_and_or_b32 v6, v17, s21, v6
	v_and_or_b32 v6, v12, s22, v6
	v_cvt_f32_f16_e32 v28, v6
.LBB282_760:                            ;   in Loop: Header=BB282_552 Depth=1
	s_or_b64 exec, exec, s[6:7]
	v_lshrrev_b16_e32 v6, 8, v26
	v_cmp_lt_i16_e64 s[0:1], s17, v6
	s_mov_b64 s[6:7], 0
                                        ; implicit-def: $sgpr26
	s_and_saveexec_b64 s[8:9], s[0:1]
	s_xor_b64 s[8:9], exec, s[8:9]
	s_cbranch_execnz .LBB282_1020
; %bb.761:                              ;   in Loop: Header=BB282_552 Depth=1
	s_or_saveexec_b64 s[8:9], s[8:9]
	v_mov_b32_e32 v30, s26
	s_xor_b64 exec, exec, s[8:9]
	s_cbranch_execnz .LBB282_1023
.LBB282_762:                            ;   in Loop: Header=BB282_552 Depth=1
	s_or_b64 exec, exec, s[8:9]
	s_and_saveexec_b64 s[8:9], s[6:7]
	s_cbranch_execz .LBB282_764
.LBB282_763:                            ;   in Loop: Header=BB282_552 Depth=1
	v_and_b32_e32 v12, 7, v6
	v_ffbh_u32_e32 v22, v12
	v_min_u32_e32 v29, 32, v22
	v_subrev_u32_e32 v22, 28, v29
	v_bfe_u32 v17, v6, 3, 4
	v_lshlrev_b64 v[22:23], v22, v[6:7]
	v_sub_u32_e32 v23, 29, v29
	v_cmp_eq_u32_e64 s[0:1], 0, v17
	v_and_b32_e32 v22, 7, v22
	v_lshlrev_b32_e32 v6, 8, v6
	v_cndmask_b32_e64 v17, v17, v23, s[0:1]
	v_lshl_add_u32 v17, v17, 10, v49
	v_cndmask_b32_e64 v12, v12, v22, s[0:1]
	v_and_or_b32 v6, v6, s21, v17
	v_lshl_or_b32 v6, v12, 7, v6
	v_cvt_f32_f16_e32 v30, v6
.LBB282_764:                            ;   in Loop: Header=BB282_552 Depth=1
	s_or_b64 exec, exec, s[8:9]
	v_lshrrev_b32_e32 v6, 16, v26
	v_cmp_gt_i16_sdwa s[6:7], v6, s17 src0_sel:BYTE_0 src1_sel:DWORD
	s_mov_b64 s[0:1], 0
                                        ; implicit-def: $sgpr18
	s_and_saveexec_b64 s[8:9], s[6:7]
	s_xor_b64 s[6:7], exec, s[8:9]
	s_cbranch_execnz .LBB282_1024
; %bb.765:                              ;   in Loop: Header=BB282_552 Depth=1
	s_or_saveexec_b64 s[6:7], s[6:7]
	v_mov_b32_e32 v29, s18
	s_xor_b64 exec, exec, s[6:7]
	s_cbranch_execnz .LBB282_1027
.LBB282_766:                            ;   in Loop: Header=BB282_552 Depth=1
	s_or_b64 exec, exec, s[6:7]
	s_and_saveexec_b64 s[6:7], s[0:1]
	s_cbranch_execz .LBB282_768
.LBB282_767:                            ;   in Loop: Header=BB282_552 Depth=1
	v_bfe_u32 v12, v26, 16, 3
	v_ffbh_u32_e32 v22, v12
	v_min_u32_e32 v29, 32, v22
	v_subrev_u32_e32 v22, 28, v29
	v_bfe_u32 v17, v26, 19, 4
	v_lshlrev_b64 v[22:23], v22, v[6:7]
	v_sub_u32_e32 v23, 29, v29
	v_cmp_eq_u32_e64 s[0:1], 0, v17
	v_and_b32_e32 v22, 7, v22
	v_lshlrev_b32_e32 v6, 8, v6
	v_cndmask_b32_e64 v17, v17, v23, s[0:1]
	v_lshl_add_u32 v17, v17, 10, v49
	v_cndmask_b32_e64 v12, v12, v22, s[0:1]
	v_and_or_b32 v6, v6, s21, v17
	v_lshl_or_b32 v6, v12, 7, v6
	v_cvt_f32_f16_e32 v29, v6
.LBB282_768:                            ;   in Loop: Header=BB282_552 Depth=1
	s_or_b64 exec, exec, s[6:7]
	v_lshrrev_b32_e32 v6, 24, v26
	v_cmp_lt_i16_e64 s[0:1], s17, v6
	s_mov_b64 s[6:7], 0
                                        ; implicit-def: $sgpr26
	s_and_saveexec_b64 s[8:9], s[0:1]
	s_xor_b64 s[8:9], exec, s[8:9]
	s_cbranch_execnz .LBB282_1028
; %bb.769:                              ;   in Loop: Header=BB282_552 Depth=1
	s_or_saveexec_b64 s[8:9], s[8:9]
	v_mov_b32_e32 v31, s26
	s_xor_b64 exec, exec, s[8:9]
	s_cbranch_execnz .LBB282_1031
.LBB282_770:                            ;   in Loop: Header=BB282_552 Depth=1
	s_or_b64 exec, exec, s[8:9]
	s_and_saveexec_b64 s[8:9], s[6:7]
	s_cbranch_execz .LBB282_772
.LBB282_771:                            ;   in Loop: Header=BB282_552 Depth=1
	v_bfe_u32 v12, v26, 24, 3
	v_ffbh_u32_e32 v22, v12
	v_bfe_u32 v17, v26, 27, 4
	v_min_u32_e32 v26, 32, v22
	v_subrev_u32_e32 v22, 28, v26
	v_lshlrev_b64 v[22:23], v22, v[6:7]
	v_sub_u32_e32 v23, 29, v26
	v_cmp_eq_u32_e64 s[0:1], 0, v17
	v_and_b32_e32 v22, 7, v22
	v_lshlrev_b32_e32 v6, 8, v6
	v_cndmask_b32_e64 v17, v17, v23, s[0:1]
	v_lshl_add_u32 v17, v17, 10, v49
	v_cndmask_b32_e64 v12, v12, v22, s[0:1]
	v_and_or_b32 v6, v6, s21, v17
	v_lshl_or_b32 v6, v12, 7, v6
	v_cvt_f32_f16_e32 v31, v6
.LBB282_772:                            ;   in Loop: Header=BB282_552 Depth=1
	s_or_b64 exec, exec, s[8:9]
	v_cmp_gt_i16_sdwa s[6:7], v27, s17 src0_sel:BYTE_0 src1_sel:DWORD
	s_mov_b64 s[0:1], 0
                                        ; implicit-def: $sgpr18
	s_and_saveexec_b64 s[8:9], s[6:7]
	s_xor_b64 s[6:7], exec, s[8:9]
	s_cbranch_execnz .LBB282_1032
; %bb.773:                              ;   in Loop: Header=BB282_552 Depth=1
	s_or_saveexec_b64 s[6:7], s[6:7]
	v_mov_b32_e32 v17, s18
	s_xor_b64 exec, exec, s[6:7]
	s_cbranch_execnz .LBB282_1035
.LBB282_774:                            ;   in Loop: Header=BB282_552 Depth=1
	s_or_b64 exec, exec, s[6:7]
	v_mov_b32_e32 v6, v27
	s_and_saveexec_b64 s[6:7], s[0:1]
	s_cbranch_execz .LBB282_776
.LBB282_775:                            ;   in Loop: Header=BB282_552 Depth=1
	v_and_b32_e32 v12, 7, v27
	v_ffbh_u32_e32 v12, v12
	v_bfe_u32 v17, v27, 3, 4
	v_min_u32_e32 v12, 32, v12
	v_subrev_u32_e32 v22, 28, v12
	v_sub_u32_e32 v12, 29, v12
	v_cmp_eq_u32_e64 s[0:1], 0, v17
	s_nop 1
	v_cndmask_b32_e64 v12, v17, v12, s[0:1]
	v_cndmask_b32_e64 v17, 0, v22, s[0:1]
	v_lshlrev_b64 v[22:23], v17, v[6:7]
	v_lshlrev_b32_e32 v17, 7, v22
	v_lshlrev_b32_e32 v22, 8, v27
	v_lshl_add_u32 v12, v12, 10, v49
	v_and_or_b32 v12, v22, s21, v12
	v_and_or_b32 v12, v17, s22, v12
	v_cvt_f32_f16_e32 v17, v12
.LBB282_776:                            ;   in Loop: Header=BB282_552 Depth=1
	s_or_b64 exec, exec, s[6:7]
	v_lshrrev_b16_e32 v6, 8, v6
	v_cmp_lt_i16_e64 s[0:1], s17, v6
	s_mov_b64 s[6:7], 0
                                        ; implicit-def: $sgpr26
	s_and_saveexec_b64 s[8:9], s[0:1]
	s_xor_b64 s[8:9], exec, s[8:9]
	s_cbranch_execnz .LBB282_1036
; %bb.777:                              ;   in Loop: Header=BB282_552 Depth=1
	s_or_saveexec_b64 s[8:9], s[8:9]
	v_mov_b32_e32 v22, s26
	s_xor_b64 exec, exec, s[8:9]
	s_cbranch_execnz .LBB282_1039
.LBB282_778:                            ;   in Loop: Header=BB282_552 Depth=1
	s_or_b64 exec, exec, s[8:9]
	s_and_saveexec_b64 s[8:9], s[6:7]
	s_cbranch_execz .LBB282_780
.LBB282_779:                            ;   in Loop: Header=BB282_552 Depth=1
	v_and_b32_e32 v12, 7, v6
	v_ffbh_u32_e32 v22, v12
	v_min_u32_e32 v34, 32, v22
	v_subrev_u32_e32 v22, 28, v34
	v_bfe_u32 v26, v6, 3, 4
	v_lshlrev_b64 v[22:23], v22, v[6:7]
	v_sub_u32_e32 v23, 29, v34
	v_cmp_eq_u32_e64 s[0:1], 0, v26
	v_and_b32_e32 v22, 7, v22
	v_lshlrev_b32_e32 v6, 8, v6
	v_cndmask_b32_e64 v23, v26, v23, s[0:1]
	v_cndmask_b32_e64 v12, v12, v22, s[0:1]
	v_lshl_add_u32 v22, v23, 10, v49
	v_and_or_b32 v6, v6, s21, v22
	v_lshl_or_b32 v6, v12, 7, v6
	v_cvt_f32_f16_e32 v22, v6
.LBB282_780:                            ;   in Loop: Header=BB282_552 Depth=1
	s_or_b64 exec, exec, s[8:9]
	v_lshrrev_b32_e32 v6, 16, v27
	v_cmp_gt_i16_sdwa s[6:7], v6, s17 src0_sel:BYTE_0 src1_sel:DWORD
	s_mov_b64 s[0:1], 0
                                        ; implicit-def: $sgpr18
	s_and_saveexec_b64 s[8:9], s[6:7]
	s_xor_b64 s[6:7], exec, s[8:9]
	s_cbranch_execnz .LBB282_1040
; %bb.781:                              ;   in Loop: Header=BB282_552 Depth=1
	s_or_saveexec_b64 s[6:7], s[6:7]
	v_mov_b32_e32 v23, s18
	s_xor_b64 exec, exec, s[6:7]
	s_cbranch_execnz .LBB282_1043
.LBB282_782:                            ;   in Loop: Header=BB282_552 Depth=1
	s_or_b64 exec, exec, s[6:7]
	s_and_saveexec_b64 s[6:7], s[0:1]
	s_cbranch_execz .LBB282_784
.LBB282_783:                            ;   in Loop: Header=BB282_552 Depth=1
	v_bfe_u32 v12, v27, 16, 3
	v_ffbh_u32_e32 v26, v12
	v_bfe_u32 v23, v27, 19, 4
	v_min_u32_e32 v26, 32, v26
	v_subrev_u32_e32 v34, 28, v26
	v_sub_u32_e32 v26, 29, v26
	v_cmp_eq_u32_e64 s[0:1], 0, v23
	v_lshlrev_b64 v[60:61], v34, v[6:7]
	v_and_b32_e32 v34, 7, v60
	v_cndmask_b32_e64 v23, v23, v26, s[0:1]
	v_lshlrev_b32_e32 v6, 8, v6
	v_lshl_add_u32 v23, v23, 10, v49
	v_cndmask_b32_e64 v12, v12, v34, s[0:1]
	v_and_or_b32 v6, v6, s21, v23
	v_lshl_or_b32 v6, v12, 7, v6
	v_cvt_f32_f16_e32 v23, v6
.LBB282_784:                            ;   in Loop: Header=BB282_552 Depth=1
	s_or_b64 exec, exec, s[6:7]
	v_lshrrev_b32_e32 v6, 24, v27
	v_cmp_lt_i16_e64 s[0:1], s17, v6
	s_mov_b64 s[6:7], 0
                                        ; implicit-def: $sgpr26
	s_and_saveexec_b64 s[8:9], s[0:1]
	s_xor_b64 s[8:9], exec, s[8:9]
	s_cbranch_execnz .LBB282_1044
; %bb.785:                              ;   in Loop: Header=BB282_552 Depth=1
	s_or_saveexec_b64 s[8:9], s[8:9]
	v_mov_b32_e32 v34, s26
	s_xor_b64 exec, exec, s[8:9]
	s_cbranch_execnz .LBB282_1047
.LBB282_786:                            ;   in Loop: Header=BB282_552 Depth=1
	s_or_b64 exec, exec, s[8:9]
	s_and_saveexec_b64 s[8:9], s[6:7]
	s_cbranch_execz .LBB282_788
.LBB282_787:                            ;   in Loop: Header=BB282_552 Depth=1
	v_bfe_u32 v12, v27, 24, 3
	v_ffbh_u32_e32 v26, v12
	v_min_u32_e32 v60, 32, v26
	v_subrev_u32_e32 v26, 28, v60
	v_bfe_u32 v34, v27, 27, 4
	v_lshlrev_b64 v[26:27], v26, v[6:7]
	v_sub_u32_e32 v27, 29, v60
	v_cmp_eq_u32_e64 s[0:1], 0, v34
	v_and_b32_e32 v26, 7, v26
	v_lshlrev_b32_e32 v6, 8, v6
	v_cndmask_b32_e64 v27, v34, v27, s[0:1]
	v_cndmask_b32_e64 v12, v12, v26, s[0:1]
	v_lshl_add_u32 v26, v27, 10, v49
	v_and_or_b32 v6, v6, s21, v26
	v_lshl_or_b32 v6, v12, 7, v6
	v_cvt_f32_f16_e32 v34, v6
.LBB282_788:                            ;   in Loop: Header=BB282_552 Depth=1
	s_or_b64 exec, exec, s[8:9]
	v_pk_mul_f32 v[26:27], v[16:17], v[30:31] op_sel_hi:[0,1]
	v_pk_mul_f32 v[28:29], v[16:17], v[28:29] op_sel_hi:[0,1]
	v_cvt_f16_f32_e32 v6, v27
	v_cvt_f16_f32_e32 v12, v26
	;; [unrolled: 1-line block ×4, first 2 shown]
	v_fma_mixlo_f16 v17, v16, v17, 0
	v_pack_b32_f16 v12, v12, v6
	v_pack_b32_f16 v26, v27, v26
	v_perm_b32 v6, v26, v12, s23
	v_perm_b32 v26, v26, v12, s24
	v_fma_mixlo_f16 v12, v16, v22, 0
	v_lshlrev_b32_e32 v12, 16, v12
	v_or_b32_sdwa v17, v12, v17 dst_sel:DWORD dst_unused:UNUSED_PAD src0_sel:DWORD src1_sel:WORD_0
	v_fma_mixlo_f16 v12, v16, v34, 0
	v_fma_mixlo_f16 v22, v16, v23, 0
	v_lshlrev_b32_e32 v12, 16, v12
	v_or_b32_sdwa v16, v12, v22 dst_sel:DWORD dst_unused:UNUSED_PAD src0_sel:DWORD src1_sel:WORD_0
	s_and_saveexec_b64 s[6:7], vcc
	s_cbranch_execz .LBB282_790
; %bb.789:                              ;   in Loop: Header=BB282_552 Depth=1
	v_lshrrev_b32_e32 v12, 16, v26
	v_cmp_lt_i32_e64 s[0:1], v44, v13
	v_accvgpr_read_b32 v28, a8
	s_nop 0
	v_cndmask_b32_e64 v12, 0, v12, s[0:1]
	v_cmp_lt_i32_e64 s[0:1], v39, v28
	s_nop 1
	v_cndmask_b32_e64 v23, 0, v26, s[0:1]
	v_perm_b32 v26, v12, v23, s25
	v_lshrrev_b32_e32 v12, 16, v6
	v_cmp_lt_i32_e64 s[0:1], v55, v13
	s_nop 1
	v_cndmask_b32_e64 v12, 0, v12, s[0:1]
	v_cmp_lt_i32_e64 s[0:1], v54, v28
	s_nop 1
	v_cndmask_b32_e64 v6, 0, v6, s[0:1]
	v_perm_b32 v6, v12, v6, s25
	v_lshrrev_b32_e32 v12, 16, v17
	v_cmp_lt_i32_e64 s[0:1], v53, v13
	;; [unrolled: 8-line block ×3, first 2 shown]
	s_nop 1
	v_cndmask_b32_e64 v12, 0, v12, s[0:1]
	v_cmp_lt_i32_e64 s[0:1], v50, v28
	s_nop 1
	v_cndmask_b32_e64 v16, 0, v22, s[0:1]
	v_perm_b32 v16, v12, v16, s25
.LBB282_790:                            ;   in Loop: Header=BB282_552 Depth=1
	s_or_b64 exec, exec, s[6:7]
	;;#ASMSTART
	v_pk_mul_f16 v12, v40, v26;

	;;#ASMEND
	;;#ASMSTART
	v_pk_mul_f16 v6, v41, v6;

	;;#ASMEND
	;; [unrolled: 4-line block ×4, first 2 shown]
	s_mov_b64 s[0:1], 0
	;;#ASMSTART
	v_pk_add_f16 v6, v12, v6;

	;;#ASMEND
                                        ; implicit-def: $sgpr18
	s_nop 0
	;;#ASMSTART
	v_pk_add_f16 v6, v6, v17;

	;;#ASMEND
	s_nop 0
	;;#ASMSTART
	v_pk_add_f16 v6, v6, v16;

	;;#ASMEND
	s_nop 0
	v_lshrrev_b32_e32 v12, 16, v6
	v_and_b32_e32 v6, 0xffff, v6
	;;#ASMSTART
	v_cvt_f32_f16 v22, v6;
	;;#ASMEND
	;;#ASMSTART
	v_cvt_f32_f16 v23, v12;
	;;#ASMEND
	flat_load_dwordx2 v[16:17], v[10:11] offset:3584
	v_accvgpr_read_b32 v11, a5
	v_accvgpr_read_b32 v10, a4
	flat_load_dword v10, v[10:11]
	s_waitcnt vmcnt(0) lgkmcnt(0)
	v_cmp_gt_i16_sdwa s[6:7], v16, s17 src0_sel:BYTE_0 src1_sel:DWORD
	s_and_saveexec_b64 s[8:9], s[6:7]
	s_xor_b64 s[6:7], exec, s[8:9]
	s_cbranch_execnz .LBB282_1048
; %bb.791:                              ;   in Loop: Header=BB282_552 Depth=1
	s_or_saveexec_b64 s[6:7], s[6:7]
	v_mov_b32_e32 v26, s18
	s_xor_b64 exec, exec, s[6:7]
	s_cbranch_execnz .LBB282_1051
.LBB282_792:                            ;   in Loop: Header=BB282_552 Depth=1
	s_or_b64 exec, exec, s[6:7]
	s_and_saveexec_b64 s[6:7], s[0:1]
	s_cbranch_execz .LBB282_794
.LBB282_793:                            ;   in Loop: Header=BB282_552 Depth=1
	v_and_b32_e32 v6, 7, v16
	v_ffbh_u32_e32 v6, v6
	v_bfe_u32 v11, v16, 3, 4
	v_min_u32_e32 v6, 32, v6
	v_subrev_u32_e32 v12, 28, v6
	v_sub_u32_e32 v6, 29, v6
	v_cmp_eq_u32_e64 s[0:1], 0, v11
	s_nop 1
	v_cndmask_b32_e64 v6, v11, v6, s[0:1]
	v_cndmask_b32_e64 v11, 0, v12, s[0:1]
	v_lshlrev_b64 v[26:27], v11, v[16:17]
	v_lshlrev_b32_e32 v12, 8, v16
	v_lshl_add_u32 v6, v6, 10, v49
	v_lshlrev_b32_e32 v11, 7, v26
	v_and_or_b32 v6, v12, s21, v6
	v_and_or_b32 v6, v11, s22, v6
	v_cvt_f32_f16_e32 v26, v6
.LBB282_794:                            ;   in Loop: Header=BB282_552 Depth=1
	s_or_b64 exec, exec, s[6:7]
	v_lshrrev_b16_e32 v6, 8, v16
	v_cmp_lt_i16_e64 s[0:1], s17, v6
	s_mov_b64 s[6:7], 0
                                        ; implicit-def: $sgpr26
	s_and_saveexec_b64 s[8:9], s[0:1]
	s_xor_b64 s[8:9], exec, s[8:9]
	s_cbranch_execnz .LBB282_1052
; %bb.795:                              ;   in Loop: Header=BB282_552 Depth=1
	s_or_saveexec_b64 s[8:9], s[8:9]
	v_mov_b32_e32 v28, s26
	s_xor_b64 exec, exec, s[8:9]
	s_cbranch_execnz .LBB282_1055
.LBB282_796:                            ;   in Loop: Header=BB282_552 Depth=1
	s_or_b64 exec, exec, s[8:9]
	s_and_saveexec_b64 s[8:9], s[6:7]
	s_cbranch_execz .LBB282_798
.LBB282_797:                            ;   in Loop: Header=BB282_552 Depth=1
	v_and_b32_e32 v11, 7, v6
	v_ffbh_u32_e32 v27, v11
	v_bfe_u32 v12, v6, 3, 4
	v_min_u32_e32 v27, 32, v27
	v_subrev_u32_e32 v28, 28, v27
	v_sub_u32_e32 v27, 29, v27
	v_cmp_eq_u32_e64 s[0:1], 0, v12
	v_lshlrev_b64 v[28:29], v28, v[6:7]
	v_and_b32_e32 v28, 7, v28
	v_cndmask_b32_e64 v12, v12, v27, s[0:1]
	v_lshlrev_b32_e32 v6, 8, v6
	v_lshl_add_u32 v12, v12, 10, v49
	v_cndmask_b32_e64 v11, v11, v28, s[0:1]
	v_and_or_b32 v6, v6, s21, v12
	v_lshl_or_b32 v6, v11, 7, v6
	v_cvt_f32_f16_e32 v28, v6
.LBB282_798:                            ;   in Loop: Header=BB282_552 Depth=1
	s_or_b64 exec, exec, s[8:9]
	v_lshrrev_b32_e32 v6, 16, v16
	v_cmp_gt_i16_sdwa s[6:7], v6, s17 src0_sel:BYTE_0 src1_sel:DWORD
	s_mov_b64 s[0:1], 0
                                        ; implicit-def: $sgpr18
	s_and_saveexec_b64 s[8:9], s[6:7]
	s_xor_b64 s[6:7], exec, s[8:9]
	s_cbranch_execnz .LBB282_1056
; %bb.799:                              ;   in Loop: Header=BB282_552 Depth=1
	s_or_saveexec_b64 s[6:7], s[6:7]
	v_mov_b32_e32 v27, s18
	s_xor_b64 exec, exec, s[6:7]
	s_cbranch_execnz .LBB282_1059
.LBB282_800:                            ;   in Loop: Header=BB282_552 Depth=1
	s_or_b64 exec, exec, s[6:7]
	s_and_saveexec_b64 s[6:7], s[0:1]
	s_cbranch_execz .LBB282_802
.LBB282_801:                            ;   in Loop: Header=BB282_552 Depth=1
	v_bfe_u32 v11, v16, 16, 3
	v_ffbh_u32_e32 v27, v11
	v_bfe_u32 v12, v16, 19, 4
	v_min_u32_e32 v27, 32, v27
	v_subrev_u32_e32 v29, 28, v27
	v_sub_u32_e32 v27, 29, v27
	v_cmp_eq_u32_e64 s[0:1], 0, v12
	v_lshlrev_b64 v[30:31], v29, v[6:7]
	v_and_b32_e32 v29, 7, v30
	v_cndmask_b32_e64 v12, v12, v27, s[0:1]
	v_lshlrev_b32_e32 v6, 8, v6
	v_lshl_add_u32 v12, v12, 10, v49
	v_cndmask_b32_e64 v11, v11, v29, s[0:1]
	v_and_or_b32 v6, v6, s21, v12
	v_lshl_or_b32 v6, v11, 7, v6
	v_cvt_f32_f16_e32 v27, v6
.LBB282_802:                            ;   in Loop: Header=BB282_552 Depth=1
	s_or_b64 exec, exec, s[6:7]
	v_lshrrev_b32_e32 v6, 24, v16
	v_cmp_lt_i16_e64 s[0:1], s17, v6
	s_mov_b64 s[6:7], 0
                                        ; implicit-def: $sgpr26
	s_and_saveexec_b64 s[8:9], s[0:1]
	s_xor_b64 s[8:9], exec, s[8:9]
	s_cbranch_execnz .LBB282_1060
; %bb.803:                              ;   in Loop: Header=BB282_552 Depth=1
	s_or_saveexec_b64 s[8:9], s[8:9]
	v_mov_b32_e32 v29, s26
	s_xor_b64 exec, exec, s[8:9]
	s_cbranch_execnz .LBB282_1063
.LBB282_804:                            ;   in Loop: Header=BB282_552 Depth=1
	s_or_b64 exec, exec, s[8:9]
	s_and_saveexec_b64 s[8:9], s[6:7]
	s_cbranch_execz .LBB282_806
.LBB282_805:                            ;   in Loop: Header=BB282_552 Depth=1
	v_bfe_u32 v11, v16, 24, 3
	v_bfe_u32 v12, v16, 27, 4
	v_ffbh_u32_e32 v16, v11
	v_min_u32_e32 v16, 32, v16
	v_subrev_u32_e32 v29, 28, v16
	v_sub_u32_e32 v16, 29, v16
	v_cmp_eq_u32_e64 s[0:1], 0, v12
	v_lshlrev_b64 v[30:31], v29, v[6:7]
	v_and_b32_e32 v29, 7, v30
	v_cndmask_b32_e64 v12, v12, v16, s[0:1]
	v_lshlrev_b32_e32 v6, 8, v6
	v_lshl_add_u32 v12, v12, 10, v49
	v_cndmask_b32_e64 v11, v11, v29, s[0:1]
	v_and_or_b32 v6, v6, s21, v12
	v_lshl_or_b32 v6, v11, 7, v6
	v_cvt_f32_f16_e32 v29, v6
.LBB282_806:                            ;   in Loop: Header=BB282_552 Depth=1
	s_or_b64 exec, exec, s[8:9]
	v_cmp_gt_i16_sdwa s[6:7], v17, s17 src0_sel:BYTE_0 src1_sel:DWORD
	s_mov_b64 s[0:1], 0
                                        ; implicit-def: $sgpr18
	s_and_saveexec_b64 s[8:9], s[6:7]
	s_xor_b64 s[6:7], exec, s[8:9]
	s_cbranch_execnz .LBB282_1064
; %bb.807:                              ;   in Loop: Header=BB282_552 Depth=1
	s_or_saveexec_b64 s[6:7], s[6:7]
	v_mov_b32_e32 v11, s18
	s_xor_b64 exec, exec, s[6:7]
	s_cbranch_execnz .LBB282_1067
.LBB282_808:                            ;   in Loop: Header=BB282_552 Depth=1
	s_or_b64 exec, exec, s[6:7]
	v_mov_b32_e32 v6, v17
	s_and_saveexec_b64 s[6:7], s[0:1]
	s_cbranch_execz .LBB282_810
.LBB282_809:                            ;   in Loop: Header=BB282_552 Depth=1
	v_and_b32_e32 v11, 7, v17
	v_ffbh_u32_e32 v11, v11
	v_bfe_u32 v12, v17, 3, 4
	v_min_u32_e32 v11, 32, v11
	v_subrev_u32_e32 v16, 28, v11
	v_sub_u32_e32 v11, 29, v11
	v_cmp_eq_u32_e64 s[0:1], 0, v12
	s_nop 1
	v_cndmask_b32_e64 v11, v12, v11, s[0:1]
	v_cndmask_b32_e64 v12, 0, v16, s[0:1]
	v_lshlrev_b64 v[30:31], v12, v[6:7]
	v_lshlrev_b32_e32 v16, 8, v17
	v_lshl_add_u32 v11, v11, 10, v49
	v_lshlrev_b32_e32 v12, 7, v30
	v_and_or_b32 v11, v16, s21, v11
	v_and_or_b32 v11, v12, s22, v11
	v_cvt_f32_f16_e32 v11, v11
.LBB282_810:                            ;   in Loop: Header=BB282_552 Depth=1
	s_or_b64 exec, exec, s[6:7]
	v_lshrrev_b16_e32 v6, 8, v6
	v_cmp_lt_i16_e64 s[0:1], s17, v6
	s_mov_b64 s[6:7], 0
                                        ; implicit-def: $sgpr26
	s_and_saveexec_b64 s[8:9], s[0:1]
	s_xor_b64 s[8:9], exec, s[8:9]
	s_cbranch_execnz .LBB282_1068
; %bb.811:                              ;   in Loop: Header=BB282_552 Depth=1
	s_or_saveexec_b64 s[8:9], s[8:9]
	v_mov_b32_e32 v16, s26
	s_xor_b64 exec, exec, s[8:9]
	s_cbranch_execnz .LBB282_1071
.LBB282_812:                            ;   in Loop: Header=BB282_552 Depth=1
	s_or_b64 exec, exec, s[8:9]
	s_and_saveexec_b64 s[8:9], s[6:7]
	s_cbranch_execz .LBB282_814
.LBB282_813:                            ;   in Loop: Header=BB282_552 Depth=1
	v_and_b32_e32 v12, 7, v6
	v_ffbh_u32_e32 v30, v12
	v_min_u32_e32 v34, 32, v30
	v_subrev_u32_e32 v30, 28, v34
	v_bfe_u32 v16, v6, 3, 4
	v_lshlrev_b64 v[30:31], v30, v[6:7]
	v_sub_u32_e32 v31, 29, v34
	v_cmp_eq_u32_e64 s[0:1], 0, v16
	v_and_b32_e32 v30, 7, v30
	v_lshlrev_b32_e32 v6, 8, v6
	v_cndmask_b32_e64 v16, v16, v31, s[0:1]
	v_lshl_add_u32 v16, v16, 10, v49
	v_cndmask_b32_e64 v12, v12, v30, s[0:1]
	v_and_or_b32 v6, v6, s21, v16
	v_lshl_or_b32 v6, v12, 7, v6
	v_cvt_f32_f16_e32 v16, v6
.LBB282_814:                            ;   in Loop: Header=BB282_552 Depth=1
	s_or_b64 exec, exec, s[8:9]
	v_lshrrev_b32_e32 v6, 16, v17
	v_cmp_gt_i16_sdwa s[6:7], v6, s17 src0_sel:BYTE_0 src1_sel:DWORD
	s_mov_b64 s[0:1], 0
                                        ; implicit-def: $sgpr18
	s_and_saveexec_b64 s[8:9], s[6:7]
	s_xor_b64 s[6:7], exec, s[8:9]
	s_cbranch_execnz .LBB282_1072
; %bb.815:                              ;   in Loop: Header=BB282_552 Depth=1
	s_or_saveexec_b64 s[6:7], s[6:7]
	v_mov_b32_e32 v30, s18
	s_xor_b64 exec, exec, s[6:7]
	s_cbranch_execnz .LBB282_1075
.LBB282_816:                            ;   in Loop: Header=BB282_552 Depth=1
	s_or_b64 exec, exec, s[6:7]
	s_and_saveexec_b64 s[6:7], s[0:1]
	s_cbranch_execz .LBB282_818
.LBB282_817:                            ;   in Loop: Header=BB282_552 Depth=1
	v_bfe_u32 v12, v17, 16, 3
	v_ffbh_u32_e32 v30, v12
	v_min_u32_e32 v60, 32, v30
	v_subrev_u32_e32 v30, 28, v60
	v_bfe_u32 v34, v17, 19, 4
	v_lshlrev_b64 v[30:31], v30, v[6:7]
	v_sub_u32_e32 v31, 29, v60
	v_cmp_eq_u32_e64 s[0:1], 0, v34
	v_and_b32_e32 v30, 7, v30
	v_lshlrev_b32_e32 v6, 8, v6
	v_cndmask_b32_e64 v31, v34, v31, s[0:1]
	v_cndmask_b32_e64 v12, v12, v30, s[0:1]
	v_lshl_add_u32 v30, v31, 10, v49
	v_and_or_b32 v6, v6, s21, v30
	v_lshl_or_b32 v6, v12, 7, v6
	v_cvt_f32_f16_e32 v30, v6
.LBB282_818:                            ;   in Loop: Header=BB282_552 Depth=1
	s_or_b64 exec, exec, s[6:7]
	v_lshrrev_b32_e32 v6, 24, v17
	v_cmp_lt_i16_e64 s[0:1], s17, v6
	s_mov_b64 s[6:7], 0
                                        ; implicit-def: $sgpr26
	s_and_saveexec_b64 s[8:9], s[0:1]
	s_xor_b64 s[8:9], exec, s[8:9]
	s_cbranch_execnz .LBB282_1076
; %bb.819:                              ;   in Loop: Header=BB282_552 Depth=1
	s_or_saveexec_b64 s[8:9], s[8:9]
	v_mov_b32_e32 v31, s26
	s_xor_b64 exec, exec, s[8:9]
	s_cbranch_execnz .LBB282_1079
.LBB282_820:                            ;   in Loop: Header=BB282_552 Depth=1
	s_or_b64 exec, exec, s[8:9]
	s_and_saveexec_b64 s[8:9], s[6:7]
	s_cbranch_execz .LBB282_822
.LBB282_821:                            ;   in Loop: Header=BB282_552 Depth=1
	v_bfe_u32 v12, v17, 24, 3
	v_ffbh_u32_e32 v31, v12
	v_bfe_u32 v17, v17, 27, 4
	v_min_u32_e32 v31, 32, v31
	v_subrev_u32_e32 v34, 28, v31
	v_sub_u32_e32 v31, 29, v31
	v_cmp_eq_u32_e64 s[0:1], 0, v17
	v_lshlrev_b64 v[60:61], v34, v[6:7]
	v_and_b32_e32 v34, 7, v60
	v_cndmask_b32_e64 v17, v17, v31, s[0:1]
	v_lshlrev_b32_e32 v6, 8, v6
	v_lshl_add_u32 v17, v17, 10, v49
	v_cndmask_b32_e64 v12, v12, v34, s[0:1]
	v_and_or_b32 v6, v6, s21, v17
	v_lshl_or_b32 v6, v12, 7, v6
	v_cvt_f32_f16_e32 v31, v6
.LBB282_822:                            ;   in Loop: Header=BB282_552 Depth=1
	s_or_b64 exec, exec, s[8:9]
	v_pk_mul_f32 v[28:29], v[10:11], v[28:29] op_sel_hi:[0,1]
	v_pk_mul_f32 v[26:27], v[10:11], v[26:27] op_sel_hi:[0,1]
	v_cvt_f16_f32_e32 v6, v29
	v_cvt_f16_f32_e32 v12, v28
	;; [unrolled: 1-line block ×4, first 2 shown]
	v_fma_mixlo_f16 v11, v10, v11, 0
	v_pack_b32_f16 v12, v12, v6
	v_pack_b32_f16 v17, v26, v17
	v_perm_b32 v6, v17, v12, s23
	v_perm_b32 v17, v17, v12, s24
	v_fma_mixlo_f16 v12, v10, v16, 0
	v_fma_mixlo_f16 v16, v10, v30, 0
	;; [unrolled: 1-line block ×3, first 2 shown]
	v_lshlrev_b32_e32 v12, 16, v12
	v_lshlrev_b32_e32 v10, 16, v10
	v_or_b32_sdwa v11, v12, v11 dst_sel:DWORD dst_unused:UNUSED_PAD src0_sel:DWORD src1_sel:WORD_0
	v_or_b32_sdwa v10, v10, v16 dst_sel:DWORD dst_unused:UNUSED_PAD src0_sel:DWORD src1_sel:WORD_0
	s_and_saveexec_b64 s[0:1], vcc
	s_cbranch_execz .LBB282_551
; %bb.823:                              ;   in Loop: Header=BB282_552 Depth=1
	v_lshrrev_b32_e32 v12, 16, v17
	v_cmp_lt_i32_e32 vcc, v44, v13
	v_accvgpr_read_b32 v26, a8
	v_lshrrev_b32_e32 v10, 16, v10
	v_cndmask_b32_e32 v12, 0, v12, vcc
	v_cmp_lt_i32_e32 vcc, v39, v26
	s_nop 1
	v_cndmask_b32_e32 v17, 0, v17, vcc
	v_perm_b32 v17, v12, v17, s25
	v_lshrrev_b32_e32 v12, 16, v6
	v_cmp_lt_i32_e32 vcc, v55, v13
	s_nop 1
	v_cndmask_b32_e32 v12, 0, v12, vcc
	v_cmp_lt_i32_e32 vcc, v54, v26
	s_nop 1
	v_cndmask_b32_e32 v6, 0, v6, vcc
	v_perm_b32 v6, v12, v6, s25
	v_lshrrev_b32_e32 v12, 16, v11
	v_cmp_lt_i32_e32 vcc, v53, v13
	s_nop 1
	v_cndmask_b32_e32 v12, 0, v12, vcc
	v_cmp_lt_i32_e32 vcc, v52, v26
	s_nop 1
	v_cndmask_b32_e32 v11, 0, v11, vcc
	v_cmp_lt_i32_e32 vcc, v51, v13
	v_perm_b32 v11, v12, v11, s25
	s_nop 0
	v_cndmask_b32_e32 v10, 0, v10, vcc
	v_cmp_lt_i32_e32 vcc, v50, v26
	s_nop 1
	v_cndmask_b32_e32 v12, 0, v16, vcc
	v_perm_b32 v10, v10, v12, s25
	s_branch .LBB282_551
.LBB282_824:                            ;   in Loop: Header=BB282_552 Depth=1
	v_cmp_eq_u16_sdwa s[26:27], v26, s20 src0_sel:BYTE_0 src1_sel:DWORD
	s_mov_b64 s[0:1], -1
                                        ; implicit-def: $sgpr18
	s_and_saveexec_b64 s[8:9], s[26:27]
; %bb.825:                              ;   in Loop: Header=BB282_552 Depth=1
	s_mov_b32 s18, 0x7fc02000
	s_xor_b64 s[0:1], exec, -1
; %bb.826:                              ;   in Loop: Header=BB282_552 Depth=1
	s_or_b64 exec, exec, s[8:9]
	s_and_b64 s[0:1], s[0:1], exec
	s_or_saveexec_b64 s[6:7], s[6:7]
	v_mov_b32_e32 v28, s18
	s_xor_b64 exec, exec, s[6:7]
	s_cbranch_execz .LBB282_554
.LBB282_827:                            ;   in Loop: Header=BB282_552 Depth=1
	v_cmp_ne_u16_sdwa s[8:9], v26, v7 src0_sel:BYTE_0 src1_sel:DWORD
	s_andn2_b64 s[0:1], s[0:1], exec
	s_and_b64 s[8:9], s[8:9], exec
	v_mov_b32_e32 v28, 0
	s_or_b64 s[0:1], s[0:1], s[8:9]
	s_or_b64 exec, exec, s[6:7]
	s_and_saveexec_b64 s[6:7], s[0:1]
	s_cbranch_execnz .LBB282_555
	s_branch .LBB282_556
.LBB282_828:                            ;   in Loop: Header=BB282_552 Depth=1
	v_cmp_eq_u16_e32 vcc, s20, v6
	s_mov_b64 s[0:1], -1
                                        ; implicit-def: $sgpr18
	s_and_saveexec_b64 s[8:9], vcc
; %bb.829:                              ;   in Loop: Header=BB282_552 Depth=1
	s_mov_b32 s18, 0x7fc02000
	s_xor_b64 s[0:1], exec, -1
; %bb.830:                              ;   in Loop: Header=BB282_552 Depth=1
	s_or_b64 exec, exec, s[8:9]
	s_and_b64 s[0:1], s[0:1], exec
	s_or_saveexec_b64 s[6:7], s[6:7]
	v_mov_b32_e32 v30, s18
	s_xor_b64 exec, exec, s[6:7]
	s_cbranch_execz .LBB282_558
.LBB282_831:                            ;   in Loop: Header=BB282_552 Depth=1
	v_cmp_ne_u16_e32 vcc, 0, v6
	s_andn2_b64 s[0:1], s[0:1], exec
	s_and_b64 s[8:9], vcc, exec
	v_mov_b32_e32 v30, 0
	s_or_b64 s[0:1], s[0:1], s[8:9]
	s_or_b64 exec, exec, s[6:7]
	s_and_saveexec_b64 s[6:7], s[0:1]
	s_cbranch_execnz .LBB282_559
	s_branch .LBB282_560
.LBB282_832:                            ;   in Loop: Header=BB282_552 Depth=1
	v_cmp_eq_u16_sdwa s[26:27], v6, s20 src0_sel:BYTE_0 src1_sel:DWORD
	s_mov_b64 s[0:1], -1
                                        ; implicit-def: $sgpr18
	s_and_saveexec_b64 s[8:9], s[26:27]
; %bb.833:                              ;   in Loop: Header=BB282_552 Depth=1
	s_mov_b32 s18, 0x7fc02000
	s_xor_b64 s[0:1], exec, -1
; %bb.834:                              ;   in Loop: Header=BB282_552 Depth=1
	s_or_b64 exec, exec, s[8:9]
	s_and_b64 s[0:1], s[0:1], exec
	s_or_saveexec_b64 s[6:7], s[6:7]
	v_mov_b32_e32 v29, s18
	s_xor_b64 exec, exec, s[6:7]
	s_cbranch_execz .LBB282_562
.LBB282_835:                            ;   in Loop: Header=BB282_552 Depth=1
	v_cmp_ne_u16_sdwa s[8:9], v6, v7 src0_sel:BYTE_0 src1_sel:DWORD
	s_andn2_b64 s[0:1], s[0:1], exec
	s_and_b64 s[8:9], s[8:9], exec
	v_mov_b32_e32 v29, 0
	s_or_b64 s[0:1], s[0:1], s[8:9]
	s_or_b64 exec, exec, s[6:7]
	s_and_saveexec_b64 s[6:7], s[0:1]
	s_cbranch_execnz .LBB282_563
	s_branch .LBB282_564
.LBB282_836:                            ;   in Loop: Header=BB282_552 Depth=1
	v_cmp_eq_u16_e32 vcc, s20, v6
	s_mov_b64 s[0:1], -1
                                        ; implicit-def: $sgpr18
	s_and_saveexec_b64 s[8:9], vcc
; %bb.837:                              ;   in Loop: Header=BB282_552 Depth=1
	s_mov_b32 s18, 0x7fc02000
	s_xor_b64 s[0:1], exec, -1
; %bb.838:                              ;   in Loop: Header=BB282_552 Depth=1
	s_or_b64 exec, exec, s[8:9]
	s_and_b64 s[0:1], s[0:1], exec
	s_or_saveexec_b64 s[6:7], s[6:7]
	v_mov_b32_e32 v31, s18
	s_xor_b64 exec, exec, s[6:7]
	s_cbranch_execz .LBB282_566
.LBB282_839:                            ;   in Loop: Header=BB282_552 Depth=1
	v_cmp_ne_u16_e32 vcc, 0, v6
	s_andn2_b64 s[0:1], s[0:1], exec
	s_and_b64 s[8:9], vcc, exec
	v_mov_b32_e32 v31, 0
	s_or_b64 s[0:1], s[0:1], s[8:9]
	s_or_b64 exec, exec, s[6:7]
	s_and_saveexec_b64 s[6:7], s[0:1]
	s_cbranch_execnz .LBB282_567
	s_branch .LBB282_568
.LBB282_840:                            ;   in Loop: Header=BB282_552 Depth=1
	v_cmp_eq_u16_sdwa s[26:27], v27, s20 src0_sel:BYTE_0 src1_sel:DWORD
	s_mov_b64 s[0:1], -1
                                        ; implicit-def: $sgpr18
	s_and_saveexec_b64 s[8:9], s[26:27]
; %bb.841:                              ;   in Loop: Header=BB282_552 Depth=1
	s_mov_b32 s18, 0x7fc02000
	s_xor_b64 s[0:1], exec, -1
; %bb.842:                              ;   in Loop: Header=BB282_552 Depth=1
	s_or_b64 exec, exec, s[8:9]
	s_and_b64 s[0:1], s[0:1], exec
	s_or_saveexec_b64 s[6:7], s[6:7]
	v_mov_b32_e32 v26, s18
	s_xor_b64 exec, exec, s[6:7]
	s_cbranch_execz .LBB282_570
.LBB282_843:                            ;   in Loop: Header=BB282_552 Depth=1
	v_cmp_ne_u16_sdwa s[8:9], v27, v7 src0_sel:BYTE_0 src1_sel:DWORD
	s_andn2_b64 s[0:1], s[0:1], exec
	s_and_b64 s[8:9], s[8:9], exec
	v_mov_b32_e32 v26, 0
	s_or_b64 s[0:1], s[0:1], s[8:9]
	s_or_b64 exec, exec, s[6:7]
	v_mov_b32_e32 v6, v27
	s_and_saveexec_b64 s[6:7], s[0:1]
	s_cbranch_execnz .LBB282_571
	s_branch .LBB282_572
.LBB282_844:                            ;   in Loop: Header=BB282_552 Depth=1
	v_cmp_eq_u16_e32 vcc, s20, v6
	s_mov_b64 s[0:1], -1
                                        ; implicit-def: $sgpr18
	s_and_saveexec_b64 s[8:9], vcc
; %bb.845:                              ;   in Loop: Header=BB282_552 Depth=1
	s_mov_b32 s18, 0x7fc02000
	s_xor_b64 s[0:1], exec, -1
; %bb.846:                              ;   in Loop: Header=BB282_552 Depth=1
	s_or_b64 exec, exec, s[8:9]
	s_and_b64 s[0:1], s[0:1], exec
	s_or_saveexec_b64 s[6:7], s[6:7]
	v_mov_b32_e32 v34, s18
	s_xor_b64 exec, exec, s[6:7]
	s_cbranch_execz .LBB282_574
.LBB282_847:                            ;   in Loop: Header=BB282_552 Depth=1
	v_cmp_ne_u16_e32 vcc, 0, v6
	s_andn2_b64 s[0:1], s[0:1], exec
	s_and_b64 s[8:9], vcc, exec
	v_mov_b32_e32 v34, 0
	s_or_b64 s[0:1], s[0:1], s[8:9]
	s_or_b64 exec, exec, s[6:7]
	s_and_saveexec_b64 s[6:7], s[0:1]
	s_cbranch_execnz .LBB282_575
	s_branch .LBB282_576
.LBB282_848:                            ;   in Loop: Header=BB282_552 Depth=1
	v_cmp_eq_u16_sdwa s[26:27], v6, s20 src0_sel:BYTE_0 src1_sel:DWORD
	s_mov_b64 s[0:1], -1
                                        ; implicit-def: $sgpr18
	s_and_saveexec_b64 s[8:9], s[26:27]
; %bb.849:                              ;   in Loop: Header=BB282_552 Depth=1
	s_mov_b32 s18, 0x7fc02000
	s_xor_b64 s[0:1], exec, -1
; %bb.850:                              ;   in Loop: Header=BB282_552 Depth=1
	s_or_b64 exec, exec, s[8:9]
	s_and_b64 s[0:1], s[0:1], exec
	s_or_saveexec_b64 s[6:7], s[6:7]
	v_mov_b32_e32 v50, s18
	s_xor_b64 exec, exec, s[6:7]
	s_cbranch_execz .LBB282_578
.LBB282_851:                            ;   in Loop: Header=BB282_552 Depth=1
	v_cmp_ne_u16_sdwa s[8:9], v6, v7 src0_sel:BYTE_0 src1_sel:DWORD
	s_andn2_b64 s[0:1], s[0:1], exec
	s_and_b64 s[8:9], s[8:9], exec
	v_mov_b32_e32 v50, 0
	s_or_b64 s[0:1], s[0:1], s[8:9]
	s_or_b64 exec, exec, s[6:7]
	s_and_saveexec_b64 s[6:7], s[0:1]
	s_cbranch_execnz .LBB282_579
	s_branch .LBB282_580
.LBB282_852:                            ;   in Loop: Header=BB282_552 Depth=1
	v_cmp_eq_u16_e32 vcc, s20, v6
	s_mov_b64 s[0:1], -1
                                        ; implicit-def: $sgpr18
	s_and_saveexec_b64 s[8:9], vcc
; %bb.853:                              ;   in Loop: Header=BB282_552 Depth=1
	s_mov_b32 s18, 0x7fc02000
	s_xor_b64 s[0:1], exec, -1
; %bb.854:                              ;   in Loop: Header=BB282_552 Depth=1
	s_or_b64 exec, exec, s[8:9]
	s_and_b64 s[0:1], s[0:1], exec
	s_or_saveexec_b64 s[6:7], s[6:7]
	v_mov_b32_e32 v51, s18
	s_xor_b64 exec, exec, s[6:7]
	s_cbranch_execz .LBB282_582
.LBB282_855:                            ;   in Loop: Header=BB282_552 Depth=1
	v_cmp_ne_u16_e32 vcc, 0, v6
	s_andn2_b64 s[0:1], s[0:1], exec
	s_and_b64 s[8:9], vcc, exec
	v_mov_b32_e32 v51, 0
	s_or_b64 s[0:1], s[0:1], s[8:9]
	s_or_b64 exec, exec, s[6:7]
	s_and_saveexec_b64 s[6:7], s[0:1]
	s_cbranch_execnz .LBB282_583
	s_branch .LBB282_584
.LBB282_856:                            ;   in Loop: Header=BB282_552 Depth=1
	v_cmp_eq_u16_sdwa s[26:27], v26, s20 src0_sel:BYTE_0 src1_sel:DWORD
	s_mov_b64 s[0:1], -1
                                        ; implicit-def: $sgpr18
	s_and_saveexec_b64 s[8:9], s[26:27]
; %bb.857:                              ;   in Loop: Header=BB282_552 Depth=1
	s_mov_b32 s18, 0x7fc02000
	s_xor_b64 s[0:1], exec, -1
; %bb.858:                              ;   in Loop: Header=BB282_552 Depth=1
	s_or_b64 exec, exec, s[8:9]
	s_and_b64 s[0:1], s[0:1], exec
	s_or_saveexec_b64 s[6:7], s[6:7]
	v_mov_b32_e32 v28, s18
	s_xor_b64 exec, exec, s[6:7]
	s_cbranch_execz .LBB282_588
.LBB282_859:                            ;   in Loop: Header=BB282_552 Depth=1
	v_cmp_ne_u16_sdwa s[8:9], v26, v7 src0_sel:BYTE_0 src1_sel:DWORD
	s_andn2_b64 s[0:1], s[0:1], exec
	s_and_b64 s[8:9], s[8:9], exec
	v_mov_b32_e32 v28, 0
	s_or_b64 s[0:1], s[0:1], s[8:9]
	s_or_b64 exec, exec, s[6:7]
	s_and_saveexec_b64 s[6:7], s[0:1]
	s_cbranch_execnz .LBB282_589
	s_branch .LBB282_590
.LBB282_860:                            ;   in Loop: Header=BB282_552 Depth=1
	v_cmp_eq_u16_e64 s[0:1], s20, v6
	s_mov_b64 s[6:7], -1
                                        ; implicit-def: $sgpr26
	s_and_saveexec_b64 s[18:19], s[0:1]
; %bb.861:                              ;   in Loop: Header=BB282_552 Depth=1
	s_mov_b32 s26, 0x7fc02000
	s_xor_b64 s[6:7], exec, -1
; %bb.862:                              ;   in Loop: Header=BB282_552 Depth=1
	s_or_b64 exec, exec, s[18:19]
	s_and_b64 s[6:7], s[6:7], exec
	s_or_saveexec_b64 s[8:9], s[8:9]
	v_mov_b32_e32 v30, s26
	s_xor_b64 exec, exec, s[8:9]
	s_cbranch_execz .LBB282_592
.LBB282_863:                            ;   in Loop: Header=BB282_552 Depth=1
	v_cmp_ne_u16_e64 s[0:1], 0, v6
	s_andn2_b64 s[6:7], s[6:7], exec
	s_and_b64 s[0:1], s[0:1], exec
	v_mov_b32_e32 v30, 0
	s_or_b64 s[6:7], s[6:7], s[0:1]
	s_or_b64 exec, exec, s[8:9]
	s_and_saveexec_b64 s[8:9], s[6:7]
	s_cbranch_execnz .LBB282_593
	s_branch .LBB282_594
.LBB282_864:                            ;   in Loop: Header=BB282_552 Depth=1
	v_cmp_eq_u16_sdwa s[26:27], v6, s20 src0_sel:BYTE_0 src1_sel:DWORD
	s_mov_b64 s[0:1], -1
                                        ; implicit-def: $sgpr18
	s_and_saveexec_b64 s[8:9], s[26:27]
; %bb.865:                              ;   in Loop: Header=BB282_552 Depth=1
	s_mov_b32 s18, 0x7fc02000
	s_xor_b64 s[0:1], exec, -1
; %bb.866:                              ;   in Loop: Header=BB282_552 Depth=1
	s_or_b64 exec, exec, s[8:9]
	s_and_b64 s[0:1], s[0:1], exec
	s_or_saveexec_b64 s[6:7], s[6:7]
	v_mov_b32_e32 v29, s18
	s_xor_b64 exec, exec, s[6:7]
	s_cbranch_execz .LBB282_596
.LBB282_867:                            ;   in Loop: Header=BB282_552 Depth=1
	v_cmp_ne_u16_sdwa s[8:9], v6, v7 src0_sel:BYTE_0 src1_sel:DWORD
	s_andn2_b64 s[0:1], s[0:1], exec
	s_and_b64 s[8:9], s[8:9], exec
	v_mov_b32_e32 v29, 0
	s_or_b64 s[0:1], s[0:1], s[8:9]
	s_or_b64 exec, exec, s[6:7]
	s_and_saveexec_b64 s[6:7], s[0:1]
	s_cbranch_execnz .LBB282_597
	s_branch .LBB282_598
.LBB282_868:                            ;   in Loop: Header=BB282_552 Depth=1
	v_cmp_eq_u16_e64 s[0:1], s20, v6
	s_mov_b64 s[6:7], -1
                                        ; implicit-def: $sgpr26
	s_and_saveexec_b64 s[18:19], s[0:1]
; %bb.869:                              ;   in Loop: Header=BB282_552 Depth=1
	s_mov_b32 s26, 0x7fc02000
	s_xor_b64 s[6:7], exec, -1
; %bb.870:                              ;   in Loop: Header=BB282_552 Depth=1
	s_or_b64 exec, exec, s[18:19]
	s_and_b64 s[6:7], s[6:7], exec
	s_or_saveexec_b64 s[8:9], s[8:9]
	v_mov_b32_e32 v31, s26
	s_xor_b64 exec, exec, s[8:9]
	s_cbranch_execz .LBB282_600
.LBB282_871:                            ;   in Loop: Header=BB282_552 Depth=1
	v_cmp_ne_u16_e64 s[0:1], 0, v6
	s_andn2_b64 s[6:7], s[6:7], exec
	s_and_b64 s[0:1], s[0:1], exec
	v_mov_b32_e32 v31, 0
	s_or_b64 s[6:7], s[6:7], s[0:1]
	s_or_b64 exec, exec, s[8:9]
	s_and_saveexec_b64 s[8:9], s[6:7]
	s_cbranch_execnz .LBB282_601
	s_branch .LBB282_602
.LBB282_872:                            ;   in Loop: Header=BB282_552 Depth=1
	v_cmp_eq_u16_sdwa s[26:27], v27, s20 src0_sel:BYTE_0 src1_sel:DWORD
	s_mov_b64 s[0:1], -1
                                        ; implicit-def: $sgpr18
	s_and_saveexec_b64 s[8:9], s[26:27]
; %bb.873:                              ;   in Loop: Header=BB282_552 Depth=1
	s_mov_b32 s18, 0x7fc02000
	s_xor_b64 s[0:1], exec, -1
; %bb.874:                              ;   in Loop: Header=BB282_552 Depth=1
	s_or_b64 exec, exec, s[8:9]
	s_and_b64 s[0:1], s[0:1], exec
	s_or_saveexec_b64 s[6:7], s[6:7]
	v_mov_b32_e32 v0, s18
	s_xor_b64 exec, exec, s[6:7]
	s_cbranch_execz .LBB282_604
.LBB282_875:                            ;   in Loop: Header=BB282_552 Depth=1
	v_cmp_ne_u16_sdwa s[8:9], v27, v7 src0_sel:BYTE_0 src1_sel:DWORD
	s_andn2_b64 s[0:1], s[0:1], exec
	s_and_b64 s[8:9], s[8:9], exec
	v_mov_b32_e32 v0, 0
	s_or_b64 s[0:1], s[0:1], s[8:9]
	s_or_b64 exec, exec, s[6:7]
	v_mov_b32_e32 v6, v27
	s_and_saveexec_b64 s[6:7], s[0:1]
	s_cbranch_execnz .LBB282_605
	s_branch .LBB282_606
.LBB282_876:                            ;   in Loop: Header=BB282_552 Depth=1
	v_cmp_eq_u16_e64 s[0:1], s20, v6
	s_mov_b64 s[6:7], -1
                                        ; implicit-def: $sgpr26
	s_and_saveexec_b64 s[18:19], s[0:1]
; %bb.877:                              ;   in Loop: Header=BB282_552 Depth=1
	s_mov_b32 s26, 0x7fc02000
	s_xor_b64 s[6:7], exec, -1
; %bb.878:                              ;   in Loop: Header=BB282_552 Depth=1
	s_or_b64 exec, exec, s[18:19]
	s_and_b64 s[6:7], s[6:7], exec
	s_or_saveexec_b64 s[8:9], s[8:9]
	v_mov_b32_e32 v1, s26
	s_xor_b64 exec, exec, s[8:9]
	s_cbranch_execz .LBB282_608
.LBB282_879:                            ;   in Loop: Header=BB282_552 Depth=1
	v_cmp_ne_u16_e64 s[0:1], 0, v6
	s_andn2_b64 s[6:7], s[6:7], exec
	s_and_b64 s[0:1], s[0:1], exec
	v_mov_b32_e32 v1, 0
	s_or_b64 s[6:7], s[6:7], s[0:1]
	s_or_b64 exec, exec, s[8:9]
	s_and_saveexec_b64 s[8:9], s[6:7]
	s_cbranch_execnz .LBB282_609
	s_branch .LBB282_610
.LBB282_880:                            ;   in Loop: Header=BB282_552 Depth=1
	v_cmp_eq_u16_sdwa s[26:27], v6, s20 src0_sel:BYTE_0 src1_sel:DWORD
	s_mov_b64 s[0:1], -1
                                        ; implicit-def: $sgpr18
	s_and_saveexec_b64 s[8:9], s[26:27]
; %bb.881:                              ;   in Loop: Header=BB282_552 Depth=1
	s_mov_b32 s18, 0x7fc02000
	s_xor_b64 s[0:1], exec, -1
; %bb.882:                              ;   in Loop: Header=BB282_552 Depth=1
	s_or_b64 exec, exec, s[8:9]
	s_and_b64 s[0:1], s[0:1], exec
	s_or_saveexec_b64 s[6:7], s[6:7]
	v_mov_b32_e32 v17, s18
	s_xor_b64 exec, exec, s[6:7]
	s_cbranch_execz .LBB282_612
.LBB282_883:                            ;   in Loop: Header=BB282_552 Depth=1
	v_cmp_ne_u16_sdwa s[8:9], v6, v7 src0_sel:BYTE_0 src1_sel:DWORD
	s_andn2_b64 s[0:1], s[0:1], exec
	s_and_b64 s[8:9], s[8:9], exec
	v_mov_b32_e32 v17, 0
	s_or_b64 s[0:1], s[0:1], s[8:9]
	s_or_b64 exec, exec, s[6:7]
	s_and_saveexec_b64 s[6:7], s[0:1]
	s_cbranch_execnz .LBB282_613
	s_branch .LBB282_614
.LBB282_884:                            ;   in Loop: Header=BB282_552 Depth=1
	v_cmp_eq_u16_e64 s[0:1], s20, v6
	s_mov_b64 s[6:7], -1
                                        ; implicit-def: $sgpr26
	s_and_saveexec_b64 s[18:19], s[0:1]
; %bb.885:                              ;   in Loop: Header=BB282_552 Depth=1
	s_mov_b32 s26, 0x7fc02000
	s_xor_b64 s[6:7], exec, -1
; %bb.886:                              ;   in Loop: Header=BB282_552 Depth=1
	s_or_b64 exec, exec, s[18:19]
	s_and_b64 s[6:7], s[6:7], exec
	s_or_saveexec_b64 s[8:9], s[8:9]
	v_mov_b32_e32 v22, s26
	s_xor_b64 exec, exec, s[8:9]
	s_cbranch_execz .LBB282_616
.LBB282_887:                            ;   in Loop: Header=BB282_552 Depth=1
	v_cmp_ne_u16_e64 s[0:1], 0, v6
	s_andn2_b64 s[6:7], s[6:7], exec
	s_and_b64 s[0:1], s[0:1], exec
	v_mov_b32_e32 v22, 0
	s_or_b64 s[6:7], s[6:7], s[0:1]
	s_or_b64 exec, exec, s[8:9]
	s_and_saveexec_b64 s[8:9], s[6:7]
	s_cbranch_execnz .LBB282_617
	s_branch .LBB282_618
.LBB282_888:                            ;   in Loop: Header=BB282_552 Depth=1
	v_cmp_eq_u16_sdwa s[26:27], v26, s20 src0_sel:BYTE_0 src1_sel:DWORD
	s_mov_b64 s[0:1], -1
                                        ; implicit-def: $sgpr18
	s_and_saveexec_b64 s[8:9], s[26:27]
; %bb.889:                              ;   in Loop: Header=BB282_552 Depth=1
	s_mov_b32 s18, 0x7fc02000
	s_xor_b64 s[0:1], exec, -1
; %bb.890:                              ;   in Loop: Header=BB282_552 Depth=1
	s_or_b64 exec, exec, s[8:9]
	s_and_b64 s[0:1], s[0:1], exec
	s_or_saveexec_b64 s[6:7], s[6:7]
	v_mov_b32_e32 v28, s18
	s_xor_b64 exec, exec, s[6:7]
	s_cbranch_execz .LBB282_622
.LBB282_891:                            ;   in Loop: Header=BB282_552 Depth=1
	v_cmp_ne_u16_sdwa s[8:9], v26, v7 src0_sel:BYTE_0 src1_sel:DWORD
	s_andn2_b64 s[0:1], s[0:1], exec
	s_and_b64 s[8:9], s[8:9], exec
	v_mov_b32_e32 v28, 0
	s_or_b64 s[0:1], s[0:1], s[8:9]
	s_or_b64 exec, exec, s[6:7]
	s_and_saveexec_b64 s[6:7], s[0:1]
	s_cbranch_execnz .LBB282_623
	s_branch .LBB282_624
.LBB282_892:                            ;   in Loop: Header=BB282_552 Depth=1
	v_cmp_eq_u16_e64 s[0:1], s20, v6
	s_mov_b64 s[6:7], -1
                                        ; implicit-def: $sgpr26
	s_and_saveexec_b64 s[18:19], s[0:1]
; %bb.893:                              ;   in Loop: Header=BB282_552 Depth=1
	s_mov_b32 s26, 0x7fc02000
	s_xor_b64 s[6:7], exec, -1
; %bb.894:                              ;   in Loop: Header=BB282_552 Depth=1
	s_or_b64 exec, exec, s[18:19]
	s_and_b64 s[6:7], s[6:7], exec
	s_or_saveexec_b64 s[8:9], s[8:9]
	v_mov_b32_e32 v30, s26
	s_xor_b64 exec, exec, s[8:9]
	s_cbranch_execz .LBB282_626
.LBB282_895:                            ;   in Loop: Header=BB282_552 Depth=1
	v_cmp_ne_u16_e64 s[0:1], 0, v6
	s_andn2_b64 s[6:7], s[6:7], exec
	s_and_b64 s[0:1], s[0:1], exec
	v_mov_b32_e32 v30, 0
	s_or_b64 s[6:7], s[6:7], s[0:1]
	s_or_b64 exec, exec, s[8:9]
	s_and_saveexec_b64 s[8:9], s[6:7]
	s_cbranch_execnz .LBB282_627
	s_branch .LBB282_628
.LBB282_896:                            ;   in Loop: Header=BB282_552 Depth=1
	v_cmp_eq_u16_sdwa s[26:27], v6, s20 src0_sel:BYTE_0 src1_sel:DWORD
	s_mov_b64 s[0:1], -1
                                        ; implicit-def: $sgpr18
	s_and_saveexec_b64 s[8:9], s[26:27]
; %bb.897:                              ;   in Loop: Header=BB282_552 Depth=1
	s_mov_b32 s18, 0x7fc02000
	s_xor_b64 s[0:1], exec, -1
; %bb.898:                              ;   in Loop: Header=BB282_552 Depth=1
	s_or_b64 exec, exec, s[8:9]
	s_and_b64 s[0:1], s[0:1], exec
	s_or_saveexec_b64 s[6:7], s[6:7]
	v_mov_b32_e32 v29, s18
	s_xor_b64 exec, exec, s[6:7]
	s_cbranch_execz .LBB282_630
.LBB282_899:                            ;   in Loop: Header=BB282_552 Depth=1
	v_cmp_ne_u16_sdwa s[8:9], v6, v7 src0_sel:BYTE_0 src1_sel:DWORD
	s_andn2_b64 s[0:1], s[0:1], exec
	s_and_b64 s[8:9], s[8:9], exec
	v_mov_b32_e32 v29, 0
	s_or_b64 s[0:1], s[0:1], s[8:9]
	s_or_b64 exec, exec, s[6:7]
	s_and_saveexec_b64 s[6:7], s[0:1]
	s_cbranch_execnz .LBB282_631
	s_branch .LBB282_632
.LBB282_900:                            ;   in Loop: Header=BB282_552 Depth=1
	v_cmp_eq_u16_e64 s[0:1], s20, v6
	s_mov_b64 s[6:7], -1
                                        ; implicit-def: $sgpr26
	s_and_saveexec_b64 s[18:19], s[0:1]
; %bb.901:                              ;   in Loop: Header=BB282_552 Depth=1
	s_mov_b32 s26, 0x7fc02000
	s_xor_b64 s[6:7], exec, -1
; %bb.902:                              ;   in Loop: Header=BB282_552 Depth=1
	s_or_b64 exec, exec, s[18:19]
	s_and_b64 s[6:7], s[6:7], exec
	s_or_saveexec_b64 s[8:9], s[8:9]
	v_mov_b32_e32 v31, s26
	s_xor_b64 exec, exec, s[8:9]
	s_cbranch_execz .LBB282_634
.LBB282_903:                            ;   in Loop: Header=BB282_552 Depth=1
	v_cmp_ne_u16_e64 s[0:1], 0, v6
	s_andn2_b64 s[6:7], s[6:7], exec
	s_and_b64 s[0:1], s[0:1], exec
	v_mov_b32_e32 v31, 0
	s_or_b64 s[6:7], s[6:7], s[0:1]
	s_or_b64 exec, exec, s[8:9]
	s_and_saveexec_b64 s[8:9], s[6:7]
	s_cbranch_execnz .LBB282_635
	s_branch .LBB282_636
.LBB282_904:                            ;   in Loop: Header=BB282_552 Depth=1
	v_cmp_eq_u16_sdwa s[26:27], v27, s20 src0_sel:BYTE_0 src1_sel:DWORD
	s_mov_b64 s[0:1], -1
                                        ; implicit-def: $sgpr18
	s_and_saveexec_b64 s[8:9], s[26:27]
; %bb.905:                              ;   in Loop: Header=BB282_552 Depth=1
	s_mov_b32 s18, 0x7fc02000
	s_xor_b64 s[0:1], exec, -1
; %bb.906:                              ;   in Loop: Header=BB282_552 Depth=1
	s_or_b64 exec, exec, s[8:9]
	s_and_b64 s[0:1], s[0:1], exec
	s_or_saveexec_b64 s[6:7], s[6:7]
	v_mov_b32_e32 v0, s18
	s_xor_b64 exec, exec, s[6:7]
	s_cbranch_execz .LBB282_638
.LBB282_907:                            ;   in Loop: Header=BB282_552 Depth=1
	v_cmp_ne_u16_sdwa s[8:9], v27, v7 src0_sel:BYTE_0 src1_sel:DWORD
	s_andn2_b64 s[0:1], s[0:1], exec
	s_and_b64 s[8:9], s[8:9], exec
	v_mov_b32_e32 v0, 0
	s_or_b64 s[0:1], s[0:1], s[8:9]
	s_or_b64 exec, exec, s[6:7]
	v_mov_b32_e32 v6, v27
	s_and_saveexec_b64 s[6:7], s[0:1]
	s_cbranch_execnz .LBB282_639
	s_branch .LBB282_640
.LBB282_908:                            ;   in Loop: Header=BB282_552 Depth=1
	v_cmp_eq_u16_e64 s[0:1], s20, v6
	s_mov_b64 s[6:7], -1
                                        ; implicit-def: $sgpr26
	s_and_saveexec_b64 s[18:19], s[0:1]
; %bb.909:                              ;   in Loop: Header=BB282_552 Depth=1
	s_mov_b32 s26, 0x7fc02000
	s_xor_b64 s[6:7], exec, -1
; %bb.910:                              ;   in Loop: Header=BB282_552 Depth=1
	s_or_b64 exec, exec, s[18:19]
	s_and_b64 s[6:7], s[6:7], exec
	s_or_saveexec_b64 s[8:9], s[8:9]
	v_mov_b32_e32 v1, s26
	s_xor_b64 exec, exec, s[8:9]
	s_cbranch_execz .LBB282_642
.LBB282_911:                            ;   in Loop: Header=BB282_552 Depth=1
	v_cmp_ne_u16_e64 s[0:1], 0, v6
	s_andn2_b64 s[6:7], s[6:7], exec
	s_and_b64 s[0:1], s[0:1], exec
	v_mov_b32_e32 v1, 0
	s_or_b64 s[6:7], s[6:7], s[0:1]
	s_or_b64 exec, exec, s[8:9]
	s_and_saveexec_b64 s[8:9], s[6:7]
	s_cbranch_execnz .LBB282_643
	s_branch .LBB282_644
.LBB282_912:                            ;   in Loop: Header=BB282_552 Depth=1
	v_cmp_eq_u16_sdwa s[26:27], v6, s20 src0_sel:BYTE_0 src1_sel:DWORD
	s_mov_b64 s[0:1], -1
                                        ; implicit-def: $sgpr18
	s_and_saveexec_b64 s[8:9], s[26:27]
; %bb.913:                              ;   in Loop: Header=BB282_552 Depth=1
	s_mov_b32 s18, 0x7fc02000
	s_xor_b64 s[0:1], exec, -1
; %bb.914:                              ;   in Loop: Header=BB282_552 Depth=1
	s_or_b64 exec, exec, s[8:9]
	s_and_b64 s[0:1], s[0:1], exec
	s_or_saveexec_b64 s[6:7], s[6:7]
	v_mov_b32_e32 v17, s18
	s_xor_b64 exec, exec, s[6:7]
	s_cbranch_execz .LBB282_646
.LBB282_915:                            ;   in Loop: Header=BB282_552 Depth=1
	v_cmp_ne_u16_sdwa s[8:9], v6, v7 src0_sel:BYTE_0 src1_sel:DWORD
	s_andn2_b64 s[0:1], s[0:1], exec
	s_and_b64 s[8:9], s[8:9], exec
	v_mov_b32_e32 v17, 0
	s_or_b64 s[0:1], s[0:1], s[8:9]
	s_or_b64 exec, exec, s[6:7]
	s_and_saveexec_b64 s[6:7], s[0:1]
	s_cbranch_execnz .LBB282_647
	s_branch .LBB282_648
.LBB282_916:                            ;   in Loop: Header=BB282_552 Depth=1
	v_cmp_eq_u16_e64 s[0:1], s20, v6
	s_mov_b64 s[6:7], -1
                                        ; implicit-def: $sgpr26
	s_and_saveexec_b64 s[18:19], s[0:1]
; %bb.917:                              ;   in Loop: Header=BB282_552 Depth=1
	s_mov_b32 s26, 0x7fc02000
	s_xor_b64 s[6:7], exec, -1
; %bb.918:                              ;   in Loop: Header=BB282_552 Depth=1
	s_or_b64 exec, exec, s[18:19]
	s_and_b64 s[6:7], s[6:7], exec
	s_or_saveexec_b64 s[8:9], s[8:9]
	v_mov_b32_e32 v22, s26
	s_xor_b64 exec, exec, s[8:9]
	s_cbranch_execz .LBB282_650
.LBB282_919:                            ;   in Loop: Header=BB282_552 Depth=1
	v_cmp_ne_u16_e64 s[0:1], 0, v6
	s_andn2_b64 s[6:7], s[6:7], exec
	s_and_b64 s[0:1], s[0:1], exec
	v_mov_b32_e32 v22, 0
	s_or_b64 s[6:7], s[6:7], s[0:1]
	s_or_b64 exec, exec, s[8:9]
	s_and_saveexec_b64 s[8:9], s[6:7]
	s_cbranch_execnz .LBB282_651
	s_branch .LBB282_652
.LBB282_920:                            ;   in Loop: Header=BB282_552 Depth=1
	v_cmp_eq_u16_sdwa s[26:27], v26, s20 src0_sel:BYTE_0 src1_sel:DWORD
	s_mov_b64 s[0:1], -1
                                        ; implicit-def: $sgpr18
	s_and_saveexec_b64 s[8:9], s[26:27]
; %bb.921:                              ;   in Loop: Header=BB282_552 Depth=1
	s_mov_b32 s18, 0x7fc02000
	s_xor_b64 s[0:1], exec, -1
; %bb.922:                              ;   in Loop: Header=BB282_552 Depth=1
	s_or_b64 exec, exec, s[8:9]
	s_and_b64 s[0:1], s[0:1], exec
	s_or_saveexec_b64 s[6:7], s[6:7]
	v_mov_b32_e32 v28, s18
	s_xor_b64 exec, exec, s[6:7]
	s_cbranch_execz .LBB282_656
.LBB282_923:                            ;   in Loop: Header=BB282_552 Depth=1
	v_cmp_ne_u16_sdwa s[8:9], v26, v7 src0_sel:BYTE_0 src1_sel:DWORD
	s_andn2_b64 s[0:1], s[0:1], exec
	s_and_b64 s[8:9], s[8:9], exec
	v_mov_b32_e32 v28, 0
	s_or_b64 s[0:1], s[0:1], s[8:9]
	s_or_b64 exec, exec, s[6:7]
	s_and_saveexec_b64 s[6:7], s[0:1]
	s_cbranch_execnz .LBB282_657
	s_branch .LBB282_658
.LBB282_924:                            ;   in Loop: Header=BB282_552 Depth=1
	v_cmp_eq_u16_e64 s[0:1], s20, v6
	s_mov_b64 s[6:7], -1
                                        ; implicit-def: $sgpr26
	s_and_saveexec_b64 s[18:19], s[0:1]
; %bb.925:                              ;   in Loop: Header=BB282_552 Depth=1
	s_mov_b32 s26, 0x7fc02000
	s_xor_b64 s[6:7], exec, -1
; %bb.926:                              ;   in Loop: Header=BB282_552 Depth=1
	s_or_b64 exec, exec, s[18:19]
	s_and_b64 s[6:7], s[6:7], exec
	s_or_saveexec_b64 s[8:9], s[8:9]
	v_mov_b32_e32 v30, s26
	s_xor_b64 exec, exec, s[8:9]
	s_cbranch_execz .LBB282_660
.LBB282_927:                            ;   in Loop: Header=BB282_552 Depth=1
	v_cmp_ne_u16_e64 s[0:1], 0, v6
	s_andn2_b64 s[6:7], s[6:7], exec
	s_and_b64 s[0:1], s[0:1], exec
	v_mov_b32_e32 v30, 0
	s_or_b64 s[6:7], s[6:7], s[0:1]
	s_or_b64 exec, exec, s[8:9]
	s_and_saveexec_b64 s[8:9], s[6:7]
	s_cbranch_execnz .LBB282_661
	s_branch .LBB282_662
.LBB282_928:                            ;   in Loop: Header=BB282_552 Depth=1
	v_cmp_eq_u16_sdwa s[26:27], v6, s20 src0_sel:BYTE_0 src1_sel:DWORD
	s_mov_b64 s[0:1], -1
                                        ; implicit-def: $sgpr18
	s_and_saveexec_b64 s[8:9], s[26:27]
; %bb.929:                              ;   in Loop: Header=BB282_552 Depth=1
	s_mov_b32 s18, 0x7fc02000
	s_xor_b64 s[0:1], exec, -1
; %bb.930:                              ;   in Loop: Header=BB282_552 Depth=1
	s_or_b64 exec, exec, s[8:9]
	s_and_b64 s[0:1], s[0:1], exec
	s_or_saveexec_b64 s[6:7], s[6:7]
	v_mov_b32_e32 v29, s18
	s_xor_b64 exec, exec, s[6:7]
	s_cbranch_execz .LBB282_664
.LBB282_931:                            ;   in Loop: Header=BB282_552 Depth=1
	v_cmp_ne_u16_sdwa s[8:9], v6, v7 src0_sel:BYTE_0 src1_sel:DWORD
	s_andn2_b64 s[0:1], s[0:1], exec
	s_and_b64 s[8:9], s[8:9], exec
	v_mov_b32_e32 v29, 0
	s_or_b64 s[0:1], s[0:1], s[8:9]
	s_or_b64 exec, exec, s[6:7]
	s_and_saveexec_b64 s[6:7], s[0:1]
	s_cbranch_execnz .LBB282_665
	s_branch .LBB282_666
.LBB282_932:                            ;   in Loop: Header=BB282_552 Depth=1
	v_cmp_eq_u16_e64 s[0:1], s20, v6
	s_mov_b64 s[6:7], -1
                                        ; implicit-def: $sgpr26
	s_and_saveexec_b64 s[18:19], s[0:1]
; %bb.933:                              ;   in Loop: Header=BB282_552 Depth=1
	s_mov_b32 s26, 0x7fc02000
	s_xor_b64 s[6:7], exec, -1
; %bb.934:                              ;   in Loop: Header=BB282_552 Depth=1
	s_or_b64 exec, exec, s[18:19]
	s_and_b64 s[6:7], s[6:7], exec
	s_or_saveexec_b64 s[8:9], s[8:9]
	v_mov_b32_e32 v31, s26
	s_xor_b64 exec, exec, s[8:9]
	s_cbranch_execz .LBB282_668
.LBB282_935:                            ;   in Loop: Header=BB282_552 Depth=1
	v_cmp_ne_u16_e64 s[0:1], 0, v6
	s_andn2_b64 s[6:7], s[6:7], exec
	s_and_b64 s[0:1], s[0:1], exec
	v_mov_b32_e32 v31, 0
	s_or_b64 s[6:7], s[6:7], s[0:1]
	s_or_b64 exec, exec, s[8:9]
	s_and_saveexec_b64 s[8:9], s[6:7]
	s_cbranch_execnz .LBB282_669
	s_branch .LBB282_670
.LBB282_936:                            ;   in Loop: Header=BB282_552 Depth=1
	v_cmp_eq_u16_sdwa s[26:27], v27, s20 src0_sel:BYTE_0 src1_sel:DWORD
	s_mov_b64 s[0:1], -1
                                        ; implicit-def: $sgpr18
	s_and_saveexec_b64 s[8:9], s[26:27]
; %bb.937:                              ;   in Loop: Header=BB282_552 Depth=1
	s_mov_b32 s18, 0x7fc02000
	s_xor_b64 s[0:1], exec, -1
; %bb.938:                              ;   in Loop: Header=BB282_552 Depth=1
	s_or_b64 exec, exec, s[8:9]
	s_and_b64 s[0:1], s[0:1], exec
	s_or_saveexec_b64 s[6:7], s[6:7]
	v_mov_b32_e32 v0, s18
	s_xor_b64 exec, exec, s[6:7]
	s_cbranch_execz .LBB282_672
.LBB282_939:                            ;   in Loop: Header=BB282_552 Depth=1
	v_cmp_ne_u16_sdwa s[8:9], v27, v7 src0_sel:BYTE_0 src1_sel:DWORD
	s_andn2_b64 s[0:1], s[0:1], exec
	s_and_b64 s[8:9], s[8:9], exec
	v_mov_b32_e32 v0, 0
	s_or_b64 s[0:1], s[0:1], s[8:9]
	s_or_b64 exec, exec, s[6:7]
	v_mov_b32_e32 v6, v27
	s_and_saveexec_b64 s[6:7], s[0:1]
	s_cbranch_execnz .LBB282_673
	s_branch .LBB282_674
.LBB282_940:                            ;   in Loop: Header=BB282_552 Depth=1
	v_cmp_eq_u16_e64 s[0:1], s20, v6
	s_mov_b64 s[6:7], -1
                                        ; implicit-def: $sgpr26
	s_and_saveexec_b64 s[18:19], s[0:1]
; %bb.941:                              ;   in Loop: Header=BB282_552 Depth=1
	s_mov_b32 s26, 0x7fc02000
	s_xor_b64 s[6:7], exec, -1
; %bb.942:                              ;   in Loop: Header=BB282_552 Depth=1
	s_or_b64 exec, exec, s[18:19]
	s_and_b64 s[6:7], s[6:7], exec
	s_or_saveexec_b64 s[8:9], s[8:9]
	v_mov_b32_e32 v1, s26
	s_xor_b64 exec, exec, s[8:9]
	s_cbranch_execz .LBB282_676
.LBB282_943:                            ;   in Loop: Header=BB282_552 Depth=1
	v_cmp_ne_u16_e64 s[0:1], 0, v6
	s_andn2_b64 s[6:7], s[6:7], exec
	s_and_b64 s[0:1], s[0:1], exec
	v_mov_b32_e32 v1, 0
	s_or_b64 s[6:7], s[6:7], s[0:1]
	s_or_b64 exec, exec, s[8:9]
	s_and_saveexec_b64 s[8:9], s[6:7]
	s_cbranch_execnz .LBB282_677
	s_branch .LBB282_678
.LBB282_944:                            ;   in Loop: Header=BB282_552 Depth=1
	v_cmp_eq_u16_sdwa s[26:27], v6, s20 src0_sel:BYTE_0 src1_sel:DWORD
	s_mov_b64 s[0:1], -1
                                        ; implicit-def: $sgpr18
	s_and_saveexec_b64 s[8:9], s[26:27]
; %bb.945:                              ;   in Loop: Header=BB282_552 Depth=1
	s_mov_b32 s18, 0x7fc02000
	s_xor_b64 s[0:1], exec, -1
; %bb.946:                              ;   in Loop: Header=BB282_552 Depth=1
	s_or_b64 exec, exec, s[8:9]
	s_and_b64 s[0:1], s[0:1], exec
	s_or_saveexec_b64 s[6:7], s[6:7]
	v_mov_b32_e32 v17, s18
	s_xor_b64 exec, exec, s[6:7]
	s_cbranch_execz .LBB282_680
.LBB282_947:                            ;   in Loop: Header=BB282_552 Depth=1
	v_cmp_ne_u16_sdwa s[8:9], v6, v7 src0_sel:BYTE_0 src1_sel:DWORD
	s_andn2_b64 s[0:1], s[0:1], exec
	s_and_b64 s[8:9], s[8:9], exec
	v_mov_b32_e32 v17, 0
	s_or_b64 s[0:1], s[0:1], s[8:9]
	s_or_b64 exec, exec, s[6:7]
	s_and_saveexec_b64 s[6:7], s[0:1]
	s_cbranch_execnz .LBB282_681
	s_branch .LBB282_682
.LBB282_948:                            ;   in Loop: Header=BB282_552 Depth=1
	v_cmp_eq_u16_e64 s[0:1], s20, v6
	s_mov_b64 s[6:7], -1
                                        ; implicit-def: $sgpr26
	s_and_saveexec_b64 s[18:19], s[0:1]
; %bb.949:                              ;   in Loop: Header=BB282_552 Depth=1
	s_mov_b32 s26, 0x7fc02000
	s_xor_b64 s[6:7], exec, -1
; %bb.950:                              ;   in Loop: Header=BB282_552 Depth=1
	s_or_b64 exec, exec, s[18:19]
	s_and_b64 s[6:7], s[6:7], exec
	s_or_saveexec_b64 s[8:9], s[8:9]
	v_mov_b32_e32 v22, s26
	s_xor_b64 exec, exec, s[8:9]
	s_cbranch_execz .LBB282_684
.LBB282_951:                            ;   in Loop: Header=BB282_552 Depth=1
	v_cmp_ne_u16_e64 s[0:1], 0, v6
	s_andn2_b64 s[6:7], s[6:7], exec
	s_and_b64 s[0:1], s[0:1], exec
	v_mov_b32_e32 v22, 0
	s_or_b64 s[6:7], s[6:7], s[0:1]
	s_or_b64 exec, exec, s[8:9]
	s_and_saveexec_b64 s[8:9], s[6:7]
	s_cbranch_execnz .LBB282_685
	s_branch .LBB282_686
.LBB282_952:                            ;   in Loop: Header=BB282_552 Depth=1
	v_cmp_eq_u16_sdwa s[26:27], v26, s20 src0_sel:BYTE_0 src1_sel:DWORD
	s_mov_b64 s[0:1], -1
                                        ; implicit-def: $sgpr18
	s_and_saveexec_b64 s[8:9], s[26:27]
; %bb.953:                              ;   in Loop: Header=BB282_552 Depth=1
	s_mov_b32 s18, 0x7fc02000
	s_xor_b64 s[0:1], exec, -1
; %bb.954:                              ;   in Loop: Header=BB282_552 Depth=1
	s_or_b64 exec, exec, s[8:9]
	s_and_b64 s[0:1], s[0:1], exec
	s_or_saveexec_b64 s[6:7], s[6:7]
	v_mov_b32_e32 v28, s18
	s_xor_b64 exec, exec, s[6:7]
	s_cbranch_execz .LBB282_690
.LBB282_955:                            ;   in Loop: Header=BB282_552 Depth=1
	v_cmp_ne_u16_sdwa s[8:9], v26, v7 src0_sel:BYTE_0 src1_sel:DWORD
	s_andn2_b64 s[0:1], s[0:1], exec
	s_and_b64 s[8:9], s[8:9], exec
	v_mov_b32_e32 v28, 0
	s_or_b64 s[0:1], s[0:1], s[8:9]
	s_or_b64 exec, exec, s[6:7]
	s_and_saveexec_b64 s[6:7], s[0:1]
	s_cbranch_execnz .LBB282_691
	s_branch .LBB282_692
.LBB282_956:                            ;   in Loop: Header=BB282_552 Depth=1
	v_cmp_eq_u16_e64 s[0:1], s20, v6
	s_mov_b64 s[6:7], -1
                                        ; implicit-def: $sgpr26
	s_and_saveexec_b64 s[18:19], s[0:1]
; %bb.957:                              ;   in Loop: Header=BB282_552 Depth=1
	s_mov_b32 s26, 0x7fc02000
	s_xor_b64 s[6:7], exec, -1
; %bb.958:                              ;   in Loop: Header=BB282_552 Depth=1
	s_or_b64 exec, exec, s[18:19]
	s_and_b64 s[6:7], s[6:7], exec
	s_or_saveexec_b64 s[8:9], s[8:9]
	v_mov_b32_e32 v30, s26
	s_xor_b64 exec, exec, s[8:9]
	s_cbranch_execz .LBB282_694
.LBB282_959:                            ;   in Loop: Header=BB282_552 Depth=1
	v_cmp_ne_u16_e64 s[0:1], 0, v6
	s_andn2_b64 s[6:7], s[6:7], exec
	s_and_b64 s[0:1], s[0:1], exec
	v_mov_b32_e32 v30, 0
	s_or_b64 s[6:7], s[6:7], s[0:1]
	s_or_b64 exec, exec, s[8:9]
	s_and_saveexec_b64 s[8:9], s[6:7]
	s_cbranch_execnz .LBB282_695
	s_branch .LBB282_696
.LBB282_960:                            ;   in Loop: Header=BB282_552 Depth=1
	v_cmp_eq_u16_sdwa s[26:27], v6, s20 src0_sel:BYTE_0 src1_sel:DWORD
	s_mov_b64 s[0:1], -1
                                        ; implicit-def: $sgpr18
	s_and_saveexec_b64 s[8:9], s[26:27]
; %bb.961:                              ;   in Loop: Header=BB282_552 Depth=1
	s_mov_b32 s18, 0x7fc02000
	s_xor_b64 s[0:1], exec, -1
; %bb.962:                              ;   in Loop: Header=BB282_552 Depth=1
	s_or_b64 exec, exec, s[8:9]
	s_and_b64 s[0:1], s[0:1], exec
	s_or_saveexec_b64 s[6:7], s[6:7]
	v_mov_b32_e32 v29, s18
	s_xor_b64 exec, exec, s[6:7]
	s_cbranch_execz .LBB282_698
.LBB282_963:                            ;   in Loop: Header=BB282_552 Depth=1
	v_cmp_ne_u16_sdwa s[8:9], v6, v7 src0_sel:BYTE_0 src1_sel:DWORD
	s_andn2_b64 s[0:1], s[0:1], exec
	s_and_b64 s[8:9], s[8:9], exec
	v_mov_b32_e32 v29, 0
	s_or_b64 s[0:1], s[0:1], s[8:9]
	s_or_b64 exec, exec, s[6:7]
	s_and_saveexec_b64 s[6:7], s[0:1]
	s_cbranch_execnz .LBB282_699
	s_branch .LBB282_700
.LBB282_964:                            ;   in Loop: Header=BB282_552 Depth=1
	v_cmp_eq_u16_e64 s[0:1], s20, v6
	s_mov_b64 s[6:7], -1
                                        ; implicit-def: $sgpr26
	s_and_saveexec_b64 s[18:19], s[0:1]
; %bb.965:                              ;   in Loop: Header=BB282_552 Depth=1
	s_mov_b32 s26, 0x7fc02000
	s_xor_b64 s[6:7], exec, -1
; %bb.966:                              ;   in Loop: Header=BB282_552 Depth=1
	s_or_b64 exec, exec, s[18:19]
	s_and_b64 s[6:7], s[6:7], exec
	s_or_saveexec_b64 s[8:9], s[8:9]
	v_mov_b32_e32 v31, s26
	s_xor_b64 exec, exec, s[8:9]
	s_cbranch_execz .LBB282_702
.LBB282_967:                            ;   in Loop: Header=BB282_552 Depth=1
	v_cmp_ne_u16_e64 s[0:1], 0, v6
	s_andn2_b64 s[6:7], s[6:7], exec
	s_and_b64 s[0:1], s[0:1], exec
	v_mov_b32_e32 v31, 0
	s_or_b64 s[6:7], s[6:7], s[0:1]
	s_or_b64 exec, exec, s[8:9]
	s_and_saveexec_b64 s[8:9], s[6:7]
	s_cbranch_execnz .LBB282_703
	s_branch .LBB282_704
.LBB282_968:                            ;   in Loop: Header=BB282_552 Depth=1
	v_cmp_eq_u16_sdwa s[26:27], v27, s20 src0_sel:BYTE_0 src1_sel:DWORD
	s_mov_b64 s[0:1], -1
                                        ; implicit-def: $sgpr18
	s_and_saveexec_b64 s[8:9], s[26:27]
; %bb.969:                              ;   in Loop: Header=BB282_552 Depth=1
	s_mov_b32 s18, 0x7fc02000
	s_xor_b64 s[0:1], exec, -1
; %bb.970:                              ;   in Loop: Header=BB282_552 Depth=1
	s_or_b64 exec, exec, s[8:9]
	s_and_b64 s[0:1], s[0:1], exec
	s_or_saveexec_b64 s[6:7], s[6:7]
	v_mov_b32_e32 v17, s18
	s_xor_b64 exec, exec, s[6:7]
	s_cbranch_execz .LBB282_706
.LBB282_971:                            ;   in Loop: Header=BB282_552 Depth=1
	v_cmp_ne_u16_sdwa s[8:9], v27, v7 src0_sel:BYTE_0 src1_sel:DWORD
	s_andn2_b64 s[0:1], s[0:1], exec
	s_and_b64 s[8:9], s[8:9], exec
	v_mov_b32_e32 v17, 0
	s_or_b64 s[0:1], s[0:1], s[8:9]
	s_or_b64 exec, exec, s[6:7]
	v_mov_b32_e32 v6, v27
	s_and_saveexec_b64 s[6:7], s[0:1]
	s_cbranch_execnz .LBB282_707
	s_branch .LBB282_708
.LBB282_972:                            ;   in Loop: Header=BB282_552 Depth=1
	v_cmp_eq_u16_e64 s[0:1], s20, v6
	s_mov_b64 s[6:7], -1
                                        ; implicit-def: $sgpr26
	s_and_saveexec_b64 s[18:19], s[0:1]
; %bb.973:                              ;   in Loop: Header=BB282_552 Depth=1
	s_mov_b32 s26, 0x7fc02000
	s_xor_b64 s[6:7], exec, -1
; %bb.974:                              ;   in Loop: Header=BB282_552 Depth=1
	s_or_b64 exec, exec, s[18:19]
	s_and_b64 s[6:7], s[6:7], exec
	s_or_saveexec_b64 s[8:9], s[8:9]
	v_mov_b32_e32 v18, s26
	s_xor_b64 exec, exec, s[8:9]
	s_cbranch_execz .LBB282_710
.LBB282_975:                            ;   in Loop: Header=BB282_552 Depth=1
	v_cmp_ne_u16_e64 s[0:1], 0, v6
	s_andn2_b64 s[6:7], s[6:7], exec
	s_and_b64 s[0:1], s[0:1], exec
	v_mov_b32_e32 v18, 0
	s_or_b64 s[6:7], s[6:7], s[0:1]
	s_or_b64 exec, exec, s[8:9]
	s_and_saveexec_b64 s[8:9], s[6:7]
	s_cbranch_execnz .LBB282_711
	s_branch .LBB282_712
.LBB282_976:                            ;   in Loop: Header=BB282_552 Depth=1
	v_cmp_eq_u16_sdwa s[26:27], v6, s20 src0_sel:BYTE_0 src1_sel:DWORD
	s_mov_b64 s[0:1], -1
                                        ; implicit-def: $sgpr18
	s_and_saveexec_b64 s[8:9], s[26:27]
; %bb.977:                              ;   in Loop: Header=BB282_552 Depth=1
	s_mov_b32 s18, 0x7fc02000
	s_xor_b64 s[0:1], exec, -1
; %bb.978:                              ;   in Loop: Header=BB282_552 Depth=1
	s_or_b64 exec, exec, s[8:9]
	s_and_b64 s[0:1], s[0:1], exec
	s_or_saveexec_b64 s[6:7], s[6:7]
	v_mov_b32_e32 v22, s18
	s_xor_b64 exec, exec, s[6:7]
	s_cbranch_execz .LBB282_714
.LBB282_979:                            ;   in Loop: Header=BB282_552 Depth=1
	v_cmp_ne_u16_sdwa s[8:9], v6, v7 src0_sel:BYTE_0 src1_sel:DWORD
	s_andn2_b64 s[0:1], s[0:1], exec
	s_and_b64 s[8:9], s[8:9], exec
	v_mov_b32_e32 v22, 0
	s_or_b64 s[0:1], s[0:1], s[8:9]
	s_or_b64 exec, exec, s[6:7]
	s_and_saveexec_b64 s[6:7], s[0:1]
	s_cbranch_execnz .LBB282_715
	s_branch .LBB282_716
.LBB282_980:                            ;   in Loop: Header=BB282_552 Depth=1
	v_cmp_eq_u16_e64 s[0:1], s20, v6
	s_mov_b64 s[6:7], -1
                                        ; implicit-def: $sgpr26
	s_and_saveexec_b64 s[18:19], s[0:1]
; %bb.981:                              ;   in Loop: Header=BB282_552 Depth=1
	s_mov_b32 s26, 0x7fc02000
	s_xor_b64 s[6:7], exec, -1
; %bb.982:                              ;   in Loop: Header=BB282_552 Depth=1
	s_or_b64 exec, exec, s[18:19]
	s_and_b64 s[6:7], s[6:7], exec
	s_or_saveexec_b64 s[8:9], s[8:9]
	v_mov_b32_e32 v26, s26
	s_xor_b64 exec, exec, s[8:9]
	s_cbranch_execz .LBB282_718
.LBB282_983:                            ;   in Loop: Header=BB282_552 Depth=1
	v_cmp_ne_u16_e64 s[0:1], 0, v6
	s_andn2_b64 s[6:7], s[6:7], exec
	s_and_b64 s[0:1], s[0:1], exec
	v_mov_b32_e32 v26, 0
	s_or_b64 s[6:7], s[6:7], s[0:1]
	s_or_b64 exec, exec, s[8:9]
	s_and_saveexec_b64 s[8:9], s[6:7]
	s_cbranch_execnz .LBB282_719
	s_branch .LBB282_720
.LBB282_984:                            ;   in Loop: Header=BB282_552 Depth=1
	v_cmp_eq_u16_sdwa s[26:27], v26, s20 src0_sel:BYTE_0 src1_sel:DWORD
	s_mov_b64 s[0:1], -1
                                        ; implicit-def: $sgpr18
	s_and_saveexec_b64 s[8:9], s[26:27]
; %bb.985:                              ;   in Loop: Header=BB282_552 Depth=1
	s_mov_b32 s18, 0x7fc02000
	s_xor_b64 s[0:1], exec, -1
; %bb.986:                              ;   in Loop: Header=BB282_552 Depth=1
	s_or_b64 exec, exec, s[8:9]
	s_and_b64 s[0:1], s[0:1], exec
	s_or_saveexec_b64 s[6:7], s[6:7]
	v_mov_b32_e32 v28, s18
	s_xor_b64 exec, exec, s[6:7]
	s_cbranch_execz .LBB282_724
.LBB282_987:                            ;   in Loop: Header=BB282_552 Depth=1
	v_cmp_ne_u16_sdwa s[8:9], v26, v7 src0_sel:BYTE_0 src1_sel:DWORD
	s_andn2_b64 s[0:1], s[0:1], exec
	s_and_b64 s[8:9], s[8:9], exec
	v_mov_b32_e32 v28, 0
	s_or_b64 s[0:1], s[0:1], s[8:9]
	s_or_b64 exec, exec, s[6:7]
	s_and_saveexec_b64 s[6:7], s[0:1]
	s_cbranch_execnz .LBB282_725
	s_branch .LBB282_726
.LBB282_988:                            ;   in Loop: Header=BB282_552 Depth=1
	v_cmp_eq_u16_e64 s[0:1], s20, v6
	s_mov_b64 s[6:7], -1
                                        ; implicit-def: $sgpr26
	s_and_saveexec_b64 s[18:19], s[0:1]
; %bb.989:                              ;   in Loop: Header=BB282_552 Depth=1
	s_mov_b32 s26, 0x7fc02000
	s_xor_b64 s[6:7], exec, -1
; %bb.990:                              ;   in Loop: Header=BB282_552 Depth=1
	s_or_b64 exec, exec, s[18:19]
	s_and_b64 s[6:7], s[6:7], exec
	s_or_saveexec_b64 s[8:9], s[8:9]
	v_mov_b32_e32 v30, s26
	s_xor_b64 exec, exec, s[8:9]
	s_cbranch_execz .LBB282_728
.LBB282_991:                            ;   in Loop: Header=BB282_552 Depth=1
	v_cmp_ne_u16_e64 s[0:1], 0, v6
	s_andn2_b64 s[6:7], s[6:7], exec
	s_and_b64 s[0:1], s[0:1], exec
	v_mov_b32_e32 v30, 0
	s_or_b64 s[6:7], s[6:7], s[0:1]
	s_or_b64 exec, exec, s[8:9]
	s_and_saveexec_b64 s[8:9], s[6:7]
	s_cbranch_execnz .LBB282_729
	s_branch .LBB282_730
.LBB282_992:                            ;   in Loop: Header=BB282_552 Depth=1
	v_cmp_eq_u16_sdwa s[26:27], v6, s20 src0_sel:BYTE_0 src1_sel:DWORD
	s_mov_b64 s[0:1], -1
                                        ; implicit-def: $sgpr18
	s_and_saveexec_b64 s[8:9], s[26:27]
; %bb.993:                              ;   in Loop: Header=BB282_552 Depth=1
	s_mov_b32 s18, 0x7fc02000
	s_xor_b64 s[0:1], exec, -1
; %bb.994:                              ;   in Loop: Header=BB282_552 Depth=1
	s_or_b64 exec, exec, s[8:9]
	s_and_b64 s[0:1], s[0:1], exec
	s_or_saveexec_b64 s[6:7], s[6:7]
	v_mov_b32_e32 v29, s18
	s_xor_b64 exec, exec, s[6:7]
	s_cbranch_execz .LBB282_732
.LBB282_995:                            ;   in Loop: Header=BB282_552 Depth=1
	v_cmp_ne_u16_sdwa s[8:9], v6, v7 src0_sel:BYTE_0 src1_sel:DWORD
	s_andn2_b64 s[0:1], s[0:1], exec
	s_and_b64 s[8:9], s[8:9], exec
	v_mov_b32_e32 v29, 0
	s_or_b64 s[0:1], s[0:1], s[8:9]
	s_or_b64 exec, exec, s[6:7]
	s_and_saveexec_b64 s[6:7], s[0:1]
	s_cbranch_execnz .LBB282_733
	s_branch .LBB282_734
.LBB282_996:                            ;   in Loop: Header=BB282_552 Depth=1
	v_cmp_eq_u16_e64 s[0:1], s20, v6
	s_mov_b64 s[6:7], -1
                                        ; implicit-def: $sgpr26
	s_and_saveexec_b64 s[18:19], s[0:1]
; %bb.997:                              ;   in Loop: Header=BB282_552 Depth=1
	s_mov_b32 s26, 0x7fc02000
	s_xor_b64 s[6:7], exec, -1
; %bb.998:                              ;   in Loop: Header=BB282_552 Depth=1
	s_or_b64 exec, exec, s[18:19]
	s_and_b64 s[6:7], s[6:7], exec
	s_or_saveexec_b64 s[8:9], s[8:9]
	v_mov_b32_e32 v31, s26
	s_xor_b64 exec, exec, s[8:9]
	s_cbranch_execz .LBB282_736
.LBB282_999:                            ;   in Loop: Header=BB282_552 Depth=1
	v_cmp_ne_u16_e64 s[0:1], 0, v6
	s_andn2_b64 s[6:7], s[6:7], exec
	s_and_b64 s[0:1], s[0:1], exec
	v_mov_b32_e32 v31, 0
	s_or_b64 s[6:7], s[6:7], s[0:1]
	s_or_b64 exec, exec, s[8:9]
	s_and_saveexec_b64 s[8:9], s[6:7]
	s_cbranch_execnz .LBB282_737
	s_branch .LBB282_738
.LBB282_1000:                           ;   in Loop: Header=BB282_552 Depth=1
	v_cmp_eq_u16_sdwa s[26:27], v27, s20 src0_sel:BYTE_0 src1_sel:DWORD
	s_mov_b64 s[0:1], -1
                                        ; implicit-def: $sgpr18
	s_and_saveexec_b64 s[8:9], s[26:27]
; %bb.1001:                             ;   in Loop: Header=BB282_552 Depth=1
	s_mov_b32 s18, 0x7fc02000
	s_xor_b64 s[0:1], exec, -1
; %bb.1002:                             ;   in Loop: Header=BB282_552 Depth=1
	s_or_b64 exec, exec, s[8:9]
	s_and_b64 s[0:1], s[0:1], exec
	s_or_saveexec_b64 s[6:7], s[6:7]
	v_mov_b32_e32 v17, s18
	s_xor_b64 exec, exec, s[6:7]
	s_cbranch_execz .LBB282_740
.LBB282_1003:                           ;   in Loop: Header=BB282_552 Depth=1
	v_cmp_ne_u16_sdwa s[8:9], v27, v7 src0_sel:BYTE_0 src1_sel:DWORD
	s_andn2_b64 s[0:1], s[0:1], exec
	s_and_b64 s[8:9], s[8:9], exec
	v_mov_b32_e32 v17, 0
	s_or_b64 s[0:1], s[0:1], s[8:9]
	s_or_b64 exec, exec, s[6:7]
	v_mov_b32_e32 v6, v27
	s_and_saveexec_b64 s[6:7], s[0:1]
	s_cbranch_execnz .LBB282_741
	s_branch .LBB282_742
.LBB282_1004:                           ;   in Loop: Header=BB282_552 Depth=1
	v_cmp_eq_u16_e64 s[0:1], s20, v6
	s_mov_b64 s[6:7], -1
                                        ; implicit-def: $sgpr26
	s_and_saveexec_b64 s[18:19], s[0:1]
; %bb.1005:                             ;   in Loop: Header=BB282_552 Depth=1
	s_mov_b32 s26, 0x7fc02000
	s_xor_b64 s[6:7], exec, -1
; %bb.1006:                             ;   in Loop: Header=BB282_552 Depth=1
	s_or_b64 exec, exec, s[18:19]
	s_and_b64 s[6:7], s[6:7], exec
	s_or_saveexec_b64 s[8:9], s[8:9]
	v_mov_b32_e32 v18, s26
	s_xor_b64 exec, exec, s[8:9]
	s_cbranch_execz .LBB282_744
.LBB282_1007:                           ;   in Loop: Header=BB282_552 Depth=1
	v_cmp_ne_u16_e64 s[0:1], 0, v6
	s_andn2_b64 s[6:7], s[6:7], exec
	s_and_b64 s[0:1], s[0:1], exec
	v_mov_b32_e32 v18, 0
	s_or_b64 s[6:7], s[6:7], s[0:1]
	s_or_b64 exec, exec, s[8:9]
	s_and_saveexec_b64 s[8:9], s[6:7]
	s_cbranch_execnz .LBB282_745
	s_branch .LBB282_746
.LBB282_1008:                           ;   in Loop: Header=BB282_552 Depth=1
	v_cmp_eq_u16_sdwa s[26:27], v6, s20 src0_sel:BYTE_0 src1_sel:DWORD
	s_mov_b64 s[0:1], -1
                                        ; implicit-def: $sgpr18
	s_and_saveexec_b64 s[8:9], s[26:27]
; %bb.1009:                             ;   in Loop: Header=BB282_552 Depth=1
	s_mov_b32 s18, 0x7fc02000
	s_xor_b64 s[0:1], exec, -1
; %bb.1010:                             ;   in Loop: Header=BB282_552 Depth=1
	s_or_b64 exec, exec, s[8:9]
	s_and_b64 s[0:1], s[0:1], exec
	s_or_saveexec_b64 s[6:7], s[6:7]
	v_mov_b32_e32 v22, s18
	s_xor_b64 exec, exec, s[6:7]
	s_cbranch_execz .LBB282_748
.LBB282_1011:                           ;   in Loop: Header=BB282_552 Depth=1
	v_cmp_ne_u16_sdwa s[8:9], v6, v7 src0_sel:BYTE_0 src1_sel:DWORD
	s_andn2_b64 s[0:1], s[0:1], exec
	s_and_b64 s[8:9], s[8:9], exec
	v_mov_b32_e32 v22, 0
	s_or_b64 s[0:1], s[0:1], s[8:9]
	s_or_b64 exec, exec, s[6:7]
	s_and_saveexec_b64 s[6:7], s[0:1]
	s_cbranch_execnz .LBB282_749
	s_branch .LBB282_750
.LBB282_1012:                           ;   in Loop: Header=BB282_552 Depth=1
	v_cmp_eq_u16_e64 s[0:1], s20, v6
	s_mov_b64 s[6:7], -1
                                        ; implicit-def: $sgpr26
	s_and_saveexec_b64 s[18:19], s[0:1]
; %bb.1013:                             ;   in Loop: Header=BB282_552 Depth=1
	s_mov_b32 s26, 0x7fc02000
	s_xor_b64 s[6:7], exec, -1
; %bb.1014:                             ;   in Loop: Header=BB282_552 Depth=1
	s_or_b64 exec, exec, s[18:19]
	s_and_b64 s[6:7], s[6:7], exec
	s_or_saveexec_b64 s[8:9], s[8:9]
	v_mov_b32_e32 v26, s26
	s_xor_b64 exec, exec, s[8:9]
	s_cbranch_execz .LBB282_752
.LBB282_1015:                           ;   in Loop: Header=BB282_552 Depth=1
	v_cmp_ne_u16_e64 s[0:1], 0, v6
	s_andn2_b64 s[6:7], s[6:7], exec
	s_and_b64 s[0:1], s[0:1], exec
	v_mov_b32_e32 v26, 0
	s_or_b64 s[6:7], s[6:7], s[0:1]
	s_or_b64 exec, exec, s[8:9]
	s_and_saveexec_b64 s[8:9], s[6:7]
	s_cbranch_execnz .LBB282_753
	s_branch .LBB282_754
.LBB282_1016:                           ;   in Loop: Header=BB282_552 Depth=1
	v_cmp_eq_u16_sdwa s[26:27], v26, s20 src0_sel:BYTE_0 src1_sel:DWORD
	s_mov_b64 s[0:1], -1
                                        ; implicit-def: $sgpr18
	s_and_saveexec_b64 s[8:9], s[26:27]
; %bb.1017:                             ;   in Loop: Header=BB282_552 Depth=1
	s_mov_b32 s18, 0x7fc02000
	s_xor_b64 s[0:1], exec, -1
; %bb.1018:                             ;   in Loop: Header=BB282_552 Depth=1
	s_or_b64 exec, exec, s[8:9]
	s_and_b64 s[0:1], s[0:1], exec
	s_or_saveexec_b64 s[6:7], s[6:7]
	v_mov_b32_e32 v28, s18
	s_xor_b64 exec, exec, s[6:7]
	s_cbranch_execz .LBB282_758
.LBB282_1019:                           ;   in Loop: Header=BB282_552 Depth=1
	v_cmp_ne_u16_sdwa s[8:9], v26, v7 src0_sel:BYTE_0 src1_sel:DWORD
	s_andn2_b64 s[0:1], s[0:1], exec
	s_and_b64 s[8:9], s[8:9], exec
	v_mov_b32_e32 v28, 0
	s_or_b64 s[0:1], s[0:1], s[8:9]
	s_or_b64 exec, exec, s[6:7]
	s_and_saveexec_b64 s[6:7], s[0:1]
	s_cbranch_execnz .LBB282_759
	s_branch .LBB282_760
.LBB282_1020:                           ;   in Loop: Header=BB282_552 Depth=1
	v_cmp_eq_u16_e64 s[0:1], s20, v6
	s_mov_b64 s[6:7], -1
                                        ; implicit-def: $sgpr26
	s_and_saveexec_b64 s[18:19], s[0:1]
; %bb.1021:                             ;   in Loop: Header=BB282_552 Depth=1
	s_mov_b32 s26, 0x7fc02000
	s_xor_b64 s[6:7], exec, -1
; %bb.1022:                             ;   in Loop: Header=BB282_552 Depth=1
	s_or_b64 exec, exec, s[18:19]
	s_and_b64 s[6:7], s[6:7], exec
	s_or_saveexec_b64 s[8:9], s[8:9]
	v_mov_b32_e32 v30, s26
	s_xor_b64 exec, exec, s[8:9]
	s_cbranch_execz .LBB282_762
.LBB282_1023:                           ;   in Loop: Header=BB282_552 Depth=1
	v_cmp_ne_u16_e64 s[0:1], 0, v6
	s_andn2_b64 s[6:7], s[6:7], exec
	s_and_b64 s[0:1], s[0:1], exec
	v_mov_b32_e32 v30, 0
	s_or_b64 s[6:7], s[6:7], s[0:1]
	s_or_b64 exec, exec, s[8:9]
	s_and_saveexec_b64 s[8:9], s[6:7]
	s_cbranch_execnz .LBB282_763
	s_branch .LBB282_764
.LBB282_1024:                           ;   in Loop: Header=BB282_552 Depth=1
	v_cmp_eq_u16_sdwa s[26:27], v6, s20 src0_sel:BYTE_0 src1_sel:DWORD
	s_mov_b64 s[0:1], -1
                                        ; implicit-def: $sgpr18
	s_and_saveexec_b64 s[8:9], s[26:27]
; %bb.1025:                             ;   in Loop: Header=BB282_552 Depth=1
	s_mov_b32 s18, 0x7fc02000
	s_xor_b64 s[0:1], exec, -1
; %bb.1026:                             ;   in Loop: Header=BB282_552 Depth=1
	s_or_b64 exec, exec, s[8:9]
	s_and_b64 s[0:1], s[0:1], exec
	s_or_saveexec_b64 s[6:7], s[6:7]
	v_mov_b32_e32 v29, s18
	s_xor_b64 exec, exec, s[6:7]
	s_cbranch_execz .LBB282_766
.LBB282_1027:                           ;   in Loop: Header=BB282_552 Depth=1
	v_cmp_ne_u16_sdwa s[8:9], v6, v7 src0_sel:BYTE_0 src1_sel:DWORD
	s_andn2_b64 s[0:1], s[0:1], exec
	s_and_b64 s[8:9], s[8:9], exec
	v_mov_b32_e32 v29, 0
	s_or_b64 s[0:1], s[0:1], s[8:9]
	s_or_b64 exec, exec, s[6:7]
	s_and_saveexec_b64 s[6:7], s[0:1]
	s_cbranch_execnz .LBB282_767
	s_branch .LBB282_768
.LBB282_1028:                           ;   in Loop: Header=BB282_552 Depth=1
	v_cmp_eq_u16_e64 s[0:1], s20, v6
	s_mov_b64 s[6:7], -1
                                        ; implicit-def: $sgpr26
	s_and_saveexec_b64 s[18:19], s[0:1]
; %bb.1029:                             ;   in Loop: Header=BB282_552 Depth=1
	s_mov_b32 s26, 0x7fc02000
	s_xor_b64 s[6:7], exec, -1
; %bb.1030:                             ;   in Loop: Header=BB282_552 Depth=1
	s_or_b64 exec, exec, s[18:19]
	s_and_b64 s[6:7], s[6:7], exec
	s_or_saveexec_b64 s[8:9], s[8:9]
	v_mov_b32_e32 v31, s26
	s_xor_b64 exec, exec, s[8:9]
	s_cbranch_execz .LBB282_770
.LBB282_1031:                           ;   in Loop: Header=BB282_552 Depth=1
	v_cmp_ne_u16_e64 s[0:1], 0, v6
	s_andn2_b64 s[6:7], s[6:7], exec
	s_and_b64 s[0:1], s[0:1], exec
	v_mov_b32_e32 v31, 0
	s_or_b64 s[6:7], s[6:7], s[0:1]
	s_or_b64 exec, exec, s[8:9]
	s_and_saveexec_b64 s[8:9], s[6:7]
	s_cbranch_execnz .LBB282_771
	s_branch .LBB282_772
.LBB282_1032:                           ;   in Loop: Header=BB282_552 Depth=1
	v_cmp_eq_u16_sdwa s[26:27], v27, s20 src0_sel:BYTE_0 src1_sel:DWORD
	s_mov_b64 s[0:1], -1
                                        ; implicit-def: $sgpr18
	s_and_saveexec_b64 s[8:9], s[26:27]
; %bb.1033:                             ;   in Loop: Header=BB282_552 Depth=1
	s_mov_b32 s18, 0x7fc02000
	s_xor_b64 s[0:1], exec, -1
; %bb.1034:                             ;   in Loop: Header=BB282_552 Depth=1
	s_or_b64 exec, exec, s[8:9]
	s_and_b64 s[0:1], s[0:1], exec
	s_or_saveexec_b64 s[6:7], s[6:7]
	v_mov_b32_e32 v17, s18
	s_xor_b64 exec, exec, s[6:7]
	s_cbranch_execz .LBB282_774
.LBB282_1035:                           ;   in Loop: Header=BB282_552 Depth=1
	v_cmp_ne_u16_sdwa s[8:9], v27, v7 src0_sel:BYTE_0 src1_sel:DWORD
	s_andn2_b64 s[0:1], s[0:1], exec
	s_and_b64 s[8:9], s[8:9], exec
	v_mov_b32_e32 v17, 0
	s_or_b64 s[0:1], s[0:1], s[8:9]
	s_or_b64 exec, exec, s[6:7]
	v_mov_b32_e32 v6, v27
	s_and_saveexec_b64 s[6:7], s[0:1]
	s_cbranch_execnz .LBB282_775
	s_branch .LBB282_776
.LBB282_1036:                           ;   in Loop: Header=BB282_552 Depth=1
	v_cmp_eq_u16_e64 s[0:1], s20, v6
	s_mov_b64 s[6:7], -1
                                        ; implicit-def: $sgpr26
	s_and_saveexec_b64 s[18:19], s[0:1]
; %bb.1037:                             ;   in Loop: Header=BB282_552 Depth=1
	s_mov_b32 s26, 0x7fc02000
	s_xor_b64 s[6:7], exec, -1
; %bb.1038:                             ;   in Loop: Header=BB282_552 Depth=1
	s_or_b64 exec, exec, s[18:19]
	s_and_b64 s[6:7], s[6:7], exec
	s_or_saveexec_b64 s[8:9], s[8:9]
	v_mov_b32_e32 v22, s26
	s_xor_b64 exec, exec, s[8:9]
	s_cbranch_execz .LBB282_778
.LBB282_1039:                           ;   in Loop: Header=BB282_552 Depth=1
	v_cmp_ne_u16_e64 s[0:1], 0, v6
	s_andn2_b64 s[6:7], s[6:7], exec
	s_and_b64 s[0:1], s[0:1], exec
	v_mov_b32_e32 v22, 0
	s_or_b64 s[6:7], s[6:7], s[0:1]
	s_or_b64 exec, exec, s[8:9]
	s_and_saveexec_b64 s[8:9], s[6:7]
	s_cbranch_execnz .LBB282_779
	s_branch .LBB282_780
.LBB282_1040:                           ;   in Loop: Header=BB282_552 Depth=1
	v_cmp_eq_u16_sdwa s[26:27], v6, s20 src0_sel:BYTE_0 src1_sel:DWORD
	s_mov_b64 s[0:1], -1
                                        ; implicit-def: $sgpr18
	s_and_saveexec_b64 s[8:9], s[26:27]
; %bb.1041:                             ;   in Loop: Header=BB282_552 Depth=1
	s_mov_b32 s18, 0x7fc02000
	s_xor_b64 s[0:1], exec, -1
; %bb.1042:                             ;   in Loop: Header=BB282_552 Depth=1
	s_or_b64 exec, exec, s[8:9]
	s_and_b64 s[0:1], s[0:1], exec
	s_or_saveexec_b64 s[6:7], s[6:7]
	v_mov_b32_e32 v23, s18
	s_xor_b64 exec, exec, s[6:7]
	s_cbranch_execz .LBB282_782
.LBB282_1043:                           ;   in Loop: Header=BB282_552 Depth=1
	v_cmp_ne_u16_sdwa s[8:9], v6, v7 src0_sel:BYTE_0 src1_sel:DWORD
	s_andn2_b64 s[0:1], s[0:1], exec
	s_and_b64 s[8:9], s[8:9], exec
	v_mov_b32_e32 v23, 0
	s_or_b64 s[0:1], s[0:1], s[8:9]
	s_or_b64 exec, exec, s[6:7]
	s_and_saveexec_b64 s[6:7], s[0:1]
	s_cbranch_execnz .LBB282_783
	s_branch .LBB282_784
.LBB282_1044:                           ;   in Loop: Header=BB282_552 Depth=1
	v_cmp_eq_u16_e64 s[0:1], s20, v6
	s_mov_b64 s[6:7], -1
                                        ; implicit-def: $sgpr26
	s_and_saveexec_b64 s[18:19], s[0:1]
; %bb.1045:                             ;   in Loop: Header=BB282_552 Depth=1
	s_mov_b32 s26, 0x7fc02000
	s_xor_b64 s[6:7], exec, -1
; %bb.1046:                             ;   in Loop: Header=BB282_552 Depth=1
	s_or_b64 exec, exec, s[18:19]
	s_and_b64 s[6:7], s[6:7], exec
	s_or_saveexec_b64 s[8:9], s[8:9]
	v_mov_b32_e32 v34, s26
	s_xor_b64 exec, exec, s[8:9]
	s_cbranch_execz .LBB282_786
.LBB282_1047:                           ;   in Loop: Header=BB282_552 Depth=1
	v_cmp_ne_u16_e64 s[0:1], 0, v6
	s_andn2_b64 s[6:7], s[6:7], exec
	s_and_b64 s[0:1], s[0:1], exec
	v_mov_b32_e32 v34, 0
	s_or_b64 s[6:7], s[6:7], s[0:1]
	s_or_b64 exec, exec, s[8:9]
	s_and_saveexec_b64 s[8:9], s[6:7]
	s_cbranch_execnz .LBB282_787
	s_branch .LBB282_788
.LBB282_1048:                           ;   in Loop: Header=BB282_552 Depth=1
	v_cmp_eq_u16_sdwa s[26:27], v16, s20 src0_sel:BYTE_0 src1_sel:DWORD
	s_mov_b64 s[0:1], -1
                                        ; implicit-def: $sgpr18
	s_and_saveexec_b64 s[8:9], s[26:27]
; %bb.1049:                             ;   in Loop: Header=BB282_552 Depth=1
	s_mov_b32 s18, 0x7fc02000
	s_xor_b64 s[0:1], exec, -1
; %bb.1050:                             ;   in Loop: Header=BB282_552 Depth=1
	s_or_b64 exec, exec, s[8:9]
	s_and_b64 s[0:1], s[0:1], exec
	s_or_saveexec_b64 s[6:7], s[6:7]
	v_mov_b32_e32 v26, s18
	s_xor_b64 exec, exec, s[6:7]
	s_cbranch_execz .LBB282_792
.LBB282_1051:                           ;   in Loop: Header=BB282_552 Depth=1
	v_cmp_ne_u16_sdwa s[8:9], v16, v7 src0_sel:BYTE_0 src1_sel:DWORD
	s_andn2_b64 s[0:1], s[0:1], exec
	s_and_b64 s[8:9], s[8:9], exec
	v_mov_b32_e32 v26, 0
	s_or_b64 s[0:1], s[0:1], s[8:9]
	s_or_b64 exec, exec, s[6:7]
	s_and_saveexec_b64 s[6:7], s[0:1]
	s_cbranch_execnz .LBB282_793
	s_branch .LBB282_794
.LBB282_1052:                           ;   in Loop: Header=BB282_552 Depth=1
	v_cmp_eq_u16_e64 s[0:1], s20, v6
	s_mov_b64 s[6:7], -1
                                        ; implicit-def: $sgpr26
	s_and_saveexec_b64 s[18:19], s[0:1]
; %bb.1053:                             ;   in Loop: Header=BB282_552 Depth=1
	s_mov_b32 s26, 0x7fc02000
	s_xor_b64 s[6:7], exec, -1
; %bb.1054:                             ;   in Loop: Header=BB282_552 Depth=1
	s_or_b64 exec, exec, s[18:19]
	s_and_b64 s[6:7], s[6:7], exec
	s_or_saveexec_b64 s[8:9], s[8:9]
	v_mov_b32_e32 v28, s26
	s_xor_b64 exec, exec, s[8:9]
	s_cbranch_execz .LBB282_796
.LBB282_1055:                           ;   in Loop: Header=BB282_552 Depth=1
	v_cmp_ne_u16_e64 s[0:1], 0, v6
	s_andn2_b64 s[6:7], s[6:7], exec
	s_and_b64 s[0:1], s[0:1], exec
	v_mov_b32_e32 v28, 0
	s_or_b64 s[6:7], s[6:7], s[0:1]
	s_or_b64 exec, exec, s[8:9]
	s_and_saveexec_b64 s[8:9], s[6:7]
	s_cbranch_execnz .LBB282_797
	s_branch .LBB282_798
.LBB282_1056:                           ;   in Loop: Header=BB282_552 Depth=1
	v_cmp_eq_u16_sdwa s[26:27], v6, s20 src0_sel:BYTE_0 src1_sel:DWORD
	s_mov_b64 s[0:1], -1
                                        ; implicit-def: $sgpr18
	s_and_saveexec_b64 s[8:9], s[26:27]
; %bb.1057:                             ;   in Loop: Header=BB282_552 Depth=1
	s_mov_b32 s18, 0x7fc02000
	s_xor_b64 s[0:1], exec, -1
; %bb.1058:                             ;   in Loop: Header=BB282_552 Depth=1
	s_or_b64 exec, exec, s[8:9]
	s_and_b64 s[0:1], s[0:1], exec
	s_or_saveexec_b64 s[6:7], s[6:7]
	v_mov_b32_e32 v27, s18
	s_xor_b64 exec, exec, s[6:7]
	s_cbranch_execz .LBB282_800
.LBB282_1059:                           ;   in Loop: Header=BB282_552 Depth=1
	v_cmp_ne_u16_sdwa s[8:9], v6, v7 src0_sel:BYTE_0 src1_sel:DWORD
	s_andn2_b64 s[0:1], s[0:1], exec
	s_and_b64 s[8:9], s[8:9], exec
	v_mov_b32_e32 v27, 0
	s_or_b64 s[0:1], s[0:1], s[8:9]
	s_or_b64 exec, exec, s[6:7]
	s_and_saveexec_b64 s[6:7], s[0:1]
	s_cbranch_execnz .LBB282_801
	s_branch .LBB282_802
.LBB282_1060:                           ;   in Loop: Header=BB282_552 Depth=1
	v_cmp_eq_u16_e64 s[0:1], s20, v6
	s_mov_b64 s[6:7], -1
                                        ; implicit-def: $sgpr26
	s_and_saveexec_b64 s[18:19], s[0:1]
; %bb.1061:                             ;   in Loop: Header=BB282_552 Depth=1
	s_mov_b32 s26, 0x7fc02000
	s_xor_b64 s[6:7], exec, -1
; %bb.1062:                             ;   in Loop: Header=BB282_552 Depth=1
	s_or_b64 exec, exec, s[18:19]
	s_and_b64 s[6:7], s[6:7], exec
	s_or_saveexec_b64 s[8:9], s[8:9]
	v_mov_b32_e32 v29, s26
	s_xor_b64 exec, exec, s[8:9]
	s_cbranch_execz .LBB282_804
.LBB282_1063:                           ;   in Loop: Header=BB282_552 Depth=1
	v_cmp_ne_u16_e64 s[0:1], 0, v6
	s_andn2_b64 s[6:7], s[6:7], exec
	s_and_b64 s[0:1], s[0:1], exec
	v_mov_b32_e32 v29, 0
	s_or_b64 s[6:7], s[6:7], s[0:1]
	s_or_b64 exec, exec, s[8:9]
	s_and_saveexec_b64 s[8:9], s[6:7]
	s_cbranch_execnz .LBB282_805
	s_branch .LBB282_806
.LBB282_1064:                           ;   in Loop: Header=BB282_552 Depth=1
	v_cmp_eq_u16_sdwa s[26:27], v17, s20 src0_sel:BYTE_0 src1_sel:DWORD
	s_mov_b64 s[0:1], -1
                                        ; implicit-def: $sgpr18
	s_and_saveexec_b64 s[8:9], s[26:27]
; %bb.1065:                             ;   in Loop: Header=BB282_552 Depth=1
	s_mov_b32 s18, 0x7fc02000
	s_xor_b64 s[0:1], exec, -1
; %bb.1066:                             ;   in Loop: Header=BB282_552 Depth=1
	s_or_b64 exec, exec, s[8:9]
	s_and_b64 s[0:1], s[0:1], exec
	s_or_saveexec_b64 s[6:7], s[6:7]
	v_mov_b32_e32 v11, s18
	s_xor_b64 exec, exec, s[6:7]
	s_cbranch_execz .LBB282_808
.LBB282_1067:                           ;   in Loop: Header=BB282_552 Depth=1
	v_cmp_ne_u16_sdwa s[8:9], v17, v7 src0_sel:BYTE_0 src1_sel:DWORD
	s_andn2_b64 s[0:1], s[0:1], exec
	s_and_b64 s[8:9], s[8:9], exec
	v_mov_b32_e32 v11, 0
	s_or_b64 s[0:1], s[0:1], s[8:9]
	s_or_b64 exec, exec, s[6:7]
	v_mov_b32_e32 v6, v17
	s_and_saveexec_b64 s[6:7], s[0:1]
	s_cbranch_execnz .LBB282_809
	s_branch .LBB282_810
.LBB282_1068:                           ;   in Loop: Header=BB282_552 Depth=1
	v_cmp_eq_u16_e64 s[0:1], s20, v6
	s_mov_b64 s[6:7], -1
                                        ; implicit-def: $sgpr26
	s_and_saveexec_b64 s[18:19], s[0:1]
; %bb.1069:                             ;   in Loop: Header=BB282_552 Depth=1
	s_mov_b32 s26, 0x7fc02000
	s_xor_b64 s[6:7], exec, -1
; %bb.1070:                             ;   in Loop: Header=BB282_552 Depth=1
	s_or_b64 exec, exec, s[18:19]
	s_and_b64 s[6:7], s[6:7], exec
	s_or_saveexec_b64 s[8:9], s[8:9]
	v_mov_b32_e32 v16, s26
	s_xor_b64 exec, exec, s[8:9]
	s_cbranch_execz .LBB282_812
.LBB282_1071:                           ;   in Loop: Header=BB282_552 Depth=1
	v_cmp_ne_u16_e64 s[0:1], 0, v6
	s_andn2_b64 s[6:7], s[6:7], exec
	s_and_b64 s[0:1], s[0:1], exec
	v_mov_b32_e32 v16, 0
	s_or_b64 s[6:7], s[6:7], s[0:1]
	s_or_b64 exec, exec, s[8:9]
	s_and_saveexec_b64 s[8:9], s[6:7]
	s_cbranch_execnz .LBB282_813
	s_branch .LBB282_814
.LBB282_1072:                           ;   in Loop: Header=BB282_552 Depth=1
	v_cmp_eq_u16_sdwa s[26:27], v6, s20 src0_sel:BYTE_0 src1_sel:DWORD
	s_mov_b64 s[0:1], -1
                                        ; implicit-def: $sgpr18
	s_and_saveexec_b64 s[8:9], s[26:27]
; %bb.1073:                             ;   in Loop: Header=BB282_552 Depth=1
	s_mov_b32 s18, 0x7fc02000
	s_xor_b64 s[0:1], exec, -1
; %bb.1074:                             ;   in Loop: Header=BB282_552 Depth=1
	s_or_b64 exec, exec, s[8:9]
	s_and_b64 s[0:1], s[0:1], exec
	s_or_saveexec_b64 s[6:7], s[6:7]
	v_mov_b32_e32 v30, s18
	s_xor_b64 exec, exec, s[6:7]
	s_cbranch_execz .LBB282_816
.LBB282_1075:                           ;   in Loop: Header=BB282_552 Depth=1
	v_cmp_ne_u16_sdwa s[8:9], v6, v7 src0_sel:BYTE_0 src1_sel:DWORD
	s_andn2_b64 s[0:1], s[0:1], exec
	s_and_b64 s[8:9], s[8:9], exec
	v_mov_b32_e32 v30, 0
	s_or_b64 s[0:1], s[0:1], s[8:9]
	s_or_b64 exec, exec, s[6:7]
	s_and_saveexec_b64 s[6:7], s[0:1]
	s_cbranch_execnz .LBB282_817
	s_branch .LBB282_818
.LBB282_1076:                           ;   in Loop: Header=BB282_552 Depth=1
	v_cmp_eq_u16_e64 s[0:1], s20, v6
	s_mov_b64 s[6:7], -1
                                        ; implicit-def: $sgpr26
	s_and_saveexec_b64 s[18:19], s[0:1]
; %bb.1077:                             ;   in Loop: Header=BB282_552 Depth=1
	s_mov_b32 s26, 0x7fc02000
	s_xor_b64 s[6:7], exec, -1
; %bb.1078:                             ;   in Loop: Header=BB282_552 Depth=1
	s_or_b64 exec, exec, s[18:19]
	s_and_b64 s[6:7], s[6:7], exec
	s_or_saveexec_b64 s[8:9], s[8:9]
	v_mov_b32_e32 v31, s26
	s_xor_b64 exec, exec, s[8:9]
	s_cbranch_execz .LBB282_820
.LBB282_1079:                           ;   in Loop: Header=BB282_552 Depth=1
	v_cmp_ne_u16_e64 s[0:1], 0, v6
	s_andn2_b64 s[6:7], s[6:7], exec
	s_and_b64 s[0:1], s[0:1], exec
	v_mov_b32_e32 v31, 0
	s_or_b64 s[6:7], s[6:7], s[0:1]
	s_or_b64 exec, exec, s[8:9]
	s_and_saveexec_b64 s[8:9], s[6:7]
	s_cbranch_execnz .LBB282_821
	s_branch .LBB282_822
.LBB282_1080:
	s_or_b64 exec, exec, s[4:5]
	v_accvgpr_read_b32 v18, a2
.LBB282_1081:
	s_or_b64 exec, exec, s[2:3]
	ds_bpermute_b32 v0, v35, v24
	ds_bpermute_b32 v1, v35, v25
	;; [unrolled: 1-line block ×8, first 2 shown]
	s_waitcnt lgkmcnt(6)
	v_pk_add_f32 v[0:1], v[24:25], v[0:1]
	ds_bpermute_b32 v6, v36, v0
	ds_bpermute_b32 v7, v36, v1
	s_waitcnt lgkmcnt(6)
	v_pk_add_f32 v[2:3], v[20:21], v[2:3]
	s_waitcnt lgkmcnt(4)
	v_pk_add_f32 v[10:11], v[8:9], v[10:11]
	;; [unrolled: 2-line block ×3, first 2 shown]
	ds_bpermute_b32 v12, v36, v2
	ds_bpermute_b32 v13, v36, v3
	;; [unrolled: 1-line block ×6, first 2 shown]
	s_waitcnt lgkmcnt(6)
	v_pk_add_f32 v[8:9], v[0:1], v[6:7]
	v_and_b32_e32 v0, 0x3c3, v18
	s_waitcnt lgkmcnt(4)
	v_pk_add_f32 v[6:7], v[2:3], v[12:13]
	s_waitcnt lgkmcnt(2)
	v_pk_add_f32 v[4:5], v[10:11], v[16:17]
	;; [unrolled: 2-line block ×3, first 2 shown]
	v_cmp_eq_u32_e32 vcc, 64, v0
	s_barrier
	s_and_saveexec_b64 s[0:1], vcc
	s_cbranch_execz .LBB282_1083
; %bb.1082:
	s_ashr_i32 s17, s16, 31
	s_lshl_b64 s[2:3], s[16:17], 2
	s_getpc_b64 s[4:5]
	s_add_u32 s4, s4, llvm.amdgcn.dynlds.offset.table@rel32@lo+4
	s_addc_u32 s5, s5, llvm.amdgcn.dynlds.offset.table@rel32@hi+12
	s_add_u32 s2, s2, s4
	s_addc_u32 s3, s3, s5
	s_load_dword s2, s[2:3], 0x0
	s_waitcnt lgkmcnt(0)
	v_add_u32_e32 v1, s2, v19
	ds_write2_b32 v1, v8, v9 offset1:16
	ds_write2_b32 v1, v6, v7 offset0:32 offset1:48
	ds_write2_b32 v1, v4, v5 offset0:64 offset1:80
	;; [unrolled: 1-line block ×3, first 2 shown]
.LBB282_1083:
	s_or_b64 exec, exec, s[0:1]
	v_cmp_gt_u32_e32 vcc, 64, v18
	s_waitcnt lgkmcnt(0)
	s_barrier
	s_and_saveexec_b64 s[0:1], vcc
	s_cbranch_execz .LBB282_1094
; %bb.1084:
	v_cmp_eq_u32_e32 vcc, 0, v37
	v_lshrrev_b32_e32 v1, 2, v18
	s_and_saveexec_b64 s[2:3], vcc
	s_cbranch_execnz .LBB282_1097
; %bb.1085:
	s_or_b64 exec, exec, s[2:3]
	s_and_saveexec_b64 s[2:3], vcc
	s_cbranch_execnz .LBB282_1098
.LBB282_1086:
	s_or_b64 exec, exec, s[2:3]
	s_and_saveexec_b64 s[2:3], vcc
	s_cbranch_execnz .LBB282_1099
.LBB282_1087:
	s_or_b64 exec, exec, s[2:3]
	s_and_saveexec_b64 s[2:3], vcc
	s_cbranch_execnz .LBB282_1100
.LBB282_1088:
	s_or_b64 exec, exec, s[2:3]
	s_and_saveexec_b64 s[2:3], vcc
	s_cbranch_execnz .LBB282_1101
.LBB282_1089:
	s_or_b64 exec, exec, s[2:3]
	s_and_saveexec_b64 s[2:3], vcc
	s_cbranch_execnz .LBB282_1102
.LBB282_1090:
	s_or_b64 exec, exec, s[2:3]
	s_and_saveexec_b64 s[2:3], vcc
	s_cbranch_execnz .LBB282_1103
.LBB282_1091:
	s_or_b64 exec, exec, s[2:3]
	s_and_saveexec_b64 s[2:3], vcc
	s_cbranch_execz .LBB282_1093
.LBB282_1092:
	s_ashr_i32 s17, s16, 31
	s_lshl_b64 s[4:5], s[16:17], 2
	s_getpc_b64 s[6:7]
	s_add_u32 s6, s6, llvm.amdgcn.dynlds.offset.table@rel32@lo+4
	s_addc_u32 s7, s7, llvm.amdgcn.dynlds.offset.table@rel32@hi+12
	s_add_u32 s4, s4, s6
	s_addc_u32 s5, s5, s7
	s_load_dword s4, s[4:5], 0x0
	s_waitcnt lgkmcnt(0)
	v_lshl_add_u32 v1, v1, 2, s4
	ds_read_b32 v1, v1 offset:448
	s_waitcnt lgkmcnt(0)
	v_add_f32_e32 v3, v3, v1
.LBB282_1093:
	s_or_b64 exec, exec, s[2:3]
.LBB282_1094:
	s_or_b64 exec, exec, s[0:1]
	v_cmp_eq_u32_e32 vcc, 0, v0
	s_barrier
	s_and_saveexec_b64 s[0:1], vcc
	s_cbranch_execz .LBB282_1096
; %bb.1095:
	v_cmp_ne_u16_e64 s[2:3], s15, 0
	s_cmp_lg_u64 s[2:3], 0
	s_addc_u32 s4, s13, 0
	s_mul_i32 s2, s10, s4
	s_mul_i32 s2, s2, s11
	s_lshl_b32 s2, s2, 7
	s_mul_i32 s4, s12, s4
	s_lshl_b32 s6, s14, 7
	s_ashr_i32 s3, s2, 31
	s_ashr_i32 s5, s4, 31
	;; [unrolled: 1-line block ×3, first 2 shown]
	s_lshl_b64 s[2:3], s[2:3], 1
	s_lshl_b64 s[4:5], s[4:5], 1
	;; [unrolled: 1-line block ×3, first 2 shown]
	s_add_u32 s4, s6, s4
	s_addc_u32 s5, s7, s5
	s_add_u32 s2, s4, s2
	v_accvgpr_read_b32 v0, a0
	s_addc_u32 s3, s5, s3
	v_accvgpr_read_b32 v1, a1
	v_lshl_add_u64 v[0:1], s[2:3], 0, v[0:1]
	v_lshrrev_b32_e32 v10, 1, v18
	v_mov_b32_e32 v11, 0
	v_lshl_add_u64 v[0:1], v[0:1], 0, v[10:11]
	;;#ASMSTART
	v_cvt_f16_f32 v8, v8;

	;;#ASMEND
	flat_store_short v[0:1], v8
	;;#ASMSTART
	v_cvt_f16_f32 v8, v9;

	;;#ASMEND
	flat_store_short v[0:1], v8 offset:32
	;;#ASMSTART
	v_cvt_f16_f32 v6, v6;

	;;#ASMEND
	flat_store_short v[0:1], v6 offset:64
	;; [unrolled: 5-line block ×7, first 2 shown]
.LBB282_1096:
	s_or_b64 exec, exec, s[0:1]
	scratch_load_dword a45, off, s32        ; 4-byte Folded Reload
	scratch_load_dword a44, off, s32 offset:4 ; 4-byte Folded Reload
	scratch_load_dword a43, off, s32 offset:8 ; 4-byte Folded Reload
	;; [unrolled: 1-line block ×29, first 2 shown]
	s_waitcnt vmcnt(0) lgkmcnt(0)
	s_setpc_b64 s[30:31]
.LBB282_1097:
	s_ashr_i32 s17, s16, 31
	s_lshl_b64 s[4:5], s[16:17], 2
	s_getpc_b64 s[6:7]
	s_add_u32 s6, s6, llvm.amdgcn.dynlds.offset.table@rel32@lo+4
	s_addc_u32 s7, s7, llvm.amdgcn.dynlds.offset.table@rel32@hi+12
	s_add_u32 s4, s4, s6
	s_addc_u32 s5, s5, s7
	s_load_dword s4, s[4:5], 0x0
	s_waitcnt lgkmcnt(0)
	v_lshl_add_u32 v10, v1, 2, s4
	ds_read_b32 v10, v10
	s_waitcnt lgkmcnt(0)
	v_add_f32_e32 v8, v8, v10
	s_or_b64 exec, exec, s[2:3]
	s_and_saveexec_b64 s[2:3], vcc
	s_cbranch_execz .LBB282_1086
.LBB282_1098:
	s_ashr_i32 s17, s16, 31
	s_lshl_b64 s[4:5], s[16:17], 2
	s_getpc_b64 s[6:7]
	s_add_u32 s6, s6, llvm.amdgcn.dynlds.offset.table@rel32@lo+4
	s_addc_u32 s7, s7, llvm.amdgcn.dynlds.offset.table@rel32@hi+12
	s_add_u32 s4, s4, s6
	s_addc_u32 s5, s5, s7
	s_load_dword s4, s[4:5], 0x0
	s_waitcnt lgkmcnt(0)
	v_lshl_add_u32 v10, v1, 2, s4
	ds_read_b32 v10, v10 offset:64
	s_waitcnt lgkmcnt(0)
	v_add_f32_e32 v9, v9, v10
	s_or_b64 exec, exec, s[2:3]
	s_and_saveexec_b64 s[2:3], vcc
	s_cbranch_execz .LBB282_1087
.LBB282_1099:
	s_ashr_i32 s17, s16, 31
	s_lshl_b64 s[4:5], s[16:17], 2
	s_getpc_b64 s[6:7]
	s_add_u32 s6, s6, llvm.amdgcn.dynlds.offset.table@rel32@lo+4
	s_addc_u32 s7, s7, llvm.amdgcn.dynlds.offset.table@rel32@hi+12
	s_add_u32 s4, s4, s6
	s_addc_u32 s5, s5, s7
	s_load_dword s4, s[4:5], 0x0
	s_waitcnt lgkmcnt(0)
	v_lshl_add_u32 v10, v1, 2, s4
	ds_read_b32 v10, v10 offset:128
	s_waitcnt lgkmcnt(0)
	v_add_f32_e32 v6, v6, v10
	s_or_b64 exec, exec, s[2:3]
	s_and_saveexec_b64 s[2:3], vcc
	s_cbranch_execz .LBB282_1088
.LBB282_1100:
	s_ashr_i32 s17, s16, 31
	s_lshl_b64 s[4:5], s[16:17], 2
	s_getpc_b64 s[6:7]
	s_add_u32 s6, s6, llvm.amdgcn.dynlds.offset.table@rel32@lo+4
	s_addc_u32 s7, s7, llvm.amdgcn.dynlds.offset.table@rel32@hi+12
	s_add_u32 s4, s4, s6
	s_addc_u32 s5, s5, s7
	s_load_dword s4, s[4:5], 0x0
	s_waitcnt lgkmcnt(0)
	v_lshl_add_u32 v10, v1, 2, s4
	ds_read_b32 v10, v10 offset:192
	s_waitcnt lgkmcnt(0)
	v_add_f32_e32 v7, v7, v10
	s_or_b64 exec, exec, s[2:3]
	s_and_saveexec_b64 s[2:3], vcc
	s_cbranch_execz .LBB282_1089
.LBB282_1101:
	s_ashr_i32 s17, s16, 31
	s_lshl_b64 s[4:5], s[16:17], 2
	s_getpc_b64 s[6:7]
	s_add_u32 s6, s6, llvm.amdgcn.dynlds.offset.table@rel32@lo+4
	s_addc_u32 s7, s7, llvm.amdgcn.dynlds.offset.table@rel32@hi+12
	s_add_u32 s4, s4, s6
	s_addc_u32 s5, s5, s7
	s_load_dword s4, s[4:5], 0x0
	s_waitcnt lgkmcnt(0)
	v_lshl_add_u32 v10, v1, 2, s4
	ds_read_b32 v10, v10 offset:256
	s_waitcnt lgkmcnt(0)
	v_add_f32_e32 v4, v4, v10
	s_or_b64 exec, exec, s[2:3]
	s_and_saveexec_b64 s[2:3], vcc
	s_cbranch_execz .LBB282_1090
.LBB282_1102:
	s_ashr_i32 s17, s16, 31
	s_lshl_b64 s[4:5], s[16:17], 2
	s_getpc_b64 s[6:7]
	s_add_u32 s6, s6, llvm.amdgcn.dynlds.offset.table@rel32@lo+4
	s_addc_u32 s7, s7, llvm.amdgcn.dynlds.offset.table@rel32@hi+12
	s_add_u32 s4, s4, s6
	s_addc_u32 s5, s5, s7
	s_load_dword s4, s[4:5], 0x0
	s_waitcnt lgkmcnt(0)
	v_lshl_add_u32 v10, v1, 2, s4
	ds_read_b32 v10, v10 offset:320
	s_waitcnt lgkmcnt(0)
	v_add_f32_e32 v5, v5, v10
	s_or_b64 exec, exec, s[2:3]
	s_and_saveexec_b64 s[2:3], vcc
	s_cbranch_execz .LBB282_1091
.LBB282_1103:
	s_ashr_i32 s17, s16, 31
	s_lshl_b64 s[4:5], s[16:17], 2
	s_getpc_b64 s[6:7]
	s_add_u32 s6, s6, llvm.amdgcn.dynlds.offset.table@rel32@lo+4
	s_addc_u32 s7, s7, llvm.amdgcn.dynlds.offset.table@rel32@hi+12
	s_add_u32 s4, s4, s6
	s_addc_u32 s5, s5, s7
	s_load_dword s4, s[4:5], 0x0
	s_waitcnt lgkmcnt(0)
	v_lshl_add_u32 v10, v1, 2, s4
	ds_read_b32 v10, v10 offset:384
	s_waitcnt lgkmcnt(0)
	v_add_f32_e32 v2, v2, v10
	s_or_b64 exec, exec, s[2:3]
	s_and_saveexec_b64 s[2:3], vcc
	s_cbranch_execnz .LBB282_1092
	s_branch .LBB282_1093
.Lfunc_end282:
	.size	_ZN4vllm22paged_attention_kernelIthLi128ELi32ELi128ELNS_18Fp8KVCacheDataTypeE1ELb0ELi0EEEvPfS2_PT_PKS3_PKT0_S9_ifPKiSB_iPKfiiiSD_SD_iiiii, .Lfunc_end282-_ZN4vllm22paged_attention_kernelIthLi128ELi32ELi128ELNS_18Fp8KVCacheDataTypeE1ELb0ELi0EEEvPfS2_PT_PKS3_PKT0_S9_ifPKiSB_iPKfiiiSD_SD_iiiii
                                        ; -- End function
	.section	.AMDGPU.csdata,"",@progbits
; Function info:
; codeLenInByte = 45356
; NumSgprs: 39
; NumVgprs: 64
; NumAgprs: 46
; TotalNumVgprs: 110
; ScratchSize: 144
; MemoryBound: 0
	.section	.text._ZN4vllm25paged_attention_v1_kernelIthLi128ELi32ELi128ELNS_18Fp8KVCacheDataTypeE1ELb0EEEvPT_PKS2_PKT0_S8_ifPKiSA_iPKfiiiSC_SC_iiiii,"axG",@progbits,_ZN4vllm25paged_attention_v1_kernelIthLi128ELi32ELi128ELNS_18Fp8KVCacheDataTypeE1ELb0EEEvPT_PKS2_PKT0_S8_ifPKiSA_iPKfiiiSC_SC_iiiii,comdat
	.protected	_ZN4vllm25paged_attention_v1_kernelIthLi128ELi32ELi128ELNS_18Fp8KVCacheDataTypeE1ELb0EEEvPT_PKS2_PKT0_S8_ifPKiSA_iPKfiiiSC_SC_iiiii ; -- Begin function _ZN4vllm25paged_attention_v1_kernelIthLi128ELi32ELi128ELNS_18Fp8KVCacheDataTypeE1ELb0EEEvPT_PKS2_PKT0_S8_ifPKiSA_iPKfiiiSC_SC_iiiii
	.globl	_ZN4vllm25paged_attention_v1_kernelIthLi128ELi32ELi128ELNS_18Fp8KVCacheDataTypeE1ELb0EEEvPT_PKS2_PKT0_S8_ifPKiSA_iPKfiiiSC_SC_iiiii
	.p2align	8
	.type	_ZN4vllm25paged_attention_v1_kernelIthLi128ELi32ELi128ELNS_18Fp8KVCacheDataTypeE1ELb0EEEvPT_PKS2_PKT0_S8_ifPKiSA_iPKfiiiSC_SC_iiiii,@function
_ZN4vllm25paged_attention_v1_kernelIthLi128ELi32ELi128ELNS_18Fp8KVCacheDataTypeE1ELb0EEEvPT_PKS2_PKT0_S8_ifPKiSA_iPKfiiiSC_SC_iiiii: ; @_ZN4vllm25paged_attention_v1_kernelIthLi128ELi32ELi128ELNS_18Fp8KVCacheDataTypeE1ELb0EEEvPT_PKS2_PKT0_S8_ifPKiSA_iPKfiiiSC_SC_iiiii
; %bb.0:
	s_load_dwordx8 s[16:23], s[0:1], 0x0
	s_load_dwordx4 s[36:39], s[0:1], 0x20
	s_load_dwordx2 s[6:7], s[0:1], 0x30
	s_load_dword s5, s[0:1], 0x38
	s_load_dwordx2 s[10:11], s[0:1], 0x40
	s_load_dwordx8 s[24:31], s[0:1], 0x48
	s_add_u32 s8, s0, 0x80
	s_addc_u32 s9, s1, 0
	s_mov_b32 s12, s2
	s_mov_b32 s13, s3
	;; [unrolled: 1-line block ×4, first 2 shown]
	v_mov_b32_e32 v31, v0
	s_waitcnt lgkmcnt(0)
	v_mov_b32_e32 v0, s16
	v_mov_b32_e32 v1, s17
	;; [unrolled: 1-line block ×24, first 2 shown]
	s_mov_b32 s32, 0
	s_getpc_b64 s[0:1]
	s_add_u32 s0, s0, _ZN4vllm22paged_attention_kernelIthLi128ELi32ELi128ELNS_18Fp8KVCacheDataTypeE1ELb0ELi0EEEvPfS2_PT_PKS3_PKT0_S9_ifPKiSB_iPKfiiiSD_SD_iiiii@rel32@lo+4
	s_addc_u32 s1, s1, _ZN4vllm22paged_attention_kernelIthLi128ELi32ELi128ELNS_18Fp8KVCacheDataTypeE1ELb0ELi0EEEvPfS2_PT_PKS3_PKT0_S9_ifPKiSB_iPKfiiiSD_SD_iiiii@rel32@hi+12
	s_swappc_b64 s[30:31], s[0:1]
	s_endpgm
	.section	.rodata,"a",@progbits
	.p2align	6, 0x0
	.amdhsa_kernel _ZN4vllm25paged_attention_v1_kernelIthLi128ELi32ELi128ELNS_18Fp8KVCacheDataTypeE1ELb0EEEvPT_PKS2_PKT0_S8_ifPKiSA_iPKfiiiSC_SC_iiiii
		.amdhsa_group_segment_fixed_size 272
		.amdhsa_private_segment_fixed_size 144
		.amdhsa_kernarg_size 384
		.amdhsa_user_sgpr_count 2
		.amdhsa_user_sgpr_dispatch_ptr 0
		.amdhsa_user_sgpr_queue_ptr 0
		.amdhsa_user_sgpr_kernarg_segment_ptr 1
		.amdhsa_user_sgpr_dispatch_id 0
		.amdhsa_user_sgpr_kernarg_preload_length 0
		.amdhsa_user_sgpr_kernarg_preload_offset 0
		.amdhsa_user_sgpr_private_segment_size 0
		.amdhsa_uses_dynamic_stack 0
		.amdhsa_enable_private_segment 1
		.amdhsa_system_sgpr_workgroup_id_x 1
		.amdhsa_system_sgpr_workgroup_id_y 1
		.amdhsa_system_sgpr_workgroup_id_z 1
		.amdhsa_system_sgpr_workgroup_info 0
		.amdhsa_system_vgpr_workitem_id 0
		.amdhsa_next_free_vgpr 110
		.amdhsa_next_free_sgpr 40
		.amdhsa_accum_offset 64
		.amdhsa_reserve_vcc 1
		.amdhsa_float_round_mode_32 0
		.amdhsa_float_round_mode_16_64 0
		.amdhsa_float_denorm_mode_32 3
		.amdhsa_float_denorm_mode_16_64 3
		.amdhsa_dx10_clamp 1
		.amdhsa_ieee_mode 1
		.amdhsa_fp16_overflow 0
		.amdhsa_tg_split 0
		.amdhsa_exception_fp_ieee_invalid_op 0
		.amdhsa_exception_fp_denorm_src 0
		.amdhsa_exception_fp_ieee_div_zero 0
		.amdhsa_exception_fp_ieee_overflow 0
		.amdhsa_exception_fp_ieee_underflow 0
		.amdhsa_exception_fp_ieee_inexact 0
		.amdhsa_exception_int_div_zero 0
	.end_amdhsa_kernel
	.section	.text._ZN4vllm25paged_attention_v1_kernelIthLi128ELi32ELi128ELNS_18Fp8KVCacheDataTypeE1ELb0EEEvPT_PKS2_PKT0_S8_ifPKiSA_iPKfiiiSC_SC_iiiii,"axG",@progbits,_ZN4vllm25paged_attention_v1_kernelIthLi128ELi32ELi128ELNS_18Fp8KVCacheDataTypeE1ELb0EEEvPT_PKS2_PKT0_S8_ifPKiSA_iPKfiiiSC_SC_iiiii,comdat
.Lfunc_end283:
	.size	_ZN4vllm25paged_attention_v1_kernelIthLi128ELi32ELi128ELNS_18Fp8KVCacheDataTypeE1ELb0EEEvPT_PKS2_PKT0_S8_ifPKiSA_iPKfiiiSC_SC_iiiii, .Lfunc_end283-_ZN4vllm25paged_attention_v1_kernelIthLi128ELi32ELi128ELNS_18Fp8KVCacheDataTypeE1ELb0EEEvPT_PKS2_PKT0_S8_ifPKiSA_iPKfiiiSC_SC_iiiii
                                        ; -- End function
	.section	.AMDGPU.csdata,"",@progbits
; Kernel info:
; codeLenInByte = 212
; NumSgprs: 46
; NumVgprs: 64
; NumAgprs: 46
; TotalNumVgprs: 110
; ScratchSize: 144
; MemoryBound: 0
; FloatMode: 240
; IeeeMode: 1
; LDSByteSize: 272 bytes/workgroup (compile time only)
; SGPRBlocks: 5
; VGPRBlocks: 13
; NumSGPRsForWavesPerEU: 46
; NumVGPRsForWavesPerEU: 110
; AccumOffset: 64
; Occupancy: 4
; WaveLimiterHint : 1
; COMPUTE_PGM_RSRC2:SCRATCH_EN: 1
; COMPUTE_PGM_RSRC2:USER_SGPR: 2
; COMPUTE_PGM_RSRC2:TRAP_HANDLER: 0
; COMPUTE_PGM_RSRC2:TGID_X_EN: 1
; COMPUTE_PGM_RSRC2:TGID_Y_EN: 1
; COMPUTE_PGM_RSRC2:TGID_Z_EN: 1
; COMPUTE_PGM_RSRC2:TIDIG_COMP_CNT: 0
; COMPUTE_PGM_RSRC3_GFX90A:ACCUM_OFFSET: 15
; COMPUTE_PGM_RSRC3_GFX90A:TG_SPLIT: 0
	.text
	.p2align	2                               ; -- Begin function _ZN4vllm22paged_attention_kernelIthLi192ELi32ELi128ELNS_18Fp8KVCacheDataTypeE1ELb0ELi0EEEvPfS2_PT_PKS3_PKT0_S9_ifPKiSB_iPKfiiiSD_SD_iiiii
	.type	_ZN4vllm22paged_attention_kernelIthLi192ELi32ELi128ELNS_18Fp8KVCacheDataTypeE1ELb0ELi0EEEvPfS2_PT_PKS3_PKT0_S9_ifPKiSB_iPKfiiiSD_SD_iiiii,@function
_ZN4vllm22paged_attention_kernelIthLi192ELi32ELi128ELNS_18Fp8KVCacheDataTypeE1ELb0ELi0EEEvPfS2_PT_PKS3_PKT0_S9_ifPKiSB_iPKfiiiSD_SD_iiiii: ; @_ZN4vllm22paged_attention_kernelIthLi192ELi32ELi128ELNS_18Fp8KVCacheDataTypeE1ELb0ELi0EEEvPfS2_PT_PKS3_PKT0_S9_ifPKiSB_iPKfiiiSD_SD_iiiii
; %bb.0:
	s_waitcnt vmcnt(0) expcnt(0) lgkmcnt(0)
	s_or_saveexec_b64 s[0:1], -1
	scratch_store_dword off, v63, s32 offset:420 ; 4-byte Folded Spill
	s_mov_b64 exec, s[0:1]
	scratch_store_dword off, v40, s32 offset:184 ; 4-byte Folded Spill
	scratch_store_dword off, v41, s32 offset:180 ; 4-byte Folded Spill
	;; [unrolled: 1-line block ×46, first 2 shown]
	scratch_store_dword off, a63, s32       ; 4-byte Folded Spill
	v_writelane_b32 v63, s34, 0
	v_writelane_b32 v63, s35, 1
	;; [unrolled: 1-line block ×7, first 2 shown]
	s_nop 1
	v_writelane_b32 v63, s31, 7
	s_mov_b32 s10, s13
	s_ashr_i32 s11, s13, 31
	scratch_store_dwordx2 off, v[0:1], s32 offset:368 ; 8-byte Folded Spill
	v_lshl_add_u64 v[0:1], s[10:11], 2, v[12:13]
	flat_load_dword a8, v[0:1]
	v_sub_u32_e32 v0, 0, v8
	v_max_i32_e32 v0, v8, v0
	v_cvt_f32_u32_e32 v1, v0
	scratch_store_dwordx2 off, v[18:19], s32 offset:320 ; 8-byte Folded Spill
	scratch_store_dword off, v9, s32 offset:360 ; 4-byte Folded Spill
	s_load_dword s0, s[8:9], 0x10
	s_load_dword s2, s[8:9], 0x0
	v_rcp_iflag_f32_e32 v1, v1
	v_mov_b32_e32 v33, v7
	v_sub_u32_e32 v7, 0, v0
	s_waitcnt lgkmcnt(0)
	s_lshr_b32 s0, s0, 16
	v_mul_f32_e32 v1, 0x4f7ffffe, v1
	v_cvt_u32_f32_e32 v1, v1
	s_cmp_lg_u32 s0, 0
	s_cselect_b64 s[0:1], -1, 0
	s_cmp_lg_u64 s[0:1], 0
	v_mul_lo_u32 v7, v7, v1
	s_addc_u32 s11, s2, 0
	v_mul_hi_u32 v7, v1, v7
	s_abs_i32 s0, s11
	v_add_u32_e32 v1, v1, v7
	v_mul_hi_u32 v1, s0, v1
	v_mul_lo_u32 v7, v1, v0
	v_sub_u32_e32 v7, s0, v7
	v_mov_b32_e32 v32, v6
	v_xor_b32_e32 v6, s11, v8
	v_add_u32_e32 v8, 1, v1
	v_cmp_ge_u32_e32 vcc, v7, v0
	v_ashrrev_i32_e32 v6, 31, v6
	v_mov_b32_e32 v25, v16
	v_cndmask_b32_e32 v1, v1, v8, vcc
	v_sub_u32_e32 v8, v7, v0
	v_cndmask_b32_e32 v7, v7, v8, vcc
	v_add_u32_e32 v8, 1, v1
	v_cmp_ge_u32_e32 vcc, v7, v0
	v_mov_b32_e32 v24, v15
	v_accvgpr_write_b32 a4, v22
	v_cndmask_b32_e32 v0, v1, v8, vcc
	v_xor_b32_e32 v0, v0, v6
	v_sub_u32_e32 v1, v0, v6
	v_sub_u32_e32 v0, 0, v1
	v_max_i32_e32 v0, v1, v0
	v_cvt_f32_u32_e32 v6, v0
	v_sub_u32_e32 v7, 0, v0
	v_accvgpr_write_b32 a20, v20
	s_abs_i32 s2, s12
	v_rcp_iflag_f32_e32 v6, v6
	v_accvgpr_write_b32 a5, v23
	v_accvgpr_write_b32 a21, v21
	v_mov_b32_e32 v23, v11
	v_mul_f32_e32 v6, 0x4f7ffffe, v6
	v_cvt_u32_f32_e32 v6, v6
	v_mov_b32_e32 v22, v10
	s_mov_b32 s16, s15
	v_cmp_ne_u64_e32 vcc, 0, v[24:25]
	v_mul_lo_u32 v7, v7, v6
	v_mul_hi_u32 v7, v6, v7
	v_add_u32_e32 v6, v6, v7
	v_mad_u64_u32 v[26:27], s[0:1], s2, v6, 0
	v_mov_b32_e32 v6, 0
	scratch_store_dword off, v6, s32 offset:352 ; 4-byte Folded Spill
	s_and_saveexec_b64 s[0:1], vcc
	s_cbranch_execz .LBB284_2
; %bb.1:
	s_ashr_i32 s13, s12, 31
	v_lshl_add_u64 v[6:7], s[12:13], 2, v[24:25]
	flat_load_dword v6, v[6:7]
	s_waitcnt vmcnt(0) lgkmcnt(0)
	scratch_store_dword off, v6, s32 offset:352 ; 4-byte Folded Spill
.LBB284_2:
	s_or_b64 exec, exec, s[0:1]
	v_and_b32_e32 v10, 0x3ff, v31
	s_ashr_i32 s3, s12, 31
	v_ashrrev_i32_e32 v6, 31, v1
	v_and_b32_e32 v1, 1, v10
	s_movk_i32 s4, 0xc0
	s_mulk_i32 s12, 0xc0
	v_cmp_gt_u32_e32 vcc, 48, v10
	v_lshlrev_b32_e32 v16, 3, v10
	s_and_saveexec_b64 s[0:1], vcc
	s_cbranch_execz .LBB284_4
; %bb.3:
	v_mul_lo_u32 v8, s10, v17
	v_ashrrev_i32_e32 v9, 31, v8
	v_lshl_add_u64 v[2:3], v[8:9], 1, v[2:3]
	s_ashr_i32 s13, s12, 31
	v_lshl_add_u64 v[2:3], s[12:13], 1, v[2:3]
	v_mov_b32_e32 v17, 0
	v_lshl_add_u64 v[2:3], v[2:3], 0, v[16:17]
	flat_load_dwordx2 v[2:3], v[2:3]
	v_lshlrev_b32_e32 v7, 2, v10
	v_and_b32_e32 v7, 0xff8, v7
	v_mad_u32_u24 v7, v1, s4, v7
	s_waitcnt vmcnt(0) lgkmcnt(0)
	ds_write_b64 v7, v[2:3]
.LBB284_4:
	s_or_b64 exec, exec, s[0:1]
	s_waitcnt vmcnt(0)
	v_accvgpr_read_b32 v2, a8
	v_add_u32_e32 v2, 31, v2
	v_ashrrev_i32_e32 v3, 31, v2
	v_lshrrev_b32_e32 v3, 27, v3
	v_add_u32_e32 v2, v2, v3
	v_mul_lo_u32 v3, v27, v0
	v_sub_u32_e32 v3, s2, v3
	v_ashrrev_i32_e32 v8, 5, v2
	v_xor_b32_e32 v2, s3, v6
	v_add_u32_e32 v6, 1, v27
	v_cmp_ge_u32_e32 vcc, v3, v0
	v_sub_u32_e32 v7, v3, v0
	v_lshrrev_b32_e32 v9, 6, v10
	v_cndmask_b32_e32 v6, v27, v6, vcc
	v_cndmask_b32_e32 v3, v3, v7, vcc
	v_add_u32_e32 v7, 1, v6
	v_cmp_ge_u32_e32 vcc, v3, v0
	v_mul_lo_u32 v30, s10, v14
	v_ashrrev_i32_e32 v31, 31, v30
	v_cndmask_b32_e32 v0, v6, v7, vcc
	v_xor_b32_e32 v0, v0, v2
	v_sub_u32_e32 v3, v0, v2
	v_cmp_lt_i32_e64 s[0:1], v9, v8
	v_accvgpr_write_b32 a7, v9
	v_cmp_ge_i32_e32 vcc, v9, v8
	v_mbcnt_lo_u32_b32 v2, -1, 0
	scratch_store_dword off, v10, s32 offset:356 ; 4-byte Folded Spill
	s_waitcnt lgkmcnt(0)
	s_barrier
	scratch_store_dword off, v8, s32 offset:316 ; 4-byte Folded Spill
                                        ; implicit-def: $sgpr4
                                        ; implicit-def: $agpr22
                                        ; implicit-def: $vgpr0
	s_and_saveexec_b64 s[2:3], vcc
	s_xor_b64 s[2:3], exec, s[2:3]
; %bb.5:
	v_mbcnt_hi_u32_b32 v0, -1, v2
	v_accvgpr_write_b32 a22, v0
	v_and_b32_e32 v0, 64, v0
                                        ; implicit-def: $vgpr1
	v_add_u32_e32 v0, 64, v0
	s_mov_b32 s4, 0xff7fffff
                                        ; kill: killed $vgpr1
                                        ; implicit-def: $vgpr1
                                        ; kill: killed $vgpr1
                                        ; implicit-def: $agpr20
                                        ; implicit-def: $vgpr4
                                        ; implicit-def: $vgpr1
                                        ; implicit-def: $vgpr2
; %bb.6:
	s_or_saveexec_b64 s[6:7], s[2:3]
	s_load_dword s15, s[8:9], 0x14
	s_load_dword s13, s[8:9], 0x8
	v_mul_lo_u32 v34, v3, v19
	scratch_load_dword v3, off, s32 offset:356 ; 4-byte Folded Reload
	v_mov_b32_e32 v6, s4
	v_ashrrev_i32_e32 v35, 31, v34
	s_waitcnt vmcnt(0)
	v_lshrrev_b32_e32 v18, 4, v3
	s_xor_b64 exec, exec, s[6:7]
	s_cbranch_execz .LBB284_780
; %bb.7:
	scratch_store_dwordx2 off, v[16:17], s32 offset:404 ; 8-byte Folded Spill
	scratch_store_dwordx2 off, v[32:33], s32 offset:396 ; 8-byte Folded Spill
	v_mul_u32_u24_e32 v0, 0xc0, v1
	scratch_store_dword off, v0, s32 offset:332 ; 4-byte Folded Spill
	scratch_load_dword v0, off, s32 offset:352 ; 4-byte Folded Reload
	v_bfe_u32 v3, v3, 1, 5
	v_lshl_add_u64 v[6:7], v[4:5], 0, v[34:35]
	v_lshlrev_b32_e32 v4, 4, v3
	v_mov_b32_e32 v5, 0
	v_lshl_add_u64 v[6:7], v[6:7], 0, v[4:5]
	v_and_b32_e32 v4, 60, v18
	scratch_store_dwordx2 off, v[6:7], s32 offset:336 ; 8-byte Folded Spill
	v_lshlrev_b32_e32 v6, 2, v1
	v_cmp_eq_u32_e64 s[2:3], 0, v1
	s_ashr_i32 s17, s16, 31
	s_lshl_b64 s[8:9], s[16:17], 2
	s_getpc_b64 s[18:19]
	s_add_u32 s18, s18, llvm.amdgcn.dynlds.offset.table@rel32@lo+4
	s_addc_u32 s19, s19, llvm.amdgcn.dynlds.offset.table@rel32@hi+12
	v_mov_b32_e32 v7, v5
	s_add_u32 s8, s8, s18
	scratch_store_dwordx2 off, v[6:7], s32 offset:344 ; 8-byte Folded Spill
	s_addc_u32 s9, s9, s19
	s_mov_b64 s[18:19], 0
	s_movk_i32 s17, 0x7f
	s_movk_i32 s36, 0x80
	s_mov_b32 s37, 0x8000
	s_mov_b64 s[20:21], 0x1000
	s_mov_b64 s[22:23], 0x1200
	;; [unrolled: 1-line block ×4, first 2 shown]
	v_mov_b32_e32 v48, 0x1c00
	v_accvgpr_read_b32 v7, a7
	scratch_store_dwordx2 off, v[34:35], s32 offset:376 ; 8-byte Folded Spill
	scratch_store_dword off, v18, s32 offset:384 ; 4-byte Folded Spill
	scratch_store_dwordx2 off, v[30:31], s32 offset:388 ; 8-byte Folded Spill
	scratch_store_dwordx2 off, v[22:23], s32 offset:412 ; 8-byte Folded Spill
	s_waitcnt vmcnt(6)
	v_cmp_neq_f32_e64 s[4:5], 0, v0
	v_lshl_add_u64 v[0:1], v[30:31], 2, v[4:5]
	v_lshl_add_u64 v[0:1], v[22:23], 0, v[0:1]
	v_accvgpr_write_b32 a29, v1
	v_accvgpr_write_b32 a28, v0
	v_accvgpr_read_b32 v0, a8
	v_sub_u32_e32 v0, 1, v0
	v_accvgpr_read_b32 v1, a7
	scratch_store_dword off, v0, s32 offset:364 ; 4-byte Folded Spill
	v_lshl_or_b32 v0, v1, 5, v3
	v_accvgpr_write_b32 a31, v0
	v_lshlrev_b32_e32 v0, 2, v3
	v_lshl_or_b32 v0, v1, 7, v0
	v_accvgpr_write_b32 a32, v0
	v_mov_b32_e32 v0, 0xff7fffff
	scratch_store_dword off, v0, s32 offset:328 ; 4-byte Folded Spill
	v_mbcnt_hi_u32_b32 v0, -1, v2
	v_accvgpr_write_b32 a22, v0
	s_branch .LBB284_9
.LBB284_8:                              ;   in Loop: Header=BB284_9 Depth=1
	s_or_b64 exec, exec, s[28:29]
	v_accvgpr_read_b32 v1, a31
	v_add_u32_e32 v1, 64, v1
	v_accvgpr_write_b32 a31, v1
	scratch_load_dword v1, off, s32 offset:316 ; 4-byte Folded Reload
	s_waitcnt lgkmcnt(0)
	v_accvgpr_read_b32 v2, a28
	v_add_u32_e32 v7, 2, v7
	v_accvgpr_read_b32 v3, a29
	v_lshl_add_u64 v[2:3], v[2:3], 0, 8
	v_accvgpr_write_b32 a29, v3
	v_accvgpr_write_b32 a28, v2
	s_waitcnt vmcnt(0)
	v_cmp_ge_i32_e32 vcc, v7, v1
	v_accvgpr_read_b32 v1, a32
	v_add_u32_e32 v1, 0x100, v1
	s_or_b64 s[18:19], vcc, s[18:19]
	v_accvgpr_write_b32 a32, v1
	s_andn2_b64 exec, exec, s[18:19]
	s_cbranch_execz .LBB284_779
.LBB284_9:                              ; =>This Inner Loop Header: Depth=1
	v_accvgpr_read_b32 v0, a28
	v_accvgpr_read_b32 v1, a29
	v_accvgpr_write_b32 a33, v7
	flat_load_dword v0, v[0:1]
	s_nop 0
	scratch_load_dwordx2 v[2:3], off, s32 offset:320 ; 8-byte Folded Reload
	scratch_load_dwordx2 v[6:7], off, s32 offset:336 ; 8-byte Folded Reload
                                        ; implicit-def: $sgpr34
	s_waitcnt vmcnt(0) lgkmcnt(0)
	v_mad_i64_i32 v[0:1], s[28:29], v0, v2, v[6:7]
	scratch_load_dwordx2 v[2:3], off, s32 offset:344 ; 8-byte Folded Reload
	s_mov_b64 s[28:29], 0
	s_waitcnt vmcnt(0)
	v_lshl_add_u64 v[30:31], v[0:1], 0, v[2:3]
	v_accvgpr_read_b32 v0, a20
	flat_load_dword v8, v[30:31]
	v_accvgpr_read_b32 v1, a21
	flat_load_dword v0, v[0:1]
	s_waitcnt vmcnt(0) lgkmcnt(0)
	v_cmp_gt_i16_sdwa vcc, v8, s17 src0_sel:BYTE_0 src1_sel:DWORD
	s_and_saveexec_b64 s[30:31], vcc
	s_xor_b64 vcc, exec, s[30:31]
	s_cbranch_execnz .LBB284_523
; %bb.10:                               ;   in Loop: Header=BB284_9 Depth=1
	s_or_saveexec_b64 vcc, vcc
	v_mov_b32_e32 v1, s34
	s_xor_b64 exec, exec, vcc
	s_cbranch_execnz .LBB284_526
.LBB284_11:                             ;   in Loop: Header=BB284_9 Depth=1
	s_or_b64 exec, exec, vcc
	s_and_saveexec_b64 s[30:31], s[28:29]
	s_cbranch_execz .LBB284_13
.LBB284_12:                             ;   in Loop: Header=BB284_9 Depth=1
	v_and_b32_e32 v1, 7, v8
	v_ffbh_u32_e32 v2, v1
	v_min_u32_e32 v6, 32, v2
	v_subrev_u32_e32 v2, 28, v6
	v_bfe_u32 v4, v8, 3, 4
	v_lshlrev_b64 v[2:3], v2, v[8:9]
	v_sub_u32_e32 v3, 29, v6
	v_cmp_eq_u32_e32 vcc, 0, v4
	v_and_b32_e32 v2, 7, v2
	s_nop 0
	v_cndmask_b32_e32 v3, v4, v3, vcc
	v_cndmask_b32_e32 v1, v1, v2, vcc
	v_lshlrev_b32_e32 v2, 8, v8
	v_lshl_add_u32 v3, v3, 10, v48
	v_and_or_b32 v2, v2, s37, v3
	v_lshl_or_b32 v1, v1, 7, v2
	v_cvt_f32_f16_e32 v1, v1
.LBB284_13:                             ;   in Loop: Header=BB284_9 Depth=1
	s_or_b64 exec, exec, s[30:31]
	v_lshrrev_b16_e32 v4, 8, v8
	v_accvgpr_write_b32 a34, v1
	v_cmp_lt_i16_e32 vcc, s17, v4
	s_mov_b64 s[28:29], 0
                                        ; implicit-def: $sgpr38
	s_and_saveexec_b64 s[30:31], vcc
	s_xor_b64 s[30:31], exec, s[30:31]
	s_cbranch_execnz .LBB284_527
; %bb.14:                               ;   in Loop: Header=BB284_9 Depth=1
	s_or_saveexec_b64 s[30:31], s[30:31]
	v_mov_b32_e32 v61, s38
	s_xor_b64 exec, exec, s[30:31]
	s_cbranch_execnz .LBB284_530
.LBB284_15:                             ;   in Loop: Header=BB284_9 Depth=1
	s_or_b64 exec, exec, s[30:31]
	s_and_saveexec_b64 s[30:31], s[28:29]
	s_cbranch_execz .LBB284_17
.LBB284_16:                             ;   in Loop: Header=BB284_9 Depth=1
	v_and_b32_e32 v1, 7, v4
	v_ffbh_u32_e32 v2, v1
	v_min_u32_e32 v7, 32, v2
	v_subrev_u32_e32 v2, 28, v7
	v_bfe_u32 v6, v4, 3, 4
	v_lshlrev_b64 v[2:3], v2, v[4:5]
	v_sub_u32_e32 v3, 29, v7
	v_cmp_eq_u32_e32 vcc, 0, v6
	v_and_b32_e32 v2, 7, v2
	s_nop 0
	v_cndmask_b32_e32 v3, v6, v3, vcc
	v_cndmask_b32_e32 v1, v1, v2, vcc
	v_lshlrev_b32_e32 v2, 8, v4
	v_lshl_add_u32 v3, v3, 10, v48
	v_and_or_b32 v2, v2, s37, v3
	v_lshl_or_b32 v1, v1, 7, v2
	v_cvt_f32_f16_e32 v61, v1
.LBB284_17:                             ;   in Loop: Header=BB284_9 Depth=1
	s_or_b64 exec, exec, s[30:31]
	v_lshrrev_b32_e32 v4, 16, v8
	v_cmp_gt_i16_sdwa vcc, v4, s17 src0_sel:BYTE_0 src1_sel:DWORD
	s_mov_b64 s[28:29], 0
                                        ; implicit-def: $sgpr34
	s_and_saveexec_b64 s[30:31], vcc
	s_xor_b64 vcc, exec, s[30:31]
	s_cbranch_execz .LBB284_21
; %bb.18:                               ;   in Loop: Header=BB284_9 Depth=1
	v_cmp_eq_u16_sdwa s[38:39], v4, s36 src0_sel:BYTE_0 src1_sel:DWORD
	s_mov_b64 s[28:29], -1
                                        ; implicit-def: $sgpr34
	s_and_saveexec_b64 s[30:31], s[38:39]
; %bb.19:                               ;   in Loop: Header=BB284_9 Depth=1
	s_mov_b32 s34, 0x7fc02000
	s_xor_b64 s[28:29], exec, -1
; %bb.20:                               ;   in Loop: Header=BB284_9 Depth=1
	s_or_b64 exec, exec, s[30:31]
	s_and_b64 s[28:29], s[28:29], exec
.LBB284_21:                             ;   in Loop: Header=BB284_9 Depth=1
	s_or_saveexec_b64 vcc, vcc
	v_mov_b32_e32 v1, s34
	scratch_store_dword off, v1, s32 offset:188 ; 4-byte Folded Spill
	s_xor_b64 exec, exec, vcc
	s_cbranch_execz .LBB284_23
; %bb.22:                               ;   in Loop: Header=BB284_9 Depth=1
	v_cmp_ne_u16_sdwa s[30:31], v4, v5 src0_sel:BYTE_0 src1_sel:DWORD
	s_andn2_b64 s[28:29], s[28:29], exec
	s_and_b64 s[30:31], s[30:31], exec
	v_mov_b32_e32 v1, 0
	s_or_b64 s[28:29], s[28:29], s[30:31]
	scratch_store_dword off, v1, s32 offset:188 ; 4-byte Folded Spill
.LBB284_23:                             ;   in Loop: Header=BB284_9 Depth=1
	s_or_b64 exec, exec, vcc
	s_and_saveexec_b64 s[30:31], s[28:29]
	s_cbranch_execz .LBB284_25
; %bb.24:                               ;   in Loop: Header=BB284_9 Depth=1
	v_bfe_u32 v1, v8, 16, 3
	v_ffbh_u32_e32 v2, v1
	v_min_u32_e32 v7, 32, v2
	v_subrev_u32_e32 v2, 28, v7
	v_bfe_u32 v6, v8, 19, 4
	v_lshlrev_b64 v[2:3], v2, v[4:5]
	v_sub_u32_e32 v3, 29, v7
	v_cmp_eq_u32_e32 vcc, 0, v6
	v_and_b32_e32 v2, 7, v2
	s_nop 0
	v_cndmask_b32_e32 v3, v6, v3, vcc
	v_cndmask_b32_e32 v1, v1, v2, vcc
	v_lshlrev_b32_e32 v2, 8, v4
	v_lshl_add_u32 v3, v3, 10, v48
	v_and_or_b32 v2, v2, s37, v3
	v_lshl_or_b32 v1, v1, 7, v2
	v_cvt_f32_f16_e32 v1, v1
	scratch_store_dword off, v1, s32 offset:188 ; 4-byte Folded Spill
.LBB284_25:                             ;   in Loop: Header=BB284_9 Depth=1
	s_or_b64 exec, exec, s[30:31]
	v_lshrrev_b32_e32 v4, 24, v8
	v_cmp_lt_i16_e32 vcc, s17, v4
	s_mov_b64 s[28:29], 0
                                        ; implicit-def: $sgpr38
	s_and_saveexec_b64 s[30:31], vcc
	s_xor_b64 s[30:31], exec, s[30:31]
	s_cbranch_execz .LBB284_29
; %bb.26:                               ;   in Loop: Header=BB284_9 Depth=1
	v_cmp_eq_u16_e32 vcc, s36, v4
	s_mov_b64 s[28:29], -1
                                        ; implicit-def: $sgpr38
	s_and_saveexec_b64 s[34:35], vcc
; %bb.27:                               ;   in Loop: Header=BB284_9 Depth=1
	s_mov_b32 s38, 0x7fc02000
	s_xor_b64 s[28:29], exec, -1
; %bb.28:                               ;   in Loop: Header=BB284_9 Depth=1
	s_or_b64 exec, exec, s[34:35]
	s_and_b64 s[28:29], s[28:29], exec
.LBB284_29:                             ;   in Loop: Header=BB284_9 Depth=1
	s_or_saveexec_b64 s[30:31], s[30:31]
	v_mov_b32_e32 v1, s38
	scratch_store_dword off, v1, s32 offset:192 ; 4-byte Folded Spill
	s_xor_b64 exec, exec, s[30:31]
	s_cbranch_execz .LBB284_31
; %bb.30:                               ;   in Loop: Header=BB284_9 Depth=1
	v_cmp_ne_u16_e32 vcc, 0, v4
	s_andn2_b64 s[28:29], s[28:29], exec
	s_and_b64 vcc, vcc, exec
	v_mov_b32_e32 v1, 0
	s_or_b64 s[28:29], s[28:29], vcc
	scratch_store_dword off, v1, s32 offset:192 ; 4-byte Folded Spill
.LBB284_31:                             ;   in Loop: Header=BB284_9 Depth=1
	s_or_b64 exec, exec, s[30:31]
	s_and_saveexec_b64 s[30:31], s[28:29]
	s_cbranch_execz .LBB284_33
; %bb.32:                               ;   in Loop: Header=BB284_9 Depth=1
	v_bfe_u32 v1, v8, 24, 3
	v_ffbh_u32_e32 v2, v1
	v_min_u32_e32 v7, 32, v2
	v_subrev_u32_e32 v2, 28, v7
	v_bfe_u32 v6, v8, 27, 4
	v_lshlrev_b64 v[2:3], v2, v[4:5]
	v_sub_u32_e32 v3, 29, v7
	v_cmp_eq_u32_e32 vcc, 0, v6
	v_and_b32_e32 v2, 7, v2
	s_nop 0
	v_cndmask_b32_e32 v3, v6, v3, vcc
	v_cndmask_b32_e32 v1, v1, v2, vcc
	v_lshlrev_b32_e32 v2, 8, v4
	v_lshl_add_u32 v3, v3, 10, v48
	v_and_or_b32 v2, v2, s37, v3
	v_lshl_or_b32 v1, v1, 7, v2
	v_cvt_f32_f16_e32 v1, v1
	scratch_store_dword off, v1, s32 offset:192 ; 4-byte Folded Spill
.LBB284_33:                             ;   in Loop: Header=BB284_9 Depth=1
	s_or_b64 exec, exec, s[30:31]
	flat_load_dword v8, v[30:31] offset:8
	s_mov_b64 s[28:29], 0
                                        ; implicit-def: $sgpr34
	s_waitcnt vmcnt(0) lgkmcnt(0)
	v_cmp_gt_i16_sdwa vcc, v8, s17 src0_sel:BYTE_0 src1_sel:DWORD
	s_and_saveexec_b64 s[30:31], vcc
	s_xor_b64 vcc, exec, s[30:31]
	s_cbranch_execnz .LBB284_531
; %bb.34:                               ;   in Loop: Header=BB284_9 Depth=1
	s_or_saveexec_b64 vcc, vcc
	v_mov_b32_e32 v1, s34
	s_xor_b64 exec, exec, vcc
	s_cbranch_execnz .LBB284_534
.LBB284_35:                             ;   in Loop: Header=BB284_9 Depth=1
	s_or_b64 exec, exec, vcc
	s_and_saveexec_b64 s[30:31], s[28:29]
	s_cbranch_execz .LBB284_37
.LBB284_36:                             ;   in Loop: Header=BB284_9 Depth=1
	v_and_b32_e32 v1, 7, v8
	v_ffbh_u32_e32 v2, v1
	v_min_u32_e32 v6, 32, v2
	v_subrev_u32_e32 v2, 28, v6
	v_bfe_u32 v4, v8, 3, 4
	v_lshlrev_b64 v[2:3], v2, v[8:9]
	v_sub_u32_e32 v3, 29, v6
	v_cmp_eq_u32_e32 vcc, 0, v4
	v_and_b32_e32 v2, 7, v2
	s_nop 0
	v_cndmask_b32_e32 v3, v4, v3, vcc
	v_cndmask_b32_e32 v1, v1, v2, vcc
	v_lshlrev_b32_e32 v2, 8, v8
	v_lshl_add_u32 v3, v3, 10, v48
	v_and_or_b32 v2, v2, s37, v3
	v_lshl_or_b32 v1, v1, 7, v2
	v_cvt_f32_f16_e32 v1, v1
.LBB284_37:                             ;   in Loop: Header=BB284_9 Depth=1
	s_or_b64 exec, exec, s[30:31]
	v_lshrrev_b16_e32 v4, 8, v8
	v_accvgpr_write_b32 a36, v1
	v_cmp_lt_i16_e32 vcc, s17, v4
	s_mov_b64 s[28:29], 0
                                        ; implicit-def: $sgpr38
	s_and_saveexec_b64 s[30:31], vcc
	s_xor_b64 s[30:31], exec, s[30:31]
	s_cbranch_execz .LBB284_41
; %bb.38:                               ;   in Loop: Header=BB284_9 Depth=1
	v_cmp_eq_u16_e32 vcc, s36, v4
	s_mov_b64 s[28:29], -1
                                        ; implicit-def: $sgpr38
	s_and_saveexec_b64 s[34:35], vcc
; %bb.39:                               ;   in Loop: Header=BB284_9 Depth=1
	s_mov_b32 s38, 0x7fc02000
	s_xor_b64 s[28:29], exec, -1
; %bb.40:                               ;   in Loop: Header=BB284_9 Depth=1
	s_or_b64 exec, exec, s[34:35]
	s_and_b64 s[28:29], s[28:29], exec
.LBB284_41:                             ;   in Loop: Header=BB284_9 Depth=1
	s_or_saveexec_b64 s[30:31], s[30:31]
	v_mov_b32_e32 v1, s38
	scratch_store_dword off, v1, s32 offset:196 ; 4-byte Folded Spill
	s_xor_b64 exec, exec, s[30:31]
	s_cbranch_execz .LBB284_43
; %bb.42:                               ;   in Loop: Header=BB284_9 Depth=1
	v_cmp_ne_u16_e32 vcc, 0, v4
	s_andn2_b64 s[28:29], s[28:29], exec
	s_and_b64 vcc, vcc, exec
	v_mov_b32_e32 v1, 0
	s_or_b64 s[28:29], s[28:29], vcc
	scratch_store_dword off, v1, s32 offset:196 ; 4-byte Folded Spill
.LBB284_43:                             ;   in Loop: Header=BB284_9 Depth=1
	s_or_b64 exec, exec, s[30:31]
	s_and_saveexec_b64 s[30:31], s[28:29]
	s_cbranch_execz .LBB284_45
; %bb.44:                               ;   in Loop: Header=BB284_9 Depth=1
	v_and_b32_e32 v1, 7, v4
	v_ffbh_u32_e32 v2, v1
	v_min_u32_e32 v7, 32, v2
	v_subrev_u32_e32 v2, 28, v7
	v_bfe_u32 v6, v4, 3, 4
	v_lshlrev_b64 v[2:3], v2, v[4:5]
	v_sub_u32_e32 v3, 29, v7
	v_cmp_eq_u32_e32 vcc, 0, v6
	v_and_b32_e32 v2, 7, v2
	s_nop 0
	v_cndmask_b32_e32 v3, v6, v3, vcc
	v_cndmask_b32_e32 v1, v1, v2, vcc
	v_lshlrev_b32_e32 v2, 8, v4
	v_lshl_add_u32 v3, v3, 10, v48
	v_and_or_b32 v2, v2, s37, v3
	v_lshl_or_b32 v1, v1, 7, v2
	v_cvt_f32_f16_e32 v1, v1
	scratch_store_dword off, v1, s32 offset:196 ; 4-byte Folded Spill
.LBB284_45:                             ;   in Loop: Header=BB284_9 Depth=1
	s_or_b64 exec, exec, s[30:31]
	v_lshrrev_b32_e32 v4, 16, v8
	v_cmp_gt_i16_sdwa vcc, v4, s17 src0_sel:BYTE_0 src1_sel:DWORD
	s_mov_b64 s[28:29], 0
                                        ; implicit-def: $sgpr34
	s_and_saveexec_b64 s[30:31], vcc
	s_xor_b64 vcc, exec, s[30:31]
	s_cbranch_execz .LBB284_49
; %bb.46:                               ;   in Loop: Header=BB284_9 Depth=1
	v_cmp_eq_u16_sdwa s[38:39], v4, s36 src0_sel:BYTE_0 src1_sel:DWORD
	s_mov_b64 s[28:29], -1
                                        ; implicit-def: $sgpr34
	s_and_saveexec_b64 s[30:31], s[38:39]
; %bb.47:                               ;   in Loop: Header=BB284_9 Depth=1
	s_mov_b32 s34, 0x7fc02000
	s_xor_b64 s[28:29], exec, -1
; %bb.48:                               ;   in Loop: Header=BB284_9 Depth=1
	s_or_b64 exec, exec, s[30:31]
	s_and_b64 s[28:29], s[28:29], exec
.LBB284_49:                             ;   in Loop: Header=BB284_9 Depth=1
	s_or_saveexec_b64 vcc, vcc
	v_mov_b32_e32 v1, s34
	scratch_store_dword off, v1, s32 offset:200 ; 4-byte Folded Spill
	s_xor_b64 exec, exec, vcc
	s_cbranch_execz .LBB284_51
; %bb.50:                               ;   in Loop: Header=BB284_9 Depth=1
	v_cmp_ne_u16_sdwa s[30:31], v4, v5 src0_sel:BYTE_0 src1_sel:DWORD
	s_andn2_b64 s[28:29], s[28:29], exec
	s_and_b64 s[30:31], s[30:31], exec
	v_mov_b32_e32 v1, 0
	s_or_b64 s[28:29], s[28:29], s[30:31]
	scratch_store_dword off, v1, s32 offset:200 ; 4-byte Folded Spill
.LBB284_51:                             ;   in Loop: Header=BB284_9 Depth=1
	s_or_b64 exec, exec, vcc
	s_and_saveexec_b64 s[30:31], s[28:29]
	s_cbranch_execz .LBB284_53
; %bb.52:                               ;   in Loop: Header=BB284_9 Depth=1
	v_bfe_u32 v1, v8, 16, 3
	v_ffbh_u32_e32 v2, v1
	v_min_u32_e32 v7, 32, v2
	v_subrev_u32_e32 v2, 28, v7
	v_bfe_u32 v6, v8, 19, 4
	v_lshlrev_b64 v[2:3], v2, v[4:5]
	v_sub_u32_e32 v3, 29, v7
	v_cmp_eq_u32_e32 vcc, 0, v6
	v_and_b32_e32 v2, 7, v2
	s_nop 0
	v_cndmask_b32_e32 v3, v6, v3, vcc
	v_cndmask_b32_e32 v1, v1, v2, vcc
	v_lshlrev_b32_e32 v2, 8, v4
	v_lshl_add_u32 v3, v3, 10, v48
	v_and_or_b32 v2, v2, s37, v3
	v_lshl_or_b32 v1, v1, 7, v2
	v_cvt_f32_f16_e32 v1, v1
	scratch_store_dword off, v1, s32 offset:200 ; 4-byte Folded Spill
.LBB284_53:                             ;   in Loop: Header=BB284_9 Depth=1
	s_or_b64 exec, exec, s[30:31]
	v_lshrrev_b32_e32 v4, 24, v8
	v_cmp_lt_i16_e32 vcc, s17, v4
	s_mov_b64 s[28:29], 0
                                        ; implicit-def: $sgpr38
	s_and_saveexec_b64 s[30:31], vcc
	s_xor_b64 s[30:31], exec, s[30:31]
	s_cbranch_execz .LBB284_57
; %bb.54:                               ;   in Loop: Header=BB284_9 Depth=1
	v_cmp_eq_u16_e32 vcc, s36, v4
	s_mov_b64 s[28:29], -1
                                        ; implicit-def: $sgpr38
	s_and_saveexec_b64 s[34:35], vcc
; %bb.55:                               ;   in Loop: Header=BB284_9 Depth=1
	s_mov_b32 s38, 0x7fc02000
	s_xor_b64 s[28:29], exec, -1
; %bb.56:                               ;   in Loop: Header=BB284_9 Depth=1
	s_or_b64 exec, exec, s[34:35]
	s_and_b64 s[28:29], s[28:29], exec
.LBB284_57:                             ;   in Loop: Header=BB284_9 Depth=1
	s_or_saveexec_b64 s[30:31], s[30:31]
	v_mov_b32_e32 v1, s38
	scratch_store_dword off, v1, s32 offset:204 ; 4-byte Folded Spill
	s_xor_b64 exec, exec, s[30:31]
	s_cbranch_execz .LBB284_59
; %bb.58:                               ;   in Loop: Header=BB284_9 Depth=1
	v_cmp_ne_u16_e32 vcc, 0, v4
	s_andn2_b64 s[28:29], s[28:29], exec
	s_and_b64 vcc, vcc, exec
	v_mov_b32_e32 v1, 0
	s_or_b64 s[28:29], s[28:29], vcc
	scratch_store_dword off, v1, s32 offset:204 ; 4-byte Folded Spill
.LBB284_59:                             ;   in Loop: Header=BB284_9 Depth=1
	s_or_b64 exec, exec, s[30:31]
	s_and_saveexec_b64 s[30:31], s[28:29]
	s_cbranch_execz .LBB284_61
; %bb.60:                               ;   in Loop: Header=BB284_9 Depth=1
	v_bfe_u32 v1, v8, 24, 3
	v_ffbh_u32_e32 v2, v1
	v_min_u32_e32 v7, 32, v2
	v_subrev_u32_e32 v2, 28, v7
	v_bfe_u32 v6, v8, 27, 4
	v_lshlrev_b64 v[2:3], v2, v[4:5]
	v_sub_u32_e32 v3, 29, v7
	v_cmp_eq_u32_e32 vcc, 0, v6
	v_and_b32_e32 v2, 7, v2
	s_nop 0
	v_cndmask_b32_e32 v3, v6, v3, vcc
	v_cndmask_b32_e32 v1, v1, v2, vcc
	v_lshlrev_b32_e32 v2, 8, v4
	v_lshl_add_u32 v3, v3, 10, v48
	v_and_or_b32 v2, v2, s37, v3
	v_lshl_or_b32 v1, v1, 7, v2
	v_cvt_f32_f16_e32 v1, v1
	scratch_store_dword off, v1, s32 offset:204 ; 4-byte Folded Spill
.LBB284_61:                             ;   in Loop: Header=BB284_9 Depth=1
	s_or_b64 exec, exec, s[30:31]
	flat_load_dword v8, v[30:31] offset:512
	s_mov_b64 s[28:29], 0
                                        ; implicit-def: $sgpr34
	s_waitcnt vmcnt(0) lgkmcnt(0)
	v_cmp_gt_i16_sdwa vcc, v8, s17 src0_sel:BYTE_0 src1_sel:DWORD
	s_and_saveexec_b64 s[30:31], vcc
	s_xor_b64 vcc, exec, s[30:31]
	s_cbranch_execnz .LBB284_535
; %bb.62:                               ;   in Loop: Header=BB284_9 Depth=1
	s_or_saveexec_b64 vcc, vcc
	v_mov_b32_e32 v1, s34
	s_xor_b64 exec, exec, vcc
	s_cbranch_execnz .LBB284_538
.LBB284_63:                             ;   in Loop: Header=BB284_9 Depth=1
	s_or_b64 exec, exec, vcc
	s_and_saveexec_b64 s[30:31], s[28:29]
	s_cbranch_execz .LBB284_65
.LBB284_64:                             ;   in Loop: Header=BB284_9 Depth=1
	v_and_b32_e32 v1, 7, v8
	v_ffbh_u32_e32 v2, v1
	v_min_u32_e32 v6, 32, v2
	v_subrev_u32_e32 v2, 28, v6
	v_bfe_u32 v4, v8, 3, 4
	v_lshlrev_b64 v[2:3], v2, v[8:9]
	v_sub_u32_e32 v3, 29, v6
	v_cmp_eq_u32_e32 vcc, 0, v4
	v_and_b32_e32 v2, 7, v2
	s_nop 0
	v_cndmask_b32_e32 v3, v4, v3, vcc
	v_cndmask_b32_e32 v1, v1, v2, vcc
	v_lshlrev_b32_e32 v2, 8, v8
	v_lshl_add_u32 v3, v3, 10, v48
	v_and_or_b32 v2, v2, s37, v3
	v_lshl_or_b32 v1, v1, 7, v2
	v_cvt_f32_f16_e32 v1, v1
.LBB284_65:                             ;   in Loop: Header=BB284_9 Depth=1
	s_or_b64 exec, exec, s[30:31]
	v_lshrrev_b16_e32 v4, 8, v8
	v_accvgpr_write_b32 a37, v1
	v_cmp_lt_i16_e32 vcc, s17, v4
	s_mov_b64 s[28:29], 0
                                        ; implicit-def: $sgpr38
	s_and_saveexec_b64 s[30:31], vcc
	s_xor_b64 s[30:31], exec, s[30:31]
	s_cbranch_execnz .LBB284_539
; %bb.66:                               ;   in Loop: Header=BB284_9 Depth=1
	s_or_saveexec_b64 s[30:31], s[30:31]
	v_mov_b32_e32 v59, s38
	s_xor_b64 exec, exec, s[30:31]
	s_cbranch_execnz .LBB284_542
.LBB284_67:                             ;   in Loop: Header=BB284_9 Depth=1
	s_or_b64 exec, exec, s[30:31]
	s_and_saveexec_b64 s[30:31], s[28:29]
	s_cbranch_execz .LBB284_69
.LBB284_68:                             ;   in Loop: Header=BB284_9 Depth=1
	v_and_b32_e32 v1, 7, v4
	v_ffbh_u32_e32 v2, v1
	v_min_u32_e32 v7, 32, v2
	v_subrev_u32_e32 v2, 28, v7
	v_bfe_u32 v6, v4, 3, 4
	v_lshlrev_b64 v[2:3], v2, v[4:5]
	v_sub_u32_e32 v3, 29, v7
	v_cmp_eq_u32_e32 vcc, 0, v6
	v_and_b32_e32 v2, 7, v2
	s_nop 0
	v_cndmask_b32_e32 v3, v6, v3, vcc
	v_cndmask_b32_e32 v1, v1, v2, vcc
	v_lshlrev_b32_e32 v2, 8, v4
	v_lshl_add_u32 v3, v3, 10, v48
	v_and_or_b32 v2, v2, s37, v3
	v_lshl_or_b32 v1, v1, 7, v2
	v_cvt_f32_f16_e32 v59, v1
.LBB284_69:                             ;   in Loop: Header=BB284_9 Depth=1
	s_or_b64 exec, exec, s[30:31]
	v_lshrrev_b32_e32 v4, 16, v8
	v_cmp_gt_i16_sdwa vcc, v4, s17 src0_sel:BYTE_0 src1_sel:DWORD
	s_mov_b64 s[28:29], 0
                                        ; implicit-def: $sgpr34
	s_and_saveexec_b64 s[30:31], vcc
	s_xor_b64 vcc, exec, s[30:31]
	s_cbranch_execz .LBB284_73
; %bb.70:                               ;   in Loop: Header=BB284_9 Depth=1
	v_cmp_eq_u16_sdwa s[38:39], v4, s36 src0_sel:BYTE_0 src1_sel:DWORD
	s_mov_b64 s[28:29], -1
                                        ; implicit-def: $sgpr34
	s_and_saveexec_b64 s[30:31], s[38:39]
; %bb.71:                               ;   in Loop: Header=BB284_9 Depth=1
	s_mov_b32 s34, 0x7fc02000
	s_xor_b64 s[28:29], exec, -1
; %bb.72:                               ;   in Loop: Header=BB284_9 Depth=1
	s_or_b64 exec, exec, s[30:31]
	s_and_b64 s[28:29], s[28:29], exec
.LBB284_73:                             ;   in Loop: Header=BB284_9 Depth=1
	s_or_saveexec_b64 vcc, vcc
	v_mov_b32_e32 v1, s34
	scratch_store_dword off, v1, s32 offset:208 ; 4-byte Folded Spill
	s_xor_b64 exec, exec, vcc
	s_cbranch_execz .LBB284_75
; %bb.74:                               ;   in Loop: Header=BB284_9 Depth=1
	v_cmp_ne_u16_sdwa s[30:31], v4, v5 src0_sel:BYTE_0 src1_sel:DWORD
	s_andn2_b64 s[28:29], s[28:29], exec
	s_and_b64 s[30:31], s[30:31], exec
	v_mov_b32_e32 v1, 0
	s_or_b64 s[28:29], s[28:29], s[30:31]
	scratch_store_dword off, v1, s32 offset:208 ; 4-byte Folded Spill
.LBB284_75:                             ;   in Loop: Header=BB284_9 Depth=1
	s_or_b64 exec, exec, vcc
	s_and_saveexec_b64 s[30:31], s[28:29]
	s_cbranch_execz .LBB284_77
; %bb.76:                               ;   in Loop: Header=BB284_9 Depth=1
	v_bfe_u32 v1, v8, 16, 3
	v_ffbh_u32_e32 v2, v1
	v_min_u32_e32 v7, 32, v2
	v_subrev_u32_e32 v2, 28, v7
	v_bfe_u32 v6, v8, 19, 4
	v_lshlrev_b64 v[2:3], v2, v[4:5]
	v_sub_u32_e32 v3, 29, v7
	v_cmp_eq_u32_e32 vcc, 0, v6
	v_and_b32_e32 v2, 7, v2
	s_nop 0
	v_cndmask_b32_e32 v3, v6, v3, vcc
	v_cndmask_b32_e32 v1, v1, v2, vcc
	v_lshlrev_b32_e32 v2, 8, v4
	v_lshl_add_u32 v3, v3, 10, v48
	v_and_or_b32 v2, v2, s37, v3
	v_lshl_or_b32 v1, v1, 7, v2
	v_cvt_f32_f16_e32 v1, v1
	scratch_store_dword off, v1, s32 offset:208 ; 4-byte Folded Spill
.LBB284_77:                             ;   in Loop: Header=BB284_9 Depth=1
	s_or_b64 exec, exec, s[30:31]
	v_lshrrev_b32_e32 v4, 24, v8
	v_cmp_lt_i16_e32 vcc, s17, v4
	s_mov_b64 s[28:29], 0
                                        ; implicit-def: $sgpr38
	s_and_saveexec_b64 s[30:31], vcc
	s_xor_b64 s[30:31], exec, s[30:31]
	s_cbranch_execz .LBB284_81
; %bb.78:                               ;   in Loop: Header=BB284_9 Depth=1
	v_cmp_eq_u16_e32 vcc, s36, v4
	s_mov_b64 s[28:29], -1
                                        ; implicit-def: $sgpr38
	s_and_saveexec_b64 s[34:35], vcc
; %bb.79:                               ;   in Loop: Header=BB284_9 Depth=1
	s_mov_b32 s38, 0x7fc02000
	s_xor_b64 s[28:29], exec, -1
; %bb.80:                               ;   in Loop: Header=BB284_9 Depth=1
	s_or_b64 exec, exec, s[34:35]
	s_and_b64 s[28:29], s[28:29], exec
.LBB284_81:                             ;   in Loop: Header=BB284_9 Depth=1
	s_or_saveexec_b64 s[30:31], s[30:31]
	v_mov_b32_e32 v1, s38
	scratch_store_dword off, v1, s32 offset:212 ; 4-byte Folded Spill
	s_xor_b64 exec, exec, s[30:31]
	s_cbranch_execz .LBB284_83
; %bb.82:                               ;   in Loop: Header=BB284_9 Depth=1
	v_cmp_ne_u16_e32 vcc, 0, v4
	s_andn2_b64 s[28:29], s[28:29], exec
	s_and_b64 vcc, vcc, exec
	v_mov_b32_e32 v1, 0
	s_or_b64 s[28:29], s[28:29], vcc
	scratch_store_dword off, v1, s32 offset:212 ; 4-byte Folded Spill
.LBB284_83:                             ;   in Loop: Header=BB284_9 Depth=1
	s_or_b64 exec, exec, s[30:31]
	s_and_saveexec_b64 s[30:31], s[28:29]
	s_cbranch_execz .LBB284_85
; %bb.84:                               ;   in Loop: Header=BB284_9 Depth=1
	v_bfe_u32 v1, v8, 24, 3
	v_ffbh_u32_e32 v2, v1
	v_min_u32_e32 v7, 32, v2
	v_subrev_u32_e32 v2, 28, v7
	v_bfe_u32 v6, v8, 27, 4
	v_lshlrev_b64 v[2:3], v2, v[4:5]
	v_sub_u32_e32 v3, 29, v7
	v_cmp_eq_u32_e32 vcc, 0, v6
	v_and_b32_e32 v2, 7, v2
	s_nop 0
	v_cndmask_b32_e32 v3, v6, v3, vcc
	v_cndmask_b32_e32 v1, v1, v2, vcc
	v_lshlrev_b32_e32 v2, 8, v4
	v_lshl_add_u32 v3, v3, 10, v48
	v_and_or_b32 v2, v2, s37, v3
	v_lshl_or_b32 v1, v1, 7, v2
	v_cvt_f32_f16_e32 v1, v1
	scratch_store_dword off, v1, s32 offset:212 ; 4-byte Folded Spill
.LBB284_85:                             ;   in Loop: Header=BB284_9 Depth=1
	s_or_b64 exec, exec, s[30:31]
	flat_load_dword v8, v[30:31] offset:520
	s_mov_b64 s[28:29], 0
                                        ; implicit-def: $sgpr34
	s_waitcnt vmcnt(0) lgkmcnt(0)
	v_cmp_gt_i16_sdwa vcc, v8, s17 src0_sel:BYTE_0 src1_sel:DWORD
	s_and_saveexec_b64 s[30:31], vcc
	s_xor_b64 vcc, exec, s[30:31]
	s_cbranch_execnz .LBB284_543
; %bb.86:                               ;   in Loop: Header=BB284_9 Depth=1
	s_or_saveexec_b64 vcc, vcc
	v_mov_b32_e32 v1, s34
	s_xor_b64 exec, exec, vcc
	s_cbranch_execnz .LBB284_546
.LBB284_87:                             ;   in Loop: Header=BB284_9 Depth=1
	s_or_b64 exec, exec, vcc
	s_and_saveexec_b64 s[30:31], s[28:29]
	s_cbranch_execz .LBB284_89
.LBB284_88:                             ;   in Loop: Header=BB284_9 Depth=1
	v_and_b32_e32 v1, 7, v8
	v_ffbh_u32_e32 v2, v1
	v_min_u32_e32 v6, 32, v2
	v_subrev_u32_e32 v2, 28, v6
	v_bfe_u32 v4, v8, 3, 4
	v_lshlrev_b64 v[2:3], v2, v[8:9]
	v_sub_u32_e32 v3, 29, v6
	v_cmp_eq_u32_e32 vcc, 0, v4
	v_and_b32_e32 v2, 7, v2
	s_nop 0
	v_cndmask_b32_e32 v3, v4, v3, vcc
	v_cndmask_b32_e32 v1, v1, v2, vcc
	v_lshlrev_b32_e32 v2, 8, v8
	v_lshl_add_u32 v3, v3, 10, v48
	v_and_or_b32 v2, v2, s37, v3
	v_lshl_or_b32 v1, v1, 7, v2
	v_cvt_f32_f16_e32 v1, v1
.LBB284_89:                             ;   in Loop: Header=BB284_9 Depth=1
	s_or_b64 exec, exec, s[30:31]
	v_lshrrev_b16_e32 v4, 8, v8
	v_accvgpr_write_b32 a38, v1
	v_cmp_lt_i16_e32 vcc, s17, v4
	s_mov_b64 s[28:29], 0
                                        ; implicit-def: $sgpr38
	s_and_saveexec_b64 s[30:31], vcc
	s_xor_b64 s[30:31], exec, s[30:31]
	s_cbranch_execz .LBB284_93
; %bb.90:                               ;   in Loop: Header=BB284_9 Depth=1
	v_cmp_eq_u16_e32 vcc, s36, v4
	s_mov_b64 s[28:29], -1
                                        ; implicit-def: $sgpr38
	s_and_saveexec_b64 s[34:35], vcc
; %bb.91:                               ;   in Loop: Header=BB284_9 Depth=1
	s_mov_b32 s38, 0x7fc02000
	s_xor_b64 s[28:29], exec, -1
; %bb.92:                               ;   in Loop: Header=BB284_9 Depth=1
	s_or_b64 exec, exec, s[34:35]
	s_and_b64 s[28:29], s[28:29], exec
.LBB284_93:                             ;   in Loop: Header=BB284_9 Depth=1
	s_or_saveexec_b64 s[30:31], s[30:31]
	v_mov_b32_e32 v1, s38
	scratch_store_dword off, v1, s32 offset:216 ; 4-byte Folded Spill
	s_xor_b64 exec, exec, s[30:31]
	s_cbranch_execz .LBB284_95
; %bb.94:                               ;   in Loop: Header=BB284_9 Depth=1
	v_cmp_ne_u16_e32 vcc, 0, v4
	s_andn2_b64 s[28:29], s[28:29], exec
	s_and_b64 vcc, vcc, exec
	v_mov_b32_e32 v1, 0
	s_or_b64 s[28:29], s[28:29], vcc
	scratch_store_dword off, v1, s32 offset:216 ; 4-byte Folded Spill
.LBB284_95:                             ;   in Loop: Header=BB284_9 Depth=1
	s_or_b64 exec, exec, s[30:31]
	s_and_saveexec_b64 s[30:31], s[28:29]
	s_cbranch_execz .LBB284_97
; %bb.96:                               ;   in Loop: Header=BB284_9 Depth=1
	v_and_b32_e32 v1, 7, v4
	v_ffbh_u32_e32 v2, v1
	v_min_u32_e32 v7, 32, v2
	v_subrev_u32_e32 v2, 28, v7
	v_bfe_u32 v6, v4, 3, 4
	v_lshlrev_b64 v[2:3], v2, v[4:5]
	v_sub_u32_e32 v3, 29, v7
	v_cmp_eq_u32_e32 vcc, 0, v6
	v_and_b32_e32 v2, 7, v2
	s_nop 0
	v_cndmask_b32_e32 v3, v6, v3, vcc
	v_cndmask_b32_e32 v1, v1, v2, vcc
	v_lshlrev_b32_e32 v2, 8, v4
	v_lshl_add_u32 v3, v3, 10, v48
	v_and_or_b32 v2, v2, s37, v3
	v_lshl_or_b32 v1, v1, 7, v2
	v_cvt_f32_f16_e32 v1, v1
	scratch_store_dword off, v1, s32 offset:216 ; 4-byte Folded Spill
.LBB284_97:                             ;   in Loop: Header=BB284_9 Depth=1
	s_or_b64 exec, exec, s[30:31]
	v_lshrrev_b32_e32 v4, 16, v8
	v_cmp_gt_i16_sdwa vcc, v4, s17 src0_sel:BYTE_0 src1_sel:DWORD
	s_mov_b64 s[28:29], 0
                                        ; implicit-def: $sgpr34
	s_and_saveexec_b64 s[30:31], vcc
	s_xor_b64 vcc, exec, s[30:31]
	s_cbranch_execz .LBB284_101
; %bb.98:                               ;   in Loop: Header=BB284_9 Depth=1
	v_cmp_eq_u16_sdwa s[38:39], v4, s36 src0_sel:BYTE_0 src1_sel:DWORD
	s_mov_b64 s[28:29], -1
                                        ; implicit-def: $sgpr34
	s_and_saveexec_b64 s[30:31], s[38:39]
; %bb.99:                               ;   in Loop: Header=BB284_9 Depth=1
	s_mov_b32 s34, 0x7fc02000
	s_xor_b64 s[28:29], exec, -1
; %bb.100:                              ;   in Loop: Header=BB284_9 Depth=1
	s_or_b64 exec, exec, s[30:31]
	s_and_b64 s[28:29], s[28:29], exec
.LBB284_101:                            ;   in Loop: Header=BB284_9 Depth=1
	s_or_saveexec_b64 vcc, vcc
	v_mov_b32_e32 v1, s34
	scratch_store_dword off, v1, s32 offset:220 ; 4-byte Folded Spill
	s_xor_b64 exec, exec, vcc
	s_cbranch_execz .LBB284_103
; %bb.102:                              ;   in Loop: Header=BB284_9 Depth=1
	v_cmp_ne_u16_sdwa s[30:31], v4, v5 src0_sel:BYTE_0 src1_sel:DWORD
	s_andn2_b64 s[28:29], s[28:29], exec
	s_and_b64 s[30:31], s[30:31], exec
	v_mov_b32_e32 v1, 0
	s_or_b64 s[28:29], s[28:29], s[30:31]
	scratch_store_dword off, v1, s32 offset:220 ; 4-byte Folded Spill
.LBB284_103:                            ;   in Loop: Header=BB284_9 Depth=1
	s_or_b64 exec, exec, vcc
	s_and_saveexec_b64 s[30:31], s[28:29]
	s_cbranch_execz .LBB284_105
; %bb.104:                              ;   in Loop: Header=BB284_9 Depth=1
	v_bfe_u32 v1, v8, 16, 3
	v_ffbh_u32_e32 v2, v1
	v_min_u32_e32 v7, 32, v2
	v_subrev_u32_e32 v2, 28, v7
	v_bfe_u32 v6, v8, 19, 4
	v_lshlrev_b64 v[2:3], v2, v[4:5]
	v_sub_u32_e32 v3, 29, v7
	v_cmp_eq_u32_e32 vcc, 0, v6
	v_and_b32_e32 v2, 7, v2
	s_nop 0
	v_cndmask_b32_e32 v3, v6, v3, vcc
	v_cndmask_b32_e32 v1, v1, v2, vcc
	v_lshlrev_b32_e32 v2, 8, v4
	v_lshl_add_u32 v3, v3, 10, v48
	v_and_or_b32 v2, v2, s37, v3
	v_lshl_or_b32 v1, v1, 7, v2
	v_cvt_f32_f16_e32 v1, v1
	scratch_store_dword off, v1, s32 offset:220 ; 4-byte Folded Spill
.LBB284_105:                            ;   in Loop: Header=BB284_9 Depth=1
	s_or_b64 exec, exec, s[30:31]
	v_lshrrev_b32_e32 v4, 24, v8
	v_cmp_lt_i16_e32 vcc, s17, v4
	s_mov_b64 s[28:29], 0
                                        ; implicit-def: $sgpr38
	s_and_saveexec_b64 s[30:31], vcc
	s_xor_b64 s[30:31], exec, s[30:31]
	s_cbranch_execz .LBB284_109
; %bb.106:                              ;   in Loop: Header=BB284_9 Depth=1
	v_cmp_eq_u16_e32 vcc, s36, v4
	s_mov_b64 s[28:29], -1
                                        ; implicit-def: $sgpr38
	s_and_saveexec_b64 s[34:35], vcc
; %bb.107:                              ;   in Loop: Header=BB284_9 Depth=1
	s_mov_b32 s38, 0x7fc02000
	s_xor_b64 s[28:29], exec, -1
; %bb.108:                              ;   in Loop: Header=BB284_9 Depth=1
	s_or_b64 exec, exec, s[34:35]
	s_and_b64 s[28:29], s[28:29], exec
.LBB284_109:                            ;   in Loop: Header=BB284_9 Depth=1
	s_or_saveexec_b64 s[30:31], s[30:31]
	v_mov_b32_e32 v1, s38
	scratch_store_dword off, v1, s32 offset:224 ; 4-byte Folded Spill
	s_xor_b64 exec, exec, s[30:31]
	s_cbranch_execz .LBB284_111
; %bb.110:                              ;   in Loop: Header=BB284_9 Depth=1
	v_cmp_ne_u16_e32 vcc, 0, v4
	s_andn2_b64 s[28:29], s[28:29], exec
	s_and_b64 vcc, vcc, exec
	v_mov_b32_e32 v1, 0
	s_or_b64 s[28:29], s[28:29], vcc
	scratch_store_dword off, v1, s32 offset:224 ; 4-byte Folded Spill
.LBB284_111:                            ;   in Loop: Header=BB284_9 Depth=1
	s_or_b64 exec, exec, s[30:31]
	s_and_saveexec_b64 s[30:31], s[28:29]
	s_cbranch_execz .LBB284_113
; %bb.112:                              ;   in Loop: Header=BB284_9 Depth=1
	v_bfe_u32 v1, v8, 24, 3
	v_ffbh_u32_e32 v2, v1
	v_min_u32_e32 v7, 32, v2
	v_subrev_u32_e32 v2, 28, v7
	v_bfe_u32 v6, v8, 27, 4
	v_lshlrev_b64 v[2:3], v2, v[4:5]
	v_sub_u32_e32 v3, 29, v7
	v_cmp_eq_u32_e32 vcc, 0, v6
	v_and_b32_e32 v2, 7, v2
	s_nop 0
	v_cndmask_b32_e32 v3, v6, v3, vcc
	v_cndmask_b32_e32 v1, v1, v2, vcc
	v_lshlrev_b32_e32 v2, 8, v4
	v_lshl_add_u32 v3, v3, 10, v48
	v_and_or_b32 v2, v2, s37, v3
	v_lshl_or_b32 v1, v1, 7, v2
	v_cvt_f32_f16_e32 v1, v1
	scratch_store_dword off, v1, s32 offset:224 ; 4-byte Folded Spill
.LBB284_113:                            ;   in Loop: Header=BB284_9 Depth=1
	s_or_b64 exec, exec, s[30:31]
	flat_load_dword v8, v[30:31] offset:1024
	s_mov_b64 s[28:29], 0
                                        ; implicit-def: $sgpr34
	s_waitcnt vmcnt(0) lgkmcnt(0)
	v_cmp_gt_i16_sdwa vcc, v8, s17 src0_sel:BYTE_0 src1_sel:DWORD
	s_and_saveexec_b64 s[30:31], vcc
	s_xor_b64 vcc, exec, s[30:31]
	s_cbranch_execnz .LBB284_547
; %bb.114:                              ;   in Loop: Header=BB284_9 Depth=1
	s_or_saveexec_b64 vcc, vcc
	v_mov_b32_e32 v1, s34
	s_xor_b64 exec, exec, vcc
	s_cbranch_execnz .LBB284_550
.LBB284_115:                            ;   in Loop: Header=BB284_9 Depth=1
	s_or_b64 exec, exec, vcc
	s_and_saveexec_b64 s[30:31], s[28:29]
	s_cbranch_execz .LBB284_117
.LBB284_116:                            ;   in Loop: Header=BB284_9 Depth=1
	v_and_b32_e32 v1, 7, v8
	v_ffbh_u32_e32 v2, v1
	v_min_u32_e32 v6, 32, v2
	v_subrev_u32_e32 v2, 28, v6
	v_bfe_u32 v4, v8, 3, 4
	v_lshlrev_b64 v[2:3], v2, v[8:9]
	v_sub_u32_e32 v3, 29, v6
	v_cmp_eq_u32_e32 vcc, 0, v4
	v_and_b32_e32 v2, 7, v2
	s_nop 0
	v_cndmask_b32_e32 v3, v4, v3, vcc
	v_cndmask_b32_e32 v1, v1, v2, vcc
	v_lshlrev_b32_e32 v2, 8, v8
	v_lshl_add_u32 v3, v3, 10, v48
	v_and_or_b32 v2, v2, s37, v3
	v_lshl_or_b32 v1, v1, 7, v2
	v_cvt_f32_f16_e32 v1, v1
.LBB284_117:                            ;   in Loop: Header=BB284_9 Depth=1
	s_or_b64 exec, exec, s[30:31]
	v_lshrrev_b16_e32 v4, 8, v8
	v_accvgpr_write_b32 a39, v1
	v_cmp_lt_i16_e32 vcc, s17, v4
	s_mov_b64 s[28:29], 0
                                        ; implicit-def: $sgpr38
	s_and_saveexec_b64 s[30:31], vcc
	s_xor_b64 s[30:31], exec, s[30:31]
	s_cbranch_execz .LBB284_121
; %bb.118:                              ;   in Loop: Header=BB284_9 Depth=1
	v_cmp_eq_u16_e32 vcc, s36, v4
	s_mov_b64 s[28:29], -1
                                        ; implicit-def: $sgpr38
	s_and_saveexec_b64 s[34:35], vcc
; %bb.119:                              ;   in Loop: Header=BB284_9 Depth=1
	s_mov_b32 s38, 0x7fc02000
	s_xor_b64 s[28:29], exec, -1
; %bb.120:                              ;   in Loop: Header=BB284_9 Depth=1
	s_or_b64 exec, exec, s[34:35]
	s_and_b64 s[28:29], s[28:29], exec
.LBB284_121:                            ;   in Loop: Header=BB284_9 Depth=1
	s_or_saveexec_b64 s[30:31], s[30:31]
	v_mov_b32_e32 v1, s38
	scratch_store_dword off, v1, s32 offset:236 ; 4-byte Folded Spill
	s_xor_b64 exec, exec, s[30:31]
	s_cbranch_execz .LBB284_123
; %bb.122:                              ;   in Loop: Header=BB284_9 Depth=1
	v_cmp_ne_u16_e32 vcc, 0, v4
	s_andn2_b64 s[28:29], s[28:29], exec
	s_and_b64 vcc, vcc, exec
	v_mov_b32_e32 v1, 0
	s_or_b64 s[28:29], s[28:29], vcc
	scratch_store_dword off, v1, s32 offset:236 ; 4-byte Folded Spill
.LBB284_123:                            ;   in Loop: Header=BB284_9 Depth=1
	s_or_b64 exec, exec, s[30:31]
	s_and_saveexec_b64 s[30:31], s[28:29]
	s_cbranch_execz .LBB284_125
; %bb.124:                              ;   in Loop: Header=BB284_9 Depth=1
	v_and_b32_e32 v1, 7, v4
	v_ffbh_u32_e32 v2, v1
	v_min_u32_e32 v7, 32, v2
	v_subrev_u32_e32 v2, 28, v7
	v_bfe_u32 v6, v4, 3, 4
	v_lshlrev_b64 v[2:3], v2, v[4:5]
	v_sub_u32_e32 v3, 29, v7
	v_cmp_eq_u32_e32 vcc, 0, v6
	v_and_b32_e32 v2, 7, v2
	s_nop 0
	v_cndmask_b32_e32 v3, v6, v3, vcc
	v_cndmask_b32_e32 v1, v1, v2, vcc
	v_lshlrev_b32_e32 v2, 8, v4
	v_lshl_add_u32 v3, v3, 10, v48
	v_and_or_b32 v2, v2, s37, v3
	v_lshl_or_b32 v1, v1, 7, v2
	v_cvt_f32_f16_e32 v1, v1
	scratch_store_dword off, v1, s32 offset:236 ; 4-byte Folded Spill
.LBB284_125:                            ;   in Loop: Header=BB284_9 Depth=1
	s_or_b64 exec, exec, s[30:31]
	v_lshrrev_b32_e32 v4, 16, v8
	v_cmp_gt_i16_sdwa vcc, v4, s17 src0_sel:BYTE_0 src1_sel:DWORD
	s_mov_b64 s[28:29], 0
                                        ; implicit-def: $sgpr34
	s_and_saveexec_b64 s[30:31], vcc
	s_xor_b64 vcc, exec, s[30:31]
	s_cbranch_execz .LBB284_129
; %bb.126:                              ;   in Loop: Header=BB284_9 Depth=1
	v_cmp_eq_u16_sdwa s[38:39], v4, s36 src0_sel:BYTE_0 src1_sel:DWORD
	s_mov_b64 s[28:29], -1
                                        ; implicit-def: $sgpr34
	s_and_saveexec_b64 s[30:31], s[38:39]
; %bb.127:                              ;   in Loop: Header=BB284_9 Depth=1
	s_mov_b32 s34, 0x7fc02000
	s_xor_b64 s[28:29], exec, -1
; %bb.128:                              ;   in Loop: Header=BB284_9 Depth=1
	s_or_b64 exec, exec, s[30:31]
	s_and_b64 s[28:29], s[28:29], exec
.LBB284_129:                            ;   in Loop: Header=BB284_9 Depth=1
	s_or_saveexec_b64 vcc, vcc
	v_mov_b32_e32 v1, s34
	scratch_store_dword off, v1, s32 offset:228 ; 4-byte Folded Spill
	s_xor_b64 exec, exec, vcc
	s_cbranch_execz .LBB284_131
; %bb.130:                              ;   in Loop: Header=BB284_9 Depth=1
	v_cmp_ne_u16_sdwa s[30:31], v4, v5 src0_sel:BYTE_0 src1_sel:DWORD
	s_andn2_b64 s[28:29], s[28:29], exec
	s_and_b64 s[30:31], s[30:31], exec
	v_mov_b32_e32 v1, 0
	s_or_b64 s[28:29], s[28:29], s[30:31]
	scratch_store_dword off, v1, s32 offset:228 ; 4-byte Folded Spill
.LBB284_131:                            ;   in Loop: Header=BB284_9 Depth=1
	s_or_b64 exec, exec, vcc
	s_and_saveexec_b64 s[30:31], s[28:29]
	s_cbranch_execz .LBB284_133
; %bb.132:                              ;   in Loop: Header=BB284_9 Depth=1
	v_bfe_u32 v1, v8, 16, 3
	v_ffbh_u32_e32 v2, v1
	v_min_u32_e32 v7, 32, v2
	v_subrev_u32_e32 v2, 28, v7
	v_bfe_u32 v6, v8, 19, 4
	v_lshlrev_b64 v[2:3], v2, v[4:5]
	v_sub_u32_e32 v3, 29, v7
	v_cmp_eq_u32_e32 vcc, 0, v6
	v_and_b32_e32 v2, 7, v2
	s_nop 0
	v_cndmask_b32_e32 v3, v6, v3, vcc
	v_cndmask_b32_e32 v1, v1, v2, vcc
	v_lshlrev_b32_e32 v2, 8, v4
	v_lshl_add_u32 v3, v3, 10, v48
	v_and_or_b32 v2, v2, s37, v3
	v_lshl_or_b32 v1, v1, 7, v2
	v_cvt_f32_f16_e32 v1, v1
	scratch_store_dword off, v1, s32 offset:228 ; 4-byte Folded Spill
.LBB284_133:                            ;   in Loop: Header=BB284_9 Depth=1
	s_or_b64 exec, exec, s[30:31]
	v_lshrrev_b32_e32 v4, 24, v8
	v_cmp_lt_i16_e32 vcc, s17, v4
	s_mov_b64 s[28:29], 0
                                        ; implicit-def: $sgpr38
	s_and_saveexec_b64 s[30:31], vcc
	s_xor_b64 s[30:31], exec, s[30:31]
	s_cbranch_execz .LBB284_137
; %bb.134:                              ;   in Loop: Header=BB284_9 Depth=1
	v_cmp_eq_u16_e32 vcc, s36, v4
	s_mov_b64 s[28:29], -1
                                        ; implicit-def: $sgpr38
	s_and_saveexec_b64 s[34:35], vcc
; %bb.135:                              ;   in Loop: Header=BB284_9 Depth=1
	s_mov_b32 s38, 0x7fc02000
	s_xor_b64 s[28:29], exec, -1
; %bb.136:                              ;   in Loop: Header=BB284_9 Depth=1
	s_or_b64 exec, exec, s[34:35]
	s_and_b64 s[28:29], s[28:29], exec
.LBB284_137:                            ;   in Loop: Header=BB284_9 Depth=1
	s_or_saveexec_b64 s[30:31], s[30:31]
	v_mov_b32_e32 v1, s38
	scratch_store_dword off, v1, s32 offset:232 ; 4-byte Folded Spill
	s_xor_b64 exec, exec, s[30:31]
	s_cbranch_execz .LBB284_139
; %bb.138:                              ;   in Loop: Header=BB284_9 Depth=1
	v_cmp_ne_u16_e32 vcc, 0, v4
	s_andn2_b64 s[28:29], s[28:29], exec
	s_and_b64 vcc, vcc, exec
	v_mov_b32_e32 v1, 0
	s_or_b64 s[28:29], s[28:29], vcc
	scratch_store_dword off, v1, s32 offset:232 ; 4-byte Folded Spill
.LBB284_139:                            ;   in Loop: Header=BB284_9 Depth=1
	s_or_b64 exec, exec, s[30:31]
	s_and_saveexec_b64 s[30:31], s[28:29]
	s_cbranch_execz .LBB284_141
; %bb.140:                              ;   in Loop: Header=BB284_9 Depth=1
	v_bfe_u32 v1, v8, 24, 3
	v_ffbh_u32_e32 v2, v1
	v_min_u32_e32 v7, 32, v2
	v_subrev_u32_e32 v2, 28, v7
	v_bfe_u32 v6, v8, 27, 4
	v_lshlrev_b64 v[2:3], v2, v[4:5]
	v_sub_u32_e32 v3, 29, v7
	v_cmp_eq_u32_e32 vcc, 0, v6
	v_and_b32_e32 v2, 7, v2
	s_nop 0
	v_cndmask_b32_e32 v3, v6, v3, vcc
	v_cndmask_b32_e32 v1, v1, v2, vcc
	v_lshlrev_b32_e32 v2, 8, v4
	v_lshl_add_u32 v3, v3, 10, v48
	v_and_or_b32 v2, v2, s37, v3
	v_lshl_or_b32 v1, v1, 7, v2
	v_cvt_f32_f16_e32 v1, v1
	scratch_store_dword off, v1, s32 offset:232 ; 4-byte Folded Spill
.LBB284_141:                            ;   in Loop: Header=BB284_9 Depth=1
	s_or_b64 exec, exec, s[30:31]
	flat_load_dword v8, v[30:31] offset:1032
	s_mov_b64 s[28:29], 0
                                        ; implicit-def: $sgpr34
	s_waitcnt vmcnt(0) lgkmcnt(0)
	v_cmp_gt_i16_sdwa vcc, v8, s17 src0_sel:BYTE_0 src1_sel:DWORD
	s_and_saveexec_b64 s[30:31], vcc
	s_xor_b64 vcc, exec, s[30:31]
	s_cbranch_execnz .LBB284_551
; %bb.142:                              ;   in Loop: Header=BB284_9 Depth=1
	s_or_saveexec_b64 vcc, vcc
	v_mov_b32_e32 v1, s34
	s_xor_b64 exec, exec, vcc
	s_cbranch_execnz .LBB284_554
.LBB284_143:                            ;   in Loop: Header=BB284_9 Depth=1
	s_or_b64 exec, exec, vcc
	s_and_saveexec_b64 s[30:31], s[28:29]
	s_cbranch_execz .LBB284_145
.LBB284_144:                            ;   in Loop: Header=BB284_9 Depth=1
	v_and_b32_e32 v1, 7, v8
	v_ffbh_u32_e32 v2, v1
	v_min_u32_e32 v6, 32, v2
	v_subrev_u32_e32 v2, 28, v6
	v_bfe_u32 v4, v8, 3, 4
	v_lshlrev_b64 v[2:3], v2, v[8:9]
	v_sub_u32_e32 v3, 29, v6
	v_cmp_eq_u32_e32 vcc, 0, v4
	v_and_b32_e32 v2, 7, v2
	s_nop 0
	v_cndmask_b32_e32 v3, v4, v3, vcc
	v_cndmask_b32_e32 v1, v1, v2, vcc
	v_lshlrev_b32_e32 v2, 8, v8
	v_lshl_add_u32 v3, v3, 10, v48
	v_and_or_b32 v2, v2, s37, v3
	v_lshl_or_b32 v1, v1, 7, v2
	v_cvt_f32_f16_e32 v1, v1
.LBB284_145:                            ;   in Loop: Header=BB284_9 Depth=1
	s_or_b64 exec, exec, s[30:31]
	v_lshrrev_b16_e32 v4, 8, v8
	v_accvgpr_write_b32 a40, v1
	v_cmp_lt_i16_e32 vcc, s17, v4
	s_mov_b64 s[28:29], 0
                                        ; implicit-def: $sgpr38
	s_and_saveexec_b64 s[30:31], vcc
	s_xor_b64 s[30:31], exec, s[30:31]
	s_cbranch_execz .LBB284_149
; %bb.146:                              ;   in Loop: Header=BB284_9 Depth=1
	v_cmp_eq_u16_e32 vcc, s36, v4
	s_mov_b64 s[28:29], -1
                                        ; implicit-def: $sgpr38
	s_and_saveexec_b64 s[34:35], vcc
; %bb.147:                              ;   in Loop: Header=BB284_9 Depth=1
	s_mov_b32 s38, 0x7fc02000
	s_xor_b64 s[28:29], exec, -1
; %bb.148:                              ;   in Loop: Header=BB284_9 Depth=1
	s_or_b64 exec, exec, s[34:35]
	s_and_b64 s[28:29], s[28:29], exec
.LBB284_149:                            ;   in Loop: Header=BB284_9 Depth=1
	s_or_saveexec_b64 s[30:31], s[30:31]
	v_mov_b32_e32 v1, s38
	scratch_store_dword off, v1, s32 offset:248 ; 4-byte Folded Spill
	s_xor_b64 exec, exec, s[30:31]
	s_cbranch_execz .LBB284_151
; %bb.150:                              ;   in Loop: Header=BB284_9 Depth=1
	v_cmp_ne_u16_e32 vcc, 0, v4
	s_andn2_b64 s[28:29], s[28:29], exec
	s_and_b64 vcc, vcc, exec
	v_mov_b32_e32 v1, 0
	s_or_b64 s[28:29], s[28:29], vcc
	scratch_store_dword off, v1, s32 offset:248 ; 4-byte Folded Spill
.LBB284_151:                            ;   in Loop: Header=BB284_9 Depth=1
	s_or_b64 exec, exec, s[30:31]
	s_and_saveexec_b64 s[30:31], s[28:29]
	s_cbranch_execz .LBB284_153
; %bb.152:                              ;   in Loop: Header=BB284_9 Depth=1
	v_and_b32_e32 v1, 7, v4
	v_ffbh_u32_e32 v2, v1
	v_min_u32_e32 v7, 32, v2
	v_subrev_u32_e32 v2, 28, v7
	v_bfe_u32 v6, v4, 3, 4
	v_lshlrev_b64 v[2:3], v2, v[4:5]
	v_sub_u32_e32 v3, 29, v7
	v_cmp_eq_u32_e32 vcc, 0, v6
	v_and_b32_e32 v2, 7, v2
	s_nop 0
	v_cndmask_b32_e32 v3, v6, v3, vcc
	v_cndmask_b32_e32 v1, v1, v2, vcc
	v_lshlrev_b32_e32 v2, 8, v4
	v_lshl_add_u32 v3, v3, 10, v48
	v_and_or_b32 v2, v2, s37, v3
	v_lshl_or_b32 v1, v1, 7, v2
	v_cvt_f32_f16_e32 v1, v1
	scratch_store_dword off, v1, s32 offset:248 ; 4-byte Folded Spill
.LBB284_153:                            ;   in Loop: Header=BB284_9 Depth=1
	s_or_b64 exec, exec, s[30:31]
	v_lshrrev_b32_e32 v4, 16, v8
	v_cmp_gt_i16_sdwa vcc, v4, s17 src0_sel:BYTE_0 src1_sel:DWORD
	s_mov_b64 s[28:29], 0
                                        ; implicit-def: $sgpr34
	s_and_saveexec_b64 s[30:31], vcc
	s_xor_b64 vcc, exec, s[30:31]
	s_cbranch_execz .LBB284_157
; %bb.154:                              ;   in Loop: Header=BB284_9 Depth=1
	v_cmp_eq_u16_sdwa s[38:39], v4, s36 src0_sel:BYTE_0 src1_sel:DWORD
	s_mov_b64 s[28:29], -1
                                        ; implicit-def: $sgpr34
	s_and_saveexec_b64 s[30:31], s[38:39]
; %bb.155:                              ;   in Loop: Header=BB284_9 Depth=1
	s_mov_b32 s34, 0x7fc02000
	s_xor_b64 s[28:29], exec, -1
; %bb.156:                              ;   in Loop: Header=BB284_9 Depth=1
	s_or_b64 exec, exec, s[30:31]
	s_and_b64 s[28:29], s[28:29], exec
.LBB284_157:                            ;   in Loop: Header=BB284_9 Depth=1
	s_or_saveexec_b64 vcc, vcc
	v_mov_b32_e32 v1, s34
	scratch_store_dword off, v1, s32 offset:240 ; 4-byte Folded Spill
	s_xor_b64 exec, exec, vcc
	s_cbranch_execz .LBB284_159
; %bb.158:                              ;   in Loop: Header=BB284_9 Depth=1
	v_cmp_ne_u16_sdwa s[30:31], v4, v5 src0_sel:BYTE_0 src1_sel:DWORD
	s_andn2_b64 s[28:29], s[28:29], exec
	s_and_b64 s[30:31], s[30:31], exec
	v_mov_b32_e32 v1, 0
	s_or_b64 s[28:29], s[28:29], s[30:31]
	scratch_store_dword off, v1, s32 offset:240 ; 4-byte Folded Spill
.LBB284_159:                            ;   in Loop: Header=BB284_9 Depth=1
	s_or_b64 exec, exec, vcc
	s_and_saveexec_b64 s[30:31], s[28:29]
	s_cbranch_execz .LBB284_161
; %bb.160:                              ;   in Loop: Header=BB284_9 Depth=1
	v_bfe_u32 v1, v8, 16, 3
	v_ffbh_u32_e32 v2, v1
	v_min_u32_e32 v7, 32, v2
	v_subrev_u32_e32 v2, 28, v7
	v_bfe_u32 v6, v8, 19, 4
	v_lshlrev_b64 v[2:3], v2, v[4:5]
	v_sub_u32_e32 v3, 29, v7
	v_cmp_eq_u32_e32 vcc, 0, v6
	v_and_b32_e32 v2, 7, v2
	s_nop 0
	v_cndmask_b32_e32 v3, v6, v3, vcc
	v_cndmask_b32_e32 v1, v1, v2, vcc
	v_lshlrev_b32_e32 v2, 8, v4
	v_lshl_add_u32 v3, v3, 10, v48
	v_and_or_b32 v2, v2, s37, v3
	v_lshl_or_b32 v1, v1, 7, v2
	v_cvt_f32_f16_e32 v1, v1
	scratch_store_dword off, v1, s32 offset:240 ; 4-byte Folded Spill
.LBB284_161:                            ;   in Loop: Header=BB284_9 Depth=1
	s_or_b64 exec, exec, s[30:31]
	v_lshrrev_b32_e32 v4, 24, v8
	v_cmp_lt_i16_e32 vcc, s17, v4
	s_mov_b64 s[28:29], 0
                                        ; implicit-def: $sgpr38
	s_and_saveexec_b64 s[30:31], vcc
	s_xor_b64 s[30:31], exec, s[30:31]
	s_cbranch_execz .LBB284_165
; %bb.162:                              ;   in Loop: Header=BB284_9 Depth=1
	v_cmp_eq_u16_e32 vcc, s36, v4
	s_mov_b64 s[28:29], -1
                                        ; implicit-def: $sgpr38
	s_and_saveexec_b64 s[34:35], vcc
; %bb.163:                              ;   in Loop: Header=BB284_9 Depth=1
	s_mov_b32 s38, 0x7fc02000
	s_xor_b64 s[28:29], exec, -1
; %bb.164:                              ;   in Loop: Header=BB284_9 Depth=1
	s_or_b64 exec, exec, s[34:35]
	s_and_b64 s[28:29], s[28:29], exec
.LBB284_165:                            ;   in Loop: Header=BB284_9 Depth=1
	s_or_saveexec_b64 s[30:31], s[30:31]
	v_mov_b32_e32 v1, s38
	scratch_store_dword off, v1, s32 offset:244 ; 4-byte Folded Spill
	s_xor_b64 exec, exec, s[30:31]
	s_cbranch_execz .LBB284_167
; %bb.166:                              ;   in Loop: Header=BB284_9 Depth=1
	v_cmp_ne_u16_e32 vcc, 0, v4
	s_andn2_b64 s[28:29], s[28:29], exec
	s_and_b64 vcc, vcc, exec
	v_mov_b32_e32 v1, 0
	s_or_b64 s[28:29], s[28:29], vcc
	scratch_store_dword off, v1, s32 offset:244 ; 4-byte Folded Spill
.LBB284_167:                            ;   in Loop: Header=BB284_9 Depth=1
	s_or_b64 exec, exec, s[30:31]
	s_and_saveexec_b64 s[30:31], s[28:29]
	s_cbranch_execz .LBB284_169
; %bb.168:                              ;   in Loop: Header=BB284_9 Depth=1
	v_bfe_u32 v1, v8, 24, 3
	v_ffbh_u32_e32 v2, v1
	v_min_u32_e32 v7, 32, v2
	v_subrev_u32_e32 v2, 28, v7
	v_bfe_u32 v6, v8, 27, 4
	v_lshlrev_b64 v[2:3], v2, v[4:5]
	v_sub_u32_e32 v3, 29, v7
	v_cmp_eq_u32_e32 vcc, 0, v6
	v_and_b32_e32 v2, 7, v2
	s_nop 0
	v_cndmask_b32_e32 v3, v6, v3, vcc
	v_cndmask_b32_e32 v1, v1, v2, vcc
	v_lshlrev_b32_e32 v2, 8, v4
	v_lshl_add_u32 v3, v3, 10, v48
	v_and_or_b32 v2, v2, s37, v3
	v_lshl_or_b32 v1, v1, 7, v2
	v_cvt_f32_f16_e32 v1, v1
	scratch_store_dword off, v1, s32 offset:244 ; 4-byte Folded Spill
.LBB284_169:                            ;   in Loop: Header=BB284_9 Depth=1
	s_or_b64 exec, exec, s[30:31]
	flat_load_dword v8, v[30:31] offset:1536
	s_mov_b64 s[28:29], 0
                                        ; implicit-def: $sgpr34
	s_waitcnt vmcnt(0) lgkmcnt(0)
	v_cmp_gt_i16_sdwa vcc, v8, s17 src0_sel:BYTE_0 src1_sel:DWORD
	s_and_saveexec_b64 s[30:31], vcc
	s_xor_b64 vcc, exec, s[30:31]
	s_cbranch_execnz .LBB284_555
; %bb.170:                              ;   in Loop: Header=BB284_9 Depth=1
	s_or_saveexec_b64 vcc, vcc
	v_mov_b32_e32 v1, s34
	s_xor_b64 exec, exec, vcc
	s_cbranch_execnz .LBB284_558
.LBB284_171:                            ;   in Loop: Header=BB284_9 Depth=1
	s_or_b64 exec, exec, vcc
	s_and_saveexec_b64 s[30:31], s[28:29]
	s_cbranch_execz .LBB284_173
.LBB284_172:                            ;   in Loop: Header=BB284_9 Depth=1
	v_and_b32_e32 v1, 7, v8
	v_ffbh_u32_e32 v2, v1
	v_min_u32_e32 v6, 32, v2
	v_subrev_u32_e32 v2, 28, v6
	v_bfe_u32 v4, v8, 3, 4
	v_lshlrev_b64 v[2:3], v2, v[8:9]
	v_sub_u32_e32 v3, 29, v6
	v_cmp_eq_u32_e32 vcc, 0, v4
	v_and_b32_e32 v2, 7, v2
	s_nop 0
	v_cndmask_b32_e32 v3, v4, v3, vcc
	v_cndmask_b32_e32 v1, v1, v2, vcc
	v_lshlrev_b32_e32 v2, 8, v8
	v_lshl_add_u32 v3, v3, 10, v48
	v_and_or_b32 v2, v2, s37, v3
	v_lshl_or_b32 v1, v1, 7, v2
	v_cvt_f32_f16_e32 v1, v1
.LBB284_173:                            ;   in Loop: Header=BB284_9 Depth=1
	s_or_b64 exec, exec, s[30:31]
	v_lshrrev_b16_e32 v4, 8, v8
	v_accvgpr_write_b32 a41, v1
	v_cmp_lt_i16_e32 vcc, s17, v4
	s_mov_b64 s[28:29], 0
                                        ; implicit-def: $sgpr38
	s_and_saveexec_b64 s[30:31], vcc
	s_xor_b64 s[30:31], exec, s[30:31]
	s_cbranch_execz .LBB284_177
; %bb.174:                              ;   in Loop: Header=BB284_9 Depth=1
	v_cmp_eq_u16_e32 vcc, s36, v4
	s_mov_b64 s[28:29], -1
                                        ; implicit-def: $sgpr38
	s_and_saveexec_b64 s[34:35], vcc
; %bb.175:                              ;   in Loop: Header=BB284_9 Depth=1
	s_mov_b32 s38, 0x7fc02000
	s_xor_b64 s[28:29], exec, -1
; %bb.176:                              ;   in Loop: Header=BB284_9 Depth=1
	s_or_b64 exec, exec, s[34:35]
	s_and_b64 s[28:29], s[28:29], exec
.LBB284_177:                            ;   in Loop: Header=BB284_9 Depth=1
	s_or_saveexec_b64 s[30:31], s[30:31]
	v_mov_b32_e32 v1, s38
	scratch_store_dword off, v1, s32 offset:260 ; 4-byte Folded Spill
	s_xor_b64 exec, exec, s[30:31]
	s_cbranch_execz .LBB284_179
; %bb.178:                              ;   in Loop: Header=BB284_9 Depth=1
	v_cmp_ne_u16_e32 vcc, 0, v4
	s_andn2_b64 s[28:29], s[28:29], exec
	s_and_b64 vcc, vcc, exec
	v_mov_b32_e32 v1, 0
	s_or_b64 s[28:29], s[28:29], vcc
	scratch_store_dword off, v1, s32 offset:260 ; 4-byte Folded Spill
.LBB284_179:                            ;   in Loop: Header=BB284_9 Depth=1
	s_or_b64 exec, exec, s[30:31]
	s_and_saveexec_b64 s[30:31], s[28:29]
	s_cbranch_execz .LBB284_181
; %bb.180:                              ;   in Loop: Header=BB284_9 Depth=1
	v_and_b32_e32 v1, 7, v4
	v_ffbh_u32_e32 v2, v1
	v_min_u32_e32 v7, 32, v2
	v_subrev_u32_e32 v2, 28, v7
	v_bfe_u32 v6, v4, 3, 4
	v_lshlrev_b64 v[2:3], v2, v[4:5]
	v_sub_u32_e32 v3, 29, v7
	v_cmp_eq_u32_e32 vcc, 0, v6
	v_and_b32_e32 v2, 7, v2
	s_nop 0
	v_cndmask_b32_e32 v3, v6, v3, vcc
	v_cndmask_b32_e32 v1, v1, v2, vcc
	v_lshlrev_b32_e32 v2, 8, v4
	v_lshl_add_u32 v3, v3, 10, v48
	v_and_or_b32 v2, v2, s37, v3
	v_lshl_or_b32 v1, v1, 7, v2
	v_cvt_f32_f16_e32 v1, v1
	scratch_store_dword off, v1, s32 offset:260 ; 4-byte Folded Spill
.LBB284_181:                            ;   in Loop: Header=BB284_9 Depth=1
	s_or_b64 exec, exec, s[30:31]
	v_lshrrev_b32_e32 v4, 16, v8
	v_cmp_gt_i16_sdwa vcc, v4, s17 src0_sel:BYTE_0 src1_sel:DWORD
	s_mov_b64 s[28:29], 0
                                        ; implicit-def: $sgpr34
	s_and_saveexec_b64 s[30:31], vcc
	s_xor_b64 vcc, exec, s[30:31]
	s_cbranch_execz .LBB284_185
; %bb.182:                              ;   in Loop: Header=BB284_9 Depth=1
	v_cmp_eq_u16_sdwa s[38:39], v4, s36 src0_sel:BYTE_0 src1_sel:DWORD
	s_mov_b64 s[28:29], -1
                                        ; implicit-def: $sgpr34
	s_and_saveexec_b64 s[30:31], s[38:39]
; %bb.183:                              ;   in Loop: Header=BB284_9 Depth=1
	s_mov_b32 s34, 0x7fc02000
	s_xor_b64 s[28:29], exec, -1
; %bb.184:                              ;   in Loop: Header=BB284_9 Depth=1
	s_or_b64 exec, exec, s[30:31]
	s_and_b64 s[28:29], s[28:29], exec
.LBB284_185:                            ;   in Loop: Header=BB284_9 Depth=1
	s_or_saveexec_b64 vcc, vcc
	v_mov_b32_e32 v1, s34
	scratch_store_dword off, v1, s32 offset:252 ; 4-byte Folded Spill
	s_xor_b64 exec, exec, vcc
	s_cbranch_execz .LBB284_187
; %bb.186:                              ;   in Loop: Header=BB284_9 Depth=1
	v_cmp_ne_u16_sdwa s[30:31], v4, v5 src0_sel:BYTE_0 src1_sel:DWORD
	s_andn2_b64 s[28:29], s[28:29], exec
	s_and_b64 s[30:31], s[30:31], exec
	v_mov_b32_e32 v1, 0
	s_or_b64 s[28:29], s[28:29], s[30:31]
	scratch_store_dword off, v1, s32 offset:252 ; 4-byte Folded Spill
.LBB284_187:                            ;   in Loop: Header=BB284_9 Depth=1
	s_or_b64 exec, exec, vcc
	s_and_saveexec_b64 s[30:31], s[28:29]
	s_cbranch_execz .LBB284_189
; %bb.188:                              ;   in Loop: Header=BB284_9 Depth=1
	v_bfe_u32 v1, v8, 16, 3
	v_ffbh_u32_e32 v2, v1
	v_min_u32_e32 v7, 32, v2
	v_subrev_u32_e32 v2, 28, v7
	v_bfe_u32 v6, v8, 19, 4
	v_lshlrev_b64 v[2:3], v2, v[4:5]
	v_sub_u32_e32 v3, 29, v7
	v_cmp_eq_u32_e32 vcc, 0, v6
	v_and_b32_e32 v2, 7, v2
	s_nop 0
	v_cndmask_b32_e32 v3, v6, v3, vcc
	v_cndmask_b32_e32 v1, v1, v2, vcc
	v_lshlrev_b32_e32 v2, 8, v4
	v_lshl_add_u32 v3, v3, 10, v48
	v_and_or_b32 v2, v2, s37, v3
	v_lshl_or_b32 v1, v1, 7, v2
	v_cvt_f32_f16_e32 v1, v1
	scratch_store_dword off, v1, s32 offset:252 ; 4-byte Folded Spill
.LBB284_189:                            ;   in Loop: Header=BB284_9 Depth=1
	s_or_b64 exec, exec, s[30:31]
	v_lshrrev_b32_e32 v4, 24, v8
	v_cmp_lt_i16_e32 vcc, s17, v4
	s_mov_b64 s[28:29], 0
                                        ; implicit-def: $sgpr38
	s_and_saveexec_b64 s[30:31], vcc
	s_xor_b64 s[30:31], exec, s[30:31]
	s_cbranch_execz .LBB284_193
; %bb.190:                              ;   in Loop: Header=BB284_9 Depth=1
	v_cmp_eq_u16_e32 vcc, s36, v4
	s_mov_b64 s[28:29], -1
                                        ; implicit-def: $sgpr38
	s_and_saveexec_b64 s[34:35], vcc
; %bb.191:                              ;   in Loop: Header=BB284_9 Depth=1
	s_mov_b32 s38, 0x7fc02000
	s_xor_b64 s[28:29], exec, -1
; %bb.192:                              ;   in Loop: Header=BB284_9 Depth=1
	s_or_b64 exec, exec, s[34:35]
	s_and_b64 s[28:29], s[28:29], exec
.LBB284_193:                            ;   in Loop: Header=BB284_9 Depth=1
	s_or_saveexec_b64 s[30:31], s[30:31]
	v_mov_b32_e32 v1, s38
	scratch_store_dword off, v1, s32 offset:256 ; 4-byte Folded Spill
	s_xor_b64 exec, exec, s[30:31]
	s_cbranch_execz .LBB284_195
; %bb.194:                              ;   in Loop: Header=BB284_9 Depth=1
	v_cmp_ne_u16_e32 vcc, 0, v4
	s_andn2_b64 s[28:29], s[28:29], exec
	s_and_b64 vcc, vcc, exec
	v_mov_b32_e32 v1, 0
	s_or_b64 s[28:29], s[28:29], vcc
	scratch_store_dword off, v1, s32 offset:256 ; 4-byte Folded Spill
.LBB284_195:                            ;   in Loop: Header=BB284_9 Depth=1
	s_or_b64 exec, exec, s[30:31]
	s_and_saveexec_b64 s[30:31], s[28:29]
	s_cbranch_execz .LBB284_197
; %bb.196:                              ;   in Loop: Header=BB284_9 Depth=1
	v_bfe_u32 v1, v8, 24, 3
	v_ffbh_u32_e32 v2, v1
	v_min_u32_e32 v7, 32, v2
	v_subrev_u32_e32 v2, 28, v7
	v_bfe_u32 v6, v8, 27, 4
	v_lshlrev_b64 v[2:3], v2, v[4:5]
	v_sub_u32_e32 v3, 29, v7
	v_cmp_eq_u32_e32 vcc, 0, v6
	v_and_b32_e32 v2, 7, v2
	s_nop 0
	v_cndmask_b32_e32 v3, v6, v3, vcc
	v_cndmask_b32_e32 v1, v1, v2, vcc
	v_lshlrev_b32_e32 v2, 8, v4
	v_lshl_add_u32 v3, v3, 10, v48
	v_and_or_b32 v2, v2, s37, v3
	v_lshl_or_b32 v1, v1, 7, v2
	v_cvt_f32_f16_e32 v1, v1
	scratch_store_dword off, v1, s32 offset:256 ; 4-byte Folded Spill
.LBB284_197:                            ;   in Loop: Header=BB284_9 Depth=1
	s_or_b64 exec, exec, s[30:31]
	flat_load_dword v8, v[30:31] offset:1544
	s_mov_b64 s[28:29], 0
                                        ; implicit-def: $sgpr34
	s_waitcnt vmcnt(0) lgkmcnt(0)
	v_cmp_gt_i16_sdwa vcc, v8, s17 src0_sel:BYTE_0 src1_sel:DWORD
	s_and_saveexec_b64 s[30:31], vcc
	s_xor_b64 vcc, exec, s[30:31]
	s_cbranch_execnz .LBB284_559
; %bb.198:                              ;   in Loop: Header=BB284_9 Depth=1
	s_or_saveexec_b64 vcc, vcc
	v_mov_b32_e32 v1, s34
	s_xor_b64 exec, exec, vcc
	s_cbranch_execnz .LBB284_562
.LBB284_199:                            ;   in Loop: Header=BB284_9 Depth=1
	s_or_b64 exec, exec, vcc
	s_and_saveexec_b64 s[30:31], s[28:29]
	s_cbranch_execz .LBB284_201
.LBB284_200:                            ;   in Loop: Header=BB284_9 Depth=1
	v_and_b32_e32 v1, 7, v8
	v_ffbh_u32_e32 v2, v1
	v_min_u32_e32 v6, 32, v2
	v_subrev_u32_e32 v2, 28, v6
	v_bfe_u32 v4, v8, 3, 4
	v_lshlrev_b64 v[2:3], v2, v[8:9]
	v_sub_u32_e32 v3, 29, v6
	v_cmp_eq_u32_e32 vcc, 0, v4
	v_and_b32_e32 v2, 7, v2
	s_nop 0
	v_cndmask_b32_e32 v3, v4, v3, vcc
	v_cndmask_b32_e32 v1, v1, v2, vcc
	v_lshlrev_b32_e32 v2, 8, v8
	v_lshl_add_u32 v3, v3, 10, v48
	v_and_or_b32 v2, v2, s37, v3
	v_lshl_or_b32 v1, v1, 7, v2
	v_cvt_f32_f16_e32 v1, v1
.LBB284_201:                            ;   in Loop: Header=BB284_9 Depth=1
	s_or_b64 exec, exec, s[30:31]
	v_lshrrev_b16_e32 v4, 8, v8
	v_accvgpr_write_b32 a42, v1
	v_cmp_lt_i16_e32 vcc, s17, v4
	s_mov_b64 s[28:29], 0
                                        ; implicit-def: $sgpr38
	s_and_saveexec_b64 s[30:31], vcc
	s_xor_b64 s[30:31], exec, s[30:31]
	s_cbranch_execz .LBB284_205
; %bb.202:                              ;   in Loop: Header=BB284_9 Depth=1
	v_cmp_eq_u16_e32 vcc, s36, v4
	s_mov_b64 s[28:29], -1
                                        ; implicit-def: $sgpr38
	s_and_saveexec_b64 s[34:35], vcc
; %bb.203:                              ;   in Loop: Header=BB284_9 Depth=1
	s_mov_b32 s38, 0x7fc02000
	s_xor_b64 s[28:29], exec, -1
; %bb.204:                              ;   in Loop: Header=BB284_9 Depth=1
	s_or_b64 exec, exec, s[34:35]
	s_and_b64 s[28:29], s[28:29], exec
.LBB284_205:                            ;   in Loop: Header=BB284_9 Depth=1
	s_or_saveexec_b64 s[30:31], s[30:31]
	v_mov_b32_e32 v1, s38
	scratch_store_dword off, v1, s32 offset:272 ; 4-byte Folded Spill
	s_xor_b64 exec, exec, s[30:31]
	s_cbranch_execz .LBB284_207
; %bb.206:                              ;   in Loop: Header=BB284_9 Depth=1
	v_cmp_ne_u16_e32 vcc, 0, v4
	s_andn2_b64 s[28:29], s[28:29], exec
	s_and_b64 vcc, vcc, exec
	v_mov_b32_e32 v1, 0
	s_or_b64 s[28:29], s[28:29], vcc
	scratch_store_dword off, v1, s32 offset:272 ; 4-byte Folded Spill
.LBB284_207:                            ;   in Loop: Header=BB284_9 Depth=1
	s_or_b64 exec, exec, s[30:31]
	s_and_saveexec_b64 s[30:31], s[28:29]
	s_cbranch_execz .LBB284_209
; %bb.208:                              ;   in Loop: Header=BB284_9 Depth=1
	v_and_b32_e32 v1, 7, v4
	v_ffbh_u32_e32 v2, v1
	v_min_u32_e32 v7, 32, v2
	v_subrev_u32_e32 v2, 28, v7
	v_bfe_u32 v6, v4, 3, 4
	v_lshlrev_b64 v[2:3], v2, v[4:5]
	v_sub_u32_e32 v3, 29, v7
	v_cmp_eq_u32_e32 vcc, 0, v6
	v_and_b32_e32 v2, 7, v2
	s_nop 0
	v_cndmask_b32_e32 v3, v6, v3, vcc
	v_cndmask_b32_e32 v1, v1, v2, vcc
	v_lshlrev_b32_e32 v2, 8, v4
	v_lshl_add_u32 v3, v3, 10, v48
	v_and_or_b32 v2, v2, s37, v3
	v_lshl_or_b32 v1, v1, 7, v2
	v_cvt_f32_f16_e32 v1, v1
	scratch_store_dword off, v1, s32 offset:272 ; 4-byte Folded Spill
.LBB284_209:                            ;   in Loop: Header=BB284_9 Depth=1
	s_or_b64 exec, exec, s[30:31]
	v_lshrrev_b32_e32 v4, 16, v8
	v_cmp_gt_i16_sdwa vcc, v4, s17 src0_sel:BYTE_0 src1_sel:DWORD
	s_mov_b64 s[28:29], 0
                                        ; implicit-def: $sgpr34
	s_and_saveexec_b64 s[30:31], vcc
	s_xor_b64 vcc, exec, s[30:31]
	s_cbranch_execz .LBB284_213
; %bb.210:                              ;   in Loop: Header=BB284_9 Depth=1
	v_cmp_eq_u16_sdwa s[38:39], v4, s36 src0_sel:BYTE_0 src1_sel:DWORD
	s_mov_b64 s[28:29], -1
                                        ; implicit-def: $sgpr34
	s_and_saveexec_b64 s[30:31], s[38:39]
; %bb.211:                              ;   in Loop: Header=BB284_9 Depth=1
	s_mov_b32 s34, 0x7fc02000
	s_xor_b64 s[28:29], exec, -1
; %bb.212:                              ;   in Loop: Header=BB284_9 Depth=1
	s_or_b64 exec, exec, s[30:31]
	s_and_b64 s[28:29], s[28:29], exec
.LBB284_213:                            ;   in Loop: Header=BB284_9 Depth=1
	s_or_saveexec_b64 vcc, vcc
	v_mov_b32_e32 v1, s34
	scratch_store_dword off, v1, s32 offset:264 ; 4-byte Folded Spill
	s_xor_b64 exec, exec, vcc
	s_cbranch_execz .LBB284_215
; %bb.214:                              ;   in Loop: Header=BB284_9 Depth=1
	v_cmp_ne_u16_sdwa s[30:31], v4, v5 src0_sel:BYTE_0 src1_sel:DWORD
	s_andn2_b64 s[28:29], s[28:29], exec
	s_and_b64 s[30:31], s[30:31], exec
	v_mov_b32_e32 v1, 0
	s_or_b64 s[28:29], s[28:29], s[30:31]
	scratch_store_dword off, v1, s32 offset:264 ; 4-byte Folded Spill
.LBB284_215:                            ;   in Loop: Header=BB284_9 Depth=1
	s_or_b64 exec, exec, vcc
	s_and_saveexec_b64 s[30:31], s[28:29]
	s_cbranch_execz .LBB284_217
; %bb.216:                              ;   in Loop: Header=BB284_9 Depth=1
	v_bfe_u32 v1, v8, 16, 3
	v_ffbh_u32_e32 v2, v1
	v_min_u32_e32 v7, 32, v2
	v_subrev_u32_e32 v2, 28, v7
	v_bfe_u32 v6, v8, 19, 4
	v_lshlrev_b64 v[2:3], v2, v[4:5]
	v_sub_u32_e32 v3, 29, v7
	v_cmp_eq_u32_e32 vcc, 0, v6
	v_and_b32_e32 v2, 7, v2
	s_nop 0
	v_cndmask_b32_e32 v3, v6, v3, vcc
	v_cndmask_b32_e32 v1, v1, v2, vcc
	v_lshlrev_b32_e32 v2, 8, v4
	v_lshl_add_u32 v3, v3, 10, v48
	v_and_or_b32 v2, v2, s37, v3
	v_lshl_or_b32 v1, v1, 7, v2
	v_cvt_f32_f16_e32 v1, v1
	scratch_store_dword off, v1, s32 offset:264 ; 4-byte Folded Spill
.LBB284_217:                            ;   in Loop: Header=BB284_9 Depth=1
	s_or_b64 exec, exec, s[30:31]
	v_lshrrev_b32_e32 v4, 24, v8
	v_cmp_lt_i16_e32 vcc, s17, v4
	s_mov_b64 s[28:29], 0
                                        ; implicit-def: $sgpr38
	s_and_saveexec_b64 s[30:31], vcc
	s_xor_b64 s[30:31], exec, s[30:31]
	s_cbranch_execz .LBB284_221
; %bb.218:                              ;   in Loop: Header=BB284_9 Depth=1
	v_cmp_eq_u16_e32 vcc, s36, v4
	s_mov_b64 s[28:29], -1
                                        ; implicit-def: $sgpr38
	s_and_saveexec_b64 s[34:35], vcc
; %bb.219:                              ;   in Loop: Header=BB284_9 Depth=1
	s_mov_b32 s38, 0x7fc02000
	s_xor_b64 s[28:29], exec, -1
; %bb.220:                              ;   in Loop: Header=BB284_9 Depth=1
	s_or_b64 exec, exec, s[34:35]
	s_and_b64 s[28:29], s[28:29], exec
.LBB284_221:                            ;   in Loop: Header=BB284_9 Depth=1
	s_or_saveexec_b64 s[30:31], s[30:31]
	v_mov_b32_e32 v1, s38
	scratch_store_dword off, v1, s32 offset:268 ; 4-byte Folded Spill
	s_xor_b64 exec, exec, s[30:31]
	s_cbranch_execz .LBB284_223
; %bb.222:                              ;   in Loop: Header=BB284_9 Depth=1
	v_cmp_ne_u16_e32 vcc, 0, v4
	s_andn2_b64 s[28:29], s[28:29], exec
	s_and_b64 vcc, vcc, exec
	v_mov_b32_e32 v1, 0
	s_or_b64 s[28:29], s[28:29], vcc
	scratch_store_dword off, v1, s32 offset:268 ; 4-byte Folded Spill
.LBB284_223:                            ;   in Loop: Header=BB284_9 Depth=1
	s_or_b64 exec, exec, s[30:31]
	s_and_saveexec_b64 s[30:31], s[28:29]
	s_cbranch_execz .LBB284_225
; %bb.224:                              ;   in Loop: Header=BB284_9 Depth=1
	v_bfe_u32 v1, v8, 24, 3
	v_ffbh_u32_e32 v2, v1
	v_min_u32_e32 v7, 32, v2
	v_subrev_u32_e32 v2, 28, v7
	v_bfe_u32 v6, v8, 27, 4
	v_lshlrev_b64 v[2:3], v2, v[4:5]
	v_sub_u32_e32 v3, 29, v7
	v_cmp_eq_u32_e32 vcc, 0, v6
	v_and_b32_e32 v2, 7, v2
	s_nop 0
	v_cndmask_b32_e32 v3, v6, v3, vcc
	v_cndmask_b32_e32 v1, v1, v2, vcc
	v_lshlrev_b32_e32 v2, 8, v4
	v_lshl_add_u32 v3, v3, 10, v48
	v_and_or_b32 v2, v2, s37, v3
	v_lshl_or_b32 v1, v1, 7, v2
	v_cvt_f32_f16_e32 v1, v1
	scratch_store_dword off, v1, s32 offset:268 ; 4-byte Folded Spill
.LBB284_225:                            ;   in Loop: Header=BB284_9 Depth=1
	s_or_b64 exec, exec, s[30:31]
	flat_load_dword v8, v[30:31] offset:2048
	s_mov_b64 s[28:29], 0
                                        ; implicit-def: $sgpr34
	s_waitcnt vmcnt(0) lgkmcnt(0)
	v_cmp_gt_i16_sdwa vcc, v8, s17 src0_sel:BYTE_0 src1_sel:DWORD
	s_and_saveexec_b64 s[30:31], vcc
	s_xor_b64 vcc, exec, s[30:31]
	s_cbranch_execnz .LBB284_563
; %bb.226:                              ;   in Loop: Header=BB284_9 Depth=1
	s_or_saveexec_b64 vcc, vcc
	v_mov_b32_e32 v1, s34
	s_xor_b64 exec, exec, vcc
	s_cbranch_execnz .LBB284_566
.LBB284_227:                            ;   in Loop: Header=BB284_9 Depth=1
	s_or_b64 exec, exec, vcc
	s_and_saveexec_b64 s[30:31], s[28:29]
	s_cbranch_execz .LBB284_229
.LBB284_228:                            ;   in Loop: Header=BB284_9 Depth=1
	v_and_b32_e32 v1, 7, v8
	v_ffbh_u32_e32 v2, v1
	v_min_u32_e32 v6, 32, v2
	v_subrev_u32_e32 v2, 28, v6
	v_bfe_u32 v4, v8, 3, 4
	v_lshlrev_b64 v[2:3], v2, v[8:9]
	v_sub_u32_e32 v3, 29, v6
	v_cmp_eq_u32_e32 vcc, 0, v4
	v_and_b32_e32 v2, 7, v2
	s_nop 0
	v_cndmask_b32_e32 v3, v4, v3, vcc
	v_cndmask_b32_e32 v1, v1, v2, vcc
	v_lshlrev_b32_e32 v2, 8, v8
	v_lshl_add_u32 v3, v3, 10, v48
	v_and_or_b32 v2, v2, s37, v3
	v_lshl_or_b32 v1, v1, 7, v2
	v_cvt_f32_f16_e32 v1, v1
.LBB284_229:                            ;   in Loop: Header=BB284_9 Depth=1
	s_or_b64 exec, exec, s[30:31]
	v_lshrrev_b16_e32 v4, 8, v8
	v_accvgpr_write_b32 a43, v1
	v_cmp_lt_i16_e32 vcc, s17, v4
	s_mov_b64 s[28:29], 0
                                        ; implicit-def: $sgpr38
	s_and_saveexec_b64 s[30:31], vcc
	s_xor_b64 s[30:31], exec, s[30:31]
	s_cbranch_execz .LBB284_233
; %bb.230:                              ;   in Loop: Header=BB284_9 Depth=1
	v_cmp_eq_u16_e32 vcc, s36, v4
	s_mov_b64 s[28:29], -1
                                        ; implicit-def: $sgpr38
	s_and_saveexec_b64 s[34:35], vcc
; %bb.231:                              ;   in Loop: Header=BB284_9 Depth=1
	s_mov_b32 s38, 0x7fc02000
	s_xor_b64 s[28:29], exec, -1
; %bb.232:                              ;   in Loop: Header=BB284_9 Depth=1
	s_or_b64 exec, exec, s[34:35]
	s_and_b64 s[28:29], s[28:29], exec
.LBB284_233:                            ;   in Loop: Header=BB284_9 Depth=1
	s_or_saveexec_b64 s[30:31], s[30:31]
	v_mov_b32_e32 v1, s38
	scratch_store_dword off, v1, s32 offset:284 ; 4-byte Folded Spill
	s_xor_b64 exec, exec, s[30:31]
	s_cbranch_execz .LBB284_235
; %bb.234:                              ;   in Loop: Header=BB284_9 Depth=1
	v_cmp_ne_u16_e32 vcc, 0, v4
	s_andn2_b64 s[28:29], s[28:29], exec
	s_and_b64 vcc, vcc, exec
	v_mov_b32_e32 v1, 0
	s_or_b64 s[28:29], s[28:29], vcc
	scratch_store_dword off, v1, s32 offset:284 ; 4-byte Folded Spill
.LBB284_235:                            ;   in Loop: Header=BB284_9 Depth=1
	s_or_b64 exec, exec, s[30:31]
	s_and_saveexec_b64 s[30:31], s[28:29]
	s_cbranch_execz .LBB284_237
; %bb.236:                              ;   in Loop: Header=BB284_9 Depth=1
	v_and_b32_e32 v1, 7, v4
	v_ffbh_u32_e32 v2, v1
	v_min_u32_e32 v7, 32, v2
	v_subrev_u32_e32 v2, 28, v7
	v_bfe_u32 v6, v4, 3, 4
	v_lshlrev_b64 v[2:3], v2, v[4:5]
	v_sub_u32_e32 v3, 29, v7
	v_cmp_eq_u32_e32 vcc, 0, v6
	v_and_b32_e32 v2, 7, v2
	s_nop 0
	v_cndmask_b32_e32 v3, v6, v3, vcc
	v_cndmask_b32_e32 v1, v1, v2, vcc
	v_lshlrev_b32_e32 v2, 8, v4
	v_lshl_add_u32 v3, v3, 10, v48
	v_and_or_b32 v2, v2, s37, v3
	v_lshl_or_b32 v1, v1, 7, v2
	v_cvt_f32_f16_e32 v1, v1
	scratch_store_dword off, v1, s32 offset:284 ; 4-byte Folded Spill
.LBB284_237:                            ;   in Loop: Header=BB284_9 Depth=1
	s_or_b64 exec, exec, s[30:31]
	v_lshrrev_b32_e32 v4, 16, v8
	v_cmp_gt_i16_sdwa vcc, v4, s17 src0_sel:BYTE_0 src1_sel:DWORD
	s_mov_b64 s[28:29], 0
                                        ; implicit-def: $sgpr34
	s_and_saveexec_b64 s[30:31], vcc
	s_xor_b64 vcc, exec, s[30:31]
	s_cbranch_execz .LBB284_241
; %bb.238:                              ;   in Loop: Header=BB284_9 Depth=1
	v_cmp_eq_u16_sdwa s[38:39], v4, s36 src0_sel:BYTE_0 src1_sel:DWORD
	s_mov_b64 s[28:29], -1
                                        ; implicit-def: $sgpr34
	s_and_saveexec_b64 s[30:31], s[38:39]
; %bb.239:                              ;   in Loop: Header=BB284_9 Depth=1
	s_mov_b32 s34, 0x7fc02000
	s_xor_b64 s[28:29], exec, -1
; %bb.240:                              ;   in Loop: Header=BB284_9 Depth=1
	s_or_b64 exec, exec, s[30:31]
	s_and_b64 s[28:29], s[28:29], exec
.LBB284_241:                            ;   in Loop: Header=BB284_9 Depth=1
	s_or_saveexec_b64 vcc, vcc
	v_mov_b32_e32 v1, s34
	scratch_store_dword off, v1, s32 offset:276 ; 4-byte Folded Spill
	s_xor_b64 exec, exec, vcc
	s_cbranch_execz .LBB284_243
; %bb.242:                              ;   in Loop: Header=BB284_9 Depth=1
	v_cmp_ne_u16_sdwa s[30:31], v4, v5 src0_sel:BYTE_0 src1_sel:DWORD
	s_andn2_b64 s[28:29], s[28:29], exec
	s_and_b64 s[30:31], s[30:31], exec
	v_mov_b32_e32 v1, 0
	s_or_b64 s[28:29], s[28:29], s[30:31]
	scratch_store_dword off, v1, s32 offset:276 ; 4-byte Folded Spill
.LBB284_243:                            ;   in Loop: Header=BB284_9 Depth=1
	s_or_b64 exec, exec, vcc
	s_and_saveexec_b64 s[30:31], s[28:29]
	s_cbranch_execz .LBB284_245
; %bb.244:                              ;   in Loop: Header=BB284_9 Depth=1
	v_bfe_u32 v1, v8, 16, 3
	v_ffbh_u32_e32 v2, v1
	v_min_u32_e32 v7, 32, v2
	v_subrev_u32_e32 v2, 28, v7
	v_bfe_u32 v6, v8, 19, 4
	v_lshlrev_b64 v[2:3], v2, v[4:5]
	v_sub_u32_e32 v3, 29, v7
	v_cmp_eq_u32_e32 vcc, 0, v6
	v_and_b32_e32 v2, 7, v2
	s_nop 0
	v_cndmask_b32_e32 v3, v6, v3, vcc
	v_cndmask_b32_e32 v1, v1, v2, vcc
	v_lshlrev_b32_e32 v2, 8, v4
	v_lshl_add_u32 v3, v3, 10, v48
	v_and_or_b32 v2, v2, s37, v3
	v_lshl_or_b32 v1, v1, 7, v2
	v_cvt_f32_f16_e32 v1, v1
	scratch_store_dword off, v1, s32 offset:276 ; 4-byte Folded Spill
.LBB284_245:                            ;   in Loop: Header=BB284_9 Depth=1
	s_or_b64 exec, exec, s[30:31]
	v_lshrrev_b32_e32 v4, 24, v8
	v_cmp_lt_i16_e32 vcc, s17, v4
	s_mov_b64 s[28:29], 0
                                        ; implicit-def: $sgpr38
	s_and_saveexec_b64 s[30:31], vcc
	s_xor_b64 s[30:31], exec, s[30:31]
	s_cbranch_execz .LBB284_249
; %bb.246:                              ;   in Loop: Header=BB284_9 Depth=1
	v_cmp_eq_u16_e32 vcc, s36, v4
	s_mov_b64 s[28:29], -1
                                        ; implicit-def: $sgpr38
	s_and_saveexec_b64 s[34:35], vcc
; %bb.247:                              ;   in Loop: Header=BB284_9 Depth=1
	s_mov_b32 s38, 0x7fc02000
	s_xor_b64 s[28:29], exec, -1
; %bb.248:                              ;   in Loop: Header=BB284_9 Depth=1
	s_or_b64 exec, exec, s[34:35]
	s_and_b64 s[28:29], s[28:29], exec
.LBB284_249:                            ;   in Loop: Header=BB284_9 Depth=1
	s_or_saveexec_b64 s[30:31], s[30:31]
	v_mov_b32_e32 v1, s38
	scratch_store_dword off, v1, s32 offset:280 ; 4-byte Folded Spill
	s_xor_b64 exec, exec, s[30:31]
	s_cbranch_execz .LBB284_251
; %bb.250:                              ;   in Loop: Header=BB284_9 Depth=1
	v_cmp_ne_u16_e32 vcc, 0, v4
	s_andn2_b64 s[28:29], s[28:29], exec
	s_and_b64 vcc, vcc, exec
	v_mov_b32_e32 v1, 0
	s_or_b64 s[28:29], s[28:29], vcc
	scratch_store_dword off, v1, s32 offset:280 ; 4-byte Folded Spill
.LBB284_251:                            ;   in Loop: Header=BB284_9 Depth=1
	s_or_b64 exec, exec, s[30:31]
	s_and_saveexec_b64 s[30:31], s[28:29]
	s_cbranch_execz .LBB284_253
; %bb.252:                              ;   in Loop: Header=BB284_9 Depth=1
	v_bfe_u32 v1, v8, 24, 3
	v_ffbh_u32_e32 v2, v1
	v_min_u32_e32 v7, 32, v2
	v_subrev_u32_e32 v2, 28, v7
	v_bfe_u32 v6, v8, 27, 4
	v_lshlrev_b64 v[2:3], v2, v[4:5]
	v_sub_u32_e32 v3, 29, v7
	v_cmp_eq_u32_e32 vcc, 0, v6
	v_and_b32_e32 v2, 7, v2
	s_nop 0
	v_cndmask_b32_e32 v3, v6, v3, vcc
	v_cndmask_b32_e32 v1, v1, v2, vcc
	v_lshlrev_b32_e32 v2, 8, v4
	v_lshl_add_u32 v3, v3, 10, v48
	v_and_or_b32 v2, v2, s37, v3
	v_lshl_or_b32 v1, v1, 7, v2
	v_cvt_f32_f16_e32 v1, v1
	scratch_store_dword off, v1, s32 offset:280 ; 4-byte Folded Spill
.LBB284_253:                            ;   in Loop: Header=BB284_9 Depth=1
	s_or_b64 exec, exec, s[30:31]
	flat_load_dword v8, v[30:31] offset:2056
	s_mov_b64 s[28:29], 0
                                        ; implicit-def: $sgpr34
	s_waitcnt vmcnt(0) lgkmcnt(0)
	v_cmp_gt_i16_sdwa vcc, v8, s17 src0_sel:BYTE_0 src1_sel:DWORD
	s_and_saveexec_b64 s[30:31], vcc
	s_xor_b64 vcc, exec, s[30:31]
	s_cbranch_execz .LBB284_257
; %bb.254:                              ;   in Loop: Header=BB284_9 Depth=1
	v_cmp_eq_u16_sdwa s[38:39], v8, s36 src0_sel:BYTE_0 src1_sel:DWORD
	s_mov_b64 s[28:29], -1
                                        ; implicit-def: $sgpr34
	s_and_saveexec_b64 s[30:31], s[38:39]
; %bb.255:                              ;   in Loop: Header=BB284_9 Depth=1
	s_mov_b32 s34, 0x7fc02000
	s_xor_b64 s[28:29], exec, -1
; %bb.256:                              ;   in Loop: Header=BB284_9 Depth=1
	s_or_b64 exec, exec, s[30:31]
	s_and_b64 s[28:29], s[28:29], exec
.LBB284_257:                            ;   in Loop: Header=BB284_9 Depth=1
	s_or_saveexec_b64 vcc, vcc
	v_mov_b32_e32 v1, s34
	scratch_store_dword off, v1, s32 offset:288 ; 4-byte Folded Spill
	s_xor_b64 exec, exec, vcc
	s_cbranch_execz .LBB284_259
; %bb.258:                              ;   in Loop: Header=BB284_9 Depth=1
	v_cmp_ne_u16_sdwa s[30:31], v8, v5 src0_sel:BYTE_0 src1_sel:DWORD
	s_andn2_b64 s[28:29], s[28:29], exec
	s_and_b64 s[30:31], s[30:31], exec
	v_mov_b32_e32 v1, 0
	s_or_b64 s[28:29], s[28:29], s[30:31]
	scratch_store_dword off, v1, s32 offset:288 ; 4-byte Folded Spill
.LBB284_259:                            ;   in Loop: Header=BB284_9 Depth=1
	s_or_b64 exec, exec, vcc
	s_and_saveexec_b64 s[30:31], s[28:29]
	s_cbranch_execz .LBB284_261
; %bb.260:                              ;   in Loop: Header=BB284_9 Depth=1
	v_and_b32_e32 v1, 7, v8
	v_ffbh_u32_e32 v2, v1
	v_min_u32_e32 v6, 32, v2
	v_subrev_u32_e32 v2, 28, v6
	v_bfe_u32 v4, v8, 3, 4
	v_lshlrev_b64 v[2:3], v2, v[8:9]
	v_sub_u32_e32 v3, 29, v6
	v_cmp_eq_u32_e32 vcc, 0, v4
	v_and_b32_e32 v2, 7, v2
	s_nop 0
	v_cndmask_b32_e32 v3, v4, v3, vcc
	v_cndmask_b32_e32 v1, v1, v2, vcc
	v_lshlrev_b32_e32 v2, 8, v8
	v_lshl_add_u32 v3, v3, 10, v48
	v_and_or_b32 v2, v2, s37, v3
	v_lshl_or_b32 v1, v1, 7, v2
	v_cvt_f32_f16_e32 v1, v1
	scratch_store_dword off, v1, s32 offset:288 ; 4-byte Folded Spill
.LBB284_261:                            ;   in Loop: Header=BB284_9 Depth=1
	s_or_b64 exec, exec, s[30:31]
	v_lshrrev_b16_e32 v4, 8, v8
	v_cmp_lt_i16_e32 vcc, s17, v4
	s_mov_b64 s[28:29], 0
                                        ; implicit-def: $sgpr38
	s_and_saveexec_b64 s[30:31], vcc
	s_xor_b64 s[30:31], exec, s[30:31]
	s_cbranch_execz .LBB284_265
; %bb.262:                              ;   in Loop: Header=BB284_9 Depth=1
	v_cmp_eq_u16_e32 vcc, s36, v4
	s_mov_b64 s[28:29], -1
                                        ; implicit-def: $sgpr38
	s_and_saveexec_b64 s[34:35], vcc
; %bb.263:                              ;   in Loop: Header=BB284_9 Depth=1
	s_mov_b32 s38, 0x7fc02000
	s_xor_b64 s[28:29], exec, -1
; %bb.264:                              ;   in Loop: Header=BB284_9 Depth=1
	s_or_b64 exec, exec, s[34:35]
	s_and_b64 s[28:29], s[28:29], exec
.LBB284_265:                            ;   in Loop: Header=BB284_9 Depth=1
	s_or_saveexec_b64 s[30:31], s[30:31]
	v_mov_b32_e32 v1, s38
	scratch_store_dword off, v1, s32 offset:300 ; 4-byte Folded Spill
	s_xor_b64 exec, exec, s[30:31]
	s_cbranch_execz .LBB284_267
; %bb.266:                              ;   in Loop: Header=BB284_9 Depth=1
	v_cmp_ne_u16_e32 vcc, 0, v4
	s_andn2_b64 s[28:29], s[28:29], exec
	s_and_b64 vcc, vcc, exec
	v_mov_b32_e32 v1, 0
	s_or_b64 s[28:29], s[28:29], vcc
	scratch_store_dword off, v1, s32 offset:300 ; 4-byte Folded Spill
.LBB284_267:                            ;   in Loop: Header=BB284_9 Depth=1
	s_or_b64 exec, exec, s[30:31]
	s_and_saveexec_b64 s[30:31], s[28:29]
	s_cbranch_execz .LBB284_269
; %bb.268:                              ;   in Loop: Header=BB284_9 Depth=1
	v_and_b32_e32 v1, 7, v4
	v_ffbh_u32_e32 v2, v1
	v_min_u32_e32 v7, 32, v2
	v_subrev_u32_e32 v2, 28, v7
	v_bfe_u32 v6, v4, 3, 4
	v_lshlrev_b64 v[2:3], v2, v[4:5]
	v_sub_u32_e32 v3, 29, v7
	v_cmp_eq_u32_e32 vcc, 0, v6
	v_and_b32_e32 v2, 7, v2
	s_nop 0
	v_cndmask_b32_e32 v3, v6, v3, vcc
	v_cndmask_b32_e32 v1, v1, v2, vcc
	v_lshlrev_b32_e32 v2, 8, v4
	v_lshl_add_u32 v3, v3, 10, v48
	v_and_or_b32 v2, v2, s37, v3
	v_lshl_or_b32 v1, v1, 7, v2
	v_cvt_f32_f16_e32 v1, v1
	scratch_store_dword off, v1, s32 offset:300 ; 4-byte Folded Spill
.LBB284_269:                            ;   in Loop: Header=BB284_9 Depth=1
	s_or_b64 exec, exec, s[30:31]
	v_lshrrev_b32_e32 v4, 16, v8
	v_cmp_gt_i16_sdwa vcc, v4, s17 src0_sel:BYTE_0 src1_sel:DWORD
	s_mov_b64 s[28:29], 0
                                        ; implicit-def: $sgpr34
	s_and_saveexec_b64 s[30:31], vcc
	s_xor_b64 vcc, exec, s[30:31]
	s_cbranch_execz .LBB284_273
; %bb.270:                              ;   in Loop: Header=BB284_9 Depth=1
	v_cmp_eq_u16_sdwa s[38:39], v4, s36 src0_sel:BYTE_0 src1_sel:DWORD
	s_mov_b64 s[28:29], -1
                                        ; implicit-def: $sgpr34
	s_and_saveexec_b64 s[30:31], s[38:39]
; %bb.271:                              ;   in Loop: Header=BB284_9 Depth=1
	s_mov_b32 s34, 0x7fc02000
	s_xor_b64 s[28:29], exec, -1
; %bb.272:                              ;   in Loop: Header=BB284_9 Depth=1
	s_or_b64 exec, exec, s[30:31]
	s_and_b64 s[28:29], s[28:29], exec
.LBB284_273:                            ;   in Loop: Header=BB284_9 Depth=1
	s_or_saveexec_b64 vcc, vcc
	v_mov_b32_e32 v1, s34
	scratch_store_dword off, v1, s32 offset:292 ; 4-byte Folded Spill
	s_xor_b64 exec, exec, vcc
	s_cbranch_execz .LBB284_275
; %bb.274:                              ;   in Loop: Header=BB284_9 Depth=1
	v_cmp_ne_u16_sdwa s[30:31], v4, v5 src0_sel:BYTE_0 src1_sel:DWORD
	s_andn2_b64 s[28:29], s[28:29], exec
	s_and_b64 s[30:31], s[30:31], exec
	v_mov_b32_e32 v1, 0
	s_or_b64 s[28:29], s[28:29], s[30:31]
	scratch_store_dword off, v1, s32 offset:292 ; 4-byte Folded Spill
.LBB284_275:                            ;   in Loop: Header=BB284_9 Depth=1
	s_or_b64 exec, exec, vcc
	s_and_saveexec_b64 s[30:31], s[28:29]
	s_cbranch_execz .LBB284_277
; %bb.276:                              ;   in Loop: Header=BB284_9 Depth=1
	v_bfe_u32 v1, v8, 16, 3
	v_ffbh_u32_e32 v2, v1
	v_min_u32_e32 v7, 32, v2
	v_subrev_u32_e32 v2, 28, v7
	v_bfe_u32 v6, v8, 19, 4
	v_lshlrev_b64 v[2:3], v2, v[4:5]
	v_sub_u32_e32 v3, 29, v7
	v_cmp_eq_u32_e32 vcc, 0, v6
	v_and_b32_e32 v2, 7, v2
	s_nop 0
	v_cndmask_b32_e32 v3, v6, v3, vcc
	v_cndmask_b32_e32 v1, v1, v2, vcc
	v_lshlrev_b32_e32 v2, 8, v4
	v_lshl_add_u32 v3, v3, 10, v48
	v_and_or_b32 v2, v2, s37, v3
	v_lshl_or_b32 v1, v1, 7, v2
	v_cvt_f32_f16_e32 v1, v1
	scratch_store_dword off, v1, s32 offset:292 ; 4-byte Folded Spill
.LBB284_277:                            ;   in Loop: Header=BB284_9 Depth=1
	s_or_b64 exec, exec, s[30:31]
	v_lshrrev_b32_e32 v4, 24, v8
	v_cmp_lt_i16_e32 vcc, s17, v4
	s_mov_b64 s[28:29], 0
                                        ; implicit-def: $sgpr38
	s_and_saveexec_b64 s[30:31], vcc
	s_xor_b64 s[30:31], exec, s[30:31]
	s_cbranch_execz .LBB284_281
; %bb.278:                              ;   in Loop: Header=BB284_9 Depth=1
	v_cmp_eq_u16_e32 vcc, s36, v4
	s_mov_b64 s[28:29], -1
                                        ; implicit-def: $sgpr38
	s_and_saveexec_b64 s[34:35], vcc
; %bb.279:                              ;   in Loop: Header=BB284_9 Depth=1
	s_mov_b32 s38, 0x7fc02000
	s_xor_b64 s[28:29], exec, -1
; %bb.280:                              ;   in Loop: Header=BB284_9 Depth=1
	s_or_b64 exec, exec, s[34:35]
	s_and_b64 s[28:29], s[28:29], exec
.LBB284_281:                            ;   in Loop: Header=BB284_9 Depth=1
	s_or_saveexec_b64 s[30:31], s[30:31]
	v_mov_b32_e32 v1, s38
	scratch_store_dword off, v1, s32 offset:296 ; 4-byte Folded Spill
	s_xor_b64 exec, exec, s[30:31]
	s_cbranch_execz .LBB284_283
; %bb.282:                              ;   in Loop: Header=BB284_9 Depth=1
	v_cmp_ne_u16_e32 vcc, 0, v4
	s_andn2_b64 s[28:29], s[28:29], exec
	s_and_b64 vcc, vcc, exec
	v_mov_b32_e32 v1, 0
	s_or_b64 s[28:29], s[28:29], vcc
	scratch_store_dword off, v1, s32 offset:296 ; 4-byte Folded Spill
.LBB284_283:                            ;   in Loop: Header=BB284_9 Depth=1
	s_or_b64 exec, exec, s[30:31]
	s_and_saveexec_b64 s[30:31], s[28:29]
	s_cbranch_execz .LBB284_285
; %bb.284:                              ;   in Loop: Header=BB284_9 Depth=1
	v_bfe_u32 v1, v8, 24, 3
	v_ffbh_u32_e32 v2, v1
	v_min_u32_e32 v7, 32, v2
	v_subrev_u32_e32 v2, 28, v7
	v_bfe_u32 v6, v8, 27, 4
	v_lshlrev_b64 v[2:3], v2, v[4:5]
	v_sub_u32_e32 v3, 29, v7
	v_cmp_eq_u32_e32 vcc, 0, v6
	v_and_b32_e32 v2, 7, v2
	s_nop 0
	v_cndmask_b32_e32 v3, v6, v3, vcc
	v_cndmask_b32_e32 v1, v1, v2, vcc
	v_lshlrev_b32_e32 v2, 8, v4
	v_lshl_add_u32 v3, v3, 10, v48
	v_and_or_b32 v2, v2, s37, v3
	v_lshl_or_b32 v1, v1, 7, v2
	v_cvt_f32_f16_e32 v1, v1
	scratch_store_dword off, v1, s32 offset:296 ; 4-byte Folded Spill
.LBB284_285:                            ;   in Loop: Header=BB284_9 Depth=1
	s_or_b64 exec, exec, s[30:31]
	flat_load_dword v8, v[30:31] offset:2560
	s_mov_b64 s[28:29], 0
                                        ; implicit-def: $sgpr34
	s_waitcnt vmcnt(0) lgkmcnt(0)
	v_cmp_gt_i16_sdwa vcc, v8, s17 src0_sel:BYTE_0 src1_sel:DWORD
	s_and_saveexec_b64 s[30:31], vcc
	s_xor_b64 vcc, exec, s[30:31]
	s_cbranch_execz .LBB284_289
; %bb.286:                              ;   in Loop: Header=BB284_9 Depth=1
	v_cmp_eq_u16_sdwa s[38:39], v8, s36 src0_sel:BYTE_0 src1_sel:DWORD
	s_mov_b64 s[28:29], -1
                                        ; implicit-def: $sgpr34
	s_and_saveexec_b64 s[30:31], s[38:39]
; %bb.287:                              ;   in Loop: Header=BB284_9 Depth=1
	s_mov_b32 s34, 0x7fc02000
	s_xor_b64 s[28:29], exec, -1
; %bb.288:                              ;   in Loop: Header=BB284_9 Depth=1
	s_or_b64 exec, exec, s[30:31]
	s_and_b64 s[28:29], s[28:29], exec
.LBB284_289:                            ;   in Loop: Header=BB284_9 Depth=1
	s_or_saveexec_b64 vcc, vcc
	v_mov_b32_e32 v1, s34
	scratch_store_dword off, v1, s32 offset:304 ; 4-byte Folded Spill
	s_xor_b64 exec, exec, vcc
	s_cbranch_execz .LBB284_291
; %bb.290:                              ;   in Loop: Header=BB284_9 Depth=1
	v_cmp_ne_u16_sdwa s[30:31], v8, v5 src0_sel:BYTE_0 src1_sel:DWORD
	s_andn2_b64 s[28:29], s[28:29], exec
	s_and_b64 s[30:31], s[30:31], exec
	v_mov_b32_e32 v1, 0
	s_or_b64 s[28:29], s[28:29], s[30:31]
	scratch_store_dword off, v1, s32 offset:304 ; 4-byte Folded Spill
.LBB284_291:                            ;   in Loop: Header=BB284_9 Depth=1
	s_or_b64 exec, exec, vcc
	s_and_saveexec_b64 s[30:31], s[28:29]
	s_cbranch_execz .LBB284_293
; %bb.292:                              ;   in Loop: Header=BB284_9 Depth=1
	v_and_b32_e32 v1, 7, v8
	v_ffbh_u32_e32 v2, v1
	v_min_u32_e32 v6, 32, v2
	v_subrev_u32_e32 v2, 28, v6
	v_bfe_u32 v4, v8, 3, 4
	v_lshlrev_b64 v[2:3], v2, v[8:9]
	v_sub_u32_e32 v3, 29, v6
	v_cmp_eq_u32_e32 vcc, 0, v4
	v_and_b32_e32 v2, 7, v2
	s_nop 0
	v_cndmask_b32_e32 v3, v4, v3, vcc
	v_cndmask_b32_e32 v1, v1, v2, vcc
	v_lshlrev_b32_e32 v2, 8, v8
	v_lshl_add_u32 v3, v3, 10, v48
	v_and_or_b32 v2, v2, s37, v3
	v_lshl_or_b32 v1, v1, 7, v2
	v_cvt_f32_f16_e32 v1, v1
	scratch_store_dword off, v1, s32 offset:304 ; 4-byte Folded Spill
.LBB284_293:                            ;   in Loop: Header=BB284_9 Depth=1
	s_or_b64 exec, exec, s[30:31]
	v_lshrrev_b16_e32 v4, 8, v8
	v_cmp_lt_i16_e32 vcc, s17, v4
	s_mov_b64 s[28:29], 0
                                        ; implicit-def: $sgpr38
	s_and_saveexec_b64 s[30:31], vcc
	s_xor_b64 s[30:31], exec, s[30:31]
	s_cbranch_execnz .LBB284_567
; %bb.294:                              ;   in Loop: Header=BB284_9 Depth=1
	s_or_saveexec_b64 s[30:31], s[30:31]
	v_mov_b32_e32 v62, s38
	s_xor_b64 exec, exec, s[30:31]
	s_cbranch_execnz .LBB284_570
.LBB284_295:                            ;   in Loop: Header=BB284_9 Depth=1
	s_or_b64 exec, exec, s[30:31]
	s_and_saveexec_b64 s[30:31], s[28:29]
	s_cbranch_execz .LBB284_297
.LBB284_296:                            ;   in Loop: Header=BB284_9 Depth=1
	v_and_b32_e32 v1, 7, v4
	v_ffbh_u32_e32 v2, v1
	v_min_u32_e32 v7, 32, v2
	v_subrev_u32_e32 v2, 28, v7
	v_bfe_u32 v6, v4, 3, 4
	v_lshlrev_b64 v[2:3], v2, v[4:5]
	v_sub_u32_e32 v3, 29, v7
	v_cmp_eq_u32_e32 vcc, 0, v6
	v_and_b32_e32 v2, 7, v2
	s_nop 0
	v_cndmask_b32_e32 v3, v6, v3, vcc
	v_cndmask_b32_e32 v1, v1, v2, vcc
	v_lshlrev_b32_e32 v2, 8, v4
	v_lshl_add_u32 v3, v3, 10, v48
	v_and_or_b32 v2, v2, s37, v3
	v_lshl_or_b32 v1, v1, 7, v2
	v_cvt_f32_f16_e32 v62, v1
.LBB284_297:                            ;   in Loop: Header=BB284_9 Depth=1
	s_or_b64 exec, exec, s[30:31]
	v_lshrrev_b32_e32 v4, 16, v8
	v_cmp_gt_i16_sdwa vcc, v4, s17 src0_sel:BYTE_0 src1_sel:DWORD
	s_mov_b64 s[28:29], 0
                                        ; implicit-def: $sgpr34
	s_and_saveexec_b64 s[30:31], vcc
	s_xor_b64 vcc, exec, s[30:31]
	s_cbranch_execz .LBB284_301
; %bb.298:                              ;   in Loop: Header=BB284_9 Depth=1
	v_cmp_eq_u16_sdwa s[38:39], v4, s36 src0_sel:BYTE_0 src1_sel:DWORD
	s_mov_b64 s[28:29], -1
                                        ; implicit-def: $sgpr34
	s_and_saveexec_b64 s[30:31], s[38:39]
; %bb.299:                              ;   in Loop: Header=BB284_9 Depth=1
	s_mov_b32 s34, 0x7fc02000
	s_xor_b64 s[28:29], exec, -1
; %bb.300:                              ;   in Loop: Header=BB284_9 Depth=1
	s_or_b64 exec, exec, s[30:31]
	s_and_b64 s[28:29], s[28:29], exec
.LBB284_301:                            ;   in Loop: Header=BB284_9 Depth=1
	s_or_saveexec_b64 vcc, vcc
	v_mov_b32_e32 v1, s34
	scratch_store_dword off, v1, s32 offset:308 ; 4-byte Folded Spill
	s_xor_b64 exec, exec, vcc
	s_cbranch_execz .LBB284_303
; %bb.302:                              ;   in Loop: Header=BB284_9 Depth=1
	v_cmp_ne_u16_sdwa s[30:31], v4, v5 src0_sel:BYTE_0 src1_sel:DWORD
	s_andn2_b64 s[28:29], s[28:29], exec
	s_and_b64 s[30:31], s[30:31], exec
	v_mov_b32_e32 v1, 0
	s_or_b64 s[28:29], s[28:29], s[30:31]
	scratch_store_dword off, v1, s32 offset:308 ; 4-byte Folded Spill
.LBB284_303:                            ;   in Loop: Header=BB284_9 Depth=1
	s_or_b64 exec, exec, vcc
	s_and_saveexec_b64 s[30:31], s[28:29]
	s_cbranch_execz .LBB284_305
; %bb.304:                              ;   in Loop: Header=BB284_9 Depth=1
	v_bfe_u32 v1, v8, 16, 3
	v_ffbh_u32_e32 v2, v1
	v_min_u32_e32 v7, 32, v2
	v_subrev_u32_e32 v2, 28, v7
	v_bfe_u32 v6, v8, 19, 4
	v_lshlrev_b64 v[2:3], v2, v[4:5]
	v_sub_u32_e32 v3, 29, v7
	v_cmp_eq_u32_e32 vcc, 0, v6
	v_and_b32_e32 v2, 7, v2
	s_nop 0
	v_cndmask_b32_e32 v3, v6, v3, vcc
	v_cndmask_b32_e32 v1, v1, v2, vcc
	v_lshlrev_b32_e32 v2, 8, v4
	v_lshl_add_u32 v3, v3, 10, v48
	v_and_or_b32 v2, v2, s37, v3
	v_lshl_or_b32 v1, v1, 7, v2
	v_cvt_f32_f16_e32 v1, v1
	scratch_store_dword off, v1, s32 offset:308 ; 4-byte Folded Spill
.LBB284_305:                            ;   in Loop: Header=BB284_9 Depth=1
	s_or_b64 exec, exec, s[30:31]
	v_lshrrev_b32_e32 v4, 24, v8
	v_cmp_lt_i16_e32 vcc, s17, v4
	s_mov_b64 s[28:29], 0
                                        ; implicit-def: $sgpr38
	s_and_saveexec_b64 s[30:31], vcc
	s_xor_b64 s[30:31], exec, s[30:31]
	s_cbranch_execz .LBB284_309
; %bb.306:                              ;   in Loop: Header=BB284_9 Depth=1
	v_cmp_eq_u16_e32 vcc, s36, v4
	s_mov_b64 s[28:29], -1
                                        ; implicit-def: $sgpr38
	s_and_saveexec_b64 s[34:35], vcc
; %bb.307:                              ;   in Loop: Header=BB284_9 Depth=1
	s_mov_b32 s38, 0x7fc02000
	s_xor_b64 s[28:29], exec, -1
; %bb.308:                              ;   in Loop: Header=BB284_9 Depth=1
	s_or_b64 exec, exec, s[34:35]
	s_and_b64 s[28:29], s[28:29], exec
.LBB284_309:                            ;   in Loop: Header=BB284_9 Depth=1
	s_or_saveexec_b64 s[30:31], s[30:31]
	v_mov_b32_e32 v1, s38
	scratch_store_dword off, v1, s32 offset:312 ; 4-byte Folded Spill
	s_xor_b64 exec, exec, s[30:31]
	s_cbranch_execz .LBB284_311
; %bb.310:                              ;   in Loop: Header=BB284_9 Depth=1
	v_cmp_ne_u16_e32 vcc, 0, v4
	s_andn2_b64 s[28:29], s[28:29], exec
	s_and_b64 vcc, vcc, exec
	v_mov_b32_e32 v1, 0
	s_or_b64 s[28:29], s[28:29], vcc
	scratch_store_dword off, v1, s32 offset:312 ; 4-byte Folded Spill
.LBB284_311:                            ;   in Loop: Header=BB284_9 Depth=1
	s_or_b64 exec, exec, s[30:31]
	s_and_saveexec_b64 s[30:31], s[28:29]
	s_cbranch_execz .LBB284_313
; %bb.312:                              ;   in Loop: Header=BB284_9 Depth=1
	v_bfe_u32 v1, v8, 24, 3
	v_ffbh_u32_e32 v2, v1
	v_min_u32_e32 v7, 32, v2
	v_subrev_u32_e32 v2, 28, v7
	v_bfe_u32 v6, v8, 27, 4
	v_lshlrev_b64 v[2:3], v2, v[4:5]
	v_sub_u32_e32 v3, 29, v7
	v_cmp_eq_u32_e32 vcc, 0, v6
	v_and_b32_e32 v2, 7, v2
	s_nop 0
	v_cndmask_b32_e32 v3, v6, v3, vcc
	v_cndmask_b32_e32 v1, v1, v2, vcc
	v_lshlrev_b32_e32 v2, 8, v4
	v_lshl_add_u32 v3, v3, 10, v48
	v_and_or_b32 v2, v2, s37, v3
	v_lshl_or_b32 v1, v1, 7, v2
	v_cvt_f32_f16_e32 v1, v1
	scratch_store_dword off, v1, s32 offset:312 ; 4-byte Folded Spill
.LBB284_313:                            ;   in Loop: Header=BB284_9 Depth=1
	s_or_b64 exec, exec, s[30:31]
	flat_load_dword v8, v[30:31] offset:2568
	s_mov_b64 s[28:29], 0
                                        ; implicit-def: $sgpr34
	s_waitcnt vmcnt(0) lgkmcnt(0)
	v_cmp_gt_i16_sdwa vcc, v8, s17 src0_sel:BYTE_0 src1_sel:DWORD
	s_and_saveexec_b64 s[30:31], vcc
	s_xor_b64 vcc, exec, s[30:31]
	s_cbranch_execnz .LBB284_571
; %bb.314:                              ;   in Loop: Header=BB284_9 Depth=1
	s_or_saveexec_b64 vcc, vcc
	v_mov_b32_e32 v1, s34
	s_xor_b64 exec, exec, vcc
	s_cbranch_execnz .LBB284_574
.LBB284_315:                            ;   in Loop: Header=BB284_9 Depth=1
	s_or_b64 exec, exec, vcc
	s_and_saveexec_b64 s[30:31], s[28:29]
	s_cbranch_execz .LBB284_317
.LBB284_316:                            ;   in Loop: Header=BB284_9 Depth=1
	v_and_b32_e32 v1, 7, v8
	v_ffbh_u32_e32 v2, v1
	v_min_u32_e32 v6, 32, v2
	v_subrev_u32_e32 v2, 28, v6
	v_bfe_u32 v4, v8, 3, 4
	v_lshlrev_b64 v[2:3], v2, v[8:9]
	v_sub_u32_e32 v3, 29, v6
	v_cmp_eq_u32_e32 vcc, 0, v4
	v_and_b32_e32 v2, 7, v2
	s_nop 0
	v_cndmask_b32_e32 v3, v4, v3, vcc
	v_cndmask_b32_e32 v1, v1, v2, vcc
	v_lshlrev_b32_e32 v2, 8, v8
	v_lshl_add_u32 v3, v3, 10, v48
	v_and_or_b32 v2, v2, s37, v3
	v_lshl_or_b32 v1, v1, 7, v2
	v_cvt_f32_f16_e32 v1, v1
.LBB284_317:                            ;   in Loop: Header=BB284_9 Depth=1
	s_or_b64 exec, exec, s[30:31]
	v_lshrrev_b16_e32 v4, 8, v8
	v_cmp_lt_i16_e32 vcc, s17, v4
	s_mov_b64 s[28:29], 0
                                        ; implicit-def: $sgpr38
	s_and_saveexec_b64 s[30:31], vcc
	s_xor_b64 s[30:31], exec, s[30:31]
	s_cbranch_execnz .LBB284_575
; %bb.318:                              ;   in Loop: Header=BB284_9 Depth=1
	s_or_saveexec_b64 s[30:31], s[30:31]
	v_mov_b32_e32 v47, s38
	s_xor_b64 exec, exec, s[30:31]
	s_cbranch_execnz .LBB284_578
.LBB284_319:                            ;   in Loop: Header=BB284_9 Depth=1
	s_or_b64 exec, exec, s[30:31]
	s_and_saveexec_b64 s[30:31], s[28:29]
	s_cbranch_execz .LBB284_321
.LBB284_320:                            ;   in Loop: Header=BB284_9 Depth=1
	v_and_b32_e32 v6, 7, v4
	v_ffbh_u32_e32 v2, v6
	v_min_u32_e32 v9, 32, v2
	v_subrev_u32_e32 v2, 28, v9
	v_bfe_u32 v7, v4, 3, 4
	v_lshlrev_b64 v[2:3], v2, v[4:5]
	v_sub_u32_e32 v3, 29, v9
	v_cmp_eq_u32_e32 vcc, 0, v7
	v_and_b32_e32 v2, 7, v2
	v_lshlrev_b32_e32 v4, 8, v4
	v_cndmask_b32_e32 v3, v7, v3, vcc
	v_lshl_add_u32 v3, v3, 10, v48
	v_cndmask_b32_e32 v2, v6, v2, vcc
	v_and_or_b32 v3, v4, s37, v3
	v_lshl_or_b32 v2, v2, 7, v3
	v_cvt_f32_f16_e32 v47, v2
.LBB284_321:                            ;   in Loop: Header=BB284_9 Depth=1
	s_or_b64 exec, exec, s[30:31]
	v_lshrrev_b32_e32 v4, 16, v8
	v_cmp_gt_i16_sdwa vcc, v4, s17 src0_sel:BYTE_0 src1_sel:DWORD
	s_mov_b64 s[28:29], 0
                                        ; implicit-def: $sgpr34
	s_and_saveexec_b64 s[30:31], vcc
	s_xor_b64 vcc, exec, s[30:31]
	s_cbranch_execnz .LBB284_579
; %bb.322:                              ;   in Loop: Header=BB284_9 Depth=1
	s_or_saveexec_b64 vcc, vcc
	v_mov_b32_e32 v51, s34
	s_xor_b64 exec, exec, vcc
	s_cbranch_execnz .LBB284_582
.LBB284_323:                            ;   in Loop: Header=BB284_9 Depth=1
	s_or_b64 exec, exec, vcc
	s_and_saveexec_b64 s[30:31], s[28:29]
	s_cbranch_execz .LBB284_325
.LBB284_324:                            ;   in Loop: Header=BB284_9 Depth=1
	v_bfe_u32 v6, v8, 16, 3
	v_ffbh_u32_e32 v2, v6
	v_min_u32_e32 v9, 32, v2
	v_subrev_u32_e32 v2, 28, v9
	v_bfe_u32 v7, v8, 19, 4
	v_lshlrev_b64 v[2:3], v2, v[4:5]
	v_sub_u32_e32 v3, 29, v9
	v_cmp_eq_u32_e32 vcc, 0, v7
	v_and_b32_e32 v2, 7, v2
	v_lshlrev_b32_e32 v4, 8, v4
	v_cndmask_b32_e32 v3, v7, v3, vcc
	v_lshl_add_u32 v3, v3, 10, v48
	v_cndmask_b32_e32 v2, v6, v2, vcc
	v_and_or_b32 v3, v4, s37, v3
	v_lshl_or_b32 v2, v2, 7, v3
	v_cvt_f32_f16_e32 v51, v2
.LBB284_325:                            ;   in Loop: Header=BB284_9 Depth=1
	s_or_b64 exec, exec, s[30:31]
	v_lshrrev_b32_e32 v4, 24, v8
	v_cmp_lt_i16_e32 vcc, s17, v4
	s_mov_b64 s[28:29], 0
                                        ; implicit-def: $sgpr38
	s_and_saveexec_b64 s[30:31], vcc
	s_xor_b64 s[30:31], exec, s[30:31]
	s_cbranch_execnz .LBB284_583
; %bb.326:                              ;   in Loop: Header=BB284_9 Depth=1
	s_or_saveexec_b64 s[30:31], s[30:31]
	v_mov_b32_e32 v52, s38
	s_xor_b64 exec, exec, s[30:31]
	s_cbranch_execnz .LBB284_586
.LBB284_327:                            ;   in Loop: Header=BB284_9 Depth=1
	s_or_b64 exec, exec, s[30:31]
	s_and_saveexec_b64 s[30:31], s[28:29]
	s_cbranch_execz .LBB284_329
.LBB284_328:                            ;   in Loop: Header=BB284_9 Depth=1
	v_bfe_u32 v6, v8, 24, 3
	v_ffbh_u32_e32 v2, v6
	v_bfe_u32 v7, v8, 27, 4
	v_min_u32_e32 v8, 32, v2
	v_subrev_u32_e32 v2, 28, v8
	v_lshlrev_b64 v[2:3], v2, v[4:5]
	v_sub_u32_e32 v3, 29, v8
	v_cmp_eq_u32_e32 vcc, 0, v7
	v_and_b32_e32 v2, 7, v2
	v_lshlrev_b32_e32 v4, 8, v4
	v_cndmask_b32_e32 v3, v7, v3, vcc
	v_lshl_add_u32 v3, v3, 10, v48
	v_cndmask_b32_e32 v2, v6, v2, vcc
	v_and_or_b32 v3, v4, s37, v3
	v_lshl_or_b32 v2, v2, 7, v3
	v_cvt_f32_f16_e32 v52, v2
.LBB284_329:                            ;   in Loop: Header=BB284_9 Depth=1
	s_or_b64 exec, exec, s[30:31]
	flat_load_dword v8, v[30:31] offset:3072
	s_mov_b64 s[28:29], 0
                                        ; implicit-def: $sgpr34
	s_waitcnt vmcnt(0) lgkmcnt(0)
	v_cmp_gt_i16_sdwa vcc, v8, s17 src0_sel:BYTE_0 src1_sel:DWORD
	s_and_saveexec_b64 s[30:31], vcc
	s_xor_b64 vcc, exec, s[30:31]
	s_cbranch_execnz .LBB284_587
; %bb.330:                              ;   in Loop: Header=BB284_9 Depth=1
	s_or_saveexec_b64 vcc, vcc
	v_mov_b32_e32 v17, s34
	s_xor_b64 exec, exec, vcc
	s_cbranch_execnz .LBB284_590
.LBB284_331:                            ;   in Loop: Header=BB284_9 Depth=1
	s_or_b64 exec, exec, vcc
	s_and_saveexec_b64 s[30:31], s[28:29]
	s_cbranch_execz .LBB284_333
.LBB284_332:                            ;   in Loop: Header=BB284_9 Depth=1
	v_and_b32_e32 v4, 7, v8
	v_ffbh_u32_e32 v2, v4
	v_min_u32_e32 v7, 32, v2
	v_subrev_u32_e32 v2, 28, v7
	v_bfe_u32 v6, v8, 3, 4
	v_lshlrev_b64 v[2:3], v2, v[8:9]
	v_sub_u32_e32 v3, 29, v7
	v_cmp_eq_u32_e32 vcc, 0, v6
	v_and_b32_e32 v2, 7, v2
	s_nop 0
	v_cndmask_b32_e32 v3, v6, v3, vcc
	v_cndmask_b32_e32 v2, v4, v2, vcc
	v_lshlrev_b32_e32 v4, 8, v8
	v_lshl_add_u32 v3, v3, 10, v48
	v_and_or_b32 v3, v4, s37, v3
	v_lshl_or_b32 v2, v2, 7, v3
	v_cvt_f32_f16_e32 v17, v2
.LBB284_333:                            ;   in Loop: Header=BB284_9 Depth=1
	s_or_b64 exec, exec, s[30:31]
	v_lshrrev_b16_e32 v4, 8, v8
	v_cmp_lt_i16_e32 vcc, s17, v4
	s_mov_b64 s[28:29], 0
                                        ; implicit-def: $sgpr38
	s_and_saveexec_b64 s[30:31], vcc
	s_xor_b64 s[30:31], exec, s[30:31]
	s_cbranch_execnz .LBB284_591
; %bb.334:                              ;   in Loop: Header=BB284_9 Depth=1
	s_or_saveexec_b64 s[30:31], s[30:31]
	v_mov_b32_e32 v10, s38
	s_xor_b64 exec, exec, s[30:31]
	s_cbranch_execnz .LBB284_594
.LBB284_335:                            ;   in Loop: Header=BB284_9 Depth=1
	s_or_b64 exec, exec, s[30:31]
	s_and_saveexec_b64 s[30:31], s[28:29]
	s_cbranch_execz .LBB284_337
.LBB284_336:                            ;   in Loop: Header=BB284_9 Depth=1
	v_and_b32_e32 v6, 7, v4
	v_ffbh_u32_e32 v2, v6
	v_min_u32_e32 v9, 32, v2
	v_subrev_u32_e32 v2, 28, v9
	v_bfe_u32 v7, v4, 3, 4
	v_lshlrev_b64 v[2:3], v2, v[4:5]
	v_sub_u32_e32 v3, 29, v9
	v_cmp_eq_u32_e32 vcc, 0, v7
	v_and_b32_e32 v2, 7, v2
	v_lshlrev_b32_e32 v4, 8, v4
	v_cndmask_b32_e32 v3, v7, v3, vcc
	v_lshl_add_u32 v3, v3, 10, v48
	v_cndmask_b32_e32 v2, v6, v2, vcc
	v_and_or_b32 v3, v4, s37, v3
	v_lshl_or_b32 v2, v2, 7, v3
	v_cvt_f32_f16_e32 v10, v2
.LBB284_337:                            ;   in Loop: Header=BB284_9 Depth=1
	s_or_b64 exec, exec, s[30:31]
	v_lshrrev_b32_e32 v4, 16, v8
	v_cmp_gt_i16_sdwa vcc, v4, s17 src0_sel:BYTE_0 src1_sel:DWORD
	s_mov_b64 s[28:29], 0
                                        ; implicit-def: $sgpr34
	s_and_saveexec_b64 s[30:31], vcc
	s_xor_b64 vcc, exec, s[30:31]
	s_cbranch_execnz .LBB284_595
; %bb.338:                              ;   in Loop: Header=BB284_9 Depth=1
	s_or_saveexec_b64 vcc, vcc
	v_mov_b32_e32 v53, s34
	s_xor_b64 exec, exec, vcc
	s_cbranch_execnz .LBB284_598
.LBB284_339:                            ;   in Loop: Header=BB284_9 Depth=1
	s_or_b64 exec, exec, vcc
	s_and_saveexec_b64 s[30:31], s[28:29]
	s_cbranch_execz .LBB284_341
.LBB284_340:                            ;   in Loop: Header=BB284_9 Depth=1
	v_bfe_u32 v6, v8, 16, 3
	v_ffbh_u32_e32 v2, v6
	v_min_u32_e32 v9, 32, v2
	v_subrev_u32_e32 v2, 28, v9
	v_bfe_u32 v7, v8, 19, 4
	v_lshlrev_b64 v[2:3], v2, v[4:5]
	v_sub_u32_e32 v3, 29, v9
	v_cmp_eq_u32_e32 vcc, 0, v7
	v_and_b32_e32 v2, 7, v2
	v_lshlrev_b32_e32 v4, 8, v4
	v_cndmask_b32_e32 v3, v7, v3, vcc
	v_lshl_add_u32 v3, v3, 10, v48
	v_cndmask_b32_e32 v2, v6, v2, vcc
	v_and_or_b32 v3, v4, s37, v3
	v_lshl_or_b32 v2, v2, 7, v3
	v_cvt_f32_f16_e32 v53, v2
.LBB284_341:                            ;   in Loop: Header=BB284_9 Depth=1
	s_or_b64 exec, exec, s[30:31]
	v_lshrrev_b32_e32 v4, 24, v8
	v_cmp_lt_i16_e32 vcc, s17, v4
	s_mov_b64 s[28:29], 0
                                        ; implicit-def: $sgpr38
	s_and_saveexec_b64 s[30:31], vcc
	s_xor_b64 s[30:31], exec, s[30:31]
	s_cbranch_execnz .LBB284_599
; %bb.342:                              ;   in Loop: Header=BB284_9 Depth=1
	s_or_saveexec_b64 s[30:31], s[30:31]
	v_mov_b32_e32 v11, s38
	s_xor_b64 exec, exec, s[30:31]
	s_cbranch_execnz .LBB284_602
.LBB284_343:                            ;   in Loop: Header=BB284_9 Depth=1
	s_or_b64 exec, exec, s[30:31]
	s_and_saveexec_b64 s[30:31], s[28:29]
	s_cbranch_execz .LBB284_345
.LBB284_344:                            ;   in Loop: Header=BB284_9 Depth=1
	v_bfe_u32 v6, v8, 24, 3
	v_ffbh_u32_e32 v2, v6
	v_bfe_u32 v7, v8, 27, 4
	v_min_u32_e32 v8, 32, v2
	v_subrev_u32_e32 v2, 28, v8
	v_lshlrev_b64 v[2:3], v2, v[4:5]
	v_sub_u32_e32 v3, 29, v8
	v_cmp_eq_u32_e32 vcc, 0, v7
	v_and_b32_e32 v2, 7, v2
	v_lshlrev_b32_e32 v4, 8, v4
	v_cndmask_b32_e32 v3, v7, v3, vcc
	v_lshl_add_u32 v3, v3, 10, v48
	v_cndmask_b32_e32 v2, v6, v2, vcc
	v_and_or_b32 v3, v4, s37, v3
	v_lshl_or_b32 v2, v2, 7, v3
	v_cvt_f32_f16_e32 v11, v2
.LBB284_345:                            ;   in Loop: Header=BB284_9 Depth=1
	s_or_b64 exec, exec, s[30:31]
	flat_load_dword v8, v[30:31] offset:3080
	s_mov_b64 s[28:29], 0
                                        ; implicit-def: $sgpr34
	s_waitcnt vmcnt(0) lgkmcnt(0)
	v_cmp_gt_i16_sdwa vcc, v8, s17 src0_sel:BYTE_0 src1_sel:DWORD
	s_and_saveexec_b64 s[30:31], vcc
	s_xor_b64 vcc, exec, s[30:31]
	s_cbranch_execnz .LBB284_603
; %bb.346:                              ;   in Loop: Header=BB284_9 Depth=1
	s_or_saveexec_b64 vcc, vcc
	v_mov_b32_e32 v49, s34
	s_xor_b64 exec, exec, vcc
	s_cbranch_execnz .LBB284_606
.LBB284_347:                            ;   in Loop: Header=BB284_9 Depth=1
	s_or_b64 exec, exec, vcc
	s_and_saveexec_b64 s[30:31], s[28:29]
	s_cbranch_execz .LBB284_349
.LBB284_348:                            ;   in Loop: Header=BB284_9 Depth=1
	v_and_b32_e32 v4, 7, v8
	v_ffbh_u32_e32 v2, v4
	v_min_u32_e32 v7, 32, v2
	v_subrev_u32_e32 v2, 28, v7
	v_bfe_u32 v6, v8, 3, 4
	v_lshlrev_b64 v[2:3], v2, v[8:9]
	v_sub_u32_e32 v3, 29, v7
	v_cmp_eq_u32_e32 vcc, 0, v6
	v_and_b32_e32 v2, 7, v2
	s_nop 0
	v_cndmask_b32_e32 v3, v6, v3, vcc
	v_cndmask_b32_e32 v2, v4, v2, vcc
	v_lshlrev_b32_e32 v4, 8, v8
	v_lshl_add_u32 v3, v3, 10, v48
	v_and_or_b32 v3, v4, s37, v3
	v_lshl_or_b32 v2, v2, 7, v3
	v_cvt_f32_f16_e32 v49, v2
.LBB284_349:                            ;   in Loop: Header=BB284_9 Depth=1
	s_or_b64 exec, exec, s[30:31]
	v_lshrrev_b16_e32 v4, 8, v8
	v_cmp_lt_i16_e32 vcc, s17, v4
	s_mov_b64 s[28:29], 0
                                        ; implicit-def: $sgpr38
	s_and_saveexec_b64 s[30:31], vcc
	s_xor_b64 s[30:31], exec, s[30:31]
	s_cbranch_execnz .LBB284_607
; %bb.350:                              ;   in Loop: Header=BB284_9 Depth=1
	s_or_saveexec_b64 s[30:31], s[30:31]
	v_mov_b32_e32 v40, s38
	s_xor_b64 exec, exec, s[30:31]
	s_cbranch_execnz .LBB284_610
.LBB284_351:                            ;   in Loop: Header=BB284_9 Depth=1
	s_or_b64 exec, exec, s[30:31]
	s_and_saveexec_b64 s[30:31], s[28:29]
	s_cbranch_execz .LBB284_353
.LBB284_352:                            ;   in Loop: Header=BB284_9 Depth=1
	v_and_b32_e32 v6, 7, v4
	v_ffbh_u32_e32 v2, v6
	v_min_u32_e32 v9, 32, v2
	v_subrev_u32_e32 v2, 28, v9
	v_bfe_u32 v7, v4, 3, 4
	v_lshlrev_b64 v[2:3], v2, v[4:5]
	v_sub_u32_e32 v3, 29, v9
	v_cmp_eq_u32_e32 vcc, 0, v7
	v_and_b32_e32 v2, 7, v2
	v_lshlrev_b32_e32 v4, 8, v4
	v_cndmask_b32_e32 v3, v7, v3, vcc
	v_lshl_add_u32 v3, v3, 10, v48
	v_cndmask_b32_e32 v2, v6, v2, vcc
	v_and_or_b32 v3, v4, s37, v3
	v_lshl_or_b32 v2, v2, 7, v3
	v_cvt_f32_f16_e32 v40, v2
.LBB284_353:                            ;   in Loop: Header=BB284_9 Depth=1
	s_or_b64 exec, exec, s[30:31]
	v_lshrrev_b32_e32 v4, 16, v8
	v_cmp_gt_i16_sdwa vcc, v4, s17 src0_sel:BYTE_0 src1_sel:DWORD
	s_mov_b64 s[28:29], 0
                                        ; implicit-def: $sgpr34
	s_and_saveexec_b64 s[30:31], vcc
	s_xor_b64 vcc, exec, s[30:31]
	s_cbranch_execnz .LBB284_611
; %bb.354:                              ;   in Loop: Header=BB284_9 Depth=1
	s_or_saveexec_b64 vcc, vcc
	v_mov_b32_e32 v54, s34
	s_xor_b64 exec, exec, vcc
	s_cbranch_execnz .LBB284_614
.LBB284_355:                            ;   in Loop: Header=BB284_9 Depth=1
	s_or_b64 exec, exec, vcc
	s_and_saveexec_b64 s[30:31], s[28:29]
	s_cbranch_execz .LBB284_357
.LBB284_356:                            ;   in Loop: Header=BB284_9 Depth=1
	v_bfe_u32 v6, v8, 16, 3
	v_ffbh_u32_e32 v2, v6
	v_min_u32_e32 v9, 32, v2
	v_subrev_u32_e32 v2, 28, v9
	v_bfe_u32 v7, v8, 19, 4
	v_lshlrev_b64 v[2:3], v2, v[4:5]
	v_sub_u32_e32 v3, 29, v9
	v_cmp_eq_u32_e32 vcc, 0, v7
	v_and_b32_e32 v2, 7, v2
	v_lshlrev_b32_e32 v4, 8, v4
	v_cndmask_b32_e32 v3, v7, v3, vcc
	v_lshl_add_u32 v3, v3, 10, v48
	v_cndmask_b32_e32 v2, v6, v2, vcc
	v_and_or_b32 v3, v4, s37, v3
	v_lshl_or_b32 v2, v2, 7, v3
	v_cvt_f32_f16_e32 v54, v2
.LBB284_357:                            ;   in Loop: Header=BB284_9 Depth=1
	s_or_b64 exec, exec, s[30:31]
	v_lshrrev_b32_e32 v4, 24, v8
	v_cmp_lt_i16_e32 vcc, s17, v4
	s_mov_b64 s[28:29], 0
                                        ; implicit-def: $sgpr38
	s_and_saveexec_b64 s[30:31], vcc
	s_xor_b64 s[30:31], exec, s[30:31]
	s_cbranch_execnz .LBB284_615
; %bb.358:                              ;   in Loop: Header=BB284_9 Depth=1
	s_or_saveexec_b64 s[30:31], s[30:31]
	v_mov_b32_e32 v56, s38
	s_xor_b64 exec, exec, s[30:31]
	s_cbranch_execnz .LBB284_618
.LBB284_359:                            ;   in Loop: Header=BB284_9 Depth=1
	s_or_b64 exec, exec, s[30:31]
	s_and_saveexec_b64 s[30:31], s[28:29]
	s_cbranch_execz .LBB284_361
.LBB284_360:                            ;   in Loop: Header=BB284_9 Depth=1
	v_bfe_u32 v6, v8, 24, 3
	v_ffbh_u32_e32 v2, v6
	v_bfe_u32 v7, v8, 27, 4
	v_min_u32_e32 v8, 32, v2
	v_subrev_u32_e32 v2, 28, v8
	v_lshlrev_b64 v[2:3], v2, v[4:5]
	v_sub_u32_e32 v3, 29, v8
	v_cmp_eq_u32_e32 vcc, 0, v7
	v_and_b32_e32 v2, 7, v2
	v_lshlrev_b32_e32 v4, 8, v4
	v_cndmask_b32_e32 v3, v7, v3, vcc
	v_lshl_add_u32 v3, v3, 10, v48
	v_cndmask_b32_e32 v2, v6, v2, vcc
	v_and_or_b32 v3, v4, s37, v3
	v_lshl_or_b32 v2, v2, 7, v3
	v_cvt_f32_f16_e32 v56, v2
.LBB284_361:                            ;   in Loop: Header=BB284_9 Depth=1
	s_or_b64 exec, exec, s[30:31]
	flat_load_dword v8, v[30:31] offset:3584
	s_mov_b64 s[28:29], 0
                                        ; implicit-def: $sgpr34
	s_waitcnt vmcnt(0) lgkmcnt(0)
	v_cmp_gt_i16_sdwa vcc, v8, s17 src0_sel:BYTE_0 src1_sel:DWORD
	s_and_saveexec_b64 s[30:31], vcc
	s_xor_b64 vcc, exec, s[30:31]
	s_cbranch_execnz .LBB284_619
; %bb.362:                              ;   in Loop: Header=BB284_9 Depth=1
	s_or_saveexec_b64 vcc, vcc
	v_mov_b32_e32 v38, s34
	s_xor_b64 exec, exec, vcc
	s_cbranch_execnz .LBB284_622
.LBB284_363:                            ;   in Loop: Header=BB284_9 Depth=1
	s_or_b64 exec, exec, vcc
	s_and_saveexec_b64 s[30:31], s[28:29]
	s_cbranch_execz .LBB284_365
.LBB284_364:                            ;   in Loop: Header=BB284_9 Depth=1
	v_and_b32_e32 v4, 7, v8
	v_ffbh_u32_e32 v2, v4
	v_min_u32_e32 v7, 32, v2
	v_subrev_u32_e32 v2, 28, v7
	v_bfe_u32 v6, v8, 3, 4
	v_lshlrev_b64 v[2:3], v2, v[8:9]
	v_sub_u32_e32 v3, 29, v7
	v_cmp_eq_u32_e32 vcc, 0, v6
	v_and_b32_e32 v2, 7, v2
	s_nop 0
	v_cndmask_b32_e32 v3, v6, v3, vcc
	v_cndmask_b32_e32 v2, v4, v2, vcc
	v_lshlrev_b32_e32 v4, 8, v8
	v_lshl_add_u32 v3, v3, 10, v48
	v_and_or_b32 v3, v4, s37, v3
	v_lshl_or_b32 v2, v2, 7, v3
	v_cvt_f32_f16_e32 v38, v2
.LBB284_365:                            ;   in Loop: Header=BB284_9 Depth=1
	s_or_b64 exec, exec, s[30:31]
	v_lshrrev_b16_e32 v4, 8, v8
	v_cmp_lt_i16_e32 vcc, s17, v4
	s_mov_b64 s[28:29], 0
                                        ; implicit-def: $sgpr38
	s_and_saveexec_b64 s[30:31], vcc
	s_xor_b64 s[30:31], exec, s[30:31]
	s_cbranch_execnz .LBB284_623
; %bb.366:                              ;   in Loop: Header=BB284_9 Depth=1
	s_or_saveexec_b64 s[30:31], s[30:31]
	v_mov_b32_e32 v39, s38
	s_xor_b64 exec, exec, s[30:31]
	s_cbranch_execnz .LBB284_626
.LBB284_367:                            ;   in Loop: Header=BB284_9 Depth=1
	s_or_b64 exec, exec, s[30:31]
	s_and_saveexec_b64 s[30:31], s[28:29]
	s_cbranch_execz .LBB284_369
.LBB284_368:                            ;   in Loop: Header=BB284_9 Depth=1
	v_and_b32_e32 v6, 7, v4
	v_ffbh_u32_e32 v2, v6
	v_min_u32_e32 v9, 32, v2
	v_subrev_u32_e32 v2, 28, v9
	v_bfe_u32 v7, v4, 3, 4
	v_lshlrev_b64 v[2:3], v2, v[4:5]
	v_sub_u32_e32 v3, 29, v9
	v_cmp_eq_u32_e32 vcc, 0, v7
	v_and_b32_e32 v2, 7, v2
	v_lshlrev_b32_e32 v4, 8, v4
	v_cndmask_b32_e32 v3, v7, v3, vcc
	v_lshl_add_u32 v3, v3, 10, v48
	v_cndmask_b32_e32 v2, v6, v2, vcc
	v_and_or_b32 v3, v4, s37, v3
	v_lshl_or_b32 v2, v2, 7, v3
	v_cvt_f32_f16_e32 v39, v2
.LBB284_369:                            ;   in Loop: Header=BB284_9 Depth=1
	s_or_b64 exec, exec, s[30:31]
	v_lshrrev_b32_e32 v4, 16, v8
	v_cmp_gt_i16_sdwa vcc, v4, s17 src0_sel:BYTE_0 src1_sel:DWORD
	s_mov_b64 s[28:29], 0
                                        ; implicit-def: $sgpr34
	s_and_saveexec_b64 s[30:31], vcc
	s_xor_b64 vcc, exec, s[30:31]
	s_cbranch_execnz .LBB284_627
; %bb.370:                              ;   in Loop: Header=BB284_9 Depth=1
	s_or_saveexec_b64 vcc, vcc
	v_mov_b32_e32 v29, s34
	s_xor_b64 exec, exec, vcc
	s_cbranch_execnz .LBB284_630
.LBB284_371:                            ;   in Loop: Header=BB284_9 Depth=1
	s_or_b64 exec, exec, vcc
	s_and_saveexec_b64 s[30:31], s[28:29]
	s_cbranch_execz .LBB284_373
.LBB284_372:                            ;   in Loop: Header=BB284_9 Depth=1
	v_bfe_u32 v6, v8, 16, 3
	v_ffbh_u32_e32 v2, v6
	v_min_u32_e32 v9, 32, v2
	v_subrev_u32_e32 v2, 28, v9
	v_bfe_u32 v7, v8, 19, 4
	v_lshlrev_b64 v[2:3], v2, v[4:5]
	v_sub_u32_e32 v3, 29, v9
	v_cmp_eq_u32_e32 vcc, 0, v7
	v_and_b32_e32 v2, 7, v2
	v_lshlrev_b32_e32 v4, 8, v4
	v_cndmask_b32_e32 v3, v7, v3, vcc
	v_lshl_add_u32 v3, v3, 10, v48
	v_cndmask_b32_e32 v2, v6, v2, vcc
	v_and_or_b32 v3, v4, s37, v3
	v_lshl_or_b32 v2, v2, 7, v3
	v_cvt_f32_f16_e32 v29, v2
.LBB284_373:                            ;   in Loop: Header=BB284_9 Depth=1
	s_or_b64 exec, exec, s[30:31]
	v_lshrrev_b32_e32 v4, 24, v8
	v_cmp_lt_i16_e32 vcc, s17, v4
	s_mov_b64 s[28:29], 0
                                        ; implicit-def: $sgpr38
	s_and_saveexec_b64 s[30:31], vcc
	s_xor_b64 s[30:31], exec, s[30:31]
	s_cbranch_execnz .LBB284_631
; %bb.374:                              ;   in Loop: Header=BB284_9 Depth=1
	s_or_saveexec_b64 s[30:31], s[30:31]
	v_mov_b32_e32 v41, s38
	s_xor_b64 exec, exec, s[30:31]
	s_cbranch_execnz .LBB284_634
.LBB284_375:                            ;   in Loop: Header=BB284_9 Depth=1
	s_or_b64 exec, exec, s[30:31]
	s_and_saveexec_b64 s[30:31], s[28:29]
	s_cbranch_execz .LBB284_377
.LBB284_376:                            ;   in Loop: Header=BB284_9 Depth=1
	v_bfe_u32 v6, v8, 24, 3
	v_ffbh_u32_e32 v2, v6
	v_bfe_u32 v7, v8, 27, 4
	v_min_u32_e32 v8, 32, v2
	v_subrev_u32_e32 v2, 28, v8
	v_lshlrev_b64 v[2:3], v2, v[4:5]
	v_sub_u32_e32 v3, 29, v8
	v_cmp_eq_u32_e32 vcc, 0, v7
	v_and_b32_e32 v2, 7, v2
	v_lshlrev_b32_e32 v4, 8, v4
	v_cndmask_b32_e32 v3, v7, v3, vcc
	v_lshl_add_u32 v3, v3, 10, v48
	v_cndmask_b32_e32 v2, v6, v2, vcc
	v_and_or_b32 v3, v4, s37, v3
	v_lshl_or_b32 v2, v2, 7, v3
	v_cvt_f32_f16_e32 v41, v2
.LBB284_377:                            ;   in Loop: Header=BB284_9 Depth=1
	s_or_b64 exec, exec, s[30:31]
	flat_load_dword v8, v[30:31] offset:3592
	s_mov_b64 s[28:29], 0
                                        ; implicit-def: $sgpr34
	s_waitcnt vmcnt(0) lgkmcnt(0)
	v_cmp_gt_i16_sdwa vcc, v8, s17 src0_sel:BYTE_0 src1_sel:DWORD
	s_and_saveexec_b64 s[30:31], vcc
	s_xor_b64 vcc, exec, s[30:31]
	s_cbranch_execnz .LBB284_635
; %bb.378:                              ;   in Loop: Header=BB284_9 Depth=1
	s_or_saveexec_b64 vcc, vcc
	v_mov_b32_e32 v19, s34
	s_xor_b64 exec, exec, vcc
	s_cbranch_execnz .LBB284_638
.LBB284_379:                            ;   in Loop: Header=BB284_9 Depth=1
	s_or_b64 exec, exec, vcc
	s_and_saveexec_b64 s[30:31], s[28:29]
	s_cbranch_execz .LBB284_381
.LBB284_380:                            ;   in Loop: Header=BB284_9 Depth=1
	v_and_b32_e32 v4, 7, v8
	v_ffbh_u32_e32 v2, v4
	v_min_u32_e32 v7, 32, v2
	v_subrev_u32_e32 v2, 28, v7
	v_bfe_u32 v6, v8, 3, 4
	v_lshlrev_b64 v[2:3], v2, v[8:9]
	v_sub_u32_e32 v3, 29, v7
	v_cmp_eq_u32_e32 vcc, 0, v6
	v_and_b32_e32 v2, 7, v2
	s_nop 0
	v_cndmask_b32_e32 v3, v6, v3, vcc
	v_cndmask_b32_e32 v2, v4, v2, vcc
	v_lshlrev_b32_e32 v4, 8, v8
	v_lshl_add_u32 v3, v3, 10, v48
	v_and_or_b32 v3, v4, s37, v3
	v_lshl_or_b32 v2, v2, 7, v3
	v_cvt_f32_f16_e32 v19, v2
.LBB284_381:                            ;   in Loop: Header=BB284_9 Depth=1
	s_or_b64 exec, exec, s[30:31]
	v_lshrrev_b16_e32 v4, 8, v8
	v_cmp_lt_i16_e32 vcc, s17, v4
	s_mov_b64 s[28:29], 0
                                        ; implicit-def: $sgpr38
	s_and_saveexec_b64 s[30:31], vcc
	s_xor_b64 s[30:31], exec, s[30:31]
	s_cbranch_execnz .LBB284_639
; %bb.382:                              ;   in Loop: Header=BB284_9 Depth=1
	s_or_saveexec_b64 s[30:31], s[30:31]
	v_mov_b32_e32 v15, s38
	s_xor_b64 exec, exec, s[30:31]
	s_cbranch_execnz .LBB284_642
.LBB284_383:                            ;   in Loop: Header=BB284_9 Depth=1
	s_or_b64 exec, exec, s[30:31]
	s_and_saveexec_b64 s[30:31], s[28:29]
	s_cbranch_execz .LBB284_385
.LBB284_384:                            ;   in Loop: Header=BB284_9 Depth=1
	v_and_b32_e32 v6, 7, v4
	v_ffbh_u32_e32 v2, v6
	v_min_u32_e32 v9, 32, v2
	v_subrev_u32_e32 v2, 28, v9
	v_bfe_u32 v7, v4, 3, 4
	v_lshlrev_b64 v[2:3], v2, v[4:5]
	v_sub_u32_e32 v3, 29, v9
	v_cmp_eq_u32_e32 vcc, 0, v7
	v_and_b32_e32 v2, 7, v2
	v_lshlrev_b32_e32 v4, 8, v4
	v_cndmask_b32_e32 v3, v7, v3, vcc
	v_lshl_add_u32 v3, v3, 10, v48
	v_cndmask_b32_e32 v2, v6, v2, vcc
	v_and_or_b32 v3, v4, s37, v3
	v_lshl_or_b32 v2, v2, 7, v3
	v_cvt_f32_f16_e32 v15, v2
.LBB284_385:                            ;   in Loop: Header=BB284_9 Depth=1
	s_or_b64 exec, exec, s[30:31]
	v_lshrrev_b32_e32 v4, 16, v8
	v_cmp_gt_i16_sdwa vcc, v4, s17 src0_sel:BYTE_0 src1_sel:DWORD
	s_mov_b64 s[28:29], 0
                                        ; implicit-def: $sgpr34
	s_and_saveexec_b64 s[30:31], vcc
	s_xor_b64 vcc, exec, s[30:31]
	s_cbranch_execnz .LBB284_643
; %bb.386:                              ;   in Loop: Header=BB284_9 Depth=1
	s_or_saveexec_b64 vcc, vcc
	v_mov_b32_e32 v37, s34
	s_xor_b64 exec, exec, vcc
	s_cbranch_execnz .LBB284_646
.LBB284_387:                            ;   in Loop: Header=BB284_9 Depth=1
	s_or_b64 exec, exec, vcc
	s_and_saveexec_b64 s[30:31], s[28:29]
	s_cbranch_execz .LBB284_389
.LBB284_388:                            ;   in Loop: Header=BB284_9 Depth=1
	v_bfe_u32 v6, v8, 16, 3
	v_ffbh_u32_e32 v2, v6
	v_min_u32_e32 v9, 32, v2
	v_subrev_u32_e32 v2, 28, v9
	v_bfe_u32 v7, v8, 19, 4
	v_lshlrev_b64 v[2:3], v2, v[4:5]
	v_sub_u32_e32 v3, 29, v9
	v_cmp_eq_u32_e32 vcc, 0, v7
	v_and_b32_e32 v2, 7, v2
	v_lshlrev_b32_e32 v4, 8, v4
	v_cndmask_b32_e32 v3, v7, v3, vcc
	v_lshl_add_u32 v3, v3, 10, v48
	v_cndmask_b32_e32 v2, v6, v2, vcc
	v_and_or_b32 v3, v4, s37, v3
	v_lshl_or_b32 v2, v2, 7, v3
	v_cvt_f32_f16_e32 v37, v2
.LBB284_389:                            ;   in Loop: Header=BB284_9 Depth=1
	s_or_b64 exec, exec, s[30:31]
	v_lshrrev_b32_e32 v4, 24, v8
	v_cmp_lt_i16_e32 vcc, s17, v4
	s_mov_b64 s[28:29], 0
                                        ; implicit-def: $sgpr38
	s_and_saveexec_b64 s[30:31], vcc
	s_xor_b64 s[30:31], exec, s[30:31]
	s_cbranch_execnz .LBB284_647
; %bb.390:                              ;   in Loop: Header=BB284_9 Depth=1
	s_or_saveexec_b64 s[30:31], s[30:31]
	v_mov_b32_e32 v42, s38
	s_xor_b64 exec, exec, s[30:31]
	s_cbranch_execnz .LBB284_650
.LBB284_391:                            ;   in Loop: Header=BB284_9 Depth=1
	s_or_b64 exec, exec, s[30:31]
	s_and_saveexec_b64 s[30:31], s[28:29]
	s_cbranch_execz .LBB284_393
.LBB284_392:                            ;   in Loop: Header=BB284_9 Depth=1
	v_bfe_u32 v6, v8, 24, 3
	v_ffbh_u32_e32 v2, v6
	v_bfe_u32 v7, v8, 27, 4
	v_min_u32_e32 v8, 32, v2
	v_subrev_u32_e32 v2, 28, v8
	v_lshlrev_b64 v[2:3], v2, v[4:5]
	v_sub_u32_e32 v3, 29, v8
	v_cmp_eq_u32_e32 vcc, 0, v7
	v_and_b32_e32 v2, 7, v2
	v_lshlrev_b32_e32 v4, 8, v4
	v_cndmask_b32_e32 v3, v7, v3, vcc
	v_lshl_add_u32 v3, v3, 10, v48
	v_cndmask_b32_e32 v2, v6, v2, vcc
	v_and_or_b32 v3, v4, s37, v3
	v_lshl_or_b32 v2, v2, 7, v3
	v_cvt_f32_f16_e32 v42, v2
.LBB284_393:                            ;   in Loop: Header=BB284_9 Depth=1
	s_or_b64 exec, exec, s[30:31]
	v_add_co_u32_e32 v2, vcc, 0x1000, v30
	s_mov_b64 s[28:29], 0
	s_nop 0
	v_addc_co_u32_e32 v3, vcc, 0, v31, vcc
	flat_load_dword v8, v[2:3]
                                        ; implicit-def: $sgpr34
	s_waitcnt vmcnt(0) lgkmcnt(0)
	v_cmp_gt_i16_sdwa vcc, v8, s17 src0_sel:BYTE_0 src1_sel:DWORD
	s_and_saveexec_b64 s[30:31], vcc
	s_xor_b64 vcc, exec, s[30:31]
	s_cbranch_execnz .LBB284_651
; %bb.394:                              ;   in Loop: Header=BB284_9 Depth=1
	s_or_saveexec_b64 vcc, vcc
	v_mov_b32_e32 v14, s34
	s_xor_b64 exec, exec, vcc
	s_cbranch_execnz .LBB284_654
.LBB284_395:                            ;   in Loop: Header=BB284_9 Depth=1
	s_or_b64 exec, exec, vcc
	s_and_saveexec_b64 s[30:31], s[28:29]
	s_cbranch_execz .LBB284_397
.LBB284_396:                            ;   in Loop: Header=BB284_9 Depth=1
	v_and_b32_e32 v4, 7, v8
	v_ffbh_u32_e32 v2, v4
	v_min_u32_e32 v7, 32, v2
	v_subrev_u32_e32 v2, 28, v7
	v_bfe_u32 v6, v8, 3, 4
	v_lshlrev_b64 v[2:3], v2, v[8:9]
	v_sub_u32_e32 v3, 29, v7
	v_cmp_eq_u32_e32 vcc, 0, v6
	v_and_b32_e32 v2, 7, v2
	s_nop 0
	v_cndmask_b32_e32 v3, v6, v3, vcc
	v_cndmask_b32_e32 v2, v4, v2, vcc
	v_lshlrev_b32_e32 v4, 8, v8
	v_lshl_add_u32 v3, v3, 10, v48
	v_and_or_b32 v3, v4, s37, v3
	v_lshl_or_b32 v2, v2, 7, v3
	v_cvt_f32_f16_e32 v14, v2
.LBB284_397:                            ;   in Loop: Header=BB284_9 Depth=1
	s_or_b64 exec, exec, s[30:31]
	v_lshrrev_b16_e32 v4, 8, v8
	v_lshl_add_u64 v[32:33], v[30:31], 0, s[20:21]
	v_cmp_lt_i16_e32 vcc, s17, v4
	s_mov_b64 s[28:29], 0
                                        ; implicit-def: $sgpr38
	s_and_saveexec_b64 s[30:31], vcc
	s_xor_b64 s[30:31], exec, s[30:31]
	s_cbranch_execnz .LBB284_655
; %bb.398:                              ;   in Loop: Header=BB284_9 Depth=1
	s_or_saveexec_b64 s[30:31], s[30:31]
	v_mov_b32_e32 v55, s38
	s_xor_b64 exec, exec, s[30:31]
	s_cbranch_execnz .LBB284_658
.LBB284_399:                            ;   in Loop: Header=BB284_9 Depth=1
	s_or_b64 exec, exec, s[30:31]
	s_and_saveexec_b64 s[30:31], s[28:29]
	s_cbranch_execz .LBB284_401
.LBB284_400:                            ;   in Loop: Header=BB284_9 Depth=1
	v_and_b32_e32 v6, 7, v4
	v_ffbh_u32_e32 v2, v6
	v_min_u32_e32 v9, 32, v2
	v_subrev_u32_e32 v2, 28, v9
	v_bfe_u32 v7, v4, 3, 4
	v_lshlrev_b64 v[2:3], v2, v[4:5]
	v_sub_u32_e32 v3, 29, v9
	v_cmp_eq_u32_e32 vcc, 0, v7
	v_and_b32_e32 v2, 7, v2
	v_lshlrev_b32_e32 v4, 8, v4
	v_cndmask_b32_e32 v3, v7, v3, vcc
	v_lshl_add_u32 v3, v3, 10, v48
	v_cndmask_b32_e32 v2, v6, v2, vcc
	v_and_or_b32 v3, v4, s37, v3
	v_lshl_or_b32 v2, v2, 7, v3
	v_cvt_f32_f16_e32 v55, v2
.LBB284_401:                            ;   in Loop: Header=BB284_9 Depth=1
	s_or_b64 exec, exec, s[30:31]
	v_lshrrev_b32_e32 v4, 16, v8
	v_cmp_gt_i16_sdwa vcc, v4, s17 src0_sel:BYTE_0 src1_sel:DWORD
	s_mov_b64 s[28:29], 0
                                        ; implicit-def: $sgpr34
	s_and_saveexec_b64 s[30:31], vcc
	s_xor_b64 vcc, exec, s[30:31]
	s_cbranch_execnz .LBB284_659
; %bb.402:                              ;   in Loop: Header=BB284_9 Depth=1
	s_or_saveexec_b64 vcc, vcc
	v_mov_b32_e32 v36, s34
	s_xor_b64 exec, exec, vcc
	s_cbranch_execnz .LBB284_662
.LBB284_403:                            ;   in Loop: Header=BB284_9 Depth=1
	s_or_b64 exec, exec, vcc
	s_and_saveexec_b64 s[30:31], s[28:29]
	s_cbranch_execz .LBB284_405
.LBB284_404:                            ;   in Loop: Header=BB284_9 Depth=1
	v_bfe_u32 v6, v8, 16, 3
	v_ffbh_u32_e32 v2, v6
	v_min_u32_e32 v9, 32, v2
	v_subrev_u32_e32 v2, 28, v9
	v_bfe_u32 v7, v8, 19, 4
	v_lshlrev_b64 v[2:3], v2, v[4:5]
	v_sub_u32_e32 v3, 29, v9
	v_cmp_eq_u32_e32 vcc, 0, v7
	v_and_b32_e32 v2, 7, v2
	v_lshlrev_b32_e32 v4, 8, v4
	v_cndmask_b32_e32 v3, v7, v3, vcc
	v_lshl_add_u32 v3, v3, 10, v48
	v_cndmask_b32_e32 v2, v6, v2, vcc
	v_and_or_b32 v3, v4, s37, v3
	v_lshl_or_b32 v2, v2, 7, v3
	v_cvt_f32_f16_e32 v36, v2
.LBB284_405:                            ;   in Loop: Header=BB284_9 Depth=1
	s_or_b64 exec, exec, s[30:31]
	v_lshrrev_b32_e32 v4, 24, v8
	v_cmp_lt_i16_e32 vcc, s17, v4
	s_mov_b64 s[28:29], 0
                                        ; implicit-def: $sgpr38
	s_and_saveexec_b64 s[30:31], vcc
	s_xor_b64 s[30:31], exec, s[30:31]
	s_cbranch_execnz .LBB284_663
; %bb.406:                              ;   in Loop: Header=BB284_9 Depth=1
	s_or_saveexec_b64 s[30:31], s[30:31]
	v_mov_b32_e32 v34, s38
	s_xor_b64 exec, exec, s[30:31]
	s_cbranch_execnz .LBB284_666
.LBB284_407:                            ;   in Loop: Header=BB284_9 Depth=1
	s_or_b64 exec, exec, s[30:31]
	s_and_saveexec_b64 s[30:31], s[28:29]
	s_cbranch_execz .LBB284_409
.LBB284_408:                            ;   in Loop: Header=BB284_9 Depth=1
	v_bfe_u32 v6, v8, 24, 3
	v_ffbh_u32_e32 v2, v6
	v_bfe_u32 v7, v8, 27, 4
	v_min_u32_e32 v8, 32, v2
	v_subrev_u32_e32 v2, 28, v8
	v_lshlrev_b64 v[2:3], v2, v[4:5]
	v_sub_u32_e32 v3, 29, v8
	v_cmp_eq_u32_e32 vcc, 0, v7
	v_and_b32_e32 v2, 7, v2
	v_lshlrev_b32_e32 v4, 8, v4
	v_cndmask_b32_e32 v3, v7, v3, vcc
	v_lshl_add_u32 v3, v3, 10, v48
	v_cndmask_b32_e32 v2, v6, v2, vcc
	v_and_or_b32 v3, v4, s37, v3
	v_lshl_or_b32 v2, v2, 7, v3
	v_cvt_f32_f16_e32 v34, v2
.LBB284_409:                            ;   in Loop: Header=BB284_9 Depth=1
	s_or_b64 exec, exec, s[30:31]
	flat_load_dword v8, v[32:33] offset:8
	s_mov_b64 s[28:29], 0
                                        ; implicit-def: $sgpr34
	s_waitcnt vmcnt(0) lgkmcnt(0)
	v_cmp_gt_i16_sdwa vcc, v8, s17 src0_sel:BYTE_0 src1_sel:DWORD
	s_and_saveexec_b64 s[30:31], vcc
	s_xor_b64 vcc, exec, s[30:31]
	s_cbranch_execnz .LBB284_667
; %bb.410:                              ;   in Loop: Header=BB284_9 Depth=1
	s_or_saveexec_b64 vcc, vcc
	v_mov_b32_e32 v2, s34
	s_xor_b64 exec, exec, vcc
	s_cbranch_execnz .LBB284_670
.LBB284_411:                            ;   in Loop: Header=BB284_9 Depth=1
	s_or_b64 exec, exec, vcc
	s_and_saveexec_b64 s[30:31], s[28:29]
	s_cbranch_execz .LBB284_413
.LBB284_412:                            ;   in Loop: Header=BB284_9 Depth=1
	v_and_b32_e32 v4, 7, v8
	v_ffbh_u32_e32 v2, v4
	v_min_u32_e32 v7, 32, v2
	v_subrev_u32_e32 v2, 28, v7
	v_bfe_u32 v6, v8, 3, 4
	v_lshlrev_b64 v[2:3], v2, v[8:9]
	v_sub_u32_e32 v3, 29, v7
	v_cmp_eq_u32_e32 vcc, 0, v6
	v_and_b32_e32 v2, 7, v2
	s_nop 0
	v_cndmask_b32_e32 v3, v6, v3, vcc
	v_cndmask_b32_e32 v2, v4, v2, vcc
	v_lshlrev_b32_e32 v4, 8, v8
	v_lshl_add_u32 v3, v3, 10, v48
	v_and_or_b32 v3, v4, s37, v3
	v_lshl_or_b32 v2, v2, 7, v3
	v_cvt_f32_f16_e32 v2, v2
.LBB284_413:                            ;   in Loop: Header=BB284_9 Depth=1
	s_or_b64 exec, exec, s[30:31]
	v_lshrrev_b16_e32 v4, 8, v8
	v_cmp_lt_i16_e32 vcc, s17, v4
	s_mov_b64 s[28:29], 0
                                        ; implicit-def: $sgpr38
	s_and_saveexec_b64 s[30:31], vcc
	s_xor_b64 s[30:31], exec, s[30:31]
	s_cbranch_execnz .LBB284_671
; %bb.414:                              ;   in Loop: Header=BB284_9 Depth=1
	s_or_saveexec_b64 s[30:31], s[30:31]
	v_mov_b32_e32 v3, s38
	s_xor_b64 exec, exec, s[30:31]
	s_cbranch_execnz .LBB284_674
.LBB284_415:                            ;   in Loop: Header=BB284_9 Depth=1
	s_or_b64 exec, exec, s[30:31]
	s_and_saveexec_b64 s[30:31], s[28:29]
	s_cbranch_execz .LBB284_417
.LBB284_416:                            ;   in Loop: Header=BB284_9 Depth=1
	v_and_b32_e32 v3, 7, v4
	v_ffbh_u32_e32 v6, v3
	v_min_u32_e32 v12, 32, v6
	v_subrev_u32_e32 v6, 28, v12
	v_bfe_u32 v9, v4, 3, 4
	v_lshlrev_b64 v[6:7], v6, v[4:5]
	v_sub_u32_e32 v7, 29, v12
	v_cmp_eq_u32_e32 vcc, 0, v9
	v_and_b32_e32 v6, 7, v6
	v_lshlrev_b32_e32 v4, 8, v4
	v_cndmask_b32_e32 v7, v9, v7, vcc
	v_cndmask_b32_e32 v3, v3, v6, vcc
	v_lshl_add_u32 v6, v7, 10, v48
	v_and_or_b32 v4, v4, s37, v6
	v_lshl_or_b32 v3, v3, 7, v4
	v_cvt_f32_f16_e32 v3, v3
.LBB284_417:                            ;   in Loop: Header=BB284_9 Depth=1
	s_or_b64 exec, exec, s[30:31]
	v_lshrrev_b32_e32 v4, 16, v8
	v_cmp_gt_i16_sdwa vcc, v4, s17 src0_sel:BYTE_0 src1_sel:DWORD
	s_mov_b64 s[28:29], 0
                                        ; implicit-def: $sgpr34
	s_and_saveexec_b64 s[30:31], vcc
	s_xor_b64 vcc, exec, s[30:31]
	s_cbranch_execnz .LBB284_675
; %bb.418:                              ;   in Loop: Header=BB284_9 Depth=1
	s_or_saveexec_b64 vcc, vcc
	v_mov_b32_e32 v24, s34
	s_xor_b64 exec, exec, vcc
	s_cbranch_execnz .LBB284_678
.LBB284_419:                            ;   in Loop: Header=BB284_9 Depth=1
	s_or_b64 exec, exec, vcc
	s_and_saveexec_b64 s[30:31], s[28:29]
	s_cbranch_execz .LBB284_421
.LBB284_420:                            ;   in Loop: Header=BB284_9 Depth=1
	v_bfe_u32 v9, v8, 16, 3
	v_ffbh_u32_e32 v6, v9
	v_min_u32_e32 v13, 32, v6
	v_subrev_u32_e32 v6, 28, v13
	v_bfe_u32 v12, v8, 19, 4
	v_lshlrev_b64 v[6:7], v6, v[4:5]
	v_sub_u32_e32 v7, 29, v13
	v_cmp_eq_u32_e32 vcc, 0, v12
	v_and_b32_e32 v6, 7, v6
	v_lshlrev_b32_e32 v4, 8, v4
	v_cndmask_b32_e32 v7, v12, v7, vcc
	v_lshl_add_u32 v7, v7, 10, v48
	v_cndmask_b32_e32 v6, v9, v6, vcc
	v_and_or_b32 v4, v4, s37, v7
	v_lshl_or_b32 v4, v6, 7, v4
	v_cvt_f32_f16_e32 v24, v4
.LBB284_421:                            ;   in Loop: Header=BB284_9 Depth=1
	s_or_b64 exec, exec, s[30:31]
	v_lshrrev_b32_e32 v4, 24, v8
	v_cmp_lt_i16_e32 vcc, s17, v4
	s_mov_b64 s[28:29], 0
                                        ; implicit-def: $sgpr38
	s_and_saveexec_b64 s[30:31], vcc
	s_xor_b64 s[30:31], exec, s[30:31]
	s_cbranch_execnz .LBB284_679
; %bb.422:                              ;   in Loop: Header=BB284_9 Depth=1
	s_or_saveexec_b64 s[30:31], s[30:31]
	v_mov_b32_e32 v16, s38
	s_xor_b64 exec, exec, s[30:31]
	s_cbranch_execnz .LBB284_682
.LBB284_423:                            ;   in Loop: Header=BB284_9 Depth=1
	s_or_b64 exec, exec, s[30:31]
	s_and_saveexec_b64 s[30:31], s[28:29]
	s_cbranch_execz .LBB284_425
.LBB284_424:                            ;   in Loop: Header=BB284_9 Depth=1
	v_bfe_u32 v9, v8, 24, 3
	v_ffbh_u32_e32 v6, v9
	v_min_u32_e32 v12, 32, v6
	v_subrev_u32_e32 v6, 28, v12
	v_bfe_u32 v8, v8, 27, 4
	v_lshlrev_b64 v[6:7], v6, v[4:5]
	v_sub_u32_e32 v7, 29, v12
	v_cmp_eq_u32_e32 vcc, 0, v8
	v_and_b32_e32 v6, 7, v6
	v_lshlrev_b32_e32 v4, 8, v4
	v_cndmask_b32_e32 v7, v8, v7, vcc
	v_lshl_add_u32 v7, v7, 10, v48
	v_cndmask_b32_e32 v6, v9, v6, vcc
	v_and_or_b32 v4, v4, s37, v7
	v_lshl_or_b32 v4, v6, 7, v4
	v_cvt_f32_f16_e32 v16, v4
.LBB284_425:                            ;   in Loop: Header=BB284_9 Depth=1
	s_or_b64 exec, exec, s[30:31]
	v_add_co_u32_e32 v6, vcc, 0x1000, v30
	s_mov_b64 s[28:29], 0
	s_nop 0
	v_addc_co_u32_e32 v7, vcc, 0, v31, vcc
	flat_load_dword v8, v[6:7] offset:512
                                        ; implicit-def: $sgpr34
	s_waitcnt vmcnt(0) lgkmcnt(0)
	v_cmp_gt_i16_sdwa vcc, v8, s17 src0_sel:BYTE_0 src1_sel:DWORD
	s_and_saveexec_b64 s[30:31], vcc
	s_xor_b64 vcc, exec, s[30:31]
	s_cbranch_execnz .LBB284_683
; %bb.426:                              ;   in Loop: Header=BB284_9 Depth=1
	s_or_saveexec_b64 vcc, vcc
	v_mov_b32_e32 v35, s34
	s_xor_b64 exec, exec, vcc
	s_cbranch_execnz .LBB284_686
.LBB284_427:                            ;   in Loop: Header=BB284_9 Depth=1
	s_or_b64 exec, exec, vcc
	s_and_saveexec_b64 s[30:31], s[28:29]
	s_cbranch_execz .LBB284_429
.LBB284_428:                            ;   in Loop: Header=BB284_9 Depth=1
	v_and_b32_e32 v4, 7, v8
	v_ffbh_u32_e32 v6, v4
	v_min_u32_e32 v12, 32, v6
	v_bfe_u32 v9, v8, 3, 4
	v_subrev_u32_e32 v6, 28, v12
	v_lshlrev_b64 v[6:7], v6, v[8:9]
	v_sub_u32_e32 v7, 29, v12
	v_cmp_eq_u32_e32 vcc, 0, v9
	v_and_b32_e32 v6, 7, v6
	s_nop 0
	v_cndmask_b32_e32 v7, v9, v7, vcc
	v_cndmask_b32_e32 v4, v4, v6, vcc
	v_lshlrev_b32_e32 v6, 8, v8
	v_lshl_add_u32 v7, v7, 10, v48
	v_and_or_b32 v6, v6, s37, v7
	v_lshl_or_b32 v4, v4, 7, v6
	v_cvt_f32_f16_e32 v35, v4
.LBB284_429:                            ;   in Loop: Header=BB284_9 Depth=1
	s_or_b64 exec, exec, s[30:31]
	v_lshrrev_b16_e32 v4, 8, v8
	v_lshl_add_u64 v[32:33], v[30:31], 0, s[22:23]
	v_cmp_lt_i16_e32 vcc, s17, v4
	s_mov_b64 s[28:29], 0
                                        ; implicit-def: $sgpr38
	s_and_saveexec_b64 s[30:31], vcc
	s_xor_b64 s[30:31], exec, s[30:31]
	s_cbranch_execnz .LBB284_687
; %bb.430:                              ;   in Loop: Header=BB284_9 Depth=1
	s_or_saveexec_b64 s[30:31], s[30:31]
	v_mov_b32_e32 v6, s38
	s_xor_b64 exec, exec, s[30:31]
	s_cbranch_execnz .LBB284_690
.LBB284_431:                            ;   in Loop: Header=BB284_9 Depth=1
	s_or_b64 exec, exec, s[30:31]
	s_and_saveexec_b64 s[30:31], s[28:29]
	s_cbranch_execz .LBB284_433
.LBB284_432:                            ;   in Loop: Header=BB284_9 Depth=1
	v_and_b32_e32 v9, 7, v4
	v_ffbh_u32_e32 v6, v9
	v_min_u32_e32 v13, 32, v6
	v_subrev_u32_e32 v6, 28, v13
	v_bfe_u32 v12, v4, 3, 4
	v_lshlrev_b64 v[6:7], v6, v[4:5]
	v_sub_u32_e32 v7, 29, v13
	v_cmp_eq_u32_e32 vcc, 0, v12
	v_and_b32_e32 v6, 7, v6
	v_lshlrev_b32_e32 v4, 8, v4
	v_cndmask_b32_e32 v7, v12, v7, vcc
	v_lshl_add_u32 v7, v7, 10, v48
	v_cndmask_b32_e32 v6, v9, v6, vcc
	v_and_or_b32 v4, v4, s37, v7
	v_lshl_or_b32 v4, v6, 7, v4
	v_cvt_f32_f16_e32 v6, v4
.LBB284_433:                            ;   in Loop: Header=BB284_9 Depth=1
	s_or_b64 exec, exec, s[30:31]
	v_lshrrev_b32_e32 v4, 16, v8
	v_cmp_gt_i16_sdwa vcc, v4, s17 src0_sel:BYTE_0 src1_sel:DWORD
	s_mov_b64 s[28:29], 0
                                        ; implicit-def: $sgpr34
	s_and_saveexec_b64 s[30:31], vcc
	s_xor_b64 vcc, exec, s[30:31]
	s_cbranch_execnz .LBB284_691
; %bb.434:                              ;   in Loop: Header=BB284_9 Depth=1
	s_or_saveexec_b64 vcc, vcc
	v_mov_b32_e32 v7, s34
	s_xor_b64 exec, exec, vcc
	s_cbranch_execnz .LBB284_694
.LBB284_435:                            ;   in Loop: Header=BB284_9 Depth=1
	s_or_b64 exec, exec, vcc
	s_and_saveexec_b64 s[30:31], s[28:29]
	s_cbranch_execz .LBB284_437
.LBB284_436:                            ;   in Loop: Header=BB284_9 Depth=1
	v_bfe_u32 v7, v8, 16, 3
	v_ffbh_u32_e32 v12, v7
	v_min_u32_e32 v18, 32, v12
	v_subrev_u32_e32 v12, 28, v18
	v_bfe_u32 v9, v8, 19, 4
	v_lshlrev_b64 v[12:13], v12, v[4:5]
	v_sub_u32_e32 v13, 29, v18
	v_cmp_eq_u32_e32 vcc, 0, v9
	v_and_b32_e32 v12, 7, v12
	v_lshlrev_b32_e32 v4, 8, v4
	v_cndmask_b32_e32 v9, v9, v13, vcc
	v_lshl_add_u32 v9, v9, 10, v48
	v_cndmask_b32_e32 v7, v7, v12, vcc
	v_and_or_b32 v4, v4, s37, v9
	v_lshl_or_b32 v4, v7, 7, v4
	v_cvt_f32_f16_e32 v7, v4
.LBB284_437:                            ;   in Loop: Header=BB284_9 Depth=1
	s_or_b64 exec, exec, s[30:31]
	v_lshrrev_b32_e32 v4, 24, v8
	v_cmp_lt_i16_e32 vcc, s17, v4
	s_mov_b64 s[28:29], 0
                                        ; implicit-def: $sgpr38
	s_and_saveexec_b64 s[30:31], vcc
	s_xor_b64 s[30:31], exec, s[30:31]
	s_cbranch_execnz .LBB284_695
; %bb.438:                              ;   in Loop: Header=BB284_9 Depth=1
	s_or_saveexec_b64 s[30:31], s[30:31]
	v_mov_b32_e32 v45, s38
	s_xor_b64 exec, exec, s[30:31]
	s_cbranch_execnz .LBB284_698
.LBB284_439:                            ;   in Loop: Header=BB284_9 Depth=1
	s_or_b64 exec, exec, s[30:31]
	s_and_saveexec_b64 s[30:31], s[28:29]
	s_cbranch_execz .LBB284_441
.LBB284_440:                            ;   in Loop: Header=BB284_9 Depth=1
	v_bfe_u32 v12, v8, 24, 3
	v_bfe_u32 v13, v8, 27, 4
	v_ffbh_u32_e32 v8, v12
	v_min_u32_e32 v18, 32, v8
	v_subrev_u32_e32 v8, 28, v18
	v_lshlrev_b64 v[8:9], v8, v[4:5]
	v_sub_u32_e32 v9, 29, v18
	v_cmp_eq_u32_e32 vcc, 0, v13
	v_and_b32_e32 v8, 7, v8
	v_lshlrev_b32_e32 v4, 8, v4
	v_cndmask_b32_e32 v9, v13, v9, vcc
	v_lshl_add_u32 v9, v9, 10, v48
	v_cndmask_b32_e32 v8, v12, v8, vcc
	v_and_or_b32 v4, v4, s37, v9
	v_lshl_or_b32 v4, v8, 7, v4
	v_cvt_f32_f16_e32 v45, v4
.LBB284_441:                            ;   in Loop: Header=BB284_9 Depth=1
	s_or_b64 exec, exec, s[30:31]
	flat_load_dword v8, v[32:33] offset:8
	s_mov_b64 s[28:29], 0
                                        ; implicit-def: $sgpr34
	s_waitcnt vmcnt(0) lgkmcnt(0)
	v_cmp_gt_i16_sdwa vcc, v8, s17 src0_sel:BYTE_0 src1_sel:DWORD
	s_and_saveexec_b64 s[30:31], vcc
	s_xor_b64 vcc, exec, s[30:31]
	s_cbranch_execnz .LBB284_699
; %bb.442:                              ;   in Loop: Header=BB284_9 Depth=1
	s_or_saveexec_b64 vcc, vcc
	v_mov_b32_e32 v43, s34
	s_xor_b64 exec, exec, vcc
	s_cbranch_execnz .LBB284_702
.LBB284_443:                            ;   in Loop: Header=BB284_9 Depth=1
	s_or_b64 exec, exec, vcc
	s_and_saveexec_b64 s[30:31], s[28:29]
	s_cbranch_execz .LBB284_445
.LBB284_444:                            ;   in Loop: Header=BB284_9 Depth=1
	v_and_b32_e32 v4, 7, v8
	v_ffbh_u32_e32 v12, v4
	v_min_u32_e32 v18, 32, v12
	v_bfe_u32 v9, v8, 3, 4
	v_subrev_u32_e32 v12, 28, v18
	v_lshlrev_b64 v[12:13], v12, v[8:9]
	v_sub_u32_e32 v13, 29, v18
	v_cmp_eq_u32_e32 vcc, 0, v9
	v_and_b32_e32 v12, 7, v12
	s_nop 0
	v_cndmask_b32_e32 v9, v9, v13, vcc
	v_cndmask_b32_e32 v4, v4, v12, vcc
	v_lshlrev_b32_e32 v12, 8, v8
	v_lshl_add_u32 v9, v9, 10, v48
	v_and_or_b32 v9, v12, s37, v9
	v_lshl_or_b32 v4, v4, 7, v9
	v_cvt_f32_f16_e32 v43, v4
.LBB284_445:                            ;   in Loop: Header=BB284_9 Depth=1
	s_or_b64 exec, exec, s[30:31]
	v_lshrrev_b16_e32 v4, 8, v8
	v_cmp_lt_i16_e32 vcc, s17, v4
	s_mov_b64 s[28:29], 0
                                        ; implicit-def: $sgpr38
	s_and_saveexec_b64 s[30:31], vcc
	s_xor_b64 s[30:31], exec, s[30:31]
	s_cbranch_execnz .LBB284_703
; %bb.446:                              ;   in Loop: Header=BB284_9 Depth=1
	s_or_saveexec_b64 s[30:31], s[30:31]
	v_mov_b32_e32 v57, s38
	s_xor_b64 exec, exec, s[30:31]
	s_cbranch_execnz .LBB284_706
.LBB284_447:                            ;   in Loop: Header=BB284_9 Depth=1
	s_or_b64 exec, exec, s[30:31]
	s_and_saveexec_b64 s[30:31], s[28:29]
	s_cbranch_execz .LBB284_449
.LBB284_448:                            ;   in Loop: Header=BB284_9 Depth=1
	v_and_b32_e32 v9, 7, v4
	v_ffbh_u32_e32 v12, v9
	v_min_u32_e32 v20, 32, v12
	v_subrev_u32_e32 v12, 28, v20
	v_bfe_u32 v18, v4, 3, 4
	v_lshlrev_b64 v[12:13], v12, v[4:5]
	v_sub_u32_e32 v13, 29, v20
	v_cmp_eq_u32_e32 vcc, 0, v18
	v_and_b32_e32 v12, 7, v12
	v_lshlrev_b32_e32 v4, 8, v4
	v_cndmask_b32_e32 v13, v18, v13, vcc
	v_cndmask_b32_e32 v9, v9, v12, vcc
	v_lshl_add_u32 v12, v13, 10, v48
	v_and_or_b32 v4, v4, s37, v12
	v_lshl_or_b32 v4, v9, 7, v4
	v_cvt_f32_f16_e32 v57, v4
.LBB284_449:                            ;   in Loop: Header=BB284_9 Depth=1
	s_or_b64 exec, exec, s[30:31]
	v_lshrrev_b32_e32 v4, 16, v8
	v_cmp_gt_i16_sdwa vcc, v4, s17 src0_sel:BYTE_0 src1_sel:DWORD
	s_mov_b64 s[28:29], 0
                                        ; implicit-def: $sgpr34
	s_and_saveexec_b64 s[30:31], vcc
	s_xor_b64 vcc, exec, s[30:31]
	s_cbranch_execnz .LBB284_707
; %bb.450:                              ;   in Loop: Header=BB284_9 Depth=1
	s_or_saveexec_b64 vcc, vcc
	v_mov_b32_e32 v58, s34
	s_xor_b64 exec, exec, vcc
	s_cbranch_execnz .LBB284_710
.LBB284_451:                            ;   in Loop: Header=BB284_9 Depth=1
	s_or_b64 exec, exec, vcc
	s_and_saveexec_b64 s[30:31], s[28:29]
	s_cbranch_execz .LBB284_453
.LBB284_452:                            ;   in Loop: Header=BB284_9 Depth=1
	v_bfe_u32 v9, v8, 16, 3
	v_ffbh_u32_e32 v12, v9
	v_min_u32_e32 v20, 32, v12
	v_subrev_u32_e32 v12, 28, v20
	v_bfe_u32 v18, v8, 19, 4
	v_lshlrev_b64 v[12:13], v12, v[4:5]
	v_sub_u32_e32 v13, 29, v20
	v_cmp_eq_u32_e32 vcc, 0, v18
	v_and_b32_e32 v12, 7, v12
	v_lshlrev_b32_e32 v4, 8, v4
	v_cndmask_b32_e32 v13, v18, v13, vcc
	v_cndmask_b32_e32 v9, v9, v12, vcc
	v_lshl_add_u32 v12, v13, 10, v48
	v_and_or_b32 v4, v4, s37, v12
	v_lshl_or_b32 v4, v9, 7, v4
	v_cvt_f32_f16_e32 v58, v4
.LBB284_453:                            ;   in Loop: Header=BB284_9 Depth=1
	s_or_b64 exec, exec, s[30:31]
	v_lshrrev_b32_e32 v4, 24, v8
	v_cmp_lt_i16_e32 vcc, s17, v4
	s_mov_b64 s[28:29], 0
                                        ; implicit-def: $sgpr38
	s_and_saveexec_b64 s[30:31], vcc
	s_xor_b64 s[30:31], exec, s[30:31]
	s_cbranch_execnz .LBB284_711
; %bb.454:                              ;   in Loop: Header=BB284_9 Depth=1
	s_or_saveexec_b64 s[30:31], s[30:31]
	v_mov_b32_e32 v20, s38
	s_xor_b64 exec, exec, s[30:31]
	s_cbranch_execnz .LBB284_714
.LBB284_455:                            ;   in Loop: Header=BB284_9 Depth=1
	s_or_b64 exec, exec, s[30:31]
	s_and_saveexec_b64 s[30:31], s[28:29]
	s_cbranch_execz .LBB284_457
.LBB284_456:                            ;   in Loop: Header=BB284_9 Depth=1
	v_bfe_u32 v12, v8, 24, 3
	v_bfe_u32 v13, v8, 27, 4
	v_ffbh_u32_e32 v8, v12
	v_min_u32_e32 v18, 32, v8
	v_subrev_u32_e32 v8, 28, v18
	v_lshlrev_b64 v[8:9], v8, v[4:5]
	v_sub_u32_e32 v9, 29, v18
	v_cmp_eq_u32_e32 vcc, 0, v13
	v_and_b32_e32 v8, 7, v8
	v_lshlrev_b32_e32 v4, 8, v4
	v_cndmask_b32_e32 v9, v13, v9, vcc
	v_lshl_add_u32 v9, v9, 10, v48
	v_cndmask_b32_e32 v8, v12, v8, vcc
	v_and_or_b32 v4, v4, s37, v9
	v_lshl_or_b32 v4, v8, 7, v4
	v_cvt_f32_f16_e32 v20, v4
.LBB284_457:                            ;   in Loop: Header=BB284_9 Depth=1
	s_or_b64 exec, exec, s[30:31]
	v_add_co_u32_e32 v8, vcc, 0x1000, v30
	s_mov_b64 s[28:29], 0
	s_nop 0
	v_addc_co_u32_e32 v9, vcc, 0, v31, vcc
	flat_load_dword v8, v[8:9] offset:1024
                                        ; implicit-def: $sgpr34
	s_waitcnt vmcnt(0) lgkmcnt(0)
	v_cmp_gt_i16_sdwa vcc, v8, s17 src0_sel:BYTE_0 src1_sel:DWORD
	s_and_saveexec_b64 s[30:31], vcc
	s_xor_b64 vcc, exec, s[30:31]
	s_cbranch_execnz .LBB284_715
; %bb.458:                              ;   in Loop: Header=BB284_9 Depth=1
	s_or_saveexec_b64 vcc, vcc
	v_mov_b32_e32 v18, s34
	s_xor_b64 exec, exec, vcc
	s_cbranch_execnz .LBB284_718
.LBB284_459:                            ;   in Loop: Header=BB284_9 Depth=1
	s_or_b64 exec, exec, vcc
	s_and_saveexec_b64 s[30:31], s[28:29]
	s_cbranch_execz .LBB284_461
.LBB284_460:                            ;   in Loop: Header=BB284_9 Depth=1
	v_and_b32_e32 v4, 7, v8
	v_ffbh_u32_e32 v12, v4
	v_min_u32_e32 v18, 32, v12
	v_bfe_u32 v9, v8, 3, 4
	v_subrev_u32_e32 v12, 28, v18
	v_lshlrev_b64 v[12:13], v12, v[8:9]
	v_sub_u32_e32 v13, 29, v18
	v_cmp_eq_u32_e32 vcc, 0, v9
	v_and_b32_e32 v12, 7, v12
	s_nop 0
	v_cndmask_b32_e32 v9, v9, v13, vcc
	v_cndmask_b32_e32 v4, v4, v12, vcc
	v_lshlrev_b32_e32 v12, 8, v8
	v_lshl_add_u32 v9, v9, 10, v48
	v_and_or_b32 v9, v12, s37, v9
	v_lshl_or_b32 v4, v4, 7, v9
	v_cvt_f32_f16_e32 v18, v4
.LBB284_461:                            ;   in Loop: Header=BB284_9 Depth=1
	s_or_b64 exec, exec, s[30:31]
	v_lshrrev_b16_e32 v4, 8, v8
	v_lshl_add_u64 v[32:33], v[30:31], 0, s[24:25]
	v_cmp_lt_i16_e32 vcc, s17, v4
	s_mov_b64 s[28:29], 0
                                        ; implicit-def: $sgpr38
	s_and_saveexec_b64 s[30:31], vcc
	s_xor_b64 s[30:31], exec, s[30:31]
	s_cbranch_execnz .LBB284_719
; %bb.462:                              ;   in Loop: Header=BB284_9 Depth=1
	s_or_saveexec_b64 s[30:31], s[30:31]
	v_mov_b32_e32 v22, s38
	s_xor_b64 exec, exec, s[30:31]
	s_cbranch_execnz .LBB284_722
.LBB284_463:                            ;   in Loop: Header=BB284_9 Depth=1
	s_or_b64 exec, exec, s[30:31]
	s_and_saveexec_b64 s[30:31], s[28:29]
	s_cbranch_execz .LBB284_465
.LBB284_464:                            ;   in Loop: Header=BB284_9 Depth=1
	v_and_b32_e32 v9, 7, v4
	v_ffbh_u32_e32 v12, v9
	v_min_u32_e32 v22, 32, v12
	v_subrev_u32_e32 v12, 28, v22
	v_bfe_u32 v21, v4, 3, 4
	v_lshlrev_b64 v[12:13], v12, v[4:5]
	v_sub_u32_e32 v13, 29, v22
	v_cmp_eq_u32_e32 vcc, 0, v21
	v_and_b32_e32 v12, 7, v12
	v_lshlrev_b32_e32 v4, 8, v4
	v_cndmask_b32_e32 v13, v21, v13, vcc
	v_cndmask_b32_e32 v9, v9, v12, vcc
	v_lshl_add_u32 v12, v13, 10, v48
	v_and_or_b32 v4, v4, s37, v12
	v_lshl_or_b32 v4, v9, 7, v4
	v_cvt_f32_f16_e32 v22, v4
.LBB284_465:                            ;   in Loop: Header=BB284_9 Depth=1
	s_or_b64 exec, exec, s[30:31]
	v_lshrrev_b32_e32 v4, 16, v8
	v_cmp_gt_i16_sdwa vcc, v4, s17 src0_sel:BYTE_0 src1_sel:DWORD
	s_mov_b64 s[28:29], 0
                                        ; implicit-def: $sgpr34
	s_and_saveexec_b64 s[30:31], vcc
	s_xor_b64 vcc, exec, s[30:31]
	s_cbranch_execnz .LBB284_723
; %bb.466:                              ;   in Loop: Header=BB284_9 Depth=1
	s_or_saveexec_b64 vcc, vcc
	v_mov_b32_e32 v26, s34
	s_xor_b64 exec, exec, vcc
	s_cbranch_execnz .LBB284_726
.LBB284_467:                            ;   in Loop: Header=BB284_9 Depth=1
	s_or_b64 exec, exec, vcc
	s_and_saveexec_b64 s[30:31], s[28:29]
	s_cbranch_execz .LBB284_469
.LBB284_468:                            ;   in Loop: Header=BB284_9 Depth=1
	v_bfe_u32 v9, v8, 16, 3
	v_ffbh_u32_e32 v12, v9
	v_min_u32_e32 v23, 32, v12
	v_subrev_u32_e32 v12, 28, v23
	v_bfe_u32 v21, v8, 19, 4
	v_lshlrev_b64 v[12:13], v12, v[4:5]
	v_sub_u32_e32 v13, 29, v23
	v_cmp_eq_u32_e32 vcc, 0, v21
	v_and_b32_e32 v12, 7, v12
	v_lshlrev_b32_e32 v4, 8, v4
	v_cndmask_b32_e32 v13, v21, v13, vcc
	v_cndmask_b32_e32 v9, v9, v12, vcc
	v_lshl_add_u32 v12, v13, 10, v48
	v_and_or_b32 v4, v4, s37, v12
	v_lshl_or_b32 v4, v9, 7, v4
	v_cvt_f32_f16_e32 v26, v4
.LBB284_469:                            ;   in Loop: Header=BB284_9 Depth=1
	s_or_b64 exec, exec, s[30:31]
	v_lshrrev_b32_e32 v4, 24, v8
	v_cmp_lt_i16_e32 vcc, s17, v4
	s_mov_b64 s[28:29], 0
                                        ; implicit-def: $sgpr38
	s_and_saveexec_b64 s[30:31], vcc
	s_xor_b64 s[30:31], exec, s[30:31]
	s_cbranch_execnz .LBB284_727
; %bb.470:                              ;   in Loop: Header=BB284_9 Depth=1
	s_or_saveexec_b64 s[30:31], s[30:31]
	v_mov_b32_e32 v28, s38
	s_xor_b64 exec, exec, s[30:31]
	s_cbranch_execnz .LBB284_730
.LBB284_471:                            ;   in Loop: Header=BB284_9 Depth=1
	s_or_b64 exec, exec, s[30:31]
	s_and_saveexec_b64 s[30:31], s[28:29]
	s_cbranch_execz .LBB284_473
.LBB284_472:                            ;   in Loop: Header=BB284_9 Depth=1
	v_bfe_u32 v12, v8, 24, 3
	v_bfe_u32 v13, v8, 27, 4
	v_ffbh_u32_e32 v8, v12
	v_min_u32_e32 v21, 32, v8
	v_subrev_u32_e32 v8, 28, v21
	v_lshlrev_b64 v[8:9], v8, v[4:5]
	v_sub_u32_e32 v9, 29, v21
	v_cmp_eq_u32_e32 vcc, 0, v13
	v_and_b32_e32 v8, 7, v8
	v_lshlrev_b32_e32 v4, 8, v4
	v_cndmask_b32_e32 v9, v13, v9, vcc
	v_lshl_add_u32 v9, v9, 10, v48
	v_cndmask_b32_e32 v8, v12, v8, vcc
	v_and_or_b32 v4, v4, s37, v9
	v_lshl_or_b32 v4, v8, 7, v4
	v_cvt_f32_f16_e32 v28, v4
.LBB284_473:                            ;   in Loop: Header=BB284_9 Depth=1
	s_or_b64 exec, exec, s[30:31]
	flat_load_dword v8, v[32:33] offset:8
	s_mov_b64 s[28:29], 0
                                        ; implicit-def: $sgpr34
	s_waitcnt vmcnt(0) lgkmcnt(0)
	v_cmp_gt_i16_sdwa vcc, v8, s17 src0_sel:BYTE_0 src1_sel:DWORD
	s_and_saveexec_b64 s[30:31], vcc
	s_xor_b64 vcc, exec, s[30:31]
	s_cbranch_execnz .LBB284_731
; %bb.474:                              ;   in Loop: Header=BB284_9 Depth=1
	s_or_saveexec_b64 vcc, vcc
	v_mov_b32_e32 v13, s34
	s_xor_b64 exec, exec, vcc
	s_cbranch_execnz .LBB284_734
.LBB284_475:                            ;   in Loop: Header=BB284_9 Depth=1
	s_or_b64 exec, exec, vcc
	s_and_saveexec_b64 s[30:31], s[28:29]
	s_cbranch_execz .LBB284_477
.LBB284_476:                            ;   in Loop: Header=BB284_9 Depth=1
	v_and_b32_e32 v4, 7, v8
	v_ffbh_u32_e32 v12, v4
	v_min_u32_e32 v21, 32, v12
	v_bfe_u32 v9, v8, 3, 4
	v_subrev_u32_e32 v12, 28, v21
	v_lshlrev_b64 v[12:13], v12, v[8:9]
	v_sub_u32_e32 v13, 29, v21
	v_cmp_eq_u32_e32 vcc, 0, v9
	v_and_b32_e32 v12, 7, v12
	s_nop 0
	v_cndmask_b32_e32 v9, v9, v13, vcc
	v_cndmask_b32_e32 v4, v4, v12, vcc
	v_lshlrev_b32_e32 v12, 8, v8
	v_lshl_add_u32 v9, v9, 10, v48
	v_and_or_b32 v9, v12, s37, v9
	v_lshl_or_b32 v4, v4, 7, v9
	v_cvt_f32_f16_e32 v13, v4
.LBB284_477:                            ;   in Loop: Header=BB284_9 Depth=1
	s_or_b64 exec, exec, s[30:31]
	v_lshrrev_b16_e32 v4, 8, v8
	v_cmp_lt_i16_e32 vcc, s17, v4
	s_mov_b64 s[28:29], 0
                                        ; implicit-def: $sgpr38
	s_and_saveexec_b64 s[30:31], vcc
	s_xor_b64 s[30:31], exec, s[30:31]
	s_cbranch_execnz .LBB284_735
; %bb.478:                              ;   in Loop: Header=BB284_9 Depth=1
	s_or_saveexec_b64 s[30:31], s[30:31]
	v_mov_b32_e32 v9, s38
	s_xor_b64 exec, exec, s[30:31]
	s_cbranch_execnz .LBB284_738
.LBB284_479:                            ;   in Loop: Header=BB284_9 Depth=1
	s_or_b64 exec, exec, s[30:31]
	s_and_saveexec_b64 s[30:31], s[28:29]
	s_cbranch_execz .LBB284_481
.LBB284_480:                            ;   in Loop: Header=BB284_9 Depth=1
	v_and_b32_e32 v9, 7, v4
	v_ffbh_u32_e32 v21, v9
	v_bfe_u32 v12, v4, 3, 4
	v_min_u32_e32 v21, 32, v21
	v_subrev_u32_e32 v23, 28, v21
	v_sub_u32_e32 v21, 29, v21
	v_cmp_eq_u32_e32 vcc, 0, v12
	v_lshlrev_b64 v[32:33], v23, v[4:5]
	v_and_b32_e32 v23, 7, v32
	v_cndmask_b32_e32 v12, v12, v21, vcc
	v_lshlrev_b32_e32 v4, 8, v4
	v_lshl_add_u32 v12, v12, 10, v48
	v_cndmask_b32_e32 v9, v9, v23, vcc
	v_and_or_b32 v4, v4, s37, v12
	v_lshl_or_b32 v4, v9, 7, v4
	v_cvt_f32_f16_e32 v9, v4
.LBB284_481:                            ;   in Loop: Header=BB284_9 Depth=1
	s_or_b64 exec, exec, s[30:31]
	v_lshrrev_b32_e32 v4, 16, v8
	v_cmp_gt_i16_sdwa vcc, v4, s17 src0_sel:BYTE_0 src1_sel:DWORD
	s_mov_b64 s[28:29], 0
                                        ; implicit-def: $sgpr34
	s_and_saveexec_b64 s[30:31], vcc
	s_xor_b64 vcc, exec, s[30:31]
	s_cbranch_execnz .LBB284_739
; %bb.482:                              ;   in Loop: Header=BB284_9 Depth=1
	s_or_saveexec_b64 vcc, vcc
	v_mov_b32_e32 v12, s34
	s_xor_b64 exec, exec, vcc
	s_cbranch_execnz .LBB284_742
.LBB284_483:                            ;   in Loop: Header=BB284_9 Depth=1
	s_or_b64 exec, exec, vcc
	s_and_saveexec_b64 s[30:31], s[28:29]
	s_cbranch_execz .LBB284_485
.LBB284_484:                            ;   in Loop: Header=BB284_9 Depth=1
	v_bfe_u32 v12, v8, 16, 3
	v_ffbh_u32_e32 v23, v12
	v_bfe_u32 v21, v8, 19, 4
	v_min_u32_e32 v23, 32, v23
	v_subrev_u32_e32 v25, 28, v23
	v_sub_u32_e32 v23, 29, v23
	v_cmp_eq_u32_e32 vcc, 0, v21
	v_lshlrev_b64 v[32:33], v25, v[4:5]
	v_and_b32_e32 v25, 7, v32
	v_cndmask_b32_e32 v21, v21, v23, vcc
	v_lshlrev_b32_e32 v4, 8, v4
	v_lshl_add_u32 v21, v21, 10, v48
	v_cndmask_b32_e32 v12, v12, v25, vcc
	v_and_or_b32 v4, v4, s37, v21
	v_lshl_or_b32 v4, v12, 7, v4
	v_cvt_f32_f16_e32 v12, v4
.LBB284_485:                            ;   in Loop: Header=BB284_9 Depth=1
	s_or_b64 exec, exec, s[30:31]
	v_lshrrev_b32_e32 v4, 24, v8
	v_cmp_lt_i16_e32 vcc, s17, v4
	s_mov_b64 s[28:29], 0
                                        ; implicit-def: $sgpr38
	s_and_saveexec_b64 s[30:31], vcc
	s_xor_b64 s[30:31], exec, s[30:31]
	s_cbranch_execnz .LBB284_743
; %bb.486:                              ;   in Loop: Header=BB284_9 Depth=1
	s_or_saveexec_b64 s[30:31], s[30:31]
	v_mov_b32_e32 v23, s38
	s_xor_b64 exec, exec, s[30:31]
	s_cbranch_execnz .LBB284_746
.LBB284_487:                            ;   in Loop: Header=BB284_9 Depth=1
	s_or_b64 exec, exec, s[30:31]
	s_and_saveexec_b64 s[30:31], s[28:29]
	s_cbranch_execz .LBB284_489
.LBB284_488:                            ;   in Loop: Header=BB284_9 Depth=1
	v_bfe_u32 v21, v8, 24, 3
	v_ffbh_u32_e32 v23, v21
	v_bfe_u32 v8, v8, 27, 4
	v_min_u32_e32 v23, 32, v23
	v_subrev_u32_e32 v25, 28, v23
	v_sub_u32_e32 v23, 29, v23
	v_cmp_eq_u32_e32 vcc, 0, v8
	v_lshlrev_b64 v[32:33], v25, v[4:5]
	v_and_b32_e32 v25, 7, v32
	v_cndmask_b32_e32 v8, v8, v23, vcc
	v_lshlrev_b32_e32 v4, 8, v4
	v_lshl_add_u32 v8, v8, 10, v48
	v_cndmask_b32_e32 v21, v21, v25, vcc
	v_and_or_b32 v4, v4, s37, v8
	v_lshl_or_b32 v4, v21, 7, v4
	v_cvt_f32_f16_e32 v23, v4
.LBB284_489:                            ;   in Loop: Header=BB284_9 Depth=1
	s_or_b64 exec, exec, s[30:31]
	v_add_co_u32_e32 v32, vcc, 0x1000, v30
	s_mov_b64 s[28:29], 0
	s_nop 0
	v_addc_co_u32_e32 v33, vcc, 0, v31, vcc
	flat_load_dword v8, v[32:33] offset:1536
                                        ; implicit-def: $sgpr34
	s_waitcnt vmcnt(0) lgkmcnt(0)
	v_cmp_gt_i16_sdwa vcc, v8, s17 src0_sel:BYTE_0 src1_sel:DWORD
	s_and_saveexec_b64 s[30:31], vcc
	s_xor_b64 vcc, exec, s[30:31]
	s_cbranch_execnz .LBB284_747
; %bb.490:                              ;   in Loop: Header=BB284_9 Depth=1
	s_or_saveexec_b64 vcc, vcc
	v_mov_b32_e32 v27, s34
	s_xor_b64 exec, exec, vcc
	s_cbranch_execnz .LBB284_750
.LBB284_491:                            ;   in Loop: Header=BB284_9 Depth=1
	s_or_b64 exec, exec, vcc
	s_and_saveexec_b64 s[30:31], s[28:29]
	s_cbranch_execz .LBB284_493
.LBB284_492:                            ;   in Loop: Header=BB284_9 Depth=1
	v_and_b32_e32 v4, 7, v8
	v_ffbh_u32_e32 v25, v4
	v_bfe_u32 v21, v8, 3, 4
	v_min_u32_e32 v25, 32, v25
	v_subrev_u32_e32 v27, 28, v25
	v_sub_u32_e32 v25, 29, v25
	v_cmp_eq_u32_e32 vcc, 0, v21
	v_lshlrev_b64 v[32:33], v27, v[8:9]
	v_and_b32_e32 v27, 7, v32
	v_cndmask_b32_e32 v21, v21, v25, vcc
	v_lshlrev_b32_e32 v25, 8, v8
	v_lshl_add_u32 v21, v21, 10, v48
	v_cndmask_b32_e32 v4, v4, v27, vcc
	v_and_or_b32 v21, v25, s37, v21
	v_lshl_or_b32 v4, v4, 7, v21
	v_cvt_f32_f16_e32 v27, v4
.LBB284_493:                            ;   in Loop: Header=BB284_9 Depth=1
	s_or_b64 exec, exec, s[30:31]
	v_lshrrev_b16_e32 v4, 8, v8
	v_lshl_add_u64 v[30:31], v[30:31], 0, s[26:27]
	v_cmp_lt_i16_e32 vcc, s17, v4
	s_mov_b64 s[28:29], 0
                                        ; implicit-def: $sgpr38
	s_and_saveexec_b64 s[30:31], vcc
	s_xor_b64 s[30:31], exec, s[30:31]
	s_cbranch_execnz .LBB284_751
; %bb.494:                              ;   in Loop: Header=BB284_9 Depth=1
	s_or_saveexec_b64 s[30:31], s[30:31]
	v_mov_b32_e32 v32, s38
	s_xor_b64 exec, exec, s[30:31]
	s_cbranch_execnz .LBB284_754
.LBB284_495:                            ;   in Loop: Header=BB284_9 Depth=1
	s_or_b64 exec, exec, s[30:31]
	s_and_saveexec_b64 s[30:31], s[28:29]
	s_cbranch_execz .LBB284_497
.LBB284_496:                            ;   in Loop: Header=BB284_9 Depth=1
	v_and_b32_e32 v21, 7, v4
	v_ffbh_u32_e32 v32, v21
	v_min_u32_e32 v50, 32, v32
	v_subrev_u32_e32 v32, 28, v50
	v_bfe_u32 v25, v4, 3, 4
	v_lshlrev_b64 v[32:33], v32, v[4:5]
	v_sub_u32_e32 v33, 29, v50
	v_cmp_eq_u32_e32 vcc, 0, v25
	v_and_b32_e32 v32, 7, v32
	v_lshlrev_b32_e32 v4, 8, v4
	v_cndmask_b32_e32 v25, v25, v33, vcc
	v_lshl_add_u32 v25, v25, 10, v48
	v_cndmask_b32_e32 v21, v21, v32, vcc
	v_and_or_b32 v4, v4, s37, v25
	v_lshl_or_b32 v4, v21, 7, v4
	v_cvt_f32_f16_e32 v32, v4
.LBB284_497:                            ;   in Loop: Header=BB284_9 Depth=1
	s_or_b64 exec, exec, s[30:31]
	v_lshrrev_b32_e32 v4, 16, v8
	v_cmp_gt_i16_sdwa vcc, v4, s17 src0_sel:BYTE_0 src1_sel:DWORD
	s_mov_b64 s[28:29], 0
                                        ; implicit-def: $sgpr34
	s_and_saveexec_b64 s[30:31], vcc
	s_xor_b64 vcc, exec, s[30:31]
	s_cbranch_execnz .LBB284_755
; %bb.498:                              ;   in Loop: Header=BB284_9 Depth=1
	s_or_saveexec_b64 vcc, vcc
	v_mov_b32_e32 v33, s34
	s_xor_b64 exec, exec, vcc
	s_cbranch_execnz .LBB284_758
.LBB284_499:                            ;   in Loop: Header=BB284_9 Depth=1
	s_or_b64 exec, exec, vcc
	s_and_saveexec_b64 s[30:31], s[28:29]
	s_cbranch_execz .LBB284_501
.LBB284_500:                            ;   in Loop: Header=BB284_9 Depth=1
	v_bfe_u32 v21, v8, 16, 3
	v_ffbh_u32_e32 v33, v21
	v_bfe_u32 v25, v8, 19, 4
	v_min_u32_e32 v33, 32, v33
	v_subrev_u32_e32 v50, 28, v33
	v_sub_u32_e32 v33, 29, v33
	v_cmp_eq_u32_e32 vcc, 0, v25
	v_mov_b32_e32 v44, v61
	v_lshlrev_b64 v[60:61], v50, v[4:5]
	v_cndmask_b32_e32 v25, v25, v33, vcc
	v_and_b32_e32 v50, 7, v60
	v_lshlrev_b32_e32 v4, 8, v4
	v_lshl_add_u32 v25, v25, 10, v48
	v_cndmask_b32_e32 v21, v21, v50, vcc
	v_and_or_b32 v4, v4, s37, v25
	v_lshl_or_b32 v4, v21, 7, v4
	v_cvt_f32_f16_e32 v33, v4
	v_mov_b32_e32 v61, v44
.LBB284_501:                            ;   in Loop: Header=BB284_9 Depth=1
	s_or_b64 exec, exec, s[30:31]
	v_lshrrev_b32_e32 v4, 24, v8
	v_cmp_lt_i16_e32 vcc, s17, v4
	s_mov_b64 s[28:29], 0
                                        ; implicit-def: $sgpr38
	s_and_saveexec_b64 s[30:31], vcc
	s_xor_b64 s[30:31], exec, s[30:31]
	s_cbranch_execnz .LBB284_759
; %bb.502:                              ;   in Loop: Header=BB284_9 Depth=1
	s_or_saveexec_b64 s[30:31], s[30:31]
	v_mov_b32_e32 v46, s38
	s_xor_b64 exec, exec, s[30:31]
	s_cbranch_execnz .LBB284_762
.LBB284_503:                            ;   in Loop: Header=BB284_9 Depth=1
	s_or_b64 exec, exec, s[30:31]
	s_and_saveexec_b64 s[30:31], s[28:29]
	s_cbranch_execz .LBB284_505
.LBB284_504:                            ;   in Loop: Header=BB284_9 Depth=1
	v_bfe_u32 v21, v8, 24, 3
	v_ffbh_u32_e32 v25, v21
	v_bfe_u32 v8, v8, 27, 4
	v_min_u32_e32 v25, 32, v25
	v_subrev_u32_e32 v50, 28, v25
	v_sub_u32_e32 v25, 29, v25
	v_cmp_eq_u32_e32 vcc, 0, v8
	v_mov_b32_e32 v44, v61
	v_lshlrev_b64 v[60:61], v50, v[4:5]
	v_cndmask_b32_e32 v8, v8, v25, vcc
	v_and_b32_e32 v50, 7, v60
	v_lshlrev_b32_e32 v4, 8, v4
	v_lshl_add_u32 v8, v8, 10, v48
	v_cndmask_b32_e32 v21, v21, v50, vcc
	v_and_or_b32 v4, v4, s37, v8
	v_lshl_or_b32 v4, v21, 7, v4
	v_cvt_f32_f16_e32 v46, v4
	v_mov_b32_e32 v61, v44
.LBB284_505:                            ;   in Loop: Header=BB284_9 Depth=1
	s_or_b64 exec, exec, s[30:31]
	flat_load_dword v8, v[30:31] offset:8
	s_mov_b64 s[28:29], 0
                                        ; implicit-def: $sgpr34
	s_waitcnt vmcnt(0) lgkmcnt(0)
	v_cmp_gt_i16_sdwa vcc, v8, s17 src0_sel:BYTE_0 src1_sel:DWORD
	s_and_saveexec_b64 s[30:31], vcc
	s_xor_b64 vcc, exec, s[30:31]
	s_cbranch_execnz .LBB284_763
; %bb.506:                              ;   in Loop: Header=BB284_9 Depth=1
	s_or_saveexec_b64 vcc, vcc
	v_mov_b32_e32 v50, s34
	s_xor_b64 exec, exec, vcc
	s_cbranch_execnz .LBB284_766
.LBB284_507:                            ;   in Loop: Header=BB284_9 Depth=1
	s_or_b64 exec, exec, vcc
	s_and_saveexec_b64 s[30:31], s[28:29]
	s_cbranch_execz .LBB284_509
.LBB284_508:                            ;   in Loop: Header=BB284_9 Depth=1
	v_and_b32_e32 v4, 7, v8
	v_ffbh_u32_e32 v25, v4
	v_bfe_u32 v21, v8, 3, 4
	v_min_u32_e32 v25, 32, v25
	v_subrev_u32_e32 v30, 28, v25
	v_sub_u32_e32 v25, 29, v25
	v_cmp_eq_u32_e32 vcc, 0, v21
	v_lshlrev_b64 v[30:31], v30, v[8:9]
	v_and_b32_e32 v30, 7, v30
	v_cndmask_b32_e32 v21, v21, v25, vcc
	v_lshlrev_b32_e32 v25, 8, v8
	v_lshl_add_u32 v21, v21, 10, v48
	v_cndmask_b32_e32 v4, v4, v30, vcc
	v_and_or_b32 v21, v25, s37, v21
	v_lshl_or_b32 v4, v4, 7, v21
	v_cvt_f32_f16_e32 v50, v4
.LBB284_509:                            ;   in Loop: Header=BB284_9 Depth=1
	s_or_b64 exec, exec, s[30:31]
	v_lshrrev_b16_e32 v4, 8, v8
	v_cmp_lt_i16_e32 vcc, s17, v4
	s_mov_b64 s[28:29], 0
                                        ; implicit-def: $sgpr38
	s_and_saveexec_b64 s[30:31], vcc
	s_xor_b64 s[30:31], exec, s[30:31]
	s_cbranch_execnz .LBB284_767
; %bb.510:                              ;   in Loop: Header=BB284_9 Depth=1
	s_or_saveexec_b64 s[30:31], s[30:31]
	v_mov_b32_e32 v44, s38
	s_xor_b64 exec, exec, s[30:31]
	s_cbranch_execnz .LBB284_770
.LBB284_511:                            ;   in Loop: Header=BB284_9 Depth=1
	s_or_b64 exec, exec, s[30:31]
	s_and_saveexec_b64 s[30:31], s[28:29]
	s_cbranch_execz .LBB284_513
.LBB284_512:                            ;   in Loop: Header=BB284_9 Depth=1
	v_and_b32_e32 v21, 7, v4
	v_ffbh_u32_e32 v30, v21
	v_min_u32_e32 v44, 32, v30
	v_subrev_u32_e32 v30, 28, v44
	v_bfe_u32 v25, v4, 3, 4
	v_lshlrev_b64 v[30:31], v30, v[4:5]
	v_sub_u32_e32 v31, 29, v44
	v_cmp_eq_u32_e32 vcc, 0, v25
	v_and_b32_e32 v30, 7, v30
	v_lshlrev_b32_e32 v4, 8, v4
	v_cndmask_b32_e32 v25, v25, v31, vcc
	v_lshl_add_u32 v25, v25, 10, v48
	v_cndmask_b32_e32 v21, v21, v30, vcc
	v_and_or_b32 v4, v4, s37, v25
	v_lshl_or_b32 v4, v21, 7, v4
	v_cvt_f32_f16_e32 v44, v4
.LBB284_513:                            ;   in Loop: Header=BB284_9 Depth=1
	s_or_b64 exec, exec, s[30:31]
	v_lshrrev_b32_e32 v4, 16, v8
	v_cmp_gt_i16_sdwa vcc, v4, s17 src0_sel:BYTE_0 src1_sel:DWORD
	s_mov_b64 s[28:29], 0
                                        ; implicit-def: $sgpr34
	s_and_saveexec_b64 s[30:31], vcc
	s_xor_b64 vcc, exec, s[30:31]
	s_cbranch_execnz .LBB284_771
; %bb.514:                              ;   in Loop: Header=BB284_9 Depth=1
	s_or_saveexec_b64 vcc, vcc
	v_mov_b32_e32 v25, s34
	s_xor_b64 exec, exec, vcc
	s_cbranch_execnz .LBB284_774
.LBB284_515:                            ;   in Loop: Header=BB284_9 Depth=1
	s_or_b64 exec, exec, vcc
	s_and_saveexec_b64 s[30:31], s[28:29]
	s_cbranch_execz .LBB284_517
.LBB284_516:                            ;   in Loop: Header=BB284_9 Depth=1
	v_bfe_u32 v21, v8, 16, 3
	v_ffbh_u32_e32 v30, v21
	v_mov_b32_e32 v60, v59
	v_min_u32_e32 v59, 32, v30
	v_subrev_u32_e32 v30, 28, v59
	v_bfe_u32 v25, v8, 19, 4
	v_lshlrev_b64 v[30:31], v30, v[4:5]
	v_sub_u32_e32 v31, 29, v59
	v_cmp_eq_u32_e32 vcc, 0, v25
	v_and_b32_e32 v30, 7, v30
	v_lshlrev_b32_e32 v4, 8, v4
	v_cndmask_b32_e32 v25, v25, v31, vcc
	v_lshl_add_u32 v25, v25, 10, v48
	v_cndmask_b32_e32 v21, v21, v30, vcc
	v_and_or_b32 v4, v4, s37, v25
	v_lshl_or_b32 v4, v21, 7, v4
	v_cvt_f32_f16_e32 v25, v4
	v_mov_b32_e32 v59, v60
.LBB284_517:                            ;   in Loop: Header=BB284_9 Depth=1
	s_or_b64 exec, exec, s[30:31]
	v_lshrrev_b32_e32 v4, 24, v8
	v_cmp_lt_i16_e32 vcc, s17, v4
	s_mov_b64 s[28:29], 0
                                        ; implicit-def: $sgpr38
	s_and_saveexec_b64 s[30:31], vcc
	s_xor_b64 s[30:31], exec, s[30:31]
	s_cbranch_execnz .LBB284_775
; %bb.518:                              ;   in Loop: Header=BB284_9 Depth=1
	s_or_saveexec_b64 s[30:31], s[30:31]
	v_mov_b32_e32 v21, s38
	s_xor_b64 exec, exec, s[30:31]
	s_cbranch_execnz .LBB284_778
.LBB284_519:                            ;   in Loop: Header=BB284_9 Depth=1
	s_or_b64 exec, exec, s[30:31]
	v_accvgpr_write_b32 a35, v61
	s_and_saveexec_b64 s[30:31], s[28:29]
	s_cbranch_execz .LBB284_521
.LBB284_520:                            ;   in Loop: Header=BB284_9 Depth=1
	v_bfe_u32 v21, v8, 24, 3
	v_ffbh_u32_e32 v30, v21
	v_mov_b32_e32 v60, v59
	v_min_u32_e32 v59, 32, v30
	v_subrev_u32_e32 v30, 28, v59
	v_bfe_u32 v8, v8, 27, 4
	v_lshlrev_b64 v[30:31], v30, v[4:5]
	v_sub_u32_e32 v31, 29, v59
	v_cmp_eq_u32_e32 vcc, 0, v8
	v_and_b32_e32 v30, 7, v30
	v_lshlrev_b32_e32 v4, 8, v4
	v_cndmask_b32_e32 v8, v8, v31, vcc
	v_lshl_add_u32 v8, v8, 10, v48
	v_cndmask_b32_e32 v21, v21, v30, vcc
	v_and_or_b32 v4, v4, s37, v8
	v_lshl_or_b32 v4, v21, 7, v4
	v_cvt_f32_f16_e32 v21, v4
	v_mov_b32_e32 v59, v60
.LBB284_521:                            ;   in Loop: Header=BB284_9 Depth=1
	s_or_b64 exec, exec, s[30:31]
	v_fma_mixlo_f16 v4, v0, v32, 0
	v_accvgpr_write_b32 a46, v4
	v_fma_mixlo_f16 v4, v0, v27, 0
	v_accvgpr_write_b32 a47, v4
	;; [unrolled: 2-line block ×15, first 2 shown]
	v_fma_mixlo_f16 v4, v0, v20, 0
	v_fma_mixlo_f16 v20, v0, v1, 0
	scratch_load_dword v1, off, s32 offset:304 ; 4-byte Folded Reload
	v_fma_mixlo_f16 v2, v0, v2, 0
	v_accvgpr_write_b32 a16, v2
	v_fma_mixlo_f16 v2, v0, v24, 0
	v_accvgpr_write_b32 a19, v2
	;; [unrolled: 2-line block ×11, first 2 shown]
	v_accvgpr_write_b32 a0, v2
	v_fma_mixlo_f16 v2, v0, v34, 0
	v_accvgpr_write_b32 a17, v2
	v_fma_mixlo_f16 v2, v0, v15, 0
	v_accvgpr_write_b32 a10, v2
	v_fma_mixlo_f16 v2, v0, v19, 0
	v_accvgpr_write_b32 a11, v2
	v_fma_mixlo_f16 v2, v0, v37, 0
	v_accvgpr_write_b32 a14, v2
	v_fma_mixlo_f16 v2, v0, v42, 0
	v_accvgpr_write_b32 a13, v2
	v_fma_mixlo_f16 v2, v0, v39, 0
	v_accvgpr_write_b32 a23, v2
	v_fma_mixlo_f16 v2, v0, v38, 0
	v_accvgpr_write_b32 a3, v2
	v_fma_mixlo_f16 v2, v0, v29, 0
	v_accvgpr_write_b32 a30, v2
	v_fma_mixlo_f16 v2, v0, v41, 0
	v_accvgpr_write_b32 a2, v2
	v_fma_mixlo_f16 v2, v0, v40, 0
	v_accvgpr_write_b32 a24, v2
	v_fma_mixlo_f16 v2, v0, v49, 0
	v_accvgpr_write_b32 a25, v2
	v_fma_mixlo_f16 v2, v0, v54, 0
	v_accvgpr_write_b32 a6, v2
	v_fma_mixlo_f16 v2, v0, v56, 0
	v_accvgpr_write_b32 a15, v2
	v_fma_mixlo_f16 v2, v0, v11, 0
	v_accvgpr_write_b32 a26, v2
	v_fma_mixlo_f16 v18, v0, v62, 0
	v_fma_mixlo_f16 v22, v0, v47, 0
	v_fma_mixlo_f16 v47, v0, v59, 0
	;; [unrolled: 1-line block ×8, first 2 shown]
	scratch_load_dword v6, off, s32 offset:332 ; 4-byte Folded Reload
	s_waitcnt vmcnt(1)
	v_fma_mixlo_f16 v13, v0, v1, 0
	scratch_load_dword v1, off, s32 offset:308 ; 4-byte Folded Reload
	s_waitcnt vmcnt(0)
	v_fma_mixlo_f16 v31, v0, v1, 0
	;; [unrolled: 3-line block ×8, first 2 shown]
	v_accvgpr_read_b32 v1, a43
	v_fma_mixlo_f16 v3, v0, v1, 0
	scratch_load_dword v1, off, s32 offset:276 ; 4-byte Folded Reload
	v_and_b32_e32 v3, 0xffff, v3
	v_and_b32_e32 v4, 0xffff, v4
	s_waitcnt vmcnt(0)
	v_fma_mixlo_f16 v7, v0, v1, 0
	scratch_load_dword v1, off, s32 offset:280 ; 4-byte Folded Reload
	s_waitcnt vmcnt(0)
	v_fma_mixlo_f16 v8, v0, v1, 0
	scratch_load_dword v1, off, s32 offset:272 ; 4-byte Folded Reload
	s_waitcnt vmcnt(0)
	v_fma_mixlo_f16 v24, v0, v1, 0
	v_accvgpr_read_b32 v1, a42
	v_fma_mixlo_f16 v27, v0, v1, 0
	scratch_load_dword v1, off, s32 offset:264 ; 4-byte Folded Reload
	s_waitcnt vmcnt(0)
	v_fma_mixlo_f16 v39, v0, v1, 0
	scratch_load_dword v1, off, s32 offset:268 ; 4-byte Folded Reload
	s_waitcnt vmcnt(0)
	v_fma_mixlo_f16 v2, v0, v1, 0
	scratch_load_dword v1, off, s32 offset:260 ; 4-byte Folded Reload
	v_and_b32_e32 v2, 0xffff, v2
	s_waitcnt vmcnt(0)
	v_fma_mixlo_f16 v38, v0, v1, 0
	v_accvgpr_read_b32 v1, a41
	v_fma_mixlo_f16 v14, v0, v1, 0
	scratch_load_dword v1, off, s32 offset:252 ; 4-byte Folded Reload
	s_waitcnt vmcnt(0)
	v_fma_mixlo_f16 v16, v0, v1, 0
	scratch_load_dword v1, off, s32 offset:256 ; 4-byte Folded Reload
	s_waitcnt vmcnt(0)
	v_fma_mixlo_f16 v34, v0, v1, 0
	scratch_load_dword v1, off, s32 offset:248 ; 4-byte Folded Reload
	s_waitcnt vmcnt(0)
	v_fma_mixlo_f16 v49, v0, v1, 0
	v_accvgpr_read_b32 v1, a40
	v_fma_mixlo_f16 v19, v0, v1, 0
	scratch_load_dword v1, off, s32 offset:240 ; 4-byte Folded Reload
	s_waitcnt vmcnt(0)
	v_fma_mixlo_f16 v61, v0, v1, 0
	scratch_load_dword v1, off, s32 offset:244 ; 4-byte Folded Reload
	s_waitcnt vmcnt(0)
	v_fma_mixlo_f16 v60, v0, v1, 0
	scratch_load_dword v1, off, s32 offset:236 ; 4-byte Folded Reload
	s_waitcnt vmcnt(0)
	v_fma_mixlo_f16 v57, v0, v1, 0
	v_accvgpr_read_b32 v1, a39
	v_fma_mixlo_f16 v62, v0, v1, 0
	scratch_load_dword v1, off, s32 offset:228 ; 4-byte Folded Reload
	s_waitcnt vmcnt(0)
	v_fma_mixlo_f16 v15, v0, v1, 0
	scratch_load_dword v1, off, s32 offset:232 ; 4-byte Folded Reload
	s_waitcnt vmcnt(0)
	v_fma_mixlo_f16 v56, v0, v1, 0
	scratch_load_dword v1, off, s32 offset:216 ; 4-byte Folded Reload
	s_waitcnt vmcnt(0)
	v_fma_mixlo_f16 v46, v0, v1, 0
	v_accvgpr_read_b32 v1, a38
	v_fma_mixlo_f16 v58, v0, v1, 0
	scratch_load_dword v1, off, s32 offset:220 ; 4-byte Folded Reload
	s_waitcnt vmcnt(0)
	v_fma_mixlo_f16 v45, v0, v1, 0
	scratch_load_dword v1, off, s32 offset:224 ; 4-byte Folded Reload
	s_waitcnt vmcnt(0)
	v_fma_mixlo_f16 v42, v0, v1, 0
	v_accvgpr_read_b32 v1, a37
	v_fma_mixlo_f16 v59, v0, v1, 0
	scratch_load_dword v1, off, s32 offset:208 ; 4-byte Folded Reload
	s_waitcnt vmcnt(0)
	v_fma_mixlo_f16 v41, v0, v1, 0
	scratch_load_dword v1, off, s32 offset:212 ; 4-byte Folded Reload
	s_waitcnt vmcnt(0)
	;; [unrolled: 3-line block ×3, first 2 shown]
	v_fma_mixlo_f16 v17, v0, v1, 0
	v_accvgpr_read_b32 v1, a36
	v_fma_mixlo_f16 v10, v0, v1, 0
	scratch_load_dword v1, off, s32 offset:200 ; 4-byte Folded Reload
	v_and_b32_e32 v10, 0xffff, v10
	v_and_b32_e32 v17, 0xffff, v17
	s_waitcnt vmcnt(0)
	v_fma_mixlo_f16 v52, v0, v1, 0
	scratch_load_dword v1, off, s32 offset:204 ; 4-byte Folded Reload
	s_waitcnt vmcnt(0)
	v_fma_mixlo_f16 v51, v0, v1, 0
	v_accvgpr_read_b32 v1, a35
	v_fma_mixlo_f16 v43, v0, v1, 0
	v_accvgpr_read_b32 v1, a34
	v_fma_mixlo_f16 v11, v0, v1, 0
	scratch_load_dword v1, off, s32 offset:188 ; 4-byte Folded Reload
	s_waitcnt vmcnt(0)
	v_fma_mixlo_f16 v54, v0, v1, 0
	scratch_load_dword v1, off, s32 offset:192 ; 4-byte Folded Reload
	s_waitcnt vmcnt(0)
	v_fma_mixlo_f16 v53, v0, v1, 0
	v_fma_mixlo_f16 v1, v0, v44, 0
	v_accvgpr_write_b32 a35, v1
	v_fma_mixlo_f16 v1, v0, v50, 0
	v_accvgpr_write_b32 a36, v1
	;; [unrolled: 2-line block ×3, first 2 shown]
	ds_read_b64 v[0:1], v6
	s_waitcnt lgkmcnt(0)
	v_lshrrev_b32_e32 v25, 16, v0
	v_and_b32_e32 v0, 0xffff, v0
	;;#ASMSTART
	v_cvt_f32_f16 v50, v0;
	;;#ASMEND
	v_and_b32_e32 v0, 0xffff, v11
	;;#ASMSTART
	v_cvt_f32_f16 v25, v25;
	;;#ASMEND
	;;#ASMSTART
	v_cvt_f32_f16 v11, v0;
	;;#ASMEND
	v_and_b32_e32 v0, 0xffff, v43
	;;#ASMSTART
	v_cvt_f32_f16 v43, v0;
	;;#ASMEND
	v_lshrrev_b32_e32 v0, 16, v1
	v_and_b32_e32 v1, 0xffff, v1
	;;#ASMSTART
	v_cvt_f32_f16 v44, v1;
	;;#ASMEND
	;;#ASMSTART
	v_cvt_f32_f16 v55, v0;
	;;#ASMEND
	v_and_b32_e32 v0, 0xffff, v54
	;;#ASMSTART
	v_cvt_f32_f16 v54, v0;
	;;#ASMEND
	v_and_b32_e32 v0, 0xffff, v53
	;;#ASMSTART
	v_cvt_f32_f16 v53, v0;
	;;#ASMEND
	ds_read_b64 v[0:1], v6 offset:8
	s_waitcnt lgkmcnt(0)
	v_lshrrev_b32_e32 v29, 16, v0
	v_and_b32_e32 v0, 0xffff, v0
	;;#ASMSTART
	v_cvt_f32_f16 v0, v0;
	;;#ASMEND
	;;#ASMSTART
	v_cvt_f32_f16 v29, v29;
	;;#ASMEND
	;; [unrolled: 3-line block ×4, first 2 shown]
	s_nop 0
	v_mul_f32_e32 v17, v0, v10
	v_lshrrev_b32_e32 v0, 16, v1
	v_and_b32_e32 v1, 0xffff, v1
	v_fmac_f32_e32 v17, v50, v11
	;;#ASMSTART
	v_cvt_f32_f16 v1, v1;
	;;#ASMEND
	;;#ASMSTART
	v_cvt_f32_f16 v0, v0;
	;;#ASMEND
	v_and_b32_e32 v10, 0xffff, v52
	v_and_b32_e32 v11, 0xffff, v51
	;;#ASMSTART
	v_cvt_f32_f16 v10, v10;
	;;#ASMEND
	;;#ASMSTART
	v_cvt_f32_f16 v11, v11;
	;;#ASMEND
	v_mul_f32_e32 v50, v29, v37
	v_mul_f32_e32 v51, v1, v10
	;; [unrolled: 1-line block ×3, first 2 shown]
	ds_read_b64 v[0:1], v6 offset:16
	v_and_b32_e32 v11, 0xffff, v59
	v_fmac_f32_e32 v50, v25, v43
	v_and_b32_e32 v25, 0xffff, v47
	v_fmac_f32_e32 v51, v44, v54
	s_waitcnt lgkmcnt(0)
	v_lshrrev_b32_e32 v10, 16, v0
	v_and_b32_e32 v0, 0xffff, v0
	;;#ASMSTART
	v_cvt_f32_f16 v0, v0;
	;;#ASMEND
	;;#ASMSTART
	v_cvt_f32_f16 v10, v10;
	;;#ASMEND
	;; [unrolled: 3-line block ×3, first 2 shown]
	v_fmac_f32_e32 v52, v55, v53
	v_fmac_f32_e32 v17, v0, v11
	v_lshrrev_b32_e32 v0, 16, v1
	v_and_b32_e32 v1, 0xffff, v1
	;;#ASMSTART
	v_cvt_f32_f16 v25, v25;
	;;#ASMEND
	;;#ASMSTART
	v_cvt_f32_f16 v1, v1;
	;;#ASMEND
	;; [unrolled: 3-line block ×3, first 2 shown]
	v_and_b32_e32 v11, 0xffff, v40
	v_fmac_f32_e32 v50, v10, v25
	v_and_b32_e32 v10, 0xffff, v41
	;;#ASMSTART
	v_cvt_f32_f16 v10, v10;
	;;#ASMEND
	;;#ASMSTART
	v_cvt_f32_f16 v11, v11;
	;;#ASMEND
	v_and_b32_e32 v25, 0xffff, v46
	v_fmac_f32_e32 v51, v1, v10
	v_fmac_f32_e32 v52, v0, v11
	ds_read_b64 v[0:1], v6 offset:24
	v_and_b32_e32 v11, 0xffff, v58
	s_waitcnt lgkmcnt(0)
	v_lshrrev_b32_e32 v10, 16, v0
	v_and_b32_e32 v0, 0xffff, v0
	;;#ASMSTART
	v_cvt_f32_f16 v0, v0;
	;;#ASMEND
	;;#ASMSTART
	v_cvt_f32_f16 v10, v10;
	;;#ASMEND
	;;#ASMSTART
	v_cvt_f32_f16 v11, v11;
	;;#ASMEND
	;;#ASMSTART
	v_cvt_f32_f16 v25, v25;
	;;#ASMEND
	s_nop 0
	v_fmac_f32_e32 v17, v0, v11
	v_lshrrev_b32_e32 v0, 16, v1
	v_and_b32_e32 v1, 0xffff, v1
	v_fmac_f32_e32 v50, v10, v25
	;;#ASMSTART
	v_cvt_f32_f16 v1, v1;
	;;#ASMEND
	;;#ASMSTART
	v_cvt_f32_f16 v0, v0;
	;;#ASMEND
	v_and_b32_e32 v10, 0xffff, v45
	v_and_b32_e32 v11, 0xffff, v42
	;;#ASMSTART
	v_cvt_f32_f16 v10, v10;
	;;#ASMEND
	;;#ASMSTART
	v_cvt_f32_f16 v11, v11;
	;;#ASMEND
	v_and_b32_e32 v25, 0xffff, v57
	v_fmac_f32_e32 v51, v1, v10
	v_fmac_f32_e32 v52, v0, v11
	ds_read_b64 v[0:1], v6 offset:32
	v_and_b32_e32 v11, 0xffff, v62
	s_waitcnt lgkmcnt(0)
	v_lshrrev_b32_e32 v10, 16, v0
	v_and_b32_e32 v0, 0xffff, v0
	;;#ASMSTART
	v_cvt_f32_f16 v0, v0;
	;;#ASMEND
	;;#ASMSTART
	v_cvt_f32_f16 v10, v10;
	;;#ASMEND
	;;#ASMSTART
	v_cvt_f32_f16 v11, v11;
	;;#ASMEND
	;;#ASMSTART
	v_cvt_f32_f16 v25, v25;
	;;#ASMEND
	s_nop 0
	v_fmac_f32_e32 v17, v0, v11
	v_lshrrev_b32_e32 v0, 16, v1
	v_and_b32_e32 v1, 0xffff, v1
	v_fmac_f32_e32 v50, v10, v25
	;;#ASMSTART
	v_cvt_f32_f16 v1, v1;
	;;#ASMEND
	;;#ASMSTART
	v_cvt_f32_f16 v0, v0;
	;;#ASMEND
	v_and_b32_e32 v10, 0xffff, v15
	;; [unrolled: 39-line block ×3, first 2 shown]
	v_and_b32_e32 v11, 0xffff, v60
	;;#ASMSTART
	v_cvt_f32_f16 v10, v10;
	;;#ASMEND
	;;#ASMSTART
	v_cvt_f32_f16 v11, v11;
	;;#ASMEND
	s_nop 0
	v_fmac_f32_e32 v51, v1, v10
	v_fmac_f32_e32 v52, v0, v11
	ds_read_b64 v[0:1], v6 offset:48
	v_and_b32_e32 v11, 0xffff, v14
	v_and_b32_e32 v14, 0xffff, v38
	s_waitcnt lgkmcnt(0)
	v_lshrrev_b32_e32 v10, 16, v0
	v_and_b32_e32 v0, 0xffff, v0
	;;#ASMSTART
	v_cvt_f32_f16 v0, v0;
	;;#ASMEND
	;;#ASMSTART
	v_cvt_f32_f16 v10, v10;
	;;#ASMEND
	;; [unrolled: 3-line block ×4, first 2 shown]
	s_nop 0
	v_fmac_f32_e32 v17, v0, v11
	v_lshrrev_b32_e32 v0, 16, v1
	v_and_b32_e32 v1, 0xffff, v1
	v_fmac_f32_e32 v50, v10, v14
	;;#ASMSTART
	v_cvt_f32_f16 v1, v1;
	;;#ASMEND
	;;#ASMSTART
	v_cvt_f32_f16 v0, v0;
	;;#ASMEND
	v_and_b32_e32 v10, 0xffff, v16
	v_and_b32_e32 v11, 0xffff, v34
	;;#ASMSTART
	v_cvt_f32_f16 v10, v10;
	;;#ASMEND
	;;#ASMSTART
	v_cvt_f32_f16 v11, v11;
	;;#ASMEND
	v_and_b32_e32 v14, 0xffff, v24
	v_fmac_f32_e32 v51, v1, v10
	v_fmac_f32_e32 v52, v0, v11
	ds_read_b64 v[0:1], v6 offset:56
	v_and_b32_e32 v11, 0xffff, v27
	s_waitcnt lgkmcnt(0)
	v_lshrrev_b32_e32 v10, 16, v0
	v_and_b32_e32 v0, 0xffff, v0
	;;#ASMSTART
	v_cvt_f32_f16 v0, v0;
	;;#ASMEND
	;;#ASMSTART
	v_cvt_f32_f16 v10, v10;
	;;#ASMEND
	;; [unrolled: 3-line block ×4, first 2 shown]
	s_nop 0
	v_fmac_f32_e32 v17, v0, v11
	v_lshrrev_b32_e32 v0, 16, v1
	v_and_b32_e32 v1, 0xffff, v1
	v_fmac_f32_e32 v50, v10, v14
	;;#ASMSTART
	v_cvt_f32_f16 v1, v1;
	;;#ASMEND
	;;#ASMSTART
	v_cvt_f32_f16 v0, v0;
	;;#ASMEND
	v_and_b32_e32 v10, 0xffff, v39
	;;#ASMSTART
	v_cvt_f32_f16 v10, v10;
	;;#ASMEND
	;;#ASMSTART
	v_cvt_f32_f16 v2, v2;
	;;#ASMEND
	s_nop 0
	v_fmac_f32_e32 v51, v1, v10
	v_fmac_f32_e32 v52, v0, v2
	ds_read_b64 v[0:1], v6 offset:64
	s_waitcnt lgkmcnt(0)
	v_lshrrev_b32_e32 v2, 16, v0
	v_and_b32_e32 v0, 0xffff, v0
	;;#ASMSTART
	v_cvt_f32_f16 v0, v0;
	;;#ASMEND
	;;#ASMSTART
	v_cvt_f32_f16 v2, v2;
	;;#ASMEND
	;; [unrolled: 3-line block ×4, first 2 shown]
	s_nop 0
	v_fmac_f32_e32 v17, v0, v3
	v_lshrrev_b32_e32 v0, 16, v1
	v_and_b32_e32 v1, 0xffff, v1
	v_fmac_f32_e32 v50, v2, v4
	;;#ASMSTART
	v_cvt_f32_f16 v1, v1;
	;;#ASMEND
	;;#ASMSTART
	v_cvt_f32_f16 v0, v0;
	;;#ASMEND
	v_and_b32_e32 v2, 0xffff, v7
	v_and_b32_e32 v3, 0xffff, v8
	;;#ASMSTART
	v_cvt_f32_f16 v2, v2;
	;;#ASMEND
	;;#ASMSTART
	v_cvt_f32_f16 v3, v3;
	;;#ASMEND
	v_and_b32_e32 v4, 0xffff, v12
	v_fmac_f32_e32 v51, v1, v2
	v_fmac_f32_e32 v52, v0, v3
	ds_read_b64 v[0:1], v6 offset:72
	v_and_b32_e32 v3, 0xffff, v9
	s_waitcnt lgkmcnt(0)
	v_lshrrev_b32_e32 v2, 16, v0
	v_and_b32_e32 v0, 0xffff, v0
	;;#ASMSTART
	v_cvt_f32_f16 v0, v0;
	;;#ASMEND
	;;#ASMSTART
	v_cvt_f32_f16 v2, v2;
	;;#ASMEND
	;; [unrolled: 3-line block ×4, first 2 shown]
	s_nop 0
	v_fmac_f32_e32 v17, v0, v3
	v_lshrrev_b32_e32 v0, 16, v1
	v_and_b32_e32 v1, 0xffff, v1
	v_fmac_f32_e32 v50, v2, v4
	;;#ASMSTART
	v_cvt_f32_f16 v1, v1;
	;;#ASMEND
	;;#ASMSTART
	v_cvt_f32_f16 v0, v0;
	;;#ASMEND
	v_and_b32_e32 v2, 0xffff, v36
	v_and_b32_e32 v3, 0xffff, v35
	;;#ASMSTART
	v_cvt_f32_f16 v2, v2;
	;;#ASMEND
	;;#ASMSTART
	v_cvt_f32_f16 v3, v3;
	;;#ASMEND
	v_and_b32_e32 v4, 0xffff, v18
	v_fmac_f32_e32 v51, v1, v2
	v_fmac_f32_e32 v52, v0, v3
	ds_read_b64 v[0:1], v6 offset:80
	v_and_b32_e32 v3, 0xffff, v13
	s_waitcnt lgkmcnt(0)
	v_lshrrev_b32_e32 v2, 16, v0
	v_and_b32_e32 v0, 0xffff, v0
	;;#ASMSTART
	v_cvt_f32_f16 v0, v0;
	;;#ASMEND
	;;#ASMSTART
	v_cvt_f32_f16 v2, v2;
	;;#ASMEND
	;; [unrolled: 3-line block ×4, first 2 shown]
	s_nop 0
	v_fmac_f32_e32 v17, v0, v3
	v_fmac_f32_e32 v50, v2, v4
	v_lshrrev_b32_e32 v0, 16, v1
	v_and_b32_e32 v1, 0xffff, v1
	v_and_b32_e32 v2, 0xffff, v31
	v_and_b32_e32 v3, 0xffff, v30
	;;#ASMSTART
	v_cvt_f32_f16 v1, v1;
	;;#ASMEND
	;;#ASMSTART
	v_cvt_f32_f16 v0, v0;
	;;#ASMEND
	;; [unrolled: 3-line block ×4, first 2 shown]
	ds_read_b64 v[30:31], v6 offset:88
	v_fmac_f32_e32 v51, v1, v2
	v_fmac_f32_e32 v52, v0, v3
	v_and_b32_e32 v2, 0xffff, v20
	v_and_b32_e32 v3, 0xffff, v22
	s_waitcnt lgkmcnt(0)
	v_lshrrev_b32_e32 v0, 16, v30
	v_and_b32_e32 v1, 0xffff, v30
	;;#ASMSTART
	v_cvt_f32_f16 v1, v1;
	;;#ASMEND
	;;#ASMSTART
	v_cvt_f32_f16 v0, v0;
	;;#ASMEND
	;; [unrolled: 3-line block ×4, first 2 shown]
	v_and_b32_e32 v4, 0xffff, v32
	v_fmac_f32_e32 v17, v1, v2
	v_fmac_f32_e32 v50, v0, v3
	v_lshrrev_b32_e32 v0, 16, v31
	v_and_b32_e32 v1, 0xffff, v31
	;;#ASMSTART
	v_cvt_f32_f16 v1, v1;
	;;#ASMEND
	;;#ASMSTART
	v_cvt_f32_f16 v0, v0;
	;;#ASMEND
	v_and_b32_e32 v2, 0xffff, v28
	v_and_b32_e32 v3, 0xffff, v23
	;;#ASMSTART
	v_cvt_f32_f16 v2, v2;
	;;#ASMEND
	;;#ASMSTART
	v_cvt_f32_f16 v3, v3;
	;;#ASMEND
	s_nop 0
	v_fmac_f32_e32 v51, v1, v2
	v_fmac_f32_e32 v52, v0, v3
	ds_read_b64 v[0:1], v6 offset:96
	v_and_b32_e32 v3, 0xffff, v26
	s_waitcnt lgkmcnt(0)
	v_lshrrev_b32_e32 v2, 16, v0
	v_and_b32_e32 v0, 0xffff, v0
	;;#ASMSTART
	v_cvt_f32_f16 v0, v0;
	;;#ASMEND
	;;#ASMSTART
	v_cvt_f32_f16 v2, v2;
	;;#ASMEND
	;; [unrolled: 3-line block ×4, first 2 shown]
	s_nop 0
	v_fmac_f32_e32 v17, v0, v3
	v_accvgpr_read_b32 v3, a26
	v_fmac_f32_e32 v50, v2, v4
	v_lshrrev_b32_e32 v0, 16, v1
	v_and_b32_e32 v1, 0xffff, v1
	v_and_b32_e32 v2, 0xffff, v33
	;; [unrolled: 1-line block ×3, first 2 shown]
	;;#ASMSTART
	v_cvt_f32_f16 v1, v1;
	;;#ASMEND
	;;#ASMSTART
	v_cvt_f32_f16 v0, v0;
	;;#ASMEND
	;; [unrolled: 3-line block ×4, first 2 shown]
	ds_read_b64 v[30:31], v6 offset:104
	v_fmac_f32_e32 v51, v1, v2
	v_fmac_f32_e32 v52, v0, v3
	v_accvgpr_read_b32 v2, a25
	v_accvgpr_read_b32 v3, a24
	s_waitcnt lgkmcnt(0)
	v_lshrrev_b32_e32 v0, 16, v30
	v_and_b32_e32 v1, 0xffff, v30
	v_and_b32_e32 v2, 0xffff, v2
	;; [unrolled: 1-line block ×3, first 2 shown]
	;;#ASMSTART
	v_cvt_f32_f16 v1, v1;
	;;#ASMEND
	;;#ASMSTART
	v_cvt_f32_f16 v0, v0;
	;;#ASMEND
	;; [unrolled: 3-line block ×4, first 2 shown]
	v_accvgpr_read_b32 v4, a23
	v_fmac_f32_e32 v17, v1, v2
	v_fmac_f32_e32 v50, v0, v3
	v_lshrrev_b32_e32 v0, 16, v31
	v_and_b32_e32 v1, 0xffff, v31
	v_accvgpr_read_b32 v2, a6
	v_accvgpr_read_b32 v3, a15
	;;#ASMSTART
	v_cvt_f32_f16 v1, v1;
	;;#ASMEND
	;;#ASMSTART
	v_cvt_f32_f16 v0, v0;
	;;#ASMEND
	v_and_b32_e32 v2, 0xffff, v2
	v_and_b32_e32 v3, 0xffff, v3
	;;#ASMSTART
	v_cvt_f32_f16 v2, v2;
	;;#ASMEND
	;;#ASMSTART
	v_cvt_f32_f16 v3, v3;
	;;#ASMEND
	v_and_b32_e32 v4, 0xffff, v4
	v_fmac_f32_e32 v51, v1, v2
	v_fmac_f32_e32 v52, v0, v3
	ds_read_b64 v[0:1], v6 offset:112
	v_accvgpr_read_b32 v3, a3
	v_and_b32_e32 v3, 0xffff, v3
	s_waitcnt lgkmcnt(0)
	v_lshrrev_b32_e32 v2, 16, v0
	v_and_b32_e32 v0, 0xffff, v0
	;;#ASMSTART
	v_cvt_f32_f16 v0, v0;
	;;#ASMEND
	;;#ASMSTART
	v_cvt_f32_f16 v2, v2;
	;;#ASMEND
	;;#ASMSTART
	v_cvt_f32_f16 v3, v3;
	;;#ASMEND
	;;#ASMSTART
	v_cvt_f32_f16 v4, v4;
	;;#ASMEND
	s_nop 0
	v_fmac_f32_e32 v17, v0, v3
	v_fmac_f32_e32 v50, v2, v4
	v_lshrrev_b32_e32 v0, 16, v1
	v_and_b32_e32 v1, 0xffff, v1
	v_accvgpr_read_b32 v2, a30
	v_accvgpr_read_b32 v3, a2
	;;#ASMSTART
	v_cvt_f32_f16 v1, v1;
	;;#ASMEND
	;;#ASMSTART
	v_cvt_f32_f16 v0, v0;
	;;#ASMEND
	v_and_b32_e32 v2, 0xffff, v2
	v_and_b32_e32 v3, 0xffff, v3
	;;#ASMSTART
	v_cvt_f32_f16 v2, v2;
	;;#ASMEND
	;;#ASMSTART
	v_cvt_f32_f16 v3, v3;
	;;#ASMEND
	v_accvgpr_read_b32 v4, a10
	v_fmac_f32_e32 v51, v1, v2
	v_fmac_f32_e32 v52, v0, v3
	ds_read_b64 v[0:1], v6 offset:120
	v_accvgpr_read_b32 v3, a11
	v_and_b32_e32 v3, 0xffff, v3
	v_and_b32_e32 v4, 0xffff, v4
	s_waitcnt lgkmcnt(0)
	v_lshrrev_b32_e32 v2, 16, v0
	v_and_b32_e32 v0, 0xffff, v0
	;;#ASMSTART
	v_cvt_f32_f16 v0, v0;
	;;#ASMEND
	;;#ASMSTART
	v_cvt_f32_f16 v2, v2;
	;;#ASMEND
	;;#ASMSTART
	v_cvt_f32_f16 v3, v3;
	;;#ASMEND
	;;#ASMSTART
	v_cvt_f32_f16 v4, v4;
	;;#ASMEND
	s_nop 0
	v_fmac_f32_e32 v17, v0, v3
	v_fmac_f32_e32 v50, v2, v4
	v_lshrrev_b32_e32 v0, 16, v1
	v_and_b32_e32 v1, 0xffff, v1
	v_accvgpr_read_b32 v2, a14
	v_accvgpr_read_b32 v3, a13
	;;#ASMSTART
	v_cvt_f32_f16 v1, v1;
	;;#ASMEND
	;;#ASMSTART
	v_cvt_f32_f16 v0, v0;
	;;#ASMEND
	v_and_b32_e32 v2, 0xffff, v2
	v_and_b32_e32 v3, 0xffff, v3
	;;#ASMSTART
	v_cvt_f32_f16 v2, v2;
	;;#ASMEND
	;;#ASMSTART
	v_cvt_f32_f16 v3, v3;
	;;#ASMEND
	v_accvgpr_read_b32 v4, a1
	v_fmac_f32_e32 v51, v1, v2
	v_fmac_f32_e32 v52, v0, v3
	ds_read_b64 v[0:1], v6 offset:128
	v_accvgpr_read_b32 v3, a12
	v_and_b32_e32 v3, 0xffff, v3
	;; [unrolled: 43-line block ×9, first 2 shown]
	v_and_b32_e32 v4, 0xffff, v4
	s_waitcnt lgkmcnt(0)
	v_lshrrev_b32_e32 v2, 16, v0
	v_and_b32_e32 v0, 0xffff, v0
	;;#ASMSTART
	v_cvt_f32_f16 v0, v0;
	;;#ASMEND
	;;#ASMSTART
	v_cvt_f32_f16 v2, v2;
	;;#ASMEND
	;; [unrolled: 3-line block ×4, first 2 shown]
	s_nop 0
	v_fmac_f32_e32 v17, v0, v3
	v_fmac_f32_e32 v50, v2, v4
	v_lshrrev_b32_e32 v0, 16, v1
	v_and_b32_e32 v1, 0xffff, v1
	v_accvgpr_read_b32 v2, a34
	;;#ASMSTART
	v_cvt_f32_f16 v1, v1;
	;;#ASMEND
	;;#ASMSTART
	v_cvt_f32_f16 v0, v0;
	;;#ASMEND
	v_and_b32_e32 v2, 0xffff, v2
	v_and_b32_e32 v3, 0xffff, v21
	;;#ASMSTART
	v_cvt_f32_f16 v2, v2;
	;;#ASMEND
	;;#ASMSTART
	v_cvt_f32_f16 v3, v3;
	;;#ASMEND
	s_nop 0
	v_fmac_f32_e32 v51, v1, v2
	v_fmac_f32_e32 v52, v0, v3
	v_add_f32_e32 v0, v17, v50
	v_add_f32_e32 v0, v0, v51
	v_accvgpr_read_b32 v3, a22
	v_add_f32_e32 v1, v52, v0
	v_and_b32_e32 v0, 64, v3
	v_xor_b32_e32 v2, 1, v3
	v_add_u32_e32 v0, 64, v0
	v_cmp_lt_i32_e32 vcc, v2, v0
	s_nop 1
	v_cndmask_b32_e32 v2, v3, v2, vcc
	v_lshlrev_b32_e32 v2, 2, v2
	ds_bpermute_b32 v2, v2, v1
	s_mov_b64 s[28:29], exec
	s_and_b64 vcc, s[28:29], s[2:3]
	v_accvgpr_read_b32 v7, a33
	s_mov_b64 exec, vcc
	s_cbranch_execz .LBB284_8
; %bb.522:                              ;   in Loop: Header=BB284_9 Depth=1
	scratch_load_dword v3, off, s32 offset:364 ; 4-byte Folded Reload
	scratch_load_dword v4, off, s32 offset:360 ; 4-byte Folded Reload
	s_waitcnt lgkmcnt(0)
	v_add_f32_e32 v1, v1, v2
	scratch_load_dword v2, off, s32 offset:352 ; 4-byte Folded Reload
	v_accvgpr_read_b32 v6, a31
	s_load_dword vcc_lo, s[8:9], 0x0
	s_waitcnt vmcnt(2)
	v_add_u32_e32 v3, v3, v6
	v_cvt_f32_i32_e32 v3, v3
	s_waitcnt vmcnt(0)
	v_mul_f32_e32 v2, v2, v3
	v_cndmask_b32_e64 v2, 0, v2, s[4:5]
	v_accvgpr_read_b32 v3, a32
	v_fmac_f32_e32 v2, v1, v4
	v_accvgpr_read_b32 v4, a8
	s_waitcnt lgkmcnt(0)
	v_add_u32_e32 v3, vcc_lo, v3
	v_cmp_lt_i32_e32 vcc, v6, v4
	s_nop 1
	v_cndmask_b32_e32 v1, 0, v2, vcc
	ds_write_b32 v3, v1
	scratch_load_dword v3, off, s32 offset:328 ; 4-byte Folded Reload
	s_waitcnt vmcnt(0)
	v_max_f32_e32 v1, v3, v3
	v_max_f32_e32 v1, v1, v2
	v_cndmask_b32_e32 v3, v3, v1, vcc
	scratch_store_dword off, v3, s32 offset:328 ; 4-byte Folded Spill
	s_branch .LBB284_8
.LBB284_523:                            ;   in Loop: Header=BB284_9 Depth=1
	v_cmp_eq_u16_sdwa s[38:39], v8, s36 src0_sel:BYTE_0 src1_sel:DWORD
	s_mov_b64 s[28:29], -1
                                        ; implicit-def: $sgpr34
	s_and_saveexec_b64 s[30:31], s[38:39]
; %bb.524:                              ;   in Loop: Header=BB284_9 Depth=1
	s_mov_b32 s34, 0x7fc02000
	s_xor_b64 s[28:29], exec, -1
; %bb.525:                              ;   in Loop: Header=BB284_9 Depth=1
	s_or_b64 exec, exec, s[30:31]
	s_and_b64 s[28:29], s[28:29], exec
	s_or_saveexec_b64 vcc, vcc
	v_mov_b32_e32 v1, s34
	s_xor_b64 exec, exec, vcc
	s_cbranch_execz .LBB284_11
.LBB284_526:                            ;   in Loop: Header=BB284_9 Depth=1
	v_cmp_ne_u16_sdwa s[30:31], v8, v5 src0_sel:BYTE_0 src1_sel:DWORD
	s_andn2_b64 s[28:29], s[28:29], exec
	s_and_b64 s[30:31], s[30:31], exec
	v_mov_b32_e32 v1, 0
	s_or_b64 s[28:29], s[28:29], s[30:31]
	s_or_b64 exec, exec, vcc
	s_and_saveexec_b64 s[30:31], s[28:29]
	s_cbranch_execnz .LBB284_12
	s_branch .LBB284_13
.LBB284_527:                            ;   in Loop: Header=BB284_9 Depth=1
	v_cmp_eq_u16_e32 vcc, s36, v4
	s_mov_b64 s[28:29], -1
                                        ; implicit-def: $sgpr38
	s_and_saveexec_b64 s[34:35], vcc
; %bb.528:                              ;   in Loop: Header=BB284_9 Depth=1
	s_mov_b32 s38, 0x7fc02000
	s_xor_b64 s[28:29], exec, -1
; %bb.529:                              ;   in Loop: Header=BB284_9 Depth=1
	s_or_b64 exec, exec, s[34:35]
	s_and_b64 s[28:29], s[28:29], exec
	s_or_saveexec_b64 s[30:31], s[30:31]
	v_mov_b32_e32 v61, s38
	s_xor_b64 exec, exec, s[30:31]
	s_cbranch_execz .LBB284_15
.LBB284_530:                            ;   in Loop: Header=BB284_9 Depth=1
	v_cmp_ne_u16_e32 vcc, 0, v4
	s_andn2_b64 s[28:29], s[28:29], exec
	s_and_b64 vcc, vcc, exec
	v_mov_b32_e32 v61, 0
	s_or_b64 s[28:29], s[28:29], vcc
	s_or_b64 exec, exec, s[30:31]
	s_and_saveexec_b64 s[30:31], s[28:29]
	s_cbranch_execnz .LBB284_16
	s_branch .LBB284_17
.LBB284_531:                            ;   in Loop: Header=BB284_9 Depth=1
	v_cmp_eq_u16_sdwa s[38:39], v8, s36 src0_sel:BYTE_0 src1_sel:DWORD
	s_mov_b64 s[28:29], -1
                                        ; implicit-def: $sgpr34
	s_and_saveexec_b64 s[30:31], s[38:39]
; %bb.532:                              ;   in Loop: Header=BB284_9 Depth=1
	s_mov_b32 s34, 0x7fc02000
	s_xor_b64 s[28:29], exec, -1
; %bb.533:                              ;   in Loop: Header=BB284_9 Depth=1
	s_or_b64 exec, exec, s[30:31]
	s_and_b64 s[28:29], s[28:29], exec
	s_or_saveexec_b64 vcc, vcc
	v_mov_b32_e32 v1, s34
	s_xor_b64 exec, exec, vcc
	s_cbranch_execz .LBB284_35
.LBB284_534:                            ;   in Loop: Header=BB284_9 Depth=1
	v_cmp_ne_u16_sdwa s[30:31], v8, v5 src0_sel:BYTE_0 src1_sel:DWORD
	s_andn2_b64 s[28:29], s[28:29], exec
	s_and_b64 s[30:31], s[30:31], exec
	v_mov_b32_e32 v1, 0
	s_or_b64 s[28:29], s[28:29], s[30:31]
	s_or_b64 exec, exec, vcc
	s_and_saveexec_b64 s[30:31], s[28:29]
	s_cbranch_execnz .LBB284_36
	s_branch .LBB284_37
.LBB284_535:                            ;   in Loop: Header=BB284_9 Depth=1
	v_cmp_eq_u16_sdwa s[38:39], v8, s36 src0_sel:BYTE_0 src1_sel:DWORD
	s_mov_b64 s[28:29], -1
                                        ; implicit-def: $sgpr34
	s_and_saveexec_b64 s[30:31], s[38:39]
; %bb.536:                              ;   in Loop: Header=BB284_9 Depth=1
	s_mov_b32 s34, 0x7fc02000
	s_xor_b64 s[28:29], exec, -1
; %bb.537:                              ;   in Loop: Header=BB284_9 Depth=1
	s_or_b64 exec, exec, s[30:31]
	s_and_b64 s[28:29], s[28:29], exec
	s_or_saveexec_b64 vcc, vcc
	v_mov_b32_e32 v1, s34
	s_xor_b64 exec, exec, vcc
	s_cbranch_execz .LBB284_63
.LBB284_538:                            ;   in Loop: Header=BB284_9 Depth=1
	v_cmp_ne_u16_sdwa s[30:31], v8, v5 src0_sel:BYTE_0 src1_sel:DWORD
	s_andn2_b64 s[28:29], s[28:29], exec
	s_and_b64 s[30:31], s[30:31], exec
	v_mov_b32_e32 v1, 0
	s_or_b64 s[28:29], s[28:29], s[30:31]
	s_or_b64 exec, exec, vcc
	s_and_saveexec_b64 s[30:31], s[28:29]
	s_cbranch_execnz .LBB284_64
	s_branch .LBB284_65
.LBB284_539:                            ;   in Loop: Header=BB284_9 Depth=1
	v_cmp_eq_u16_e32 vcc, s36, v4
	s_mov_b64 s[28:29], -1
                                        ; implicit-def: $sgpr38
	s_and_saveexec_b64 s[34:35], vcc
; %bb.540:                              ;   in Loop: Header=BB284_9 Depth=1
	s_mov_b32 s38, 0x7fc02000
	s_xor_b64 s[28:29], exec, -1
; %bb.541:                              ;   in Loop: Header=BB284_9 Depth=1
	s_or_b64 exec, exec, s[34:35]
	s_and_b64 s[28:29], s[28:29], exec
	s_or_saveexec_b64 s[30:31], s[30:31]
	v_mov_b32_e32 v59, s38
	s_xor_b64 exec, exec, s[30:31]
	s_cbranch_execz .LBB284_67
.LBB284_542:                            ;   in Loop: Header=BB284_9 Depth=1
	v_cmp_ne_u16_e32 vcc, 0, v4
	s_andn2_b64 s[28:29], s[28:29], exec
	s_and_b64 vcc, vcc, exec
	v_mov_b32_e32 v59, 0
	s_or_b64 s[28:29], s[28:29], vcc
	s_or_b64 exec, exec, s[30:31]
	s_and_saveexec_b64 s[30:31], s[28:29]
	s_cbranch_execnz .LBB284_68
	s_branch .LBB284_69
.LBB284_543:                            ;   in Loop: Header=BB284_9 Depth=1
	v_cmp_eq_u16_sdwa s[38:39], v8, s36 src0_sel:BYTE_0 src1_sel:DWORD
	s_mov_b64 s[28:29], -1
                                        ; implicit-def: $sgpr34
	s_and_saveexec_b64 s[30:31], s[38:39]
; %bb.544:                              ;   in Loop: Header=BB284_9 Depth=1
	s_mov_b32 s34, 0x7fc02000
	s_xor_b64 s[28:29], exec, -1
; %bb.545:                              ;   in Loop: Header=BB284_9 Depth=1
	s_or_b64 exec, exec, s[30:31]
	s_and_b64 s[28:29], s[28:29], exec
	s_or_saveexec_b64 vcc, vcc
	v_mov_b32_e32 v1, s34
	s_xor_b64 exec, exec, vcc
	s_cbranch_execz .LBB284_87
.LBB284_546:                            ;   in Loop: Header=BB284_9 Depth=1
	v_cmp_ne_u16_sdwa s[30:31], v8, v5 src0_sel:BYTE_0 src1_sel:DWORD
	s_andn2_b64 s[28:29], s[28:29], exec
	s_and_b64 s[30:31], s[30:31], exec
	v_mov_b32_e32 v1, 0
	s_or_b64 s[28:29], s[28:29], s[30:31]
	s_or_b64 exec, exec, vcc
	s_and_saveexec_b64 s[30:31], s[28:29]
	s_cbranch_execnz .LBB284_88
	s_branch .LBB284_89
.LBB284_547:                            ;   in Loop: Header=BB284_9 Depth=1
	v_cmp_eq_u16_sdwa s[38:39], v8, s36 src0_sel:BYTE_0 src1_sel:DWORD
	s_mov_b64 s[28:29], -1
                                        ; implicit-def: $sgpr34
	s_and_saveexec_b64 s[30:31], s[38:39]
; %bb.548:                              ;   in Loop: Header=BB284_9 Depth=1
	s_mov_b32 s34, 0x7fc02000
	s_xor_b64 s[28:29], exec, -1
; %bb.549:                              ;   in Loop: Header=BB284_9 Depth=1
	s_or_b64 exec, exec, s[30:31]
	s_and_b64 s[28:29], s[28:29], exec
	s_or_saveexec_b64 vcc, vcc
	v_mov_b32_e32 v1, s34
	s_xor_b64 exec, exec, vcc
	s_cbranch_execz .LBB284_115
.LBB284_550:                            ;   in Loop: Header=BB284_9 Depth=1
	v_cmp_ne_u16_sdwa s[30:31], v8, v5 src0_sel:BYTE_0 src1_sel:DWORD
	s_andn2_b64 s[28:29], s[28:29], exec
	s_and_b64 s[30:31], s[30:31], exec
	v_mov_b32_e32 v1, 0
	s_or_b64 s[28:29], s[28:29], s[30:31]
	s_or_b64 exec, exec, vcc
	s_and_saveexec_b64 s[30:31], s[28:29]
	s_cbranch_execnz .LBB284_116
	s_branch .LBB284_117
.LBB284_551:                            ;   in Loop: Header=BB284_9 Depth=1
	v_cmp_eq_u16_sdwa s[38:39], v8, s36 src0_sel:BYTE_0 src1_sel:DWORD
	s_mov_b64 s[28:29], -1
                                        ; implicit-def: $sgpr34
	s_and_saveexec_b64 s[30:31], s[38:39]
; %bb.552:                              ;   in Loop: Header=BB284_9 Depth=1
	s_mov_b32 s34, 0x7fc02000
	s_xor_b64 s[28:29], exec, -1
; %bb.553:                              ;   in Loop: Header=BB284_9 Depth=1
	s_or_b64 exec, exec, s[30:31]
	s_and_b64 s[28:29], s[28:29], exec
	s_or_saveexec_b64 vcc, vcc
	v_mov_b32_e32 v1, s34
	s_xor_b64 exec, exec, vcc
	s_cbranch_execz .LBB284_143
.LBB284_554:                            ;   in Loop: Header=BB284_9 Depth=1
	v_cmp_ne_u16_sdwa s[30:31], v8, v5 src0_sel:BYTE_0 src1_sel:DWORD
	s_andn2_b64 s[28:29], s[28:29], exec
	s_and_b64 s[30:31], s[30:31], exec
	v_mov_b32_e32 v1, 0
	s_or_b64 s[28:29], s[28:29], s[30:31]
	s_or_b64 exec, exec, vcc
	s_and_saveexec_b64 s[30:31], s[28:29]
	s_cbranch_execnz .LBB284_144
	s_branch .LBB284_145
.LBB284_555:                            ;   in Loop: Header=BB284_9 Depth=1
	v_cmp_eq_u16_sdwa s[38:39], v8, s36 src0_sel:BYTE_0 src1_sel:DWORD
	s_mov_b64 s[28:29], -1
                                        ; implicit-def: $sgpr34
	s_and_saveexec_b64 s[30:31], s[38:39]
; %bb.556:                              ;   in Loop: Header=BB284_9 Depth=1
	s_mov_b32 s34, 0x7fc02000
	s_xor_b64 s[28:29], exec, -1
; %bb.557:                              ;   in Loop: Header=BB284_9 Depth=1
	s_or_b64 exec, exec, s[30:31]
	s_and_b64 s[28:29], s[28:29], exec
	s_or_saveexec_b64 vcc, vcc
	v_mov_b32_e32 v1, s34
	s_xor_b64 exec, exec, vcc
	s_cbranch_execz .LBB284_171
.LBB284_558:                            ;   in Loop: Header=BB284_9 Depth=1
	v_cmp_ne_u16_sdwa s[30:31], v8, v5 src0_sel:BYTE_0 src1_sel:DWORD
	s_andn2_b64 s[28:29], s[28:29], exec
	s_and_b64 s[30:31], s[30:31], exec
	v_mov_b32_e32 v1, 0
	s_or_b64 s[28:29], s[28:29], s[30:31]
	s_or_b64 exec, exec, vcc
	s_and_saveexec_b64 s[30:31], s[28:29]
	s_cbranch_execnz .LBB284_172
	s_branch .LBB284_173
.LBB284_559:                            ;   in Loop: Header=BB284_9 Depth=1
	v_cmp_eq_u16_sdwa s[38:39], v8, s36 src0_sel:BYTE_0 src1_sel:DWORD
	s_mov_b64 s[28:29], -1
                                        ; implicit-def: $sgpr34
	s_and_saveexec_b64 s[30:31], s[38:39]
; %bb.560:                              ;   in Loop: Header=BB284_9 Depth=1
	s_mov_b32 s34, 0x7fc02000
	s_xor_b64 s[28:29], exec, -1
; %bb.561:                              ;   in Loop: Header=BB284_9 Depth=1
	s_or_b64 exec, exec, s[30:31]
	s_and_b64 s[28:29], s[28:29], exec
	s_or_saveexec_b64 vcc, vcc
	v_mov_b32_e32 v1, s34
	s_xor_b64 exec, exec, vcc
	s_cbranch_execz .LBB284_199
.LBB284_562:                            ;   in Loop: Header=BB284_9 Depth=1
	v_cmp_ne_u16_sdwa s[30:31], v8, v5 src0_sel:BYTE_0 src1_sel:DWORD
	s_andn2_b64 s[28:29], s[28:29], exec
	s_and_b64 s[30:31], s[30:31], exec
	v_mov_b32_e32 v1, 0
	s_or_b64 s[28:29], s[28:29], s[30:31]
	s_or_b64 exec, exec, vcc
	s_and_saveexec_b64 s[30:31], s[28:29]
	s_cbranch_execnz .LBB284_200
	s_branch .LBB284_201
.LBB284_563:                            ;   in Loop: Header=BB284_9 Depth=1
	v_cmp_eq_u16_sdwa s[38:39], v8, s36 src0_sel:BYTE_0 src1_sel:DWORD
	s_mov_b64 s[28:29], -1
                                        ; implicit-def: $sgpr34
	s_and_saveexec_b64 s[30:31], s[38:39]
; %bb.564:                              ;   in Loop: Header=BB284_9 Depth=1
	s_mov_b32 s34, 0x7fc02000
	s_xor_b64 s[28:29], exec, -1
; %bb.565:                              ;   in Loop: Header=BB284_9 Depth=1
	s_or_b64 exec, exec, s[30:31]
	s_and_b64 s[28:29], s[28:29], exec
	s_or_saveexec_b64 vcc, vcc
	v_mov_b32_e32 v1, s34
	s_xor_b64 exec, exec, vcc
	s_cbranch_execz .LBB284_227
.LBB284_566:                            ;   in Loop: Header=BB284_9 Depth=1
	v_cmp_ne_u16_sdwa s[30:31], v8, v5 src0_sel:BYTE_0 src1_sel:DWORD
	s_andn2_b64 s[28:29], s[28:29], exec
	s_and_b64 s[30:31], s[30:31], exec
	v_mov_b32_e32 v1, 0
	s_or_b64 s[28:29], s[28:29], s[30:31]
	s_or_b64 exec, exec, vcc
	s_and_saveexec_b64 s[30:31], s[28:29]
	s_cbranch_execnz .LBB284_228
	s_branch .LBB284_229
.LBB284_567:                            ;   in Loop: Header=BB284_9 Depth=1
	v_cmp_eq_u16_e32 vcc, s36, v4
	s_mov_b64 s[28:29], -1
                                        ; implicit-def: $sgpr38
	s_and_saveexec_b64 s[34:35], vcc
; %bb.568:                              ;   in Loop: Header=BB284_9 Depth=1
	s_mov_b32 s38, 0x7fc02000
	s_xor_b64 s[28:29], exec, -1
; %bb.569:                              ;   in Loop: Header=BB284_9 Depth=1
	s_or_b64 exec, exec, s[34:35]
	s_and_b64 s[28:29], s[28:29], exec
	s_or_saveexec_b64 s[30:31], s[30:31]
	v_mov_b32_e32 v62, s38
	s_xor_b64 exec, exec, s[30:31]
	s_cbranch_execz .LBB284_295
.LBB284_570:                            ;   in Loop: Header=BB284_9 Depth=1
	v_cmp_ne_u16_e32 vcc, 0, v4
	s_andn2_b64 s[28:29], s[28:29], exec
	s_and_b64 vcc, vcc, exec
	v_mov_b32_e32 v62, 0
	s_or_b64 s[28:29], s[28:29], vcc
	s_or_b64 exec, exec, s[30:31]
	s_and_saveexec_b64 s[30:31], s[28:29]
	s_cbranch_execnz .LBB284_296
	s_branch .LBB284_297
.LBB284_571:                            ;   in Loop: Header=BB284_9 Depth=1
	v_cmp_eq_u16_sdwa s[38:39], v8, s36 src0_sel:BYTE_0 src1_sel:DWORD
	s_mov_b64 s[28:29], -1
                                        ; implicit-def: $sgpr34
	s_and_saveexec_b64 s[30:31], s[38:39]
; %bb.572:                              ;   in Loop: Header=BB284_9 Depth=1
	s_mov_b32 s34, 0x7fc02000
	s_xor_b64 s[28:29], exec, -1
; %bb.573:                              ;   in Loop: Header=BB284_9 Depth=1
	s_or_b64 exec, exec, s[30:31]
	s_and_b64 s[28:29], s[28:29], exec
	s_or_saveexec_b64 vcc, vcc
	v_mov_b32_e32 v1, s34
	s_xor_b64 exec, exec, vcc
	s_cbranch_execz .LBB284_315
.LBB284_574:                            ;   in Loop: Header=BB284_9 Depth=1
	v_cmp_ne_u16_sdwa s[30:31], v8, v5 src0_sel:BYTE_0 src1_sel:DWORD
	s_andn2_b64 s[28:29], s[28:29], exec
	s_and_b64 s[30:31], s[30:31], exec
	v_mov_b32_e32 v1, 0
	s_or_b64 s[28:29], s[28:29], s[30:31]
	s_or_b64 exec, exec, vcc
	s_and_saveexec_b64 s[30:31], s[28:29]
	s_cbranch_execnz .LBB284_316
	s_branch .LBB284_317
.LBB284_575:                            ;   in Loop: Header=BB284_9 Depth=1
	v_cmp_eq_u16_e32 vcc, s36, v4
	s_mov_b64 s[28:29], -1
                                        ; implicit-def: $sgpr38
	s_and_saveexec_b64 s[34:35], vcc
; %bb.576:                              ;   in Loop: Header=BB284_9 Depth=1
	s_mov_b32 s38, 0x7fc02000
	s_xor_b64 s[28:29], exec, -1
; %bb.577:                              ;   in Loop: Header=BB284_9 Depth=1
	s_or_b64 exec, exec, s[34:35]
	s_and_b64 s[28:29], s[28:29], exec
	s_or_saveexec_b64 s[30:31], s[30:31]
	v_mov_b32_e32 v47, s38
	s_xor_b64 exec, exec, s[30:31]
	s_cbranch_execz .LBB284_319
.LBB284_578:                            ;   in Loop: Header=BB284_9 Depth=1
	v_cmp_ne_u16_e32 vcc, 0, v4
	s_andn2_b64 s[28:29], s[28:29], exec
	s_and_b64 vcc, vcc, exec
	v_mov_b32_e32 v47, 0
	s_or_b64 s[28:29], s[28:29], vcc
	s_or_b64 exec, exec, s[30:31]
	s_and_saveexec_b64 s[30:31], s[28:29]
	s_cbranch_execnz .LBB284_320
	s_branch .LBB284_321
.LBB284_579:                            ;   in Loop: Header=BB284_9 Depth=1
	v_cmp_eq_u16_sdwa s[38:39], v4, s36 src0_sel:BYTE_0 src1_sel:DWORD
	s_mov_b64 s[28:29], -1
                                        ; implicit-def: $sgpr34
	s_and_saveexec_b64 s[30:31], s[38:39]
; %bb.580:                              ;   in Loop: Header=BB284_9 Depth=1
	s_mov_b32 s34, 0x7fc02000
	s_xor_b64 s[28:29], exec, -1
; %bb.581:                              ;   in Loop: Header=BB284_9 Depth=1
	s_or_b64 exec, exec, s[30:31]
	s_and_b64 s[28:29], s[28:29], exec
	s_or_saveexec_b64 vcc, vcc
	v_mov_b32_e32 v51, s34
	s_xor_b64 exec, exec, vcc
	s_cbranch_execz .LBB284_323
.LBB284_582:                            ;   in Loop: Header=BB284_9 Depth=1
	v_cmp_ne_u16_sdwa s[30:31], v4, v5 src0_sel:BYTE_0 src1_sel:DWORD
	s_andn2_b64 s[28:29], s[28:29], exec
	s_and_b64 s[30:31], s[30:31], exec
	v_mov_b32_e32 v51, 0
	s_or_b64 s[28:29], s[28:29], s[30:31]
	s_or_b64 exec, exec, vcc
	s_and_saveexec_b64 s[30:31], s[28:29]
	s_cbranch_execnz .LBB284_324
	s_branch .LBB284_325
.LBB284_583:                            ;   in Loop: Header=BB284_9 Depth=1
	v_cmp_eq_u16_e32 vcc, s36, v4
	s_mov_b64 s[28:29], -1
                                        ; implicit-def: $sgpr38
	s_and_saveexec_b64 s[34:35], vcc
; %bb.584:                              ;   in Loop: Header=BB284_9 Depth=1
	s_mov_b32 s38, 0x7fc02000
	s_xor_b64 s[28:29], exec, -1
; %bb.585:                              ;   in Loop: Header=BB284_9 Depth=1
	s_or_b64 exec, exec, s[34:35]
	s_and_b64 s[28:29], s[28:29], exec
	s_or_saveexec_b64 s[30:31], s[30:31]
	v_mov_b32_e32 v52, s38
	s_xor_b64 exec, exec, s[30:31]
	s_cbranch_execz .LBB284_327
.LBB284_586:                            ;   in Loop: Header=BB284_9 Depth=1
	v_cmp_ne_u16_e32 vcc, 0, v4
	s_andn2_b64 s[28:29], s[28:29], exec
	s_and_b64 vcc, vcc, exec
	v_mov_b32_e32 v52, 0
	s_or_b64 s[28:29], s[28:29], vcc
	s_or_b64 exec, exec, s[30:31]
	s_and_saveexec_b64 s[30:31], s[28:29]
	s_cbranch_execnz .LBB284_328
	s_branch .LBB284_329
.LBB284_587:                            ;   in Loop: Header=BB284_9 Depth=1
	v_cmp_eq_u16_sdwa s[38:39], v8, s36 src0_sel:BYTE_0 src1_sel:DWORD
	s_mov_b64 s[28:29], -1
                                        ; implicit-def: $sgpr34
	s_and_saveexec_b64 s[30:31], s[38:39]
; %bb.588:                              ;   in Loop: Header=BB284_9 Depth=1
	s_mov_b32 s34, 0x7fc02000
	s_xor_b64 s[28:29], exec, -1
; %bb.589:                              ;   in Loop: Header=BB284_9 Depth=1
	s_or_b64 exec, exec, s[30:31]
	s_and_b64 s[28:29], s[28:29], exec
	s_or_saveexec_b64 vcc, vcc
	v_mov_b32_e32 v17, s34
	s_xor_b64 exec, exec, vcc
	s_cbranch_execz .LBB284_331
.LBB284_590:                            ;   in Loop: Header=BB284_9 Depth=1
	v_cmp_ne_u16_sdwa s[30:31], v8, v5 src0_sel:BYTE_0 src1_sel:DWORD
	s_andn2_b64 s[28:29], s[28:29], exec
	s_and_b64 s[30:31], s[30:31], exec
	v_mov_b32_e32 v17, 0
	s_or_b64 s[28:29], s[28:29], s[30:31]
	s_or_b64 exec, exec, vcc
	s_and_saveexec_b64 s[30:31], s[28:29]
	s_cbranch_execnz .LBB284_332
	s_branch .LBB284_333
.LBB284_591:                            ;   in Loop: Header=BB284_9 Depth=1
	v_cmp_eq_u16_e32 vcc, s36, v4
	s_mov_b64 s[28:29], -1
                                        ; implicit-def: $sgpr38
	s_and_saveexec_b64 s[34:35], vcc
; %bb.592:                              ;   in Loop: Header=BB284_9 Depth=1
	s_mov_b32 s38, 0x7fc02000
	s_xor_b64 s[28:29], exec, -1
; %bb.593:                              ;   in Loop: Header=BB284_9 Depth=1
	s_or_b64 exec, exec, s[34:35]
	s_and_b64 s[28:29], s[28:29], exec
	s_or_saveexec_b64 s[30:31], s[30:31]
	v_mov_b32_e32 v10, s38
	s_xor_b64 exec, exec, s[30:31]
	s_cbranch_execz .LBB284_335
.LBB284_594:                            ;   in Loop: Header=BB284_9 Depth=1
	v_cmp_ne_u16_e32 vcc, 0, v4
	s_andn2_b64 s[28:29], s[28:29], exec
	s_and_b64 vcc, vcc, exec
	v_mov_b32_e32 v10, 0
	s_or_b64 s[28:29], s[28:29], vcc
	s_or_b64 exec, exec, s[30:31]
	s_and_saveexec_b64 s[30:31], s[28:29]
	s_cbranch_execnz .LBB284_336
	s_branch .LBB284_337
.LBB284_595:                            ;   in Loop: Header=BB284_9 Depth=1
	v_cmp_eq_u16_sdwa s[38:39], v4, s36 src0_sel:BYTE_0 src1_sel:DWORD
	s_mov_b64 s[28:29], -1
                                        ; implicit-def: $sgpr34
	s_and_saveexec_b64 s[30:31], s[38:39]
; %bb.596:                              ;   in Loop: Header=BB284_9 Depth=1
	s_mov_b32 s34, 0x7fc02000
	s_xor_b64 s[28:29], exec, -1
; %bb.597:                              ;   in Loop: Header=BB284_9 Depth=1
	s_or_b64 exec, exec, s[30:31]
	s_and_b64 s[28:29], s[28:29], exec
	s_or_saveexec_b64 vcc, vcc
	v_mov_b32_e32 v53, s34
	s_xor_b64 exec, exec, vcc
	s_cbranch_execz .LBB284_339
.LBB284_598:                            ;   in Loop: Header=BB284_9 Depth=1
	v_cmp_ne_u16_sdwa s[30:31], v4, v5 src0_sel:BYTE_0 src1_sel:DWORD
	s_andn2_b64 s[28:29], s[28:29], exec
	s_and_b64 s[30:31], s[30:31], exec
	v_mov_b32_e32 v53, 0
	s_or_b64 s[28:29], s[28:29], s[30:31]
	s_or_b64 exec, exec, vcc
	s_and_saveexec_b64 s[30:31], s[28:29]
	s_cbranch_execnz .LBB284_340
	s_branch .LBB284_341
.LBB284_599:                            ;   in Loop: Header=BB284_9 Depth=1
	v_cmp_eq_u16_e32 vcc, s36, v4
	s_mov_b64 s[28:29], -1
                                        ; implicit-def: $sgpr38
	s_and_saveexec_b64 s[34:35], vcc
; %bb.600:                              ;   in Loop: Header=BB284_9 Depth=1
	s_mov_b32 s38, 0x7fc02000
	s_xor_b64 s[28:29], exec, -1
; %bb.601:                              ;   in Loop: Header=BB284_9 Depth=1
	s_or_b64 exec, exec, s[34:35]
	s_and_b64 s[28:29], s[28:29], exec
	s_or_saveexec_b64 s[30:31], s[30:31]
	v_mov_b32_e32 v11, s38
	s_xor_b64 exec, exec, s[30:31]
	s_cbranch_execz .LBB284_343
.LBB284_602:                            ;   in Loop: Header=BB284_9 Depth=1
	v_cmp_ne_u16_e32 vcc, 0, v4
	s_andn2_b64 s[28:29], s[28:29], exec
	s_and_b64 vcc, vcc, exec
	v_mov_b32_e32 v11, 0
	s_or_b64 s[28:29], s[28:29], vcc
	s_or_b64 exec, exec, s[30:31]
	s_and_saveexec_b64 s[30:31], s[28:29]
	s_cbranch_execnz .LBB284_344
	s_branch .LBB284_345
.LBB284_603:                            ;   in Loop: Header=BB284_9 Depth=1
	v_cmp_eq_u16_sdwa s[38:39], v8, s36 src0_sel:BYTE_0 src1_sel:DWORD
	s_mov_b64 s[28:29], -1
                                        ; implicit-def: $sgpr34
	s_and_saveexec_b64 s[30:31], s[38:39]
; %bb.604:                              ;   in Loop: Header=BB284_9 Depth=1
	s_mov_b32 s34, 0x7fc02000
	s_xor_b64 s[28:29], exec, -1
; %bb.605:                              ;   in Loop: Header=BB284_9 Depth=1
	s_or_b64 exec, exec, s[30:31]
	s_and_b64 s[28:29], s[28:29], exec
	s_or_saveexec_b64 vcc, vcc
	v_mov_b32_e32 v49, s34
	s_xor_b64 exec, exec, vcc
	s_cbranch_execz .LBB284_347
.LBB284_606:                            ;   in Loop: Header=BB284_9 Depth=1
	v_cmp_ne_u16_sdwa s[30:31], v8, v5 src0_sel:BYTE_0 src1_sel:DWORD
	s_andn2_b64 s[28:29], s[28:29], exec
	s_and_b64 s[30:31], s[30:31], exec
	v_mov_b32_e32 v49, 0
	s_or_b64 s[28:29], s[28:29], s[30:31]
	s_or_b64 exec, exec, vcc
	s_and_saveexec_b64 s[30:31], s[28:29]
	s_cbranch_execnz .LBB284_348
	s_branch .LBB284_349
.LBB284_607:                            ;   in Loop: Header=BB284_9 Depth=1
	v_cmp_eq_u16_e32 vcc, s36, v4
	s_mov_b64 s[28:29], -1
                                        ; implicit-def: $sgpr38
	s_and_saveexec_b64 s[34:35], vcc
; %bb.608:                              ;   in Loop: Header=BB284_9 Depth=1
	s_mov_b32 s38, 0x7fc02000
	s_xor_b64 s[28:29], exec, -1
; %bb.609:                              ;   in Loop: Header=BB284_9 Depth=1
	s_or_b64 exec, exec, s[34:35]
	s_and_b64 s[28:29], s[28:29], exec
	s_or_saveexec_b64 s[30:31], s[30:31]
	v_mov_b32_e32 v40, s38
	s_xor_b64 exec, exec, s[30:31]
	s_cbranch_execz .LBB284_351
.LBB284_610:                            ;   in Loop: Header=BB284_9 Depth=1
	v_cmp_ne_u16_e32 vcc, 0, v4
	s_andn2_b64 s[28:29], s[28:29], exec
	s_and_b64 vcc, vcc, exec
	v_mov_b32_e32 v40, 0
	s_or_b64 s[28:29], s[28:29], vcc
	s_or_b64 exec, exec, s[30:31]
	s_and_saveexec_b64 s[30:31], s[28:29]
	s_cbranch_execnz .LBB284_352
	s_branch .LBB284_353
.LBB284_611:                            ;   in Loop: Header=BB284_9 Depth=1
	v_cmp_eq_u16_sdwa s[38:39], v4, s36 src0_sel:BYTE_0 src1_sel:DWORD
	s_mov_b64 s[28:29], -1
                                        ; implicit-def: $sgpr34
	s_and_saveexec_b64 s[30:31], s[38:39]
; %bb.612:                              ;   in Loop: Header=BB284_9 Depth=1
	s_mov_b32 s34, 0x7fc02000
	s_xor_b64 s[28:29], exec, -1
; %bb.613:                              ;   in Loop: Header=BB284_9 Depth=1
	s_or_b64 exec, exec, s[30:31]
	s_and_b64 s[28:29], s[28:29], exec
	s_or_saveexec_b64 vcc, vcc
	v_mov_b32_e32 v54, s34
	s_xor_b64 exec, exec, vcc
	s_cbranch_execz .LBB284_355
.LBB284_614:                            ;   in Loop: Header=BB284_9 Depth=1
	v_cmp_ne_u16_sdwa s[30:31], v4, v5 src0_sel:BYTE_0 src1_sel:DWORD
	s_andn2_b64 s[28:29], s[28:29], exec
	s_and_b64 s[30:31], s[30:31], exec
	v_mov_b32_e32 v54, 0
	s_or_b64 s[28:29], s[28:29], s[30:31]
	s_or_b64 exec, exec, vcc
	s_and_saveexec_b64 s[30:31], s[28:29]
	s_cbranch_execnz .LBB284_356
	s_branch .LBB284_357
.LBB284_615:                            ;   in Loop: Header=BB284_9 Depth=1
	v_cmp_eq_u16_e32 vcc, s36, v4
	s_mov_b64 s[28:29], -1
                                        ; implicit-def: $sgpr38
	s_and_saveexec_b64 s[34:35], vcc
; %bb.616:                              ;   in Loop: Header=BB284_9 Depth=1
	s_mov_b32 s38, 0x7fc02000
	s_xor_b64 s[28:29], exec, -1
; %bb.617:                              ;   in Loop: Header=BB284_9 Depth=1
	s_or_b64 exec, exec, s[34:35]
	s_and_b64 s[28:29], s[28:29], exec
	s_or_saveexec_b64 s[30:31], s[30:31]
	v_mov_b32_e32 v56, s38
	s_xor_b64 exec, exec, s[30:31]
	s_cbranch_execz .LBB284_359
.LBB284_618:                            ;   in Loop: Header=BB284_9 Depth=1
	v_cmp_ne_u16_e32 vcc, 0, v4
	s_andn2_b64 s[28:29], s[28:29], exec
	s_and_b64 vcc, vcc, exec
	v_mov_b32_e32 v56, 0
	s_or_b64 s[28:29], s[28:29], vcc
	s_or_b64 exec, exec, s[30:31]
	s_and_saveexec_b64 s[30:31], s[28:29]
	s_cbranch_execnz .LBB284_360
	s_branch .LBB284_361
.LBB284_619:                            ;   in Loop: Header=BB284_9 Depth=1
	v_cmp_eq_u16_sdwa s[38:39], v8, s36 src0_sel:BYTE_0 src1_sel:DWORD
	s_mov_b64 s[28:29], -1
                                        ; implicit-def: $sgpr34
	s_and_saveexec_b64 s[30:31], s[38:39]
; %bb.620:                              ;   in Loop: Header=BB284_9 Depth=1
	s_mov_b32 s34, 0x7fc02000
	s_xor_b64 s[28:29], exec, -1
; %bb.621:                              ;   in Loop: Header=BB284_9 Depth=1
	s_or_b64 exec, exec, s[30:31]
	s_and_b64 s[28:29], s[28:29], exec
	s_or_saveexec_b64 vcc, vcc
	v_mov_b32_e32 v38, s34
	s_xor_b64 exec, exec, vcc
	s_cbranch_execz .LBB284_363
.LBB284_622:                            ;   in Loop: Header=BB284_9 Depth=1
	v_cmp_ne_u16_sdwa s[30:31], v8, v5 src0_sel:BYTE_0 src1_sel:DWORD
	s_andn2_b64 s[28:29], s[28:29], exec
	s_and_b64 s[30:31], s[30:31], exec
	v_mov_b32_e32 v38, 0
	s_or_b64 s[28:29], s[28:29], s[30:31]
	s_or_b64 exec, exec, vcc
	s_and_saveexec_b64 s[30:31], s[28:29]
	s_cbranch_execnz .LBB284_364
	s_branch .LBB284_365
.LBB284_623:                            ;   in Loop: Header=BB284_9 Depth=1
	v_cmp_eq_u16_e32 vcc, s36, v4
	s_mov_b64 s[28:29], -1
                                        ; implicit-def: $sgpr38
	s_and_saveexec_b64 s[34:35], vcc
; %bb.624:                              ;   in Loop: Header=BB284_9 Depth=1
	s_mov_b32 s38, 0x7fc02000
	s_xor_b64 s[28:29], exec, -1
; %bb.625:                              ;   in Loop: Header=BB284_9 Depth=1
	s_or_b64 exec, exec, s[34:35]
	s_and_b64 s[28:29], s[28:29], exec
	s_or_saveexec_b64 s[30:31], s[30:31]
	v_mov_b32_e32 v39, s38
	s_xor_b64 exec, exec, s[30:31]
	s_cbranch_execz .LBB284_367
.LBB284_626:                            ;   in Loop: Header=BB284_9 Depth=1
	v_cmp_ne_u16_e32 vcc, 0, v4
	s_andn2_b64 s[28:29], s[28:29], exec
	s_and_b64 vcc, vcc, exec
	v_mov_b32_e32 v39, 0
	s_or_b64 s[28:29], s[28:29], vcc
	s_or_b64 exec, exec, s[30:31]
	s_and_saveexec_b64 s[30:31], s[28:29]
	s_cbranch_execnz .LBB284_368
	s_branch .LBB284_369
.LBB284_627:                            ;   in Loop: Header=BB284_9 Depth=1
	v_cmp_eq_u16_sdwa s[38:39], v4, s36 src0_sel:BYTE_0 src1_sel:DWORD
	s_mov_b64 s[28:29], -1
                                        ; implicit-def: $sgpr34
	s_and_saveexec_b64 s[30:31], s[38:39]
; %bb.628:                              ;   in Loop: Header=BB284_9 Depth=1
	s_mov_b32 s34, 0x7fc02000
	s_xor_b64 s[28:29], exec, -1
; %bb.629:                              ;   in Loop: Header=BB284_9 Depth=1
	s_or_b64 exec, exec, s[30:31]
	s_and_b64 s[28:29], s[28:29], exec
	s_or_saveexec_b64 vcc, vcc
	v_mov_b32_e32 v29, s34
	s_xor_b64 exec, exec, vcc
	s_cbranch_execz .LBB284_371
.LBB284_630:                            ;   in Loop: Header=BB284_9 Depth=1
	v_cmp_ne_u16_sdwa s[30:31], v4, v5 src0_sel:BYTE_0 src1_sel:DWORD
	s_andn2_b64 s[28:29], s[28:29], exec
	s_and_b64 s[30:31], s[30:31], exec
	v_mov_b32_e32 v29, 0
	s_or_b64 s[28:29], s[28:29], s[30:31]
	s_or_b64 exec, exec, vcc
	s_and_saveexec_b64 s[30:31], s[28:29]
	s_cbranch_execnz .LBB284_372
	s_branch .LBB284_373
.LBB284_631:                            ;   in Loop: Header=BB284_9 Depth=1
	v_cmp_eq_u16_e32 vcc, s36, v4
	s_mov_b64 s[28:29], -1
                                        ; implicit-def: $sgpr38
	s_and_saveexec_b64 s[34:35], vcc
; %bb.632:                              ;   in Loop: Header=BB284_9 Depth=1
	s_mov_b32 s38, 0x7fc02000
	s_xor_b64 s[28:29], exec, -1
; %bb.633:                              ;   in Loop: Header=BB284_9 Depth=1
	s_or_b64 exec, exec, s[34:35]
	s_and_b64 s[28:29], s[28:29], exec
	s_or_saveexec_b64 s[30:31], s[30:31]
	v_mov_b32_e32 v41, s38
	s_xor_b64 exec, exec, s[30:31]
	s_cbranch_execz .LBB284_375
.LBB284_634:                            ;   in Loop: Header=BB284_9 Depth=1
	v_cmp_ne_u16_e32 vcc, 0, v4
	s_andn2_b64 s[28:29], s[28:29], exec
	s_and_b64 vcc, vcc, exec
	v_mov_b32_e32 v41, 0
	s_or_b64 s[28:29], s[28:29], vcc
	s_or_b64 exec, exec, s[30:31]
	s_and_saveexec_b64 s[30:31], s[28:29]
	s_cbranch_execnz .LBB284_376
	s_branch .LBB284_377
.LBB284_635:                            ;   in Loop: Header=BB284_9 Depth=1
	v_cmp_eq_u16_sdwa s[38:39], v8, s36 src0_sel:BYTE_0 src1_sel:DWORD
	s_mov_b64 s[28:29], -1
                                        ; implicit-def: $sgpr34
	s_and_saveexec_b64 s[30:31], s[38:39]
; %bb.636:                              ;   in Loop: Header=BB284_9 Depth=1
	s_mov_b32 s34, 0x7fc02000
	s_xor_b64 s[28:29], exec, -1
; %bb.637:                              ;   in Loop: Header=BB284_9 Depth=1
	s_or_b64 exec, exec, s[30:31]
	s_and_b64 s[28:29], s[28:29], exec
	s_or_saveexec_b64 vcc, vcc
	v_mov_b32_e32 v19, s34
	s_xor_b64 exec, exec, vcc
	s_cbranch_execz .LBB284_379
.LBB284_638:                            ;   in Loop: Header=BB284_9 Depth=1
	v_cmp_ne_u16_sdwa s[30:31], v8, v5 src0_sel:BYTE_0 src1_sel:DWORD
	s_andn2_b64 s[28:29], s[28:29], exec
	s_and_b64 s[30:31], s[30:31], exec
	v_mov_b32_e32 v19, 0
	s_or_b64 s[28:29], s[28:29], s[30:31]
	s_or_b64 exec, exec, vcc
	s_and_saveexec_b64 s[30:31], s[28:29]
	s_cbranch_execnz .LBB284_380
	s_branch .LBB284_381
.LBB284_639:                            ;   in Loop: Header=BB284_9 Depth=1
	v_cmp_eq_u16_e32 vcc, s36, v4
	s_mov_b64 s[28:29], -1
                                        ; implicit-def: $sgpr38
	s_and_saveexec_b64 s[34:35], vcc
; %bb.640:                              ;   in Loop: Header=BB284_9 Depth=1
	s_mov_b32 s38, 0x7fc02000
	s_xor_b64 s[28:29], exec, -1
; %bb.641:                              ;   in Loop: Header=BB284_9 Depth=1
	s_or_b64 exec, exec, s[34:35]
	s_and_b64 s[28:29], s[28:29], exec
	s_or_saveexec_b64 s[30:31], s[30:31]
	v_mov_b32_e32 v15, s38
	s_xor_b64 exec, exec, s[30:31]
	s_cbranch_execz .LBB284_383
.LBB284_642:                            ;   in Loop: Header=BB284_9 Depth=1
	v_cmp_ne_u16_e32 vcc, 0, v4
	s_andn2_b64 s[28:29], s[28:29], exec
	s_and_b64 vcc, vcc, exec
	v_mov_b32_e32 v15, 0
	s_or_b64 s[28:29], s[28:29], vcc
	s_or_b64 exec, exec, s[30:31]
	s_and_saveexec_b64 s[30:31], s[28:29]
	s_cbranch_execnz .LBB284_384
	s_branch .LBB284_385
.LBB284_643:                            ;   in Loop: Header=BB284_9 Depth=1
	v_cmp_eq_u16_sdwa s[38:39], v4, s36 src0_sel:BYTE_0 src1_sel:DWORD
	s_mov_b64 s[28:29], -1
                                        ; implicit-def: $sgpr34
	s_and_saveexec_b64 s[30:31], s[38:39]
; %bb.644:                              ;   in Loop: Header=BB284_9 Depth=1
	s_mov_b32 s34, 0x7fc02000
	s_xor_b64 s[28:29], exec, -1
; %bb.645:                              ;   in Loop: Header=BB284_9 Depth=1
	s_or_b64 exec, exec, s[30:31]
	s_and_b64 s[28:29], s[28:29], exec
	s_or_saveexec_b64 vcc, vcc
	v_mov_b32_e32 v37, s34
	s_xor_b64 exec, exec, vcc
	s_cbranch_execz .LBB284_387
.LBB284_646:                            ;   in Loop: Header=BB284_9 Depth=1
	v_cmp_ne_u16_sdwa s[30:31], v4, v5 src0_sel:BYTE_0 src1_sel:DWORD
	s_andn2_b64 s[28:29], s[28:29], exec
	s_and_b64 s[30:31], s[30:31], exec
	v_mov_b32_e32 v37, 0
	s_or_b64 s[28:29], s[28:29], s[30:31]
	s_or_b64 exec, exec, vcc
	s_and_saveexec_b64 s[30:31], s[28:29]
	s_cbranch_execnz .LBB284_388
	s_branch .LBB284_389
.LBB284_647:                            ;   in Loop: Header=BB284_9 Depth=1
	v_cmp_eq_u16_e32 vcc, s36, v4
	s_mov_b64 s[28:29], -1
                                        ; implicit-def: $sgpr38
	s_and_saveexec_b64 s[34:35], vcc
; %bb.648:                              ;   in Loop: Header=BB284_9 Depth=1
	s_mov_b32 s38, 0x7fc02000
	s_xor_b64 s[28:29], exec, -1
; %bb.649:                              ;   in Loop: Header=BB284_9 Depth=1
	s_or_b64 exec, exec, s[34:35]
	s_and_b64 s[28:29], s[28:29], exec
	s_or_saveexec_b64 s[30:31], s[30:31]
	v_mov_b32_e32 v42, s38
	s_xor_b64 exec, exec, s[30:31]
	s_cbranch_execz .LBB284_391
.LBB284_650:                            ;   in Loop: Header=BB284_9 Depth=1
	v_cmp_ne_u16_e32 vcc, 0, v4
	s_andn2_b64 s[28:29], s[28:29], exec
	s_and_b64 vcc, vcc, exec
	v_mov_b32_e32 v42, 0
	s_or_b64 s[28:29], s[28:29], vcc
	s_or_b64 exec, exec, s[30:31]
	s_and_saveexec_b64 s[30:31], s[28:29]
	s_cbranch_execnz .LBB284_392
	s_branch .LBB284_393
.LBB284_651:                            ;   in Loop: Header=BB284_9 Depth=1
	v_cmp_eq_u16_sdwa s[38:39], v8, s36 src0_sel:BYTE_0 src1_sel:DWORD
	s_mov_b64 s[28:29], -1
                                        ; implicit-def: $sgpr34
	s_and_saveexec_b64 s[30:31], s[38:39]
; %bb.652:                              ;   in Loop: Header=BB284_9 Depth=1
	s_mov_b32 s34, 0x7fc02000
	s_xor_b64 s[28:29], exec, -1
; %bb.653:                              ;   in Loop: Header=BB284_9 Depth=1
	s_or_b64 exec, exec, s[30:31]
	s_and_b64 s[28:29], s[28:29], exec
	s_or_saveexec_b64 vcc, vcc
	v_mov_b32_e32 v14, s34
	s_xor_b64 exec, exec, vcc
	s_cbranch_execz .LBB284_395
.LBB284_654:                            ;   in Loop: Header=BB284_9 Depth=1
	v_cmp_ne_u16_sdwa s[30:31], v8, v5 src0_sel:BYTE_0 src1_sel:DWORD
	s_andn2_b64 s[28:29], s[28:29], exec
	s_and_b64 s[30:31], s[30:31], exec
	v_mov_b32_e32 v14, 0
	s_or_b64 s[28:29], s[28:29], s[30:31]
	s_or_b64 exec, exec, vcc
	s_and_saveexec_b64 s[30:31], s[28:29]
	s_cbranch_execnz .LBB284_396
	s_branch .LBB284_397
.LBB284_655:                            ;   in Loop: Header=BB284_9 Depth=1
	v_cmp_eq_u16_e32 vcc, s36, v4
	s_mov_b64 s[28:29], -1
                                        ; implicit-def: $sgpr38
	s_and_saveexec_b64 s[34:35], vcc
; %bb.656:                              ;   in Loop: Header=BB284_9 Depth=1
	s_mov_b32 s38, 0x7fc02000
	s_xor_b64 s[28:29], exec, -1
; %bb.657:                              ;   in Loop: Header=BB284_9 Depth=1
	s_or_b64 exec, exec, s[34:35]
	s_and_b64 s[28:29], s[28:29], exec
	s_or_saveexec_b64 s[30:31], s[30:31]
	v_mov_b32_e32 v55, s38
	s_xor_b64 exec, exec, s[30:31]
	s_cbranch_execz .LBB284_399
.LBB284_658:                            ;   in Loop: Header=BB284_9 Depth=1
	v_cmp_ne_u16_e32 vcc, 0, v4
	s_andn2_b64 s[28:29], s[28:29], exec
	s_and_b64 vcc, vcc, exec
	v_mov_b32_e32 v55, 0
	s_or_b64 s[28:29], s[28:29], vcc
	s_or_b64 exec, exec, s[30:31]
	s_and_saveexec_b64 s[30:31], s[28:29]
	s_cbranch_execnz .LBB284_400
	s_branch .LBB284_401
.LBB284_659:                            ;   in Loop: Header=BB284_9 Depth=1
	v_cmp_eq_u16_sdwa s[38:39], v4, s36 src0_sel:BYTE_0 src1_sel:DWORD
	s_mov_b64 s[28:29], -1
                                        ; implicit-def: $sgpr34
	s_and_saveexec_b64 s[30:31], s[38:39]
; %bb.660:                              ;   in Loop: Header=BB284_9 Depth=1
	s_mov_b32 s34, 0x7fc02000
	s_xor_b64 s[28:29], exec, -1
; %bb.661:                              ;   in Loop: Header=BB284_9 Depth=1
	s_or_b64 exec, exec, s[30:31]
	s_and_b64 s[28:29], s[28:29], exec
	s_or_saveexec_b64 vcc, vcc
	v_mov_b32_e32 v36, s34
	s_xor_b64 exec, exec, vcc
	s_cbranch_execz .LBB284_403
.LBB284_662:                            ;   in Loop: Header=BB284_9 Depth=1
	v_cmp_ne_u16_sdwa s[30:31], v4, v5 src0_sel:BYTE_0 src1_sel:DWORD
	s_andn2_b64 s[28:29], s[28:29], exec
	s_and_b64 s[30:31], s[30:31], exec
	v_mov_b32_e32 v36, 0
	s_or_b64 s[28:29], s[28:29], s[30:31]
	s_or_b64 exec, exec, vcc
	s_and_saveexec_b64 s[30:31], s[28:29]
	s_cbranch_execnz .LBB284_404
	s_branch .LBB284_405
.LBB284_663:                            ;   in Loop: Header=BB284_9 Depth=1
	v_cmp_eq_u16_e32 vcc, s36, v4
	s_mov_b64 s[28:29], -1
                                        ; implicit-def: $sgpr38
	s_and_saveexec_b64 s[34:35], vcc
; %bb.664:                              ;   in Loop: Header=BB284_9 Depth=1
	s_mov_b32 s38, 0x7fc02000
	s_xor_b64 s[28:29], exec, -1
; %bb.665:                              ;   in Loop: Header=BB284_9 Depth=1
	s_or_b64 exec, exec, s[34:35]
	s_and_b64 s[28:29], s[28:29], exec
	s_or_saveexec_b64 s[30:31], s[30:31]
	v_mov_b32_e32 v34, s38
	s_xor_b64 exec, exec, s[30:31]
	s_cbranch_execz .LBB284_407
.LBB284_666:                            ;   in Loop: Header=BB284_9 Depth=1
	v_cmp_ne_u16_e32 vcc, 0, v4
	s_andn2_b64 s[28:29], s[28:29], exec
	s_and_b64 vcc, vcc, exec
	v_mov_b32_e32 v34, 0
	s_or_b64 s[28:29], s[28:29], vcc
	s_or_b64 exec, exec, s[30:31]
	s_and_saveexec_b64 s[30:31], s[28:29]
	s_cbranch_execnz .LBB284_408
	s_branch .LBB284_409
.LBB284_667:                            ;   in Loop: Header=BB284_9 Depth=1
	v_cmp_eq_u16_sdwa s[38:39], v8, s36 src0_sel:BYTE_0 src1_sel:DWORD
	s_mov_b64 s[28:29], -1
                                        ; implicit-def: $sgpr34
	s_and_saveexec_b64 s[30:31], s[38:39]
; %bb.668:                              ;   in Loop: Header=BB284_9 Depth=1
	s_mov_b32 s34, 0x7fc02000
	s_xor_b64 s[28:29], exec, -1
; %bb.669:                              ;   in Loop: Header=BB284_9 Depth=1
	s_or_b64 exec, exec, s[30:31]
	s_and_b64 s[28:29], s[28:29], exec
	s_or_saveexec_b64 vcc, vcc
	v_mov_b32_e32 v2, s34
	s_xor_b64 exec, exec, vcc
	s_cbranch_execz .LBB284_411
.LBB284_670:                            ;   in Loop: Header=BB284_9 Depth=1
	v_cmp_ne_u16_sdwa s[30:31], v8, v5 src0_sel:BYTE_0 src1_sel:DWORD
	s_andn2_b64 s[28:29], s[28:29], exec
	s_and_b64 s[30:31], s[30:31], exec
	v_mov_b32_e32 v2, 0
	s_or_b64 s[28:29], s[28:29], s[30:31]
	s_or_b64 exec, exec, vcc
	s_and_saveexec_b64 s[30:31], s[28:29]
	s_cbranch_execnz .LBB284_412
	s_branch .LBB284_413
.LBB284_671:                            ;   in Loop: Header=BB284_9 Depth=1
	v_cmp_eq_u16_e32 vcc, s36, v4
	s_mov_b64 s[28:29], -1
                                        ; implicit-def: $sgpr38
	s_and_saveexec_b64 s[34:35], vcc
; %bb.672:                              ;   in Loop: Header=BB284_9 Depth=1
	s_mov_b32 s38, 0x7fc02000
	s_xor_b64 s[28:29], exec, -1
; %bb.673:                              ;   in Loop: Header=BB284_9 Depth=1
	s_or_b64 exec, exec, s[34:35]
	s_and_b64 s[28:29], s[28:29], exec
	s_or_saveexec_b64 s[30:31], s[30:31]
	v_mov_b32_e32 v3, s38
	s_xor_b64 exec, exec, s[30:31]
	s_cbranch_execz .LBB284_415
.LBB284_674:                            ;   in Loop: Header=BB284_9 Depth=1
	v_cmp_ne_u16_e32 vcc, 0, v4
	s_andn2_b64 s[28:29], s[28:29], exec
	s_and_b64 vcc, vcc, exec
	v_mov_b32_e32 v3, 0
	s_or_b64 s[28:29], s[28:29], vcc
	s_or_b64 exec, exec, s[30:31]
	s_and_saveexec_b64 s[30:31], s[28:29]
	s_cbranch_execnz .LBB284_416
	s_branch .LBB284_417
.LBB284_675:                            ;   in Loop: Header=BB284_9 Depth=1
	v_cmp_eq_u16_sdwa s[38:39], v4, s36 src0_sel:BYTE_0 src1_sel:DWORD
	s_mov_b64 s[28:29], -1
                                        ; implicit-def: $sgpr34
	s_and_saveexec_b64 s[30:31], s[38:39]
; %bb.676:                              ;   in Loop: Header=BB284_9 Depth=1
	s_mov_b32 s34, 0x7fc02000
	s_xor_b64 s[28:29], exec, -1
; %bb.677:                              ;   in Loop: Header=BB284_9 Depth=1
	s_or_b64 exec, exec, s[30:31]
	s_and_b64 s[28:29], s[28:29], exec
	s_or_saveexec_b64 vcc, vcc
	v_mov_b32_e32 v24, s34
	s_xor_b64 exec, exec, vcc
	s_cbranch_execz .LBB284_419
.LBB284_678:                            ;   in Loop: Header=BB284_9 Depth=1
	v_cmp_ne_u16_sdwa s[30:31], v4, v5 src0_sel:BYTE_0 src1_sel:DWORD
	s_andn2_b64 s[28:29], s[28:29], exec
	s_and_b64 s[30:31], s[30:31], exec
	v_mov_b32_e32 v24, 0
	s_or_b64 s[28:29], s[28:29], s[30:31]
	s_or_b64 exec, exec, vcc
	s_and_saveexec_b64 s[30:31], s[28:29]
	s_cbranch_execnz .LBB284_420
	s_branch .LBB284_421
.LBB284_679:                            ;   in Loop: Header=BB284_9 Depth=1
	v_cmp_eq_u16_e32 vcc, s36, v4
	s_mov_b64 s[28:29], -1
                                        ; implicit-def: $sgpr38
	s_and_saveexec_b64 s[34:35], vcc
; %bb.680:                              ;   in Loop: Header=BB284_9 Depth=1
	s_mov_b32 s38, 0x7fc02000
	s_xor_b64 s[28:29], exec, -1
; %bb.681:                              ;   in Loop: Header=BB284_9 Depth=1
	s_or_b64 exec, exec, s[34:35]
	s_and_b64 s[28:29], s[28:29], exec
	s_or_saveexec_b64 s[30:31], s[30:31]
	v_mov_b32_e32 v16, s38
	s_xor_b64 exec, exec, s[30:31]
	s_cbranch_execz .LBB284_423
.LBB284_682:                            ;   in Loop: Header=BB284_9 Depth=1
	v_cmp_ne_u16_e32 vcc, 0, v4
	s_andn2_b64 s[28:29], s[28:29], exec
	s_and_b64 vcc, vcc, exec
	v_mov_b32_e32 v16, 0
	s_or_b64 s[28:29], s[28:29], vcc
	s_or_b64 exec, exec, s[30:31]
	s_and_saveexec_b64 s[30:31], s[28:29]
	s_cbranch_execnz .LBB284_424
	s_branch .LBB284_425
.LBB284_683:                            ;   in Loop: Header=BB284_9 Depth=1
	v_cmp_eq_u16_sdwa s[38:39], v8, s36 src0_sel:BYTE_0 src1_sel:DWORD
	s_mov_b64 s[28:29], -1
                                        ; implicit-def: $sgpr34
	s_and_saveexec_b64 s[30:31], s[38:39]
; %bb.684:                              ;   in Loop: Header=BB284_9 Depth=1
	s_mov_b32 s34, 0x7fc02000
	s_xor_b64 s[28:29], exec, -1
; %bb.685:                              ;   in Loop: Header=BB284_9 Depth=1
	s_or_b64 exec, exec, s[30:31]
	s_and_b64 s[28:29], s[28:29], exec
	s_or_saveexec_b64 vcc, vcc
	v_mov_b32_e32 v35, s34
	s_xor_b64 exec, exec, vcc
	s_cbranch_execz .LBB284_427
.LBB284_686:                            ;   in Loop: Header=BB284_9 Depth=1
	v_cmp_ne_u16_sdwa s[30:31], v8, v5 src0_sel:BYTE_0 src1_sel:DWORD
	s_andn2_b64 s[28:29], s[28:29], exec
	s_and_b64 s[30:31], s[30:31], exec
	v_mov_b32_e32 v35, 0
	s_or_b64 s[28:29], s[28:29], s[30:31]
	s_or_b64 exec, exec, vcc
	s_and_saveexec_b64 s[30:31], s[28:29]
	s_cbranch_execnz .LBB284_428
	s_branch .LBB284_429
.LBB284_687:                            ;   in Loop: Header=BB284_9 Depth=1
	v_cmp_eq_u16_e32 vcc, s36, v4
	s_mov_b64 s[28:29], -1
                                        ; implicit-def: $sgpr38
	s_and_saveexec_b64 s[34:35], vcc
; %bb.688:                              ;   in Loop: Header=BB284_9 Depth=1
	s_mov_b32 s38, 0x7fc02000
	s_xor_b64 s[28:29], exec, -1
; %bb.689:                              ;   in Loop: Header=BB284_9 Depth=1
	s_or_b64 exec, exec, s[34:35]
	s_and_b64 s[28:29], s[28:29], exec
	s_or_saveexec_b64 s[30:31], s[30:31]
	v_mov_b32_e32 v6, s38
	s_xor_b64 exec, exec, s[30:31]
	s_cbranch_execz .LBB284_431
.LBB284_690:                            ;   in Loop: Header=BB284_9 Depth=1
	v_cmp_ne_u16_e32 vcc, 0, v4
	s_andn2_b64 s[28:29], s[28:29], exec
	s_and_b64 vcc, vcc, exec
	v_mov_b32_e32 v6, 0
	s_or_b64 s[28:29], s[28:29], vcc
	s_or_b64 exec, exec, s[30:31]
	s_and_saveexec_b64 s[30:31], s[28:29]
	s_cbranch_execnz .LBB284_432
	s_branch .LBB284_433
.LBB284_691:                            ;   in Loop: Header=BB284_9 Depth=1
	v_cmp_eq_u16_sdwa s[38:39], v4, s36 src0_sel:BYTE_0 src1_sel:DWORD
	s_mov_b64 s[28:29], -1
                                        ; implicit-def: $sgpr34
	s_and_saveexec_b64 s[30:31], s[38:39]
; %bb.692:                              ;   in Loop: Header=BB284_9 Depth=1
	s_mov_b32 s34, 0x7fc02000
	s_xor_b64 s[28:29], exec, -1
; %bb.693:                              ;   in Loop: Header=BB284_9 Depth=1
	s_or_b64 exec, exec, s[30:31]
	s_and_b64 s[28:29], s[28:29], exec
	s_or_saveexec_b64 vcc, vcc
	v_mov_b32_e32 v7, s34
	s_xor_b64 exec, exec, vcc
	s_cbranch_execz .LBB284_435
.LBB284_694:                            ;   in Loop: Header=BB284_9 Depth=1
	v_cmp_ne_u16_sdwa s[30:31], v4, v5 src0_sel:BYTE_0 src1_sel:DWORD
	s_andn2_b64 s[28:29], s[28:29], exec
	s_and_b64 s[30:31], s[30:31], exec
	v_mov_b32_e32 v7, 0
	s_or_b64 s[28:29], s[28:29], s[30:31]
	s_or_b64 exec, exec, vcc
	s_and_saveexec_b64 s[30:31], s[28:29]
	s_cbranch_execnz .LBB284_436
	s_branch .LBB284_437
.LBB284_695:                            ;   in Loop: Header=BB284_9 Depth=1
	v_cmp_eq_u16_e32 vcc, s36, v4
	s_mov_b64 s[28:29], -1
                                        ; implicit-def: $sgpr38
	s_and_saveexec_b64 s[34:35], vcc
; %bb.696:                              ;   in Loop: Header=BB284_9 Depth=1
	s_mov_b32 s38, 0x7fc02000
	s_xor_b64 s[28:29], exec, -1
; %bb.697:                              ;   in Loop: Header=BB284_9 Depth=1
	s_or_b64 exec, exec, s[34:35]
	s_and_b64 s[28:29], s[28:29], exec
	s_or_saveexec_b64 s[30:31], s[30:31]
	v_mov_b32_e32 v45, s38
	s_xor_b64 exec, exec, s[30:31]
	s_cbranch_execz .LBB284_439
.LBB284_698:                            ;   in Loop: Header=BB284_9 Depth=1
	v_cmp_ne_u16_e32 vcc, 0, v4
	s_andn2_b64 s[28:29], s[28:29], exec
	s_and_b64 vcc, vcc, exec
	v_mov_b32_e32 v45, 0
	s_or_b64 s[28:29], s[28:29], vcc
	s_or_b64 exec, exec, s[30:31]
	s_and_saveexec_b64 s[30:31], s[28:29]
	s_cbranch_execnz .LBB284_440
	s_branch .LBB284_441
.LBB284_699:                            ;   in Loop: Header=BB284_9 Depth=1
	v_cmp_eq_u16_sdwa s[38:39], v8, s36 src0_sel:BYTE_0 src1_sel:DWORD
	s_mov_b64 s[28:29], -1
                                        ; implicit-def: $sgpr34
	s_and_saveexec_b64 s[30:31], s[38:39]
; %bb.700:                              ;   in Loop: Header=BB284_9 Depth=1
	s_mov_b32 s34, 0x7fc02000
	s_xor_b64 s[28:29], exec, -1
; %bb.701:                              ;   in Loop: Header=BB284_9 Depth=1
	s_or_b64 exec, exec, s[30:31]
	s_and_b64 s[28:29], s[28:29], exec
	s_or_saveexec_b64 vcc, vcc
	v_mov_b32_e32 v43, s34
	s_xor_b64 exec, exec, vcc
	s_cbranch_execz .LBB284_443
.LBB284_702:                            ;   in Loop: Header=BB284_9 Depth=1
	v_cmp_ne_u16_sdwa s[30:31], v8, v5 src0_sel:BYTE_0 src1_sel:DWORD
	s_andn2_b64 s[28:29], s[28:29], exec
	s_and_b64 s[30:31], s[30:31], exec
	v_mov_b32_e32 v43, 0
	s_or_b64 s[28:29], s[28:29], s[30:31]
	s_or_b64 exec, exec, vcc
	s_and_saveexec_b64 s[30:31], s[28:29]
	s_cbranch_execnz .LBB284_444
	s_branch .LBB284_445
.LBB284_703:                            ;   in Loop: Header=BB284_9 Depth=1
	v_cmp_eq_u16_e32 vcc, s36, v4
	s_mov_b64 s[28:29], -1
                                        ; implicit-def: $sgpr38
	s_and_saveexec_b64 s[34:35], vcc
; %bb.704:                              ;   in Loop: Header=BB284_9 Depth=1
	s_mov_b32 s38, 0x7fc02000
	s_xor_b64 s[28:29], exec, -1
; %bb.705:                              ;   in Loop: Header=BB284_9 Depth=1
	s_or_b64 exec, exec, s[34:35]
	s_and_b64 s[28:29], s[28:29], exec
	s_or_saveexec_b64 s[30:31], s[30:31]
	v_mov_b32_e32 v57, s38
	s_xor_b64 exec, exec, s[30:31]
	s_cbranch_execz .LBB284_447
.LBB284_706:                            ;   in Loop: Header=BB284_9 Depth=1
	v_cmp_ne_u16_e32 vcc, 0, v4
	s_andn2_b64 s[28:29], s[28:29], exec
	s_and_b64 vcc, vcc, exec
	v_mov_b32_e32 v57, 0
	s_or_b64 s[28:29], s[28:29], vcc
	s_or_b64 exec, exec, s[30:31]
	s_and_saveexec_b64 s[30:31], s[28:29]
	s_cbranch_execnz .LBB284_448
	s_branch .LBB284_449
.LBB284_707:                            ;   in Loop: Header=BB284_9 Depth=1
	v_cmp_eq_u16_sdwa s[38:39], v4, s36 src0_sel:BYTE_0 src1_sel:DWORD
	s_mov_b64 s[28:29], -1
                                        ; implicit-def: $sgpr34
	s_and_saveexec_b64 s[30:31], s[38:39]
; %bb.708:                              ;   in Loop: Header=BB284_9 Depth=1
	s_mov_b32 s34, 0x7fc02000
	s_xor_b64 s[28:29], exec, -1
; %bb.709:                              ;   in Loop: Header=BB284_9 Depth=1
	s_or_b64 exec, exec, s[30:31]
	s_and_b64 s[28:29], s[28:29], exec
	s_or_saveexec_b64 vcc, vcc
	v_mov_b32_e32 v58, s34
	s_xor_b64 exec, exec, vcc
	s_cbranch_execz .LBB284_451
.LBB284_710:                            ;   in Loop: Header=BB284_9 Depth=1
	v_cmp_ne_u16_sdwa s[30:31], v4, v5 src0_sel:BYTE_0 src1_sel:DWORD
	s_andn2_b64 s[28:29], s[28:29], exec
	s_and_b64 s[30:31], s[30:31], exec
	v_mov_b32_e32 v58, 0
	s_or_b64 s[28:29], s[28:29], s[30:31]
	s_or_b64 exec, exec, vcc
	s_and_saveexec_b64 s[30:31], s[28:29]
	s_cbranch_execnz .LBB284_452
	s_branch .LBB284_453
.LBB284_711:                            ;   in Loop: Header=BB284_9 Depth=1
	v_cmp_eq_u16_e32 vcc, s36, v4
	s_mov_b64 s[28:29], -1
                                        ; implicit-def: $sgpr38
	s_and_saveexec_b64 s[34:35], vcc
; %bb.712:                              ;   in Loop: Header=BB284_9 Depth=1
	s_mov_b32 s38, 0x7fc02000
	s_xor_b64 s[28:29], exec, -1
; %bb.713:                              ;   in Loop: Header=BB284_9 Depth=1
	s_or_b64 exec, exec, s[34:35]
	s_and_b64 s[28:29], s[28:29], exec
	s_or_saveexec_b64 s[30:31], s[30:31]
	v_mov_b32_e32 v20, s38
	s_xor_b64 exec, exec, s[30:31]
	s_cbranch_execz .LBB284_455
.LBB284_714:                            ;   in Loop: Header=BB284_9 Depth=1
	v_cmp_ne_u16_e32 vcc, 0, v4
	s_andn2_b64 s[28:29], s[28:29], exec
	s_and_b64 vcc, vcc, exec
	v_mov_b32_e32 v20, 0
	s_or_b64 s[28:29], s[28:29], vcc
	s_or_b64 exec, exec, s[30:31]
	s_and_saveexec_b64 s[30:31], s[28:29]
	s_cbranch_execnz .LBB284_456
	s_branch .LBB284_457
.LBB284_715:                            ;   in Loop: Header=BB284_9 Depth=1
	v_cmp_eq_u16_sdwa s[38:39], v8, s36 src0_sel:BYTE_0 src1_sel:DWORD
	s_mov_b64 s[28:29], -1
                                        ; implicit-def: $sgpr34
	s_and_saveexec_b64 s[30:31], s[38:39]
; %bb.716:                              ;   in Loop: Header=BB284_9 Depth=1
	s_mov_b32 s34, 0x7fc02000
	s_xor_b64 s[28:29], exec, -1
; %bb.717:                              ;   in Loop: Header=BB284_9 Depth=1
	s_or_b64 exec, exec, s[30:31]
	s_and_b64 s[28:29], s[28:29], exec
	s_or_saveexec_b64 vcc, vcc
	v_mov_b32_e32 v18, s34
	s_xor_b64 exec, exec, vcc
	s_cbranch_execz .LBB284_459
.LBB284_718:                            ;   in Loop: Header=BB284_9 Depth=1
	v_cmp_ne_u16_sdwa s[30:31], v8, v5 src0_sel:BYTE_0 src1_sel:DWORD
	s_andn2_b64 s[28:29], s[28:29], exec
	s_and_b64 s[30:31], s[30:31], exec
	v_mov_b32_e32 v18, 0
	s_or_b64 s[28:29], s[28:29], s[30:31]
	s_or_b64 exec, exec, vcc
	s_and_saveexec_b64 s[30:31], s[28:29]
	s_cbranch_execnz .LBB284_460
	s_branch .LBB284_461
.LBB284_719:                            ;   in Loop: Header=BB284_9 Depth=1
	v_cmp_eq_u16_e32 vcc, s36, v4
	s_mov_b64 s[28:29], -1
                                        ; implicit-def: $sgpr38
	s_and_saveexec_b64 s[34:35], vcc
; %bb.720:                              ;   in Loop: Header=BB284_9 Depth=1
	s_mov_b32 s38, 0x7fc02000
	s_xor_b64 s[28:29], exec, -1
; %bb.721:                              ;   in Loop: Header=BB284_9 Depth=1
	s_or_b64 exec, exec, s[34:35]
	s_and_b64 s[28:29], s[28:29], exec
	s_or_saveexec_b64 s[30:31], s[30:31]
	v_mov_b32_e32 v22, s38
	s_xor_b64 exec, exec, s[30:31]
	s_cbranch_execz .LBB284_463
.LBB284_722:                            ;   in Loop: Header=BB284_9 Depth=1
	v_cmp_ne_u16_e32 vcc, 0, v4
	s_andn2_b64 s[28:29], s[28:29], exec
	s_and_b64 vcc, vcc, exec
	v_mov_b32_e32 v22, 0
	s_or_b64 s[28:29], s[28:29], vcc
	s_or_b64 exec, exec, s[30:31]
	s_and_saveexec_b64 s[30:31], s[28:29]
	s_cbranch_execnz .LBB284_464
	s_branch .LBB284_465
.LBB284_723:                            ;   in Loop: Header=BB284_9 Depth=1
	v_cmp_eq_u16_sdwa s[38:39], v4, s36 src0_sel:BYTE_0 src1_sel:DWORD
	s_mov_b64 s[28:29], -1
                                        ; implicit-def: $sgpr34
	s_and_saveexec_b64 s[30:31], s[38:39]
; %bb.724:                              ;   in Loop: Header=BB284_9 Depth=1
	s_mov_b32 s34, 0x7fc02000
	s_xor_b64 s[28:29], exec, -1
; %bb.725:                              ;   in Loop: Header=BB284_9 Depth=1
	s_or_b64 exec, exec, s[30:31]
	s_and_b64 s[28:29], s[28:29], exec
	s_or_saveexec_b64 vcc, vcc
	v_mov_b32_e32 v26, s34
	s_xor_b64 exec, exec, vcc
	s_cbranch_execz .LBB284_467
.LBB284_726:                            ;   in Loop: Header=BB284_9 Depth=1
	v_cmp_ne_u16_sdwa s[30:31], v4, v5 src0_sel:BYTE_0 src1_sel:DWORD
	s_andn2_b64 s[28:29], s[28:29], exec
	s_and_b64 s[30:31], s[30:31], exec
	v_mov_b32_e32 v26, 0
	s_or_b64 s[28:29], s[28:29], s[30:31]
	s_or_b64 exec, exec, vcc
	s_and_saveexec_b64 s[30:31], s[28:29]
	s_cbranch_execnz .LBB284_468
	s_branch .LBB284_469
.LBB284_727:                            ;   in Loop: Header=BB284_9 Depth=1
	v_cmp_eq_u16_e32 vcc, s36, v4
	s_mov_b64 s[28:29], -1
                                        ; implicit-def: $sgpr38
	s_and_saveexec_b64 s[34:35], vcc
; %bb.728:                              ;   in Loop: Header=BB284_9 Depth=1
	s_mov_b32 s38, 0x7fc02000
	s_xor_b64 s[28:29], exec, -1
; %bb.729:                              ;   in Loop: Header=BB284_9 Depth=1
	s_or_b64 exec, exec, s[34:35]
	s_and_b64 s[28:29], s[28:29], exec
	s_or_saveexec_b64 s[30:31], s[30:31]
	v_mov_b32_e32 v28, s38
	s_xor_b64 exec, exec, s[30:31]
	s_cbranch_execz .LBB284_471
.LBB284_730:                            ;   in Loop: Header=BB284_9 Depth=1
	v_cmp_ne_u16_e32 vcc, 0, v4
	s_andn2_b64 s[28:29], s[28:29], exec
	s_and_b64 vcc, vcc, exec
	v_mov_b32_e32 v28, 0
	s_or_b64 s[28:29], s[28:29], vcc
	s_or_b64 exec, exec, s[30:31]
	s_and_saveexec_b64 s[30:31], s[28:29]
	s_cbranch_execnz .LBB284_472
	s_branch .LBB284_473
.LBB284_731:                            ;   in Loop: Header=BB284_9 Depth=1
	v_cmp_eq_u16_sdwa s[38:39], v8, s36 src0_sel:BYTE_0 src1_sel:DWORD
	s_mov_b64 s[28:29], -1
                                        ; implicit-def: $sgpr34
	s_and_saveexec_b64 s[30:31], s[38:39]
; %bb.732:                              ;   in Loop: Header=BB284_9 Depth=1
	s_mov_b32 s34, 0x7fc02000
	s_xor_b64 s[28:29], exec, -1
; %bb.733:                              ;   in Loop: Header=BB284_9 Depth=1
	s_or_b64 exec, exec, s[30:31]
	s_and_b64 s[28:29], s[28:29], exec
	s_or_saveexec_b64 vcc, vcc
	v_mov_b32_e32 v13, s34
	s_xor_b64 exec, exec, vcc
	s_cbranch_execz .LBB284_475
.LBB284_734:                            ;   in Loop: Header=BB284_9 Depth=1
	v_cmp_ne_u16_sdwa s[30:31], v8, v5 src0_sel:BYTE_0 src1_sel:DWORD
	s_andn2_b64 s[28:29], s[28:29], exec
	s_and_b64 s[30:31], s[30:31], exec
	v_mov_b32_e32 v13, 0
	s_or_b64 s[28:29], s[28:29], s[30:31]
	s_or_b64 exec, exec, vcc
	s_and_saveexec_b64 s[30:31], s[28:29]
	s_cbranch_execnz .LBB284_476
	s_branch .LBB284_477
.LBB284_735:                            ;   in Loop: Header=BB284_9 Depth=1
	v_cmp_eq_u16_e32 vcc, s36, v4
	s_mov_b64 s[28:29], -1
                                        ; implicit-def: $sgpr38
	s_and_saveexec_b64 s[34:35], vcc
; %bb.736:                              ;   in Loop: Header=BB284_9 Depth=1
	s_mov_b32 s38, 0x7fc02000
	s_xor_b64 s[28:29], exec, -1
; %bb.737:                              ;   in Loop: Header=BB284_9 Depth=1
	s_or_b64 exec, exec, s[34:35]
	s_and_b64 s[28:29], s[28:29], exec
	s_or_saveexec_b64 s[30:31], s[30:31]
	v_mov_b32_e32 v9, s38
	s_xor_b64 exec, exec, s[30:31]
	s_cbranch_execz .LBB284_479
.LBB284_738:                            ;   in Loop: Header=BB284_9 Depth=1
	v_cmp_ne_u16_e32 vcc, 0, v4
	s_andn2_b64 s[28:29], s[28:29], exec
	s_and_b64 vcc, vcc, exec
	v_mov_b32_e32 v9, 0
	s_or_b64 s[28:29], s[28:29], vcc
	s_or_b64 exec, exec, s[30:31]
	s_and_saveexec_b64 s[30:31], s[28:29]
	s_cbranch_execnz .LBB284_480
	s_branch .LBB284_481
.LBB284_739:                            ;   in Loop: Header=BB284_9 Depth=1
	v_cmp_eq_u16_sdwa s[38:39], v4, s36 src0_sel:BYTE_0 src1_sel:DWORD
	s_mov_b64 s[28:29], -1
                                        ; implicit-def: $sgpr34
	s_and_saveexec_b64 s[30:31], s[38:39]
; %bb.740:                              ;   in Loop: Header=BB284_9 Depth=1
	s_mov_b32 s34, 0x7fc02000
	s_xor_b64 s[28:29], exec, -1
; %bb.741:                              ;   in Loop: Header=BB284_9 Depth=1
	s_or_b64 exec, exec, s[30:31]
	s_and_b64 s[28:29], s[28:29], exec
	s_or_saveexec_b64 vcc, vcc
	v_mov_b32_e32 v12, s34
	s_xor_b64 exec, exec, vcc
	s_cbranch_execz .LBB284_483
.LBB284_742:                            ;   in Loop: Header=BB284_9 Depth=1
	v_cmp_ne_u16_sdwa s[30:31], v4, v5 src0_sel:BYTE_0 src1_sel:DWORD
	s_andn2_b64 s[28:29], s[28:29], exec
	s_and_b64 s[30:31], s[30:31], exec
	v_mov_b32_e32 v12, 0
	s_or_b64 s[28:29], s[28:29], s[30:31]
	s_or_b64 exec, exec, vcc
	s_and_saveexec_b64 s[30:31], s[28:29]
	s_cbranch_execnz .LBB284_484
	s_branch .LBB284_485
.LBB284_743:                            ;   in Loop: Header=BB284_9 Depth=1
	v_cmp_eq_u16_e32 vcc, s36, v4
	s_mov_b64 s[28:29], -1
                                        ; implicit-def: $sgpr38
	s_and_saveexec_b64 s[34:35], vcc
; %bb.744:                              ;   in Loop: Header=BB284_9 Depth=1
	s_mov_b32 s38, 0x7fc02000
	s_xor_b64 s[28:29], exec, -1
; %bb.745:                              ;   in Loop: Header=BB284_9 Depth=1
	s_or_b64 exec, exec, s[34:35]
	s_and_b64 s[28:29], s[28:29], exec
	s_or_saveexec_b64 s[30:31], s[30:31]
	v_mov_b32_e32 v23, s38
	s_xor_b64 exec, exec, s[30:31]
	s_cbranch_execz .LBB284_487
.LBB284_746:                            ;   in Loop: Header=BB284_9 Depth=1
	v_cmp_ne_u16_e32 vcc, 0, v4
	s_andn2_b64 s[28:29], s[28:29], exec
	s_and_b64 vcc, vcc, exec
	v_mov_b32_e32 v23, 0
	s_or_b64 s[28:29], s[28:29], vcc
	s_or_b64 exec, exec, s[30:31]
	s_and_saveexec_b64 s[30:31], s[28:29]
	s_cbranch_execnz .LBB284_488
	s_branch .LBB284_489
.LBB284_747:                            ;   in Loop: Header=BB284_9 Depth=1
	v_cmp_eq_u16_sdwa s[38:39], v8, s36 src0_sel:BYTE_0 src1_sel:DWORD
	s_mov_b64 s[28:29], -1
                                        ; implicit-def: $sgpr34
	s_and_saveexec_b64 s[30:31], s[38:39]
; %bb.748:                              ;   in Loop: Header=BB284_9 Depth=1
	s_mov_b32 s34, 0x7fc02000
	s_xor_b64 s[28:29], exec, -1
; %bb.749:                              ;   in Loop: Header=BB284_9 Depth=1
	s_or_b64 exec, exec, s[30:31]
	s_and_b64 s[28:29], s[28:29], exec
	s_or_saveexec_b64 vcc, vcc
	v_mov_b32_e32 v27, s34
	s_xor_b64 exec, exec, vcc
	s_cbranch_execz .LBB284_491
.LBB284_750:                            ;   in Loop: Header=BB284_9 Depth=1
	v_cmp_ne_u16_sdwa s[30:31], v8, v5 src0_sel:BYTE_0 src1_sel:DWORD
	s_andn2_b64 s[28:29], s[28:29], exec
	s_and_b64 s[30:31], s[30:31], exec
	v_mov_b32_e32 v27, 0
	s_or_b64 s[28:29], s[28:29], s[30:31]
	s_or_b64 exec, exec, vcc
	s_and_saveexec_b64 s[30:31], s[28:29]
	s_cbranch_execnz .LBB284_492
	s_branch .LBB284_493
.LBB284_751:                            ;   in Loop: Header=BB284_9 Depth=1
	v_cmp_eq_u16_e32 vcc, s36, v4
	s_mov_b64 s[28:29], -1
                                        ; implicit-def: $sgpr38
	s_and_saveexec_b64 s[34:35], vcc
; %bb.752:                              ;   in Loop: Header=BB284_9 Depth=1
	s_mov_b32 s38, 0x7fc02000
	s_xor_b64 s[28:29], exec, -1
; %bb.753:                              ;   in Loop: Header=BB284_9 Depth=1
	s_or_b64 exec, exec, s[34:35]
	s_and_b64 s[28:29], s[28:29], exec
	s_or_saveexec_b64 s[30:31], s[30:31]
	v_mov_b32_e32 v32, s38
	s_xor_b64 exec, exec, s[30:31]
	s_cbranch_execz .LBB284_495
.LBB284_754:                            ;   in Loop: Header=BB284_9 Depth=1
	v_cmp_ne_u16_e32 vcc, 0, v4
	s_andn2_b64 s[28:29], s[28:29], exec
	s_and_b64 vcc, vcc, exec
	v_mov_b32_e32 v32, 0
	s_or_b64 s[28:29], s[28:29], vcc
	s_or_b64 exec, exec, s[30:31]
	s_and_saveexec_b64 s[30:31], s[28:29]
	s_cbranch_execnz .LBB284_496
	s_branch .LBB284_497
.LBB284_755:                            ;   in Loop: Header=BB284_9 Depth=1
	v_cmp_eq_u16_sdwa s[38:39], v4, s36 src0_sel:BYTE_0 src1_sel:DWORD
	s_mov_b64 s[28:29], -1
                                        ; implicit-def: $sgpr34
	s_and_saveexec_b64 s[30:31], s[38:39]
; %bb.756:                              ;   in Loop: Header=BB284_9 Depth=1
	s_mov_b32 s34, 0x7fc02000
	s_xor_b64 s[28:29], exec, -1
; %bb.757:                              ;   in Loop: Header=BB284_9 Depth=1
	s_or_b64 exec, exec, s[30:31]
	s_and_b64 s[28:29], s[28:29], exec
	s_or_saveexec_b64 vcc, vcc
	v_mov_b32_e32 v33, s34
	s_xor_b64 exec, exec, vcc
	s_cbranch_execz .LBB284_499
.LBB284_758:                            ;   in Loop: Header=BB284_9 Depth=1
	v_cmp_ne_u16_sdwa s[30:31], v4, v5 src0_sel:BYTE_0 src1_sel:DWORD
	s_andn2_b64 s[28:29], s[28:29], exec
	s_and_b64 s[30:31], s[30:31], exec
	v_mov_b32_e32 v33, 0
	s_or_b64 s[28:29], s[28:29], s[30:31]
	s_or_b64 exec, exec, vcc
	s_and_saveexec_b64 s[30:31], s[28:29]
	s_cbranch_execnz .LBB284_500
	s_branch .LBB284_501
.LBB284_759:                            ;   in Loop: Header=BB284_9 Depth=1
	v_cmp_eq_u16_e32 vcc, s36, v4
	s_mov_b64 s[28:29], -1
                                        ; implicit-def: $sgpr38
	s_and_saveexec_b64 s[34:35], vcc
; %bb.760:                              ;   in Loop: Header=BB284_9 Depth=1
	s_mov_b32 s38, 0x7fc02000
	s_xor_b64 s[28:29], exec, -1
; %bb.761:                              ;   in Loop: Header=BB284_9 Depth=1
	s_or_b64 exec, exec, s[34:35]
	s_and_b64 s[28:29], s[28:29], exec
	s_or_saveexec_b64 s[30:31], s[30:31]
	v_mov_b32_e32 v46, s38
	s_xor_b64 exec, exec, s[30:31]
	s_cbranch_execz .LBB284_503
.LBB284_762:                            ;   in Loop: Header=BB284_9 Depth=1
	v_cmp_ne_u16_e32 vcc, 0, v4
	s_andn2_b64 s[28:29], s[28:29], exec
	s_and_b64 vcc, vcc, exec
	v_mov_b32_e32 v46, 0
	s_or_b64 s[28:29], s[28:29], vcc
	s_or_b64 exec, exec, s[30:31]
	s_and_saveexec_b64 s[30:31], s[28:29]
	s_cbranch_execnz .LBB284_504
	s_branch .LBB284_505
.LBB284_763:                            ;   in Loop: Header=BB284_9 Depth=1
	v_cmp_eq_u16_sdwa s[38:39], v8, s36 src0_sel:BYTE_0 src1_sel:DWORD
	s_mov_b64 s[28:29], -1
                                        ; implicit-def: $sgpr34
	s_and_saveexec_b64 s[30:31], s[38:39]
; %bb.764:                              ;   in Loop: Header=BB284_9 Depth=1
	s_mov_b32 s34, 0x7fc02000
	s_xor_b64 s[28:29], exec, -1
; %bb.765:                              ;   in Loop: Header=BB284_9 Depth=1
	s_or_b64 exec, exec, s[30:31]
	s_and_b64 s[28:29], s[28:29], exec
	s_or_saveexec_b64 vcc, vcc
	v_mov_b32_e32 v50, s34
	s_xor_b64 exec, exec, vcc
	s_cbranch_execz .LBB284_507
.LBB284_766:                            ;   in Loop: Header=BB284_9 Depth=1
	v_cmp_ne_u16_sdwa s[30:31], v8, v5 src0_sel:BYTE_0 src1_sel:DWORD
	s_andn2_b64 s[28:29], s[28:29], exec
	s_and_b64 s[30:31], s[30:31], exec
	v_mov_b32_e32 v50, 0
	s_or_b64 s[28:29], s[28:29], s[30:31]
	s_or_b64 exec, exec, vcc
	s_and_saveexec_b64 s[30:31], s[28:29]
	s_cbranch_execnz .LBB284_508
	s_branch .LBB284_509
.LBB284_767:                            ;   in Loop: Header=BB284_9 Depth=1
	v_cmp_eq_u16_e32 vcc, s36, v4
	s_mov_b64 s[28:29], -1
                                        ; implicit-def: $sgpr38
	s_and_saveexec_b64 s[34:35], vcc
; %bb.768:                              ;   in Loop: Header=BB284_9 Depth=1
	s_mov_b32 s38, 0x7fc02000
	s_xor_b64 s[28:29], exec, -1
; %bb.769:                              ;   in Loop: Header=BB284_9 Depth=1
	s_or_b64 exec, exec, s[34:35]
	s_and_b64 s[28:29], s[28:29], exec
	s_or_saveexec_b64 s[30:31], s[30:31]
	v_mov_b32_e32 v44, s38
	s_xor_b64 exec, exec, s[30:31]
	s_cbranch_execz .LBB284_511
.LBB284_770:                            ;   in Loop: Header=BB284_9 Depth=1
	v_cmp_ne_u16_e32 vcc, 0, v4
	s_andn2_b64 s[28:29], s[28:29], exec
	s_and_b64 vcc, vcc, exec
	v_mov_b32_e32 v44, 0
	s_or_b64 s[28:29], s[28:29], vcc
	s_or_b64 exec, exec, s[30:31]
	s_and_saveexec_b64 s[30:31], s[28:29]
	s_cbranch_execnz .LBB284_512
	s_branch .LBB284_513
.LBB284_771:                            ;   in Loop: Header=BB284_9 Depth=1
	v_cmp_eq_u16_sdwa s[38:39], v4, s36 src0_sel:BYTE_0 src1_sel:DWORD
	s_mov_b64 s[28:29], -1
                                        ; implicit-def: $sgpr34
	s_and_saveexec_b64 s[30:31], s[38:39]
; %bb.772:                              ;   in Loop: Header=BB284_9 Depth=1
	s_mov_b32 s34, 0x7fc02000
	s_xor_b64 s[28:29], exec, -1
; %bb.773:                              ;   in Loop: Header=BB284_9 Depth=1
	s_or_b64 exec, exec, s[30:31]
	s_and_b64 s[28:29], s[28:29], exec
	s_or_saveexec_b64 vcc, vcc
	v_mov_b32_e32 v25, s34
	s_xor_b64 exec, exec, vcc
	s_cbranch_execz .LBB284_515
.LBB284_774:                            ;   in Loop: Header=BB284_9 Depth=1
	v_cmp_ne_u16_sdwa s[30:31], v4, v5 src0_sel:BYTE_0 src1_sel:DWORD
	s_andn2_b64 s[28:29], s[28:29], exec
	s_and_b64 s[30:31], s[30:31], exec
	v_mov_b32_e32 v25, 0
	s_or_b64 s[28:29], s[28:29], s[30:31]
	s_or_b64 exec, exec, vcc
	s_and_saveexec_b64 s[30:31], s[28:29]
	s_cbranch_execnz .LBB284_516
	s_branch .LBB284_517
.LBB284_775:                            ;   in Loop: Header=BB284_9 Depth=1
	v_cmp_eq_u16_e32 vcc, s36, v4
	s_mov_b64 s[28:29], -1
                                        ; implicit-def: $sgpr38
	s_and_saveexec_b64 s[34:35], vcc
; %bb.776:                              ;   in Loop: Header=BB284_9 Depth=1
	s_mov_b32 s38, 0x7fc02000
	s_xor_b64 s[28:29], exec, -1
; %bb.777:                              ;   in Loop: Header=BB284_9 Depth=1
	s_or_b64 exec, exec, s[34:35]
	s_and_b64 s[28:29], s[28:29], exec
	s_or_saveexec_b64 s[30:31], s[30:31]
	v_mov_b32_e32 v21, s38
	s_xor_b64 exec, exec, s[30:31]
	s_cbranch_execz .LBB284_519
.LBB284_778:                            ;   in Loop: Header=BB284_9 Depth=1
	v_cmp_ne_u16_e32 vcc, 0, v4
	s_andn2_b64 s[28:29], s[28:29], exec
	s_and_b64 vcc, vcc, exec
	v_mov_b32_e32 v21, 0
	s_or_b64 s[28:29], s[28:29], vcc
	s_or_b64 exec, exec, s[30:31]
	v_accvgpr_write_b32 a35, v61
	s_and_saveexec_b64 s[30:31], s[28:29]
	s_cbranch_execnz .LBB284_520
	s_branch .LBB284_521
.LBB284_779:
	s_or_b64 exec, exec, s[18:19]
	scratch_load_dwordx2 v[22:23], off, s32 offset:412 ; 8-byte Folded Reload
	scratch_load_dwordx2 v[32:33], off, s32 offset:396 ; 8-byte Folded Reload
	;; [unrolled: 1-line block ×4, first 2 shown]
	scratch_load_dword v18, off, s32 offset:384 ; 4-byte Folded Reload
	scratch_load_dwordx2 v[34:35], off, s32 offset:376 ; 8-byte Folded Reload
	scratch_load_dword v6, off, s32 offset:328 ; 4-byte Folded Reload
.LBB284_780:
	s_or_b64 exec, exec, s[6:7]
	v_accvgpr_read_b32 v8, a22
	v_xor_b32_e32 v1, 32, v8
	v_cmp_lt_i32_e32 vcc, v1, v0
	v_xor_b32_e32 v4, 16, v8
	s_waitcnt vmcnt(0)
	v_max_f32_e32 v3, v6, v6
	v_cndmask_b32_e32 v1, v8, v1, vcc
	v_lshlrev_b32_e32 v1, 2, v1
	ds_bpermute_b32 v2, v1, v6
	v_cmp_lt_i32_e32 vcc, v4, v0
	v_xor_b32_e32 v5, 8, v8
	v_xor_b32_e32 v6, 4, v8
	;; [unrolled: 1-line block ×3, first 2 shown]
	s_waitcnt lgkmcnt(0)
	v_max_f32_e32 v2, v2, v2
	v_max_f32_e32 v3, v3, v2
	v_cndmask_b32_e32 v2, v8, v4, vcc
	v_lshlrev_b32_e32 v2, 2, v2
	ds_bpermute_b32 v4, v2, v3
	v_cmp_lt_i32_e32 vcc, v5, v0
	s_lshr_b32 s15, s15, 16
	s_waitcnt lgkmcnt(0)
	v_max_f32_e32 v4, v4, v4
	v_max_f32_e32 v4, v3, v4
	v_cndmask_b32_e32 v3, v8, v5, vcc
	v_lshlrev_b32_e32 v3, 2, v3
	ds_bpermute_b32 v5, v3, v4
	v_cmp_lt_i32_e32 vcc, v6, v0
	s_waitcnt lgkmcnt(0)
	v_max_f32_e32 v5, v5, v5
	v_max_f32_e32 v5, v4, v5
	v_cndmask_b32_e32 v4, v8, v6, vcc
	v_lshlrev_b32_e32 v4, 2, v4
	ds_bpermute_b32 v6, v4, v5
	v_cmp_lt_i32_e32 vcc, v7, v0
	s_waitcnt lgkmcnt(0)
	v_max_f32_e32 v6, v6, v6
	v_max_f32_e32 v6, v5, v6
	v_cndmask_b32_e32 v5, v8, v7, vcc
	v_lshlrev_b32_e32 v37, 2, v5
	scratch_load_dword v5, off, s32 offset:356 ; 4-byte Folded Reload
	ds_bpermute_b32 v7, v37, v6
	s_waitcnt vmcnt(0)
	v_and_b32_e32 v36, 63, v5
	v_accvgpr_read_b32 v5, a7
	v_cmp_eq_u32_e32 vcc, 0, v36
	v_lshlrev_b32_e32 v5, 2, v5
	s_and_saveexec_b64 s[2:3], vcc
	s_cbranch_execz .LBB284_782
; %bb.781:
	s_waitcnt lgkmcnt(0)
	v_max_f32_e32 v7, v7, v7
	v_max_f32_e32 v6, v6, v6
	;; [unrolled: 1-line block ×3, first 2 shown]
	ds_write_b32 v5, v6 offset:384
.LBB284_782:
	s_or_b64 exec, exec, s[2:3]
	v_cmp_gt_u32_e64 s[2:3], 2, v36
	s_waitcnt lgkmcnt(0)
	v_mov_b32_e32 v7, 0xff7fffff
	v_lshlrev_b32_e32 v6, 2, v36
	s_barrier
	s_and_saveexec_b64 s[4:5], s[2:3]
	s_cbranch_execz .LBB284_784
; %bb.783:
	ds_read_b32 v7, v6 offset:384
.LBB284_784:
	s_or_b64 exec, exec, s[4:5]
	v_accvgpr_read_b32 v9, a22
	v_xor_b32_e32 v8, 1, v9
	v_cmp_lt_i32_e64 s[4:5], v8, v0
	v_accvgpr_read_b32 v10, a8
	s_nop 0
	v_cndmask_b32_e64 v0, v9, v8, s[4:5]
	v_lshlrev_b32_e32 v38, 2, v0
	s_waitcnt lgkmcnt(0)
	ds_bpermute_b32 v0, v38, v7
	v_max_f32_e32 v7, v7, v7
	v_lshlrev_b32_e32 v8, 2, v9
	scratch_load_dword v9, off, s32 offset:356 ; 4-byte Folded Reload
	s_waitcnt lgkmcnt(0)
	v_max_f32_e32 v0, v0, v0
	v_max_f32_e32 v0, v7, v0
	v_and_b32_e32 v7, 0xffffff00, v8
	ds_bpermute_b32 v8, v7, v0
	scratch_load_dword v0, off, s32 offset:316 ; 4-byte Folded Reload
	s_waitcnt vmcnt(0)
	v_lshlrev_b32_e32 v0, 5, v0
	v_min_i32_e32 v0, v0, v10
	v_cmp_lt_i32_e64 s[4:5], v9, v0
	v_mov_b32_e32 v9, 0
	s_and_saveexec_b64 s[8:9], s[4:5]
	s_cbranch_execz .LBB284_788
; %bb.785:
	scratch_load_dword v11, off, s32 offset:356 ; 4-byte Folded Reload
	s_ashr_i32 s17, s16, 31
	s_lshl_b64 s[6:7], s[16:17], 2
	s_getpc_b64 s[18:19]
	s_add_u32 s18, s18, llvm.amdgcn.dynlds.offset.table@rel32@lo+4
	s_addc_u32 s19, s19, llvm.amdgcn.dynlds.offset.table@rel32@hi+12
	s_add_u32 s6, s6, s18
	s_addc_u32 s7, s7, s19
	s_load_dword s6, s[6:7], 0x0
	s_mov_b64 s[18:19], 0
	v_mov_b32_e32 v9, 0
	s_waitcnt vmcnt(0) lgkmcnt(0)
	v_lshl_add_u32 v10, v11, 2, s6
.LBB284_786:                            ; =>This Inner Loop Header: Depth=1
	ds_read_b32 v12, v10
	v_add_u32_e32 v11, 0x80, v11
	v_cmp_ge_i32_e64 s[6:7], v11, v0
	s_or_b64 s[18:19], s[6:7], s[18:19]
	s_waitcnt lgkmcnt(0)
	v_sub_f32_e32 v12, v12, v8
	v_mul_f32_e32 v12, 0x3fb8aa3b, v12
	v_exp_f32_e32 v12, v12
	ds_write_b32 v10, v12
	v_add_f32_e32 v9, v9, v12
	v_add_u32_e32 v10, 0x200, v10
	s_andn2_b64 exec, exec, s[18:19]
	s_cbranch_execnz .LBB284_786
; %bb.787:
	s_or_b64 exec, exec, s[18:19]
.LBB284_788:
	s_or_b64 exec, exec, s[8:9]
	ds_bpermute_b32 v1, v1, v9
	s_waitcnt lgkmcnt(0)
	v_add_f32_e32 v1, v9, v1
	ds_bpermute_b32 v2, v2, v1
	s_waitcnt lgkmcnt(0)
	v_add_f32_e32 v1, v1, v2
	;; [unrolled: 3-line block ×6, first 2 shown]
	s_and_saveexec_b64 s[6:7], vcc
	s_cbranch_execz .LBB284_790
; %bb.789:
	ds_write_b32 v5, v1 offset:392
.LBB284_790:
	s_or_b64 exec, exec, s[6:7]
	s_waitcnt lgkmcnt(0)
	s_barrier
	s_and_saveexec_b64 s[6:7], s[2:3]
	s_cbranch_execz .LBB284_792
; %bb.791:
	ds_read_b32 v1, v6 offset:392
.LBB284_792:
	s_or_b64 exec, exec, s[6:7]
	s_waitcnt lgkmcnt(0)
	ds_bpermute_b32 v2, v38, v1
	s_waitcnt lgkmcnt(0)
	v_add_f32_e32 v1, v1, v2
	ds_bpermute_b32 v1, v7, v1
	s_and_saveexec_b64 s[2:3], s[4:5]
	s_cbranch_execz .LBB284_805
; %bb.793:
	s_waitcnt lgkmcnt(0)
	v_add_f32_e32 v1, 0x358637bd, v1
	v_div_scale_f32 v2, s[4:5], v1, v1, 1.0
	v_rcp_f32_e32 v3, v2
	v_div_scale_f32 v4, vcc, 1.0, v1, 1.0
	s_movk_i32 s4, 0x7f
	v_fma_f32 v5, -v2, v3, 1.0
	v_fmac_f32_e32 v3, v5, v3
	v_mul_f32_e32 v5, v4, v3
	v_fma_f32 v6, -v2, v5, v4
	v_fmac_f32_e32 v5, v6, v3
	v_fma_f32 v2, -v2, v5, v4
	v_div_fmas_f32 v2, v2, v3, v5
	v_div_fixup_f32 v4, v2, v1, 1.0
	scratch_load_dword v1, off, s32 offset:356 ; 4-byte Folded Reload
	s_mov_b64 s[6:7], -1
	s_waitcnt vmcnt(0)
	v_xad_u32 v2, v1, -1, v0
	v_cmp_lt_u32_e32 vcc, s4, v2
	s_and_saveexec_b64 s[4:5], vcc
	s_cbranch_execz .LBB284_802
; %bb.794:
	v_lshrrev_b32_e32 v1, 7, v2
	v_add_u32_e32 v3, -1, v1
	v_lshrrev_b32_e32 v2, 1, v3
	v_mov_b32_e32 v5, v4
	v_add_u32_e32 v2, 1, v2
	v_cmp_lt_u32_e32 vcc, 13, v3
	v_mov_b32_e32 v7, 0
	s_and_saveexec_b64 s[6:7], vcc
	s_cbranch_execz .LBB284_798
; %bb.795:
	scratch_load_dword v6, off, s32 offset:356 ; 4-byte Folded Reload
	s_ashr_i32 s17, s16, 31
	s_lshl_b64 s[8:9], s[16:17], 2
	s_getpc_b64 s[18:19]
	s_add_u32 s18, s18, llvm.amdgcn.dynlds.offset.table@rel32@lo+4
	s_addc_u32 s19, s19, llvm.amdgcn.dynlds.offset.table@rel32@hi+12
	s_add_u32 s8, s8, s18
	s_addc_u32 s9, s9, s19
	s_load_dword s8, s[8:9], 0x0
	v_and_b32_e32 v3, -8, v2
	s_mov_b32 s17, 0
	s_waitcnt vmcnt(0) lgkmcnt(0)
	v_lshl_add_u32 v6, v6, 2, s8
	s_mov_b64 s[8:9], 0
.LBB284_796:                            ; =>This Inner Loop Header: Depth=1
	ds_read2st64_b32 v[8:9], v6 offset1:2
	ds_read2st64_b32 v[10:11], v6 offset0:4 offset1:6
	ds_read2st64_b32 v[12:13], v6 offset0:8 offset1:10
	;; [unrolled: 1-line block ×3, first 2 shown]
	v_add_u32_e32 v3, -8, v3
	s_waitcnt lgkmcnt(3)
	v_pk_mul_f32 v[8:9], v[4:5], v[8:9]
	s_waitcnt lgkmcnt(2)
	v_pk_mul_f32 v[10:11], v[4:5], v[10:11]
	ds_write2st64_b32 v6, v8, v9 offset1:2
	ds_write2st64_b32 v6, v10, v11 offset0:4 offset1:6
	ds_read2st64_b32 v[10:11], v6 offset0:16 offset1:18
	s_waitcnt lgkmcnt(4)
	v_pk_mul_f32 v[8:9], v[4:5], v[12:13]
	ds_write2st64_b32 v6, v8, v9 offset0:8 offset1:10
	s_waitcnt lgkmcnt(4)
	v_pk_mul_f32 v[8:9], v[4:5], v[14:15]
	ds_write2st64_b32 v6, v8, v9 offset0:12 offset1:14
	ds_read2st64_b32 v[8:9], v6 offset0:20 offset1:22
	s_waitcnt lgkmcnt(3)
	v_pk_mul_f32 v[10:11], v[4:5], v[10:11]
	ds_read2st64_b32 v[12:13], v6 offset0:24 offset1:26
	ds_write2st64_b32 v6, v10, v11 offset0:16 offset1:18
	ds_read2st64_b32 v[10:11], v6 offset0:28 offset1:30
	s_waitcnt lgkmcnt(3)
	v_pk_mul_f32 v[8:9], v[4:5], v[8:9]
	ds_write2st64_b32 v6, v8, v9 offset0:20 offset1:22
	s_waitcnt lgkmcnt(3)
	v_pk_mul_f32 v[8:9], v[4:5], v[12:13]
	ds_write2st64_b32 v6, v8, v9 offset0:24 offset1:26
	s_waitcnt lgkmcnt(2)
	v_pk_mul_f32 v[8:9], v[4:5], v[10:11]
	s_add_i32 s17, s17, 16
	v_cmp_eq_u32_e32 vcc, 0, v3
	ds_write2st64_b32 v6, v8, v9 offset0:28 offset1:30
	v_add_u32_e32 v6, 0x2000, v6
	s_or_b64 s[8:9], vcc, s[8:9]
	v_mov_b32_e32 v7, s17
	s_andn2_b64 exec, exec, s[8:9]
	s_cbranch_execnz .LBB284_796
; %bb.797:
	s_or_b64 exec, exec, s[8:9]
.LBB284_798:
	s_or_b64 exec, exec, s[6:7]
	v_and_b32_e32 v2, 7, v2
	v_cmp_ne_u32_e32 vcc, 0, v2
	s_and_saveexec_b64 s[6:7], vcc
	s_cbranch_execz .LBB284_801
; %bb.799:
	scratch_load_dword v6, off, s32 offset:356 ; 4-byte Folded Reload
	s_ashr_i32 s17, s16, 31
	s_lshl_b64 s[8:9], s[16:17], 2
	s_getpc_b64 s[18:19]
	s_add_u32 s18, s18, llvm.amdgcn.dynlds.offset.table@rel32@lo+4
	s_addc_u32 s19, s19, llvm.amdgcn.dynlds.offset.table@rel32@hi+12
	s_add_u32 s8, s8, s18
	s_addc_u32 s9, s9, s19
	s_load_dword s8, s[8:9], 0x0
	v_lshlrev_b32_e32 v3, 9, v7
	s_waitcnt vmcnt(0)
	v_lshlrev_b32_e32 v6, 2, v6
	s_waitcnt lgkmcnt(0)
	v_add3_u32 v3, v3, v6, s8
	s_mov_b64 s[8:9], 0
.LBB284_800:                            ; =>This Inner Loop Header: Depth=1
	ds_read2st64_b32 v[6:7], v3 offset1:2
	v_add_u32_e32 v2, -1, v2
	v_cmp_eq_u32_e32 vcc, 0, v2
	s_or_b64 s[8:9], vcc, s[8:9]
	s_waitcnt lgkmcnt(0)
	v_pk_mul_f32 v[6:7], v[4:5], v[6:7]
	ds_write2st64_b32 v3, v6, v7 offset1:2
	v_add_u32_e32 v3, 0x400, v3
	s_andn2_b64 exec, exec, s[8:9]
	s_cbranch_execnz .LBB284_800
.LBB284_801:
	s_or_b64 exec, exec, s[6:7]
	v_add_u32_e32 v2, 1, v1
	scratch_load_dword v1, off, s32 offset:356 ; 4-byte Folded Reload
	v_and_b32_e32 v3, 0x3fffffe, v2
	v_cmp_ne_u32_e32 vcc, v2, v3
	s_orn2_b64 s[6:7], vcc, exec
	s_waitcnt vmcnt(0)
	v_lshl_add_u32 v1, v3, 7, v1
.LBB284_802:
	s_or_b64 exec, exec, s[4:5]
	s_and_b64 exec, exec, s[6:7]
	s_cbranch_execz .LBB284_805
; %bb.803:
	s_ashr_i32 s17, s16, 31
	s_lshl_b64 s[4:5], s[16:17], 2
	s_getpc_b64 s[6:7]
	s_add_u32 s6, s6, llvm.amdgcn.dynlds.offset.table@rel32@lo+4
	s_addc_u32 s7, s7, llvm.amdgcn.dynlds.offset.table@rel32@hi+12
	s_add_u32 s4, s4, s6
	s_addc_u32 s5, s5, s7
	s_load_dword s4, s[4:5], 0x0
	s_waitcnt lgkmcnt(0)
	v_lshl_add_u32 v2, v1, 2, s4
	s_mov_b64 s[4:5], 0
.LBB284_804:                            ; =>This Inner Loop Header: Depth=1
	ds_read_b32 v3, v2
	v_add_u32_e32 v1, 0x80, v1
	v_cmp_ge_i32_e32 vcc, v1, v0
	s_or_b64 s[4:5], vcc, s[4:5]
	s_waitcnt lgkmcnt(0)
	v_mul_f32_e32 v3, v4, v3
	ds_write_b32 v2, v3
	v_add_u32_e32 v2, 0x200, v2
	s_andn2_b64 exec, exec, s[4:5]
	s_cbranch_execnz .LBB284_804
.LBB284_805:
	s_or_b64 exec, exec, s[2:3]
	s_waitcnt lgkmcnt(0)
	s_barrier
	scratch_load_dword v0, off, s32 offset:356 ; 4-byte Folded Reload
	v_mov_b32_e32 v28, 0
	v_mov_b32_e32 v29, 0
	;; [unrolled: 1-line block ×12, first 2 shown]
	s_waitcnt vmcnt(0)
	v_and_b32_e32 v39, 3, v0
	s_and_saveexec_b64 s[2:3], s[0:1]
	s_cbranch_execz .LBB284_1601
; %bb.806:
	v_lshl_add_u64 v[0:1], v[32:33], 0, v[34:35]
	v_accvgpr_write_b32 a15, v1
	v_accvgpr_write_b32 a14, v0
	scratch_load_dword v0, off, s32 offset:316 ; 4-byte Folded Reload
	s_ashr_i32 s17, s16, 31
	s_lshl_b64 s[0:1], s[16:17], 2
	v_mov_b32_e32 v17, 0
	s_getpc_b64 s[4:5]
	s_add_u32 s4, s4, llvm.amdgcn.dynlds.offset.table@rel32@lo+4
	s_addc_u32 s5, s5, llvm.amdgcn.dynlds.offset.table@rel32@hi+12
	v_mov_b32_e32 v3, v17
	s_add_u32 s0, s0, s4
	v_mov_b32_e32 v1, v17
	s_addc_u32 s1, s1, s5
	s_load_dword s0, s[0:1], 0x0
	v_and_b32_e32 v4, 24, v16
	v_accvgpr_write_b32 a11, v38
	v_accvgpr_write_b32 a10, v37
	;; [unrolled: 1-line block ×3, first 2 shown]
	v_accvgpr_read_b32 v13, a8
	v_accvgpr_write_b32 a12, v39
	s_mov_b64 s[4:5], 0
	s_movk_i32 s17, 0x7f
	s_movk_i32 s20, 0x80
	s_mov_b32 s21, 0x8000
	s_movk_i32 s22, 0x380
	s_mov_b32 s23, 0x3020706
	s_mov_b32 s24, 0x1000504
	s_mov_b32 s25, 0x5040100
	v_mov_b32_e32 v57, 0x1c00
	v_mov_b32_e32 v5, 0
	;; [unrolled: 1-line block ×12, first 2 shown]
	s_waitcnt vmcnt(0)
	v_add_u32_e32 v0, -1, v0
	v_accvgpr_write_b32 a13, v0
	v_and_b32_e32 v0, 0x1f8, v16
	v_or_b32_e32 v2, 0x1000, v0
	v_accvgpr_write_b32 a19, v3
	v_accvgpr_write_b32 a18, v2
	v_or_b32_e32 v2, 0x1200, v0
	v_accvgpr_write_b32 a21, v3
	v_accvgpr_write_b32 a17, v1
	;; [unrolled: 1-line block ×3, first 2 shown]
	v_or_b32_e32 v2, 0x1400, v0
	v_accvgpr_write_b32 a16, v0
	v_or_b32_e32 v0, 0x1600, v0
	v_accvgpr_write_b32 a25, v1
	v_and_b32_e32 v16, 60, v18
	v_accvgpr_write_b32 a23, v3
	v_accvgpr_write_b32 a24, v0
	v_lshl_add_u64 v[0:1], v[30:31], 2, v[16:17]
	v_accvgpr_write_b32 a22, v2
	v_lshl_add_u64 v[2:3], v[22:23], 0, v[0:1]
	v_accvgpr_read_b32 v1, a7
	v_lshlrev_b32_e32 v0, 5, v39
	v_lshl_or_b32 v0, v1, 7, v0
	v_lshl_or_b32 v19, v1, 5, v4
	s_waitcnt lgkmcnt(0)
	v_add_u32_e32 v56, s0, v0
	v_mov_b32_e32 v4, 0
	s_branch .LBB284_808
.LBB284_807:                            ;   in Loop: Header=BB284_808 Depth=1
	s_or_b64 exec, exec, s[0:1]
	v_add_f32_e32 v6, v12, v23
	v_add_f32_e32 v4, v4, v6
	;; [unrolled: 1-line block ×18, first 2 shown]
	v_accvgpr_read_b32 v6, a28
	v_add_f32_e32 v6, v6, v47
	v_add_f32_e32 v29, v29, v6
	v_accvgpr_read_b32 v6, a26
	v_accvgpr_read_b32 v7, a27
	v_add_f32_e32 v6, v6, v7
	v_add_f32_e32 v28, v28, v6
	;;#ASMSTART
	v_pk_mul_f16 v6, v40, v39;

	;;#ASMEND
	;;#ASMSTART
	v_pk_mul_f16 v1, v1, v16;

	;;#ASMEND
	;; [unrolled: 4-line block ×4, first 2 shown]
	v_lshl_add_u64 v[2:3], v[2:3], 0, 8
	;;#ASMSTART
	v_pk_add_f16 v1, v6, v1;

	;;#ASMEND
	v_add_u32_e32 v19, 64, v19
	;;#ASMSTART
	v_pk_add_f16 v0, v1, v0;

	;;#ASMEND
	v_add_u32_e32 v56, 0x100, v56
	;;#ASMSTART
	v_pk_add_f16 v0, v0, v7;

	;;#ASMEND
	s_nop 0
	v_lshrrev_b32_e32 v1, 16, v0
	v_and_b32_e32 v0, 0xffff, v0
	;;#ASMSTART
	v_cvt_f32_f16 v0, v0;
	;;#ASMEND
	;;#ASMSTART
	v_cvt_f32_f16 v1, v1;
	;;#ASMEND
	s_nop 0
	v_add_f32_e32 v0, v0, v1
	v_add_f32_e32 v5, v5, v0
	scratch_load_dword v0, off, s32 offset:316 ; 4-byte Folded Reload
	v_accvgpr_read_b32 v1, a7
	v_add_u32_e32 v1, 2, v1
	v_accvgpr_write_b32 a7, v1
	s_waitcnt vmcnt(0)
	v_cmp_ge_i32_e32 vcc, v1, v0
	s_or_b64 s[4:5], vcc, s[4:5]
	s_andn2_b64 exec, exec, s[4:5]
	s_cbranch_execz .LBB284_1600
.LBB284_808:                            ; =>This Inner Loop Header: Depth=1
	ds_read2_b64 v[30:33], v56 offset1:1
	ds_read2_b64 v[34:37], v56 offset0:2 offset1:3
	v_accvgpr_read_b32 v23, a15
	v_accvgpr_read_b32 v22, a14
                                        ; implicit-def: $sgpr18
	s_waitcnt lgkmcnt(1)
	;;#ASMSTART
	v_cvt_f16_f32 v0, v30;

	;;#ASMEND
	;;#ASMSTART
	v_cvt_f16_f32 v1, v31;

	;;#ASMEND
	;;#ASMSTART
	v_cvt_f16_f32 v6, v32;

	;;#ASMEND
	;;#ASMSTART
	v_cvt_f16_f32 v7, v33;

	;;#ASMEND
	s_waitcnt lgkmcnt(0)
	;;#ASMSTART
	v_cvt_f16_f32 v12, v34;

	;;#ASMEND
	;;#ASMSTART
	v_cvt_f16_f32 v14, v35;

	;;#ASMEND
	;; [unrolled: 4-line block ×4, first 2 shown]
	flat_load_dword v10, v[2:3]
	scratch_load_dwordx2 v[30:31], off, s32 offset:320 ; 8-byte Folded Reload
	s_waitcnt vmcnt(0) lgkmcnt(0)
	v_mad_i64_i32 v[10:11], s[0:1], v10, v30, v[22:23]
	v_accvgpr_read_b32 v23, a17
	v_accvgpr_read_b32 v22, a16
	v_lshl_add_u64 v[38:39], v[10:11], 0, v[22:23]
	v_accvgpr_read_b32 v23, a5
	flat_load_dwordx2 v[50:51], v[38:39]
	v_accvgpr_read_b32 v22, a4
	flat_load_dword v48, v[22:23]
	s_mov_b64 s[0:1], 0
	s_waitcnt vmcnt(0) lgkmcnt(0)
	v_cmp_gt_i16_sdwa s[6:7], v50, s17 src0_sel:BYTE_0 src1_sel:DWORD
	s_and_saveexec_b64 s[8:9], s[6:7]
	s_xor_b64 s[6:7], exec, s[8:9]
	s_cbranch_execnz .LBB284_1216
; %bb.809:                              ;   in Loop: Header=BB284_808 Depth=1
	s_or_saveexec_b64 s[6:7], s[6:7]
	v_mov_b32_e32 v52, s18
	s_xor_b64 exec, exec, s[6:7]
	s_cbranch_execnz .LBB284_1219
.LBB284_810:                            ;   in Loop: Header=BB284_808 Depth=1
	s_or_b64 exec, exec, s[6:7]
	s_and_saveexec_b64 s[6:7], s[0:1]
	s_cbranch_execz .LBB284_812
.LBB284_811:                            ;   in Loop: Header=BB284_808 Depth=1
	v_and_b32_e32 v16, 7, v50
	v_ffbh_u32_e32 v16, v16
	v_bfe_u32 v22, v50, 3, 4
	v_min_u32_e32 v16, 32, v16
	v_subrev_u32_e32 v23, 28, v16
	v_sub_u32_e32 v16, 29, v16
	v_cmp_eq_u32_e32 vcc, 0, v22
	s_nop 1
	v_cndmask_b32_e32 v16, v22, v16, vcc
	v_cndmask_b32_e32 v22, 0, v23, vcc
	v_lshlrev_b64 v[22:23], v22, v[50:51]
	v_lshlrev_b32_e32 v23, 8, v50
	v_lshl_add_u32 v16, v16, 10, v57
	v_lshlrev_b32_e32 v22, 7, v22
	v_and_or_b32 v16, v23, s21, v16
	v_and_or_b32 v16, v22, s22, v16
	v_cvt_f32_f16_e32 v52, v16
.LBB284_812:                            ;   in Loop: Header=BB284_808 Depth=1
	s_or_b64 exec, exec, s[6:7]
	v_lshrrev_b16_e32 v16, 8, v50
	v_cmp_lt_i16_e32 vcc, s17, v16
	s_mov_b64 s[0:1], 0
                                        ; implicit-def: $sgpr18
	s_and_saveexec_b64 s[6:7], vcc
	s_xor_b64 s[6:7], exec, s[6:7]
	s_cbranch_execnz .LBB284_1220
; %bb.813:                              ;   in Loop: Header=BB284_808 Depth=1
	s_or_saveexec_b64 s[6:7], s[6:7]
	v_mov_b32_e32 v54, s18
	s_xor_b64 exec, exec, s[6:7]
	s_cbranch_execnz .LBB284_1223
.LBB284_814:                            ;   in Loop: Header=BB284_808 Depth=1
	s_or_b64 exec, exec, s[6:7]
	s_and_saveexec_b64 s[6:7], s[0:1]
	s_cbranch_execz .LBB284_816
.LBB284_815:                            ;   in Loop: Header=BB284_808 Depth=1
	v_and_b32_e32 v30, 7, v16
	v_ffbh_u32_e32 v22, v30
	v_min_u32_e32 v32, 32, v22
	v_subrev_u32_e32 v22, 28, v32
	v_bfe_u32 v31, v16, 3, 4
	v_lshlrev_b64 v[22:23], v22, v[16:17]
	v_sub_u32_e32 v23, 29, v32
	v_cmp_eq_u32_e32 vcc, 0, v31
	v_and_b32_e32 v22, 7, v22
	v_lshlrev_b32_e32 v16, 8, v16
	v_cndmask_b32_e32 v23, v31, v23, vcc
	v_lshl_add_u32 v23, v23, 10, v57
	v_cndmask_b32_e32 v22, v30, v22, vcc
	v_and_or_b32 v16, v16, s21, v23
	v_lshl_or_b32 v16, v22, 7, v16
	v_cvt_f32_f16_e32 v54, v16
.LBB284_816:                            ;   in Loop: Header=BB284_808 Depth=1
	s_or_b64 exec, exec, s[6:7]
	v_lshrrev_b32_e32 v16, 16, v50
	v_cmp_gt_i16_sdwa s[6:7], v16, s17 src0_sel:BYTE_0 src1_sel:DWORD
	s_mov_b64 s[0:1], 0
                                        ; implicit-def: $sgpr18
	s_and_saveexec_b64 s[8:9], s[6:7]
	s_xor_b64 s[6:7], exec, s[8:9]
	s_cbranch_execnz .LBB284_1224
; %bb.817:                              ;   in Loop: Header=BB284_808 Depth=1
	s_or_saveexec_b64 s[6:7], s[6:7]
	v_mov_b32_e32 v53, s18
	s_xor_b64 exec, exec, s[6:7]
	s_cbranch_execnz .LBB284_1227
.LBB284_818:                            ;   in Loop: Header=BB284_808 Depth=1
	s_or_b64 exec, exec, s[6:7]
	s_and_saveexec_b64 s[6:7], s[0:1]
	s_cbranch_execz .LBB284_820
.LBB284_819:                            ;   in Loop: Header=BB284_808 Depth=1
	v_bfe_u32 v30, v50, 16, 3
	v_ffbh_u32_e32 v22, v30
	v_min_u32_e32 v32, 32, v22
	v_subrev_u32_e32 v22, 28, v32
	v_bfe_u32 v31, v50, 19, 4
	v_lshlrev_b64 v[22:23], v22, v[16:17]
	v_sub_u32_e32 v23, 29, v32
	v_cmp_eq_u32_e32 vcc, 0, v31
	v_and_b32_e32 v22, 7, v22
	v_lshlrev_b32_e32 v16, 8, v16
	v_cndmask_b32_e32 v23, v31, v23, vcc
	v_lshl_add_u32 v23, v23, 10, v57
	v_cndmask_b32_e32 v22, v30, v22, vcc
	v_and_or_b32 v16, v16, s21, v23
	v_lshl_or_b32 v16, v22, 7, v16
	v_cvt_f32_f16_e32 v53, v16
.LBB284_820:                            ;   in Loop: Header=BB284_808 Depth=1
	s_or_b64 exec, exec, s[6:7]
	v_lshrrev_b32_e32 v16, 24, v50
	v_cmp_lt_i16_e32 vcc, s17, v16
	s_mov_b64 s[0:1], 0
                                        ; implicit-def: $sgpr18
	s_and_saveexec_b64 s[6:7], vcc
	s_xor_b64 s[6:7], exec, s[6:7]
	s_cbranch_execnz .LBB284_1228
; %bb.821:                              ;   in Loop: Header=BB284_808 Depth=1
	s_or_saveexec_b64 s[6:7], s[6:7]
	v_mov_b32_e32 v55, s18
	s_xor_b64 exec, exec, s[6:7]
	s_cbranch_execnz .LBB284_1231
.LBB284_822:                            ;   in Loop: Header=BB284_808 Depth=1
	s_or_b64 exec, exec, s[6:7]
	s_and_saveexec_b64 s[6:7], s[0:1]
	s_cbranch_execz .LBB284_824
.LBB284_823:                            ;   in Loop: Header=BB284_808 Depth=1
	v_bfe_u32 v30, v50, 24, 3
	v_ffbh_u32_e32 v22, v30
	v_min_u32_e32 v32, 32, v22
	v_subrev_u32_e32 v22, 28, v32
	v_bfe_u32 v31, v50, 27, 4
	v_lshlrev_b64 v[22:23], v22, v[16:17]
	v_sub_u32_e32 v23, 29, v32
	v_cmp_eq_u32_e32 vcc, 0, v31
	v_and_b32_e32 v22, 7, v22
	v_lshlrev_b32_e32 v16, 8, v16
	v_cndmask_b32_e32 v23, v31, v23, vcc
	v_lshl_add_u32 v23, v23, 10, v57
	v_cndmask_b32_e32 v22, v30, v22, vcc
	v_and_or_b32 v16, v16, s21, v23
	v_lshl_or_b32 v16, v22, 7, v16
	v_cvt_f32_f16_e32 v55, v16
.LBB284_824:                            ;   in Loop: Header=BB284_808 Depth=1
	s_or_b64 exec, exec, s[6:7]
	v_cmp_gt_i16_sdwa s[6:7], v51, s17 src0_sel:BYTE_0 src1_sel:DWORD
	s_mov_b64 s[0:1], 0
                                        ; implicit-def: $sgpr18
	s_and_saveexec_b64 s[8:9], s[6:7]
	s_xor_b64 s[6:7], exec, s[8:9]
	s_cbranch_execnz .LBB284_1232
; %bb.825:                              ;   in Loop: Header=BB284_808 Depth=1
	s_or_saveexec_b64 s[6:7], s[6:7]
	v_mov_b32_e32 v22, s18
	s_xor_b64 exec, exec, s[6:7]
	s_cbranch_execnz .LBB284_1235
.LBB284_826:                            ;   in Loop: Header=BB284_808 Depth=1
	s_or_b64 exec, exec, s[6:7]
	v_mov_b32_e32 v16, v51
	s_and_saveexec_b64 s[6:7], s[0:1]
	s_cbranch_execz .LBB284_828
.LBB284_827:                            ;   in Loop: Header=BB284_808 Depth=1
	v_and_b32_e32 v22, 7, v51
	v_ffbh_u32_e32 v22, v22
	v_bfe_u32 v23, v51, 3, 4
	v_min_u32_e32 v22, 32, v22
	v_subrev_u32_e32 v30, 28, v22
	v_sub_u32_e32 v22, 29, v22
	v_cmp_eq_u32_e32 vcc, 0, v23
	s_nop 1
	v_cndmask_b32_e32 v31, v23, v22, vcc
	v_cndmask_b32_e32 v22, 0, v30, vcc
	v_lshlrev_b64 v[22:23], v22, v[16:17]
	v_lshlrev_b32_e32 v23, 8, v51
	v_lshl_add_u32 v30, v31, 10, v57
	v_lshlrev_b32_e32 v22, 7, v22
	v_and_or_b32 v23, v23, s21, v30
	v_and_or_b32 v22, v22, s22, v23
	v_cvt_f32_f16_e32 v22, v22
.LBB284_828:                            ;   in Loop: Header=BB284_808 Depth=1
	s_or_b64 exec, exec, s[6:7]
	v_lshrrev_b16_e32 v16, 8, v16
	v_cmp_lt_i16_e32 vcc, s17, v16
	s_mov_b64 s[0:1], 0
                                        ; implicit-def: $sgpr18
	s_and_saveexec_b64 s[6:7], vcc
	s_xor_b64 s[6:7], exec, s[6:7]
	s_cbranch_execnz .LBB284_1236
; %bb.829:                              ;   in Loop: Header=BB284_808 Depth=1
	s_or_saveexec_b64 s[6:7], s[6:7]
	v_mov_b32_e32 v23, s18
	s_xor_b64 exec, exec, s[6:7]
	s_cbranch_execnz .LBB284_1239
.LBB284_830:                            ;   in Loop: Header=BB284_808 Depth=1
	s_or_b64 exec, exec, s[6:7]
	s_and_saveexec_b64 s[6:7], s[0:1]
	s_cbranch_execz .LBB284_832
.LBB284_831:                            ;   in Loop: Header=BB284_808 Depth=1
	v_and_b32_e32 v23, 7, v16
	v_ffbh_u32_e32 v30, v23
	v_min_u32_e32 v33, 32, v30
	v_subrev_u32_e32 v30, 28, v33
	v_bfe_u32 v32, v16, 3, 4
	v_lshlrev_b64 v[30:31], v30, v[16:17]
	v_sub_u32_e32 v31, 29, v33
	v_cmp_eq_u32_e32 vcc, 0, v32
	v_and_b32_e32 v30, 7, v30
	v_lshlrev_b32_e32 v16, 8, v16
	v_cndmask_b32_e32 v31, v32, v31, vcc
	v_cndmask_b32_e32 v23, v23, v30, vcc
	v_lshl_add_u32 v30, v31, 10, v57
	v_and_or_b32 v16, v16, s21, v30
	v_lshl_or_b32 v16, v23, 7, v16
	v_cvt_f32_f16_e32 v23, v16
.LBB284_832:                            ;   in Loop: Header=BB284_808 Depth=1
	s_or_b64 exec, exec, s[6:7]
	v_lshrrev_b32_e32 v16, 16, v51
	v_cmp_gt_i16_sdwa s[6:7], v16, s17 src0_sel:BYTE_0 src1_sel:DWORD
	s_mov_b64 s[0:1], 0
                                        ; implicit-def: $sgpr18
	s_and_saveexec_b64 s[8:9], s[6:7]
	s_xor_b64 s[6:7], exec, s[8:9]
	s_cbranch_execnz .LBB284_1240
; %bb.833:                              ;   in Loop: Header=BB284_808 Depth=1
	s_or_saveexec_b64 s[6:7], s[6:7]
	v_mov_b32_e32 v30, s18
	s_xor_b64 exec, exec, s[6:7]
	s_cbranch_execnz .LBB284_1243
.LBB284_834:                            ;   in Loop: Header=BB284_808 Depth=1
	s_or_b64 exec, exec, s[6:7]
	s_and_saveexec_b64 s[6:7], s[0:1]
	s_cbranch_execz .LBB284_836
.LBB284_835:                            ;   in Loop: Header=BB284_808 Depth=1
	v_bfe_u32 v32, v51, 16, 3
	v_ffbh_u32_e32 v30, v32
	v_min_u32_e32 v34, 32, v30
	v_subrev_u32_e32 v30, 28, v34
	v_bfe_u32 v33, v51, 19, 4
	v_lshlrev_b64 v[30:31], v30, v[16:17]
	v_sub_u32_e32 v31, 29, v34
	v_cmp_eq_u32_e32 vcc, 0, v33
	v_and_b32_e32 v30, 7, v30
	v_lshlrev_b32_e32 v16, 8, v16
	v_cndmask_b32_e32 v31, v33, v31, vcc
	v_lshl_add_u32 v31, v31, 10, v57
	v_cndmask_b32_e32 v30, v32, v30, vcc
	v_and_or_b32 v16, v16, s21, v31
	v_lshl_or_b32 v16, v30, 7, v16
	v_cvt_f32_f16_e32 v30, v16
.LBB284_836:                            ;   in Loop: Header=BB284_808 Depth=1
	s_or_b64 exec, exec, s[6:7]
	v_lshrrev_b32_e32 v16, 24, v51
	v_cmp_lt_i16_e32 vcc, s17, v16
	s_mov_b64 s[0:1], 0
                                        ; implicit-def: $sgpr18
	s_and_saveexec_b64 s[6:7], vcc
	s_xor_b64 s[6:7], exec, s[6:7]
	s_cbranch_execnz .LBB284_1244
; %bb.837:                              ;   in Loop: Header=BB284_808 Depth=1
	s_or_saveexec_b64 s[6:7], s[6:7]
	v_mov_b32_e32 v32, s18
	s_xor_b64 exec, exec, s[6:7]
	s_cbranch_execnz .LBB284_1247
.LBB284_838:                            ;   in Loop: Header=BB284_808 Depth=1
	s_or_b64 exec, exec, s[6:7]
	s_and_saveexec_b64 s[6:7], s[0:1]
	s_cbranch_execz .LBB284_840
.LBB284_839:                            ;   in Loop: Header=BB284_808 Depth=1
	v_bfe_u32 v31, v51, 24, 3
	v_ffbh_u32_e32 v32, v31
	v_min_u32_e32 v35, 32, v32
	v_subrev_u32_e32 v32, 28, v35
	v_bfe_u32 v34, v51, 27, 4
	v_lshlrev_b64 v[32:33], v32, v[16:17]
	v_sub_u32_e32 v33, 29, v35
	v_cmp_eq_u32_e32 vcc, 0, v34
	v_and_b32_e32 v32, 7, v32
	v_lshlrev_b32_e32 v16, 8, v16
	v_cndmask_b32_e32 v33, v34, v33, vcc
	v_cndmask_b32_e32 v31, v31, v32, vcc
	v_lshl_add_u32 v32, v33, 10, v57
	v_and_or_b32 v16, v16, s21, v32
	v_lshl_or_b32 v16, v31, 7, v16
	v_cvt_f32_f16_e32 v32, v16
.LBB284_840:                            ;   in Loop: Header=BB284_808 Depth=1
	s_or_b64 exec, exec, s[6:7]
	v_pk_mul_f32 v[34:35], v[48:49], v[54:55] op_sel_hi:[0,1]
	v_pk_mul_f32 v[36:37], v[48:49], v[52:53] op_sel_hi:[0,1]
	v_cvt_f16_f32_e32 v16, v35
	v_cvt_f16_f32_e32 v31, v34
	;; [unrolled: 1-line block ×4, first 2 shown]
	v_fma_mixlo_f16 v23, v48, v23, 0
	v_lshlrev_b32_e32 v23, 16, v23
	v_fma_mixlo_f16 v22, v48, v22, 0
	v_or_b32_sdwa v22, v23, v22 dst_sel:DWORD dst_unused:UNUSED_PAD src0_sel:DWORD src1_sel:WORD_0
	v_fma_mixlo_f16 v23, v48, v32, 0
	v_accvgpr_read_b32 v35, a7
	v_accvgpr_read_b32 v36, a13
	v_pack_b32_f16 v31, v31, v16
	v_pack_b32_f16 v33, v34, v33
	v_fma_mixlo_f16 v30, v48, v30, 0
	v_lshlrev_b32_e32 v23, 16, v23
	v_cmp_eq_u32_e32 vcc, v36, v35
	v_perm_b32 v16, v33, v31, s23
	v_perm_b32 v31, v33, v31, s24
	v_or_b32_sdwa v23, v23, v30 dst_sel:DWORD dst_unused:UNUSED_PAD src0_sel:DWORD src1_sel:WORD_0
	v_add_u32_e32 v44, 1, v19
	v_or_b32_e32 v46, 3, v19
	v_or_b32_e32 v62, 2, v19
	;; [unrolled: 1-line block ×6, first 2 shown]
	s_and_saveexec_b64 s[6:7], vcc
	s_cbranch_execz .LBB284_842
; %bb.841:                              ;   in Loop: Header=BB284_808 Depth=1
	v_lshrrev_b32_e32 v32, 16, v31
	v_cmp_lt_i32_e64 s[0:1], v44, v13
	v_accvgpr_read_b32 v34, a8
	v_lshrrev_b32_e32 v23, 16, v23
	v_cndmask_b32_e64 v32, 0, v32, s[0:1]
	v_cmp_lt_i32_e64 s[0:1], v19, v34
	s_nop 1
	v_cndmask_b32_e64 v31, 0, v31, s[0:1]
	v_perm_b32 v31, v32, v31, s25
	v_lshrrev_b32_e32 v32, 16, v16
	v_cmp_lt_i32_e64 s[0:1], v46, v13
	s_nop 1
	v_cndmask_b32_e64 v32, 0, v32, s[0:1]
	v_cmp_lt_i32_e64 s[0:1], v62, v34
	s_nop 1
	v_cndmask_b32_e64 v16, 0, v16, s[0:1]
	v_perm_b32 v16, v32, v16, s25
	v_lshrrev_b32_e32 v32, 16, v22
	v_cmp_lt_i32_e64 s[0:1], v61, v13
	s_nop 1
	v_cndmask_b32_e64 v32, 0, v32, s[0:1]
	v_cmp_lt_i32_e64 s[0:1], v60, v34
	s_nop 1
	v_cndmask_b32_e64 v22, 0, v22, s[0:1]
	v_cmp_lt_i32_e64 s[0:1], v59, v13
	v_perm_b32 v22, v32, v22, s25
	s_nop 0
	v_cndmask_b32_e64 v23, 0, v23, s[0:1]
	v_cmp_lt_i32_e64 s[0:1], v58, v34
	s_nop 1
	v_cndmask_b32_e64 v30, 0, v30, s[0:1]
	v_perm_b32 v23, v23, v30, s25
.LBB284_842:                            ;   in Loop: Header=BB284_808 Depth=1
	s_or_b64 exec, exec, s[6:7]
	v_and_b32_e32 v0, 0xffff, v0
	v_lshl_or_b32 v40, v1, 16, v0
	v_and_b32_e32 v0, 0xffff, v6
	v_and_b32_e32 v6, 0xffff, v15
	v_lshl_or_b32 v1, v7, 16, v0
	v_and_b32_e32 v0, 0xffff, v12
	v_lshl_or_b32 v43, v18, 16, v6
	;;#ASMSTART
	v_pk_mul_f16 v6, v40, v31;

	;;#ASMEND
	v_lshl_or_b32 v0, v14, 16, v0
	;;#ASMSTART
	v_pk_mul_f16 v7, v1, v16;

	;;#ASMEND
	;;#ASMSTART
	v_pk_mul_f16 v12, v0, v22;

	;;#ASMEND
	;; [unrolled: 4-line block ×3, first 2 shown]
	s_mov_b64 s[0:1], 0
	;;#ASMSTART
	v_pk_add_f16 v6, v6, v7;

	;;#ASMEND
                                        ; implicit-def: $sgpr18
	s_nop 0
	;;#ASMSTART
	v_pk_add_f16 v6, v6, v12;

	;;#ASMEND
	s_nop 0
	;;#ASMSTART
	v_pk_add_f16 v6, v6, v14;

	;;#ASMEND
	s_nop 0
	v_lshrrev_b32_e32 v7, 16, v6
	v_and_b32_e32 v6, 0xffff, v6
	;;#ASMSTART
	v_cvt_f32_f16 v6, v6;
	;;#ASMEND
	s_nop 0
	v_accvgpr_write_b32 a26, v6
	;;#ASMSTART
	v_cvt_f32_f16 v6, v7;
	;;#ASMEND
	flat_load_dwordx2 v[50:51], v[38:39] offset:512
	v_accvgpr_write_b32 a27, v6
	v_accvgpr_read_b32 v7, a5
	v_accvgpr_read_b32 v6, a4
	flat_load_dword v48, v[6:7]
	s_waitcnt vmcnt(0) lgkmcnt(0)
	v_cmp_gt_i16_sdwa s[6:7], v50, s17 src0_sel:BYTE_0 src1_sel:DWORD
	s_and_saveexec_b64 s[8:9], s[6:7]
	s_xor_b64 s[6:7], exec, s[8:9]
	s_cbranch_execnz .LBB284_1248
; %bb.843:                              ;   in Loop: Header=BB284_808 Depth=1
	s_or_saveexec_b64 s[6:7], s[6:7]
	v_mov_b32_e32 v52, s18
	s_xor_b64 exec, exec, s[6:7]
	s_cbranch_execnz .LBB284_1251
.LBB284_844:                            ;   in Loop: Header=BB284_808 Depth=1
	s_or_b64 exec, exec, s[6:7]
	s_and_saveexec_b64 s[6:7], s[0:1]
	s_cbranch_execz .LBB284_846
.LBB284_845:                            ;   in Loop: Header=BB284_808 Depth=1
	v_and_b32_e32 v6, 7, v50
	v_ffbh_u32_e32 v6, v6
	v_bfe_u32 v7, v50, 3, 4
	v_min_u32_e32 v6, 32, v6
	v_subrev_u32_e32 v12, 28, v6
	v_sub_u32_e32 v6, 29, v6
	v_cmp_eq_u32_e64 s[0:1], 0, v7
	s_nop 1
	v_cndmask_b32_e64 v14, v7, v6, s[0:1]
	v_cndmask_b32_e64 v6, 0, v12, s[0:1]
	v_lshlrev_b64 v[6:7], v6, v[50:51]
	v_lshlrev_b32_e32 v7, 8, v50
	v_lshl_add_u32 v12, v14, 10, v57
	v_lshlrev_b32_e32 v6, 7, v6
	v_and_or_b32 v7, v7, s21, v12
	v_and_or_b32 v6, v6, s22, v7
	v_cvt_f32_f16_e32 v52, v6
.LBB284_846:                            ;   in Loop: Header=BB284_808 Depth=1
	s_or_b64 exec, exec, s[6:7]
	v_lshrrev_b16_e32 v16, 8, v50
	v_cmp_lt_i16_e64 s[0:1], s17, v16
	s_mov_b64 s[6:7], 0
                                        ; implicit-def: $sgpr26
	s_and_saveexec_b64 s[8:9], s[0:1]
	s_xor_b64 s[8:9], exec, s[8:9]
	s_cbranch_execnz .LBB284_1252
; %bb.847:                              ;   in Loop: Header=BB284_808 Depth=1
	s_or_saveexec_b64 s[8:9], s[8:9]
	v_mov_b32_e32 v54, s26
	s_xor_b64 exec, exec, s[8:9]
	s_cbranch_execnz .LBB284_1255
.LBB284_848:                            ;   in Loop: Header=BB284_808 Depth=1
	s_or_b64 exec, exec, s[8:9]
	s_and_saveexec_b64 s[8:9], s[6:7]
	s_cbranch_execz .LBB284_850
.LBB284_849:                            ;   in Loop: Header=BB284_808 Depth=1
	v_and_b32_e32 v12, 7, v16
	v_ffbh_u32_e32 v6, v12
	v_min_u32_e32 v15, 32, v6
	v_subrev_u32_e32 v6, 28, v15
	v_bfe_u32 v14, v16, 3, 4
	v_lshlrev_b64 v[6:7], v6, v[16:17]
	v_sub_u32_e32 v7, 29, v15
	v_cmp_eq_u32_e64 s[0:1], 0, v14
	v_and_b32_e32 v6, 7, v6
	s_nop 0
	v_cndmask_b32_e64 v7, v14, v7, s[0:1]
	v_cndmask_b32_e64 v6, v12, v6, s[0:1]
	v_lshlrev_b32_e32 v12, 8, v16
	v_lshl_add_u32 v7, v7, 10, v57
	v_and_or_b32 v7, v12, s21, v7
	v_lshl_or_b32 v6, v6, 7, v7
	v_cvt_f32_f16_e32 v54, v6
.LBB284_850:                            ;   in Loop: Header=BB284_808 Depth=1
	s_or_b64 exec, exec, s[8:9]
	v_lshrrev_b32_e32 v16, 16, v50
	v_cmp_gt_i16_sdwa s[6:7], v16, s17 src0_sel:BYTE_0 src1_sel:DWORD
	s_mov_b64 s[0:1], 0
                                        ; implicit-def: $sgpr18
	s_and_saveexec_b64 s[8:9], s[6:7]
	s_xor_b64 s[6:7], exec, s[8:9]
	s_cbranch_execnz .LBB284_1256
; %bb.851:                              ;   in Loop: Header=BB284_808 Depth=1
	s_or_saveexec_b64 s[6:7], s[6:7]
	v_mov_b32_e32 v53, s18
	s_xor_b64 exec, exec, s[6:7]
	s_cbranch_execnz .LBB284_1259
.LBB284_852:                            ;   in Loop: Header=BB284_808 Depth=1
	s_or_b64 exec, exec, s[6:7]
	s_and_saveexec_b64 s[6:7], s[0:1]
	s_cbranch_execz .LBB284_854
.LBB284_853:                            ;   in Loop: Header=BB284_808 Depth=1
	v_bfe_u32 v12, v50, 16, 3
	v_ffbh_u32_e32 v6, v12
	v_min_u32_e32 v15, 32, v6
	v_subrev_u32_e32 v6, 28, v15
	v_bfe_u32 v14, v50, 19, 4
	v_lshlrev_b64 v[6:7], v6, v[16:17]
	v_sub_u32_e32 v7, 29, v15
	v_cmp_eq_u32_e64 s[0:1], 0, v14
	v_and_b32_e32 v6, 7, v6
	s_nop 0
	v_cndmask_b32_e64 v7, v14, v7, s[0:1]
	v_cndmask_b32_e64 v6, v12, v6, s[0:1]
	v_lshlrev_b32_e32 v12, 8, v16
	v_lshl_add_u32 v7, v7, 10, v57
	v_and_or_b32 v7, v12, s21, v7
	v_lshl_or_b32 v6, v6, 7, v7
	v_cvt_f32_f16_e32 v53, v6
.LBB284_854:                            ;   in Loop: Header=BB284_808 Depth=1
	s_or_b64 exec, exec, s[6:7]
	v_lshrrev_b32_e32 v16, 24, v50
	v_cmp_lt_i16_e64 s[0:1], s17, v16
	s_mov_b64 s[6:7], 0
                                        ; implicit-def: $sgpr26
	s_and_saveexec_b64 s[8:9], s[0:1]
	s_xor_b64 s[8:9], exec, s[8:9]
	s_cbranch_execnz .LBB284_1260
; %bb.855:                              ;   in Loop: Header=BB284_808 Depth=1
	s_or_saveexec_b64 s[8:9], s[8:9]
	v_mov_b32_e32 v55, s26
	s_xor_b64 exec, exec, s[8:9]
	s_cbranch_execnz .LBB284_1263
.LBB284_856:                            ;   in Loop: Header=BB284_808 Depth=1
	s_or_b64 exec, exec, s[8:9]
	s_and_saveexec_b64 s[8:9], s[6:7]
	s_cbranch_execz .LBB284_858
.LBB284_857:                            ;   in Loop: Header=BB284_808 Depth=1
	v_bfe_u32 v12, v50, 24, 3
	v_ffbh_u32_e32 v6, v12
	v_min_u32_e32 v15, 32, v6
	v_subrev_u32_e32 v6, 28, v15
	v_bfe_u32 v14, v50, 27, 4
	v_lshlrev_b64 v[6:7], v6, v[16:17]
	v_sub_u32_e32 v7, 29, v15
	v_cmp_eq_u32_e64 s[0:1], 0, v14
	v_and_b32_e32 v6, 7, v6
	s_nop 0
	v_cndmask_b32_e64 v7, v14, v7, s[0:1]
	v_cndmask_b32_e64 v6, v12, v6, s[0:1]
	v_lshlrev_b32_e32 v12, 8, v16
	v_lshl_add_u32 v7, v7, 10, v57
	v_and_or_b32 v7, v12, s21, v7
	v_lshl_or_b32 v6, v6, 7, v7
	v_cvt_f32_f16_e32 v55, v6
.LBB284_858:                            ;   in Loop: Header=BB284_808 Depth=1
	s_or_b64 exec, exec, s[8:9]
	v_cmp_gt_i16_sdwa s[6:7], v51, s17 src0_sel:BYTE_0 src1_sel:DWORD
	s_mov_b64 s[0:1], 0
                                        ; implicit-def: $sgpr18
	s_and_saveexec_b64 s[8:9], s[6:7]
	s_xor_b64 s[6:7], exec, s[8:9]
	s_cbranch_execnz .LBB284_1264
; %bb.859:                              ;   in Loop: Header=BB284_808 Depth=1
	s_or_saveexec_b64 s[6:7], s[6:7]
	v_mov_b32_e32 v6, s18
	s_xor_b64 exec, exec, s[6:7]
	s_cbranch_execnz .LBB284_1267
.LBB284_860:                            ;   in Loop: Header=BB284_808 Depth=1
	s_or_b64 exec, exec, s[6:7]
	v_mov_b32_e32 v16, v51
	s_and_saveexec_b64 s[6:7], s[0:1]
	s_cbranch_execz .LBB284_862
.LBB284_861:                            ;   in Loop: Header=BB284_808 Depth=1
	v_and_b32_e32 v6, 7, v51
	v_ffbh_u32_e32 v6, v6
	v_bfe_u32 v7, v51, 3, 4
	v_min_u32_e32 v6, 32, v6
	v_subrev_u32_e32 v12, 28, v6
	v_sub_u32_e32 v6, 29, v6
	v_cmp_eq_u32_e64 s[0:1], 0, v7
	s_nop 1
	v_cndmask_b32_e64 v14, v7, v6, s[0:1]
	v_cndmask_b32_e64 v6, 0, v12, s[0:1]
	v_lshlrev_b64 v[6:7], v6, v[16:17]
	v_lshlrev_b32_e32 v7, 8, v51
	v_lshl_add_u32 v12, v14, 10, v57
	v_lshlrev_b32_e32 v6, 7, v6
	v_and_or_b32 v7, v7, s21, v12
	v_and_or_b32 v6, v6, s22, v7
	v_cvt_f32_f16_e32 v6, v6
.LBB284_862:                            ;   in Loop: Header=BB284_808 Depth=1
	s_or_b64 exec, exec, s[6:7]
	v_lshrrev_b16_e32 v16, 8, v16
	v_cmp_lt_i16_e64 s[0:1], s17, v16
	s_mov_b64 s[6:7], 0
                                        ; implicit-def: $sgpr26
	s_and_saveexec_b64 s[8:9], s[0:1]
	s_xor_b64 s[8:9], exec, s[8:9]
	s_cbranch_execnz .LBB284_1268
; %bb.863:                              ;   in Loop: Header=BB284_808 Depth=1
	s_or_saveexec_b64 s[8:9], s[8:9]
	v_mov_b32_e32 v7, s26
	s_xor_b64 exec, exec, s[8:9]
	s_cbranch_execnz .LBB284_1271
.LBB284_864:                            ;   in Loop: Header=BB284_808 Depth=1
	s_or_b64 exec, exec, s[8:9]
	s_and_saveexec_b64 s[8:9], s[6:7]
	s_cbranch_execz .LBB284_866
.LBB284_865:                            ;   in Loop: Header=BB284_808 Depth=1
	v_and_b32_e32 v7, 7, v16
	v_ffbh_u32_e32 v14, v7
	v_min_u32_e32 v18, 32, v14
	v_subrev_u32_e32 v14, 28, v18
	v_bfe_u32 v12, v16, 3, 4
	v_lshlrev_b64 v[14:15], v14, v[16:17]
	v_sub_u32_e32 v15, 29, v18
	v_cmp_eq_u32_e64 s[0:1], 0, v12
	v_and_b32_e32 v14, 7, v14
	s_nop 0
	v_cndmask_b32_e64 v12, v12, v15, s[0:1]
	v_cndmask_b32_e64 v7, v7, v14, s[0:1]
	v_lshlrev_b32_e32 v14, 8, v16
	v_lshl_add_u32 v12, v12, 10, v57
	v_and_or_b32 v12, v14, s21, v12
	v_lshl_or_b32 v7, v7, 7, v12
	v_cvt_f32_f16_e32 v7, v7
.LBB284_866:                            ;   in Loop: Header=BB284_808 Depth=1
	s_or_b64 exec, exec, s[8:9]
	v_lshrrev_b32_e32 v16, 16, v51
	v_cmp_gt_i16_sdwa s[6:7], v16, s17 src0_sel:BYTE_0 src1_sel:DWORD
	s_mov_b64 s[0:1], 0
                                        ; implicit-def: $sgpr18
	s_and_saveexec_b64 s[8:9], s[6:7]
	s_xor_b64 s[6:7], exec, s[8:9]
	s_cbranch_execnz .LBB284_1272
; %bb.867:                              ;   in Loop: Header=BB284_808 Depth=1
	s_or_saveexec_b64 s[6:7], s[6:7]
	v_mov_b32_e32 v12, s18
	s_xor_b64 exec, exec, s[6:7]
	s_cbranch_execnz .LBB284_1275
.LBB284_868:                            ;   in Loop: Header=BB284_808 Depth=1
	s_or_b64 exec, exec, s[6:7]
	s_and_saveexec_b64 s[6:7], s[0:1]
	s_cbranch_execz .LBB284_870
.LBB284_869:                            ;   in Loop: Header=BB284_808 Depth=1
	v_bfe_u32 v12, v51, 16, 3
	v_ffbh_u32_e32 v14, v12
	v_min_u32_e32 v22, 32, v14
	v_subrev_u32_e32 v14, 28, v22
	v_bfe_u32 v18, v51, 19, 4
	v_lshlrev_b64 v[14:15], v14, v[16:17]
	v_sub_u32_e32 v15, 29, v22
	v_cmp_eq_u32_e64 s[0:1], 0, v18
	v_and_b32_e32 v14, 7, v14
	s_nop 0
	v_cndmask_b32_e64 v15, v18, v15, s[0:1]
	v_cndmask_b32_e64 v12, v12, v14, s[0:1]
	v_lshlrev_b32_e32 v14, 8, v16
	v_lshl_add_u32 v15, v15, 10, v57
	v_and_or_b32 v14, v14, s21, v15
	v_lshl_or_b32 v12, v12, 7, v14
	v_cvt_f32_f16_e32 v12, v12
.LBB284_870:                            ;   in Loop: Header=BB284_808 Depth=1
	s_or_b64 exec, exec, s[6:7]
	v_lshrrev_b32_e32 v16, 24, v51
	v_cmp_lt_i16_e64 s[0:1], s17, v16
	s_mov_b64 s[6:7], 0
                                        ; implicit-def: $sgpr26
	s_and_saveexec_b64 s[8:9], s[0:1]
	s_xor_b64 s[8:9], exec, s[8:9]
	s_cbranch_execnz .LBB284_1276
; %bb.871:                              ;   in Loop: Header=BB284_808 Depth=1
	s_or_saveexec_b64 s[8:9], s[8:9]
	v_mov_b32_e32 v18, s26
	s_xor_b64 exec, exec, s[8:9]
	s_cbranch_execnz .LBB284_1279
.LBB284_872:                            ;   in Loop: Header=BB284_808 Depth=1
	s_or_b64 exec, exec, s[8:9]
	s_and_saveexec_b64 s[8:9], s[6:7]
	s_cbranch_execz .LBB284_874
.LBB284_873:                            ;   in Loop: Header=BB284_808 Depth=1
	v_bfe_u32 v18, v51, 24, 3
	v_ffbh_u32_e32 v14, v18
	v_min_u32_e32 v23, 32, v14
	v_subrev_u32_e32 v14, 28, v23
	v_bfe_u32 v22, v51, 27, 4
	v_lshlrev_b64 v[14:15], v14, v[16:17]
	v_sub_u32_e32 v15, 29, v23
	v_cmp_eq_u32_e64 s[0:1], 0, v22
	v_and_b32_e32 v14, 7, v14
	v_lshlrev_b32_e32 v16, 8, v16
	v_cndmask_b32_e64 v15, v22, v15, s[0:1]
	v_lshl_add_u32 v15, v15, 10, v57
	v_cndmask_b32_e64 v14, v18, v14, s[0:1]
	v_and_or_b32 v15, v16, s21, v15
	v_lshl_or_b32 v14, v14, 7, v15
	v_cvt_f32_f16_e32 v18, v14
.LBB284_874:                            ;   in Loop: Header=BB284_808 Depth=1
	s_or_b64 exec, exec, s[8:9]
	v_pk_mul_f32 v[14:15], v[48:49], v[54:55] op_sel_hi:[0,1]
	v_pk_mul_f32 v[22:23], v[48:49], v[52:53] op_sel_hi:[0,1]
	v_cvt_f16_f32_e32 v15, v15
	v_cvt_f16_f32_e32 v14, v14
	;; [unrolled: 1-line block ×4, first 2 shown]
	v_fma_mixlo_f16 v7, v48, v7, 0
	v_lshlrev_b32_e32 v7, 16, v7
	v_fma_mixlo_f16 v6, v48, v6, 0
	v_or_b32_sdwa v6, v7, v6 dst_sel:DWORD dst_unused:UNUSED_PAD src0_sel:DWORD src1_sel:WORD_0
	v_fma_mixlo_f16 v7, v48, v18, 0
	v_pack_b32_f16 v15, v14, v15
	v_pack_b32_f16 v16, v22, v16
	v_fma_mixlo_f16 v12, v48, v12, 0
	v_lshlrev_b32_e32 v7, 16, v7
	v_perm_b32 v14, v16, v15, s23
	v_perm_b32 v15, v16, v15, s24
	v_or_b32_sdwa v7, v7, v12 dst_sel:DWORD dst_unused:UNUSED_PAD src0_sel:DWORD src1_sel:WORD_0
	s_and_saveexec_b64 s[6:7], vcc
	s_cbranch_execz .LBB284_876
; %bb.875:                              ;   in Loop: Header=BB284_808 Depth=1
	v_lshrrev_b32_e32 v16, 16, v15
	v_cmp_lt_i32_e64 s[0:1], v44, v13
	v_accvgpr_read_b32 v18, a8
	v_lshrrev_b32_e32 v7, 16, v7
	v_cndmask_b32_e64 v16, 0, v16, s[0:1]
	v_cmp_lt_i32_e64 s[0:1], v19, v18
	s_nop 1
	v_cndmask_b32_e64 v15, 0, v15, s[0:1]
	v_perm_b32 v15, v16, v15, s25
	v_lshrrev_b32_e32 v16, 16, v14
	v_cmp_lt_i32_e64 s[0:1], v46, v13
	s_nop 1
	v_cndmask_b32_e64 v16, 0, v16, s[0:1]
	v_cmp_lt_i32_e64 s[0:1], v62, v18
	s_nop 1
	v_cndmask_b32_e64 v14, 0, v14, s[0:1]
	v_perm_b32 v14, v16, v14, s25
	v_lshrrev_b32_e32 v16, 16, v6
	v_cmp_lt_i32_e64 s[0:1], v61, v13
	s_nop 1
	v_cndmask_b32_e64 v16, 0, v16, s[0:1]
	v_cmp_lt_i32_e64 s[0:1], v60, v18
	s_nop 1
	v_cndmask_b32_e64 v6, 0, v6, s[0:1]
	v_cmp_lt_i32_e64 s[0:1], v59, v13
	v_perm_b32 v6, v16, v6, s25
	s_nop 0
	v_cndmask_b32_e64 v7, 0, v7, s[0:1]
	v_cmp_lt_i32_e64 s[0:1], v58, v18
	s_nop 1
	v_cndmask_b32_e64 v12, 0, v12, s[0:1]
	v_perm_b32 v7, v7, v12, s25
.LBB284_876:                            ;   in Loop: Header=BB284_808 Depth=1
	s_or_b64 exec, exec, s[6:7]
	;;#ASMSTART
	v_pk_mul_f16 v12, v40, v15;

	;;#ASMEND
	;;#ASMSTART
	v_pk_mul_f16 v14, v1, v14;

	;;#ASMEND
	;; [unrolled: 4-line block ×4, first 2 shown]
	s_mov_b64 s[0:1], 0
	;;#ASMSTART
	v_pk_add_f16 v12, v12, v14;

	;;#ASMEND
                                        ; implicit-def: $sgpr18
	s_nop 0
	;;#ASMSTART
	v_pk_add_f16 v6, v12, v6;

	;;#ASMEND
	s_nop 0
	;;#ASMSTART
	v_pk_add_f16 v6, v6, v7;

	;;#ASMEND
	s_nop 0
	v_lshrrev_b32_e32 v7, 16, v6
	v_and_b32_e32 v6, 0xffff, v6
	;;#ASMSTART
	v_cvt_f32_f16 v6, v6;
	;;#ASMEND
	;;#ASMSTART
	v_cvt_f32_f16 v47, v7;
	;;#ASMEND
	flat_load_dwordx2 v[50:51], v[38:39] offset:1024
	v_accvgpr_write_b32 a28, v6
	v_accvgpr_read_b32 v7, a5
	v_accvgpr_read_b32 v6, a4
	flat_load_dword v48, v[6:7]
	s_waitcnt vmcnt(0) lgkmcnt(0)
	v_cmp_gt_i16_sdwa s[6:7], v50, s17 src0_sel:BYTE_0 src1_sel:DWORD
	s_and_saveexec_b64 s[8:9], s[6:7]
	s_xor_b64 s[6:7], exec, s[8:9]
	s_cbranch_execnz .LBB284_1280
; %bb.877:                              ;   in Loop: Header=BB284_808 Depth=1
	s_or_saveexec_b64 s[6:7], s[6:7]
	v_mov_b32_e32 v52, s18
	s_xor_b64 exec, exec, s[6:7]
	s_cbranch_execnz .LBB284_1283
.LBB284_878:                            ;   in Loop: Header=BB284_808 Depth=1
	s_or_b64 exec, exec, s[6:7]
	s_and_saveexec_b64 s[6:7], s[0:1]
	s_cbranch_execz .LBB284_880
.LBB284_879:                            ;   in Loop: Header=BB284_808 Depth=1
	v_and_b32_e32 v6, 7, v50
	v_ffbh_u32_e32 v6, v6
	v_bfe_u32 v7, v50, 3, 4
	v_min_u32_e32 v6, 32, v6
	v_subrev_u32_e32 v12, 28, v6
	v_sub_u32_e32 v6, 29, v6
	v_cmp_eq_u32_e64 s[0:1], 0, v7
	s_nop 1
	v_cndmask_b32_e64 v6, v7, v6, s[0:1]
	v_cndmask_b32_e64 v7, 0, v12, s[0:1]
	v_lshlrev_b64 v[14:15], v7, v[50:51]
	v_lshlrev_b32_e32 v12, 8, v50
	v_lshl_add_u32 v6, v6, 10, v57
	v_lshlrev_b32_e32 v7, 7, v14
	v_and_or_b32 v6, v12, s21, v6
	v_and_or_b32 v6, v7, s22, v6
	v_cvt_f32_f16_e32 v52, v6
.LBB284_880:                            ;   in Loop: Header=BB284_808 Depth=1
	s_or_b64 exec, exec, s[6:7]
	v_lshrrev_b16_e32 v16, 8, v50
	v_cmp_lt_i16_e64 s[0:1], s17, v16
	s_mov_b64 s[6:7], 0
                                        ; implicit-def: $sgpr26
	s_and_saveexec_b64 s[8:9], s[0:1]
	s_xor_b64 s[8:9], exec, s[8:9]
	s_cbranch_execnz .LBB284_1284
; %bb.881:                              ;   in Loop: Header=BB284_808 Depth=1
	s_or_saveexec_b64 s[8:9], s[8:9]
	v_mov_b32_e32 v54, s26
	s_xor_b64 exec, exec, s[8:9]
	s_cbranch_execnz .LBB284_1287
.LBB284_882:                            ;   in Loop: Header=BB284_808 Depth=1
	s_or_b64 exec, exec, s[8:9]
	s_and_saveexec_b64 s[8:9], s[6:7]
	s_cbranch_execz .LBB284_884
.LBB284_883:                            ;   in Loop: Header=BB284_808 Depth=1
	v_and_b32_e32 v6, 7, v16
	v_ffbh_u32_e32 v12, v6
	v_bfe_u32 v7, v16, 3, 4
	v_min_u32_e32 v12, 32, v12
	v_subrev_u32_e32 v14, 28, v12
	v_sub_u32_e32 v12, 29, v12
	v_cmp_eq_u32_e64 s[0:1], 0, v7
	v_lshlrev_b64 v[14:15], v14, v[16:17]
	v_and_b32_e32 v14, 7, v14
	v_cndmask_b32_e64 v7, v7, v12, s[0:1]
	v_lshlrev_b32_e32 v12, 8, v16
	v_lshl_add_u32 v7, v7, 10, v57
	v_cndmask_b32_e64 v6, v6, v14, s[0:1]
	v_and_or_b32 v7, v12, s21, v7
	v_lshl_or_b32 v6, v6, 7, v7
	v_cvt_f32_f16_e32 v54, v6
.LBB284_884:                            ;   in Loop: Header=BB284_808 Depth=1
	s_or_b64 exec, exec, s[8:9]
	v_lshrrev_b32_e32 v16, 16, v50
	v_cmp_gt_i16_sdwa s[6:7], v16, s17 src0_sel:BYTE_0 src1_sel:DWORD
	s_mov_b64 s[0:1], 0
                                        ; implicit-def: $sgpr18
	s_and_saveexec_b64 s[8:9], s[6:7]
	s_xor_b64 s[6:7], exec, s[8:9]
	s_cbranch_execnz .LBB284_1288
; %bb.885:                              ;   in Loop: Header=BB284_808 Depth=1
	s_or_saveexec_b64 s[6:7], s[6:7]
	v_mov_b32_e32 v53, s18
	s_xor_b64 exec, exec, s[6:7]
	s_cbranch_execnz .LBB284_1291
.LBB284_886:                            ;   in Loop: Header=BB284_808 Depth=1
	s_or_b64 exec, exec, s[6:7]
	s_and_saveexec_b64 s[6:7], s[0:1]
	s_cbranch_execz .LBB284_888
.LBB284_887:                            ;   in Loop: Header=BB284_808 Depth=1
	v_bfe_u32 v6, v50, 16, 3
	v_ffbh_u32_e32 v12, v6
	v_bfe_u32 v7, v50, 19, 4
	v_min_u32_e32 v12, 32, v12
	v_subrev_u32_e32 v14, 28, v12
	v_sub_u32_e32 v12, 29, v12
	v_cmp_eq_u32_e64 s[0:1], 0, v7
	v_lshlrev_b64 v[14:15], v14, v[16:17]
	v_and_b32_e32 v14, 7, v14
	v_cndmask_b32_e64 v7, v7, v12, s[0:1]
	v_lshlrev_b32_e32 v12, 8, v16
	v_lshl_add_u32 v7, v7, 10, v57
	v_cndmask_b32_e64 v6, v6, v14, s[0:1]
	v_and_or_b32 v7, v12, s21, v7
	v_lshl_or_b32 v6, v6, 7, v7
	v_cvt_f32_f16_e32 v53, v6
.LBB284_888:                            ;   in Loop: Header=BB284_808 Depth=1
	s_or_b64 exec, exec, s[6:7]
	v_lshrrev_b32_e32 v16, 24, v50
	v_cmp_lt_i16_e64 s[0:1], s17, v16
	s_mov_b64 s[6:7], 0
                                        ; implicit-def: $sgpr26
	s_and_saveexec_b64 s[8:9], s[0:1]
	s_xor_b64 s[8:9], exec, s[8:9]
	s_cbranch_execnz .LBB284_1292
; %bb.889:                              ;   in Loop: Header=BB284_808 Depth=1
	s_or_saveexec_b64 s[8:9], s[8:9]
	v_mov_b32_e32 v55, s26
	s_xor_b64 exec, exec, s[8:9]
	s_cbranch_execnz .LBB284_1295
.LBB284_890:                            ;   in Loop: Header=BB284_808 Depth=1
	s_or_b64 exec, exec, s[8:9]
	s_and_saveexec_b64 s[8:9], s[6:7]
	s_cbranch_execz .LBB284_892
.LBB284_891:                            ;   in Loop: Header=BB284_808 Depth=1
	v_bfe_u32 v6, v50, 24, 3
	v_ffbh_u32_e32 v12, v6
	v_bfe_u32 v7, v50, 27, 4
	v_min_u32_e32 v12, 32, v12
	v_subrev_u32_e32 v14, 28, v12
	v_sub_u32_e32 v12, 29, v12
	v_cmp_eq_u32_e64 s[0:1], 0, v7
	v_lshlrev_b64 v[14:15], v14, v[16:17]
	v_and_b32_e32 v14, 7, v14
	v_cndmask_b32_e64 v7, v7, v12, s[0:1]
	v_lshlrev_b32_e32 v12, 8, v16
	v_lshl_add_u32 v7, v7, 10, v57
	v_cndmask_b32_e64 v6, v6, v14, s[0:1]
	v_and_or_b32 v7, v12, s21, v7
	v_lshl_or_b32 v6, v6, 7, v7
	v_cvt_f32_f16_e32 v55, v6
.LBB284_892:                            ;   in Loop: Header=BB284_808 Depth=1
	s_or_b64 exec, exec, s[8:9]
	v_cmp_gt_i16_sdwa s[6:7], v51, s17 src0_sel:BYTE_0 src1_sel:DWORD
	s_mov_b64 s[0:1], 0
                                        ; implicit-def: $sgpr18
	s_and_saveexec_b64 s[8:9], s[6:7]
	s_xor_b64 s[6:7], exec, s[8:9]
	s_cbranch_execnz .LBB284_1296
; %bb.893:                              ;   in Loop: Header=BB284_808 Depth=1
	s_or_saveexec_b64 s[6:7], s[6:7]
	v_mov_b32_e32 v7, s18
	s_xor_b64 exec, exec, s[6:7]
	s_cbranch_execnz .LBB284_1299
.LBB284_894:                            ;   in Loop: Header=BB284_808 Depth=1
	s_or_b64 exec, exec, s[6:7]
	v_mov_b32_e32 v16, v51
	s_and_saveexec_b64 s[6:7], s[0:1]
	s_cbranch_execz .LBB284_896
.LBB284_895:                            ;   in Loop: Header=BB284_808 Depth=1
	v_and_b32_e32 v6, 7, v51
	v_ffbh_u32_e32 v6, v6
	v_bfe_u32 v7, v51, 3, 4
	v_min_u32_e32 v6, 32, v6
	v_subrev_u32_e32 v12, 28, v6
	v_sub_u32_e32 v6, 29, v6
	v_cmp_eq_u32_e64 s[0:1], 0, v7
	s_nop 1
	v_cndmask_b32_e64 v6, v7, v6, s[0:1]
	v_cndmask_b32_e64 v7, 0, v12, s[0:1]
	v_lshlrev_b64 v[14:15], v7, v[16:17]
	v_lshlrev_b32_e32 v12, 8, v51
	v_lshl_add_u32 v6, v6, 10, v57
	v_lshlrev_b32_e32 v7, 7, v14
	v_and_or_b32 v6, v12, s21, v6
	v_and_or_b32 v6, v7, s22, v6
	v_cvt_f32_f16_e32 v7, v6
.LBB284_896:                            ;   in Loop: Header=BB284_808 Depth=1
	s_or_b64 exec, exec, s[6:7]
	v_lshrrev_b16_e32 v16, 8, v16
	v_cmp_lt_i16_e64 s[0:1], s17, v16
	s_mov_b64 s[6:7], 0
                                        ; implicit-def: $sgpr26
	s_and_saveexec_b64 s[8:9], s[0:1]
	s_xor_b64 s[8:9], exec, s[8:9]
	s_cbranch_execnz .LBB284_1300
; %bb.897:                              ;   in Loop: Header=BB284_808 Depth=1
	s_or_saveexec_b64 s[8:9], s[8:9]
	v_mov_b32_e32 v12, s26
	s_xor_b64 exec, exec, s[8:9]
	s_cbranch_execnz .LBB284_1303
.LBB284_898:                            ;   in Loop: Header=BB284_808 Depth=1
	s_or_b64 exec, exec, s[8:9]
	s_and_saveexec_b64 s[8:9], s[6:7]
	s_cbranch_execz .LBB284_900
.LBB284_899:                            ;   in Loop: Header=BB284_808 Depth=1
	v_and_b32_e32 v6, 7, v16
	v_ffbh_u32_e32 v14, v6
	v_min_u32_e32 v18, 32, v14
	v_subrev_u32_e32 v14, 28, v18
	v_bfe_u32 v12, v16, 3, 4
	v_lshlrev_b64 v[14:15], v14, v[16:17]
	v_sub_u32_e32 v15, 29, v18
	v_cmp_eq_u32_e64 s[0:1], 0, v12
	v_and_b32_e32 v14, 7, v14
	s_nop 0
	v_cndmask_b32_e64 v12, v12, v15, s[0:1]
	v_cndmask_b32_e64 v6, v6, v14, s[0:1]
	v_lshlrev_b32_e32 v14, 8, v16
	v_lshl_add_u32 v12, v12, 10, v57
	v_and_or_b32 v12, v14, s21, v12
	v_lshl_or_b32 v6, v6, 7, v12
	v_cvt_f32_f16_e32 v12, v6
.LBB284_900:                            ;   in Loop: Header=BB284_808 Depth=1
	s_or_b64 exec, exec, s[8:9]
	v_lshrrev_b32_e32 v16, 16, v51
	v_cmp_gt_i16_sdwa s[6:7], v16, s17 src0_sel:BYTE_0 src1_sel:DWORD
	s_mov_b64 s[0:1], 0
                                        ; implicit-def: $sgpr18
	s_and_saveexec_b64 s[8:9], s[6:7]
	s_xor_b64 s[6:7], exec, s[8:9]
	s_cbranch_execnz .LBB284_1304
; %bb.901:                              ;   in Loop: Header=BB284_808 Depth=1
	s_or_saveexec_b64 s[6:7], s[6:7]
	v_mov_b32_e32 v14, s18
	s_xor_b64 exec, exec, s[6:7]
	s_cbranch_execnz .LBB284_1307
.LBB284_902:                            ;   in Loop: Header=BB284_808 Depth=1
	s_or_b64 exec, exec, s[6:7]
	s_and_saveexec_b64 s[6:7], s[0:1]
	s_cbranch_execz .LBB284_904
.LBB284_903:                            ;   in Loop: Header=BB284_808 Depth=1
	v_bfe_u32 v6, v51, 16, 3
	v_ffbh_u32_e32 v14, v6
	v_min_u32_e32 v22, 32, v14
	v_subrev_u32_e32 v14, 28, v22
	v_bfe_u32 v18, v51, 19, 4
	v_lshlrev_b64 v[14:15], v14, v[16:17]
	v_sub_u32_e32 v15, 29, v22
	v_cmp_eq_u32_e64 s[0:1], 0, v18
	v_and_b32_e32 v14, 7, v14
	s_nop 0
	v_cndmask_b32_e64 v15, v18, v15, s[0:1]
	v_cndmask_b32_e64 v6, v6, v14, s[0:1]
	v_lshlrev_b32_e32 v14, 8, v16
	v_lshl_add_u32 v15, v15, 10, v57
	v_and_or_b32 v14, v14, s21, v15
	v_lshl_or_b32 v6, v6, 7, v14
	v_cvt_f32_f16_e32 v14, v6
.LBB284_904:                            ;   in Loop: Header=BB284_808 Depth=1
	s_or_b64 exec, exec, s[6:7]
	v_lshrrev_b32_e32 v16, 24, v51
	v_cmp_lt_i16_e64 s[0:1], s17, v16
	s_mov_b64 s[6:7], 0
                                        ; implicit-def: $sgpr26
	s_and_saveexec_b64 s[8:9], s[0:1]
	s_xor_b64 s[8:9], exec, s[8:9]
	s_cbranch_execnz .LBB284_1308
; %bb.905:                              ;   in Loop: Header=BB284_808 Depth=1
	s_or_saveexec_b64 s[8:9], s[8:9]
	v_mov_b32_e32 v18, s26
	s_xor_b64 exec, exec, s[8:9]
	s_cbranch_execnz .LBB284_1311
.LBB284_906:                            ;   in Loop: Header=BB284_808 Depth=1
	s_or_b64 exec, exec, s[8:9]
	s_and_saveexec_b64 s[8:9], s[6:7]
	s_cbranch_execz .LBB284_908
.LBB284_907:                            ;   in Loop: Header=BB284_808 Depth=1
	v_bfe_u32 v6, v51, 24, 3
	v_ffbh_u32_e32 v18, v6
	v_bfe_u32 v15, v51, 27, 4
	v_min_u32_e32 v18, 32, v18
	v_subrev_u32_e32 v22, 28, v18
	v_sub_u32_e32 v18, 29, v18
	v_cmp_eq_u32_e64 s[0:1], 0, v15
	v_lshlrev_b64 v[22:23], v22, v[16:17]
	v_and_b32_e32 v22, 7, v22
	v_cndmask_b32_e64 v15, v15, v18, s[0:1]
	v_lshlrev_b32_e32 v16, 8, v16
	v_lshl_add_u32 v15, v15, 10, v57
	v_cndmask_b32_e64 v6, v6, v22, s[0:1]
	v_and_or_b32 v15, v16, s21, v15
	v_lshl_or_b32 v6, v6, 7, v15
	v_cvt_f32_f16_e32 v18, v6
.LBB284_908:                            ;   in Loop: Header=BB284_808 Depth=1
	s_or_b64 exec, exec, s[8:9]
	v_pk_mul_f32 v[22:23], v[48:49], v[54:55] op_sel_hi:[0,1]
	v_pk_mul_f32 v[30:31], v[48:49], v[52:53] op_sel_hi:[0,1]
	v_cvt_f16_f32_e32 v6, v23
	v_cvt_f16_f32_e32 v15, v22
	;; [unrolled: 1-line block ×4, first 2 shown]
	v_fma_mixlo_f16 v7, v48, v7, 0
	v_pack_b32_f16 v6, v15, v6
	v_fma_mixlo_f16 v14, v48, v14, 0
	v_pack_b32_f16 v16, v22, v16
	v_perm_b32 v15, v16, v6, s23
	v_perm_b32 v16, v16, v6, s24
	v_fma_mixlo_f16 v6, v48, v12, 0
	v_lshlrev_b32_e32 v6, 16, v6
	v_or_b32_sdwa v7, v6, v7 dst_sel:DWORD dst_unused:UNUSED_PAD src0_sel:DWORD src1_sel:WORD_0
	v_fma_mixlo_f16 v6, v48, v18, 0
	v_lshlrev_b32_e32 v6, 16, v6
	v_or_b32_sdwa v12, v6, v14 dst_sel:DWORD dst_unused:UNUSED_PAD src0_sel:DWORD src1_sel:WORD_0
	s_and_saveexec_b64 s[6:7], vcc
	s_cbranch_execz .LBB284_910
; %bb.909:                              ;   in Loop: Header=BB284_808 Depth=1
	v_lshrrev_b32_e32 v6, 16, v16
	v_cmp_lt_i32_e64 s[0:1], v44, v13
	v_accvgpr_read_b32 v18, a8
	s_nop 0
	v_cndmask_b32_e64 v6, 0, v6, s[0:1]
	v_cmp_lt_i32_e64 s[0:1], v19, v18
	s_nop 1
	v_cndmask_b32_e64 v16, 0, v16, s[0:1]
	v_perm_b32 v16, v6, v16, s25
	v_lshrrev_b32_e32 v6, 16, v15
	v_cmp_lt_i32_e64 s[0:1], v46, v13
	s_nop 1
	v_cndmask_b32_e64 v6, 0, v6, s[0:1]
	v_cmp_lt_i32_e64 s[0:1], v62, v18
	s_nop 1
	v_cndmask_b32_e64 v15, 0, v15, s[0:1]
	v_perm_b32 v15, v6, v15, s25
	v_lshrrev_b32_e32 v6, 16, v7
	v_cmp_lt_i32_e64 s[0:1], v61, v13
	;; [unrolled: 8-line block ×3, first 2 shown]
	s_nop 1
	v_cndmask_b32_e64 v6, 0, v6, s[0:1]
	v_cmp_lt_i32_e64 s[0:1], v58, v18
	s_nop 1
	v_cndmask_b32_e64 v12, 0, v14, s[0:1]
	v_perm_b32 v12, v6, v12, s25
.LBB284_910:                            ;   in Loop: Header=BB284_808 Depth=1
	s_or_b64 exec, exec, s[6:7]
	;;#ASMSTART
	v_pk_mul_f16 v6, v40, v16;

	;;#ASMEND
	;;#ASMSTART
	v_pk_mul_f16 v14, v1, v15;

	;;#ASMEND
	;;#ASMSTART
	v_pk_mul_f16 v7, v0, v7;

	;;#ASMEND
	;;#ASMSTART
	v_pk_mul_f16 v12, v43, v12;

	;;#ASMEND
	s_mov_b64 s[0:1], 0
	;;#ASMSTART
	v_pk_add_f16 v6, v6, v14;

	;;#ASMEND
                                        ; implicit-def: $sgpr18
	s_nop 0
	;;#ASMSTART
	v_pk_add_f16 v6, v6, v7;

	;;#ASMEND
	s_nop 0
	;;#ASMSTART
	v_pk_add_f16 v6, v6, v12;

	;;#ASMEND
	s_nop 0
	v_lshrrev_b32_e32 v7, 16, v6
	v_and_b32_e32 v6, 0xffff, v6
	;;#ASMSTART
	v_cvt_f32_f16 v41, v6;
	;;#ASMEND
	;;#ASMSTART
	v_cvt_f32_f16 v30, v7;
	;;#ASMEND
	v_accvgpr_read_b32 v7, a5
	flat_load_dwordx2 v[50:51], v[38:39] offset:1536
	v_accvgpr_read_b32 v6, a4
	flat_load_dword v48, v[6:7]
	s_waitcnt vmcnt(0) lgkmcnt(0)
	v_cmp_gt_i16_sdwa s[6:7], v50, s17 src0_sel:BYTE_0 src1_sel:DWORD
	s_and_saveexec_b64 s[8:9], s[6:7]
	s_xor_b64 s[6:7], exec, s[8:9]
	s_cbranch_execnz .LBB284_1312
; %bb.911:                              ;   in Loop: Header=BB284_808 Depth=1
	s_or_saveexec_b64 s[6:7], s[6:7]
	v_mov_b32_e32 v52, s18
	s_xor_b64 exec, exec, s[6:7]
	s_cbranch_execnz .LBB284_1315
.LBB284_912:                            ;   in Loop: Header=BB284_808 Depth=1
	s_or_b64 exec, exec, s[6:7]
	s_and_saveexec_b64 s[6:7], s[0:1]
	s_cbranch_execz .LBB284_914
.LBB284_913:                            ;   in Loop: Header=BB284_808 Depth=1
	v_and_b32_e32 v6, 7, v50
	v_ffbh_u32_e32 v6, v6
	v_bfe_u32 v7, v50, 3, 4
	v_min_u32_e32 v6, 32, v6
	v_subrev_u32_e32 v12, 28, v6
	v_sub_u32_e32 v6, 29, v6
	v_cmp_eq_u32_e64 s[0:1], 0, v7
	s_nop 1
	v_cndmask_b32_e64 v6, v7, v6, s[0:1]
	v_cndmask_b32_e64 v7, 0, v12, s[0:1]
	v_lshlrev_b64 v[14:15], v7, v[50:51]
	v_lshlrev_b32_e32 v12, 8, v50
	v_lshl_add_u32 v6, v6, 10, v57
	v_lshlrev_b32_e32 v7, 7, v14
	v_and_or_b32 v6, v12, s21, v6
	v_and_or_b32 v6, v7, s22, v6
	v_cvt_f32_f16_e32 v52, v6
.LBB284_914:                            ;   in Loop: Header=BB284_808 Depth=1
	s_or_b64 exec, exec, s[6:7]
	v_lshrrev_b16_e32 v16, 8, v50
	v_cmp_lt_i16_e64 s[0:1], s17, v16
	s_mov_b64 s[6:7], 0
                                        ; implicit-def: $sgpr26
	s_and_saveexec_b64 s[8:9], s[0:1]
	s_xor_b64 s[8:9], exec, s[8:9]
	s_cbranch_execnz .LBB284_1316
; %bb.915:                              ;   in Loop: Header=BB284_808 Depth=1
	s_or_saveexec_b64 s[8:9], s[8:9]
	v_mov_b32_e32 v54, s26
	s_xor_b64 exec, exec, s[8:9]
	s_cbranch_execnz .LBB284_1319
.LBB284_916:                            ;   in Loop: Header=BB284_808 Depth=1
	s_or_b64 exec, exec, s[8:9]
	s_and_saveexec_b64 s[8:9], s[6:7]
	s_cbranch_execz .LBB284_918
.LBB284_917:                            ;   in Loop: Header=BB284_808 Depth=1
	v_and_b32_e32 v6, 7, v16
	v_ffbh_u32_e32 v12, v6
	v_bfe_u32 v7, v16, 3, 4
	v_min_u32_e32 v12, 32, v12
	v_subrev_u32_e32 v14, 28, v12
	v_sub_u32_e32 v12, 29, v12
	v_cmp_eq_u32_e64 s[0:1], 0, v7
	v_lshlrev_b64 v[14:15], v14, v[16:17]
	v_and_b32_e32 v14, 7, v14
	v_cndmask_b32_e64 v7, v7, v12, s[0:1]
	v_lshlrev_b32_e32 v12, 8, v16
	v_lshl_add_u32 v7, v7, 10, v57
	v_cndmask_b32_e64 v6, v6, v14, s[0:1]
	v_and_or_b32 v7, v12, s21, v7
	v_lshl_or_b32 v6, v6, 7, v7
	v_cvt_f32_f16_e32 v54, v6
.LBB284_918:                            ;   in Loop: Header=BB284_808 Depth=1
	s_or_b64 exec, exec, s[8:9]
	v_lshrrev_b32_e32 v16, 16, v50
	v_cmp_gt_i16_sdwa s[6:7], v16, s17 src0_sel:BYTE_0 src1_sel:DWORD
	s_mov_b64 s[0:1], 0
                                        ; implicit-def: $sgpr18
	s_and_saveexec_b64 s[8:9], s[6:7]
	s_xor_b64 s[6:7], exec, s[8:9]
	s_cbranch_execnz .LBB284_1320
; %bb.919:                              ;   in Loop: Header=BB284_808 Depth=1
	s_or_saveexec_b64 s[6:7], s[6:7]
	v_mov_b32_e32 v53, s18
	s_xor_b64 exec, exec, s[6:7]
	s_cbranch_execnz .LBB284_1323
.LBB284_920:                            ;   in Loop: Header=BB284_808 Depth=1
	s_or_b64 exec, exec, s[6:7]
	s_and_saveexec_b64 s[6:7], s[0:1]
	s_cbranch_execz .LBB284_922
.LBB284_921:                            ;   in Loop: Header=BB284_808 Depth=1
	v_bfe_u32 v6, v50, 16, 3
	v_ffbh_u32_e32 v12, v6
	v_bfe_u32 v7, v50, 19, 4
	v_min_u32_e32 v12, 32, v12
	v_subrev_u32_e32 v14, 28, v12
	v_sub_u32_e32 v12, 29, v12
	v_cmp_eq_u32_e64 s[0:1], 0, v7
	v_lshlrev_b64 v[14:15], v14, v[16:17]
	v_and_b32_e32 v14, 7, v14
	v_cndmask_b32_e64 v7, v7, v12, s[0:1]
	v_lshlrev_b32_e32 v12, 8, v16
	v_lshl_add_u32 v7, v7, 10, v57
	v_cndmask_b32_e64 v6, v6, v14, s[0:1]
	v_and_or_b32 v7, v12, s21, v7
	v_lshl_or_b32 v6, v6, 7, v7
	v_cvt_f32_f16_e32 v53, v6
.LBB284_922:                            ;   in Loop: Header=BB284_808 Depth=1
	s_or_b64 exec, exec, s[6:7]
	v_lshrrev_b32_e32 v16, 24, v50
	v_cmp_lt_i16_e64 s[0:1], s17, v16
	s_mov_b64 s[6:7], 0
                                        ; implicit-def: $sgpr26
	s_and_saveexec_b64 s[8:9], s[0:1]
	s_xor_b64 s[8:9], exec, s[8:9]
	s_cbranch_execnz .LBB284_1324
; %bb.923:                              ;   in Loop: Header=BB284_808 Depth=1
	s_or_saveexec_b64 s[8:9], s[8:9]
	v_mov_b32_e32 v55, s26
	s_xor_b64 exec, exec, s[8:9]
	s_cbranch_execnz .LBB284_1327
.LBB284_924:                            ;   in Loop: Header=BB284_808 Depth=1
	s_or_b64 exec, exec, s[8:9]
	s_and_saveexec_b64 s[8:9], s[6:7]
	s_cbranch_execz .LBB284_926
.LBB284_925:                            ;   in Loop: Header=BB284_808 Depth=1
	v_bfe_u32 v6, v50, 24, 3
	v_ffbh_u32_e32 v12, v6
	v_bfe_u32 v7, v50, 27, 4
	v_min_u32_e32 v12, 32, v12
	v_subrev_u32_e32 v14, 28, v12
	v_sub_u32_e32 v12, 29, v12
	v_cmp_eq_u32_e64 s[0:1], 0, v7
	v_lshlrev_b64 v[14:15], v14, v[16:17]
	v_and_b32_e32 v14, 7, v14
	v_cndmask_b32_e64 v7, v7, v12, s[0:1]
	v_lshlrev_b32_e32 v12, 8, v16
	v_lshl_add_u32 v7, v7, 10, v57
	v_cndmask_b32_e64 v6, v6, v14, s[0:1]
	v_and_or_b32 v7, v12, s21, v7
	v_lshl_or_b32 v6, v6, 7, v7
	v_cvt_f32_f16_e32 v55, v6
.LBB284_926:                            ;   in Loop: Header=BB284_808 Depth=1
	s_or_b64 exec, exec, s[8:9]
	v_cmp_gt_i16_sdwa s[6:7], v51, s17 src0_sel:BYTE_0 src1_sel:DWORD
	s_mov_b64 s[0:1], 0
                                        ; implicit-def: $sgpr18
	s_and_saveexec_b64 s[8:9], s[6:7]
	s_xor_b64 s[6:7], exec, s[8:9]
	s_cbranch_execnz .LBB284_1328
; %bb.927:                              ;   in Loop: Header=BB284_808 Depth=1
	s_or_saveexec_b64 s[6:7], s[6:7]
	v_mov_b32_e32 v12, s18
	s_xor_b64 exec, exec, s[6:7]
	s_cbranch_execnz .LBB284_1331
.LBB284_928:                            ;   in Loop: Header=BB284_808 Depth=1
	s_or_b64 exec, exec, s[6:7]
	v_mov_b32_e32 v16, v51
	s_and_saveexec_b64 s[6:7], s[0:1]
	s_cbranch_execz .LBB284_930
.LBB284_929:                            ;   in Loop: Header=BB284_808 Depth=1
	v_and_b32_e32 v6, 7, v51
	v_ffbh_u32_e32 v6, v6
	v_bfe_u32 v7, v51, 3, 4
	v_min_u32_e32 v6, 32, v6
	v_subrev_u32_e32 v12, 28, v6
	v_sub_u32_e32 v6, 29, v6
	v_cmp_eq_u32_e64 s[0:1], 0, v7
	s_nop 1
	v_cndmask_b32_e64 v6, v7, v6, s[0:1]
	v_cndmask_b32_e64 v7, 0, v12, s[0:1]
	v_lshlrev_b64 v[14:15], v7, v[16:17]
	v_lshlrev_b32_e32 v12, 8, v51
	v_lshl_add_u32 v6, v6, 10, v57
	v_lshlrev_b32_e32 v7, 7, v14
	v_and_or_b32 v6, v12, s21, v6
	v_and_or_b32 v6, v7, s22, v6
	v_cvt_f32_f16_e32 v12, v6
.LBB284_930:                            ;   in Loop: Header=BB284_808 Depth=1
	s_or_b64 exec, exec, s[6:7]
	v_lshrrev_b16_e32 v16, 8, v16
	v_cmp_lt_i16_e64 s[0:1], s17, v16
	s_mov_b64 s[6:7], 0
                                        ; implicit-def: $sgpr26
	s_and_saveexec_b64 s[8:9], s[0:1]
	s_xor_b64 s[8:9], exec, s[8:9]
	s_cbranch_execnz .LBB284_1332
; %bb.931:                              ;   in Loop: Header=BB284_808 Depth=1
	s_or_saveexec_b64 s[8:9], s[8:9]
	v_mov_b32_e32 v14, s26
	s_xor_b64 exec, exec, s[8:9]
	s_cbranch_execnz .LBB284_1335
.LBB284_932:                            ;   in Loop: Header=BB284_808 Depth=1
	s_or_b64 exec, exec, s[8:9]
	s_and_saveexec_b64 s[8:9], s[6:7]
	s_cbranch_execz .LBB284_934
.LBB284_933:                            ;   in Loop: Header=BB284_808 Depth=1
	v_and_b32_e32 v6, 7, v16
	v_ffbh_u32_e32 v14, v6
	v_min_u32_e32 v18, 32, v14
	v_subrev_u32_e32 v14, 28, v18
	v_bfe_u32 v7, v16, 3, 4
	v_lshlrev_b64 v[14:15], v14, v[16:17]
	v_sub_u32_e32 v15, 29, v18
	v_cmp_eq_u32_e64 s[0:1], 0, v7
	v_and_b32_e32 v14, 7, v14
	s_nop 0
	v_cndmask_b32_e64 v7, v7, v15, s[0:1]
	v_cndmask_b32_e64 v6, v6, v14, s[0:1]
	v_lshlrev_b32_e32 v14, 8, v16
	v_lshl_add_u32 v7, v7, 10, v57
	v_and_or_b32 v7, v14, s21, v7
	v_lshl_or_b32 v6, v6, 7, v7
	v_cvt_f32_f16_e32 v14, v6
.LBB284_934:                            ;   in Loop: Header=BB284_808 Depth=1
	s_or_b64 exec, exec, s[8:9]
	v_lshrrev_b32_e32 v16, 16, v51
	v_cmp_gt_i16_sdwa s[6:7], v16, s17 src0_sel:BYTE_0 src1_sel:DWORD
	s_mov_b64 s[0:1], 0
                                        ; implicit-def: $sgpr18
	s_and_saveexec_b64 s[8:9], s[6:7]
	s_xor_b64 s[6:7], exec, s[8:9]
	s_cbranch_execnz .LBB284_1336
; %bb.935:                              ;   in Loop: Header=BB284_808 Depth=1
	s_or_saveexec_b64 s[6:7], s[6:7]
	v_mov_b32_e32 v15, s18
	s_xor_b64 exec, exec, s[6:7]
	s_cbranch_execnz .LBB284_1339
.LBB284_936:                            ;   in Loop: Header=BB284_808 Depth=1
	s_or_b64 exec, exec, s[6:7]
	s_and_saveexec_b64 s[6:7], s[0:1]
	s_cbranch_execz .LBB284_938
.LBB284_937:                            ;   in Loop: Header=BB284_808 Depth=1
	v_bfe_u32 v6, v51, 16, 3
	v_ffbh_u32_e32 v15, v6
	v_bfe_u32 v7, v51, 19, 4
	v_min_u32_e32 v15, 32, v15
	v_subrev_u32_e32 v18, 28, v15
	v_sub_u32_e32 v15, 29, v15
	v_cmp_eq_u32_e64 s[0:1], 0, v7
	v_lshlrev_b64 v[22:23], v18, v[16:17]
	v_and_b32_e32 v18, 7, v22
	v_cndmask_b32_e64 v7, v7, v15, s[0:1]
	v_lshlrev_b32_e32 v15, 8, v16
	v_lshl_add_u32 v7, v7, 10, v57
	v_cndmask_b32_e64 v6, v6, v18, s[0:1]
	v_and_or_b32 v7, v15, s21, v7
	v_lshl_or_b32 v6, v6, 7, v7
	v_cvt_f32_f16_e32 v15, v6
.LBB284_938:                            ;   in Loop: Header=BB284_808 Depth=1
	s_or_b64 exec, exec, s[6:7]
	v_lshrrev_b32_e32 v16, 24, v51
	v_cmp_lt_i16_e64 s[0:1], s17, v16
	s_mov_b64 s[6:7], 0
                                        ; implicit-def: $sgpr26
	s_and_saveexec_b64 s[8:9], s[0:1]
	s_xor_b64 s[8:9], exec, s[8:9]
	s_cbranch_execnz .LBB284_1340
; %bb.939:                              ;   in Loop: Header=BB284_808 Depth=1
	s_or_saveexec_b64 s[8:9], s[8:9]
	v_mov_b32_e32 v22, s26
	s_xor_b64 exec, exec, s[8:9]
	s_cbranch_execnz .LBB284_1343
.LBB284_940:                            ;   in Loop: Header=BB284_808 Depth=1
	s_or_b64 exec, exec, s[8:9]
	s_and_saveexec_b64 s[8:9], s[6:7]
	s_cbranch_execz .LBB284_942
.LBB284_941:                            ;   in Loop: Header=BB284_808 Depth=1
	v_bfe_u32 v6, v51, 24, 3
	v_ffbh_u32_e32 v18, v6
	v_bfe_u32 v7, v51, 27, 4
	v_min_u32_e32 v18, 32, v18
	v_subrev_u32_e32 v22, 28, v18
	v_sub_u32_e32 v18, 29, v18
	v_cmp_eq_u32_e64 s[0:1], 0, v7
	v_lshlrev_b64 v[22:23], v22, v[16:17]
	v_and_b32_e32 v22, 7, v22
	v_cndmask_b32_e64 v7, v7, v18, s[0:1]
	v_lshlrev_b32_e32 v16, 8, v16
	v_lshl_add_u32 v7, v7, 10, v57
	v_cndmask_b32_e64 v6, v6, v22, s[0:1]
	v_and_or_b32 v7, v16, s21, v7
	v_lshl_or_b32 v6, v6, 7, v7
	v_cvt_f32_f16_e32 v22, v6
.LBB284_942:                            ;   in Loop: Header=BB284_808 Depth=1
	s_or_b64 exec, exec, s[8:9]
	v_pk_mul_f32 v[32:33], v[48:49], v[54:55] op_sel_hi:[0,1]
	v_pk_mul_f32 v[34:35], v[48:49], v[52:53] op_sel_hi:[0,1]
	v_cvt_f16_f32_e32 v6, v33
	v_cvt_f16_f32_e32 v7, v32
	;; [unrolled: 1-line block ×4, first 2 shown]
	v_fma_mixlo_f16 v15, v48, v15, 0
	v_pack_b32_f16 v6, v7, v6
	v_pack_b32_f16 v7, v18, v16
	v_perm_b32 v16, v7, v6, s23
	v_perm_b32 v18, v7, v6, s24
	v_fma_mixlo_f16 v6, v48, v14, 0
	v_lshlrev_b32_e32 v6, 16, v6
	v_fma_mixlo_f16 v7, v48, v12, 0
	v_or_b32_sdwa v12, v6, v7 dst_sel:DWORD dst_unused:UNUSED_PAD src0_sel:DWORD src1_sel:WORD_0
	v_fma_mixlo_f16 v6, v48, v22, 0
	v_lshlrev_b32_e32 v6, 16, v6
	v_or_b32_sdwa v14, v6, v15 dst_sel:DWORD dst_unused:UNUSED_PAD src0_sel:DWORD src1_sel:WORD_0
	s_and_saveexec_b64 s[6:7], vcc
	s_cbranch_execz .LBB284_944
; %bb.943:                              ;   in Loop: Header=BB284_808 Depth=1
	v_lshrrev_b32_e32 v6, 16, v18
	v_cmp_lt_i32_e64 s[0:1], v44, v13
	v_accvgpr_read_b32 v22, a8
	s_nop 0
	v_cndmask_b32_e64 v6, 0, v6, s[0:1]
	v_cmp_lt_i32_e64 s[0:1], v19, v22
	s_nop 1
	v_cndmask_b32_e64 v7, 0, v18, s[0:1]
	v_perm_b32 v18, v6, v7, s25
	v_lshrrev_b32_e32 v6, 16, v16
	v_cmp_lt_i32_e64 s[0:1], v46, v13
	s_nop 1
	v_cndmask_b32_e64 v6, 0, v6, s[0:1]
	v_cmp_lt_i32_e64 s[0:1], v62, v22
	s_nop 1
	v_cndmask_b32_e64 v7, 0, v16, s[0:1]
	v_perm_b32 v16, v6, v7, s25
	v_lshrrev_b32_e32 v6, 16, v12
	v_cmp_lt_i32_e64 s[0:1], v61, v13
	;; [unrolled: 8-line block ×3, first 2 shown]
	s_nop 1
	v_cndmask_b32_e64 v6, 0, v6, s[0:1]
	v_cmp_lt_i32_e64 s[0:1], v58, v22
	s_nop 1
	v_cndmask_b32_e64 v7, 0, v15, s[0:1]
	v_perm_b32 v14, v6, v7, s25
.LBB284_944:                            ;   in Loop: Header=BB284_808 Depth=1
	s_or_b64 exec, exec, s[6:7]
	;;#ASMSTART
	v_pk_mul_f16 v6, v40, v18;

	;;#ASMEND
	;;#ASMSTART
	v_pk_mul_f16 v7, v1, v16;

	;;#ASMEND
	;; [unrolled: 4-line block ×4, first 2 shown]
	s_mov_b64 s[0:1], 0
	;;#ASMSTART
	v_pk_add_f16 v6, v6, v7;

	;;#ASMEND
                                        ; implicit-def: $sgpr18
	s_nop 0
	;;#ASMSTART
	v_pk_add_f16 v6, v6, v12;

	;;#ASMEND
	s_nop 0
	;;#ASMSTART
	v_pk_add_f16 v6, v6, v14;

	;;#ASMEND
	s_nop 0
	v_lshrrev_b32_e32 v7, 16, v6
	v_and_b32_e32 v6, 0xffff, v6
	;;#ASMSTART
	v_cvt_f32_f16 v31, v6;
	;;#ASMEND
	;;#ASMSTART
	v_cvt_f32_f16 v32, v7;
	;;#ASMEND
	v_accvgpr_read_b32 v7, a5
	flat_load_dwordx2 v[50:51], v[38:39] offset:2048
	v_accvgpr_read_b32 v6, a4
	flat_load_dword v48, v[6:7]
	s_waitcnt vmcnt(0) lgkmcnt(0)
	v_cmp_gt_i16_sdwa s[6:7], v50, s17 src0_sel:BYTE_0 src1_sel:DWORD
	s_and_saveexec_b64 s[8:9], s[6:7]
	s_xor_b64 s[6:7], exec, s[8:9]
	s_cbranch_execnz .LBB284_1344
; %bb.945:                              ;   in Loop: Header=BB284_808 Depth=1
	s_or_saveexec_b64 s[6:7], s[6:7]
	v_mov_b32_e32 v52, s18
	s_xor_b64 exec, exec, s[6:7]
	s_cbranch_execnz .LBB284_1347
.LBB284_946:                            ;   in Loop: Header=BB284_808 Depth=1
	s_or_b64 exec, exec, s[6:7]
	s_and_saveexec_b64 s[6:7], s[0:1]
	s_cbranch_execz .LBB284_948
.LBB284_947:                            ;   in Loop: Header=BB284_808 Depth=1
	v_and_b32_e32 v6, 7, v50
	v_ffbh_u32_e32 v6, v6
	v_bfe_u32 v7, v50, 3, 4
	v_min_u32_e32 v6, 32, v6
	v_subrev_u32_e32 v12, 28, v6
	v_sub_u32_e32 v6, 29, v6
	v_cmp_eq_u32_e64 s[0:1], 0, v7
	s_nop 1
	v_cndmask_b32_e64 v6, v7, v6, s[0:1]
	v_cndmask_b32_e64 v7, 0, v12, s[0:1]
	v_lshlrev_b64 v[14:15], v7, v[50:51]
	v_lshlrev_b32_e32 v12, 8, v50
	v_lshl_add_u32 v6, v6, 10, v57
	v_lshlrev_b32_e32 v7, 7, v14
	v_and_or_b32 v6, v12, s21, v6
	v_and_or_b32 v6, v7, s22, v6
	v_cvt_f32_f16_e32 v52, v6
.LBB284_948:                            ;   in Loop: Header=BB284_808 Depth=1
	s_or_b64 exec, exec, s[6:7]
	v_lshrrev_b16_e32 v16, 8, v50
	v_cmp_lt_i16_e64 s[0:1], s17, v16
	s_mov_b64 s[6:7], 0
                                        ; implicit-def: $sgpr26
	s_and_saveexec_b64 s[8:9], s[0:1]
	s_xor_b64 s[8:9], exec, s[8:9]
	s_cbranch_execnz .LBB284_1348
; %bb.949:                              ;   in Loop: Header=BB284_808 Depth=1
	s_or_saveexec_b64 s[8:9], s[8:9]
	v_mov_b32_e32 v54, s26
	s_xor_b64 exec, exec, s[8:9]
	s_cbranch_execnz .LBB284_1351
.LBB284_950:                            ;   in Loop: Header=BB284_808 Depth=1
	s_or_b64 exec, exec, s[8:9]
	s_and_saveexec_b64 s[8:9], s[6:7]
	s_cbranch_execz .LBB284_952
.LBB284_951:                            ;   in Loop: Header=BB284_808 Depth=1
	v_and_b32_e32 v6, 7, v16
	v_ffbh_u32_e32 v12, v6
	v_bfe_u32 v7, v16, 3, 4
	v_min_u32_e32 v12, 32, v12
	v_subrev_u32_e32 v14, 28, v12
	v_sub_u32_e32 v12, 29, v12
	v_cmp_eq_u32_e64 s[0:1], 0, v7
	v_lshlrev_b64 v[14:15], v14, v[16:17]
	v_and_b32_e32 v14, 7, v14
	v_cndmask_b32_e64 v7, v7, v12, s[0:1]
	v_lshlrev_b32_e32 v12, 8, v16
	v_lshl_add_u32 v7, v7, 10, v57
	v_cndmask_b32_e64 v6, v6, v14, s[0:1]
	v_and_or_b32 v7, v12, s21, v7
	v_lshl_or_b32 v6, v6, 7, v7
	v_cvt_f32_f16_e32 v54, v6
.LBB284_952:                            ;   in Loop: Header=BB284_808 Depth=1
	s_or_b64 exec, exec, s[8:9]
	v_lshrrev_b32_e32 v16, 16, v50
	v_cmp_gt_i16_sdwa s[6:7], v16, s17 src0_sel:BYTE_0 src1_sel:DWORD
	s_mov_b64 s[0:1], 0
                                        ; implicit-def: $sgpr18
	s_and_saveexec_b64 s[8:9], s[6:7]
	s_xor_b64 s[6:7], exec, s[8:9]
	s_cbranch_execnz .LBB284_1352
; %bb.953:                              ;   in Loop: Header=BB284_808 Depth=1
	s_or_saveexec_b64 s[6:7], s[6:7]
	v_mov_b32_e32 v53, s18
	s_xor_b64 exec, exec, s[6:7]
	s_cbranch_execnz .LBB284_1355
.LBB284_954:                            ;   in Loop: Header=BB284_808 Depth=1
	s_or_b64 exec, exec, s[6:7]
	s_and_saveexec_b64 s[6:7], s[0:1]
	s_cbranch_execz .LBB284_956
.LBB284_955:                            ;   in Loop: Header=BB284_808 Depth=1
	v_bfe_u32 v6, v50, 16, 3
	v_ffbh_u32_e32 v12, v6
	v_bfe_u32 v7, v50, 19, 4
	v_min_u32_e32 v12, 32, v12
	v_subrev_u32_e32 v14, 28, v12
	v_sub_u32_e32 v12, 29, v12
	v_cmp_eq_u32_e64 s[0:1], 0, v7
	v_lshlrev_b64 v[14:15], v14, v[16:17]
	v_and_b32_e32 v14, 7, v14
	v_cndmask_b32_e64 v7, v7, v12, s[0:1]
	v_lshlrev_b32_e32 v12, 8, v16
	v_lshl_add_u32 v7, v7, 10, v57
	v_cndmask_b32_e64 v6, v6, v14, s[0:1]
	v_and_or_b32 v7, v12, s21, v7
	v_lshl_or_b32 v6, v6, 7, v7
	v_cvt_f32_f16_e32 v53, v6
.LBB284_956:                            ;   in Loop: Header=BB284_808 Depth=1
	s_or_b64 exec, exec, s[6:7]
	v_lshrrev_b32_e32 v16, 24, v50
	v_cmp_lt_i16_e64 s[0:1], s17, v16
	s_mov_b64 s[6:7], 0
                                        ; implicit-def: $sgpr26
	s_and_saveexec_b64 s[8:9], s[0:1]
	s_xor_b64 s[8:9], exec, s[8:9]
	s_cbranch_execnz .LBB284_1356
; %bb.957:                              ;   in Loop: Header=BB284_808 Depth=1
	s_or_saveexec_b64 s[8:9], s[8:9]
	v_mov_b32_e32 v55, s26
	s_xor_b64 exec, exec, s[8:9]
	s_cbranch_execnz .LBB284_1359
.LBB284_958:                            ;   in Loop: Header=BB284_808 Depth=1
	s_or_b64 exec, exec, s[8:9]
	s_and_saveexec_b64 s[8:9], s[6:7]
	s_cbranch_execz .LBB284_960
.LBB284_959:                            ;   in Loop: Header=BB284_808 Depth=1
	v_bfe_u32 v6, v50, 24, 3
	v_ffbh_u32_e32 v12, v6
	v_bfe_u32 v7, v50, 27, 4
	v_min_u32_e32 v12, 32, v12
	v_subrev_u32_e32 v14, 28, v12
	v_sub_u32_e32 v12, 29, v12
	v_cmp_eq_u32_e64 s[0:1], 0, v7
	v_lshlrev_b64 v[14:15], v14, v[16:17]
	v_and_b32_e32 v14, 7, v14
	v_cndmask_b32_e64 v7, v7, v12, s[0:1]
	v_lshlrev_b32_e32 v12, 8, v16
	v_lshl_add_u32 v7, v7, 10, v57
	v_cndmask_b32_e64 v6, v6, v14, s[0:1]
	v_and_or_b32 v7, v12, s21, v7
	v_lshl_or_b32 v6, v6, 7, v7
	v_cvt_f32_f16_e32 v55, v6
.LBB284_960:                            ;   in Loop: Header=BB284_808 Depth=1
	s_or_b64 exec, exec, s[8:9]
	v_cmp_gt_i16_sdwa s[6:7], v51, s17 src0_sel:BYTE_0 src1_sel:DWORD
	s_mov_b64 s[0:1], 0
                                        ; implicit-def: $sgpr18
	s_and_saveexec_b64 s[8:9], s[6:7]
	s_xor_b64 s[6:7], exec, s[8:9]
	s_cbranch_execnz .LBB284_1360
; %bb.961:                              ;   in Loop: Header=BB284_808 Depth=1
	s_or_saveexec_b64 s[6:7], s[6:7]
	v_mov_b32_e32 v12, s18
	s_xor_b64 exec, exec, s[6:7]
	s_cbranch_execnz .LBB284_1363
.LBB284_962:                            ;   in Loop: Header=BB284_808 Depth=1
	s_or_b64 exec, exec, s[6:7]
	v_mov_b32_e32 v16, v51
	s_and_saveexec_b64 s[6:7], s[0:1]
	s_cbranch_execz .LBB284_964
.LBB284_963:                            ;   in Loop: Header=BB284_808 Depth=1
	v_and_b32_e32 v6, 7, v51
	v_ffbh_u32_e32 v6, v6
	v_bfe_u32 v7, v51, 3, 4
	v_min_u32_e32 v6, 32, v6
	v_subrev_u32_e32 v12, 28, v6
	v_sub_u32_e32 v6, 29, v6
	v_cmp_eq_u32_e64 s[0:1], 0, v7
	s_nop 1
	v_cndmask_b32_e64 v6, v7, v6, s[0:1]
	v_cndmask_b32_e64 v7, 0, v12, s[0:1]
	v_lshlrev_b64 v[14:15], v7, v[16:17]
	v_lshlrev_b32_e32 v12, 8, v51
	v_lshl_add_u32 v6, v6, 10, v57
	v_lshlrev_b32_e32 v7, 7, v14
	v_and_or_b32 v6, v12, s21, v6
	v_and_or_b32 v6, v7, s22, v6
	v_cvt_f32_f16_e32 v12, v6
.LBB284_964:                            ;   in Loop: Header=BB284_808 Depth=1
	s_or_b64 exec, exec, s[6:7]
	v_lshrrev_b16_e32 v16, 8, v16
	v_cmp_lt_i16_e64 s[0:1], s17, v16
	s_mov_b64 s[6:7], 0
                                        ; implicit-def: $sgpr26
	s_and_saveexec_b64 s[8:9], s[0:1]
	s_xor_b64 s[8:9], exec, s[8:9]
	s_cbranch_execnz .LBB284_1364
; %bb.965:                              ;   in Loop: Header=BB284_808 Depth=1
	s_or_saveexec_b64 s[8:9], s[8:9]
	v_mov_b32_e32 v14, s26
	s_xor_b64 exec, exec, s[8:9]
	s_cbranch_execnz .LBB284_1367
.LBB284_966:                            ;   in Loop: Header=BB284_808 Depth=1
	s_or_b64 exec, exec, s[8:9]
	s_and_saveexec_b64 s[8:9], s[6:7]
	s_cbranch_execz .LBB284_968
.LBB284_967:                            ;   in Loop: Header=BB284_808 Depth=1
	v_and_b32_e32 v6, 7, v16
	v_ffbh_u32_e32 v14, v6
	v_min_u32_e32 v18, 32, v14
	v_subrev_u32_e32 v14, 28, v18
	v_bfe_u32 v7, v16, 3, 4
	v_lshlrev_b64 v[14:15], v14, v[16:17]
	v_sub_u32_e32 v15, 29, v18
	v_cmp_eq_u32_e64 s[0:1], 0, v7
	v_and_b32_e32 v14, 7, v14
	s_nop 0
	v_cndmask_b32_e64 v7, v7, v15, s[0:1]
	v_cndmask_b32_e64 v6, v6, v14, s[0:1]
	v_lshlrev_b32_e32 v14, 8, v16
	v_lshl_add_u32 v7, v7, 10, v57
	v_and_or_b32 v7, v14, s21, v7
	v_lshl_or_b32 v6, v6, 7, v7
	v_cvt_f32_f16_e32 v14, v6
.LBB284_968:                            ;   in Loop: Header=BB284_808 Depth=1
	s_or_b64 exec, exec, s[8:9]
	v_lshrrev_b32_e32 v16, 16, v51
	v_cmp_gt_i16_sdwa s[6:7], v16, s17 src0_sel:BYTE_0 src1_sel:DWORD
	s_mov_b64 s[0:1], 0
                                        ; implicit-def: $sgpr18
	s_and_saveexec_b64 s[8:9], s[6:7]
	s_xor_b64 s[6:7], exec, s[8:9]
	s_cbranch_execnz .LBB284_1368
; %bb.969:                              ;   in Loop: Header=BB284_808 Depth=1
	s_or_saveexec_b64 s[6:7], s[6:7]
	v_mov_b32_e32 v15, s18
	s_xor_b64 exec, exec, s[6:7]
	s_cbranch_execnz .LBB284_1371
.LBB284_970:                            ;   in Loop: Header=BB284_808 Depth=1
	s_or_b64 exec, exec, s[6:7]
	s_and_saveexec_b64 s[6:7], s[0:1]
	s_cbranch_execz .LBB284_972
.LBB284_971:                            ;   in Loop: Header=BB284_808 Depth=1
	v_bfe_u32 v6, v51, 16, 3
	v_ffbh_u32_e32 v15, v6
	v_bfe_u32 v7, v51, 19, 4
	v_min_u32_e32 v15, 32, v15
	v_subrev_u32_e32 v18, 28, v15
	v_sub_u32_e32 v15, 29, v15
	v_cmp_eq_u32_e64 s[0:1], 0, v7
	v_lshlrev_b64 v[22:23], v18, v[16:17]
	v_and_b32_e32 v18, 7, v22
	v_cndmask_b32_e64 v7, v7, v15, s[0:1]
	v_lshlrev_b32_e32 v15, 8, v16
	v_lshl_add_u32 v7, v7, 10, v57
	v_cndmask_b32_e64 v6, v6, v18, s[0:1]
	v_and_or_b32 v7, v15, s21, v7
	v_lshl_or_b32 v6, v6, 7, v7
	v_cvt_f32_f16_e32 v15, v6
.LBB284_972:                            ;   in Loop: Header=BB284_808 Depth=1
	s_or_b64 exec, exec, s[6:7]
	v_lshrrev_b32_e32 v16, 24, v51
	v_cmp_lt_i16_e64 s[0:1], s17, v16
	s_mov_b64 s[6:7], 0
                                        ; implicit-def: $sgpr26
	s_and_saveexec_b64 s[8:9], s[0:1]
	s_xor_b64 s[8:9], exec, s[8:9]
	s_cbranch_execnz .LBB284_1372
; %bb.973:                              ;   in Loop: Header=BB284_808 Depth=1
	s_or_saveexec_b64 s[8:9], s[8:9]
	v_mov_b32_e32 v22, s26
	s_xor_b64 exec, exec, s[8:9]
	s_cbranch_execnz .LBB284_1375
.LBB284_974:                            ;   in Loop: Header=BB284_808 Depth=1
	s_or_b64 exec, exec, s[8:9]
	s_and_saveexec_b64 s[8:9], s[6:7]
	s_cbranch_execz .LBB284_976
.LBB284_975:                            ;   in Loop: Header=BB284_808 Depth=1
	v_bfe_u32 v6, v51, 24, 3
	v_ffbh_u32_e32 v18, v6
	v_bfe_u32 v7, v51, 27, 4
	v_min_u32_e32 v18, 32, v18
	v_subrev_u32_e32 v22, 28, v18
	v_sub_u32_e32 v18, 29, v18
	v_cmp_eq_u32_e64 s[0:1], 0, v7
	v_lshlrev_b64 v[22:23], v22, v[16:17]
	v_and_b32_e32 v22, 7, v22
	v_cndmask_b32_e64 v7, v7, v18, s[0:1]
	v_lshlrev_b32_e32 v16, 8, v16
	v_lshl_add_u32 v7, v7, 10, v57
	v_cndmask_b32_e64 v6, v6, v22, s[0:1]
	v_and_or_b32 v7, v16, s21, v7
	v_lshl_or_b32 v6, v6, 7, v7
	v_cvt_f32_f16_e32 v22, v6
.LBB284_976:                            ;   in Loop: Header=BB284_808 Depth=1
	s_or_b64 exec, exec, s[8:9]
	v_pk_mul_f32 v[34:35], v[48:49], v[54:55] op_sel_hi:[0,1]
	v_pk_mul_f32 v[36:37], v[48:49], v[52:53] op_sel_hi:[0,1]
	v_cvt_f16_f32_e32 v6, v35
	v_cvt_f16_f32_e32 v7, v34
	;; [unrolled: 1-line block ×4, first 2 shown]
	v_fma_mixlo_f16 v15, v48, v15, 0
	v_pack_b32_f16 v6, v7, v6
	v_pack_b32_f16 v7, v18, v16
	v_perm_b32 v16, v7, v6, s23
	v_perm_b32 v18, v7, v6, s24
	v_fma_mixlo_f16 v6, v48, v14, 0
	v_lshlrev_b32_e32 v6, 16, v6
	v_fma_mixlo_f16 v7, v48, v12, 0
	v_or_b32_sdwa v12, v6, v7 dst_sel:DWORD dst_unused:UNUSED_PAD src0_sel:DWORD src1_sel:WORD_0
	v_fma_mixlo_f16 v6, v48, v22, 0
	v_lshlrev_b32_e32 v6, 16, v6
	v_or_b32_sdwa v14, v6, v15 dst_sel:DWORD dst_unused:UNUSED_PAD src0_sel:DWORD src1_sel:WORD_0
	s_and_saveexec_b64 s[6:7], vcc
	s_cbranch_execz .LBB284_978
; %bb.977:                              ;   in Loop: Header=BB284_808 Depth=1
	v_lshrrev_b32_e32 v6, 16, v18
	v_cmp_lt_i32_e64 s[0:1], v44, v13
	v_accvgpr_read_b32 v22, a8
	s_nop 0
	v_cndmask_b32_e64 v6, 0, v6, s[0:1]
	v_cmp_lt_i32_e64 s[0:1], v19, v22
	s_nop 1
	v_cndmask_b32_e64 v7, 0, v18, s[0:1]
	v_perm_b32 v18, v6, v7, s25
	v_lshrrev_b32_e32 v6, 16, v16
	v_cmp_lt_i32_e64 s[0:1], v46, v13
	s_nop 1
	v_cndmask_b32_e64 v6, 0, v6, s[0:1]
	v_cmp_lt_i32_e64 s[0:1], v62, v22
	s_nop 1
	v_cndmask_b32_e64 v7, 0, v16, s[0:1]
	v_perm_b32 v16, v6, v7, s25
	v_lshrrev_b32_e32 v6, 16, v12
	v_cmp_lt_i32_e64 s[0:1], v61, v13
	;; [unrolled: 8-line block ×3, first 2 shown]
	s_nop 1
	v_cndmask_b32_e64 v6, 0, v6, s[0:1]
	v_cmp_lt_i32_e64 s[0:1], v58, v22
	s_nop 1
	v_cndmask_b32_e64 v7, 0, v15, s[0:1]
	v_perm_b32 v14, v6, v7, s25
.LBB284_978:                            ;   in Loop: Header=BB284_808 Depth=1
	s_or_b64 exec, exec, s[6:7]
	;;#ASMSTART
	v_pk_mul_f16 v6, v40, v18;

	;;#ASMEND
	;;#ASMSTART
	v_pk_mul_f16 v7, v1, v16;

	;;#ASMEND
	;; [unrolled: 4-line block ×4, first 2 shown]
	s_mov_b64 s[0:1], 0
	;;#ASMSTART
	v_pk_add_f16 v6, v6, v7;

	;;#ASMEND
                                        ; implicit-def: $sgpr18
	s_nop 0
	;;#ASMSTART
	v_pk_add_f16 v6, v6, v12;

	;;#ASMEND
	s_nop 0
	;;#ASMSTART
	v_pk_add_f16 v6, v6, v14;

	;;#ASMEND
	s_nop 0
	v_lshrrev_b32_e32 v7, 16, v6
	v_and_b32_e32 v6, 0xffff, v6
	;;#ASMSTART
	v_cvt_f32_f16 v33, v6;
	;;#ASMEND
	;;#ASMSTART
	v_cvt_f32_f16 v34, v7;
	;;#ASMEND
	v_accvgpr_read_b32 v7, a5
	flat_load_dwordx2 v[50:51], v[38:39] offset:2560
	v_accvgpr_read_b32 v6, a4
	flat_load_dword v48, v[6:7]
	s_waitcnt vmcnt(0) lgkmcnt(0)
	v_cmp_gt_i16_sdwa s[6:7], v50, s17 src0_sel:BYTE_0 src1_sel:DWORD
	s_and_saveexec_b64 s[8:9], s[6:7]
	s_xor_b64 s[6:7], exec, s[8:9]
	s_cbranch_execnz .LBB284_1376
; %bb.979:                              ;   in Loop: Header=BB284_808 Depth=1
	s_or_saveexec_b64 s[6:7], s[6:7]
	v_mov_b32_e32 v52, s18
	s_xor_b64 exec, exec, s[6:7]
	s_cbranch_execnz .LBB284_1379
.LBB284_980:                            ;   in Loop: Header=BB284_808 Depth=1
	s_or_b64 exec, exec, s[6:7]
	s_and_saveexec_b64 s[6:7], s[0:1]
	s_cbranch_execz .LBB284_982
.LBB284_981:                            ;   in Loop: Header=BB284_808 Depth=1
	v_and_b32_e32 v6, 7, v50
	v_ffbh_u32_e32 v6, v6
	v_bfe_u32 v7, v50, 3, 4
	v_min_u32_e32 v6, 32, v6
	v_subrev_u32_e32 v12, 28, v6
	v_sub_u32_e32 v6, 29, v6
	v_cmp_eq_u32_e64 s[0:1], 0, v7
	s_nop 1
	v_cndmask_b32_e64 v6, v7, v6, s[0:1]
	v_cndmask_b32_e64 v7, 0, v12, s[0:1]
	v_lshlrev_b64 v[14:15], v7, v[50:51]
	v_lshlrev_b32_e32 v12, 8, v50
	v_lshl_add_u32 v6, v6, 10, v57
	v_lshlrev_b32_e32 v7, 7, v14
	v_and_or_b32 v6, v12, s21, v6
	v_and_or_b32 v6, v7, s22, v6
	v_cvt_f32_f16_e32 v52, v6
.LBB284_982:                            ;   in Loop: Header=BB284_808 Depth=1
	s_or_b64 exec, exec, s[6:7]
	v_lshrrev_b16_e32 v16, 8, v50
	v_cmp_lt_i16_e64 s[0:1], s17, v16
	s_mov_b64 s[6:7], 0
                                        ; implicit-def: $sgpr26
	s_and_saveexec_b64 s[8:9], s[0:1]
	s_xor_b64 s[8:9], exec, s[8:9]
	s_cbranch_execnz .LBB284_1380
; %bb.983:                              ;   in Loop: Header=BB284_808 Depth=1
	s_or_saveexec_b64 s[8:9], s[8:9]
	v_mov_b32_e32 v54, s26
	s_xor_b64 exec, exec, s[8:9]
	s_cbranch_execnz .LBB284_1383
.LBB284_984:                            ;   in Loop: Header=BB284_808 Depth=1
	s_or_b64 exec, exec, s[8:9]
	s_and_saveexec_b64 s[8:9], s[6:7]
	s_cbranch_execz .LBB284_986
.LBB284_985:                            ;   in Loop: Header=BB284_808 Depth=1
	v_and_b32_e32 v6, 7, v16
	v_ffbh_u32_e32 v12, v6
	v_bfe_u32 v7, v16, 3, 4
	v_min_u32_e32 v12, 32, v12
	v_subrev_u32_e32 v14, 28, v12
	v_sub_u32_e32 v12, 29, v12
	v_cmp_eq_u32_e64 s[0:1], 0, v7
	v_lshlrev_b64 v[14:15], v14, v[16:17]
	v_and_b32_e32 v14, 7, v14
	v_cndmask_b32_e64 v7, v7, v12, s[0:1]
	v_lshlrev_b32_e32 v12, 8, v16
	v_lshl_add_u32 v7, v7, 10, v57
	v_cndmask_b32_e64 v6, v6, v14, s[0:1]
	v_and_or_b32 v7, v12, s21, v7
	v_lshl_or_b32 v6, v6, 7, v7
	v_cvt_f32_f16_e32 v54, v6
.LBB284_986:                            ;   in Loop: Header=BB284_808 Depth=1
	s_or_b64 exec, exec, s[8:9]
	v_lshrrev_b32_e32 v16, 16, v50
	v_cmp_gt_i16_sdwa s[6:7], v16, s17 src0_sel:BYTE_0 src1_sel:DWORD
	s_mov_b64 s[0:1], 0
                                        ; implicit-def: $sgpr18
	s_and_saveexec_b64 s[8:9], s[6:7]
	s_xor_b64 s[6:7], exec, s[8:9]
	s_cbranch_execnz .LBB284_1384
; %bb.987:                              ;   in Loop: Header=BB284_808 Depth=1
	s_or_saveexec_b64 s[6:7], s[6:7]
	v_mov_b32_e32 v53, s18
	s_xor_b64 exec, exec, s[6:7]
	s_cbranch_execnz .LBB284_1387
.LBB284_988:                            ;   in Loop: Header=BB284_808 Depth=1
	s_or_b64 exec, exec, s[6:7]
	s_and_saveexec_b64 s[6:7], s[0:1]
	s_cbranch_execz .LBB284_990
.LBB284_989:                            ;   in Loop: Header=BB284_808 Depth=1
	v_bfe_u32 v6, v50, 16, 3
	v_ffbh_u32_e32 v12, v6
	v_bfe_u32 v7, v50, 19, 4
	v_min_u32_e32 v12, 32, v12
	v_subrev_u32_e32 v14, 28, v12
	v_sub_u32_e32 v12, 29, v12
	v_cmp_eq_u32_e64 s[0:1], 0, v7
	v_lshlrev_b64 v[14:15], v14, v[16:17]
	v_and_b32_e32 v14, 7, v14
	v_cndmask_b32_e64 v7, v7, v12, s[0:1]
	v_lshlrev_b32_e32 v12, 8, v16
	v_lshl_add_u32 v7, v7, 10, v57
	v_cndmask_b32_e64 v6, v6, v14, s[0:1]
	v_and_or_b32 v7, v12, s21, v7
	v_lshl_or_b32 v6, v6, 7, v7
	v_cvt_f32_f16_e32 v53, v6
.LBB284_990:                            ;   in Loop: Header=BB284_808 Depth=1
	s_or_b64 exec, exec, s[6:7]
	v_lshrrev_b32_e32 v16, 24, v50
	v_cmp_lt_i16_e64 s[0:1], s17, v16
	s_mov_b64 s[6:7], 0
                                        ; implicit-def: $sgpr26
	s_and_saveexec_b64 s[8:9], s[0:1]
	s_xor_b64 s[8:9], exec, s[8:9]
	s_cbranch_execnz .LBB284_1388
; %bb.991:                              ;   in Loop: Header=BB284_808 Depth=1
	s_or_saveexec_b64 s[8:9], s[8:9]
	v_mov_b32_e32 v55, s26
	s_xor_b64 exec, exec, s[8:9]
	s_cbranch_execnz .LBB284_1391
.LBB284_992:                            ;   in Loop: Header=BB284_808 Depth=1
	s_or_b64 exec, exec, s[8:9]
	s_and_saveexec_b64 s[8:9], s[6:7]
	s_cbranch_execz .LBB284_994
.LBB284_993:                            ;   in Loop: Header=BB284_808 Depth=1
	v_bfe_u32 v6, v50, 24, 3
	v_ffbh_u32_e32 v12, v6
	v_bfe_u32 v7, v50, 27, 4
	v_min_u32_e32 v12, 32, v12
	v_subrev_u32_e32 v14, 28, v12
	v_sub_u32_e32 v12, 29, v12
	v_cmp_eq_u32_e64 s[0:1], 0, v7
	v_lshlrev_b64 v[14:15], v14, v[16:17]
	v_and_b32_e32 v14, 7, v14
	v_cndmask_b32_e64 v7, v7, v12, s[0:1]
	v_lshlrev_b32_e32 v12, 8, v16
	v_lshl_add_u32 v7, v7, 10, v57
	v_cndmask_b32_e64 v6, v6, v14, s[0:1]
	v_and_or_b32 v7, v12, s21, v7
	v_lshl_or_b32 v6, v6, 7, v7
	v_cvt_f32_f16_e32 v55, v6
.LBB284_994:                            ;   in Loop: Header=BB284_808 Depth=1
	s_or_b64 exec, exec, s[8:9]
	v_cmp_gt_i16_sdwa s[6:7], v51, s17 src0_sel:BYTE_0 src1_sel:DWORD
	s_mov_b64 s[0:1], 0
                                        ; implicit-def: $sgpr18
	s_and_saveexec_b64 s[8:9], s[6:7]
	s_xor_b64 s[6:7], exec, s[8:9]
	s_cbranch_execnz .LBB284_1392
; %bb.995:                              ;   in Loop: Header=BB284_808 Depth=1
	s_or_saveexec_b64 s[6:7], s[6:7]
	v_mov_b32_e32 v12, s18
	s_xor_b64 exec, exec, s[6:7]
	s_cbranch_execnz .LBB284_1395
.LBB284_996:                            ;   in Loop: Header=BB284_808 Depth=1
	s_or_b64 exec, exec, s[6:7]
	v_mov_b32_e32 v16, v51
	s_and_saveexec_b64 s[6:7], s[0:1]
	s_cbranch_execz .LBB284_998
.LBB284_997:                            ;   in Loop: Header=BB284_808 Depth=1
	v_and_b32_e32 v6, 7, v51
	v_ffbh_u32_e32 v6, v6
	v_bfe_u32 v7, v51, 3, 4
	v_min_u32_e32 v6, 32, v6
	v_subrev_u32_e32 v12, 28, v6
	v_sub_u32_e32 v6, 29, v6
	v_cmp_eq_u32_e64 s[0:1], 0, v7
	s_nop 1
	v_cndmask_b32_e64 v6, v7, v6, s[0:1]
	v_cndmask_b32_e64 v7, 0, v12, s[0:1]
	v_lshlrev_b64 v[14:15], v7, v[16:17]
	v_lshlrev_b32_e32 v12, 8, v51
	v_lshl_add_u32 v6, v6, 10, v57
	v_lshlrev_b32_e32 v7, 7, v14
	v_and_or_b32 v6, v12, s21, v6
	v_and_or_b32 v6, v7, s22, v6
	v_cvt_f32_f16_e32 v12, v6
.LBB284_998:                            ;   in Loop: Header=BB284_808 Depth=1
	s_or_b64 exec, exec, s[6:7]
	v_lshrrev_b16_e32 v16, 8, v16
	v_cmp_lt_i16_e64 s[0:1], s17, v16
	s_mov_b64 s[6:7], 0
                                        ; implicit-def: $sgpr26
	s_and_saveexec_b64 s[8:9], s[0:1]
	s_xor_b64 s[8:9], exec, s[8:9]
	s_cbranch_execnz .LBB284_1396
; %bb.999:                              ;   in Loop: Header=BB284_808 Depth=1
	s_or_saveexec_b64 s[8:9], s[8:9]
	v_mov_b32_e32 v14, s26
	s_xor_b64 exec, exec, s[8:9]
	s_cbranch_execnz .LBB284_1399
.LBB284_1000:                           ;   in Loop: Header=BB284_808 Depth=1
	s_or_b64 exec, exec, s[8:9]
	s_and_saveexec_b64 s[8:9], s[6:7]
	s_cbranch_execz .LBB284_1002
.LBB284_1001:                           ;   in Loop: Header=BB284_808 Depth=1
	v_and_b32_e32 v6, 7, v16
	v_ffbh_u32_e32 v14, v6
	v_min_u32_e32 v18, 32, v14
	v_subrev_u32_e32 v14, 28, v18
	v_bfe_u32 v7, v16, 3, 4
	v_lshlrev_b64 v[14:15], v14, v[16:17]
	v_sub_u32_e32 v15, 29, v18
	v_cmp_eq_u32_e64 s[0:1], 0, v7
	v_and_b32_e32 v14, 7, v14
	s_nop 0
	v_cndmask_b32_e64 v7, v7, v15, s[0:1]
	v_cndmask_b32_e64 v6, v6, v14, s[0:1]
	v_lshlrev_b32_e32 v14, 8, v16
	v_lshl_add_u32 v7, v7, 10, v57
	v_and_or_b32 v7, v14, s21, v7
	v_lshl_or_b32 v6, v6, 7, v7
	v_cvt_f32_f16_e32 v14, v6
.LBB284_1002:                           ;   in Loop: Header=BB284_808 Depth=1
	s_or_b64 exec, exec, s[8:9]
	v_lshrrev_b32_e32 v16, 16, v51
	v_cmp_gt_i16_sdwa s[6:7], v16, s17 src0_sel:BYTE_0 src1_sel:DWORD
	s_mov_b64 s[0:1], 0
                                        ; implicit-def: $sgpr18
	s_and_saveexec_b64 s[8:9], s[6:7]
	s_xor_b64 s[6:7], exec, s[8:9]
	s_cbranch_execnz .LBB284_1400
; %bb.1003:                             ;   in Loop: Header=BB284_808 Depth=1
	s_or_saveexec_b64 s[6:7], s[6:7]
	v_mov_b32_e32 v15, s18
	s_xor_b64 exec, exec, s[6:7]
	s_cbranch_execnz .LBB284_1403
.LBB284_1004:                           ;   in Loop: Header=BB284_808 Depth=1
	s_or_b64 exec, exec, s[6:7]
	s_and_saveexec_b64 s[6:7], s[0:1]
	s_cbranch_execz .LBB284_1006
.LBB284_1005:                           ;   in Loop: Header=BB284_808 Depth=1
	v_bfe_u32 v6, v51, 16, 3
	v_ffbh_u32_e32 v15, v6
	v_bfe_u32 v7, v51, 19, 4
	v_min_u32_e32 v15, 32, v15
	v_subrev_u32_e32 v18, 28, v15
	v_sub_u32_e32 v15, 29, v15
	v_cmp_eq_u32_e64 s[0:1], 0, v7
	v_lshlrev_b64 v[22:23], v18, v[16:17]
	v_and_b32_e32 v18, 7, v22
	v_cndmask_b32_e64 v7, v7, v15, s[0:1]
	v_lshlrev_b32_e32 v15, 8, v16
	v_lshl_add_u32 v7, v7, 10, v57
	v_cndmask_b32_e64 v6, v6, v18, s[0:1]
	v_and_or_b32 v7, v15, s21, v7
	v_lshl_or_b32 v6, v6, 7, v7
	v_cvt_f32_f16_e32 v15, v6
.LBB284_1006:                           ;   in Loop: Header=BB284_808 Depth=1
	s_or_b64 exec, exec, s[6:7]
	v_lshrrev_b32_e32 v16, 24, v51
	v_cmp_lt_i16_e64 s[0:1], s17, v16
	s_mov_b64 s[6:7], 0
                                        ; implicit-def: $sgpr26
	s_and_saveexec_b64 s[8:9], s[0:1]
	s_xor_b64 s[8:9], exec, s[8:9]
	s_cbranch_execnz .LBB284_1404
; %bb.1007:                             ;   in Loop: Header=BB284_808 Depth=1
	s_or_saveexec_b64 s[8:9], s[8:9]
	v_mov_b32_e32 v22, s26
	s_xor_b64 exec, exec, s[8:9]
	s_cbranch_execnz .LBB284_1407
.LBB284_1008:                           ;   in Loop: Header=BB284_808 Depth=1
	s_or_b64 exec, exec, s[8:9]
	s_and_saveexec_b64 s[8:9], s[6:7]
	s_cbranch_execz .LBB284_1010
.LBB284_1009:                           ;   in Loop: Header=BB284_808 Depth=1
	v_bfe_u32 v6, v51, 24, 3
	v_ffbh_u32_e32 v18, v6
	v_bfe_u32 v7, v51, 27, 4
	v_min_u32_e32 v18, 32, v18
	v_subrev_u32_e32 v22, 28, v18
	v_sub_u32_e32 v18, 29, v18
	v_cmp_eq_u32_e64 s[0:1], 0, v7
	v_lshlrev_b64 v[22:23], v22, v[16:17]
	v_and_b32_e32 v22, 7, v22
	v_cndmask_b32_e64 v7, v7, v18, s[0:1]
	v_lshlrev_b32_e32 v16, 8, v16
	v_lshl_add_u32 v7, v7, 10, v57
	v_cndmask_b32_e64 v6, v6, v22, s[0:1]
	v_and_or_b32 v7, v16, s21, v7
	v_lshl_or_b32 v6, v6, 7, v7
	v_cvt_f32_f16_e32 v22, v6
.LBB284_1010:                           ;   in Loop: Header=BB284_808 Depth=1
	s_or_b64 exec, exec, s[8:9]
	v_pk_mul_f32 v[36:37], v[48:49], v[54:55] op_sel_hi:[0,1]
	v_pk_mul_f32 v[50:51], v[48:49], v[52:53] op_sel_hi:[0,1]
	v_cvt_f16_f32_e32 v6, v37
	v_cvt_f16_f32_e32 v7, v36
	;; [unrolled: 1-line block ×4, first 2 shown]
	v_fma_mixlo_f16 v15, v48, v15, 0
	v_pack_b32_f16 v6, v7, v6
	v_pack_b32_f16 v7, v18, v16
	v_perm_b32 v16, v7, v6, s23
	v_perm_b32 v18, v7, v6, s24
	v_fma_mixlo_f16 v6, v48, v14, 0
	v_lshlrev_b32_e32 v6, 16, v6
	v_fma_mixlo_f16 v7, v48, v12, 0
	v_or_b32_sdwa v12, v6, v7 dst_sel:DWORD dst_unused:UNUSED_PAD src0_sel:DWORD src1_sel:WORD_0
	v_fma_mixlo_f16 v6, v48, v22, 0
	v_lshlrev_b32_e32 v6, 16, v6
	v_or_b32_sdwa v14, v6, v15 dst_sel:DWORD dst_unused:UNUSED_PAD src0_sel:DWORD src1_sel:WORD_0
	s_and_saveexec_b64 s[6:7], vcc
	s_cbranch_execz .LBB284_1012
; %bb.1011:                             ;   in Loop: Header=BB284_808 Depth=1
	v_lshrrev_b32_e32 v6, 16, v18
	v_cmp_lt_i32_e64 s[0:1], v44, v13
	v_accvgpr_read_b32 v22, a8
	s_nop 0
	v_cndmask_b32_e64 v6, 0, v6, s[0:1]
	v_cmp_lt_i32_e64 s[0:1], v19, v22
	s_nop 1
	v_cndmask_b32_e64 v7, 0, v18, s[0:1]
	v_perm_b32 v18, v6, v7, s25
	v_lshrrev_b32_e32 v6, 16, v16
	v_cmp_lt_i32_e64 s[0:1], v46, v13
	s_nop 1
	v_cndmask_b32_e64 v6, 0, v6, s[0:1]
	v_cmp_lt_i32_e64 s[0:1], v62, v22
	s_nop 1
	v_cndmask_b32_e64 v7, 0, v16, s[0:1]
	v_perm_b32 v16, v6, v7, s25
	v_lshrrev_b32_e32 v6, 16, v12
	v_cmp_lt_i32_e64 s[0:1], v61, v13
	;; [unrolled: 8-line block ×3, first 2 shown]
	s_nop 1
	v_cndmask_b32_e64 v6, 0, v6, s[0:1]
	v_cmp_lt_i32_e64 s[0:1], v58, v22
	s_nop 1
	v_cndmask_b32_e64 v7, 0, v15, s[0:1]
	v_perm_b32 v14, v6, v7, s25
.LBB284_1012:                           ;   in Loop: Header=BB284_808 Depth=1
	s_or_b64 exec, exec, s[6:7]
	;;#ASMSTART
	v_pk_mul_f16 v6, v40, v18;

	;;#ASMEND
	;;#ASMSTART
	v_pk_mul_f16 v7, v1, v16;

	;;#ASMEND
	;; [unrolled: 4-line block ×4, first 2 shown]
	s_mov_b64 s[0:1], 0
	;;#ASMSTART
	v_pk_add_f16 v6, v6, v7;

	;;#ASMEND
                                        ; implicit-def: $sgpr18
	s_nop 0
	;;#ASMSTART
	v_pk_add_f16 v6, v6, v12;

	;;#ASMEND
	s_nop 0
	;;#ASMSTART
	v_pk_add_f16 v6, v6, v14;

	;;#ASMEND
	s_nop 0
	v_lshrrev_b32_e32 v7, 16, v6
	v_and_b32_e32 v6, 0xffff, v6
	;;#ASMSTART
	v_cvt_f32_f16 v18, v6;
	;;#ASMEND
	;;#ASMSTART
	v_cvt_f32_f16 v35, v7;
	;;#ASMEND
	v_accvgpr_read_b32 v7, a5
	flat_load_dwordx2 v[50:51], v[38:39] offset:3072
	v_accvgpr_read_b32 v6, a4
	flat_load_dword v48, v[6:7]
	s_waitcnt vmcnt(0) lgkmcnt(0)
	v_cmp_gt_i16_sdwa s[6:7], v50, s17 src0_sel:BYTE_0 src1_sel:DWORD
	s_and_saveexec_b64 s[8:9], s[6:7]
	s_xor_b64 s[6:7], exec, s[8:9]
	s_cbranch_execnz .LBB284_1408
; %bb.1013:                             ;   in Loop: Header=BB284_808 Depth=1
	s_or_saveexec_b64 s[6:7], s[6:7]
	v_mov_b32_e32 v52, s18
	s_xor_b64 exec, exec, s[6:7]
	s_cbranch_execnz .LBB284_1411
.LBB284_1014:                           ;   in Loop: Header=BB284_808 Depth=1
	s_or_b64 exec, exec, s[6:7]
	s_and_saveexec_b64 s[6:7], s[0:1]
	s_cbranch_execz .LBB284_1016
.LBB284_1015:                           ;   in Loop: Header=BB284_808 Depth=1
	v_and_b32_e32 v6, 7, v50
	v_ffbh_u32_e32 v6, v6
	v_bfe_u32 v7, v50, 3, 4
	v_min_u32_e32 v6, 32, v6
	v_subrev_u32_e32 v12, 28, v6
	v_sub_u32_e32 v6, 29, v6
	v_cmp_eq_u32_e64 s[0:1], 0, v7
	s_nop 1
	v_cndmask_b32_e64 v6, v7, v6, s[0:1]
	v_cndmask_b32_e64 v7, 0, v12, s[0:1]
	v_lshlrev_b64 v[14:15], v7, v[50:51]
	v_lshlrev_b32_e32 v12, 8, v50
	v_lshl_add_u32 v6, v6, 10, v57
	v_lshlrev_b32_e32 v7, 7, v14
	v_and_or_b32 v6, v12, s21, v6
	v_and_or_b32 v6, v7, s22, v6
	v_cvt_f32_f16_e32 v52, v6
.LBB284_1016:                           ;   in Loop: Header=BB284_808 Depth=1
	s_or_b64 exec, exec, s[6:7]
	v_lshrrev_b16_e32 v16, 8, v50
	v_cmp_lt_i16_e64 s[0:1], s17, v16
	s_mov_b64 s[6:7], 0
                                        ; implicit-def: $sgpr26
	s_and_saveexec_b64 s[8:9], s[0:1]
	s_xor_b64 s[8:9], exec, s[8:9]
	s_cbranch_execnz .LBB284_1412
; %bb.1017:                             ;   in Loop: Header=BB284_808 Depth=1
	s_or_saveexec_b64 s[8:9], s[8:9]
	v_mov_b32_e32 v54, s26
	s_xor_b64 exec, exec, s[8:9]
	s_cbranch_execnz .LBB284_1415
.LBB284_1018:                           ;   in Loop: Header=BB284_808 Depth=1
	s_or_b64 exec, exec, s[8:9]
	s_and_saveexec_b64 s[8:9], s[6:7]
	s_cbranch_execz .LBB284_1020
.LBB284_1019:                           ;   in Loop: Header=BB284_808 Depth=1
	v_and_b32_e32 v6, 7, v16
	v_ffbh_u32_e32 v12, v6
	v_bfe_u32 v7, v16, 3, 4
	v_min_u32_e32 v12, 32, v12
	v_subrev_u32_e32 v14, 28, v12
	v_sub_u32_e32 v12, 29, v12
	v_cmp_eq_u32_e64 s[0:1], 0, v7
	v_lshlrev_b64 v[14:15], v14, v[16:17]
	v_and_b32_e32 v14, 7, v14
	v_cndmask_b32_e64 v7, v7, v12, s[0:1]
	v_lshlrev_b32_e32 v12, 8, v16
	v_lshl_add_u32 v7, v7, 10, v57
	v_cndmask_b32_e64 v6, v6, v14, s[0:1]
	v_and_or_b32 v7, v12, s21, v7
	v_lshl_or_b32 v6, v6, 7, v7
	v_cvt_f32_f16_e32 v54, v6
.LBB284_1020:                           ;   in Loop: Header=BB284_808 Depth=1
	s_or_b64 exec, exec, s[8:9]
	v_lshrrev_b32_e32 v16, 16, v50
	v_cmp_gt_i16_sdwa s[6:7], v16, s17 src0_sel:BYTE_0 src1_sel:DWORD
	s_mov_b64 s[0:1], 0
                                        ; implicit-def: $sgpr18
	s_and_saveexec_b64 s[8:9], s[6:7]
	s_xor_b64 s[6:7], exec, s[8:9]
	s_cbranch_execnz .LBB284_1416
; %bb.1021:                             ;   in Loop: Header=BB284_808 Depth=1
	s_or_saveexec_b64 s[6:7], s[6:7]
	v_mov_b32_e32 v53, s18
	s_xor_b64 exec, exec, s[6:7]
	s_cbranch_execnz .LBB284_1419
.LBB284_1022:                           ;   in Loop: Header=BB284_808 Depth=1
	s_or_b64 exec, exec, s[6:7]
	s_and_saveexec_b64 s[6:7], s[0:1]
	s_cbranch_execz .LBB284_1024
.LBB284_1023:                           ;   in Loop: Header=BB284_808 Depth=1
	v_bfe_u32 v6, v50, 16, 3
	v_ffbh_u32_e32 v12, v6
	v_bfe_u32 v7, v50, 19, 4
	v_min_u32_e32 v12, 32, v12
	v_subrev_u32_e32 v14, 28, v12
	v_sub_u32_e32 v12, 29, v12
	v_cmp_eq_u32_e64 s[0:1], 0, v7
	v_lshlrev_b64 v[14:15], v14, v[16:17]
	v_and_b32_e32 v14, 7, v14
	v_cndmask_b32_e64 v7, v7, v12, s[0:1]
	v_lshlrev_b32_e32 v12, 8, v16
	v_lshl_add_u32 v7, v7, 10, v57
	v_cndmask_b32_e64 v6, v6, v14, s[0:1]
	v_and_or_b32 v7, v12, s21, v7
	v_lshl_or_b32 v6, v6, 7, v7
	v_cvt_f32_f16_e32 v53, v6
.LBB284_1024:                           ;   in Loop: Header=BB284_808 Depth=1
	s_or_b64 exec, exec, s[6:7]
	v_lshrrev_b32_e32 v16, 24, v50
	v_cmp_lt_i16_e64 s[0:1], s17, v16
	s_mov_b64 s[6:7], 0
                                        ; implicit-def: $sgpr26
	s_and_saveexec_b64 s[8:9], s[0:1]
	s_xor_b64 s[8:9], exec, s[8:9]
	s_cbranch_execnz .LBB284_1420
; %bb.1025:                             ;   in Loop: Header=BB284_808 Depth=1
	s_or_saveexec_b64 s[8:9], s[8:9]
	v_mov_b32_e32 v55, s26
	s_xor_b64 exec, exec, s[8:9]
	s_cbranch_execnz .LBB284_1423
.LBB284_1026:                           ;   in Loop: Header=BB284_808 Depth=1
	s_or_b64 exec, exec, s[8:9]
	s_and_saveexec_b64 s[8:9], s[6:7]
	s_cbranch_execz .LBB284_1028
.LBB284_1027:                           ;   in Loop: Header=BB284_808 Depth=1
	v_bfe_u32 v6, v50, 24, 3
	v_ffbh_u32_e32 v12, v6
	v_bfe_u32 v7, v50, 27, 4
	v_min_u32_e32 v12, 32, v12
	v_subrev_u32_e32 v14, 28, v12
	v_sub_u32_e32 v12, 29, v12
	v_cmp_eq_u32_e64 s[0:1], 0, v7
	v_lshlrev_b64 v[14:15], v14, v[16:17]
	v_and_b32_e32 v14, 7, v14
	v_cndmask_b32_e64 v7, v7, v12, s[0:1]
	v_lshlrev_b32_e32 v12, 8, v16
	v_lshl_add_u32 v7, v7, 10, v57
	v_cndmask_b32_e64 v6, v6, v14, s[0:1]
	v_and_or_b32 v7, v12, s21, v7
	v_lshl_or_b32 v6, v6, 7, v7
	v_cvt_f32_f16_e32 v55, v6
.LBB284_1028:                           ;   in Loop: Header=BB284_808 Depth=1
	s_or_b64 exec, exec, s[8:9]
	v_cmp_gt_i16_sdwa s[6:7], v51, s17 src0_sel:BYTE_0 src1_sel:DWORD
	s_mov_b64 s[0:1], 0
                                        ; implicit-def: $sgpr18
	s_and_saveexec_b64 s[8:9], s[6:7]
	s_xor_b64 s[6:7], exec, s[8:9]
	s_cbranch_execnz .LBB284_1424
; %bb.1029:                             ;   in Loop: Header=BB284_808 Depth=1
	s_or_saveexec_b64 s[6:7], s[6:7]
	v_mov_b32_e32 v12, s18
	s_xor_b64 exec, exec, s[6:7]
	s_cbranch_execnz .LBB284_1427
.LBB284_1030:                           ;   in Loop: Header=BB284_808 Depth=1
	s_or_b64 exec, exec, s[6:7]
	v_mov_b32_e32 v16, v51
	s_and_saveexec_b64 s[6:7], s[0:1]
	s_cbranch_execz .LBB284_1032
.LBB284_1031:                           ;   in Loop: Header=BB284_808 Depth=1
	v_and_b32_e32 v6, 7, v51
	v_ffbh_u32_e32 v6, v6
	v_bfe_u32 v7, v51, 3, 4
	v_min_u32_e32 v6, 32, v6
	v_subrev_u32_e32 v12, 28, v6
	v_sub_u32_e32 v6, 29, v6
	v_cmp_eq_u32_e64 s[0:1], 0, v7
	s_nop 1
	v_cndmask_b32_e64 v6, v7, v6, s[0:1]
	v_cndmask_b32_e64 v7, 0, v12, s[0:1]
	v_lshlrev_b64 v[14:15], v7, v[16:17]
	v_lshlrev_b32_e32 v12, 8, v51
	v_lshl_add_u32 v6, v6, 10, v57
	v_lshlrev_b32_e32 v7, 7, v14
	v_and_or_b32 v6, v12, s21, v6
	v_and_or_b32 v6, v7, s22, v6
	v_cvt_f32_f16_e32 v12, v6
.LBB284_1032:                           ;   in Loop: Header=BB284_808 Depth=1
	s_or_b64 exec, exec, s[6:7]
	v_lshrrev_b16_e32 v16, 8, v16
	v_cmp_lt_i16_e64 s[0:1], s17, v16
	s_mov_b64 s[6:7], 0
                                        ; implicit-def: $sgpr26
	s_and_saveexec_b64 s[8:9], s[0:1]
	s_xor_b64 s[8:9], exec, s[8:9]
	s_cbranch_execnz .LBB284_1428
; %bb.1033:                             ;   in Loop: Header=BB284_808 Depth=1
	s_or_saveexec_b64 s[8:9], s[8:9]
	v_mov_b32_e32 v14, s26
	s_xor_b64 exec, exec, s[8:9]
	s_cbranch_execnz .LBB284_1431
.LBB284_1034:                           ;   in Loop: Header=BB284_808 Depth=1
	s_or_b64 exec, exec, s[8:9]
	s_and_saveexec_b64 s[8:9], s[6:7]
	s_cbranch_execz .LBB284_1036
.LBB284_1035:                           ;   in Loop: Header=BB284_808 Depth=1
	v_and_b32_e32 v6, 7, v16
	v_ffbh_u32_e32 v14, v6
	v_min_u32_e32 v22, 32, v14
	v_subrev_u32_e32 v14, 28, v22
	v_bfe_u32 v7, v16, 3, 4
	v_lshlrev_b64 v[14:15], v14, v[16:17]
	v_sub_u32_e32 v15, 29, v22
	v_cmp_eq_u32_e64 s[0:1], 0, v7
	v_and_b32_e32 v14, 7, v14
	s_nop 0
	v_cndmask_b32_e64 v7, v7, v15, s[0:1]
	v_cndmask_b32_e64 v6, v6, v14, s[0:1]
	v_lshlrev_b32_e32 v14, 8, v16
	v_lshl_add_u32 v7, v7, 10, v57
	v_and_or_b32 v7, v14, s21, v7
	v_lshl_or_b32 v6, v6, 7, v7
	v_cvt_f32_f16_e32 v14, v6
.LBB284_1036:                           ;   in Loop: Header=BB284_808 Depth=1
	s_or_b64 exec, exec, s[8:9]
	v_lshrrev_b32_e32 v16, 16, v51
	v_cmp_gt_i16_sdwa s[6:7], v16, s17 src0_sel:BYTE_0 src1_sel:DWORD
	s_mov_b64 s[0:1], 0
                                        ; implicit-def: $sgpr18
	s_and_saveexec_b64 s[8:9], s[6:7]
	s_xor_b64 s[6:7], exec, s[8:9]
	s_cbranch_execnz .LBB284_1432
; %bb.1037:                             ;   in Loop: Header=BB284_808 Depth=1
	s_or_saveexec_b64 s[6:7], s[6:7]
	v_mov_b32_e32 v15, s18
	s_xor_b64 exec, exec, s[6:7]
	s_cbranch_execnz .LBB284_1435
.LBB284_1038:                           ;   in Loop: Header=BB284_808 Depth=1
	s_or_b64 exec, exec, s[6:7]
	s_and_saveexec_b64 s[6:7], s[0:1]
	s_cbranch_execz .LBB284_1040
.LBB284_1039:                           ;   in Loop: Header=BB284_808 Depth=1
	v_bfe_u32 v6, v51, 16, 3
	v_ffbh_u32_e32 v15, v6
	v_bfe_u32 v7, v51, 19, 4
	v_min_u32_e32 v15, 32, v15
	v_subrev_u32_e32 v22, 28, v15
	v_sub_u32_e32 v15, 29, v15
	v_cmp_eq_u32_e64 s[0:1], 0, v7
	v_lshlrev_b64 v[22:23], v22, v[16:17]
	v_and_b32_e32 v22, 7, v22
	v_cndmask_b32_e64 v7, v7, v15, s[0:1]
	v_lshlrev_b32_e32 v15, 8, v16
	v_lshl_add_u32 v7, v7, 10, v57
	v_cndmask_b32_e64 v6, v6, v22, s[0:1]
	v_and_or_b32 v7, v15, s21, v7
	v_lshl_or_b32 v6, v6, 7, v7
	v_cvt_f32_f16_e32 v15, v6
.LBB284_1040:                           ;   in Loop: Header=BB284_808 Depth=1
	s_or_b64 exec, exec, s[6:7]
	v_lshrrev_b32_e32 v16, 24, v51
	v_cmp_lt_i16_e64 s[0:1], s17, v16
	s_mov_b64 s[6:7], 0
                                        ; implicit-def: $sgpr26
	s_and_saveexec_b64 s[8:9], s[0:1]
	s_xor_b64 s[8:9], exec, s[8:9]
	s_cbranch_execnz .LBB284_1436
; %bb.1041:                             ;   in Loop: Header=BB284_808 Depth=1
	s_or_saveexec_b64 s[8:9], s[8:9]
	v_mov_b32_e32 v23, s26
	s_xor_b64 exec, exec, s[8:9]
	s_cbranch_execnz .LBB284_1439
.LBB284_1042:                           ;   in Loop: Header=BB284_808 Depth=1
	s_or_b64 exec, exec, s[8:9]
	s_and_saveexec_b64 s[8:9], s[6:7]
	s_cbranch_execz .LBB284_1044
.LBB284_1043:                           ;   in Loop: Header=BB284_808 Depth=1
	v_bfe_u32 v6, v51, 24, 3
	v_ffbh_u32_e32 v22, v6
	v_min_u32_e32 v36, 32, v22
	v_subrev_u32_e32 v22, 28, v36
	v_bfe_u32 v7, v51, 27, 4
	v_lshlrev_b64 v[22:23], v22, v[16:17]
	v_sub_u32_e32 v23, 29, v36
	v_cmp_eq_u32_e64 s[0:1], 0, v7
	v_and_b32_e32 v22, 7, v22
	v_lshlrev_b32_e32 v16, 8, v16
	v_cndmask_b32_e64 v7, v7, v23, s[0:1]
	v_lshl_add_u32 v7, v7, 10, v57
	v_cndmask_b32_e64 v6, v6, v22, s[0:1]
	v_and_or_b32 v7, v16, s21, v7
	v_lshl_or_b32 v6, v6, 7, v7
	v_cvt_f32_f16_e32 v23, v6
.LBB284_1044:                           ;   in Loop: Header=BB284_808 Depth=1
	s_or_b64 exec, exec, s[8:9]
	v_pk_mul_f32 v[36:37], v[48:49], v[54:55] op_sel_hi:[0,1]
	v_pk_mul_f32 v[50:51], v[48:49], v[52:53] op_sel_hi:[0,1]
	v_cvt_f16_f32_e32 v6, v37
	v_cvt_f16_f32_e32 v7, v36
	;; [unrolled: 1-line block ×4, first 2 shown]
	v_fma_mixlo_f16 v15, v48, v15, 0
	v_pack_b32_f16 v6, v7, v6
	v_pack_b32_f16 v7, v22, v16
	v_perm_b32 v16, v7, v6, s23
	v_perm_b32 v22, v7, v6, s24
	v_fma_mixlo_f16 v6, v48, v14, 0
	v_lshlrev_b32_e32 v6, 16, v6
	v_fma_mixlo_f16 v7, v48, v12, 0
	v_or_b32_sdwa v12, v6, v7 dst_sel:DWORD dst_unused:UNUSED_PAD src0_sel:DWORD src1_sel:WORD_0
	v_fma_mixlo_f16 v6, v48, v23, 0
	v_lshlrev_b32_e32 v6, 16, v6
	v_or_b32_sdwa v14, v6, v15 dst_sel:DWORD dst_unused:UNUSED_PAD src0_sel:DWORD src1_sel:WORD_0
	s_and_saveexec_b64 s[6:7], vcc
	s_cbranch_execz .LBB284_1046
; %bb.1045:                             ;   in Loop: Header=BB284_808 Depth=1
	v_lshrrev_b32_e32 v6, 16, v22
	v_cmp_lt_i32_e64 s[0:1], v44, v13
	v_accvgpr_read_b32 v36, a8
	s_nop 0
	v_cndmask_b32_e64 v6, 0, v6, s[0:1]
	v_cmp_lt_i32_e64 s[0:1], v19, v36
	s_nop 1
	v_cndmask_b32_e64 v7, 0, v22, s[0:1]
	v_perm_b32 v22, v6, v7, s25
	v_lshrrev_b32_e32 v6, 16, v16
	v_cmp_lt_i32_e64 s[0:1], v46, v13
	s_nop 1
	v_cndmask_b32_e64 v6, 0, v6, s[0:1]
	v_cmp_lt_i32_e64 s[0:1], v62, v36
	s_nop 1
	v_cndmask_b32_e64 v7, 0, v16, s[0:1]
	v_perm_b32 v16, v6, v7, s25
	v_lshrrev_b32_e32 v6, 16, v12
	v_cmp_lt_i32_e64 s[0:1], v61, v13
	;; [unrolled: 8-line block ×3, first 2 shown]
	s_nop 1
	v_cndmask_b32_e64 v6, 0, v6, s[0:1]
	v_cmp_lt_i32_e64 s[0:1], v58, v36
	s_nop 1
	v_cndmask_b32_e64 v7, 0, v15, s[0:1]
	v_perm_b32 v14, v6, v7, s25
.LBB284_1046:                           ;   in Loop: Header=BB284_808 Depth=1
	s_or_b64 exec, exec, s[6:7]
	;;#ASMSTART
	v_pk_mul_f16 v6, v40, v22;

	;;#ASMEND
	;;#ASMSTART
	v_pk_mul_f16 v7, v1, v16;

	;;#ASMEND
	;;#ASMSTART
	v_pk_mul_f16 v12, v0, v12;

	;;#ASMEND
	;;#ASMSTART
	v_pk_mul_f16 v14, v43, v14;

	;;#ASMEND
	s_mov_b64 s[0:1], 0
	;;#ASMSTART
	v_pk_add_f16 v6, v6, v7;

	;;#ASMEND
                                        ; implicit-def: $sgpr18
	s_nop 0
	;;#ASMSTART
	v_pk_add_f16 v6, v6, v12;

	;;#ASMEND
	s_nop 0
	;;#ASMSTART
	v_pk_add_f16 v6, v6, v14;

	;;#ASMEND
	s_nop 0
	v_lshrrev_b32_e32 v7, 16, v6
	v_and_b32_e32 v6, 0xffff, v6
	;;#ASMSTART
	v_cvt_f32_f16 v54, v6;
	;;#ASMEND
	;;#ASMSTART
	v_cvt_f32_f16 v55, v7;
	;;#ASMEND
	v_accvgpr_read_b32 v7, a5
	flat_load_dwordx2 v[48:49], v[38:39] offset:3584
	v_accvgpr_read_b32 v6, a4
	flat_load_dword v38, v[6:7]
	s_waitcnt vmcnt(0) lgkmcnt(0)
	v_cmp_gt_i16_sdwa s[6:7], v48, s17 src0_sel:BYTE_0 src1_sel:DWORD
	s_and_saveexec_b64 s[8:9], s[6:7]
	s_xor_b64 s[6:7], exec, s[8:9]
	s_cbranch_execnz .LBB284_1440
; %bb.1047:                             ;   in Loop: Header=BB284_808 Depth=1
	s_or_saveexec_b64 s[6:7], s[6:7]
	v_mov_b32_e32 v50, s18
	s_xor_b64 exec, exec, s[6:7]
	s_cbranch_execnz .LBB284_1443
.LBB284_1048:                           ;   in Loop: Header=BB284_808 Depth=1
	s_or_b64 exec, exec, s[6:7]
	s_and_saveexec_b64 s[6:7], s[0:1]
	s_cbranch_execz .LBB284_1050
.LBB284_1049:                           ;   in Loop: Header=BB284_808 Depth=1
	v_and_b32_e32 v6, 7, v48
	v_ffbh_u32_e32 v6, v6
	v_bfe_u32 v7, v48, 3, 4
	v_min_u32_e32 v6, 32, v6
	v_subrev_u32_e32 v12, 28, v6
	v_sub_u32_e32 v6, 29, v6
	v_cmp_eq_u32_e64 s[0:1], 0, v7
	s_nop 1
	v_cndmask_b32_e64 v6, v7, v6, s[0:1]
	v_cndmask_b32_e64 v7, 0, v12, s[0:1]
	v_lshlrev_b64 v[14:15], v7, v[48:49]
	v_lshlrev_b32_e32 v12, 8, v48
	v_lshl_add_u32 v6, v6, 10, v57
	v_lshlrev_b32_e32 v7, 7, v14
	v_and_or_b32 v6, v12, s21, v6
	v_and_or_b32 v6, v7, s22, v6
	v_cvt_f32_f16_e32 v50, v6
.LBB284_1050:                           ;   in Loop: Header=BB284_808 Depth=1
	s_or_b64 exec, exec, s[6:7]
	v_lshrrev_b16_e32 v16, 8, v48
	v_cmp_lt_i16_e64 s[0:1], s17, v16
	s_mov_b64 s[6:7], 0
                                        ; implicit-def: $sgpr26
	s_and_saveexec_b64 s[8:9], s[0:1]
	s_xor_b64 s[8:9], exec, s[8:9]
	s_cbranch_execnz .LBB284_1444
; %bb.1051:                             ;   in Loop: Header=BB284_808 Depth=1
	s_or_saveexec_b64 s[8:9], s[8:9]
	v_mov_b32_e32 v52, s26
	s_xor_b64 exec, exec, s[8:9]
	s_cbranch_execnz .LBB284_1447
.LBB284_1052:                           ;   in Loop: Header=BB284_808 Depth=1
	s_or_b64 exec, exec, s[8:9]
	s_and_saveexec_b64 s[8:9], s[6:7]
	s_cbranch_execz .LBB284_1054
.LBB284_1053:                           ;   in Loop: Header=BB284_808 Depth=1
	v_and_b32_e32 v6, 7, v16
	v_ffbh_u32_e32 v12, v6
	v_bfe_u32 v7, v16, 3, 4
	v_min_u32_e32 v12, 32, v12
	v_subrev_u32_e32 v14, 28, v12
	v_sub_u32_e32 v12, 29, v12
	v_cmp_eq_u32_e64 s[0:1], 0, v7
	v_lshlrev_b64 v[14:15], v14, v[16:17]
	v_and_b32_e32 v14, 7, v14
	v_cndmask_b32_e64 v7, v7, v12, s[0:1]
	v_lshlrev_b32_e32 v12, 8, v16
	v_lshl_add_u32 v7, v7, 10, v57
	v_cndmask_b32_e64 v6, v6, v14, s[0:1]
	v_and_or_b32 v7, v12, s21, v7
	v_lshl_or_b32 v6, v6, 7, v7
	v_cvt_f32_f16_e32 v52, v6
.LBB284_1054:                           ;   in Loop: Header=BB284_808 Depth=1
	s_or_b64 exec, exec, s[8:9]
	v_lshrrev_b32_e32 v16, 16, v48
	v_cmp_gt_i16_sdwa s[6:7], v16, s17 src0_sel:BYTE_0 src1_sel:DWORD
	s_mov_b64 s[0:1], 0
                                        ; implicit-def: $sgpr18
	s_and_saveexec_b64 s[8:9], s[6:7]
	s_xor_b64 s[6:7], exec, s[8:9]
	s_cbranch_execnz .LBB284_1448
; %bb.1055:                             ;   in Loop: Header=BB284_808 Depth=1
	s_or_saveexec_b64 s[6:7], s[6:7]
	v_mov_b32_e32 v51, s18
	s_xor_b64 exec, exec, s[6:7]
	s_cbranch_execnz .LBB284_1451
.LBB284_1056:                           ;   in Loop: Header=BB284_808 Depth=1
	s_or_b64 exec, exec, s[6:7]
	s_and_saveexec_b64 s[6:7], s[0:1]
	s_cbranch_execz .LBB284_1058
.LBB284_1057:                           ;   in Loop: Header=BB284_808 Depth=1
	v_bfe_u32 v6, v48, 16, 3
	v_ffbh_u32_e32 v12, v6
	v_bfe_u32 v7, v48, 19, 4
	v_min_u32_e32 v12, 32, v12
	v_subrev_u32_e32 v14, 28, v12
	v_sub_u32_e32 v12, 29, v12
	v_cmp_eq_u32_e64 s[0:1], 0, v7
	v_lshlrev_b64 v[14:15], v14, v[16:17]
	v_and_b32_e32 v14, 7, v14
	v_cndmask_b32_e64 v7, v7, v12, s[0:1]
	v_lshlrev_b32_e32 v12, 8, v16
	v_lshl_add_u32 v7, v7, 10, v57
	v_cndmask_b32_e64 v6, v6, v14, s[0:1]
	v_and_or_b32 v7, v12, s21, v7
	v_lshl_or_b32 v6, v6, 7, v7
	v_cvt_f32_f16_e32 v51, v6
.LBB284_1058:                           ;   in Loop: Header=BB284_808 Depth=1
	s_or_b64 exec, exec, s[6:7]
	v_lshrrev_b32_e32 v16, 24, v48
	v_cmp_lt_i16_e64 s[0:1], s17, v16
	s_mov_b64 s[6:7], 0
                                        ; implicit-def: $sgpr26
	s_and_saveexec_b64 s[8:9], s[0:1]
	s_xor_b64 s[8:9], exec, s[8:9]
	s_cbranch_execnz .LBB284_1452
; %bb.1059:                             ;   in Loop: Header=BB284_808 Depth=1
	s_or_saveexec_b64 s[8:9], s[8:9]
	v_mov_b32_e32 v53, s26
	s_xor_b64 exec, exec, s[8:9]
	s_cbranch_execnz .LBB284_1455
.LBB284_1060:                           ;   in Loop: Header=BB284_808 Depth=1
	s_or_b64 exec, exec, s[8:9]
	s_and_saveexec_b64 s[8:9], s[6:7]
	s_cbranch_execz .LBB284_1062
.LBB284_1061:                           ;   in Loop: Header=BB284_808 Depth=1
	v_bfe_u32 v6, v48, 24, 3
	v_ffbh_u32_e32 v12, v6
	v_bfe_u32 v7, v48, 27, 4
	v_min_u32_e32 v12, 32, v12
	v_subrev_u32_e32 v14, 28, v12
	v_sub_u32_e32 v12, 29, v12
	v_cmp_eq_u32_e64 s[0:1], 0, v7
	v_lshlrev_b64 v[14:15], v14, v[16:17]
	v_and_b32_e32 v14, 7, v14
	v_cndmask_b32_e64 v7, v7, v12, s[0:1]
	v_lshlrev_b32_e32 v12, 8, v16
	v_lshl_add_u32 v7, v7, 10, v57
	v_cndmask_b32_e64 v6, v6, v14, s[0:1]
	v_and_or_b32 v7, v12, s21, v7
	v_lshl_or_b32 v6, v6, 7, v7
	v_cvt_f32_f16_e32 v53, v6
.LBB284_1062:                           ;   in Loop: Header=BB284_808 Depth=1
	s_or_b64 exec, exec, s[8:9]
	v_cmp_gt_i16_sdwa s[6:7], v49, s17 src0_sel:BYTE_0 src1_sel:DWORD
	s_mov_b64 s[0:1], 0
                                        ; implicit-def: $sgpr18
	s_and_saveexec_b64 s[8:9], s[6:7]
	s_xor_b64 s[6:7], exec, s[8:9]
	s_cbranch_execnz .LBB284_1456
; %bb.1063:                             ;   in Loop: Header=BB284_808 Depth=1
	s_or_saveexec_b64 s[6:7], s[6:7]
	v_mov_b32_e32 v12, s18
	s_xor_b64 exec, exec, s[6:7]
	s_cbranch_execnz .LBB284_1459
.LBB284_1064:                           ;   in Loop: Header=BB284_808 Depth=1
	s_or_b64 exec, exec, s[6:7]
	v_mov_b32_e32 v16, v49
	s_and_saveexec_b64 s[6:7], s[0:1]
	s_cbranch_execz .LBB284_1066
.LBB284_1065:                           ;   in Loop: Header=BB284_808 Depth=1
	v_and_b32_e32 v6, 7, v49
	v_ffbh_u32_e32 v6, v6
	v_bfe_u32 v7, v49, 3, 4
	v_min_u32_e32 v6, 32, v6
	v_subrev_u32_e32 v12, 28, v6
	v_sub_u32_e32 v6, 29, v6
	v_cmp_eq_u32_e64 s[0:1], 0, v7
	s_nop 1
	v_cndmask_b32_e64 v6, v7, v6, s[0:1]
	v_cndmask_b32_e64 v7, 0, v12, s[0:1]
	v_lshlrev_b64 v[14:15], v7, v[16:17]
	v_lshlrev_b32_e32 v12, 8, v49
	v_lshl_add_u32 v6, v6, 10, v57
	v_lshlrev_b32_e32 v7, 7, v14
	v_and_or_b32 v6, v12, s21, v6
	v_and_or_b32 v6, v7, s22, v6
	v_cvt_f32_f16_e32 v12, v6
.LBB284_1066:                           ;   in Loop: Header=BB284_808 Depth=1
	s_or_b64 exec, exec, s[6:7]
	v_lshrrev_b16_e32 v16, 8, v16
	v_cmp_lt_i16_e64 s[0:1], s17, v16
	s_mov_b64 s[6:7], 0
                                        ; implicit-def: $sgpr26
	s_and_saveexec_b64 s[8:9], s[0:1]
	s_xor_b64 s[8:9], exec, s[8:9]
	s_cbranch_execnz .LBB284_1460
; %bb.1067:                             ;   in Loop: Header=BB284_808 Depth=1
	s_or_saveexec_b64 s[8:9], s[8:9]
	v_mov_b32_e32 v14, s26
	s_xor_b64 exec, exec, s[8:9]
	s_cbranch_execnz .LBB284_1463
.LBB284_1068:                           ;   in Loop: Header=BB284_808 Depth=1
	s_or_b64 exec, exec, s[8:9]
	s_and_saveexec_b64 s[8:9], s[6:7]
	s_cbranch_execz .LBB284_1070
.LBB284_1069:                           ;   in Loop: Header=BB284_808 Depth=1
	v_and_b32_e32 v6, 7, v16
	v_ffbh_u32_e32 v14, v6
	v_min_u32_e32 v22, 32, v14
	v_subrev_u32_e32 v14, 28, v22
	v_bfe_u32 v7, v16, 3, 4
	v_lshlrev_b64 v[14:15], v14, v[16:17]
	v_sub_u32_e32 v15, 29, v22
	v_cmp_eq_u32_e64 s[0:1], 0, v7
	v_and_b32_e32 v14, 7, v14
	s_nop 0
	v_cndmask_b32_e64 v7, v7, v15, s[0:1]
	v_cndmask_b32_e64 v6, v6, v14, s[0:1]
	v_lshlrev_b32_e32 v14, 8, v16
	v_lshl_add_u32 v7, v7, 10, v57
	v_and_or_b32 v7, v14, s21, v7
	v_lshl_or_b32 v6, v6, 7, v7
	v_cvt_f32_f16_e32 v14, v6
.LBB284_1070:                           ;   in Loop: Header=BB284_808 Depth=1
	s_or_b64 exec, exec, s[8:9]
	v_lshrrev_b32_e32 v16, 16, v49
	v_cmp_gt_i16_sdwa s[6:7], v16, s17 src0_sel:BYTE_0 src1_sel:DWORD
	s_mov_b64 s[0:1], 0
                                        ; implicit-def: $sgpr18
	s_and_saveexec_b64 s[8:9], s[6:7]
	s_xor_b64 s[6:7], exec, s[8:9]
	s_cbranch_execnz .LBB284_1464
; %bb.1071:                             ;   in Loop: Header=BB284_808 Depth=1
	s_or_saveexec_b64 s[6:7], s[6:7]
	v_mov_b32_e32 v15, s18
	s_xor_b64 exec, exec, s[6:7]
	s_cbranch_execnz .LBB284_1467
.LBB284_1072:                           ;   in Loop: Header=BB284_808 Depth=1
	s_or_b64 exec, exec, s[6:7]
	s_and_saveexec_b64 s[6:7], s[0:1]
	s_cbranch_execz .LBB284_1074
.LBB284_1073:                           ;   in Loop: Header=BB284_808 Depth=1
	v_bfe_u32 v6, v49, 16, 3
	v_ffbh_u32_e32 v15, v6
	v_bfe_u32 v7, v49, 19, 4
	v_min_u32_e32 v15, 32, v15
	v_subrev_u32_e32 v22, 28, v15
	v_sub_u32_e32 v15, 29, v15
	v_cmp_eq_u32_e64 s[0:1], 0, v7
	v_lshlrev_b64 v[22:23], v22, v[16:17]
	v_and_b32_e32 v22, 7, v22
	v_cndmask_b32_e64 v7, v7, v15, s[0:1]
	v_lshlrev_b32_e32 v15, 8, v16
	v_lshl_add_u32 v7, v7, 10, v57
	v_cndmask_b32_e64 v6, v6, v22, s[0:1]
	v_and_or_b32 v7, v15, s21, v7
	v_lshl_or_b32 v6, v6, 7, v7
	v_cvt_f32_f16_e32 v15, v6
.LBB284_1074:                           ;   in Loop: Header=BB284_808 Depth=1
	s_or_b64 exec, exec, s[6:7]
	v_lshrrev_b32_e32 v16, 24, v49
	v_cmp_lt_i16_e64 s[0:1], s17, v16
	s_mov_b64 s[6:7], 0
                                        ; implicit-def: $sgpr26
	s_and_saveexec_b64 s[8:9], s[0:1]
	s_xor_b64 s[8:9], exec, s[8:9]
	s_cbranch_execnz .LBB284_1468
; %bb.1075:                             ;   in Loop: Header=BB284_808 Depth=1
	s_or_saveexec_b64 s[8:9], s[8:9]
	v_mov_b32_e32 v23, s26
	s_xor_b64 exec, exec, s[8:9]
	s_cbranch_execnz .LBB284_1471
.LBB284_1076:                           ;   in Loop: Header=BB284_808 Depth=1
	s_or_b64 exec, exec, s[8:9]
	s_and_saveexec_b64 s[8:9], s[6:7]
	s_cbranch_execz .LBB284_1078
.LBB284_1077:                           ;   in Loop: Header=BB284_808 Depth=1
	v_bfe_u32 v6, v49, 24, 3
	v_ffbh_u32_e32 v22, v6
	v_min_u32_e32 v36, 32, v22
	v_subrev_u32_e32 v22, 28, v36
	v_bfe_u32 v7, v49, 27, 4
	v_lshlrev_b64 v[22:23], v22, v[16:17]
	v_sub_u32_e32 v23, 29, v36
	v_cmp_eq_u32_e64 s[0:1], 0, v7
	v_and_b32_e32 v22, 7, v22
	v_lshlrev_b32_e32 v16, 8, v16
	v_cndmask_b32_e64 v7, v7, v23, s[0:1]
	v_lshl_add_u32 v7, v7, 10, v57
	v_cndmask_b32_e64 v6, v6, v22, s[0:1]
	v_and_or_b32 v7, v16, s21, v7
	v_lshl_or_b32 v6, v6, 7, v7
	v_cvt_f32_f16_e32 v23, v6
.LBB284_1078:                           ;   in Loop: Header=BB284_808 Depth=1
	s_or_b64 exec, exec, s[8:9]
	v_pk_mul_f32 v[36:37], v[38:39], v[52:53] op_sel_hi:[0,1]
	v_pk_mul_f32 v[48:49], v[38:39], v[50:51] op_sel_hi:[0,1]
	v_cvt_f16_f32_e32 v6, v37
	v_cvt_f16_f32_e32 v7, v36
	;; [unrolled: 1-line block ×4, first 2 shown]
	v_fma_mixlo_f16 v15, v38, v15, 0
	v_pack_b32_f16 v6, v7, v6
	v_pack_b32_f16 v7, v22, v16
	v_perm_b32 v16, v7, v6, s23
	v_perm_b32 v22, v7, v6, s24
	v_fma_mixlo_f16 v6, v38, v14, 0
	v_lshlrev_b32_e32 v6, 16, v6
	v_fma_mixlo_f16 v7, v38, v12, 0
	v_or_b32_sdwa v12, v6, v7 dst_sel:DWORD dst_unused:UNUSED_PAD src0_sel:DWORD src1_sel:WORD_0
	v_fma_mixlo_f16 v6, v38, v23, 0
	v_lshlrev_b32_e32 v6, 16, v6
	v_or_b32_sdwa v14, v6, v15 dst_sel:DWORD dst_unused:UNUSED_PAD src0_sel:DWORD src1_sel:WORD_0
	s_and_saveexec_b64 s[6:7], vcc
	s_cbranch_execz .LBB284_1080
; %bb.1079:                             ;   in Loop: Header=BB284_808 Depth=1
	v_lshrrev_b32_e32 v6, 16, v22
	v_cmp_lt_i32_e64 s[0:1], v44, v13
	v_accvgpr_read_b32 v36, a8
	s_nop 0
	v_cndmask_b32_e64 v6, 0, v6, s[0:1]
	v_cmp_lt_i32_e64 s[0:1], v19, v36
	s_nop 1
	v_cndmask_b32_e64 v7, 0, v22, s[0:1]
	v_perm_b32 v22, v6, v7, s25
	v_lshrrev_b32_e32 v6, 16, v16
	v_cmp_lt_i32_e64 s[0:1], v46, v13
	s_nop 1
	v_cndmask_b32_e64 v6, 0, v6, s[0:1]
	v_cmp_lt_i32_e64 s[0:1], v62, v36
	s_nop 1
	v_cndmask_b32_e64 v7, 0, v16, s[0:1]
	v_perm_b32 v16, v6, v7, s25
	v_lshrrev_b32_e32 v6, 16, v12
	v_cmp_lt_i32_e64 s[0:1], v61, v13
	;; [unrolled: 8-line block ×3, first 2 shown]
	s_nop 1
	v_cndmask_b32_e64 v6, 0, v6, s[0:1]
	v_cmp_lt_i32_e64 s[0:1], v58, v36
	s_nop 1
	v_cndmask_b32_e64 v7, 0, v15, s[0:1]
	v_perm_b32 v14, v6, v7, s25
.LBB284_1080:                           ;   in Loop: Header=BB284_808 Depth=1
	s_or_b64 exec, exec, s[6:7]
	;;#ASMSTART
	v_pk_mul_f16 v6, v40, v22;

	;;#ASMEND
	;;#ASMSTART
	v_pk_mul_f16 v7, v1, v16;

	;;#ASMEND
	;; [unrolled: 4-line block ×4, first 2 shown]
	s_mov_b64 s[0:1], 0
	;;#ASMSTART
	v_pk_add_f16 v6, v6, v7;

	;;#ASMEND
                                        ; implicit-def: $sgpr18
	s_nop 0
	;;#ASMSTART
	v_pk_add_f16 v6, v6, v12;

	;;#ASMEND
	s_nop 0
	;;#ASMSTART
	v_pk_add_f16 v6, v6, v14;

	;;#ASMEND
	s_nop 0
	v_lshrrev_b32_e32 v7, 16, v6
	v_and_b32_e32 v6, 0xffff, v6
	;;#ASMSTART
	v_cvt_f32_f16 v42, v6;
	;;#ASMEND
	;;#ASMSTART
	v_cvt_f32_f16 v36, v7;
	;;#ASMEND
	v_accvgpr_read_b32 v6, a18
	v_accvgpr_read_b32 v7, a19
	v_lshl_add_u64 v[14:15], v[10:11], 0, v[6:7]
	v_accvgpr_read_b32 v7, a5
	flat_load_dwordx2 v[48:49], v[14:15]
	v_accvgpr_read_b32 v6, a4
	flat_load_dword v38, v[6:7]
	s_waitcnt vmcnt(0) lgkmcnt(0)
	v_cmp_gt_i16_sdwa s[6:7], v48, s17 src0_sel:BYTE_0 src1_sel:DWORD
	s_and_saveexec_b64 s[8:9], s[6:7]
	s_xor_b64 s[6:7], exec, s[8:9]
	s_cbranch_execnz .LBB284_1472
; %bb.1081:                             ;   in Loop: Header=BB284_808 Depth=1
	s_or_saveexec_b64 s[6:7], s[6:7]
	v_mov_b32_e32 v50, s18
	s_xor_b64 exec, exec, s[6:7]
	s_cbranch_execnz .LBB284_1475
.LBB284_1082:                           ;   in Loop: Header=BB284_808 Depth=1
	s_or_b64 exec, exec, s[6:7]
	s_and_saveexec_b64 s[6:7], s[0:1]
	s_cbranch_execz .LBB284_1084
.LBB284_1083:                           ;   in Loop: Header=BB284_808 Depth=1
	v_and_b32_e32 v6, 7, v48
	v_ffbh_u32_e32 v6, v6
	v_bfe_u32 v7, v48, 3, 4
	v_min_u32_e32 v6, 32, v6
	v_subrev_u32_e32 v12, 28, v6
	v_sub_u32_e32 v6, 29, v6
	v_cmp_eq_u32_e64 s[0:1], 0, v7
	s_nop 1
	v_cndmask_b32_e64 v6, v7, v6, s[0:1]
	v_cndmask_b32_e64 v7, 0, v12, s[0:1]
	v_lshlrev_b64 v[14:15], v7, v[48:49]
	v_lshlrev_b32_e32 v12, 8, v48
	v_lshl_add_u32 v6, v6, 10, v57
	v_lshlrev_b32_e32 v7, 7, v14
	v_and_or_b32 v6, v12, s21, v6
	v_and_or_b32 v6, v7, s22, v6
	v_cvt_f32_f16_e32 v50, v6
.LBB284_1084:                           ;   in Loop: Header=BB284_808 Depth=1
	s_or_b64 exec, exec, s[6:7]
	v_lshrrev_b16_e32 v16, 8, v48
	v_cmp_lt_i16_e64 s[0:1], s17, v16
	s_mov_b64 s[6:7], 0
                                        ; implicit-def: $sgpr26
	s_and_saveexec_b64 s[8:9], s[0:1]
	s_xor_b64 s[8:9], exec, s[8:9]
	s_cbranch_execnz .LBB284_1476
; %bb.1085:                             ;   in Loop: Header=BB284_808 Depth=1
	s_or_saveexec_b64 s[8:9], s[8:9]
	v_mov_b32_e32 v52, s26
	s_xor_b64 exec, exec, s[8:9]
	s_cbranch_execnz .LBB284_1479
.LBB284_1086:                           ;   in Loop: Header=BB284_808 Depth=1
	s_or_b64 exec, exec, s[8:9]
	s_and_saveexec_b64 s[8:9], s[6:7]
	s_cbranch_execz .LBB284_1088
.LBB284_1087:                           ;   in Loop: Header=BB284_808 Depth=1
	v_and_b32_e32 v6, 7, v16
	v_ffbh_u32_e32 v12, v6
	v_bfe_u32 v7, v16, 3, 4
	v_min_u32_e32 v12, 32, v12
	v_subrev_u32_e32 v14, 28, v12
	v_sub_u32_e32 v12, 29, v12
	v_cmp_eq_u32_e64 s[0:1], 0, v7
	v_lshlrev_b64 v[14:15], v14, v[16:17]
	v_and_b32_e32 v14, 7, v14
	v_cndmask_b32_e64 v7, v7, v12, s[0:1]
	v_lshlrev_b32_e32 v12, 8, v16
	v_lshl_add_u32 v7, v7, 10, v57
	v_cndmask_b32_e64 v6, v6, v14, s[0:1]
	v_and_or_b32 v7, v12, s21, v7
	v_lshl_or_b32 v6, v6, 7, v7
	v_cvt_f32_f16_e32 v52, v6
.LBB284_1088:                           ;   in Loop: Header=BB284_808 Depth=1
	s_or_b64 exec, exec, s[8:9]
	v_lshrrev_b32_e32 v16, 16, v48
	v_cmp_gt_i16_sdwa s[6:7], v16, s17 src0_sel:BYTE_0 src1_sel:DWORD
	s_mov_b64 s[0:1], 0
                                        ; implicit-def: $sgpr18
	s_and_saveexec_b64 s[8:9], s[6:7]
	s_xor_b64 s[6:7], exec, s[8:9]
	s_cbranch_execnz .LBB284_1480
; %bb.1089:                             ;   in Loop: Header=BB284_808 Depth=1
	s_or_saveexec_b64 s[6:7], s[6:7]
	v_mov_b32_e32 v51, s18
	s_xor_b64 exec, exec, s[6:7]
	s_cbranch_execnz .LBB284_1483
.LBB284_1090:                           ;   in Loop: Header=BB284_808 Depth=1
	s_or_b64 exec, exec, s[6:7]
	s_and_saveexec_b64 s[6:7], s[0:1]
	s_cbranch_execz .LBB284_1092
.LBB284_1091:                           ;   in Loop: Header=BB284_808 Depth=1
	v_bfe_u32 v6, v48, 16, 3
	v_ffbh_u32_e32 v12, v6
	v_bfe_u32 v7, v48, 19, 4
	v_min_u32_e32 v12, 32, v12
	v_subrev_u32_e32 v14, 28, v12
	v_sub_u32_e32 v12, 29, v12
	v_cmp_eq_u32_e64 s[0:1], 0, v7
	v_lshlrev_b64 v[14:15], v14, v[16:17]
	v_and_b32_e32 v14, 7, v14
	v_cndmask_b32_e64 v7, v7, v12, s[0:1]
	v_lshlrev_b32_e32 v12, 8, v16
	v_lshl_add_u32 v7, v7, 10, v57
	v_cndmask_b32_e64 v6, v6, v14, s[0:1]
	v_and_or_b32 v7, v12, s21, v7
	v_lshl_or_b32 v6, v6, 7, v7
	v_cvt_f32_f16_e32 v51, v6
.LBB284_1092:                           ;   in Loop: Header=BB284_808 Depth=1
	s_or_b64 exec, exec, s[6:7]
	v_lshrrev_b32_e32 v16, 24, v48
	v_cmp_lt_i16_e64 s[0:1], s17, v16
	s_mov_b64 s[6:7], 0
                                        ; implicit-def: $sgpr26
	s_and_saveexec_b64 s[8:9], s[0:1]
	s_xor_b64 s[8:9], exec, s[8:9]
	s_cbranch_execnz .LBB284_1484
; %bb.1093:                             ;   in Loop: Header=BB284_808 Depth=1
	s_or_saveexec_b64 s[8:9], s[8:9]
	v_mov_b32_e32 v53, s26
	s_xor_b64 exec, exec, s[8:9]
	s_cbranch_execnz .LBB284_1487
.LBB284_1094:                           ;   in Loop: Header=BB284_808 Depth=1
	s_or_b64 exec, exec, s[8:9]
	s_and_saveexec_b64 s[8:9], s[6:7]
	s_cbranch_execz .LBB284_1096
.LBB284_1095:                           ;   in Loop: Header=BB284_808 Depth=1
	v_bfe_u32 v6, v48, 24, 3
	v_ffbh_u32_e32 v12, v6
	v_bfe_u32 v7, v48, 27, 4
	v_min_u32_e32 v12, 32, v12
	v_subrev_u32_e32 v14, 28, v12
	v_sub_u32_e32 v12, 29, v12
	v_cmp_eq_u32_e64 s[0:1], 0, v7
	v_lshlrev_b64 v[14:15], v14, v[16:17]
	v_and_b32_e32 v14, 7, v14
	v_cndmask_b32_e64 v7, v7, v12, s[0:1]
	v_lshlrev_b32_e32 v12, 8, v16
	v_lshl_add_u32 v7, v7, 10, v57
	v_cndmask_b32_e64 v6, v6, v14, s[0:1]
	v_and_or_b32 v7, v12, s21, v7
	v_lshl_or_b32 v6, v6, 7, v7
	v_cvt_f32_f16_e32 v53, v6
.LBB284_1096:                           ;   in Loop: Header=BB284_808 Depth=1
	s_or_b64 exec, exec, s[8:9]
	v_cmp_gt_i16_sdwa s[6:7], v49, s17 src0_sel:BYTE_0 src1_sel:DWORD
	s_mov_b64 s[0:1], 0
                                        ; implicit-def: $sgpr18
	s_and_saveexec_b64 s[8:9], s[6:7]
	s_xor_b64 s[6:7], exec, s[8:9]
	s_cbranch_execnz .LBB284_1488
; %bb.1097:                             ;   in Loop: Header=BB284_808 Depth=1
	s_or_saveexec_b64 s[6:7], s[6:7]
	v_mov_b32_e32 v12, s18
	s_xor_b64 exec, exec, s[6:7]
	s_cbranch_execnz .LBB284_1491
.LBB284_1098:                           ;   in Loop: Header=BB284_808 Depth=1
	s_or_b64 exec, exec, s[6:7]
	v_mov_b32_e32 v16, v49
	s_and_saveexec_b64 s[6:7], s[0:1]
	s_cbranch_execz .LBB284_1100
.LBB284_1099:                           ;   in Loop: Header=BB284_808 Depth=1
	v_and_b32_e32 v6, 7, v49
	v_ffbh_u32_e32 v6, v6
	v_bfe_u32 v7, v49, 3, 4
	v_min_u32_e32 v6, 32, v6
	v_subrev_u32_e32 v12, 28, v6
	v_sub_u32_e32 v6, 29, v6
	v_cmp_eq_u32_e64 s[0:1], 0, v7
	s_nop 1
	v_cndmask_b32_e64 v6, v7, v6, s[0:1]
	v_cndmask_b32_e64 v7, 0, v12, s[0:1]
	v_lshlrev_b64 v[14:15], v7, v[16:17]
	v_lshlrev_b32_e32 v12, 8, v49
	v_lshl_add_u32 v6, v6, 10, v57
	v_lshlrev_b32_e32 v7, 7, v14
	v_and_or_b32 v6, v12, s21, v6
	v_and_or_b32 v6, v7, s22, v6
	v_cvt_f32_f16_e32 v12, v6
.LBB284_1100:                           ;   in Loop: Header=BB284_808 Depth=1
	s_or_b64 exec, exec, s[6:7]
	v_lshrrev_b16_e32 v16, 8, v16
	v_cmp_lt_i16_e64 s[0:1], s17, v16
	s_mov_b64 s[6:7], 0
                                        ; implicit-def: $sgpr26
	s_and_saveexec_b64 s[8:9], s[0:1]
	s_xor_b64 s[8:9], exec, s[8:9]
	s_cbranch_execnz .LBB284_1492
; %bb.1101:                             ;   in Loop: Header=BB284_808 Depth=1
	s_or_saveexec_b64 s[8:9], s[8:9]
	v_mov_b32_e32 v14, s26
	s_xor_b64 exec, exec, s[8:9]
	s_cbranch_execnz .LBB284_1495
.LBB284_1102:                           ;   in Loop: Header=BB284_808 Depth=1
	s_or_b64 exec, exec, s[8:9]
	s_and_saveexec_b64 s[8:9], s[6:7]
	s_cbranch_execz .LBB284_1104
.LBB284_1103:                           ;   in Loop: Header=BB284_808 Depth=1
	v_and_b32_e32 v6, 7, v16
	v_ffbh_u32_e32 v14, v6
	v_min_u32_e32 v22, 32, v14
	v_subrev_u32_e32 v14, 28, v22
	v_bfe_u32 v7, v16, 3, 4
	v_lshlrev_b64 v[14:15], v14, v[16:17]
	v_sub_u32_e32 v15, 29, v22
	v_cmp_eq_u32_e64 s[0:1], 0, v7
	v_and_b32_e32 v14, 7, v14
	s_nop 0
	v_cndmask_b32_e64 v7, v7, v15, s[0:1]
	v_cndmask_b32_e64 v6, v6, v14, s[0:1]
	v_lshlrev_b32_e32 v14, 8, v16
	v_lshl_add_u32 v7, v7, 10, v57
	v_and_or_b32 v7, v14, s21, v7
	v_lshl_or_b32 v6, v6, 7, v7
	v_cvt_f32_f16_e32 v14, v6
.LBB284_1104:                           ;   in Loop: Header=BB284_808 Depth=1
	s_or_b64 exec, exec, s[8:9]
	v_lshrrev_b32_e32 v16, 16, v49
	v_cmp_gt_i16_sdwa s[6:7], v16, s17 src0_sel:BYTE_0 src1_sel:DWORD
	s_mov_b64 s[0:1], 0
                                        ; implicit-def: $sgpr18
	s_and_saveexec_b64 s[8:9], s[6:7]
	s_xor_b64 s[6:7], exec, s[8:9]
	s_cbranch_execnz .LBB284_1496
; %bb.1105:                             ;   in Loop: Header=BB284_808 Depth=1
	s_or_saveexec_b64 s[6:7], s[6:7]
	v_mov_b32_e32 v15, s18
	s_xor_b64 exec, exec, s[6:7]
	s_cbranch_execnz .LBB284_1499
.LBB284_1106:                           ;   in Loop: Header=BB284_808 Depth=1
	s_or_b64 exec, exec, s[6:7]
	s_and_saveexec_b64 s[6:7], s[0:1]
	s_cbranch_execz .LBB284_1108
.LBB284_1107:                           ;   in Loop: Header=BB284_808 Depth=1
	v_bfe_u32 v6, v49, 16, 3
	v_ffbh_u32_e32 v15, v6
	v_bfe_u32 v7, v49, 19, 4
	v_min_u32_e32 v15, 32, v15
	v_subrev_u32_e32 v22, 28, v15
	v_sub_u32_e32 v15, 29, v15
	v_cmp_eq_u32_e64 s[0:1], 0, v7
	v_lshlrev_b64 v[22:23], v22, v[16:17]
	v_and_b32_e32 v22, 7, v22
	v_cndmask_b32_e64 v7, v7, v15, s[0:1]
	v_lshlrev_b32_e32 v15, 8, v16
	v_lshl_add_u32 v7, v7, 10, v57
	v_cndmask_b32_e64 v6, v6, v22, s[0:1]
	v_and_or_b32 v7, v15, s21, v7
	v_lshl_or_b32 v6, v6, 7, v7
	v_cvt_f32_f16_e32 v15, v6
.LBB284_1108:                           ;   in Loop: Header=BB284_808 Depth=1
	s_or_b64 exec, exec, s[6:7]
	v_lshrrev_b32_e32 v16, 24, v49
	v_cmp_lt_i16_e64 s[0:1], s17, v16
	s_mov_b64 s[6:7], 0
                                        ; implicit-def: $sgpr26
	s_and_saveexec_b64 s[8:9], s[0:1]
	s_xor_b64 s[8:9], exec, s[8:9]
	s_cbranch_execnz .LBB284_1500
; %bb.1109:                             ;   in Loop: Header=BB284_808 Depth=1
	s_or_saveexec_b64 s[8:9], s[8:9]
	v_mov_b32_e32 v23, s26
	s_xor_b64 exec, exec, s[8:9]
	s_cbranch_execnz .LBB284_1503
.LBB284_1110:                           ;   in Loop: Header=BB284_808 Depth=1
	s_or_b64 exec, exec, s[8:9]
	s_and_saveexec_b64 s[8:9], s[6:7]
	s_cbranch_execz .LBB284_1112
.LBB284_1111:                           ;   in Loop: Header=BB284_808 Depth=1
	v_bfe_u32 v6, v49, 24, 3
	v_ffbh_u32_e32 v22, v6
	v_min_u32_e32 v37, 32, v22
	v_subrev_u32_e32 v22, 28, v37
	v_bfe_u32 v7, v49, 27, 4
	v_lshlrev_b64 v[22:23], v22, v[16:17]
	v_sub_u32_e32 v23, 29, v37
	v_cmp_eq_u32_e64 s[0:1], 0, v7
	v_and_b32_e32 v22, 7, v22
	v_lshlrev_b32_e32 v16, 8, v16
	v_cndmask_b32_e64 v7, v7, v23, s[0:1]
	v_lshl_add_u32 v7, v7, 10, v57
	v_cndmask_b32_e64 v6, v6, v22, s[0:1]
	v_and_or_b32 v7, v16, s21, v7
	v_lshl_or_b32 v6, v6, 7, v7
	v_cvt_f32_f16_e32 v23, v6
.LBB284_1112:                           ;   in Loop: Header=BB284_808 Depth=1
	s_or_b64 exec, exec, s[8:9]
	v_pk_mul_f32 v[48:49], v[38:39], v[52:53] op_sel_hi:[0,1]
	v_pk_mul_f32 v[50:51], v[38:39], v[50:51] op_sel_hi:[0,1]
	v_cvt_f16_f32_e32 v6, v49
	v_cvt_f16_f32_e32 v7, v48
	;; [unrolled: 1-line block ×4, first 2 shown]
	v_fma_mixlo_f16 v15, v38, v15, 0
	v_pack_b32_f16 v6, v7, v6
	v_pack_b32_f16 v7, v22, v16
	v_perm_b32 v16, v7, v6, s23
	v_perm_b32 v22, v7, v6, s24
	v_fma_mixlo_f16 v6, v38, v14, 0
	v_lshlrev_b32_e32 v6, 16, v6
	v_fma_mixlo_f16 v7, v38, v12, 0
	v_or_b32_sdwa v12, v6, v7 dst_sel:DWORD dst_unused:UNUSED_PAD src0_sel:DWORD src1_sel:WORD_0
	v_fma_mixlo_f16 v6, v38, v23, 0
	v_lshlrev_b32_e32 v6, 16, v6
	v_or_b32_sdwa v14, v6, v15 dst_sel:DWORD dst_unused:UNUSED_PAD src0_sel:DWORD src1_sel:WORD_0
	s_and_saveexec_b64 s[6:7], vcc
	s_cbranch_execz .LBB284_1114
; %bb.1113:                             ;   in Loop: Header=BB284_808 Depth=1
	v_lshrrev_b32_e32 v6, 16, v22
	v_cmp_lt_i32_e64 s[0:1], v44, v13
	v_accvgpr_read_b32 v38, a8
	s_nop 0
	v_cndmask_b32_e64 v6, 0, v6, s[0:1]
	v_cmp_lt_i32_e64 s[0:1], v19, v38
	s_nop 1
	v_cndmask_b32_e64 v7, 0, v22, s[0:1]
	v_perm_b32 v22, v6, v7, s25
	v_lshrrev_b32_e32 v6, 16, v16
	v_cmp_lt_i32_e64 s[0:1], v46, v13
	s_nop 1
	v_cndmask_b32_e64 v6, 0, v6, s[0:1]
	v_cmp_lt_i32_e64 s[0:1], v62, v38
	s_nop 1
	v_cndmask_b32_e64 v7, 0, v16, s[0:1]
	v_perm_b32 v16, v6, v7, s25
	v_lshrrev_b32_e32 v6, 16, v12
	v_cmp_lt_i32_e64 s[0:1], v61, v13
	;; [unrolled: 8-line block ×3, first 2 shown]
	s_nop 1
	v_cndmask_b32_e64 v6, 0, v6, s[0:1]
	v_cmp_lt_i32_e64 s[0:1], v58, v38
	s_nop 1
	v_cndmask_b32_e64 v7, 0, v15, s[0:1]
	v_perm_b32 v14, v6, v7, s25
.LBB284_1114:                           ;   in Loop: Header=BB284_808 Depth=1
	s_or_b64 exec, exec, s[6:7]
	;;#ASMSTART
	v_pk_mul_f16 v6, v40, v22;

	;;#ASMEND
	;;#ASMSTART
	v_pk_mul_f16 v7, v1, v16;

	;;#ASMEND
	;; [unrolled: 4-line block ×4, first 2 shown]
	s_mov_b64 s[0:1], 0
	;;#ASMSTART
	v_pk_add_f16 v6, v6, v7;

	;;#ASMEND
                                        ; implicit-def: $sgpr18
	s_nop 0
	;;#ASMSTART
	v_pk_add_f16 v6, v6, v12;

	;;#ASMEND
	s_nop 0
	;;#ASMSTART
	v_pk_add_f16 v6, v6, v14;

	;;#ASMEND
	s_nop 0
	v_lshrrev_b32_e32 v7, 16, v6
	v_and_b32_e32 v6, 0xffff, v6
	;;#ASMSTART
	v_cvt_f32_f16 v37, v6;
	;;#ASMEND
	;;#ASMSTART
	v_cvt_f32_f16 v14, v7;
	;;#ASMEND
	v_accvgpr_read_b32 v6, a20
	v_accvgpr_read_b32 v7, a21
	v_lshl_add_u64 v[22:23], v[10:11], 0, v[6:7]
	v_accvgpr_read_b32 v7, a5
	flat_load_dwordx2 v[48:49], v[22:23]
	v_accvgpr_read_b32 v6, a4
	flat_load_dword v38, v[6:7]
	s_waitcnt vmcnt(0) lgkmcnt(0)
	v_cmp_gt_i16_sdwa s[6:7], v48, s17 src0_sel:BYTE_0 src1_sel:DWORD
	s_and_saveexec_b64 s[8:9], s[6:7]
	s_xor_b64 s[6:7], exec, s[8:9]
	s_cbranch_execnz .LBB284_1504
; %bb.1115:                             ;   in Loop: Header=BB284_808 Depth=1
	s_or_saveexec_b64 s[6:7], s[6:7]
	v_mov_b32_e32 v50, s18
	s_xor_b64 exec, exec, s[6:7]
	s_cbranch_execnz .LBB284_1507
.LBB284_1116:                           ;   in Loop: Header=BB284_808 Depth=1
	s_or_b64 exec, exec, s[6:7]
	s_and_saveexec_b64 s[6:7], s[0:1]
	s_cbranch_execz .LBB284_1118
.LBB284_1117:                           ;   in Loop: Header=BB284_808 Depth=1
	v_and_b32_e32 v6, 7, v48
	v_ffbh_u32_e32 v6, v6
	v_bfe_u32 v7, v48, 3, 4
	v_min_u32_e32 v6, 32, v6
	v_subrev_u32_e32 v12, 28, v6
	v_sub_u32_e32 v6, 29, v6
	v_cmp_eq_u32_e64 s[0:1], 0, v7
	s_nop 1
	v_cndmask_b32_e64 v6, v7, v6, s[0:1]
	v_cndmask_b32_e64 v7, 0, v12, s[0:1]
	v_lshlrev_b64 v[22:23], v7, v[48:49]
	v_lshlrev_b32_e32 v12, 8, v48
	v_lshl_add_u32 v6, v6, 10, v57
	v_lshlrev_b32_e32 v7, 7, v22
	v_and_or_b32 v6, v12, s21, v6
	v_and_or_b32 v6, v7, s22, v6
	v_cvt_f32_f16_e32 v50, v6
.LBB284_1118:                           ;   in Loop: Header=BB284_808 Depth=1
	s_or_b64 exec, exec, s[6:7]
	v_lshrrev_b16_e32 v16, 8, v48
	v_cmp_lt_i16_e64 s[0:1], s17, v16
	s_mov_b64 s[6:7], 0
                                        ; implicit-def: $sgpr26
	s_and_saveexec_b64 s[8:9], s[0:1]
	s_xor_b64 s[8:9], exec, s[8:9]
	s_cbranch_execnz .LBB284_1508
; %bb.1119:                             ;   in Loop: Header=BB284_808 Depth=1
	s_or_saveexec_b64 s[8:9], s[8:9]
	v_mov_b32_e32 v52, s26
	s_xor_b64 exec, exec, s[8:9]
	s_cbranch_execnz .LBB284_1511
.LBB284_1120:                           ;   in Loop: Header=BB284_808 Depth=1
	s_or_b64 exec, exec, s[8:9]
	s_and_saveexec_b64 s[8:9], s[6:7]
	s_cbranch_execz .LBB284_1122
.LBB284_1121:                           ;   in Loop: Header=BB284_808 Depth=1
	v_and_b32_e32 v6, 7, v16
	v_ffbh_u32_e32 v12, v6
	v_bfe_u32 v7, v16, 3, 4
	v_min_u32_e32 v12, 32, v12
	v_subrev_u32_e32 v15, 28, v12
	v_sub_u32_e32 v12, 29, v12
	v_cmp_eq_u32_e64 s[0:1], 0, v7
	v_lshlrev_b64 v[22:23], v15, v[16:17]
	v_and_b32_e32 v15, 7, v22
	v_cndmask_b32_e64 v7, v7, v12, s[0:1]
	v_lshlrev_b32_e32 v12, 8, v16
	v_lshl_add_u32 v7, v7, 10, v57
	v_cndmask_b32_e64 v6, v6, v15, s[0:1]
	v_and_or_b32 v7, v12, s21, v7
	v_lshl_or_b32 v6, v6, 7, v7
	v_cvt_f32_f16_e32 v52, v6
.LBB284_1122:                           ;   in Loop: Header=BB284_808 Depth=1
	s_or_b64 exec, exec, s[8:9]
	v_lshrrev_b32_e32 v16, 16, v48
	v_cmp_gt_i16_sdwa s[6:7], v16, s17 src0_sel:BYTE_0 src1_sel:DWORD
	s_mov_b64 s[0:1], 0
                                        ; implicit-def: $sgpr18
	s_and_saveexec_b64 s[8:9], s[6:7]
	s_xor_b64 s[6:7], exec, s[8:9]
	s_cbranch_execnz .LBB284_1512
; %bb.1123:                             ;   in Loop: Header=BB284_808 Depth=1
	s_or_saveexec_b64 s[6:7], s[6:7]
	v_mov_b32_e32 v51, s18
	s_xor_b64 exec, exec, s[6:7]
	s_cbranch_execnz .LBB284_1515
.LBB284_1124:                           ;   in Loop: Header=BB284_808 Depth=1
	s_or_b64 exec, exec, s[6:7]
	s_and_saveexec_b64 s[6:7], s[0:1]
	s_cbranch_execz .LBB284_1126
.LBB284_1125:                           ;   in Loop: Header=BB284_808 Depth=1
	v_bfe_u32 v6, v48, 16, 3
	v_ffbh_u32_e32 v12, v6
	v_bfe_u32 v7, v48, 19, 4
	v_min_u32_e32 v12, 32, v12
	v_subrev_u32_e32 v15, 28, v12
	v_sub_u32_e32 v12, 29, v12
	v_cmp_eq_u32_e64 s[0:1], 0, v7
	v_lshlrev_b64 v[22:23], v15, v[16:17]
	v_and_b32_e32 v15, 7, v22
	v_cndmask_b32_e64 v7, v7, v12, s[0:1]
	v_lshlrev_b32_e32 v12, 8, v16
	v_lshl_add_u32 v7, v7, 10, v57
	v_cndmask_b32_e64 v6, v6, v15, s[0:1]
	v_and_or_b32 v7, v12, s21, v7
	v_lshl_or_b32 v6, v6, 7, v7
	v_cvt_f32_f16_e32 v51, v6
.LBB284_1126:                           ;   in Loop: Header=BB284_808 Depth=1
	s_or_b64 exec, exec, s[6:7]
	v_lshrrev_b32_e32 v16, 24, v48
	v_cmp_lt_i16_e64 s[0:1], s17, v16
	s_mov_b64 s[6:7], 0
                                        ; implicit-def: $sgpr26
	s_and_saveexec_b64 s[8:9], s[0:1]
	s_xor_b64 s[8:9], exec, s[8:9]
	s_cbranch_execnz .LBB284_1516
; %bb.1127:                             ;   in Loop: Header=BB284_808 Depth=1
	s_or_saveexec_b64 s[8:9], s[8:9]
	v_mov_b32_e32 v53, s26
	s_xor_b64 exec, exec, s[8:9]
	s_cbranch_execnz .LBB284_1519
.LBB284_1128:                           ;   in Loop: Header=BB284_808 Depth=1
	s_or_b64 exec, exec, s[8:9]
	s_and_saveexec_b64 s[8:9], s[6:7]
	s_cbranch_execz .LBB284_1130
.LBB284_1129:                           ;   in Loop: Header=BB284_808 Depth=1
	v_bfe_u32 v6, v48, 24, 3
	v_ffbh_u32_e32 v12, v6
	v_bfe_u32 v7, v48, 27, 4
	v_min_u32_e32 v12, 32, v12
	v_subrev_u32_e32 v15, 28, v12
	v_sub_u32_e32 v12, 29, v12
	v_cmp_eq_u32_e64 s[0:1], 0, v7
	v_lshlrev_b64 v[22:23], v15, v[16:17]
	v_and_b32_e32 v15, 7, v22
	v_cndmask_b32_e64 v7, v7, v12, s[0:1]
	v_lshlrev_b32_e32 v12, 8, v16
	v_lshl_add_u32 v7, v7, 10, v57
	v_cndmask_b32_e64 v6, v6, v15, s[0:1]
	v_and_or_b32 v7, v12, s21, v7
	v_lshl_or_b32 v6, v6, 7, v7
	v_cvt_f32_f16_e32 v53, v6
.LBB284_1130:                           ;   in Loop: Header=BB284_808 Depth=1
	s_or_b64 exec, exec, s[8:9]
	v_cmp_gt_i16_sdwa s[6:7], v49, s17 src0_sel:BYTE_0 src1_sel:DWORD
	s_mov_b64 s[0:1], 0
                                        ; implicit-def: $sgpr18
	s_and_saveexec_b64 s[8:9], s[6:7]
	s_xor_b64 s[6:7], exec, s[8:9]
	s_cbranch_execnz .LBB284_1520
; %bb.1131:                             ;   in Loop: Header=BB284_808 Depth=1
	s_or_saveexec_b64 s[6:7], s[6:7]
	v_mov_b32_e32 v12, s18
	s_xor_b64 exec, exec, s[6:7]
	s_cbranch_execnz .LBB284_1523
.LBB284_1132:                           ;   in Loop: Header=BB284_808 Depth=1
	s_or_b64 exec, exec, s[6:7]
	v_mov_b32_e32 v16, v49
	s_and_saveexec_b64 s[6:7], s[0:1]
	s_cbranch_execz .LBB284_1134
.LBB284_1133:                           ;   in Loop: Header=BB284_808 Depth=1
	v_and_b32_e32 v6, 7, v49
	v_ffbh_u32_e32 v6, v6
	v_bfe_u32 v7, v49, 3, 4
	v_min_u32_e32 v6, 32, v6
	v_subrev_u32_e32 v12, 28, v6
	v_sub_u32_e32 v6, 29, v6
	v_cmp_eq_u32_e64 s[0:1], 0, v7
	s_nop 1
	v_cndmask_b32_e64 v6, v7, v6, s[0:1]
	v_cndmask_b32_e64 v7, 0, v12, s[0:1]
	v_lshlrev_b64 v[22:23], v7, v[16:17]
	v_lshlrev_b32_e32 v12, 8, v49
	v_lshl_add_u32 v6, v6, 10, v57
	v_lshlrev_b32_e32 v7, 7, v22
	v_and_or_b32 v6, v12, s21, v6
	v_and_or_b32 v6, v7, s22, v6
	v_cvt_f32_f16_e32 v12, v6
.LBB284_1134:                           ;   in Loop: Header=BB284_808 Depth=1
	s_or_b64 exec, exec, s[6:7]
	v_lshrrev_b16_e32 v16, 8, v16
	v_cmp_lt_i16_e64 s[0:1], s17, v16
	s_mov_b64 s[6:7], 0
                                        ; implicit-def: $sgpr26
	s_and_saveexec_b64 s[8:9], s[0:1]
	s_xor_b64 s[8:9], exec, s[8:9]
	s_cbranch_execnz .LBB284_1524
; %bb.1135:                             ;   in Loop: Header=BB284_808 Depth=1
	s_or_saveexec_b64 s[8:9], s[8:9]
	v_mov_b32_e32 v15, s26
	s_xor_b64 exec, exec, s[8:9]
	s_cbranch_execnz .LBB284_1527
.LBB284_1136:                           ;   in Loop: Header=BB284_808 Depth=1
	s_or_b64 exec, exec, s[8:9]
	s_and_saveexec_b64 s[8:9], s[6:7]
	s_cbranch_execz .LBB284_1138
.LBB284_1137:                           ;   in Loop: Header=BB284_808 Depth=1
	v_and_b32_e32 v6, 7, v16
	v_ffbh_u32_e32 v15, v6
	v_bfe_u32 v7, v16, 3, 4
	v_min_u32_e32 v15, 32, v15
	v_subrev_u32_e32 v22, 28, v15
	v_sub_u32_e32 v15, 29, v15
	v_cmp_eq_u32_e64 s[0:1], 0, v7
	v_lshlrev_b64 v[22:23], v22, v[16:17]
	v_and_b32_e32 v22, 7, v22
	v_cndmask_b32_e64 v7, v7, v15, s[0:1]
	v_lshlrev_b32_e32 v15, 8, v16
	v_lshl_add_u32 v7, v7, 10, v57
	v_cndmask_b32_e64 v6, v6, v22, s[0:1]
	v_and_or_b32 v7, v15, s21, v7
	v_lshl_or_b32 v6, v6, 7, v7
	v_cvt_f32_f16_e32 v15, v6
.LBB284_1138:                           ;   in Loop: Header=BB284_808 Depth=1
	s_or_b64 exec, exec, s[8:9]
	v_lshrrev_b32_e32 v16, 16, v49
	v_cmp_gt_i16_sdwa s[6:7], v16, s17 src0_sel:BYTE_0 src1_sel:DWORD
	s_mov_b64 s[0:1], 0
                                        ; implicit-def: $sgpr18
	s_and_saveexec_b64 s[8:9], s[6:7]
	s_xor_b64 s[6:7], exec, s[8:9]
	s_cbranch_execnz .LBB284_1528
; %bb.1139:                             ;   in Loop: Header=BB284_808 Depth=1
	s_or_saveexec_b64 s[6:7], s[6:7]
	v_mov_b32_e32 v22, s18
	s_xor_b64 exec, exec, s[6:7]
	s_cbranch_execnz .LBB284_1531
.LBB284_1140:                           ;   in Loop: Header=BB284_808 Depth=1
	s_or_b64 exec, exec, s[6:7]
	s_and_saveexec_b64 s[6:7], s[0:1]
	s_cbranch_execz .LBB284_1142
.LBB284_1141:                           ;   in Loop: Header=BB284_808 Depth=1
	v_bfe_u32 v6, v49, 16, 3
	v_ffbh_u32_e32 v22, v6
	v_min_u32_e32 v39, 32, v22
	v_subrev_u32_e32 v22, 28, v39
	v_bfe_u32 v7, v49, 19, 4
	v_lshlrev_b64 v[22:23], v22, v[16:17]
	v_sub_u32_e32 v23, 29, v39
	v_cmp_eq_u32_e64 s[0:1], 0, v7
	v_and_b32_e32 v22, 7, v22
	v_lshlrev_b32_e32 v16, 8, v16
	v_cndmask_b32_e64 v7, v7, v23, s[0:1]
	v_lshl_add_u32 v7, v7, 10, v57
	v_cndmask_b32_e64 v6, v6, v22, s[0:1]
	v_and_or_b32 v7, v16, s21, v7
	v_lshl_or_b32 v6, v6, 7, v7
	v_cvt_f32_f16_e32 v22, v6
.LBB284_1142:                           ;   in Loop: Header=BB284_808 Depth=1
	s_or_b64 exec, exec, s[6:7]
	v_lshrrev_b32_e32 v16, 24, v49
	v_cmp_lt_i16_e64 s[0:1], s17, v16
	s_mov_b64 s[6:7], 0
                                        ; implicit-def: $sgpr26
	s_and_saveexec_b64 s[8:9], s[0:1]
	s_xor_b64 s[8:9], exec, s[8:9]
	s_cbranch_execnz .LBB284_1532
; %bb.1143:                             ;   in Loop: Header=BB284_808 Depth=1
	s_or_saveexec_b64 s[8:9], s[8:9]
	v_mov_b32_e32 v39, s26
	s_xor_b64 exec, exec, s[8:9]
	s_cbranch_execnz .LBB284_1535
.LBB284_1144:                           ;   in Loop: Header=BB284_808 Depth=1
	s_or_b64 exec, exec, s[8:9]
	s_and_saveexec_b64 s[8:9], s[6:7]
	s_cbranch_execz .LBB284_1146
.LBB284_1145:                           ;   in Loop: Header=BB284_808 Depth=1
	v_bfe_u32 v6, v49, 24, 3
	v_ffbh_u32_e32 v23, v6
	v_bfe_u32 v7, v49, 27, 4
	v_min_u32_e32 v23, 32, v23
	v_subrev_u32_e32 v39, 28, v23
	v_sub_u32_e32 v23, 29, v23
	v_cmp_eq_u32_e64 s[0:1], 0, v7
	v_lshlrev_b64 v[48:49], v39, v[16:17]
	v_and_b32_e32 v39, 7, v48
	v_cndmask_b32_e64 v7, v7, v23, s[0:1]
	v_lshlrev_b32_e32 v16, 8, v16
	v_lshl_add_u32 v7, v7, 10, v57
	v_cndmask_b32_e64 v6, v6, v39, s[0:1]
	v_and_or_b32 v7, v16, s21, v7
	v_lshl_or_b32 v6, v6, 7, v7
	v_cvt_f32_f16_e32 v39, v6
.LBB284_1146:                           ;   in Loop: Header=BB284_808 Depth=1
	s_or_b64 exec, exec, s[8:9]
	v_pk_mul_f32 v[48:49], v[38:39], v[52:53] op_sel_hi:[0,1]
	v_pk_mul_f32 v[50:51], v[38:39], v[50:51] op_sel_hi:[0,1]
	v_cvt_f16_f32_e32 v6, v49
	v_cvt_f16_f32_e32 v7, v48
	;; [unrolled: 1-line block ×4, first 2 shown]
	v_fma_mixlo_f16 v22, v38, v22, 0
	v_pack_b32_f16 v6, v7, v6
	v_pack_b32_f16 v7, v23, v16
	v_perm_b32 v16, v7, v6, s23
	v_perm_b32 v23, v7, v6, s24
	v_fma_mixlo_f16 v6, v38, v15, 0
	v_lshlrev_b32_e32 v6, 16, v6
	v_fma_mixlo_f16 v7, v38, v12, 0
	v_or_b32_sdwa v12, v6, v7 dst_sel:DWORD dst_unused:UNUSED_PAD src0_sel:DWORD src1_sel:WORD_0
	v_fma_mixlo_f16 v6, v38, v39, 0
	v_lshlrev_b32_e32 v6, 16, v6
	v_or_b32_sdwa v15, v6, v22 dst_sel:DWORD dst_unused:UNUSED_PAD src0_sel:DWORD src1_sel:WORD_0
	s_and_saveexec_b64 s[6:7], vcc
	s_cbranch_execz .LBB284_1148
; %bb.1147:                             ;   in Loop: Header=BB284_808 Depth=1
	v_lshrrev_b32_e32 v6, 16, v23
	v_cmp_lt_i32_e64 s[0:1], v44, v13
	v_accvgpr_read_b32 v38, a8
	s_nop 0
	v_cndmask_b32_e64 v6, 0, v6, s[0:1]
	v_cmp_lt_i32_e64 s[0:1], v19, v38
	s_nop 1
	v_cndmask_b32_e64 v7, 0, v23, s[0:1]
	v_perm_b32 v23, v6, v7, s25
	v_lshrrev_b32_e32 v6, 16, v16
	v_cmp_lt_i32_e64 s[0:1], v46, v13
	s_nop 1
	v_cndmask_b32_e64 v6, 0, v6, s[0:1]
	v_cmp_lt_i32_e64 s[0:1], v62, v38
	s_nop 1
	v_cndmask_b32_e64 v7, 0, v16, s[0:1]
	v_perm_b32 v16, v6, v7, s25
	v_lshrrev_b32_e32 v6, 16, v12
	v_cmp_lt_i32_e64 s[0:1], v61, v13
	;; [unrolled: 8-line block ×3, first 2 shown]
	s_nop 1
	v_cndmask_b32_e64 v6, 0, v6, s[0:1]
	v_cmp_lt_i32_e64 s[0:1], v58, v38
	s_nop 1
	v_cndmask_b32_e64 v7, 0, v22, s[0:1]
	v_perm_b32 v15, v6, v7, s25
.LBB284_1148:                           ;   in Loop: Header=BB284_808 Depth=1
	s_or_b64 exec, exec, s[6:7]
	;;#ASMSTART
	v_pk_mul_f16 v6, v40, v23;

	;;#ASMEND
	;;#ASMSTART
	v_pk_mul_f16 v7, v1, v16;

	;;#ASMEND
	;;#ASMSTART
	v_pk_mul_f16 v12, v0, v12;

	;;#ASMEND
	;;#ASMSTART
	v_pk_mul_f16 v15, v43, v15;

	;;#ASMEND
	s_mov_b64 s[0:1], 0
	;;#ASMSTART
	v_pk_add_f16 v6, v6, v7;

	;;#ASMEND
                                        ; implicit-def: $sgpr18
	s_nop 0
	;;#ASMSTART
	v_pk_add_f16 v6, v6, v12;

	;;#ASMEND
	s_nop 0
	;;#ASMSTART
	v_pk_add_f16 v6, v6, v15;

	;;#ASMEND
	s_nop 0
	v_lshrrev_b32_e32 v7, 16, v6
	v_and_b32_e32 v6, 0xffff, v6
	;;#ASMSTART
	v_cvt_f32_f16 v15, v6;
	;;#ASMEND
	;;#ASMSTART
	v_cvt_f32_f16 v22, v7;
	;;#ASMEND
	v_accvgpr_read_b32 v6, a22
	v_accvgpr_read_b32 v7, a23
	v_lshl_add_u64 v[38:39], v[10:11], 0, v[6:7]
	v_accvgpr_read_b32 v7, a5
	flat_load_dwordx2 v[48:49], v[38:39]
	v_accvgpr_read_b32 v6, a4
	flat_load_dword v38, v[6:7]
	s_waitcnt vmcnt(0) lgkmcnt(0)
	v_cmp_gt_i16_sdwa s[6:7], v48, s17 src0_sel:BYTE_0 src1_sel:DWORD
	s_and_saveexec_b64 s[8:9], s[6:7]
	s_xor_b64 s[6:7], exec, s[8:9]
	s_cbranch_execnz .LBB284_1536
; %bb.1149:                             ;   in Loop: Header=BB284_808 Depth=1
	s_or_saveexec_b64 s[6:7], s[6:7]
	v_mov_b32_e32 v50, s18
	s_xor_b64 exec, exec, s[6:7]
	s_cbranch_execnz .LBB284_1539
.LBB284_1150:                           ;   in Loop: Header=BB284_808 Depth=1
	s_or_b64 exec, exec, s[6:7]
	s_and_saveexec_b64 s[6:7], s[0:1]
	s_cbranch_execz .LBB284_1152
.LBB284_1151:                           ;   in Loop: Header=BB284_808 Depth=1
	v_and_b32_e32 v6, 7, v48
	v_ffbh_u32_e32 v6, v6
	v_bfe_u32 v7, v48, 3, 4
	v_min_u32_e32 v6, 32, v6
	v_subrev_u32_e32 v12, 28, v6
	v_sub_u32_e32 v6, 29, v6
	v_cmp_eq_u32_e64 s[0:1], 0, v7
	s_nop 1
	v_cndmask_b32_e64 v6, v7, v6, s[0:1]
	v_cndmask_b32_e64 v7, 0, v12, s[0:1]
	v_lshlrev_b64 v[50:51], v7, v[48:49]
	v_lshlrev_b32_e32 v12, 8, v48
	v_lshl_add_u32 v6, v6, 10, v57
	v_lshlrev_b32_e32 v7, 7, v50
	v_and_or_b32 v6, v12, s21, v6
	v_and_or_b32 v6, v7, s22, v6
	v_cvt_f32_f16_e32 v50, v6
.LBB284_1152:                           ;   in Loop: Header=BB284_808 Depth=1
	s_or_b64 exec, exec, s[6:7]
	v_lshrrev_b16_e32 v16, 8, v48
	v_cmp_lt_i16_e64 s[0:1], s17, v16
	s_mov_b64 s[6:7], 0
                                        ; implicit-def: $sgpr26
	s_and_saveexec_b64 s[8:9], s[0:1]
	s_xor_b64 s[8:9], exec, s[8:9]
	s_cbranch_execnz .LBB284_1540
; %bb.1153:                             ;   in Loop: Header=BB284_808 Depth=1
	s_or_saveexec_b64 s[8:9], s[8:9]
	v_mov_b32_e32 v52, s26
	s_xor_b64 exec, exec, s[8:9]
	s_cbranch_execnz .LBB284_1543
.LBB284_1154:                           ;   in Loop: Header=BB284_808 Depth=1
	s_or_b64 exec, exec, s[8:9]
	s_and_saveexec_b64 s[8:9], s[6:7]
	s_cbranch_execz .LBB284_1156
.LBB284_1155:                           ;   in Loop: Header=BB284_808 Depth=1
	v_and_b32_e32 v6, 7, v16
	v_ffbh_u32_e32 v12, v6
	v_bfe_u32 v7, v16, 3, 4
	v_min_u32_e32 v12, 32, v12
	v_subrev_u32_e32 v23, 28, v12
	v_sub_u32_e32 v12, 29, v12
	v_cmp_eq_u32_e64 s[0:1], 0, v7
	v_lshlrev_b64 v[52:53], v23, v[16:17]
	v_and_b32_e32 v23, 7, v52
	v_cndmask_b32_e64 v7, v7, v12, s[0:1]
	v_lshlrev_b32_e32 v12, 8, v16
	v_lshl_add_u32 v7, v7, 10, v57
	v_cndmask_b32_e64 v6, v6, v23, s[0:1]
	v_and_or_b32 v7, v12, s21, v7
	v_lshl_or_b32 v6, v6, 7, v7
	v_cvt_f32_f16_e32 v52, v6
.LBB284_1156:                           ;   in Loop: Header=BB284_808 Depth=1
	s_or_b64 exec, exec, s[8:9]
	v_lshrrev_b32_e32 v16, 16, v48
	v_cmp_gt_i16_sdwa s[6:7], v16, s17 src0_sel:BYTE_0 src1_sel:DWORD
	s_mov_b64 s[0:1], 0
                                        ; implicit-def: $sgpr18
	s_and_saveexec_b64 s[8:9], s[6:7]
	s_xor_b64 s[6:7], exec, s[8:9]
	s_cbranch_execnz .LBB284_1544
; %bb.1157:                             ;   in Loop: Header=BB284_808 Depth=1
	s_or_saveexec_b64 s[6:7], s[6:7]
	v_mov_b32_e32 v51, s18
	s_xor_b64 exec, exec, s[6:7]
	s_cbranch_execnz .LBB284_1547
.LBB284_1158:                           ;   in Loop: Header=BB284_808 Depth=1
	s_or_b64 exec, exec, s[6:7]
	s_and_saveexec_b64 s[6:7], s[0:1]
	s_cbranch_execz .LBB284_1160
.LBB284_1159:                           ;   in Loop: Header=BB284_808 Depth=1
	v_bfe_u32 v12, v48, 16, 3
	v_ffbh_u32_e32 v6, v12
	v_min_u32_e32 v39, 32, v6
	v_subrev_u32_e32 v6, 28, v39
	v_bfe_u32 v23, v48, 19, 4
	v_lshlrev_b64 v[6:7], v6, v[16:17]
	v_sub_u32_e32 v7, 29, v39
	v_cmp_eq_u32_e64 s[0:1], 0, v23
	v_and_b32_e32 v6, 7, v6
	s_nop 0
	v_cndmask_b32_e64 v7, v23, v7, s[0:1]
	v_cndmask_b32_e64 v6, v12, v6, s[0:1]
	v_lshlrev_b32_e32 v12, 8, v16
	v_lshl_add_u32 v7, v7, 10, v57
	v_and_or_b32 v7, v12, s21, v7
	v_lshl_or_b32 v6, v6, 7, v7
	v_cvt_f32_f16_e32 v51, v6
.LBB284_1160:                           ;   in Loop: Header=BB284_808 Depth=1
	s_or_b64 exec, exec, s[6:7]
	v_lshrrev_b32_e32 v16, 24, v48
	v_cmp_lt_i16_e64 s[0:1], s17, v16
	s_mov_b64 s[6:7], 0
                                        ; implicit-def: $sgpr26
	s_and_saveexec_b64 s[8:9], s[0:1]
	s_xor_b64 s[8:9], exec, s[8:9]
	s_cbranch_execnz .LBB284_1548
; %bb.1161:                             ;   in Loop: Header=BB284_808 Depth=1
	s_or_saveexec_b64 s[8:9], s[8:9]
	v_mov_b32_e32 v53, s26
	s_xor_b64 exec, exec, s[8:9]
	s_cbranch_execnz .LBB284_1551
.LBB284_1162:                           ;   in Loop: Header=BB284_808 Depth=1
	s_or_b64 exec, exec, s[8:9]
	s_and_saveexec_b64 s[8:9], s[6:7]
	s_cbranch_execz .LBB284_1164
.LBB284_1163:                           ;   in Loop: Header=BB284_808 Depth=1
	v_bfe_u32 v12, v48, 24, 3
	v_ffbh_u32_e32 v6, v12
	v_min_u32_e32 v39, 32, v6
	v_subrev_u32_e32 v6, 28, v39
	v_bfe_u32 v23, v48, 27, 4
	v_lshlrev_b64 v[6:7], v6, v[16:17]
	v_sub_u32_e32 v7, 29, v39
	v_cmp_eq_u32_e64 s[0:1], 0, v23
	v_and_b32_e32 v6, 7, v6
	s_nop 0
	v_cndmask_b32_e64 v7, v23, v7, s[0:1]
	v_cndmask_b32_e64 v6, v12, v6, s[0:1]
	v_lshlrev_b32_e32 v12, 8, v16
	v_lshl_add_u32 v7, v7, 10, v57
	v_and_or_b32 v7, v12, s21, v7
	v_lshl_or_b32 v6, v6, 7, v7
	v_cvt_f32_f16_e32 v53, v6
.LBB284_1164:                           ;   in Loop: Header=BB284_808 Depth=1
	s_or_b64 exec, exec, s[8:9]
	v_cmp_gt_i16_sdwa s[6:7], v49, s17 src0_sel:BYTE_0 src1_sel:DWORD
	s_mov_b64 s[0:1], 0
                                        ; implicit-def: $sgpr18
	s_and_saveexec_b64 s[8:9], s[6:7]
	s_xor_b64 s[6:7], exec, s[8:9]
	s_cbranch_execnz .LBB284_1552
; %bb.1165:                             ;   in Loop: Header=BB284_808 Depth=1
	s_or_saveexec_b64 s[6:7], s[6:7]
	v_mov_b32_e32 v12, s18
	s_xor_b64 exec, exec, s[6:7]
	s_cbranch_execnz .LBB284_1555
.LBB284_1166:                           ;   in Loop: Header=BB284_808 Depth=1
	s_or_b64 exec, exec, s[6:7]
	v_mov_b32_e32 v16, v49
	s_and_saveexec_b64 s[6:7], s[0:1]
	s_cbranch_execz .LBB284_1168
.LBB284_1167:                           ;   in Loop: Header=BB284_808 Depth=1
	v_and_b32_e32 v6, 7, v49
	v_ffbh_u32_e32 v6, v6
	v_bfe_u32 v7, v49, 3, 4
	v_min_u32_e32 v6, 32, v6
	v_subrev_u32_e32 v12, 28, v6
	v_sub_u32_e32 v6, 29, v6
	v_cmp_eq_u32_e64 s[0:1], 0, v7
	s_nop 1
	v_cndmask_b32_e64 v23, v7, v6, s[0:1]
	v_cndmask_b32_e64 v6, 0, v12, s[0:1]
	v_lshlrev_b64 v[6:7], v6, v[16:17]
	v_lshlrev_b32_e32 v7, 8, v49
	v_lshl_add_u32 v12, v23, 10, v57
	v_lshlrev_b32_e32 v6, 7, v6
	v_and_or_b32 v7, v7, s21, v12
	v_and_or_b32 v6, v6, s22, v7
	v_cvt_f32_f16_e32 v12, v6
.LBB284_1168:                           ;   in Loop: Header=BB284_808 Depth=1
	s_or_b64 exec, exec, s[6:7]
	v_lshrrev_b16_e32 v16, 8, v16
	v_cmp_lt_i16_e64 s[0:1], s17, v16
	s_mov_b64 s[6:7], 0
                                        ; implicit-def: $sgpr26
	s_and_saveexec_b64 s[8:9], s[0:1]
	s_xor_b64 s[8:9], exec, s[8:9]
	s_cbranch_execnz .LBB284_1556
; %bb.1169:                             ;   in Loop: Header=BB284_808 Depth=1
	s_or_saveexec_b64 s[8:9], s[8:9]
	v_mov_b32_e32 v23, s26
	s_xor_b64 exec, exec, s[8:9]
	s_cbranch_execnz .LBB284_1559
.LBB284_1170:                           ;   in Loop: Header=BB284_808 Depth=1
	s_or_b64 exec, exec, s[8:9]
	s_and_saveexec_b64 s[8:9], s[6:7]
	s_cbranch_execz .LBB284_1172
.LBB284_1171:                           ;   in Loop: Header=BB284_808 Depth=1
	v_and_b32_e32 v23, 7, v16
	v_ffbh_u32_e32 v6, v23
	v_min_u32_e32 v48, 32, v6
	v_subrev_u32_e32 v6, 28, v48
	v_bfe_u32 v39, v16, 3, 4
	v_lshlrev_b64 v[6:7], v6, v[16:17]
	v_sub_u32_e32 v7, 29, v48
	v_cmp_eq_u32_e64 s[0:1], 0, v39
	v_and_b32_e32 v6, 7, v6
	v_lshlrev_b32_e32 v16, 8, v16
	v_cndmask_b32_e64 v7, v39, v7, s[0:1]
	v_lshl_add_u32 v7, v7, 10, v57
	v_cndmask_b32_e64 v6, v23, v6, s[0:1]
	v_and_or_b32 v7, v16, s21, v7
	v_lshl_or_b32 v6, v6, 7, v7
	v_cvt_f32_f16_e32 v23, v6
.LBB284_1172:                           ;   in Loop: Header=BB284_808 Depth=1
	s_or_b64 exec, exec, s[8:9]
	v_lshrrev_b32_e32 v16, 16, v49
	v_cmp_gt_i16_sdwa s[6:7], v16, s17 src0_sel:BYTE_0 src1_sel:DWORD
	s_mov_b64 s[0:1], 0
                                        ; implicit-def: $sgpr18
	s_and_saveexec_b64 s[8:9], s[6:7]
	s_xor_b64 s[6:7], exec, s[8:9]
	s_cbranch_execnz .LBB284_1560
; %bb.1173:                             ;   in Loop: Header=BB284_808 Depth=1
	s_or_saveexec_b64 s[6:7], s[6:7]
	v_mov_b32_e32 v39, s18
	s_xor_b64 exec, exec, s[6:7]
	s_cbranch_execnz .LBB284_1563
.LBB284_1174:                           ;   in Loop: Header=BB284_808 Depth=1
	s_or_b64 exec, exec, s[6:7]
	s_and_saveexec_b64 s[6:7], s[0:1]
	s_cbranch_execz .LBB284_1176
.LBB284_1175:                           ;   in Loop: Header=BB284_808 Depth=1
	v_bfe_u32 v39, v49, 16, 3
	v_ffbh_u32_e32 v6, v39
	v_min_u32_e32 v45, 32, v6
	v_subrev_u32_e32 v6, 28, v45
	v_bfe_u32 v48, v49, 19, 4
	v_lshlrev_b64 v[6:7], v6, v[16:17]
	v_sub_u32_e32 v7, 29, v45
	v_cmp_eq_u32_e64 s[0:1], 0, v48
	v_and_b32_e32 v6, 7, v6
	v_lshlrev_b32_e32 v16, 8, v16
	v_cndmask_b32_e64 v7, v48, v7, s[0:1]
	v_lshl_add_u32 v7, v7, 10, v57
	v_cndmask_b32_e64 v6, v39, v6, s[0:1]
	v_and_or_b32 v7, v16, s21, v7
	v_lshl_or_b32 v6, v6, 7, v7
	v_cvt_f32_f16_e32 v39, v6
.LBB284_1176:                           ;   in Loop: Header=BB284_808 Depth=1
	s_or_b64 exec, exec, s[6:7]
	v_lshrrev_b32_e32 v16, 24, v49
	v_cmp_lt_i16_e64 s[0:1], s17, v16
	s_mov_b64 s[6:7], 0
                                        ; implicit-def: $sgpr26
	s_and_saveexec_b64 s[8:9], s[0:1]
	s_xor_b64 s[8:9], exec, s[8:9]
	s_cbranch_execnz .LBB284_1564
; %bb.1177:                             ;   in Loop: Header=BB284_808 Depth=1
	s_or_saveexec_b64 s[8:9], s[8:9]
	v_mov_b32_e32 v45, s26
	s_xor_b64 exec, exec, s[8:9]
	s_cbranch_execnz .LBB284_1567
.LBB284_1178:                           ;   in Loop: Header=BB284_808 Depth=1
	s_or_b64 exec, exec, s[8:9]
	s_and_saveexec_b64 s[8:9], s[6:7]
	s_cbranch_execz .LBB284_1180
.LBB284_1179:                           ;   in Loop: Header=BB284_808 Depth=1
	v_bfe_u32 v48, v49, 24, 3
	v_ffbh_u32_e32 v6, v48
	v_min_u32_e32 v45, 32, v6
	v_subrev_u32_e32 v6, 28, v45
	v_bfe_u32 v49, v49, 27, 4
	v_lshlrev_b64 v[6:7], v6, v[16:17]
	v_sub_u32_e32 v7, 29, v45
	v_cmp_eq_u32_e64 s[0:1], 0, v49
	v_and_b32_e32 v6, 7, v6
	v_lshlrev_b32_e32 v16, 8, v16
	v_cndmask_b32_e64 v7, v49, v7, s[0:1]
	v_lshl_add_u32 v7, v7, 10, v57
	v_cndmask_b32_e64 v6, v48, v6, s[0:1]
	v_and_or_b32 v7, v16, s21, v7
	v_lshl_or_b32 v6, v6, 7, v7
	v_cvt_f32_f16_e32 v45, v6
.LBB284_1180:                           ;   in Loop: Header=BB284_808 Depth=1
	s_or_b64 exec, exec, s[8:9]
	v_pk_mul_f32 v[6:7], v[38:39], v[52:53] op_sel_hi:[0,1]
	v_pk_mul_f32 v[48:49], v[38:39], v[50:51] op_sel_hi:[0,1]
	v_cvt_f16_f32_e32 v7, v7
	v_cvt_f16_f32_e32 v6, v6
	;; [unrolled: 1-line block ×4, first 2 shown]
	v_fma_mixlo_f16 v39, v38, v39, 0
	v_pack_b32_f16 v6, v6, v7
	v_pack_b32_f16 v7, v48, v16
	v_perm_b32 v16, v7, v6, s23
	v_perm_b32 v48, v7, v6, s24
	v_fma_mixlo_f16 v6, v38, v23, 0
	v_lshlrev_b32_e32 v6, 16, v6
	v_fma_mixlo_f16 v7, v38, v12, 0
	v_or_b32_sdwa v12, v6, v7 dst_sel:DWORD dst_unused:UNUSED_PAD src0_sel:DWORD src1_sel:WORD_0
	v_fma_mixlo_f16 v6, v38, v45, 0
	v_lshlrev_b32_e32 v6, 16, v6
	v_or_b32_sdwa v23, v6, v39 dst_sel:DWORD dst_unused:UNUSED_PAD src0_sel:DWORD src1_sel:WORD_0
	s_and_saveexec_b64 s[6:7], vcc
	s_cbranch_execz .LBB284_1182
; %bb.1181:                             ;   in Loop: Header=BB284_808 Depth=1
	v_lshrrev_b32_e32 v6, 16, v48
	v_cmp_lt_i32_e64 s[0:1], v44, v13
	v_accvgpr_read_b32 v38, a8
	s_nop 0
	v_cndmask_b32_e64 v6, 0, v6, s[0:1]
	v_cmp_lt_i32_e64 s[0:1], v19, v38
	s_nop 1
	v_cndmask_b32_e64 v7, 0, v48, s[0:1]
	v_perm_b32 v48, v6, v7, s25
	v_lshrrev_b32_e32 v6, 16, v16
	v_cmp_lt_i32_e64 s[0:1], v46, v13
	s_nop 1
	v_cndmask_b32_e64 v6, 0, v6, s[0:1]
	v_cmp_lt_i32_e64 s[0:1], v62, v38
	s_nop 1
	v_cndmask_b32_e64 v7, 0, v16, s[0:1]
	v_perm_b32 v16, v6, v7, s25
	v_lshrrev_b32_e32 v6, 16, v12
	v_cmp_lt_i32_e64 s[0:1], v61, v13
	;; [unrolled: 8-line block ×3, first 2 shown]
	s_nop 1
	v_cndmask_b32_e64 v6, 0, v6, s[0:1]
	v_cmp_lt_i32_e64 s[0:1], v58, v38
	s_nop 1
	v_cndmask_b32_e64 v7, 0, v39, s[0:1]
	v_perm_b32 v23, v6, v7, s25
.LBB284_1182:                           ;   in Loop: Header=BB284_808 Depth=1
	s_or_b64 exec, exec, s[6:7]
	;;#ASMSTART
	v_pk_mul_f16 v6, v40, v48;

	;;#ASMEND
	;;#ASMSTART
	v_pk_mul_f16 v7, v1, v16;

	;;#ASMEND
	;; [unrolled: 4-line block ×4, first 2 shown]
	s_mov_b64 s[0:1], 0
	;;#ASMSTART
	v_pk_add_f16 v6, v6, v7;

	;;#ASMEND
                                        ; implicit-def: $sgpr18
	s_nop 0
	;;#ASMSTART
	v_pk_add_f16 v6, v6, v12;

	;;#ASMEND
	s_nop 0
	;;#ASMSTART
	v_pk_add_f16 v6, v6, v16;

	;;#ASMEND
	s_nop 0
	v_lshrrev_b32_e32 v7, 16, v6
	v_and_b32_e32 v6, 0xffff, v6
	;;#ASMSTART
	v_cvt_f32_f16 v12, v6;
	;;#ASMEND
	;;#ASMSTART
	v_cvt_f32_f16 v23, v7;
	;;#ASMEND
	v_accvgpr_read_b32 v6, a24
	v_accvgpr_read_b32 v7, a25
	v_lshl_add_u64 v[6:7], v[10:11], 0, v[6:7]
	flat_load_dwordx2 v[38:39], v[6:7]
	v_accvgpr_read_b32 v7, a5
	v_accvgpr_read_b32 v6, a4
	flat_load_dword v10, v[6:7]
	s_waitcnt vmcnt(0) lgkmcnt(0)
	v_cmp_gt_i16_sdwa s[6:7], v38, s17 src0_sel:BYTE_0 src1_sel:DWORD
	s_and_saveexec_b64 s[8:9], s[6:7]
	s_xor_b64 s[6:7], exec, s[8:9]
	s_cbranch_execnz .LBB284_1568
; %bb.1183:                             ;   in Loop: Header=BB284_808 Depth=1
	s_or_saveexec_b64 s[6:7], s[6:7]
	v_mov_b32_e32 v48, s18
	s_xor_b64 exec, exec, s[6:7]
	s_cbranch_execnz .LBB284_1571
.LBB284_1184:                           ;   in Loop: Header=BB284_808 Depth=1
	s_or_b64 exec, exec, s[6:7]
	s_and_saveexec_b64 s[6:7], s[0:1]
	s_cbranch_execz .LBB284_1186
.LBB284_1185:                           ;   in Loop: Header=BB284_808 Depth=1
	v_and_b32_e32 v6, 7, v38
	v_ffbh_u32_e32 v6, v6
	v_bfe_u32 v7, v38, 3, 4
	v_min_u32_e32 v6, 32, v6
	v_subrev_u32_e32 v11, 28, v6
	v_sub_u32_e32 v6, 29, v6
	v_cmp_eq_u32_e64 s[0:1], 0, v7
	s_nop 1
	v_cndmask_b32_e64 v16, v7, v6, s[0:1]
	v_cndmask_b32_e64 v6, 0, v11, s[0:1]
	v_lshlrev_b64 v[6:7], v6, v[38:39]
	v_lshlrev_b32_e32 v7, 8, v38
	v_lshl_add_u32 v11, v16, 10, v57
	v_lshlrev_b32_e32 v6, 7, v6
	v_and_or_b32 v7, v7, s21, v11
	v_and_or_b32 v6, v6, s22, v7
	v_cvt_f32_f16_e32 v48, v6
.LBB284_1186:                           ;   in Loop: Header=BB284_808 Depth=1
	s_or_b64 exec, exec, s[6:7]
	v_lshrrev_b16_e32 v16, 8, v38
	v_cmp_lt_i16_e64 s[0:1], s17, v16
	s_mov_b64 s[6:7], 0
                                        ; implicit-def: $sgpr26
	s_and_saveexec_b64 s[8:9], s[0:1]
	s_xor_b64 s[8:9], exec, s[8:9]
	s_cbranch_execnz .LBB284_1572
; %bb.1187:                             ;   in Loop: Header=BB284_808 Depth=1
	s_or_saveexec_b64 s[8:9], s[8:9]
	v_mov_b32_e32 v50, s26
	s_xor_b64 exec, exec, s[8:9]
	s_cbranch_execnz .LBB284_1575
.LBB284_1188:                           ;   in Loop: Header=BB284_808 Depth=1
	s_or_b64 exec, exec, s[8:9]
	s_and_saveexec_b64 s[8:9], s[6:7]
	s_cbranch_execz .LBB284_1190
.LBB284_1189:                           ;   in Loop: Header=BB284_808 Depth=1
	v_and_b32_e32 v11, 7, v16
	v_ffbh_u32_e32 v6, v11
	v_min_u32_e32 v50, 32, v6
	v_subrev_u32_e32 v6, 28, v50
	v_bfe_u32 v49, v16, 3, 4
	v_lshlrev_b64 v[6:7], v6, v[16:17]
	v_sub_u32_e32 v7, 29, v50
	v_cmp_eq_u32_e64 s[0:1], 0, v49
	v_and_b32_e32 v6, 7, v6
	s_nop 0
	v_cndmask_b32_e64 v7, v49, v7, s[0:1]
	v_cndmask_b32_e64 v6, v11, v6, s[0:1]
	v_lshlrev_b32_e32 v11, 8, v16
	v_lshl_add_u32 v7, v7, 10, v57
	v_and_or_b32 v7, v11, s21, v7
	v_lshl_or_b32 v6, v6, 7, v7
	v_cvt_f32_f16_e32 v50, v6
.LBB284_1190:                           ;   in Loop: Header=BB284_808 Depth=1
	s_or_b64 exec, exec, s[8:9]
	v_lshrrev_b32_e32 v16, 16, v38
	v_cmp_gt_i16_sdwa s[6:7], v16, s17 src0_sel:BYTE_0 src1_sel:DWORD
	s_mov_b64 s[0:1], 0
                                        ; implicit-def: $sgpr18
	s_and_saveexec_b64 s[8:9], s[6:7]
	s_xor_b64 s[6:7], exec, s[8:9]
	s_cbranch_execnz .LBB284_1576
; %bb.1191:                             ;   in Loop: Header=BB284_808 Depth=1
	s_or_saveexec_b64 s[6:7], s[6:7]
	v_mov_b32_e32 v49, s18
	s_xor_b64 exec, exec, s[6:7]
	s_cbranch_execnz .LBB284_1579
.LBB284_1192:                           ;   in Loop: Header=BB284_808 Depth=1
	s_or_b64 exec, exec, s[6:7]
	s_and_saveexec_b64 s[6:7], s[0:1]
	s_cbranch_execz .LBB284_1194
.LBB284_1193:                           ;   in Loop: Header=BB284_808 Depth=1
	v_bfe_u32 v11, v38, 16, 3
	v_ffbh_u32_e32 v6, v11
	v_min_u32_e32 v51, 32, v6
	v_subrev_u32_e32 v6, 28, v51
	v_bfe_u32 v49, v38, 19, 4
	v_lshlrev_b64 v[6:7], v6, v[16:17]
	v_sub_u32_e32 v7, 29, v51
	v_cmp_eq_u32_e64 s[0:1], 0, v49
	v_and_b32_e32 v6, 7, v6
	s_nop 0
	v_cndmask_b32_e64 v7, v49, v7, s[0:1]
	v_cndmask_b32_e64 v6, v11, v6, s[0:1]
	v_lshlrev_b32_e32 v11, 8, v16
	v_lshl_add_u32 v7, v7, 10, v57
	v_and_or_b32 v7, v11, s21, v7
	v_lshl_or_b32 v6, v6, 7, v7
	v_cvt_f32_f16_e32 v49, v6
.LBB284_1194:                           ;   in Loop: Header=BB284_808 Depth=1
	s_or_b64 exec, exec, s[6:7]
	v_lshrrev_b32_e32 v16, 24, v38
	v_cmp_lt_i16_e64 s[0:1], s17, v16
	s_mov_b64 s[6:7], 0
                                        ; implicit-def: $sgpr26
	s_and_saveexec_b64 s[8:9], s[0:1]
	s_xor_b64 s[8:9], exec, s[8:9]
	s_cbranch_execnz .LBB284_1580
; %bb.1195:                             ;   in Loop: Header=BB284_808 Depth=1
	s_or_saveexec_b64 s[8:9], s[8:9]
	v_mov_b32_e32 v51, s26
	s_xor_b64 exec, exec, s[8:9]
	s_cbranch_execnz .LBB284_1583
.LBB284_1196:                           ;   in Loop: Header=BB284_808 Depth=1
	s_or_b64 exec, exec, s[8:9]
	s_and_saveexec_b64 s[8:9], s[6:7]
	s_cbranch_execz .LBB284_1198
.LBB284_1197:                           ;   in Loop: Header=BB284_808 Depth=1
	v_bfe_u32 v11, v38, 24, 3
	v_ffbh_u32_e32 v6, v11
	v_min_u32_e32 v51, 32, v6
	v_subrev_u32_e32 v6, 28, v51
	v_bfe_u32 v38, v38, 27, 4
	v_lshlrev_b64 v[6:7], v6, v[16:17]
	v_sub_u32_e32 v7, 29, v51
	v_cmp_eq_u32_e64 s[0:1], 0, v38
	v_and_b32_e32 v6, 7, v6
	s_nop 0
	v_cndmask_b32_e64 v7, v38, v7, s[0:1]
	v_cndmask_b32_e64 v6, v11, v6, s[0:1]
	v_lshlrev_b32_e32 v11, 8, v16
	v_lshl_add_u32 v7, v7, 10, v57
	v_and_or_b32 v7, v11, s21, v7
	v_lshl_or_b32 v6, v6, 7, v7
	v_cvt_f32_f16_e32 v51, v6
.LBB284_1198:                           ;   in Loop: Header=BB284_808 Depth=1
	s_or_b64 exec, exec, s[8:9]
	v_cmp_gt_i16_sdwa s[6:7], v39, s17 src0_sel:BYTE_0 src1_sel:DWORD
	s_mov_b64 s[0:1], 0
                                        ; implicit-def: $sgpr18
	s_and_saveexec_b64 s[8:9], s[6:7]
	s_xor_b64 s[6:7], exec, s[8:9]
	s_cbranch_execnz .LBB284_1584
; %bb.1199:                             ;   in Loop: Header=BB284_808 Depth=1
	s_or_saveexec_b64 s[6:7], s[6:7]
	v_mov_b32_e32 v11, s18
	s_xor_b64 exec, exec, s[6:7]
	s_cbranch_execnz .LBB284_1587
.LBB284_1200:                           ;   in Loop: Header=BB284_808 Depth=1
	s_or_b64 exec, exec, s[6:7]
	v_mov_b32_e32 v16, v39
	s_and_saveexec_b64 s[6:7], s[0:1]
	s_cbranch_execz .LBB284_1202
.LBB284_1201:                           ;   in Loop: Header=BB284_808 Depth=1
	v_and_b32_e32 v6, 7, v39
	v_ffbh_u32_e32 v6, v6
	v_bfe_u32 v7, v39, 3, 4
	v_min_u32_e32 v6, 32, v6
	v_subrev_u32_e32 v11, 28, v6
	v_sub_u32_e32 v6, 29, v6
	v_cmp_eq_u32_e64 s[0:1], 0, v7
	s_nop 1
	v_cndmask_b32_e64 v38, v7, v6, s[0:1]
	v_cndmask_b32_e64 v6, 0, v11, s[0:1]
	v_lshlrev_b64 v[6:7], v6, v[16:17]
	v_lshlrev_b32_e32 v7, 8, v39
	v_lshl_add_u32 v11, v38, 10, v57
	v_lshlrev_b32_e32 v6, 7, v6
	v_and_or_b32 v7, v7, s21, v11
	v_and_or_b32 v6, v6, s22, v7
	v_cvt_f32_f16_e32 v11, v6
.LBB284_1202:                           ;   in Loop: Header=BB284_808 Depth=1
	s_or_b64 exec, exec, s[6:7]
	v_lshrrev_b16_e32 v16, 8, v16
	v_cmp_lt_i16_e64 s[0:1], s17, v16
	s_mov_b64 s[6:7], 0
                                        ; implicit-def: $sgpr26
	s_and_saveexec_b64 s[8:9], s[0:1]
	s_xor_b64 s[8:9], exec, s[8:9]
	s_cbranch_execnz .LBB284_1588
; %bb.1203:                             ;   in Loop: Header=BB284_808 Depth=1
	s_or_saveexec_b64 s[8:9], s[8:9]
	v_mov_b32_e32 v38, s26
	s_xor_b64 exec, exec, s[8:9]
	s_cbranch_execnz .LBB284_1591
.LBB284_1204:                           ;   in Loop: Header=BB284_808 Depth=1
	s_or_b64 exec, exec, s[8:9]
	s_and_saveexec_b64 s[8:9], s[6:7]
	s_cbranch_execz .LBB284_1206
.LBB284_1205:                           ;   in Loop: Header=BB284_808 Depth=1
	v_and_b32_e32 v38, 7, v16
	v_ffbh_u32_e32 v6, v38
	v_min_u32_e32 v53, 32, v6
	v_subrev_u32_e32 v6, 28, v53
	v_bfe_u32 v52, v16, 3, 4
	v_lshlrev_b64 v[6:7], v6, v[16:17]
	v_sub_u32_e32 v7, 29, v53
	v_cmp_eq_u32_e64 s[0:1], 0, v52
	v_and_b32_e32 v6, 7, v6
	v_lshlrev_b32_e32 v16, 8, v16
	v_cndmask_b32_e64 v7, v52, v7, s[0:1]
	v_lshl_add_u32 v7, v7, 10, v57
	v_cndmask_b32_e64 v6, v38, v6, s[0:1]
	v_and_or_b32 v7, v16, s21, v7
	v_lshl_or_b32 v6, v6, 7, v7
	v_cvt_f32_f16_e32 v38, v6
.LBB284_1206:                           ;   in Loop: Header=BB284_808 Depth=1
	s_or_b64 exec, exec, s[8:9]
	v_lshrrev_b32_e32 v16, 16, v39
	v_cmp_gt_i16_sdwa s[6:7], v16, s17 src0_sel:BYTE_0 src1_sel:DWORD
	s_mov_b64 s[0:1], 0
                                        ; implicit-def: $sgpr18
	s_and_saveexec_b64 s[8:9], s[6:7]
	s_xor_b64 s[6:7], exec, s[8:9]
	s_cbranch_execnz .LBB284_1592
; %bb.1207:                             ;   in Loop: Header=BB284_808 Depth=1
	s_or_saveexec_b64 s[6:7], s[6:7]
	v_mov_b32_e32 v52, s18
	s_xor_b64 exec, exec, s[6:7]
	s_cbranch_execnz .LBB284_1595
.LBB284_1208:                           ;   in Loop: Header=BB284_808 Depth=1
	s_or_b64 exec, exec, s[6:7]
	s_and_saveexec_b64 s[6:7], s[0:1]
	s_cbranch_execz .LBB284_1210
.LBB284_1209:                           ;   in Loop: Header=BB284_808 Depth=1
	v_bfe_u32 v52, v39, 16, 3
	v_ffbh_u32_e32 v6, v52
	v_min_u32_e32 v45, 32, v6
	v_subrev_u32_e32 v6, 28, v45
	v_bfe_u32 v53, v39, 19, 4
	v_lshlrev_b64 v[6:7], v6, v[16:17]
	v_sub_u32_e32 v7, 29, v45
	v_cmp_eq_u32_e64 s[0:1], 0, v53
	v_and_b32_e32 v6, 7, v6
	v_lshlrev_b32_e32 v16, 8, v16
	v_cndmask_b32_e64 v7, v53, v7, s[0:1]
	v_lshl_add_u32 v7, v7, 10, v57
	v_cndmask_b32_e64 v6, v52, v6, s[0:1]
	v_and_or_b32 v7, v16, s21, v7
	v_lshl_or_b32 v6, v6, 7, v7
	v_cvt_f32_f16_e32 v52, v6
.LBB284_1210:                           ;   in Loop: Header=BB284_808 Depth=1
	s_or_b64 exec, exec, s[6:7]
	v_lshrrev_b32_e32 v16, 24, v39
	v_cmp_lt_i16_e64 s[0:1], s17, v16
	s_mov_b64 s[6:7], 0
                                        ; implicit-def: $sgpr26
	s_and_saveexec_b64 s[8:9], s[0:1]
	s_xor_b64 s[8:9], exec, s[8:9]
	s_cbranch_execnz .LBB284_1596
; %bb.1211:                             ;   in Loop: Header=BB284_808 Depth=1
	s_or_saveexec_b64 s[8:9], s[8:9]
	v_mov_b32_e32 v53, s26
	s_xor_b64 exec, exec, s[8:9]
	s_cbranch_execnz .LBB284_1599
.LBB284_1212:                           ;   in Loop: Header=BB284_808 Depth=1
	s_or_b64 exec, exec, s[8:9]
	s_and_saveexec_b64 s[8:9], s[6:7]
	s_cbranch_execz .LBB284_1214
.LBB284_1213:                           ;   in Loop: Header=BB284_808 Depth=1
	v_bfe_u32 v53, v39, 24, 3
	v_ffbh_u32_e32 v6, v53
	v_min_u32_e32 v45, 32, v6
	v_subrev_u32_e32 v6, 28, v45
	v_bfe_u32 v39, v39, 27, 4
	v_lshlrev_b64 v[6:7], v6, v[16:17]
	v_sub_u32_e32 v7, 29, v45
	v_cmp_eq_u32_e64 s[0:1], 0, v39
	v_and_b32_e32 v6, 7, v6
	v_lshlrev_b32_e32 v16, 8, v16
	v_cndmask_b32_e64 v7, v39, v7, s[0:1]
	v_lshl_add_u32 v7, v7, 10, v57
	v_cndmask_b32_e64 v6, v53, v6, s[0:1]
	v_and_or_b32 v7, v16, s21, v7
	v_lshl_or_b32 v6, v6, 7, v7
	v_cvt_f32_f16_e32 v53, v6
.LBB284_1214:                           ;   in Loop: Header=BB284_808 Depth=1
	s_or_b64 exec, exec, s[8:9]
	v_pk_mul_f32 v[6:7], v[10:11], v[50:51] op_sel_hi:[0,1]
	v_pk_mul_f32 v[48:49], v[10:11], v[48:49] op_sel_hi:[0,1]
	v_cvt_f16_f32_e32 v7, v7
	v_cvt_f16_f32_e32 v6, v6
	;; [unrolled: 1-line block ×4, first 2 shown]
	v_pack_b32_f16 v6, v6, v7
	v_pack_b32_f16 v7, v39, v16
	v_perm_b32 v16, v7, v6, s23
	v_perm_b32 v39, v7, v6, s24
	v_fma_mixlo_f16 v6, v10, v38, 0
	v_lshlrev_b32_e32 v6, 16, v6
	v_fma_mixlo_f16 v7, v10, v11, 0
	v_or_b32_sdwa v11, v6, v7 dst_sel:DWORD dst_unused:UNUSED_PAD src0_sel:DWORD src1_sel:WORD_0
	v_fma_mixlo_f16 v6, v10, v53, 0
	v_fma_mixlo_f16 v38, v10, v52, 0
	v_lshlrev_b32_e32 v6, 16, v6
	v_or_b32_sdwa v10, v6, v38 dst_sel:DWORD dst_unused:UNUSED_PAD src0_sel:DWORD src1_sel:WORD_0
	s_and_saveexec_b64 s[0:1], vcc
	s_cbranch_execz .LBB284_807
; %bb.1215:                             ;   in Loop: Header=BB284_808 Depth=1
	v_lshrrev_b32_e32 v6, 16, v39
	v_cmp_lt_i32_e32 vcc, v44, v13
	v_accvgpr_read_b32 v48, a8
	s_nop 0
	v_cndmask_b32_e32 v6, 0, v6, vcc
	v_cmp_lt_i32_e32 vcc, v19, v48
	s_nop 1
	v_cndmask_b32_e32 v7, 0, v39, vcc
	v_perm_b32 v39, v6, v7, s25
	v_lshrrev_b32_e32 v6, 16, v16
	v_cmp_lt_i32_e32 vcc, v46, v13
	s_nop 1
	v_cndmask_b32_e32 v6, 0, v6, vcc
	v_cmp_lt_i32_e32 vcc, v62, v48
	s_nop 1
	v_cndmask_b32_e32 v7, 0, v16, vcc
	v_perm_b32 v16, v6, v7, s25
	v_lshrrev_b32_e32 v6, 16, v11
	v_cmp_lt_i32_e32 vcc, v61, v13
	;; [unrolled: 8-line block ×3, first 2 shown]
	s_nop 1
	v_cndmask_b32_e32 v6, 0, v6, vcc
	v_cmp_lt_i32_e32 vcc, v58, v48
	s_nop 1
	v_cndmask_b32_e32 v7, 0, v38, vcc
	v_perm_b32 v10, v6, v7, s25
	s_branch .LBB284_807
.LBB284_1216:                           ;   in Loop: Header=BB284_808 Depth=1
	v_cmp_eq_u16_sdwa s[26:27], v50, s20 src0_sel:BYTE_0 src1_sel:DWORD
	s_mov_b64 s[0:1], -1
                                        ; implicit-def: $sgpr18
	s_and_saveexec_b64 s[8:9], s[26:27]
; %bb.1217:                             ;   in Loop: Header=BB284_808 Depth=1
	s_mov_b32 s18, 0x7fc02000
	s_xor_b64 s[0:1], exec, -1
; %bb.1218:                             ;   in Loop: Header=BB284_808 Depth=1
	s_or_b64 exec, exec, s[8:9]
	s_and_b64 s[0:1], s[0:1], exec
	s_or_saveexec_b64 s[6:7], s[6:7]
	v_mov_b32_e32 v52, s18
	s_xor_b64 exec, exec, s[6:7]
	s_cbranch_execz .LBB284_810
.LBB284_1219:                           ;   in Loop: Header=BB284_808 Depth=1
	v_cmp_ne_u16_sdwa s[8:9], v50, v17 src0_sel:BYTE_0 src1_sel:DWORD
	s_andn2_b64 s[0:1], s[0:1], exec
	s_and_b64 s[8:9], s[8:9], exec
	v_mov_b32_e32 v52, 0
	s_or_b64 s[0:1], s[0:1], s[8:9]
	s_or_b64 exec, exec, s[6:7]
	s_and_saveexec_b64 s[6:7], s[0:1]
	s_cbranch_execnz .LBB284_811
	s_branch .LBB284_812
.LBB284_1220:                           ;   in Loop: Header=BB284_808 Depth=1
	v_cmp_eq_u16_e32 vcc, s20, v16
	s_mov_b64 s[0:1], -1
                                        ; implicit-def: $sgpr18
	s_and_saveexec_b64 s[8:9], vcc
; %bb.1221:                             ;   in Loop: Header=BB284_808 Depth=1
	s_mov_b32 s18, 0x7fc02000
	s_xor_b64 s[0:1], exec, -1
; %bb.1222:                             ;   in Loop: Header=BB284_808 Depth=1
	s_or_b64 exec, exec, s[8:9]
	s_and_b64 s[0:1], s[0:1], exec
	s_or_saveexec_b64 s[6:7], s[6:7]
	v_mov_b32_e32 v54, s18
	s_xor_b64 exec, exec, s[6:7]
	s_cbranch_execz .LBB284_814
.LBB284_1223:                           ;   in Loop: Header=BB284_808 Depth=1
	v_cmp_ne_u16_e32 vcc, 0, v16
	s_andn2_b64 s[0:1], s[0:1], exec
	s_and_b64 s[8:9], vcc, exec
	v_mov_b32_e32 v54, 0
	s_or_b64 s[0:1], s[0:1], s[8:9]
	s_or_b64 exec, exec, s[6:7]
	s_and_saveexec_b64 s[6:7], s[0:1]
	s_cbranch_execnz .LBB284_815
	s_branch .LBB284_816
.LBB284_1224:                           ;   in Loop: Header=BB284_808 Depth=1
	v_cmp_eq_u16_sdwa s[26:27], v16, s20 src0_sel:BYTE_0 src1_sel:DWORD
	s_mov_b64 s[0:1], -1
                                        ; implicit-def: $sgpr18
	s_and_saveexec_b64 s[8:9], s[26:27]
; %bb.1225:                             ;   in Loop: Header=BB284_808 Depth=1
	s_mov_b32 s18, 0x7fc02000
	s_xor_b64 s[0:1], exec, -1
; %bb.1226:                             ;   in Loop: Header=BB284_808 Depth=1
	s_or_b64 exec, exec, s[8:9]
	s_and_b64 s[0:1], s[0:1], exec
	s_or_saveexec_b64 s[6:7], s[6:7]
	v_mov_b32_e32 v53, s18
	s_xor_b64 exec, exec, s[6:7]
	s_cbranch_execz .LBB284_818
.LBB284_1227:                           ;   in Loop: Header=BB284_808 Depth=1
	v_cmp_ne_u16_sdwa s[8:9], v16, v17 src0_sel:BYTE_0 src1_sel:DWORD
	s_andn2_b64 s[0:1], s[0:1], exec
	s_and_b64 s[8:9], s[8:9], exec
	v_mov_b32_e32 v53, 0
	s_or_b64 s[0:1], s[0:1], s[8:9]
	s_or_b64 exec, exec, s[6:7]
	s_and_saveexec_b64 s[6:7], s[0:1]
	s_cbranch_execnz .LBB284_819
	s_branch .LBB284_820
.LBB284_1228:                           ;   in Loop: Header=BB284_808 Depth=1
	v_cmp_eq_u16_e32 vcc, s20, v16
	s_mov_b64 s[0:1], -1
                                        ; implicit-def: $sgpr18
	s_and_saveexec_b64 s[8:9], vcc
; %bb.1229:                             ;   in Loop: Header=BB284_808 Depth=1
	s_mov_b32 s18, 0x7fc02000
	s_xor_b64 s[0:1], exec, -1
; %bb.1230:                             ;   in Loop: Header=BB284_808 Depth=1
	s_or_b64 exec, exec, s[8:9]
	s_and_b64 s[0:1], s[0:1], exec
	s_or_saveexec_b64 s[6:7], s[6:7]
	v_mov_b32_e32 v55, s18
	s_xor_b64 exec, exec, s[6:7]
	s_cbranch_execz .LBB284_822
.LBB284_1231:                           ;   in Loop: Header=BB284_808 Depth=1
	v_cmp_ne_u16_e32 vcc, 0, v16
	s_andn2_b64 s[0:1], s[0:1], exec
	s_and_b64 s[8:9], vcc, exec
	v_mov_b32_e32 v55, 0
	s_or_b64 s[0:1], s[0:1], s[8:9]
	s_or_b64 exec, exec, s[6:7]
	s_and_saveexec_b64 s[6:7], s[0:1]
	s_cbranch_execnz .LBB284_823
	s_branch .LBB284_824
.LBB284_1232:                           ;   in Loop: Header=BB284_808 Depth=1
	v_cmp_eq_u16_sdwa s[26:27], v51, s20 src0_sel:BYTE_0 src1_sel:DWORD
	s_mov_b64 s[0:1], -1
                                        ; implicit-def: $sgpr18
	s_and_saveexec_b64 s[8:9], s[26:27]
; %bb.1233:                             ;   in Loop: Header=BB284_808 Depth=1
	s_mov_b32 s18, 0x7fc02000
	s_xor_b64 s[0:1], exec, -1
; %bb.1234:                             ;   in Loop: Header=BB284_808 Depth=1
	s_or_b64 exec, exec, s[8:9]
	s_and_b64 s[0:1], s[0:1], exec
	s_or_saveexec_b64 s[6:7], s[6:7]
	v_mov_b32_e32 v22, s18
	s_xor_b64 exec, exec, s[6:7]
	s_cbranch_execz .LBB284_826
.LBB284_1235:                           ;   in Loop: Header=BB284_808 Depth=1
	v_cmp_ne_u16_sdwa s[8:9], v51, v17 src0_sel:BYTE_0 src1_sel:DWORD
	s_andn2_b64 s[0:1], s[0:1], exec
	s_and_b64 s[8:9], s[8:9], exec
	v_mov_b32_e32 v22, 0
	s_or_b64 s[0:1], s[0:1], s[8:9]
	s_or_b64 exec, exec, s[6:7]
	v_mov_b32_e32 v16, v51
	s_and_saveexec_b64 s[6:7], s[0:1]
	s_cbranch_execnz .LBB284_827
	s_branch .LBB284_828
.LBB284_1236:                           ;   in Loop: Header=BB284_808 Depth=1
	v_cmp_eq_u16_e32 vcc, s20, v16
	s_mov_b64 s[0:1], -1
                                        ; implicit-def: $sgpr18
	s_and_saveexec_b64 s[8:9], vcc
; %bb.1237:                             ;   in Loop: Header=BB284_808 Depth=1
	s_mov_b32 s18, 0x7fc02000
	s_xor_b64 s[0:1], exec, -1
; %bb.1238:                             ;   in Loop: Header=BB284_808 Depth=1
	s_or_b64 exec, exec, s[8:9]
	s_and_b64 s[0:1], s[0:1], exec
	s_or_saveexec_b64 s[6:7], s[6:7]
	v_mov_b32_e32 v23, s18
	s_xor_b64 exec, exec, s[6:7]
	s_cbranch_execz .LBB284_830
.LBB284_1239:                           ;   in Loop: Header=BB284_808 Depth=1
	v_cmp_ne_u16_e32 vcc, 0, v16
	s_andn2_b64 s[0:1], s[0:1], exec
	s_and_b64 s[8:9], vcc, exec
	v_mov_b32_e32 v23, 0
	s_or_b64 s[0:1], s[0:1], s[8:9]
	s_or_b64 exec, exec, s[6:7]
	s_and_saveexec_b64 s[6:7], s[0:1]
	s_cbranch_execnz .LBB284_831
	s_branch .LBB284_832
.LBB284_1240:                           ;   in Loop: Header=BB284_808 Depth=1
	v_cmp_eq_u16_sdwa s[26:27], v16, s20 src0_sel:BYTE_0 src1_sel:DWORD
	s_mov_b64 s[0:1], -1
                                        ; implicit-def: $sgpr18
	s_and_saveexec_b64 s[8:9], s[26:27]
; %bb.1241:                             ;   in Loop: Header=BB284_808 Depth=1
	s_mov_b32 s18, 0x7fc02000
	s_xor_b64 s[0:1], exec, -1
; %bb.1242:                             ;   in Loop: Header=BB284_808 Depth=1
	s_or_b64 exec, exec, s[8:9]
	s_and_b64 s[0:1], s[0:1], exec
	s_or_saveexec_b64 s[6:7], s[6:7]
	v_mov_b32_e32 v30, s18
	s_xor_b64 exec, exec, s[6:7]
	s_cbranch_execz .LBB284_834
.LBB284_1243:                           ;   in Loop: Header=BB284_808 Depth=1
	v_cmp_ne_u16_sdwa s[8:9], v16, v17 src0_sel:BYTE_0 src1_sel:DWORD
	s_andn2_b64 s[0:1], s[0:1], exec
	s_and_b64 s[8:9], s[8:9], exec
	v_mov_b32_e32 v30, 0
	s_or_b64 s[0:1], s[0:1], s[8:9]
	s_or_b64 exec, exec, s[6:7]
	s_and_saveexec_b64 s[6:7], s[0:1]
	s_cbranch_execnz .LBB284_835
	s_branch .LBB284_836
.LBB284_1244:                           ;   in Loop: Header=BB284_808 Depth=1
	v_cmp_eq_u16_e32 vcc, s20, v16
	s_mov_b64 s[0:1], -1
                                        ; implicit-def: $sgpr18
	s_and_saveexec_b64 s[8:9], vcc
; %bb.1245:                             ;   in Loop: Header=BB284_808 Depth=1
	s_mov_b32 s18, 0x7fc02000
	s_xor_b64 s[0:1], exec, -1
; %bb.1246:                             ;   in Loop: Header=BB284_808 Depth=1
	s_or_b64 exec, exec, s[8:9]
	s_and_b64 s[0:1], s[0:1], exec
	s_or_saveexec_b64 s[6:7], s[6:7]
	v_mov_b32_e32 v32, s18
	s_xor_b64 exec, exec, s[6:7]
	s_cbranch_execz .LBB284_838
.LBB284_1247:                           ;   in Loop: Header=BB284_808 Depth=1
	v_cmp_ne_u16_e32 vcc, 0, v16
	s_andn2_b64 s[0:1], s[0:1], exec
	s_and_b64 s[8:9], vcc, exec
	v_mov_b32_e32 v32, 0
	s_or_b64 s[0:1], s[0:1], s[8:9]
	s_or_b64 exec, exec, s[6:7]
	s_and_saveexec_b64 s[6:7], s[0:1]
	s_cbranch_execnz .LBB284_839
	s_branch .LBB284_840
.LBB284_1248:                           ;   in Loop: Header=BB284_808 Depth=1
	v_cmp_eq_u16_sdwa s[26:27], v50, s20 src0_sel:BYTE_0 src1_sel:DWORD
	s_mov_b64 s[0:1], -1
                                        ; implicit-def: $sgpr18
	s_and_saveexec_b64 s[8:9], s[26:27]
; %bb.1249:                             ;   in Loop: Header=BB284_808 Depth=1
	s_mov_b32 s18, 0x7fc02000
	s_xor_b64 s[0:1], exec, -1
; %bb.1250:                             ;   in Loop: Header=BB284_808 Depth=1
	s_or_b64 exec, exec, s[8:9]
	s_and_b64 s[0:1], s[0:1], exec
	s_or_saveexec_b64 s[6:7], s[6:7]
	v_mov_b32_e32 v52, s18
	s_xor_b64 exec, exec, s[6:7]
	s_cbranch_execz .LBB284_844
.LBB284_1251:                           ;   in Loop: Header=BB284_808 Depth=1
	v_cmp_ne_u16_sdwa s[8:9], v50, v17 src0_sel:BYTE_0 src1_sel:DWORD
	s_andn2_b64 s[0:1], s[0:1], exec
	s_and_b64 s[8:9], s[8:9], exec
	v_mov_b32_e32 v52, 0
	s_or_b64 s[0:1], s[0:1], s[8:9]
	s_or_b64 exec, exec, s[6:7]
	s_and_saveexec_b64 s[6:7], s[0:1]
	s_cbranch_execnz .LBB284_845
	s_branch .LBB284_846
.LBB284_1252:                           ;   in Loop: Header=BB284_808 Depth=1
	v_cmp_eq_u16_e64 s[0:1], s20, v16
	s_mov_b64 s[6:7], -1
                                        ; implicit-def: $sgpr26
	s_and_saveexec_b64 s[18:19], s[0:1]
; %bb.1253:                             ;   in Loop: Header=BB284_808 Depth=1
	s_mov_b32 s26, 0x7fc02000
	s_xor_b64 s[6:7], exec, -1
; %bb.1254:                             ;   in Loop: Header=BB284_808 Depth=1
	s_or_b64 exec, exec, s[18:19]
	s_and_b64 s[6:7], s[6:7], exec
	s_or_saveexec_b64 s[8:9], s[8:9]
	v_mov_b32_e32 v54, s26
	s_xor_b64 exec, exec, s[8:9]
	s_cbranch_execz .LBB284_848
.LBB284_1255:                           ;   in Loop: Header=BB284_808 Depth=1
	v_cmp_ne_u16_e64 s[0:1], 0, v16
	s_andn2_b64 s[6:7], s[6:7], exec
	s_and_b64 s[0:1], s[0:1], exec
	v_mov_b32_e32 v54, 0
	s_or_b64 s[6:7], s[6:7], s[0:1]
	s_or_b64 exec, exec, s[8:9]
	s_and_saveexec_b64 s[8:9], s[6:7]
	s_cbranch_execnz .LBB284_849
	s_branch .LBB284_850
.LBB284_1256:                           ;   in Loop: Header=BB284_808 Depth=1
	v_cmp_eq_u16_sdwa s[26:27], v16, s20 src0_sel:BYTE_0 src1_sel:DWORD
	s_mov_b64 s[0:1], -1
                                        ; implicit-def: $sgpr18
	s_and_saveexec_b64 s[8:9], s[26:27]
; %bb.1257:                             ;   in Loop: Header=BB284_808 Depth=1
	s_mov_b32 s18, 0x7fc02000
	s_xor_b64 s[0:1], exec, -1
; %bb.1258:                             ;   in Loop: Header=BB284_808 Depth=1
	s_or_b64 exec, exec, s[8:9]
	s_and_b64 s[0:1], s[0:1], exec
	s_or_saveexec_b64 s[6:7], s[6:7]
	v_mov_b32_e32 v53, s18
	s_xor_b64 exec, exec, s[6:7]
	s_cbranch_execz .LBB284_852
.LBB284_1259:                           ;   in Loop: Header=BB284_808 Depth=1
	v_cmp_ne_u16_sdwa s[8:9], v16, v17 src0_sel:BYTE_0 src1_sel:DWORD
	s_andn2_b64 s[0:1], s[0:1], exec
	s_and_b64 s[8:9], s[8:9], exec
	v_mov_b32_e32 v53, 0
	s_or_b64 s[0:1], s[0:1], s[8:9]
	s_or_b64 exec, exec, s[6:7]
	s_and_saveexec_b64 s[6:7], s[0:1]
	s_cbranch_execnz .LBB284_853
	s_branch .LBB284_854
.LBB284_1260:                           ;   in Loop: Header=BB284_808 Depth=1
	v_cmp_eq_u16_e64 s[0:1], s20, v16
	s_mov_b64 s[6:7], -1
                                        ; implicit-def: $sgpr26
	s_and_saveexec_b64 s[18:19], s[0:1]
; %bb.1261:                             ;   in Loop: Header=BB284_808 Depth=1
	s_mov_b32 s26, 0x7fc02000
	s_xor_b64 s[6:7], exec, -1
; %bb.1262:                             ;   in Loop: Header=BB284_808 Depth=1
	s_or_b64 exec, exec, s[18:19]
	s_and_b64 s[6:7], s[6:7], exec
	s_or_saveexec_b64 s[8:9], s[8:9]
	v_mov_b32_e32 v55, s26
	s_xor_b64 exec, exec, s[8:9]
	s_cbranch_execz .LBB284_856
.LBB284_1263:                           ;   in Loop: Header=BB284_808 Depth=1
	v_cmp_ne_u16_e64 s[0:1], 0, v16
	s_andn2_b64 s[6:7], s[6:7], exec
	s_and_b64 s[0:1], s[0:1], exec
	v_mov_b32_e32 v55, 0
	s_or_b64 s[6:7], s[6:7], s[0:1]
	s_or_b64 exec, exec, s[8:9]
	s_and_saveexec_b64 s[8:9], s[6:7]
	s_cbranch_execnz .LBB284_857
	s_branch .LBB284_858
.LBB284_1264:                           ;   in Loop: Header=BB284_808 Depth=1
	v_cmp_eq_u16_sdwa s[26:27], v51, s20 src0_sel:BYTE_0 src1_sel:DWORD
	s_mov_b64 s[0:1], -1
                                        ; implicit-def: $sgpr18
	s_and_saveexec_b64 s[8:9], s[26:27]
; %bb.1265:                             ;   in Loop: Header=BB284_808 Depth=1
	s_mov_b32 s18, 0x7fc02000
	s_xor_b64 s[0:1], exec, -1
; %bb.1266:                             ;   in Loop: Header=BB284_808 Depth=1
	s_or_b64 exec, exec, s[8:9]
	s_and_b64 s[0:1], s[0:1], exec
	s_or_saveexec_b64 s[6:7], s[6:7]
	v_mov_b32_e32 v6, s18
	s_xor_b64 exec, exec, s[6:7]
	s_cbranch_execz .LBB284_860
.LBB284_1267:                           ;   in Loop: Header=BB284_808 Depth=1
	v_cmp_ne_u16_sdwa s[8:9], v51, v17 src0_sel:BYTE_0 src1_sel:DWORD
	s_andn2_b64 s[0:1], s[0:1], exec
	s_and_b64 s[8:9], s[8:9], exec
	v_mov_b32_e32 v6, 0
	s_or_b64 s[0:1], s[0:1], s[8:9]
	s_or_b64 exec, exec, s[6:7]
	v_mov_b32_e32 v16, v51
	s_and_saveexec_b64 s[6:7], s[0:1]
	s_cbranch_execnz .LBB284_861
	s_branch .LBB284_862
.LBB284_1268:                           ;   in Loop: Header=BB284_808 Depth=1
	v_cmp_eq_u16_e64 s[0:1], s20, v16
	s_mov_b64 s[6:7], -1
                                        ; implicit-def: $sgpr26
	s_and_saveexec_b64 s[18:19], s[0:1]
; %bb.1269:                             ;   in Loop: Header=BB284_808 Depth=1
	s_mov_b32 s26, 0x7fc02000
	s_xor_b64 s[6:7], exec, -1
; %bb.1270:                             ;   in Loop: Header=BB284_808 Depth=1
	s_or_b64 exec, exec, s[18:19]
	s_and_b64 s[6:7], s[6:7], exec
	s_or_saveexec_b64 s[8:9], s[8:9]
	v_mov_b32_e32 v7, s26
	s_xor_b64 exec, exec, s[8:9]
	s_cbranch_execz .LBB284_864
.LBB284_1271:                           ;   in Loop: Header=BB284_808 Depth=1
	v_cmp_ne_u16_e64 s[0:1], 0, v16
	s_andn2_b64 s[6:7], s[6:7], exec
	s_and_b64 s[0:1], s[0:1], exec
	v_mov_b32_e32 v7, 0
	s_or_b64 s[6:7], s[6:7], s[0:1]
	s_or_b64 exec, exec, s[8:9]
	s_and_saveexec_b64 s[8:9], s[6:7]
	s_cbranch_execnz .LBB284_865
	s_branch .LBB284_866
.LBB284_1272:                           ;   in Loop: Header=BB284_808 Depth=1
	v_cmp_eq_u16_sdwa s[26:27], v16, s20 src0_sel:BYTE_0 src1_sel:DWORD
	s_mov_b64 s[0:1], -1
                                        ; implicit-def: $sgpr18
	s_and_saveexec_b64 s[8:9], s[26:27]
; %bb.1273:                             ;   in Loop: Header=BB284_808 Depth=1
	s_mov_b32 s18, 0x7fc02000
	s_xor_b64 s[0:1], exec, -1
; %bb.1274:                             ;   in Loop: Header=BB284_808 Depth=1
	s_or_b64 exec, exec, s[8:9]
	s_and_b64 s[0:1], s[0:1], exec
	s_or_saveexec_b64 s[6:7], s[6:7]
	v_mov_b32_e32 v12, s18
	s_xor_b64 exec, exec, s[6:7]
	s_cbranch_execz .LBB284_868
.LBB284_1275:                           ;   in Loop: Header=BB284_808 Depth=1
	v_cmp_ne_u16_sdwa s[8:9], v16, v17 src0_sel:BYTE_0 src1_sel:DWORD
	s_andn2_b64 s[0:1], s[0:1], exec
	s_and_b64 s[8:9], s[8:9], exec
	v_mov_b32_e32 v12, 0
	s_or_b64 s[0:1], s[0:1], s[8:9]
	s_or_b64 exec, exec, s[6:7]
	s_and_saveexec_b64 s[6:7], s[0:1]
	s_cbranch_execnz .LBB284_869
	s_branch .LBB284_870
.LBB284_1276:                           ;   in Loop: Header=BB284_808 Depth=1
	v_cmp_eq_u16_e64 s[0:1], s20, v16
	s_mov_b64 s[6:7], -1
                                        ; implicit-def: $sgpr26
	s_and_saveexec_b64 s[18:19], s[0:1]
; %bb.1277:                             ;   in Loop: Header=BB284_808 Depth=1
	s_mov_b32 s26, 0x7fc02000
	s_xor_b64 s[6:7], exec, -1
; %bb.1278:                             ;   in Loop: Header=BB284_808 Depth=1
	s_or_b64 exec, exec, s[18:19]
	s_and_b64 s[6:7], s[6:7], exec
	s_or_saveexec_b64 s[8:9], s[8:9]
	v_mov_b32_e32 v18, s26
	s_xor_b64 exec, exec, s[8:9]
	s_cbranch_execz .LBB284_872
.LBB284_1279:                           ;   in Loop: Header=BB284_808 Depth=1
	v_cmp_ne_u16_e64 s[0:1], 0, v16
	s_andn2_b64 s[6:7], s[6:7], exec
	s_and_b64 s[0:1], s[0:1], exec
	v_mov_b32_e32 v18, 0
	s_or_b64 s[6:7], s[6:7], s[0:1]
	s_or_b64 exec, exec, s[8:9]
	s_and_saveexec_b64 s[8:9], s[6:7]
	s_cbranch_execnz .LBB284_873
	s_branch .LBB284_874
.LBB284_1280:                           ;   in Loop: Header=BB284_808 Depth=1
	v_cmp_eq_u16_sdwa s[26:27], v50, s20 src0_sel:BYTE_0 src1_sel:DWORD
	s_mov_b64 s[0:1], -1
                                        ; implicit-def: $sgpr18
	s_and_saveexec_b64 s[8:9], s[26:27]
; %bb.1281:                             ;   in Loop: Header=BB284_808 Depth=1
	s_mov_b32 s18, 0x7fc02000
	s_xor_b64 s[0:1], exec, -1
; %bb.1282:                             ;   in Loop: Header=BB284_808 Depth=1
	s_or_b64 exec, exec, s[8:9]
	s_and_b64 s[0:1], s[0:1], exec
	s_or_saveexec_b64 s[6:7], s[6:7]
	v_mov_b32_e32 v52, s18
	s_xor_b64 exec, exec, s[6:7]
	s_cbranch_execz .LBB284_878
.LBB284_1283:                           ;   in Loop: Header=BB284_808 Depth=1
	v_cmp_ne_u16_sdwa s[8:9], v50, v17 src0_sel:BYTE_0 src1_sel:DWORD
	s_andn2_b64 s[0:1], s[0:1], exec
	s_and_b64 s[8:9], s[8:9], exec
	v_mov_b32_e32 v52, 0
	s_or_b64 s[0:1], s[0:1], s[8:9]
	s_or_b64 exec, exec, s[6:7]
	s_and_saveexec_b64 s[6:7], s[0:1]
	s_cbranch_execnz .LBB284_879
	s_branch .LBB284_880
.LBB284_1284:                           ;   in Loop: Header=BB284_808 Depth=1
	v_cmp_eq_u16_e64 s[0:1], s20, v16
	s_mov_b64 s[6:7], -1
                                        ; implicit-def: $sgpr26
	s_and_saveexec_b64 s[18:19], s[0:1]
; %bb.1285:                             ;   in Loop: Header=BB284_808 Depth=1
	s_mov_b32 s26, 0x7fc02000
	s_xor_b64 s[6:7], exec, -1
; %bb.1286:                             ;   in Loop: Header=BB284_808 Depth=1
	s_or_b64 exec, exec, s[18:19]
	s_and_b64 s[6:7], s[6:7], exec
	s_or_saveexec_b64 s[8:9], s[8:9]
	v_mov_b32_e32 v54, s26
	s_xor_b64 exec, exec, s[8:9]
	s_cbranch_execz .LBB284_882
.LBB284_1287:                           ;   in Loop: Header=BB284_808 Depth=1
	v_cmp_ne_u16_e64 s[0:1], 0, v16
	s_andn2_b64 s[6:7], s[6:7], exec
	s_and_b64 s[0:1], s[0:1], exec
	v_mov_b32_e32 v54, 0
	s_or_b64 s[6:7], s[6:7], s[0:1]
	s_or_b64 exec, exec, s[8:9]
	s_and_saveexec_b64 s[8:9], s[6:7]
	s_cbranch_execnz .LBB284_883
	s_branch .LBB284_884
.LBB284_1288:                           ;   in Loop: Header=BB284_808 Depth=1
	v_cmp_eq_u16_sdwa s[26:27], v16, s20 src0_sel:BYTE_0 src1_sel:DWORD
	s_mov_b64 s[0:1], -1
                                        ; implicit-def: $sgpr18
	s_and_saveexec_b64 s[8:9], s[26:27]
; %bb.1289:                             ;   in Loop: Header=BB284_808 Depth=1
	s_mov_b32 s18, 0x7fc02000
	s_xor_b64 s[0:1], exec, -1
; %bb.1290:                             ;   in Loop: Header=BB284_808 Depth=1
	s_or_b64 exec, exec, s[8:9]
	s_and_b64 s[0:1], s[0:1], exec
	s_or_saveexec_b64 s[6:7], s[6:7]
	v_mov_b32_e32 v53, s18
	s_xor_b64 exec, exec, s[6:7]
	s_cbranch_execz .LBB284_886
.LBB284_1291:                           ;   in Loop: Header=BB284_808 Depth=1
	v_cmp_ne_u16_sdwa s[8:9], v16, v17 src0_sel:BYTE_0 src1_sel:DWORD
	s_andn2_b64 s[0:1], s[0:1], exec
	s_and_b64 s[8:9], s[8:9], exec
	v_mov_b32_e32 v53, 0
	s_or_b64 s[0:1], s[0:1], s[8:9]
	s_or_b64 exec, exec, s[6:7]
	s_and_saveexec_b64 s[6:7], s[0:1]
	s_cbranch_execnz .LBB284_887
	s_branch .LBB284_888
.LBB284_1292:                           ;   in Loop: Header=BB284_808 Depth=1
	v_cmp_eq_u16_e64 s[0:1], s20, v16
	s_mov_b64 s[6:7], -1
                                        ; implicit-def: $sgpr26
	s_and_saveexec_b64 s[18:19], s[0:1]
; %bb.1293:                             ;   in Loop: Header=BB284_808 Depth=1
	s_mov_b32 s26, 0x7fc02000
	s_xor_b64 s[6:7], exec, -1
; %bb.1294:                             ;   in Loop: Header=BB284_808 Depth=1
	s_or_b64 exec, exec, s[18:19]
	s_and_b64 s[6:7], s[6:7], exec
	s_or_saveexec_b64 s[8:9], s[8:9]
	v_mov_b32_e32 v55, s26
	s_xor_b64 exec, exec, s[8:9]
	s_cbranch_execz .LBB284_890
.LBB284_1295:                           ;   in Loop: Header=BB284_808 Depth=1
	v_cmp_ne_u16_e64 s[0:1], 0, v16
	s_andn2_b64 s[6:7], s[6:7], exec
	s_and_b64 s[0:1], s[0:1], exec
	v_mov_b32_e32 v55, 0
	s_or_b64 s[6:7], s[6:7], s[0:1]
	s_or_b64 exec, exec, s[8:9]
	s_and_saveexec_b64 s[8:9], s[6:7]
	s_cbranch_execnz .LBB284_891
	s_branch .LBB284_892
.LBB284_1296:                           ;   in Loop: Header=BB284_808 Depth=1
	v_cmp_eq_u16_sdwa s[26:27], v51, s20 src0_sel:BYTE_0 src1_sel:DWORD
	s_mov_b64 s[0:1], -1
                                        ; implicit-def: $sgpr18
	s_and_saveexec_b64 s[8:9], s[26:27]
; %bb.1297:                             ;   in Loop: Header=BB284_808 Depth=1
	s_mov_b32 s18, 0x7fc02000
	s_xor_b64 s[0:1], exec, -1
; %bb.1298:                             ;   in Loop: Header=BB284_808 Depth=1
	s_or_b64 exec, exec, s[8:9]
	s_and_b64 s[0:1], s[0:1], exec
	s_or_saveexec_b64 s[6:7], s[6:7]
	v_mov_b32_e32 v7, s18
	s_xor_b64 exec, exec, s[6:7]
	s_cbranch_execz .LBB284_894
.LBB284_1299:                           ;   in Loop: Header=BB284_808 Depth=1
	v_cmp_ne_u16_sdwa s[8:9], v51, v17 src0_sel:BYTE_0 src1_sel:DWORD
	s_andn2_b64 s[0:1], s[0:1], exec
	s_and_b64 s[8:9], s[8:9], exec
	v_mov_b32_e32 v7, 0
	s_or_b64 s[0:1], s[0:1], s[8:9]
	s_or_b64 exec, exec, s[6:7]
	v_mov_b32_e32 v16, v51
	s_and_saveexec_b64 s[6:7], s[0:1]
	s_cbranch_execnz .LBB284_895
	s_branch .LBB284_896
.LBB284_1300:                           ;   in Loop: Header=BB284_808 Depth=1
	v_cmp_eq_u16_e64 s[0:1], s20, v16
	s_mov_b64 s[6:7], -1
                                        ; implicit-def: $sgpr26
	s_and_saveexec_b64 s[18:19], s[0:1]
; %bb.1301:                             ;   in Loop: Header=BB284_808 Depth=1
	s_mov_b32 s26, 0x7fc02000
	s_xor_b64 s[6:7], exec, -1
; %bb.1302:                             ;   in Loop: Header=BB284_808 Depth=1
	s_or_b64 exec, exec, s[18:19]
	s_and_b64 s[6:7], s[6:7], exec
	s_or_saveexec_b64 s[8:9], s[8:9]
	v_mov_b32_e32 v12, s26
	s_xor_b64 exec, exec, s[8:9]
	s_cbranch_execz .LBB284_898
.LBB284_1303:                           ;   in Loop: Header=BB284_808 Depth=1
	v_cmp_ne_u16_e64 s[0:1], 0, v16
	s_andn2_b64 s[6:7], s[6:7], exec
	s_and_b64 s[0:1], s[0:1], exec
	v_mov_b32_e32 v12, 0
	s_or_b64 s[6:7], s[6:7], s[0:1]
	s_or_b64 exec, exec, s[8:9]
	s_and_saveexec_b64 s[8:9], s[6:7]
	s_cbranch_execnz .LBB284_899
	s_branch .LBB284_900
.LBB284_1304:                           ;   in Loop: Header=BB284_808 Depth=1
	v_cmp_eq_u16_sdwa s[26:27], v16, s20 src0_sel:BYTE_0 src1_sel:DWORD
	s_mov_b64 s[0:1], -1
                                        ; implicit-def: $sgpr18
	s_and_saveexec_b64 s[8:9], s[26:27]
; %bb.1305:                             ;   in Loop: Header=BB284_808 Depth=1
	s_mov_b32 s18, 0x7fc02000
	s_xor_b64 s[0:1], exec, -1
; %bb.1306:                             ;   in Loop: Header=BB284_808 Depth=1
	s_or_b64 exec, exec, s[8:9]
	s_and_b64 s[0:1], s[0:1], exec
	s_or_saveexec_b64 s[6:7], s[6:7]
	v_mov_b32_e32 v14, s18
	s_xor_b64 exec, exec, s[6:7]
	s_cbranch_execz .LBB284_902
.LBB284_1307:                           ;   in Loop: Header=BB284_808 Depth=1
	v_cmp_ne_u16_sdwa s[8:9], v16, v17 src0_sel:BYTE_0 src1_sel:DWORD
	s_andn2_b64 s[0:1], s[0:1], exec
	s_and_b64 s[8:9], s[8:9], exec
	v_mov_b32_e32 v14, 0
	s_or_b64 s[0:1], s[0:1], s[8:9]
	s_or_b64 exec, exec, s[6:7]
	s_and_saveexec_b64 s[6:7], s[0:1]
	s_cbranch_execnz .LBB284_903
	s_branch .LBB284_904
.LBB284_1308:                           ;   in Loop: Header=BB284_808 Depth=1
	v_cmp_eq_u16_e64 s[0:1], s20, v16
	s_mov_b64 s[6:7], -1
                                        ; implicit-def: $sgpr26
	s_and_saveexec_b64 s[18:19], s[0:1]
; %bb.1309:                             ;   in Loop: Header=BB284_808 Depth=1
	s_mov_b32 s26, 0x7fc02000
	s_xor_b64 s[6:7], exec, -1
; %bb.1310:                             ;   in Loop: Header=BB284_808 Depth=1
	s_or_b64 exec, exec, s[18:19]
	s_and_b64 s[6:7], s[6:7], exec
	s_or_saveexec_b64 s[8:9], s[8:9]
	v_mov_b32_e32 v18, s26
	s_xor_b64 exec, exec, s[8:9]
	s_cbranch_execz .LBB284_906
.LBB284_1311:                           ;   in Loop: Header=BB284_808 Depth=1
	v_cmp_ne_u16_e64 s[0:1], 0, v16
	s_andn2_b64 s[6:7], s[6:7], exec
	s_and_b64 s[0:1], s[0:1], exec
	v_mov_b32_e32 v18, 0
	s_or_b64 s[6:7], s[6:7], s[0:1]
	s_or_b64 exec, exec, s[8:9]
	s_and_saveexec_b64 s[8:9], s[6:7]
	s_cbranch_execnz .LBB284_907
	s_branch .LBB284_908
.LBB284_1312:                           ;   in Loop: Header=BB284_808 Depth=1
	v_cmp_eq_u16_sdwa s[26:27], v50, s20 src0_sel:BYTE_0 src1_sel:DWORD
	s_mov_b64 s[0:1], -1
                                        ; implicit-def: $sgpr18
	s_and_saveexec_b64 s[8:9], s[26:27]
; %bb.1313:                             ;   in Loop: Header=BB284_808 Depth=1
	s_mov_b32 s18, 0x7fc02000
	s_xor_b64 s[0:1], exec, -1
; %bb.1314:                             ;   in Loop: Header=BB284_808 Depth=1
	s_or_b64 exec, exec, s[8:9]
	s_and_b64 s[0:1], s[0:1], exec
	s_or_saveexec_b64 s[6:7], s[6:7]
	v_mov_b32_e32 v52, s18
	s_xor_b64 exec, exec, s[6:7]
	s_cbranch_execz .LBB284_912
.LBB284_1315:                           ;   in Loop: Header=BB284_808 Depth=1
	v_cmp_ne_u16_sdwa s[8:9], v50, v17 src0_sel:BYTE_0 src1_sel:DWORD
	s_andn2_b64 s[0:1], s[0:1], exec
	s_and_b64 s[8:9], s[8:9], exec
	v_mov_b32_e32 v52, 0
	s_or_b64 s[0:1], s[0:1], s[8:9]
	s_or_b64 exec, exec, s[6:7]
	s_and_saveexec_b64 s[6:7], s[0:1]
	s_cbranch_execnz .LBB284_913
	s_branch .LBB284_914
.LBB284_1316:                           ;   in Loop: Header=BB284_808 Depth=1
	v_cmp_eq_u16_e64 s[0:1], s20, v16
	s_mov_b64 s[6:7], -1
                                        ; implicit-def: $sgpr26
	s_and_saveexec_b64 s[18:19], s[0:1]
; %bb.1317:                             ;   in Loop: Header=BB284_808 Depth=1
	s_mov_b32 s26, 0x7fc02000
	s_xor_b64 s[6:7], exec, -1
; %bb.1318:                             ;   in Loop: Header=BB284_808 Depth=1
	s_or_b64 exec, exec, s[18:19]
	s_and_b64 s[6:7], s[6:7], exec
	s_or_saveexec_b64 s[8:9], s[8:9]
	v_mov_b32_e32 v54, s26
	s_xor_b64 exec, exec, s[8:9]
	s_cbranch_execz .LBB284_916
.LBB284_1319:                           ;   in Loop: Header=BB284_808 Depth=1
	v_cmp_ne_u16_e64 s[0:1], 0, v16
	s_andn2_b64 s[6:7], s[6:7], exec
	s_and_b64 s[0:1], s[0:1], exec
	v_mov_b32_e32 v54, 0
	s_or_b64 s[6:7], s[6:7], s[0:1]
	s_or_b64 exec, exec, s[8:9]
	s_and_saveexec_b64 s[8:9], s[6:7]
	s_cbranch_execnz .LBB284_917
	s_branch .LBB284_918
.LBB284_1320:                           ;   in Loop: Header=BB284_808 Depth=1
	v_cmp_eq_u16_sdwa s[26:27], v16, s20 src0_sel:BYTE_0 src1_sel:DWORD
	s_mov_b64 s[0:1], -1
                                        ; implicit-def: $sgpr18
	s_and_saveexec_b64 s[8:9], s[26:27]
; %bb.1321:                             ;   in Loop: Header=BB284_808 Depth=1
	s_mov_b32 s18, 0x7fc02000
	s_xor_b64 s[0:1], exec, -1
; %bb.1322:                             ;   in Loop: Header=BB284_808 Depth=1
	s_or_b64 exec, exec, s[8:9]
	s_and_b64 s[0:1], s[0:1], exec
	s_or_saveexec_b64 s[6:7], s[6:7]
	v_mov_b32_e32 v53, s18
	s_xor_b64 exec, exec, s[6:7]
	s_cbranch_execz .LBB284_920
.LBB284_1323:                           ;   in Loop: Header=BB284_808 Depth=1
	v_cmp_ne_u16_sdwa s[8:9], v16, v17 src0_sel:BYTE_0 src1_sel:DWORD
	s_andn2_b64 s[0:1], s[0:1], exec
	s_and_b64 s[8:9], s[8:9], exec
	v_mov_b32_e32 v53, 0
	s_or_b64 s[0:1], s[0:1], s[8:9]
	s_or_b64 exec, exec, s[6:7]
	s_and_saveexec_b64 s[6:7], s[0:1]
	s_cbranch_execnz .LBB284_921
	s_branch .LBB284_922
.LBB284_1324:                           ;   in Loop: Header=BB284_808 Depth=1
	v_cmp_eq_u16_e64 s[0:1], s20, v16
	s_mov_b64 s[6:7], -1
                                        ; implicit-def: $sgpr26
	s_and_saveexec_b64 s[18:19], s[0:1]
; %bb.1325:                             ;   in Loop: Header=BB284_808 Depth=1
	s_mov_b32 s26, 0x7fc02000
	s_xor_b64 s[6:7], exec, -1
; %bb.1326:                             ;   in Loop: Header=BB284_808 Depth=1
	s_or_b64 exec, exec, s[18:19]
	s_and_b64 s[6:7], s[6:7], exec
	s_or_saveexec_b64 s[8:9], s[8:9]
	v_mov_b32_e32 v55, s26
	s_xor_b64 exec, exec, s[8:9]
	s_cbranch_execz .LBB284_924
.LBB284_1327:                           ;   in Loop: Header=BB284_808 Depth=1
	v_cmp_ne_u16_e64 s[0:1], 0, v16
	s_andn2_b64 s[6:7], s[6:7], exec
	s_and_b64 s[0:1], s[0:1], exec
	v_mov_b32_e32 v55, 0
	s_or_b64 s[6:7], s[6:7], s[0:1]
	s_or_b64 exec, exec, s[8:9]
	s_and_saveexec_b64 s[8:9], s[6:7]
	s_cbranch_execnz .LBB284_925
	s_branch .LBB284_926
.LBB284_1328:                           ;   in Loop: Header=BB284_808 Depth=1
	v_cmp_eq_u16_sdwa s[26:27], v51, s20 src0_sel:BYTE_0 src1_sel:DWORD
	s_mov_b64 s[0:1], -1
                                        ; implicit-def: $sgpr18
	s_and_saveexec_b64 s[8:9], s[26:27]
; %bb.1329:                             ;   in Loop: Header=BB284_808 Depth=1
	s_mov_b32 s18, 0x7fc02000
	s_xor_b64 s[0:1], exec, -1
; %bb.1330:                             ;   in Loop: Header=BB284_808 Depth=1
	s_or_b64 exec, exec, s[8:9]
	s_and_b64 s[0:1], s[0:1], exec
	s_or_saveexec_b64 s[6:7], s[6:7]
	v_mov_b32_e32 v12, s18
	s_xor_b64 exec, exec, s[6:7]
	s_cbranch_execz .LBB284_928
.LBB284_1331:                           ;   in Loop: Header=BB284_808 Depth=1
	v_cmp_ne_u16_sdwa s[8:9], v51, v17 src0_sel:BYTE_0 src1_sel:DWORD
	s_andn2_b64 s[0:1], s[0:1], exec
	s_and_b64 s[8:9], s[8:9], exec
	v_mov_b32_e32 v12, 0
	s_or_b64 s[0:1], s[0:1], s[8:9]
	s_or_b64 exec, exec, s[6:7]
	v_mov_b32_e32 v16, v51
	s_and_saveexec_b64 s[6:7], s[0:1]
	s_cbranch_execnz .LBB284_929
	s_branch .LBB284_930
.LBB284_1332:                           ;   in Loop: Header=BB284_808 Depth=1
	v_cmp_eq_u16_e64 s[0:1], s20, v16
	s_mov_b64 s[6:7], -1
                                        ; implicit-def: $sgpr26
	s_and_saveexec_b64 s[18:19], s[0:1]
; %bb.1333:                             ;   in Loop: Header=BB284_808 Depth=1
	s_mov_b32 s26, 0x7fc02000
	s_xor_b64 s[6:7], exec, -1
; %bb.1334:                             ;   in Loop: Header=BB284_808 Depth=1
	s_or_b64 exec, exec, s[18:19]
	s_and_b64 s[6:7], s[6:7], exec
	s_or_saveexec_b64 s[8:9], s[8:9]
	v_mov_b32_e32 v14, s26
	s_xor_b64 exec, exec, s[8:9]
	s_cbranch_execz .LBB284_932
.LBB284_1335:                           ;   in Loop: Header=BB284_808 Depth=1
	v_cmp_ne_u16_e64 s[0:1], 0, v16
	s_andn2_b64 s[6:7], s[6:7], exec
	s_and_b64 s[0:1], s[0:1], exec
	v_mov_b32_e32 v14, 0
	s_or_b64 s[6:7], s[6:7], s[0:1]
	s_or_b64 exec, exec, s[8:9]
	s_and_saveexec_b64 s[8:9], s[6:7]
	s_cbranch_execnz .LBB284_933
	s_branch .LBB284_934
.LBB284_1336:                           ;   in Loop: Header=BB284_808 Depth=1
	v_cmp_eq_u16_sdwa s[26:27], v16, s20 src0_sel:BYTE_0 src1_sel:DWORD
	s_mov_b64 s[0:1], -1
                                        ; implicit-def: $sgpr18
	s_and_saveexec_b64 s[8:9], s[26:27]
; %bb.1337:                             ;   in Loop: Header=BB284_808 Depth=1
	s_mov_b32 s18, 0x7fc02000
	s_xor_b64 s[0:1], exec, -1
; %bb.1338:                             ;   in Loop: Header=BB284_808 Depth=1
	s_or_b64 exec, exec, s[8:9]
	s_and_b64 s[0:1], s[0:1], exec
	s_or_saveexec_b64 s[6:7], s[6:7]
	v_mov_b32_e32 v15, s18
	s_xor_b64 exec, exec, s[6:7]
	s_cbranch_execz .LBB284_936
.LBB284_1339:                           ;   in Loop: Header=BB284_808 Depth=1
	v_cmp_ne_u16_sdwa s[8:9], v16, v17 src0_sel:BYTE_0 src1_sel:DWORD
	s_andn2_b64 s[0:1], s[0:1], exec
	s_and_b64 s[8:9], s[8:9], exec
	v_mov_b32_e32 v15, 0
	s_or_b64 s[0:1], s[0:1], s[8:9]
	s_or_b64 exec, exec, s[6:7]
	s_and_saveexec_b64 s[6:7], s[0:1]
	s_cbranch_execnz .LBB284_937
	s_branch .LBB284_938
.LBB284_1340:                           ;   in Loop: Header=BB284_808 Depth=1
	v_cmp_eq_u16_e64 s[0:1], s20, v16
	s_mov_b64 s[6:7], -1
                                        ; implicit-def: $sgpr26
	s_and_saveexec_b64 s[18:19], s[0:1]
; %bb.1341:                             ;   in Loop: Header=BB284_808 Depth=1
	s_mov_b32 s26, 0x7fc02000
	s_xor_b64 s[6:7], exec, -1
; %bb.1342:                             ;   in Loop: Header=BB284_808 Depth=1
	s_or_b64 exec, exec, s[18:19]
	s_and_b64 s[6:7], s[6:7], exec
	s_or_saveexec_b64 s[8:9], s[8:9]
	v_mov_b32_e32 v22, s26
	s_xor_b64 exec, exec, s[8:9]
	s_cbranch_execz .LBB284_940
.LBB284_1343:                           ;   in Loop: Header=BB284_808 Depth=1
	v_cmp_ne_u16_e64 s[0:1], 0, v16
	s_andn2_b64 s[6:7], s[6:7], exec
	s_and_b64 s[0:1], s[0:1], exec
	v_mov_b32_e32 v22, 0
	s_or_b64 s[6:7], s[6:7], s[0:1]
	s_or_b64 exec, exec, s[8:9]
	s_and_saveexec_b64 s[8:9], s[6:7]
	s_cbranch_execnz .LBB284_941
	s_branch .LBB284_942
.LBB284_1344:                           ;   in Loop: Header=BB284_808 Depth=1
	v_cmp_eq_u16_sdwa s[26:27], v50, s20 src0_sel:BYTE_0 src1_sel:DWORD
	s_mov_b64 s[0:1], -1
                                        ; implicit-def: $sgpr18
	s_and_saveexec_b64 s[8:9], s[26:27]
; %bb.1345:                             ;   in Loop: Header=BB284_808 Depth=1
	s_mov_b32 s18, 0x7fc02000
	s_xor_b64 s[0:1], exec, -1
; %bb.1346:                             ;   in Loop: Header=BB284_808 Depth=1
	s_or_b64 exec, exec, s[8:9]
	s_and_b64 s[0:1], s[0:1], exec
	s_or_saveexec_b64 s[6:7], s[6:7]
	v_mov_b32_e32 v52, s18
	s_xor_b64 exec, exec, s[6:7]
	s_cbranch_execz .LBB284_946
.LBB284_1347:                           ;   in Loop: Header=BB284_808 Depth=1
	v_cmp_ne_u16_sdwa s[8:9], v50, v17 src0_sel:BYTE_0 src1_sel:DWORD
	s_andn2_b64 s[0:1], s[0:1], exec
	s_and_b64 s[8:9], s[8:9], exec
	v_mov_b32_e32 v52, 0
	s_or_b64 s[0:1], s[0:1], s[8:9]
	s_or_b64 exec, exec, s[6:7]
	s_and_saveexec_b64 s[6:7], s[0:1]
	s_cbranch_execnz .LBB284_947
	s_branch .LBB284_948
.LBB284_1348:                           ;   in Loop: Header=BB284_808 Depth=1
	v_cmp_eq_u16_e64 s[0:1], s20, v16
	s_mov_b64 s[6:7], -1
                                        ; implicit-def: $sgpr26
	s_and_saveexec_b64 s[18:19], s[0:1]
; %bb.1349:                             ;   in Loop: Header=BB284_808 Depth=1
	s_mov_b32 s26, 0x7fc02000
	s_xor_b64 s[6:7], exec, -1
; %bb.1350:                             ;   in Loop: Header=BB284_808 Depth=1
	s_or_b64 exec, exec, s[18:19]
	s_and_b64 s[6:7], s[6:7], exec
	s_or_saveexec_b64 s[8:9], s[8:9]
	v_mov_b32_e32 v54, s26
	s_xor_b64 exec, exec, s[8:9]
	s_cbranch_execz .LBB284_950
.LBB284_1351:                           ;   in Loop: Header=BB284_808 Depth=1
	v_cmp_ne_u16_e64 s[0:1], 0, v16
	s_andn2_b64 s[6:7], s[6:7], exec
	s_and_b64 s[0:1], s[0:1], exec
	v_mov_b32_e32 v54, 0
	s_or_b64 s[6:7], s[6:7], s[0:1]
	s_or_b64 exec, exec, s[8:9]
	s_and_saveexec_b64 s[8:9], s[6:7]
	s_cbranch_execnz .LBB284_951
	s_branch .LBB284_952
.LBB284_1352:                           ;   in Loop: Header=BB284_808 Depth=1
	v_cmp_eq_u16_sdwa s[26:27], v16, s20 src0_sel:BYTE_0 src1_sel:DWORD
	s_mov_b64 s[0:1], -1
                                        ; implicit-def: $sgpr18
	s_and_saveexec_b64 s[8:9], s[26:27]
; %bb.1353:                             ;   in Loop: Header=BB284_808 Depth=1
	s_mov_b32 s18, 0x7fc02000
	s_xor_b64 s[0:1], exec, -1
; %bb.1354:                             ;   in Loop: Header=BB284_808 Depth=1
	s_or_b64 exec, exec, s[8:9]
	s_and_b64 s[0:1], s[0:1], exec
	s_or_saveexec_b64 s[6:7], s[6:7]
	v_mov_b32_e32 v53, s18
	s_xor_b64 exec, exec, s[6:7]
	s_cbranch_execz .LBB284_954
.LBB284_1355:                           ;   in Loop: Header=BB284_808 Depth=1
	v_cmp_ne_u16_sdwa s[8:9], v16, v17 src0_sel:BYTE_0 src1_sel:DWORD
	s_andn2_b64 s[0:1], s[0:1], exec
	s_and_b64 s[8:9], s[8:9], exec
	v_mov_b32_e32 v53, 0
	s_or_b64 s[0:1], s[0:1], s[8:9]
	s_or_b64 exec, exec, s[6:7]
	s_and_saveexec_b64 s[6:7], s[0:1]
	s_cbranch_execnz .LBB284_955
	s_branch .LBB284_956
.LBB284_1356:                           ;   in Loop: Header=BB284_808 Depth=1
	v_cmp_eq_u16_e64 s[0:1], s20, v16
	s_mov_b64 s[6:7], -1
                                        ; implicit-def: $sgpr26
	s_and_saveexec_b64 s[18:19], s[0:1]
; %bb.1357:                             ;   in Loop: Header=BB284_808 Depth=1
	s_mov_b32 s26, 0x7fc02000
	s_xor_b64 s[6:7], exec, -1
; %bb.1358:                             ;   in Loop: Header=BB284_808 Depth=1
	s_or_b64 exec, exec, s[18:19]
	s_and_b64 s[6:7], s[6:7], exec
	s_or_saveexec_b64 s[8:9], s[8:9]
	v_mov_b32_e32 v55, s26
	s_xor_b64 exec, exec, s[8:9]
	s_cbranch_execz .LBB284_958
.LBB284_1359:                           ;   in Loop: Header=BB284_808 Depth=1
	v_cmp_ne_u16_e64 s[0:1], 0, v16
	s_andn2_b64 s[6:7], s[6:7], exec
	s_and_b64 s[0:1], s[0:1], exec
	v_mov_b32_e32 v55, 0
	s_or_b64 s[6:7], s[6:7], s[0:1]
	s_or_b64 exec, exec, s[8:9]
	s_and_saveexec_b64 s[8:9], s[6:7]
	s_cbranch_execnz .LBB284_959
	s_branch .LBB284_960
.LBB284_1360:                           ;   in Loop: Header=BB284_808 Depth=1
	v_cmp_eq_u16_sdwa s[26:27], v51, s20 src0_sel:BYTE_0 src1_sel:DWORD
	s_mov_b64 s[0:1], -1
                                        ; implicit-def: $sgpr18
	s_and_saveexec_b64 s[8:9], s[26:27]
; %bb.1361:                             ;   in Loop: Header=BB284_808 Depth=1
	s_mov_b32 s18, 0x7fc02000
	s_xor_b64 s[0:1], exec, -1
; %bb.1362:                             ;   in Loop: Header=BB284_808 Depth=1
	s_or_b64 exec, exec, s[8:9]
	s_and_b64 s[0:1], s[0:1], exec
	s_or_saveexec_b64 s[6:7], s[6:7]
	v_mov_b32_e32 v12, s18
	s_xor_b64 exec, exec, s[6:7]
	s_cbranch_execz .LBB284_962
.LBB284_1363:                           ;   in Loop: Header=BB284_808 Depth=1
	v_cmp_ne_u16_sdwa s[8:9], v51, v17 src0_sel:BYTE_0 src1_sel:DWORD
	s_andn2_b64 s[0:1], s[0:1], exec
	s_and_b64 s[8:9], s[8:9], exec
	v_mov_b32_e32 v12, 0
	s_or_b64 s[0:1], s[0:1], s[8:9]
	s_or_b64 exec, exec, s[6:7]
	v_mov_b32_e32 v16, v51
	s_and_saveexec_b64 s[6:7], s[0:1]
	s_cbranch_execnz .LBB284_963
	s_branch .LBB284_964
.LBB284_1364:                           ;   in Loop: Header=BB284_808 Depth=1
	v_cmp_eq_u16_e64 s[0:1], s20, v16
	s_mov_b64 s[6:7], -1
                                        ; implicit-def: $sgpr26
	s_and_saveexec_b64 s[18:19], s[0:1]
; %bb.1365:                             ;   in Loop: Header=BB284_808 Depth=1
	s_mov_b32 s26, 0x7fc02000
	s_xor_b64 s[6:7], exec, -1
; %bb.1366:                             ;   in Loop: Header=BB284_808 Depth=1
	s_or_b64 exec, exec, s[18:19]
	s_and_b64 s[6:7], s[6:7], exec
	s_or_saveexec_b64 s[8:9], s[8:9]
	v_mov_b32_e32 v14, s26
	s_xor_b64 exec, exec, s[8:9]
	s_cbranch_execz .LBB284_966
.LBB284_1367:                           ;   in Loop: Header=BB284_808 Depth=1
	v_cmp_ne_u16_e64 s[0:1], 0, v16
	s_andn2_b64 s[6:7], s[6:7], exec
	s_and_b64 s[0:1], s[0:1], exec
	v_mov_b32_e32 v14, 0
	s_or_b64 s[6:7], s[6:7], s[0:1]
	s_or_b64 exec, exec, s[8:9]
	s_and_saveexec_b64 s[8:9], s[6:7]
	s_cbranch_execnz .LBB284_967
	s_branch .LBB284_968
.LBB284_1368:                           ;   in Loop: Header=BB284_808 Depth=1
	v_cmp_eq_u16_sdwa s[26:27], v16, s20 src0_sel:BYTE_0 src1_sel:DWORD
	s_mov_b64 s[0:1], -1
                                        ; implicit-def: $sgpr18
	s_and_saveexec_b64 s[8:9], s[26:27]
; %bb.1369:                             ;   in Loop: Header=BB284_808 Depth=1
	s_mov_b32 s18, 0x7fc02000
	s_xor_b64 s[0:1], exec, -1
; %bb.1370:                             ;   in Loop: Header=BB284_808 Depth=1
	s_or_b64 exec, exec, s[8:9]
	s_and_b64 s[0:1], s[0:1], exec
	s_or_saveexec_b64 s[6:7], s[6:7]
	v_mov_b32_e32 v15, s18
	s_xor_b64 exec, exec, s[6:7]
	s_cbranch_execz .LBB284_970
.LBB284_1371:                           ;   in Loop: Header=BB284_808 Depth=1
	v_cmp_ne_u16_sdwa s[8:9], v16, v17 src0_sel:BYTE_0 src1_sel:DWORD
	s_andn2_b64 s[0:1], s[0:1], exec
	s_and_b64 s[8:9], s[8:9], exec
	v_mov_b32_e32 v15, 0
	s_or_b64 s[0:1], s[0:1], s[8:9]
	s_or_b64 exec, exec, s[6:7]
	s_and_saveexec_b64 s[6:7], s[0:1]
	s_cbranch_execnz .LBB284_971
	s_branch .LBB284_972
.LBB284_1372:                           ;   in Loop: Header=BB284_808 Depth=1
	v_cmp_eq_u16_e64 s[0:1], s20, v16
	s_mov_b64 s[6:7], -1
                                        ; implicit-def: $sgpr26
	s_and_saveexec_b64 s[18:19], s[0:1]
; %bb.1373:                             ;   in Loop: Header=BB284_808 Depth=1
	s_mov_b32 s26, 0x7fc02000
	s_xor_b64 s[6:7], exec, -1
; %bb.1374:                             ;   in Loop: Header=BB284_808 Depth=1
	s_or_b64 exec, exec, s[18:19]
	s_and_b64 s[6:7], s[6:7], exec
	s_or_saveexec_b64 s[8:9], s[8:9]
	v_mov_b32_e32 v22, s26
	s_xor_b64 exec, exec, s[8:9]
	s_cbranch_execz .LBB284_974
.LBB284_1375:                           ;   in Loop: Header=BB284_808 Depth=1
	v_cmp_ne_u16_e64 s[0:1], 0, v16
	s_andn2_b64 s[6:7], s[6:7], exec
	s_and_b64 s[0:1], s[0:1], exec
	v_mov_b32_e32 v22, 0
	s_or_b64 s[6:7], s[6:7], s[0:1]
	s_or_b64 exec, exec, s[8:9]
	s_and_saveexec_b64 s[8:9], s[6:7]
	s_cbranch_execnz .LBB284_975
	s_branch .LBB284_976
.LBB284_1376:                           ;   in Loop: Header=BB284_808 Depth=1
	v_cmp_eq_u16_sdwa s[26:27], v50, s20 src0_sel:BYTE_0 src1_sel:DWORD
	s_mov_b64 s[0:1], -1
                                        ; implicit-def: $sgpr18
	s_and_saveexec_b64 s[8:9], s[26:27]
; %bb.1377:                             ;   in Loop: Header=BB284_808 Depth=1
	s_mov_b32 s18, 0x7fc02000
	s_xor_b64 s[0:1], exec, -1
; %bb.1378:                             ;   in Loop: Header=BB284_808 Depth=1
	s_or_b64 exec, exec, s[8:9]
	s_and_b64 s[0:1], s[0:1], exec
	s_or_saveexec_b64 s[6:7], s[6:7]
	v_mov_b32_e32 v52, s18
	s_xor_b64 exec, exec, s[6:7]
	s_cbranch_execz .LBB284_980
.LBB284_1379:                           ;   in Loop: Header=BB284_808 Depth=1
	v_cmp_ne_u16_sdwa s[8:9], v50, v17 src0_sel:BYTE_0 src1_sel:DWORD
	s_andn2_b64 s[0:1], s[0:1], exec
	s_and_b64 s[8:9], s[8:9], exec
	v_mov_b32_e32 v52, 0
	s_or_b64 s[0:1], s[0:1], s[8:9]
	s_or_b64 exec, exec, s[6:7]
	s_and_saveexec_b64 s[6:7], s[0:1]
	s_cbranch_execnz .LBB284_981
	s_branch .LBB284_982
.LBB284_1380:                           ;   in Loop: Header=BB284_808 Depth=1
	v_cmp_eq_u16_e64 s[0:1], s20, v16
	s_mov_b64 s[6:7], -1
                                        ; implicit-def: $sgpr26
	s_and_saveexec_b64 s[18:19], s[0:1]
; %bb.1381:                             ;   in Loop: Header=BB284_808 Depth=1
	s_mov_b32 s26, 0x7fc02000
	s_xor_b64 s[6:7], exec, -1
; %bb.1382:                             ;   in Loop: Header=BB284_808 Depth=1
	s_or_b64 exec, exec, s[18:19]
	s_and_b64 s[6:7], s[6:7], exec
	s_or_saveexec_b64 s[8:9], s[8:9]
	v_mov_b32_e32 v54, s26
	s_xor_b64 exec, exec, s[8:9]
	s_cbranch_execz .LBB284_984
.LBB284_1383:                           ;   in Loop: Header=BB284_808 Depth=1
	v_cmp_ne_u16_e64 s[0:1], 0, v16
	s_andn2_b64 s[6:7], s[6:7], exec
	s_and_b64 s[0:1], s[0:1], exec
	v_mov_b32_e32 v54, 0
	s_or_b64 s[6:7], s[6:7], s[0:1]
	s_or_b64 exec, exec, s[8:9]
	s_and_saveexec_b64 s[8:9], s[6:7]
	s_cbranch_execnz .LBB284_985
	s_branch .LBB284_986
.LBB284_1384:                           ;   in Loop: Header=BB284_808 Depth=1
	v_cmp_eq_u16_sdwa s[26:27], v16, s20 src0_sel:BYTE_0 src1_sel:DWORD
	s_mov_b64 s[0:1], -1
                                        ; implicit-def: $sgpr18
	s_and_saveexec_b64 s[8:9], s[26:27]
; %bb.1385:                             ;   in Loop: Header=BB284_808 Depth=1
	s_mov_b32 s18, 0x7fc02000
	s_xor_b64 s[0:1], exec, -1
; %bb.1386:                             ;   in Loop: Header=BB284_808 Depth=1
	s_or_b64 exec, exec, s[8:9]
	s_and_b64 s[0:1], s[0:1], exec
	s_or_saveexec_b64 s[6:7], s[6:7]
	v_mov_b32_e32 v53, s18
	s_xor_b64 exec, exec, s[6:7]
	s_cbranch_execz .LBB284_988
.LBB284_1387:                           ;   in Loop: Header=BB284_808 Depth=1
	v_cmp_ne_u16_sdwa s[8:9], v16, v17 src0_sel:BYTE_0 src1_sel:DWORD
	s_andn2_b64 s[0:1], s[0:1], exec
	s_and_b64 s[8:9], s[8:9], exec
	v_mov_b32_e32 v53, 0
	s_or_b64 s[0:1], s[0:1], s[8:9]
	s_or_b64 exec, exec, s[6:7]
	s_and_saveexec_b64 s[6:7], s[0:1]
	s_cbranch_execnz .LBB284_989
	s_branch .LBB284_990
.LBB284_1388:                           ;   in Loop: Header=BB284_808 Depth=1
	v_cmp_eq_u16_e64 s[0:1], s20, v16
	s_mov_b64 s[6:7], -1
                                        ; implicit-def: $sgpr26
	s_and_saveexec_b64 s[18:19], s[0:1]
; %bb.1389:                             ;   in Loop: Header=BB284_808 Depth=1
	s_mov_b32 s26, 0x7fc02000
	s_xor_b64 s[6:7], exec, -1
; %bb.1390:                             ;   in Loop: Header=BB284_808 Depth=1
	s_or_b64 exec, exec, s[18:19]
	s_and_b64 s[6:7], s[6:7], exec
	s_or_saveexec_b64 s[8:9], s[8:9]
	v_mov_b32_e32 v55, s26
	s_xor_b64 exec, exec, s[8:9]
	s_cbranch_execz .LBB284_992
.LBB284_1391:                           ;   in Loop: Header=BB284_808 Depth=1
	v_cmp_ne_u16_e64 s[0:1], 0, v16
	s_andn2_b64 s[6:7], s[6:7], exec
	s_and_b64 s[0:1], s[0:1], exec
	v_mov_b32_e32 v55, 0
	s_or_b64 s[6:7], s[6:7], s[0:1]
	s_or_b64 exec, exec, s[8:9]
	s_and_saveexec_b64 s[8:9], s[6:7]
	s_cbranch_execnz .LBB284_993
	s_branch .LBB284_994
.LBB284_1392:                           ;   in Loop: Header=BB284_808 Depth=1
	v_cmp_eq_u16_sdwa s[26:27], v51, s20 src0_sel:BYTE_0 src1_sel:DWORD
	s_mov_b64 s[0:1], -1
                                        ; implicit-def: $sgpr18
	s_and_saveexec_b64 s[8:9], s[26:27]
; %bb.1393:                             ;   in Loop: Header=BB284_808 Depth=1
	s_mov_b32 s18, 0x7fc02000
	s_xor_b64 s[0:1], exec, -1
; %bb.1394:                             ;   in Loop: Header=BB284_808 Depth=1
	s_or_b64 exec, exec, s[8:9]
	s_and_b64 s[0:1], s[0:1], exec
	s_or_saveexec_b64 s[6:7], s[6:7]
	v_mov_b32_e32 v12, s18
	s_xor_b64 exec, exec, s[6:7]
	s_cbranch_execz .LBB284_996
.LBB284_1395:                           ;   in Loop: Header=BB284_808 Depth=1
	v_cmp_ne_u16_sdwa s[8:9], v51, v17 src0_sel:BYTE_0 src1_sel:DWORD
	s_andn2_b64 s[0:1], s[0:1], exec
	s_and_b64 s[8:9], s[8:9], exec
	v_mov_b32_e32 v12, 0
	s_or_b64 s[0:1], s[0:1], s[8:9]
	s_or_b64 exec, exec, s[6:7]
	v_mov_b32_e32 v16, v51
	s_and_saveexec_b64 s[6:7], s[0:1]
	s_cbranch_execnz .LBB284_997
	s_branch .LBB284_998
.LBB284_1396:                           ;   in Loop: Header=BB284_808 Depth=1
	v_cmp_eq_u16_e64 s[0:1], s20, v16
	s_mov_b64 s[6:7], -1
                                        ; implicit-def: $sgpr26
	s_and_saveexec_b64 s[18:19], s[0:1]
; %bb.1397:                             ;   in Loop: Header=BB284_808 Depth=1
	s_mov_b32 s26, 0x7fc02000
	s_xor_b64 s[6:7], exec, -1
; %bb.1398:                             ;   in Loop: Header=BB284_808 Depth=1
	s_or_b64 exec, exec, s[18:19]
	s_and_b64 s[6:7], s[6:7], exec
	s_or_saveexec_b64 s[8:9], s[8:9]
	v_mov_b32_e32 v14, s26
	s_xor_b64 exec, exec, s[8:9]
	s_cbranch_execz .LBB284_1000
.LBB284_1399:                           ;   in Loop: Header=BB284_808 Depth=1
	v_cmp_ne_u16_e64 s[0:1], 0, v16
	s_andn2_b64 s[6:7], s[6:7], exec
	s_and_b64 s[0:1], s[0:1], exec
	v_mov_b32_e32 v14, 0
	s_or_b64 s[6:7], s[6:7], s[0:1]
	s_or_b64 exec, exec, s[8:9]
	s_and_saveexec_b64 s[8:9], s[6:7]
	s_cbranch_execnz .LBB284_1001
	s_branch .LBB284_1002
.LBB284_1400:                           ;   in Loop: Header=BB284_808 Depth=1
	v_cmp_eq_u16_sdwa s[26:27], v16, s20 src0_sel:BYTE_0 src1_sel:DWORD
	s_mov_b64 s[0:1], -1
                                        ; implicit-def: $sgpr18
	s_and_saveexec_b64 s[8:9], s[26:27]
; %bb.1401:                             ;   in Loop: Header=BB284_808 Depth=1
	s_mov_b32 s18, 0x7fc02000
	s_xor_b64 s[0:1], exec, -1
; %bb.1402:                             ;   in Loop: Header=BB284_808 Depth=1
	s_or_b64 exec, exec, s[8:9]
	s_and_b64 s[0:1], s[0:1], exec
	s_or_saveexec_b64 s[6:7], s[6:7]
	v_mov_b32_e32 v15, s18
	s_xor_b64 exec, exec, s[6:7]
	s_cbranch_execz .LBB284_1004
.LBB284_1403:                           ;   in Loop: Header=BB284_808 Depth=1
	v_cmp_ne_u16_sdwa s[8:9], v16, v17 src0_sel:BYTE_0 src1_sel:DWORD
	s_andn2_b64 s[0:1], s[0:1], exec
	s_and_b64 s[8:9], s[8:9], exec
	v_mov_b32_e32 v15, 0
	s_or_b64 s[0:1], s[0:1], s[8:9]
	s_or_b64 exec, exec, s[6:7]
	s_and_saveexec_b64 s[6:7], s[0:1]
	s_cbranch_execnz .LBB284_1005
	s_branch .LBB284_1006
.LBB284_1404:                           ;   in Loop: Header=BB284_808 Depth=1
	v_cmp_eq_u16_e64 s[0:1], s20, v16
	s_mov_b64 s[6:7], -1
                                        ; implicit-def: $sgpr26
	s_and_saveexec_b64 s[18:19], s[0:1]
; %bb.1405:                             ;   in Loop: Header=BB284_808 Depth=1
	s_mov_b32 s26, 0x7fc02000
	s_xor_b64 s[6:7], exec, -1
; %bb.1406:                             ;   in Loop: Header=BB284_808 Depth=1
	s_or_b64 exec, exec, s[18:19]
	s_and_b64 s[6:7], s[6:7], exec
	s_or_saveexec_b64 s[8:9], s[8:9]
	v_mov_b32_e32 v22, s26
	s_xor_b64 exec, exec, s[8:9]
	s_cbranch_execz .LBB284_1008
.LBB284_1407:                           ;   in Loop: Header=BB284_808 Depth=1
	v_cmp_ne_u16_e64 s[0:1], 0, v16
	s_andn2_b64 s[6:7], s[6:7], exec
	s_and_b64 s[0:1], s[0:1], exec
	v_mov_b32_e32 v22, 0
	s_or_b64 s[6:7], s[6:7], s[0:1]
	s_or_b64 exec, exec, s[8:9]
	s_and_saveexec_b64 s[8:9], s[6:7]
	s_cbranch_execnz .LBB284_1009
	s_branch .LBB284_1010
.LBB284_1408:                           ;   in Loop: Header=BB284_808 Depth=1
	v_cmp_eq_u16_sdwa s[26:27], v50, s20 src0_sel:BYTE_0 src1_sel:DWORD
	s_mov_b64 s[0:1], -1
                                        ; implicit-def: $sgpr18
	s_and_saveexec_b64 s[8:9], s[26:27]
; %bb.1409:                             ;   in Loop: Header=BB284_808 Depth=1
	s_mov_b32 s18, 0x7fc02000
	s_xor_b64 s[0:1], exec, -1
; %bb.1410:                             ;   in Loop: Header=BB284_808 Depth=1
	s_or_b64 exec, exec, s[8:9]
	s_and_b64 s[0:1], s[0:1], exec
	s_or_saveexec_b64 s[6:7], s[6:7]
	v_mov_b32_e32 v52, s18
	s_xor_b64 exec, exec, s[6:7]
	s_cbranch_execz .LBB284_1014
.LBB284_1411:                           ;   in Loop: Header=BB284_808 Depth=1
	v_cmp_ne_u16_sdwa s[8:9], v50, v17 src0_sel:BYTE_0 src1_sel:DWORD
	s_andn2_b64 s[0:1], s[0:1], exec
	s_and_b64 s[8:9], s[8:9], exec
	v_mov_b32_e32 v52, 0
	s_or_b64 s[0:1], s[0:1], s[8:9]
	s_or_b64 exec, exec, s[6:7]
	s_and_saveexec_b64 s[6:7], s[0:1]
	s_cbranch_execnz .LBB284_1015
	s_branch .LBB284_1016
.LBB284_1412:                           ;   in Loop: Header=BB284_808 Depth=1
	v_cmp_eq_u16_e64 s[0:1], s20, v16
	s_mov_b64 s[6:7], -1
                                        ; implicit-def: $sgpr26
	s_and_saveexec_b64 s[18:19], s[0:1]
; %bb.1413:                             ;   in Loop: Header=BB284_808 Depth=1
	s_mov_b32 s26, 0x7fc02000
	s_xor_b64 s[6:7], exec, -1
; %bb.1414:                             ;   in Loop: Header=BB284_808 Depth=1
	s_or_b64 exec, exec, s[18:19]
	s_and_b64 s[6:7], s[6:7], exec
	s_or_saveexec_b64 s[8:9], s[8:9]
	v_mov_b32_e32 v54, s26
	s_xor_b64 exec, exec, s[8:9]
	s_cbranch_execz .LBB284_1018
.LBB284_1415:                           ;   in Loop: Header=BB284_808 Depth=1
	v_cmp_ne_u16_e64 s[0:1], 0, v16
	s_andn2_b64 s[6:7], s[6:7], exec
	s_and_b64 s[0:1], s[0:1], exec
	v_mov_b32_e32 v54, 0
	s_or_b64 s[6:7], s[6:7], s[0:1]
	s_or_b64 exec, exec, s[8:9]
	s_and_saveexec_b64 s[8:9], s[6:7]
	s_cbranch_execnz .LBB284_1019
	s_branch .LBB284_1020
.LBB284_1416:                           ;   in Loop: Header=BB284_808 Depth=1
	v_cmp_eq_u16_sdwa s[26:27], v16, s20 src0_sel:BYTE_0 src1_sel:DWORD
	s_mov_b64 s[0:1], -1
                                        ; implicit-def: $sgpr18
	s_and_saveexec_b64 s[8:9], s[26:27]
; %bb.1417:                             ;   in Loop: Header=BB284_808 Depth=1
	s_mov_b32 s18, 0x7fc02000
	s_xor_b64 s[0:1], exec, -1
; %bb.1418:                             ;   in Loop: Header=BB284_808 Depth=1
	s_or_b64 exec, exec, s[8:9]
	s_and_b64 s[0:1], s[0:1], exec
	s_or_saveexec_b64 s[6:7], s[6:7]
	v_mov_b32_e32 v53, s18
	s_xor_b64 exec, exec, s[6:7]
	s_cbranch_execz .LBB284_1022
.LBB284_1419:                           ;   in Loop: Header=BB284_808 Depth=1
	v_cmp_ne_u16_sdwa s[8:9], v16, v17 src0_sel:BYTE_0 src1_sel:DWORD
	s_andn2_b64 s[0:1], s[0:1], exec
	s_and_b64 s[8:9], s[8:9], exec
	v_mov_b32_e32 v53, 0
	s_or_b64 s[0:1], s[0:1], s[8:9]
	s_or_b64 exec, exec, s[6:7]
	s_and_saveexec_b64 s[6:7], s[0:1]
	s_cbranch_execnz .LBB284_1023
	s_branch .LBB284_1024
.LBB284_1420:                           ;   in Loop: Header=BB284_808 Depth=1
	v_cmp_eq_u16_e64 s[0:1], s20, v16
	s_mov_b64 s[6:7], -1
                                        ; implicit-def: $sgpr26
	s_and_saveexec_b64 s[18:19], s[0:1]
; %bb.1421:                             ;   in Loop: Header=BB284_808 Depth=1
	s_mov_b32 s26, 0x7fc02000
	s_xor_b64 s[6:7], exec, -1
; %bb.1422:                             ;   in Loop: Header=BB284_808 Depth=1
	s_or_b64 exec, exec, s[18:19]
	s_and_b64 s[6:7], s[6:7], exec
	s_or_saveexec_b64 s[8:9], s[8:9]
	v_mov_b32_e32 v55, s26
	s_xor_b64 exec, exec, s[8:9]
	s_cbranch_execz .LBB284_1026
.LBB284_1423:                           ;   in Loop: Header=BB284_808 Depth=1
	v_cmp_ne_u16_e64 s[0:1], 0, v16
	s_andn2_b64 s[6:7], s[6:7], exec
	s_and_b64 s[0:1], s[0:1], exec
	v_mov_b32_e32 v55, 0
	s_or_b64 s[6:7], s[6:7], s[0:1]
	s_or_b64 exec, exec, s[8:9]
	s_and_saveexec_b64 s[8:9], s[6:7]
	s_cbranch_execnz .LBB284_1027
	s_branch .LBB284_1028
.LBB284_1424:                           ;   in Loop: Header=BB284_808 Depth=1
	v_cmp_eq_u16_sdwa s[26:27], v51, s20 src0_sel:BYTE_0 src1_sel:DWORD
	s_mov_b64 s[0:1], -1
                                        ; implicit-def: $sgpr18
	s_and_saveexec_b64 s[8:9], s[26:27]
; %bb.1425:                             ;   in Loop: Header=BB284_808 Depth=1
	s_mov_b32 s18, 0x7fc02000
	s_xor_b64 s[0:1], exec, -1
; %bb.1426:                             ;   in Loop: Header=BB284_808 Depth=1
	s_or_b64 exec, exec, s[8:9]
	s_and_b64 s[0:1], s[0:1], exec
	s_or_saveexec_b64 s[6:7], s[6:7]
	v_mov_b32_e32 v12, s18
	s_xor_b64 exec, exec, s[6:7]
	s_cbranch_execz .LBB284_1030
.LBB284_1427:                           ;   in Loop: Header=BB284_808 Depth=1
	v_cmp_ne_u16_sdwa s[8:9], v51, v17 src0_sel:BYTE_0 src1_sel:DWORD
	s_andn2_b64 s[0:1], s[0:1], exec
	s_and_b64 s[8:9], s[8:9], exec
	v_mov_b32_e32 v12, 0
	s_or_b64 s[0:1], s[0:1], s[8:9]
	s_or_b64 exec, exec, s[6:7]
	v_mov_b32_e32 v16, v51
	s_and_saveexec_b64 s[6:7], s[0:1]
	s_cbranch_execnz .LBB284_1031
	s_branch .LBB284_1032
.LBB284_1428:                           ;   in Loop: Header=BB284_808 Depth=1
	v_cmp_eq_u16_e64 s[0:1], s20, v16
	s_mov_b64 s[6:7], -1
                                        ; implicit-def: $sgpr26
	s_and_saveexec_b64 s[18:19], s[0:1]
; %bb.1429:                             ;   in Loop: Header=BB284_808 Depth=1
	s_mov_b32 s26, 0x7fc02000
	s_xor_b64 s[6:7], exec, -1
; %bb.1430:                             ;   in Loop: Header=BB284_808 Depth=1
	s_or_b64 exec, exec, s[18:19]
	s_and_b64 s[6:7], s[6:7], exec
	s_or_saveexec_b64 s[8:9], s[8:9]
	v_mov_b32_e32 v14, s26
	s_xor_b64 exec, exec, s[8:9]
	s_cbranch_execz .LBB284_1034
.LBB284_1431:                           ;   in Loop: Header=BB284_808 Depth=1
	v_cmp_ne_u16_e64 s[0:1], 0, v16
	s_andn2_b64 s[6:7], s[6:7], exec
	s_and_b64 s[0:1], s[0:1], exec
	v_mov_b32_e32 v14, 0
	s_or_b64 s[6:7], s[6:7], s[0:1]
	s_or_b64 exec, exec, s[8:9]
	s_and_saveexec_b64 s[8:9], s[6:7]
	s_cbranch_execnz .LBB284_1035
	s_branch .LBB284_1036
.LBB284_1432:                           ;   in Loop: Header=BB284_808 Depth=1
	v_cmp_eq_u16_sdwa s[26:27], v16, s20 src0_sel:BYTE_0 src1_sel:DWORD
	s_mov_b64 s[0:1], -1
                                        ; implicit-def: $sgpr18
	s_and_saveexec_b64 s[8:9], s[26:27]
; %bb.1433:                             ;   in Loop: Header=BB284_808 Depth=1
	s_mov_b32 s18, 0x7fc02000
	s_xor_b64 s[0:1], exec, -1
; %bb.1434:                             ;   in Loop: Header=BB284_808 Depth=1
	s_or_b64 exec, exec, s[8:9]
	s_and_b64 s[0:1], s[0:1], exec
	s_or_saveexec_b64 s[6:7], s[6:7]
	v_mov_b32_e32 v15, s18
	s_xor_b64 exec, exec, s[6:7]
	s_cbranch_execz .LBB284_1038
.LBB284_1435:                           ;   in Loop: Header=BB284_808 Depth=1
	v_cmp_ne_u16_sdwa s[8:9], v16, v17 src0_sel:BYTE_0 src1_sel:DWORD
	s_andn2_b64 s[0:1], s[0:1], exec
	s_and_b64 s[8:9], s[8:9], exec
	v_mov_b32_e32 v15, 0
	s_or_b64 s[0:1], s[0:1], s[8:9]
	s_or_b64 exec, exec, s[6:7]
	s_and_saveexec_b64 s[6:7], s[0:1]
	s_cbranch_execnz .LBB284_1039
	s_branch .LBB284_1040
.LBB284_1436:                           ;   in Loop: Header=BB284_808 Depth=1
	v_cmp_eq_u16_e64 s[0:1], s20, v16
	s_mov_b64 s[6:7], -1
                                        ; implicit-def: $sgpr26
	s_and_saveexec_b64 s[18:19], s[0:1]
; %bb.1437:                             ;   in Loop: Header=BB284_808 Depth=1
	s_mov_b32 s26, 0x7fc02000
	s_xor_b64 s[6:7], exec, -1
; %bb.1438:                             ;   in Loop: Header=BB284_808 Depth=1
	s_or_b64 exec, exec, s[18:19]
	s_and_b64 s[6:7], s[6:7], exec
	s_or_saveexec_b64 s[8:9], s[8:9]
	v_mov_b32_e32 v23, s26
	s_xor_b64 exec, exec, s[8:9]
	s_cbranch_execz .LBB284_1042
.LBB284_1439:                           ;   in Loop: Header=BB284_808 Depth=1
	v_cmp_ne_u16_e64 s[0:1], 0, v16
	s_andn2_b64 s[6:7], s[6:7], exec
	s_and_b64 s[0:1], s[0:1], exec
	v_mov_b32_e32 v23, 0
	s_or_b64 s[6:7], s[6:7], s[0:1]
	s_or_b64 exec, exec, s[8:9]
	s_and_saveexec_b64 s[8:9], s[6:7]
	s_cbranch_execnz .LBB284_1043
	s_branch .LBB284_1044
.LBB284_1440:                           ;   in Loop: Header=BB284_808 Depth=1
	v_cmp_eq_u16_sdwa s[26:27], v48, s20 src0_sel:BYTE_0 src1_sel:DWORD
	s_mov_b64 s[0:1], -1
                                        ; implicit-def: $sgpr18
	s_and_saveexec_b64 s[8:9], s[26:27]
; %bb.1441:                             ;   in Loop: Header=BB284_808 Depth=1
	s_mov_b32 s18, 0x7fc02000
	s_xor_b64 s[0:1], exec, -1
; %bb.1442:                             ;   in Loop: Header=BB284_808 Depth=1
	s_or_b64 exec, exec, s[8:9]
	s_and_b64 s[0:1], s[0:1], exec
	s_or_saveexec_b64 s[6:7], s[6:7]
	v_mov_b32_e32 v50, s18
	s_xor_b64 exec, exec, s[6:7]
	s_cbranch_execz .LBB284_1048
.LBB284_1443:                           ;   in Loop: Header=BB284_808 Depth=1
	v_cmp_ne_u16_sdwa s[8:9], v48, v17 src0_sel:BYTE_0 src1_sel:DWORD
	s_andn2_b64 s[0:1], s[0:1], exec
	s_and_b64 s[8:9], s[8:9], exec
	v_mov_b32_e32 v50, 0
	s_or_b64 s[0:1], s[0:1], s[8:9]
	s_or_b64 exec, exec, s[6:7]
	s_and_saveexec_b64 s[6:7], s[0:1]
	s_cbranch_execnz .LBB284_1049
	s_branch .LBB284_1050
.LBB284_1444:                           ;   in Loop: Header=BB284_808 Depth=1
	v_cmp_eq_u16_e64 s[0:1], s20, v16
	s_mov_b64 s[6:7], -1
                                        ; implicit-def: $sgpr26
	s_and_saveexec_b64 s[18:19], s[0:1]
; %bb.1445:                             ;   in Loop: Header=BB284_808 Depth=1
	s_mov_b32 s26, 0x7fc02000
	s_xor_b64 s[6:7], exec, -1
; %bb.1446:                             ;   in Loop: Header=BB284_808 Depth=1
	s_or_b64 exec, exec, s[18:19]
	s_and_b64 s[6:7], s[6:7], exec
	s_or_saveexec_b64 s[8:9], s[8:9]
	v_mov_b32_e32 v52, s26
	s_xor_b64 exec, exec, s[8:9]
	s_cbranch_execz .LBB284_1052
.LBB284_1447:                           ;   in Loop: Header=BB284_808 Depth=1
	v_cmp_ne_u16_e64 s[0:1], 0, v16
	s_andn2_b64 s[6:7], s[6:7], exec
	s_and_b64 s[0:1], s[0:1], exec
	v_mov_b32_e32 v52, 0
	s_or_b64 s[6:7], s[6:7], s[0:1]
	s_or_b64 exec, exec, s[8:9]
	s_and_saveexec_b64 s[8:9], s[6:7]
	s_cbranch_execnz .LBB284_1053
	s_branch .LBB284_1054
.LBB284_1448:                           ;   in Loop: Header=BB284_808 Depth=1
	v_cmp_eq_u16_sdwa s[26:27], v16, s20 src0_sel:BYTE_0 src1_sel:DWORD
	s_mov_b64 s[0:1], -1
                                        ; implicit-def: $sgpr18
	s_and_saveexec_b64 s[8:9], s[26:27]
; %bb.1449:                             ;   in Loop: Header=BB284_808 Depth=1
	s_mov_b32 s18, 0x7fc02000
	s_xor_b64 s[0:1], exec, -1
; %bb.1450:                             ;   in Loop: Header=BB284_808 Depth=1
	s_or_b64 exec, exec, s[8:9]
	s_and_b64 s[0:1], s[0:1], exec
	s_or_saveexec_b64 s[6:7], s[6:7]
	v_mov_b32_e32 v51, s18
	s_xor_b64 exec, exec, s[6:7]
	s_cbranch_execz .LBB284_1056
.LBB284_1451:                           ;   in Loop: Header=BB284_808 Depth=1
	v_cmp_ne_u16_sdwa s[8:9], v16, v17 src0_sel:BYTE_0 src1_sel:DWORD
	s_andn2_b64 s[0:1], s[0:1], exec
	s_and_b64 s[8:9], s[8:9], exec
	v_mov_b32_e32 v51, 0
	s_or_b64 s[0:1], s[0:1], s[8:9]
	s_or_b64 exec, exec, s[6:7]
	s_and_saveexec_b64 s[6:7], s[0:1]
	s_cbranch_execnz .LBB284_1057
	s_branch .LBB284_1058
.LBB284_1452:                           ;   in Loop: Header=BB284_808 Depth=1
	v_cmp_eq_u16_e64 s[0:1], s20, v16
	s_mov_b64 s[6:7], -1
                                        ; implicit-def: $sgpr26
	s_and_saveexec_b64 s[18:19], s[0:1]
; %bb.1453:                             ;   in Loop: Header=BB284_808 Depth=1
	s_mov_b32 s26, 0x7fc02000
	s_xor_b64 s[6:7], exec, -1
; %bb.1454:                             ;   in Loop: Header=BB284_808 Depth=1
	s_or_b64 exec, exec, s[18:19]
	s_and_b64 s[6:7], s[6:7], exec
	s_or_saveexec_b64 s[8:9], s[8:9]
	v_mov_b32_e32 v53, s26
	s_xor_b64 exec, exec, s[8:9]
	s_cbranch_execz .LBB284_1060
.LBB284_1455:                           ;   in Loop: Header=BB284_808 Depth=1
	v_cmp_ne_u16_e64 s[0:1], 0, v16
	s_andn2_b64 s[6:7], s[6:7], exec
	s_and_b64 s[0:1], s[0:1], exec
	v_mov_b32_e32 v53, 0
	s_or_b64 s[6:7], s[6:7], s[0:1]
	s_or_b64 exec, exec, s[8:9]
	s_and_saveexec_b64 s[8:9], s[6:7]
	s_cbranch_execnz .LBB284_1061
	s_branch .LBB284_1062
.LBB284_1456:                           ;   in Loop: Header=BB284_808 Depth=1
	v_cmp_eq_u16_sdwa s[26:27], v49, s20 src0_sel:BYTE_0 src1_sel:DWORD
	s_mov_b64 s[0:1], -1
                                        ; implicit-def: $sgpr18
	s_and_saveexec_b64 s[8:9], s[26:27]
; %bb.1457:                             ;   in Loop: Header=BB284_808 Depth=1
	s_mov_b32 s18, 0x7fc02000
	s_xor_b64 s[0:1], exec, -1
; %bb.1458:                             ;   in Loop: Header=BB284_808 Depth=1
	s_or_b64 exec, exec, s[8:9]
	s_and_b64 s[0:1], s[0:1], exec
	s_or_saveexec_b64 s[6:7], s[6:7]
	v_mov_b32_e32 v12, s18
	s_xor_b64 exec, exec, s[6:7]
	s_cbranch_execz .LBB284_1064
.LBB284_1459:                           ;   in Loop: Header=BB284_808 Depth=1
	v_cmp_ne_u16_sdwa s[8:9], v49, v17 src0_sel:BYTE_0 src1_sel:DWORD
	s_andn2_b64 s[0:1], s[0:1], exec
	s_and_b64 s[8:9], s[8:9], exec
	v_mov_b32_e32 v12, 0
	s_or_b64 s[0:1], s[0:1], s[8:9]
	s_or_b64 exec, exec, s[6:7]
	v_mov_b32_e32 v16, v49
	s_and_saveexec_b64 s[6:7], s[0:1]
	s_cbranch_execnz .LBB284_1065
	s_branch .LBB284_1066
.LBB284_1460:                           ;   in Loop: Header=BB284_808 Depth=1
	v_cmp_eq_u16_e64 s[0:1], s20, v16
	s_mov_b64 s[6:7], -1
                                        ; implicit-def: $sgpr26
	s_and_saveexec_b64 s[18:19], s[0:1]
; %bb.1461:                             ;   in Loop: Header=BB284_808 Depth=1
	s_mov_b32 s26, 0x7fc02000
	s_xor_b64 s[6:7], exec, -1
; %bb.1462:                             ;   in Loop: Header=BB284_808 Depth=1
	s_or_b64 exec, exec, s[18:19]
	s_and_b64 s[6:7], s[6:7], exec
	s_or_saveexec_b64 s[8:9], s[8:9]
	v_mov_b32_e32 v14, s26
	s_xor_b64 exec, exec, s[8:9]
	s_cbranch_execz .LBB284_1068
.LBB284_1463:                           ;   in Loop: Header=BB284_808 Depth=1
	v_cmp_ne_u16_e64 s[0:1], 0, v16
	s_andn2_b64 s[6:7], s[6:7], exec
	s_and_b64 s[0:1], s[0:1], exec
	v_mov_b32_e32 v14, 0
	s_or_b64 s[6:7], s[6:7], s[0:1]
	s_or_b64 exec, exec, s[8:9]
	s_and_saveexec_b64 s[8:9], s[6:7]
	s_cbranch_execnz .LBB284_1069
	s_branch .LBB284_1070
.LBB284_1464:                           ;   in Loop: Header=BB284_808 Depth=1
	v_cmp_eq_u16_sdwa s[26:27], v16, s20 src0_sel:BYTE_0 src1_sel:DWORD
	s_mov_b64 s[0:1], -1
                                        ; implicit-def: $sgpr18
	s_and_saveexec_b64 s[8:9], s[26:27]
; %bb.1465:                             ;   in Loop: Header=BB284_808 Depth=1
	s_mov_b32 s18, 0x7fc02000
	s_xor_b64 s[0:1], exec, -1
; %bb.1466:                             ;   in Loop: Header=BB284_808 Depth=1
	s_or_b64 exec, exec, s[8:9]
	s_and_b64 s[0:1], s[0:1], exec
	s_or_saveexec_b64 s[6:7], s[6:7]
	v_mov_b32_e32 v15, s18
	s_xor_b64 exec, exec, s[6:7]
	s_cbranch_execz .LBB284_1072
.LBB284_1467:                           ;   in Loop: Header=BB284_808 Depth=1
	v_cmp_ne_u16_sdwa s[8:9], v16, v17 src0_sel:BYTE_0 src1_sel:DWORD
	s_andn2_b64 s[0:1], s[0:1], exec
	s_and_b64 s[8:9], s[8:9], exec
	v_mov_b32_e32 v15, 0
	s_or_b64 s[0:1], s[0:1], s[8:9]
	s_or_b64 exec, exec, s[6:7]
	s_and_saveexec_b64 s[6:7], s[0:1]
	s_cbranch_execnz .LBB284_1073
	s_branch .LBB284_1074
.LBB284_1468:                           ;   in Loop: Header=BB284_808 Depth=1
	v_cmp_eq_u16_e64 s[0:1], s20, v16
	s_mov_b64 s[6:7], -1
                                        ; implicit-def: $sgpr26
	s_and_saveexec_b64 s[18:19], s[0:1]
; %bb.1469:                             ;   in Loop: Header=BB284_808 Depth=1
	s_mov_b32 s26, 0x7fc02000
	s_xor_b64 s[6:7], exec, -1
; %bb.1470:                             ;   in Loop: Header=BB284_808 Depth=1
	s_or_b64 exec, exec, s[18:19]
	s_and_b64 s[6:7], s[6:7], exec
	s_or_saveexec_b64 s[8:9], s[8:9]
	v_mov_b32_e32 v23, s26
	s_xor_b64 exec, exec, s[8:9]
	s_cbranch_execz .LBB284_1076
.LBB284_1471:                           ;   in Loop: Header=BB284_808 Depth=1
	v_cmp_ne_u16_e64 s[0:1], 0, v16
	s_andn2_b64 s[6:7], s[6:7], exec
	s_and_b64 s[0:1], s[0:1], exec
	v_mov_b32_e32 v23, 0
	s_or_b64 s[6:7], s[6:7], s[0:1]
	s_or_b64 exec, exec, s[8:9]
	s_and_saveexec_b64 s[8:9], s[6:7]
	s_cbranch_execnz .LBB284_1077
	s_branch .LBB284_1078
.LBB284_1472:                           ;   in Loop: Header=BB284_808 Depth=1
	v_cmp_eq_u16_sdwa s[26:27], v48, s20 src0_sel:BYTE_0 src1_sel:DWORD
	s_mov_b64 s[0:1], -1
                                        ; implicit-def: $sgpr18
	s_and_saveexec_b64 s[8:9], s[26:27]
; %bb.1473:                             ;   in Loop: Header=BB284_808 Depth=1
	s_mov_b32 s18, 0x7fc02000
	s_xor_b64 s[0:1], exec, -1
; %bb.1474:                             ;   in Loop: Header=BB284_808 Depth=1
	s_or_b64 exec, exec, s[8:9]
	s_and_b64 s[0:1], s[0:1], exec
	s_or_saveexec_b64 s[6:7], s[6:7]
	v_mov_b32_e32 v50, s18
	s_xor_b64 exec, exec, s[6:7]
	s_cbranch_execz .LBB284_1082
.LBB284_1475:                           ;   in Loop: Header=BB284_808 Depth=1
	v_cmp_ne_u16_sdwa s[8:9], v48, v17 src0_sel:BYTE_0 src1_sel:DWORD
	s_andn2_b64 s[0:1], s[0:1], exec
	s_and_b64 s[8:9], s[8:9], exec
	v_mov_b32_e32 v50, 0
	s_or_b64 s[0:1], s[0:1], s[8:9]
	s_or_b64 exec, exec, s[6:7]
	s_and_saveexec_b64 s[6:7], s[0:1]
	s_cbranch_execnz .LBB284_1083
	s_branch .LBB284_1084
.LBB284_1476:                           ;   in Loop: Header=BB284_808 Depth=1
	v_cmp_eq_u16_e64 s[0:1], s20, v16
	s_mov_b64 s[6:7], -1
                                        ; implicit-def: $sgpr26
	s_and_saveexec_b64 s[18:19], s[0:1]
; %bb.1477:                             ;   in Loop: Header=BB284_808 Depth=1
	s_mov_b32 s26, 0x7fc02000
	s_xor_b64 s[6:7], exec, -1
; %bb.1478:                             ;   in Loop: Header=BB284_808 Depth=1
	s_or_b64 exec, exec, s[18:19]
	s_and_b64 s[6:7], s[6:7], exec
	s_or_saveexec_b64 s[8:9], s[8:9]
	v_mov_b32_e32 v52, s26
	s_xor_b64 exec, exec, s[8:9]
	s_cbranch_execz .LBB284_1086
.LBB284_1479:                           ;   in Loop: Header=BB284_808 Depth=1
	v_cmp_ne_u16_e64 s[0:1], 0, v16
	s_andn2_b64 s[6:7], s[6:7], exec
	s_and_b64 s[0:1], s[0:1], exec
	v_mov_b32_e32 v52, 0
	s_or_b64 s[6:7], s[6:7], s[0:1]
	s_or_b64 exec, exec, s[8:9]
	s_and_saveexec_b64 s[8:9], s[6:7]
	s_cbranch_execnz .LBB284_1087
	s_branch .LBB284_1088
.LBB284_1480:                           ;   in Loop: Header=BB284_808 Depth=1
	v_cmp_eq_u16_sdwa s[26:27], v16, s20 src0_sel:BYTE_0 src1_sel:DWORD
	s_mov_b64 s[0:1], -1
                                        ; implicit-def: $sgpr18
	s_and_saveexec_b64 s[8:9], s[26:27]
; %bb.1481:                             ;   in Loop: Header=BB284_808 Depth=1
	s_mov_b32 s18, 0x7fc02000
	s_xor_b64 s[0:1], exec, -1
; %bb.1482:                             ;   in Loop: Header=BB284_808 Depth=1
	s_or_b64 exec, exec, s[8:9]
	s_and_b64 s[0:1], s[0:1], exec
	s_or_saveexec_b64 s[6:7], s[6:7]
	v_mov_b32_e32 v51, s18
	s_xor_b64 exec, exec, s[6:7]
	s_cbranch_execz .LBB284_1090
.LBB284_1483:                           ;   in Loop: Header=BB284_808 Depth=1
	v_cmp_ne_u16_sdwa s[8:9], v16, v17 src0_sel:BYTE_0 src1_sel:DWORD
	s_andn2_b64 s[0:1], s[0:1], exec
	s_and_b64 s[8:9], s[8:9], exec
	v_mov_b32_e32 v51, 0
	s_or_b64 s[0:1], s[0:1], s[8:9]
	s_or_b64 exec, exec, s[6:7]
	s_and_saveexec_b64 s[6:7], s[0:1]
	s_cbranch_execnz .LBB284_1091
	s_branch .LBB284_1092
.LBB284_1484:                           ;   in Loop: Header=BB284_808 Depth=1
	v_cmp_eq_u16_e64 s[0:1], s20, v16
	s_mov_b64 s[6:7], -1
                                        ; implicit-def: $sgpr26
	s_and_saveexec_b64 s[18:19], s[0:1]
; %bb.1485:                             ;   in Loop: Header=BB284_808 Depth=1
	s_mov_b32 s26, 0x7fc02000
	s_xor_b64 s[6:7], exec, -1
; %bb.1486:                             ;   in Loop: Header=BB284_808 Depth=1
	s_or_b64 exec, exec, s[18:19]
	s_and_b64 s[6:7], s[6:7], exec
	s_or_saveexec_b64 s[8:9], s[8:9]
	v_mov_b32_e32 v53, s26
	s_xor_b64 exec, exec, s[8:9]
	s_cbranch_execz .LBB284_1094
.LBB284_1487:                           ;   in Loop: Header=BB284_808 Depth=1
	v_cmp_ne_u16_e64 s[0:1], 0, v16
	s_andn2_b64 s[6:7], s[6:7], exec
	s_and_b64 s[0:1], s[0:1], exec
	v_mov_b32_e32 v53, 0
	s_or_b64 s[6:7], s[6:7], s[0:1]
	s_or_b64 exec, exec, s[8:9]
	s_and_saveexec_b64 s[8:9], s[6:7]
	s_cbranch_execnz .LBB284_1095
	s_branch .LBB284_1096
.LBB284_1488:                           ;   in Loop: Header=BB284_808 Depth=1
	v_cmp_eq_u16_sdwa s[26:27], v49, s20 src0_sel:BYTE_0 src1_sel:DWORD
	s_mov_b64 s[0:1], -1
                                        ; implicit-def: $sgpr18
	s_and_saveexec_b64 s[8:9], s[26:27]
; %bb.1489:                             ;   in Loop: Header=BB284_808 Depth=1
	s_mov_b32 s18, 0x7fc02000
	s_xor_b64 s[0:1], exec, -1
; %bb.1490:                             ;   in Loop: Header=BB284_808 Depth=1
	s_or_b64 exec, exec, s[8:9]
	s_and_b64 s[0:1], s[0:1], exec
	s_or_saveexec_b64 s[6:7], s[6:7]
	v_mov_b32_e32 v12, s18
	s_xor_b64 exec, exec, s[6:7]
	s_cbranch_execz .LBB284_1098
.LBB284_1491:                           ;   in Loop: Header=BB284_808 Depth=1
	v_cmp_ne_u16_sdwa s[8:9], v49, v17 src0_sel:BYTE_0 src1_sel:DWORD
	s_andn2_b64 s[0:1], s[0:1], exec
	s_and_b64 s[8:9], s[8:9], exec
	v_mov_b32_e32 v12, 0
	s_or_b64 s[0:1], s[0:1], s[8:9]
	s_or_b64 exec, exec, s[6:7]
	v_mov_b32_e32 v16, v49
	s_and_saveexec_b64 s[6:7], s[0:1]
	s_cbranch_execnz .LBB284_1099
	s_branch .LBB284_1100
.LBB284_1492:                           ;   in Loop: Header=BB284_808 Depth=1
	v_cmp_eq_u16_e64 s[0:1], s20, v16
	s_mov_b64 s[6:7], -1
                                        ; implicit-def: $sgpr26
	s_and_saveexec_b64 s[18:19], s[0:1]
; %bb.1493:                             ;   in Loop: Header=BB284_808 Depth=1
	s_mov_b32 s26, 0x7fc02000
	s_xor_b64 s[6:7], exec, -1
; %bb.1494:                             ;   in Loop: Header=BB284_808 Depth=1
	s_or_b64 exec, exec, s[18:19]
	s_and_b64 s[6:7], s[6:7], exec
	s_or_saveexec_b64 s[8:9], s[8:9]
	v_mov_b32_e32 v14, s26
	s_xor_b64 exec, exec, s[8:9]
	s_cbranch_execz .LBB284_1102
.LBB284_1495:                           ;   in Loop: Header=BB284_808 Depth=1
	v_cmp_ne_u16_e64 s[0:1], 0, v16
	s_andn2_b64 s[6:7], s[6:7], exec
	s_and_b64 s[0:1], s[0:1], exec
	v_mov_b32_e32 v14, 0
	s_or_b64 s[6:7], s[6:7], s[0:1]
	s_or_b64 exec, exec, s[8:9]
	s_and_saveexec_b64 s[8:9], s[6:7]
	s_cbranch_execnz .LBB284_1103
	s_branch .LBB284_1104
.LBB284_1496:                           ;   in Loop: Header=BB284_808 Depth=1
	v_cmp_eq_u16_sdwa s[26:27], v16, s20 src0_sel:BYTE_0 src1_sel:DWORD
	s_mov_b64 s[0:1], -1
                                        ; implicit-def: $sgpr18
	s_and_saveexec_b64 s[8:9], s[26:27]
; %bb.1497:                             ;   in Loop: Header=BB284_808 Depth=1
	s_mov_b32 s18, 0x7fc02000
	s_xor_b64 s[0:1], exec, -1
; %bb.1498:                             ;   in Loop: Header=BB284_808 Depth=1
	s_or_b64 exec, exec, s[8:9]
	s_and_b64 s[0:1], s[0:1], exec
	s_or_saveexec_b64 s[6:7], s[6:7]
	v_mov_b32_e32 v15, s18
	s_xor_b64 exec, exec, s[6:7]
	s_cbranch_execz .LBB284_1106
.LBB284_1499:                           ;   in Loop: Header=BB284_808 Depth=1
	v_cmp_ne_u16_sdwa s[8:9], v16, v17 src0_sel:BYTE_0 src1_sel:DWORD
	s_andn2_b64 s[0:1], s[0:1], exec
	s_and_b64 s[8:9], s[8:9], exec
	v_mov_b32_e32 v15, 0
	s_or_b64 s[0:1], s[0:1], s[8:9]
	s_or_b64 exec, exec, s[6:7]
	s_and_saveexec_b64 s[6:7], s[0:1]
	s_cbranch_execnz .LBB284_1107
	s_branch .LBB284_1108
.LBB284_1500:                           ;   in Loop: Header=BB284_808 Depth=1
	v_cmp_eq_u16_e64 s[0:1], s20, v16
	s_mov_b64 s[6:7], -1
                                        ; implicit-def: $sgpr26
	s_and_saveexec_b64 s[18:19], s[0:1]
; %bb.1501:                             ;   in Loop: Header=BB284_808 Depth=1
	s_mov_b32 s26, 0x7fc02000
	s_xor_b64 s[6:7], exec, -1
; %bb.1502:                             ;   in Loop: Header=BB284_808 Depth=1
	s_or_b64 exec, exec, s[18:19]
	s_and_b64 s[6:7], s[6:7], exec
	s_or_saveexec_b64 s[8:9], s[8:9]
	v_mov_b32_e32 v23, s26
	s_xor_b64 exec, exec, s[8:9]
	s_cbranch_execz .LBB284_1110
.LBB284_1503:                           ;   in Loop: Header=BB284_808 Depth=1
	v_cmp_ne_u16_e64 s[0:1], 0, v16
	s_andn2_b64 s[6:7], s[6:7], exec
	s_and_b64 s[0:1], s[0:1], exec
	v_mov_b32_e32 v23, 0
	s_or_b64 s[6:7], s[6:7], s[0:1]
	s_or_b64 exec, exec, s[8:9]
	s_and_saveexec_b64 s[8:9], s[6:7]
	s_cbranch_execnz .LBB284_1111
	s_branch .LBB284_1112
.LBB284_1504:                           ;   in Loop: Header=BB284_808 Depth=1
	v_cmp_eq_u16_sdwa s[26:27], v48, s20 src0_sel:BYTE_0 src1_sel:DWORD
	s_mov_b64 s[0:1], -1
                                        ; implicit-def: $sgpr18
	s_and_saveexec_b64 s[8:9], s[26:27]
; %bb.1505:                             ;   in Loop: Header=BB284_808 Depth=1
	s_mov_b32 s18, 0x7fc02000
	s_xor_b64 s[0:1], exec, -1
; %bb.1506:                             ;   in Loop: Header=BB284_808 Depth=1
	s_or_b64 exec, exec, s[8:9]
	s_and_b64 s[0:1], s[0:1], exec
	s_or_saveexec_b64 s[6:7], s[6:7]
	v_mov_b32_e32 v50, s18
	s_xor_b64 exec, exec, s[6:7]
	s_cbranch_execz .LBB284_1116
.LBB284_1507:                           ;   in Loop: Header=BB284_808 Depth=1
	v_cmp_ne_u16_sdwa s[8:9], v48, v17 src0_sel:BYTE_0 src1_sel:DWORD
	s_andn2_b64 s[0:1], s[0:1], exec
	s_and_b64 s[8:9], s[8:9], exec
	v_mov_b32_e32 v50, 0
	s_or_b64 s[0:1], s[0:1], s[8:9]
	s_or_b64 exec, exec, s[6:7]
	s_and_saveexec_b64 s[6:7], s[0:1]
	s_cbranch_execnz .LBB284_1117
	s_branch .LBB284_1118
.LBB284_1508:                           ;   in Loop: Header=BB284_808 Depth=1
	v_cmp_eq_u16_e64 s[0:1], s20, v16
	s_mov_b64 s[6:7], -1
                                        ; implicit-def: $sgpr26
	s_and_saveexec_b64 s[18:19], s[0:1]
; %bb.1509:                             ;   in Loop: Header=BB284_808 Depth=1
	s_mov_b32 s26, 0x7fc02000
	s_xor_b64 s[6:7], exec, -1
; %bb.1510:                             ;   in Loop: Header=BB284_808 Depth=1
	s_or_b64 exec, exec, s[18:19]
	s_and_b64 s[6:7], s[6:7], exec
	s_or_saveexec_b64 s[8:9], s[8:9]
	v_mov_b32_e32 v52, s26
	s_xor_b64 exec, exec, s[8:9]
	s_cbranch_execz .LBB284_1120
.LBB284_1511:                           ;   in Loop: Header=BB284_808 Depth=1
	v_cmp_ne_u16_e64 s[0:1], 0, v16
	s_andn2_b64 s[6:7], s[6:7], exec
	s_and_b64 s[0:1], s[0:1], exec
	v_mov_b32_e32 v52, 0
	s_or_b64 s[6:7], s[6:7], s[0:1]
	s_or_b64 exec, exec, s[8:9]
	s_and_saveexec_b64 s[8:9], s[6:7]
	s_cbranch_execnz .LBB284_1121
	s_branch .LBB284_1122
.LBB284_1512:                           ;   in Loop: Header=BB284_808 Depth=1
	v_cmp_eq_u16_sdwa s[26:27], v16, s20 src0_sel:BYTE_0 src1_sel:DWORD
	s_mov_b64 s[0:1], -1
                                        ; implicit-def: $sgpr18
	s_and_saveexec_b64 s[8:9], s[26:27]
; %bb.1513:                             ;   in Loop: Header=BB284_808 Depth=1
	s_mov_b32 s18, 0x7fc02000
	s_xor_b64 s[0:1], exec, -1
; %bb.1514:                             ;   in Loop: Header=BB284_808 Depth=1
	s_or_b64 exec, exec, s[8:9]
	s_and_b64 s[0:1], s[0:1], exec
	s_or_saveexec_b64 s[6:7], s[6:7]
	v_mov_b32_e32 v51, s18
	s_xor_b64 exec, exec, s[6:7]
	s_cbranch_execz .LBB284_1124
.LBB284_1515:                           ;   in Loop: Header=BB284_808 Depth=1
	v_cmp_ne_u16_sdwa s[8:9], v16, v17 src0_sel:BYTE_0 src1_sel:DWORD
	s_andn2_b64 s[0:1], s[0:1], exec
	s_and_b64 s[8:9], s[8:9], exec
	v_mov_b32_e32 v51, 0
	s_or_b64 s[0:1], s[0:1], s[8:9]
	s_or_b64 exec, exec, s[6:7]
	s_and_saveexec_b64 s[6:7], s[0:1]
	s_cbranch_execnz .LBB284_1125
	s_branch .LBB284_1126
.LBB284_1516:                           ;   in Loop: Header=BB284_808 Depth=1
	v_cmp_eq_u16_e64 s[0:1], s20, v16
	s_mov_b64 s[6:7], -1
                                        ; implicit-def: $sgpr26
	s_and_saveexec_b64 s[18:19], s[0:1]
; %bb.1517:                             ;   in Loop: Header=BB284_808 Depth=1
	s_mov_b32 s26, 0x7fc02000
	s_xor_b64 s[6:7], exec, -1
; %bb.1518:                             ;   in Loop: Header=BB284_808 Depth=1
	s_or_b64 exec, exec, s[18:19]
	s_and_b64 s[6:7], s[6:7], exec
	s_or_saveexec_b64 s[8:9], s[8:9]
	v_mov_b32_e32 v53, s26
	s_xor_b64 exec, exec, s[8:9]
	s_cbranch_execz .LBB284_1128
.LBB284_1519:                           ;   in Loop: Header=BB284_808 Depth=1
	v_cmp_ne_u16_e64 s[0:1], 0, v16
	s_andn2_b64 s[6:7], s[6:7], exec
	s_and_b64 s[0:1], s[0:1], exec
	v_mov_b32_e32 v53, 0
	s_or_b64 s[6:7], s[6:7], s[0:1]
	s_or_b64 exec, exec, s[8:9]
	s_and_saveexec_b64 s[8:9], s[6:7]
	s_cbranch_execnz .LBB284_1129
	s_branch .LBB284_1130
.LBB284_1520:                           ;   in Loop: Header=BB284_808 Depth=1
	v_cmp_eq_u16_sdwa s[26:27], v49, s20 src0_sel:BYTE_0 src1_sel:DWORD
	s_mov_b64 s[0:1], -1
                                        ; implicit-def: $sgpr18
	s_and_saveexec_b64 s[8:9], s[26:27]
; %bb.1521:                             ;   in Loop: Header=BB284_808 Depth=1
	s_mov_b32 s18, 0x7fc02000
	s_xor_b64 s[0:1], exec, -1
; %bb.1522:                             ;   in Loop: Header=BB284_808 Depth=1
	s_or_b64 exec, exec, s[8:9]
	s_and_b64 s[0:1], s[0:1], exec
	s_or_saveexec_b64 s[6:7], s[6:7]
	v_mov_b32_e32 v12, s18
	s_xor_b64 exec, exec, s[6:7]
	s_cbranch_execz .LBB284_1132
.LBB284_1523:                           ;   in Loop: Header=BB284_808 Depth=1
	v_cmp_ne_u16_sdwa s[8:9], v49, v17 src0_sel:BYTE_0 src1_sel:DWORD
	s_andn2_b64 s[0:1], s[0:1], exec
	s_and_b64 s[8:9], s[8:9], exec
	v_mov_b32_e32 v12, 0
	s_or_b64 s[0:1], s[0:1], s[8:9]
	s_or_b64 exec, exec, s[6:7]
	v_mov_b32_e32 v16, v49
	s_and_saveexec_b64 s[6:7], s[0:1]
	s_cbranch_execnz .LBB284_1133
	s_branch .LBB284_1134
.LBB284_1524:                           ;   in Loop: Header=BB284_808 Depth=1
	v_cmp_eq_u16_e64 s[0:1], s20, v16
	s_mov_b64 s[6:7], -1
                                        ; implicit-def: $sgpr26
	s_and_saveexec_b64 s[18:19], s[0:1]
; %bb.1525:                             ;   in Loop: Header=BB284_808 Depth=1
	s_mov_b32 s26, 0x7fc02000
	s_xor_b64 s[6:7], exec, -1
; %bb.1526:                             ;   in Loop: Header=BB284_808 Depth=1
	s_or_b64 exec, exec, s[18:19]
	s_and_b64 s[6:7], s[6:7], exec
	s_or_saveexec_b64 s[8:9], s[8:9]
	v_mov_b32_e32 v15, s26
	s_xor_b64 exec, exec, s[8:9]
	s_cbranch_execz .LBB284_1136
.LBB284_1527:                           ;   in Loop: Header=BB284_808 Depth=1
	v_cmp_ne_u16_e64 s[0:1], 0, v16
	s_andn2_b64 s[6:7], s[6:7], exec
	s_and_b64 s[0:1], s[0:1], exec
	v_mov_b32_e32 v15, 0
	s_or_b64 s[6:7], s[6:7], s[0:1]
	s_or_b64 exec, exec, s[8:9]
	s_and_saveexec_b64 s[8:9], s[6:7]
	s_cbranch_execnz .LBB284_1137
	s_branch .LBB284_1138
.LBB284_1528:                           ;   in Loop: Header=BB284_808 Depth=1
	v_cmp_eq_u16_sdwa s[26:27], v16, s20 src0_sel:BYTE_0 src1_sel:DWORD
	s_mov_b64 s[0:1], -1
                                        ; implicit-def: $sgpr18
	s_and_saveexec_b64 s[8:9], s[26:27]
; %bb.1529:                             ;   in Loop: Header=BB284_808 Depth=1
	s_mov_b32 s18, 0x7fc02000
	s_xor_b64 s[0:1], exec, -1
; %bb.1530:                             ;   in Loop: Header=BB284_808 Depth=1
	s_or_b64 exec, exec, s[8:9]
	s_and_b64 s[0:1], s[0:1], exec
	s_or_saveexec_b64 s[6:7], s[6:7]
	v_mov_b32_e32 v22, s18
	s_xor_b64 exec, exec, s[6:7]
	s_cbranch_execz .LBB284_1140
.LBB284_1531:                           ;   in Loop: Header=BB284_808 Depth=1
	v_cmp_ne_u16_sdwa s[8:9], v16, v17 src0_sel:BYTE_0 src1_sel:DWORD
	s_andn2_b64 s[0:1], s[0:1], exec
	s_and_b64 s[8:9], s[8:9], exec
	v_mov_b32_e32 v22, 0
	s_or_b64 s[0:1], s[0:1], s[8:9]
	s_or_b64 exec, exec, s[6:7]
	s_and_saveexec_b64 s[6:7], s[0:1]
	s_cbranch_execnz .LBB284_1141
	s_branch .LBB284_1142
.LBB284_1532:                           ;   in Loop: Header=BB284_808 Depth=1
	v_cmp_eq_u16_e64 s[0:1], s20, v16
	s_mov_b64 s[6:7], -1
                                        ; implicit-def: $sgpr26
	s_and_saveexec_b64 s[18:19], s[0:1]
; %bb.1533:                             ;   in Loop: Header=BB284_808 Depth=1
	s_mov_b32 s26, 0x7fc02000
	s_xor_b64 s[6:7], exec, -1
; %bb.1534:                             ;   in Loop: Header=BB284_808 Depth=1
	s_or_b64 exec, exec, s[18:19]
	s_and_b64 s[6:7], s[6:7], exec
	s_or_saveexec_b64 s[8:9], s[8:9]
	v_mov_b32_e32 v39, s26
	s_xor_b64 exec, exec, s[8:9]
	s_cbranch_execz .LBB284_1144
.LBB284_1535:                           ;   in Loop: Header=BB284_808 Depth=1
	v_cmp_ne_u16_e64 s[0:1], 0, v16
	s_andn2_b64 s[6:7], s[6:7], exec
	s_and_b64 s[0:1], s[0:1], exec
	v_mov_b32_e32 v39, 0
	s_or_b64 s[6:7], s[6:7], s[0:1]
	s_or_b64 exec, exec, s[8:9]
	s_and_saveexec_b64 s[8:9], s[6:7]
	s_cbranch_execnz .LBB284_1145
	s_branch .LBB284_1146
.LBB284_1536:                           ;   in Loop: Header=BB284_808 Depth=1
	v_cmp_eq_u16_sdwa s[26:27], v48, s20 src0_sel:BYTE_0 src1_sel:DWORD
	s_mov_b64 s[0:1], -1
                                        ; implicit-def: $sgpr18
	s_and_saveexec_b64 s[8:9], s[26:27]
; %bb.1537:                             ;   in Loop: Header=BB284_808 Depth=1
	s_mov_b32 s18, 0x7fc02000
	s_xor_b64 s[0:1], exec, -1
; %bb.1538:                             ;   in Loop: Header=BB284_808 Depth=1
	s_or_b64 exec, exec, s[8:9]
	s_and_b64 s[0:1], s[0:1], exec
	s_or_saveexec_b64 s[6:7], s[6:7]
	v_mov_b32_e32 v50, s18
	s_xor_b64 exec, exec, s[6:7]
	s_cbranch_execz .LBB284_1150
.LBB284_1539:                           ;   in Loop: Header=BB284_808 Depth=1
	v_cmp_ne_u16_sdwa s[8:9], v48, v17 src0_sel:BYTE_0 src1_sel:DWORD
	s_andn2_b64 s[0:1], s[0:1], exec
	s_and_b64 s[8:9], s[8:9], exec
	v_mov_b32_e32 v50, 0
	s_or_b64 s[0:1], s[0:1], s[8:9]
	s_or_b64 exec, exec, s[6:7]
	s_and_saveexec_b64 s[6:7], s[0:1]
	s_cbranch_execnz .LBB284_1151
	s_branch .LBB284_1152
.LBB284_1540:                           ;   in Loop: Header=BB284_808 Depth=1
	v_cmp_eq_u16_e64 s[0:1], s20, v16
	s_mov_b64 s[6:7], -1
                                        ; implicit-def: $sgpr26
	s_and_saveexec_b64 s[18:19], s[0:1]
; %bb.1541:                             ;   in Loop: Header=BB284_808 Depth=1
	s_mov_b32 s26, 0x7fc02000
	s_xor_b64 s[6:7], exec, -1
; %bb.1542:                             ;   in Loop: Header=BB284_808 Depth=1
	s_or_b64 exec, exec, s[18:19]
	s_and_b64 s[6:7], s[6:7], exec
	s_or_saveexec_b64 s[8:9], s[8:9]
	v_mov_b32_e32 v52, s26
	s_xor_b64 exec, exec, s[8:9]
	s_cbranch_execz .LBB284_1154
.LBB284_1543:                           ;   in Loop: Header=BB284_808 Depth=1
	v_cmp_ne_u16_e64 s[0:1], 0, v16
	s_andn2_b64 s[6:7], s[6:7], exec
	s_and_b64 s[0:1], s[0:1], exec
	v_mov_b32_e32 v52, 0
	s_or_b64 s[6:7], s[6:7], s[0:1]
	s_or_b64 exec, exec, s[8:9]
	s_and_saveexec_b64 s[8:9], s[6:7]
	s_cbranch_execnz .LBB284_1155
	s_branch .LBB284_1156
.LBB284_1544:                           ;   in Loop: Header=BB284_808 Depth=1
	v_cmp_eq_u16_sdwa s[26:27], v16, s20 src0_sel:BYTE_0 src1_sel:DWORD
	s_mov_b64 s[0:1], -1
                                        ; implicit-def: $sgpr18
	s_and_saveexec_b64 s[8:9], s[26:27]
; %bb.1545:                             ;   in Loop: Header=BB284_808 Depth=1
	s_mov_b32 s18, 0x7fc02000
	s_xor_b64 s[0:1], exec, -1
; %bb.1546:                             ;   in Loop: Header=BB284_808 Depth=1
	s_or_b64 exec, exec, s[8:9]
	s_and_b64 s[0:1], s[0:1], exec
	s_or_saveexec_b64 s[6:7], s[6:7]
	v_mov_b32_e32 v51, s18
	s_xor_b64 exec, exec, s[6:7]
	s_cbranch_execz .LBB284_1158
.LBB284_1547:                           ;   in Loop: Header=BB284_808 Depth=1
	v_cmp_ne_u16_sdwa s[8:9], v16, v17 src0_sel:BYTE_0 src1_sel:DWORD
	s_andn2_b64 s[0:1], s[0:1], exec
	s_and_b64 s[8:9], s[8:9], exec
	v_mov_b32_e32 v51, 0
	s_or_b64 s[0:1], s[0:1], s[8:9]
	s_or_b64 exec, exec, s[6:7]
	s_and_saveexec_b64 s[6:7], s[0:1]
	s_cbranch_execnz .LBB284_1159
	s_branch .LBB284_1160
.LBB284_1548:                           ;   in Loop: Header=BB284_808 Depth=1
	v_cmp_eq_u16_e64 s[0:1], s20, v16
	s_mov_b64 s[6:7], -1
                                        ; implicit-def: $sgpr26
	s_and_saveexec_b64 s[18:19], s[0:1]
; %bb.1549:                             ;   in Loop: Header=BB284_808 Depth=1
	s_mov_b32 s26, 0x7fc02000
	s_xor_b64 s[6:7], exec, -1
; %bb.1550:                             ;   in Loop: Header=BB284_808 Depth=1
	s_or_b64 exec, exec, s[18:19]
	s_and_b64 s[6:7], s[6:7], exec
	s_or_saveexec_b64 s[8:9], s[8:9]
	v_mov_b32_e32 v53, s26
	s_xor_b64 exec, exec, s[8:9]
	s_cbranch_execz .LBB284_1162
.LBB284_1551:                           ;   in Loop: Header=BB284_808 Depth=1
	v_cmp_ne_u16_e64 s[0:1], 0, v16
	s_andn2_b64 s[6:7], s[6:7], exec
	s_and_b64 s[0:1], s[0:1], exec
	v_mov_b32_e32 v53, 0
	s_or_b64 s[6:7], s[6:7], s[0:1]
	s_or_b64 exec, exec, s[8:9]
	s_and_saveexec_b64 s[8:9], s[6:7]
	s_cbranch_execnz .LBB284_1163
	s_branch .LBB284_1164
.LBB284_1552:                           ;   in Loop: Header=BB284_808 Depth=1
	v_cmp_eq_u16_sdwa s[26:27], v49, s20 src0_sel:BYTE_0 src1_sel:DWORD
	s_mov_b64 s[0:1], -1
                                        ; implicit-def: $sgpr18
	s_and_saveexec_b64 s[8:9], s[26:27]
; %bb.1553:                             ;   in Loop: Header=BB284_808 Depth=1
	s_mov_b32 s18, 0x7fc02000
	s_xor_b64 s[0:1], exec, -1
; %bb.1554:                             ;   in Loop: Header=BB284_808 Depth=1
	s_or_b64 exec, exec, s[8:9]
	s_and_b64 s[0:1], s[0:1], exec
	s_or_saveexec_b64 s[6:7], s[6:7]
	v_mov_b32_e32 v12, s18
	s_xor_b64 exec, exec, s[6:7]
	s_cbranch_execz .LBB284_1166
.LBB284_1555:                           ;   in Loop: Header=BB284_808 Depth=1
	v_cmp_ne_u16_sdwa s[8:9], v49, v17 src0_sel:BYTE_0 src1_sel:DWORD
	s_andn2_b64 s[0:1], s[0:1], exec
	s_and_b64 s[8:9], s[8:9], exec
	v_mov_b32_e32 v12, 0
	s_or_b64 s[0:1], s[0:1], s[8:9]
	s_or_b64 exec, exec, s[6:7]
	v_mov_b32_e32 v16, v49
	s_and_saveexec_b64 s[6:7], s[0:1]
	s_cbranch_execnz .LBB284_1167
	s_branch .LBB284_1168
.LBB284_1556:                           ;   in Loop: Header=BB284_808 Depth=1
	v_cmp_eq_u16_e64 s[0:1], s20, v16
	s_mov_b64 s[6:7], -1
                                        ; implicit-def: $sgpr26
	s_and_saveexec_b64 s[18:19], s[0:1]
; %bb.1557:                             ;   in Loop: Header=BB284_808 Depth=1
	s_mov_b32 s26, 0x7fc02000
	s_xor_b64 s[6:7], exec, -1
; %bb.1558:                             ;   in Loop: Header=BB284_808 Depth=1
	s_or_b64 exec, exec, s[18:19]
	s_and_b64 s[6:7], s[6:7], exec
	s_or_saveexec_b64 s[8:9], s[8:9]
	v_mov_b32_e32 v23, s26
	s_xor_b64 exec, exec, s[8:9]
	s_cbranch_execz .LBB284_1170
.LBB284_1559:                           ;   in Loop: Header=BB284_808 Depth=1
	v_cmp_ne_u16_e64 s[0:1], 0, v16
	s_andn2_b64 s[6:7], s[6:7], exec
	s_and_b64 s[0:1], s[0:1], exec
	v_mov_b32_e32 v23, 0
	s_or_b64 s[6:7], s[6:7], s[0:1]
	s_or_b64 exec, exec, s[8:9]
	s_and_saveexec_b64 s[8:9], s[6:7]
	s_cbranch_execnz .LBB284_1171
	s_branch .LBB284_1172
.LBB284_1560:                           ;   in Loop: Header=BB284_808 Depth=1
	v_cmp_eq_u16_sdwa s[26:27], v16, s20 src0_sel:BYTE_0 src1_sel:DWORD
	s_mov_b64 s[0:1], -1
                                        ; implicit-def: $sgpr18
	s_and_saveexec_b64 s[8:9], s[26:27]
; %bb.1561:                             ;   in Loop: Header=BB284_808 Depth=1
	s_mov_b32 s18, 0x7fc02000
	s_xor_b64 s[0:1], exec, -1
; %bb.1562:                             ;   in Loop: Header=BB284_808 Depth=1
	s_or_b64 exec, exec, s[8:9]
	s_and_b64 s[0:1], s[0:1], exec
	s_or_saveexec_b64 s[6:7], s[6:7]
	v_mov_b32_e32 v39, s18
	s_xor_b64 exec, exec, s[6:7]
	s_cbranch_execz .LBB284_1174
.LBB284_1563:                           ;   in Loop: Header=BB284_808 Depth=1
	v_cmp_ne_u16_sdwa s[8:9], v16, v17 src0_sel:BYTE_0 src1_sel:DWORD
	s_andn2_b64 s[0:1], s[0:1], exec
	s_and_b64 s[8:9], s[8:9], exec
	v_mov_b32_e32 v39, 0
	s_or_b64 s[0:1], s[0:1], s[8:9]
	s_or_b64 exec, exec, s[6:7]
	s_and_saveexec_b64 s[6:7], s[0:1]
	s_cbranch_execnz .LBB284_1175
	s_branch .LBB284_1176
.LBB284_1564:                           ;   in Loop: Header=BB284_808 Depth=1
	v_cmp_eq_u16_e64 s[0:1], s20, v16
	s_mov_b64 s[6:7], -1
                                        ; implicit-def: $sgpr26
	s_and_saveexec_b64 s[18:19], s[0:1]
; %bb.1565:                             ;   in Loop: Header=BB284_808 Depth=1
	s_mov_b32 s26, 0x7fc02000
	s_xor_b64 s[6:7], exec, -1
; %bb.1566:                             ;   in Loop: Header=BB284_808 Depth=1
	s_or_b64 exec, exec, s[18:19]
	s_and_b64 s[6:7], s[6:7], exec
	s_or_saveexec_b64 s[8:9], s[8:9]
	v_mov_b32_e32 v45, s26
	s_xor_b64 exec, exec, s[8:9]
	s_cbranch_execz .LBB284_1178
.LBB284_1567:                           ;   in Loop: Header=BB284_808 Depth=1
	v_cmp_ne_u16_e64 s[0:1], 0, v16
	s_andn2_b64 s[6:7], s[6:7], exec
	s_and_b64 s[0:1], s[0:1], exec
	v_mov_b32_e32 v45, 0
	s_or_b64 s[6:7], s[6:7], s[0:1]
	s_or_b64 exec, exec, s[8:9]
	s_and_saveexec_b64 s[8:9], s[6:7]
	s_cbranch_execnz .LBB284_1179
	s_branch .LBB284_1180
.LBB284_1568:                           ;   in Loop: Header=BB284_808 Depth=1
	v_cmp_eq_u16_sdwa s[26:27], v38, s20 src0_sel:BYTE_0 src1_sel:DWORD
	s_mov_b64 s[0:1], -1
                                        ; implicit-def: $sgpr18
	s_and_saveexec_b64 s[8:9], s[26:27]
; %bb.1569:                             ;   in Loop: Header=BB284_808 Depth=1
	s_mov_b32 s18, 0x7fc02000
	s_xor_b64 s[0:1], exec, -1
; %bb.1570:                             ;   in Loop: Header=BB284_808 Depth=1
	s_or_b64 exec, exec, s[8:9]
	s_and_b64 s[0:1], s[0:1], exec
	s_or_saveexec_b64 s[6:7], s[6:7]
	v_mov_b32_e32 v48, s18
	s_xor_b64 exec, exec, s[6:7]
	s_cbranch_execz .LBB284_1184
.LBB284_1571:                           ;   in Loop: Header=BB284_808 Depth=1
	v_cmp_ne_u16_sdwa s[8:9], v38, v17 src0_sel:BYTE_0 src1_sel:DWORD
	s_andn2_b64 s[0:1], s[0:1], exec
	s_and_b64 s[8:9], s[8:9], exec
	v_mov_b32_e32 v48, 0
	s_or_b64 s[0:1], s[0:1], s[8:9]
	s_or_b64 exec, exec, s[6:7]
	s_and_saveexec_b64 s[6:7], s[0:1]
	s_cbranch_execnz .LBB284_1185
	s_branch .LBB284_1186
.LBB284_1572:                           ;   in Loop: Header=BB284_808 Depth=1
	v_cmp_eq_u16_e64 s[0:1], s20, v16
	s_mov_b64 s[6:7], -1
                                        ; implicit-def: $sgpr26
	s_and_saveexec_b64 s[18:19], s[0:1]
; %bb.1573:                             ;   in Loop: Header=BB284_808 Depth=1
	s_mov_b32 s26, 0x7fc02000
	s_xor_b64 s[6:7], exec, -1
; %bb.1574:                             ;   in Loop: Header=BB284_808 Depth=1
	s_or_b64 exec, exec, s[18:19]
	s_and_b64 s[6:7], s[6:7], exec
	s_or_saveexec_b64 s[8:9], s[8:9]
	v_mov_b32_e32 v50, s26
	s_xor_b64 exec, exec, s[8:9]
	s_cbranch_execz .LBB284_1188
.LBB284_1575:                           ;   in Loop: Header=BB284_808 Depth=1
	v_cmp_ne_u16_e64 s[0:1], 0, v16
	s_andn2_b64 s[6:7], s[6:7], exec
	s_and_b64 s[0:1], s[0:1], exec
	v_mov_b32_e32 v50, 0
	s_or_b64 s[6:7], s[6:7], s[0:1]
	s_or_b64 exec, exec, s[8:9]
	s_and_saveexec_b64 s[8:9], s[6:7]
	s_cbranch_execnz .LBB284_1189
	s_branch .LBB284_1190
.LBB284_1576:                           ;   in Loop: Header=BB284_808 Depth=1
	v_cmp_eq_u16_sdwa s[26:27], v16, s20 src0_sel:BYTE_0 src1_sel:DWORD
	s_mov_b64 s[0:1], -1
                                        ; implicit-def: $sgpr18
	s_and_saveexec_b64 s[8:9], s[26:27]
; %bb.1577:                             ;   in Loop: Header=BB284_808 Depth=1
	s_mov_b32 s18, 0x7fc02000
	s_xor_b64 s[0:1], exec, -1
; %bb.1578:                             ;   in Loop: Header=BB284_808 Depth=1
	s_or_b64 exec, exec, s[8:9]
	s_and_b64 s[0:1], s[0:1], exec
	s_or_saveexec_b64 s[6:7], s[6:7]
	v_mov_b32_e32 v49, s18
	s_xor_b64 exec, exec, s[6:7]
	s_cbranch_execz .LBB284_1192
.LBB284_1579:                           ;   in Loop: Header=BB284_808 Depth=1
	v_cmp_ne_u16_sdwa s[8:9], v16, v17 src0_sel:BYTE_0 src1_sel:DWORD
	s_andn2_b64 s[0:1], s[0:1], exec
	s_and_b64 s[8:9], s[8:9], exec
	v_mov_b32_e32 v49, 0
	s_or_b64 s[0:1], s[0:1], s[8:9]
	s_or_b64 exec, exec, s[6:7]
	s_and_saveexec_b64 s[6:7], s[0:1]
	s_cbranch_execnz .LBB284_1193
	s_branch .LBB284_1194
.LBB284_1580:                           ;   in Loop: Header=BB284_808 Depth=1
	v_cmp_eq_u16_e64 s[0:1], s20, v16
	s_mov_b64 s[6:7], -1
                                        ; implicit-def: $sgpr26
	s_and_saveexec_b64 s[18:19], s[0:1]
; %bb.1581:                             ;   in Loop: Header=BB284_808 Depth=1
	s_mov_b32 s26, 0x7fc02000
	s_xor_b64 s[6:7], exec, -1
; %bb.1582:                             ;   in Loop: Header=BB284_808 Depth=1
	s_or_b64 exec, exec, s[18:19]
	s_and_b64 s[6:7], s[6:7], exec
	s_or_saveexec_b64 s[8:9], s[8:9]
	v_mov_b32_e32 v51, s26
	s_xor_b64 exec, exec, s[8:9]
	s_cbranch_execz .LBB284_1196
.LBB284_1583:                           ;   in Loop: Header=BB284_808 Depth=1
	v_cmp_ne_u16_e64 s[0:1], 0, v16
	s_andn2_b64 s[6:7], s[6:7], exec
	s_and_b64 s[0:1], s[0:1], exec
	v_mov_b32_e32 v51, 0
	s_or_b64 s[6:7], s[6:7], s[0:1]
	s_or_b64 exec, exec, s[8:9]
	s_and_saveexec_b64 s[8:9], s[6:7]
	s_cbranch_execnz .LBB284_1197
	s_branch .LBB284_1198
.LBB284_1584:                           ;   in Loop: Header=BB284_808 Depth=1
	v_cmp_eq_u16_sdwa s[26:27], v39, s20 src0_sel:BYTE_0 src1_sel:DWORD
	s_mov_b64 s[0:1], -1
                                        ; implicit-def: $sgpr18
	s_and_saveexec_b64 s[8:9], s[26:27]
; %bb.1585:                             ;   in Loop: Header=BB284_808 Depth=1
	s_mov_b32 s18, 0x7fc02000
	s_xor_b64 s[0:1], exec, -1
; %bb.1586:                             ;   in Loop: Header=BB284_808 Depth=1
	s_or_b64 exec, exec, s[8:9]
	s_and_b64 s[0:1], s[0:1], exec
	s_or_saveexec_b64 s[6:7], s[6:7]
	v_mov_b32_e32 v11, s18
	s_xor_b64 exec, exec, s[6:7]
	s_cbranch_execz .LBB284_1200
.LBB284_1587:                           ;   in Loop: Header=BB284_808 Depth=1
	v_cmp_ne_u16_sdwa s[8:9], v39, v17 src0_sel:BYTE_0 src1_sel:DWORD
	s_andn2_b64 s[0:1], s[0:1], exec
	s_and_b64 s[8:9], s[8:9], exec
	v_mov_b32_e32 v11, 0
	s_or_b64 s[0:1], s[0:1], s[8:9]
	s_or_b64 exec, exec, s[6:7]
	v_mov_b32_e32 v16, v39
	s_and_saveexec_b64 s[6:7], s[0:1]
	s_cbranch_execnz .LBB284_1201
	s_branch .LBB284_1202
.LBB284_1588:                           ;   in Loop: Header=BB284_808 Depth=1
	v_cmp_eq_u16_e64 s[0:1], s20, v16
	s_mov_b64 s[6:7], -1
                                        ; implicit-def: $sgpr26
	s_and_saveexec_b64 s[18:19], s[0:1]
; %bb.1589:                             ;   in Loop: Header=BB284_808 Depth=1
	s_mov_b32 s26, 0x7fc02000
	s_xor_b64 s[6:7], exec, -1
; %bb.1590:                             ;   in Loop: Header=BB284_808 Depth=1
	s_or_b64 exec, exec, s[18:19]
	s_and_b64 s[6:7], s[6:7], exec
	s_or_saveexec_b64 s[8:9], s[8:9]
	v_mov_b32_e32 v38, s26
	s_xor_b64 exec, exec, s[8:9]
	s_cbranch_execz .LBB284_1204
.LBB284_1591:                           ;   in Loop: Header=BB284_808 Depth=1
	v_cmp_ne_u16_e64 s[0:1], 0, v16
	s_andn2_b64 s[6:7], s[6:7], exec
	s_and_b64 s[0:1], s[0:1], exec
	v_mov_b32_e32 v38, 0
	s_or_b64 s[6:7], s[6:7], s[0:1]
	s_or_b64 exec, exec, s[8:9]
	s_and_saveexec_b64 s[8:9], s[6:7]
	s_cbranch_execnz .LBB284_1205
	s_branch .LBB284_1206
.LBB284_1592:                           ;   in Loop: Header=BB284_808 Depth=1
	v_cmp_eq_u16_sdwa s[26:27], v16, s20 src0_sel:BYTE_0 src1_sel:DWORD
	s_mov_b64 s[0:1], -1
                                        ; implicit-def: $sgpr18
	s_and_saveexec_b64 s[8:9], s[26:27]
; %bb.1593:                             ;   in Loop: Header=BB284_808 Depth=1
	s_mov_b32 s18, 0x7fc02000
	s_xor_b64 s[0:1], exec, -1
; %bb.1594:                             ;   in Loop: Header=BB284_808 Depth=1
	s_or_b64 exec, exec, s[8:9]
	s_and_b64 s[0:1], s[0:1], exec
	s_or_saveexec_b64 s[6:7], s[6:7]
	v_mov_b32_e32 v52, s18
	s_xor_b64 exec, exec, s[6:7]
	s_cbranch_execz .LBB284_1208
.LBB284_1595:                           ;   in Loop: Header=BB284_808 Depth=1
	v_cmp_ne_u16_sdwa s[8:9], v16, v17 src0_sel:BYTE_0 src1_sel:DWORD
	s_andn2_b64 s[0:1], s[0:1], exec
	s_and_b64 s[8:9], s[8:9], exec
	v_mov_b32_e32 v52, 0
	s_or_b64 s[0:1], s[0:1], s[8:9]
	s_or_b64 exec, exec, s[6:7]
	s_and_saveexec_b64 s[6:7], s[0:1]
	s_cbranch_execnz .LBB284_1209
	s_branch .LBB284_1210
.LBB284_1596:                           ;   in Loop: Header=BB284_808 Depth=1
	v_cmp_eq_u16_e64 s[0:1], s20, v16
	s_mov_b64 s[6:7], -1
                                        ; implicit-def: $sgpr26
	s_and_saveexec_b64 s[18:19], s[0:1]
; %bb.1597:                             ;   in Loop: Header=BB284_808 Depth=1
	s_mov_b32 s26, 0x7fc02000
	s_xor_b64 s[6:7], exec, -1
; %bb.1598:                             ;   in Loop: Header=BB284_808 Depth=1
	s_or_b64 exec, exec, s[18:19]
	s_and_b64 s[6:7], s[6:7], exec
	s_or_saveexec_b64 s[8:9], s[8:9]
	v_mov_b32_e32 v53, s26
	s_xor_b64 exec, exec, s[8:9]
	s_cbranch_execz .LBB284_1212
.LBB284_1599:                           ;   in Loop: Header=BB284_808 Depth=1
	v_cmp_ne_u16_e64 s[0:1], 0, v16
	s_andn2_b64 s[6:7], s[6:7], exec
	s_and_b64 s[0:1], s[0:1], exec
	v_mov_b32_e32 v53, 0
	s_or_b64 s[6:7], s[6:7], s[0:1]
	s_or_b64 exec, exec, s[8:9]
	s_and_saveexec_b64 s[8:9], s[6:7]
	s_cbranch_execnz .LBB284_1213
	s_branch .LBB284_1214
.LBB284_1600:
	s_or_b64 exec, exec, s[4:5]
	v_accvgpr_read_b32 v36, a9
	v_accvgpr_read_b32 v37, a10
	;; [unrolled: 1-line block ×4, first 2 shown]
.LBB284_1601:
	s_or_b64 exec, exec, s[2:3]
	ds_bpermute_b32 v0, v37, v28
	ds_bpermute_b32 v1, v37, v29
	;; [unrolled: 1-line block ×6, first 2 shown]
	s_waitcnt lgkmcnt(4)
	v_pk_add_f32 v[0:1], v[28:29], v[0:1]
	ds_bpermute_b32 v6, v38, v0
	ds_bpermute_b32 v7, v38, v1
	s_waitcnt lgkmcnt(4)
	v_pk_add_f32 v[12:13], v[26:27], v[2:3]
	s_waitcnt lgkmcnt(0)
	s_barrier
	v_pk_add_f32 v[2:3], v[0:1], v[6:7]
	v_pk_add_f32 v[0:1], v[24:25], v[10:11]
	ds_bpermute_b32 v10, v38, v0
	ds_bpermute_b32 v11, v38, v1
	;; [unrolled: 1-line block ×6, first 2 shown]
	s_waitcnt lgkmcnt(4)
	v_pk_add_f32 v[10:11], v[0:1], v[10:11]
	scratch_load_dword v0, off, s32 offset:356 ; 4-byte Folded Reload
	ds_bpermute_b32 v22, v37, v4
	ds_bpermute_b32 v23, v37, v5
	;; [unrolled: 1-line block ×4, first 2 shown]
	s_waitcnt lgkmcnt(6)
	v_pk_add_f32 v[6:7], v[20:21], v[6:7]
	s_waitcnt lgkmcnt(4)
	v_pk_add_f32 v[16:17], v[8:9], v[16:17]
	ds_bpermute_b32 v18, v38, v6
	ds_bpermute_b32 v19, v38, v7
	ds_bpermute_b32 v20, v38, v16
	ds_bpermute_b32 v21, v38, v17
	s_waitcnt lgkmcnt(6)
	v_pk_add_f32 v[4:5], v[4:5], v[22:23]
	s_waitcnt lgkmcnt(4)
	v_pk_add_f32 v[12:13], v[12:13], v[14:15]
	ds_bpermute_b32 v14, v38, v4
	ds_bpermute_b32 v15, v38, v5
	s_waitcnt lgkmcnt(4)
	v_pk_add_f32 v[8:9], v[6:7], v[18:19]
	s_waitcnt lgkmcnt(2)
	v_pk_add_f32 v[6:7], v[16:17], v[20:21]
	s_waitcnt vmcnt(0)
	v_and_b32_e32 v0, 0x3c3, v0
	v_cmp_ne_u32_e32 vcc, 64, v0
	s_and_saveexec_b64 s[0:1], vcc
	s_xor_b64 s[0:1], exec, s[0:1]
; %bb.1602:
                                        ; implicit-def: $vgpr36
; %bb.1603:
	s_or_saveexec_b64 s[0:1], s[0:1]
	s_waitcnt lgkmcnt(0)
	v_pk_add_f32 v[4:5], v[4:5], v[14:15]
	s_xor_b64 exec, exec, s[0:1]
	s_cbranch_execz .LBB284_1605
; %bb.1604:
	s_ashr_i32 s17, s16, 31
	s_lshl_b64 s[2:3], s[16:17], 2
	s_getpc_b64 s[4:5]
	s_add_u32 s4, s4, llvm.amdgcn.dynlds.offset.table@rel32@lo+4
	s_addc_u32 s5, s5, llvm.amdgcn.dynlds.offset.table@rel32@hi+12
	s_add_u32 s2, s2, s4
	s_addc_u32 s3, s3, s5
	s_load_dword s2, s[2:3], 0x0
	s_waitcnt lgkmcnt(0)
	v_add_u32_e32 v1, s2, v36
	ds_write2_b32 v1, v2, v3 offset1:16
	ds_write2_b32 v1, v12, v13 offset0:32 offset1:48
	ds_write2_b32 v1, v10, v11 offset0:64 offset1:80
	;; [unrolled: 1-line block ×5, first 2 shown]
.LBB284_1605:
	s_or_b64 exec, exec, s[0:1]
	s_waitcnt lgkmcnt(0)
	s_barrier
	scratch_load_dword v1, off, s32 offset:356 ; 4-byte Folded Reload
	s_waitcnt vmcnt(0)
	v_cmp_gt_u32_e32 vcc, 64, v1
	s_and_saveexec_b64 s[0:1], vcc
	s_cbranch_execz .LBB284_1620
; %bb.1606:
	scratch_load_dword v1, off, s32 offset:356 ; 4-byte Folded Reload
	v_cmp_eq_u32_e32 vcc, 0, v39
	s_waitcnt vmcnt(0)
	v_lshrrev_b32_e32 v1, 2, v1
	s_and_saveexec_b64 s[2:3], vcc
	s_cbranch_execnz .LBB284_1623
; %bb.1607:
	s_or_b64 exec, exec, s[2:3]
	s_and_saveexec_b64 s[2:3], vcc
	s_cbranch_execnz .LBB284_1624
.LBB284_1608:
	s_or_b64 exec, exec, s[2:3]
	s_and_saveexec_b64 s[2:3], vcc
	s_cbranch_execnz .LBB284_1625
.LBB284_1609:
	s_or_b64 exec, exec, s[2:3]
	s_and_saveexec_b64 s[2:3], vcc
	s_cbranch_execnz .LBB284_1626
.LBB284_1610:
	s_or_b64 exec, exec, s[2:3]
	s_and_saveexec_b64 s[2:3], vcc
	s_cbranch_execnz .LBB284_1627
.LBB284_1611:
	s_or_b64 exec, exec, s[2:3]
	s_and_saveexec_b64 s[2:3], vcc
	s_cbranch_execnz .LBB284_1628
.LBB284_1612:
	s_or_b64 exec, exec, s[2:3]
	s_and_saveexec_b64 s[2:3], vcc
	s_cbranch_execnz .LBB284_1629
.LBB284_1613:
	s_or_b64 exec, exec, s[2:3]
	s_and_saveexec_b64 s[2:3], vcc
	s_cbranch_execnz .LBB284_1630
.LBB284_1614:
	s_or_b64 exec, exec, s[2:3]
	s_and_saveexec_b64 s[2:3], vcc
	s_cbranch_execnz .LBB284_1631
.LBB284_1615:
	s_or_b64 exec, exec, s[2:3]
	s_and_saveexec_b64 s[2:3], vcc
	s_cbranch_execnz .LBB284_1632
.LBB284_1616:
	s_or_b64 exec, exec, s[2:3]
	s_and_saveexec_b64 s[2:3], vcc
	s_cbranch_execnz .LBB284_1633
.LBB284_1617:
	s_or_b64 exec, exec, s[2:3]
	s_and_saveexec_b64 s[2:3], vcc
	s_cbranch_execz .LBB284_1619
.LBB284_1618:
	s_ashr_i32 s17, s16, 31
	s_lshl_b64 s[4:5], s[16:17], 2
	s_getpc_b64 s[6:7]
	s_add_u32 s6, s6, llvm.amdgcn.dynlds.offset.table@rel32@lo+4
	s_addc_u32 s7, s7, llvm.amdgcn.dynlds.offset.table@rel32@hi+12
	s_add_u32 s4, s4, s6
	s_addc_u32 s5, s5, s7
	s_load_dword s4, s[4:5], 0x0
	s_waitcnt lgkmcnt(0)
	v_lshl_add_u32 v1, v1, 2, s4
	ds_read_b32 v1, v1 offset:704
	s_waitcnt lgkmcnt(0)
	v_add_f32_e32 v5, v1, v5
.LBB284_1619:
	s_or_b64 exec, exec, s[2:3]
.LBB284_1620:
	s_or_b64 exec, exec, s[0:1]
	v_cmp_eq_u32_e32 vcc, 0, v0
	s_barrier
	s_and_saveexec_b64 s[0:1], vcc
	s_cbranch_execz .LBB284_1622
; %bb.1621:
	scratch_load_dwordx2 v[0:1], off, s32 offset:368 ; 8-byte Folded Reload
	scratch_load_dword v14, off, s32 offset:356 ; 4-byte Folded Reload
	v_cmp_ne_u16_e64 s[2:3], s15, 0
	s_cmp_lg_u64 s[2:3], 0
	s_addc_u32 s4, s13, 0
	s_mul_i32 s2, s4, s10
	s_mul_i32 s2, s2, s11
	s_mulk_i32 s2, 0xc0
	s_mul_i32 s4, s12, s4
	s_mul_i32 s6, s14, 0xc0
	s_ashr_i32 s3, s2, 31
	s_ashr_i32 s5, s4, 31
	s_ashr_i32 s7, s6, 31
	s_lshl_b64 s[2:3], s[2:3], 1
	s_lshl_b64 s[4:5], s[4:5], 1
	;; [unrolled: 1-line block ×3, first 2 shown]
	s_add_u32 s4, s6, s4
	s_addc_u32 s5, s7, s5
	s_add_u32 s2, s4, s2
	s_addc_u32 s3, s5, s3
	v_mov_b32_e32 v15, 0
	;;#ASMSTART
	v_cvt_f16_f32 v2, v2;

	;;#ASMEND
	s_waitcnt vmcnt(1)
	v_lshl_add_u64 v[0:1], s[2:3], 0, v[0:1]
	s_waitcnt vmcnt(0)
	v_lshrrev_b32_e32 v14, 1, v14
	v_lshl_add_u64 v[0:1], v[0:1], 0, v[14:15]
	flat_store_short v[0:1], v2
	;;#ASMSTART
	v_cvt_f16_f32 v2, v3;

	;;#ASMEND
	flat_store_short v[0:1], v2 offset:32
	;;#ASMSTART
	v_cvt_f16_f32 v2, v12;

	;;#ASMEND
	flat_store_short v[0:1], v2 offset:64
	;; [unrolled: 5-line block ×11, first 2 shown]
.LBB284_1622:
	s_or_b64 exec, exec, s[0:1]
	scratch_load_dword a63, off, s32        ; 4-byte Folded Reload
	scratch_load_dword a62, off, s32 offset:4 ; 4-byte Folded Reload
	scratch_load_dword a61, off, s32 offset:8 ; 4-byte Folded Reload
	;; [unrolled: 1-line block ×46, first 2 shown]
	v_readlane_b32 s30, v63, 6
	v_readlane_b32 s31, v63, 7
	;; [unrolled: 1-line block ×8, first 2 shown]
	s_or_saveexec_b64 s[0:1], -1
	scratch_load_dword v63, off, s32 offset:420 ; 4-byte Folded Reload
	s_mov_b64 exec, s[0:1]
	s_waitcnt vmcnt(0) lgkmcnt(0)
	s_setpc_b64 s[30:31]
.LBB284_1623:
	s_ashr_i32 s17, s16, 31
	s_lshl_b64 s[4:5], s[16:17], 2
	s_getpc_b64 s[6:7]
	s_add_u32 s6, s6, llvm.amdgcn.dynlds.offset.table@rel32@lo+4
	s_addc_u32 s7, s7, llvm.amdgcn.dynlds.offset.table@rel32@hi+12
	s_add_u32 s4, s4, s6
	s_addc_u32 s5, s5, s7
	s_load_dword s4, s[4:5], 0x0
	s_waitcnt lgkmcnt(0)
	v_lshl_add_u32 v14, v1, 2, s4
	ds_read_b32 v14, v14
	s_waitcnt lgkmcnt(0)
	v_add_f32_e32 v2, v14, v2
	s_or_b64 exec, exec, s[2:3]
	s_and_saveexec_b64 s[2:3], vcc
	s_cbranch_execz .LBB284_1608
.LBB284_1624:
	s_ashr_i32 s17, s16, 31
	s_lshl_b64 s[4:5], s[16:17], 2
	s_getpc_b64 s[6:7]
	s_add_u32 s6, s6, llvm.amdgcn.dynlds.offset.table@rel32@lo+4
	s_addc_u32 s7, s7, llvm.amdgcn.dynlds.offset.table@rel32@hi+12
	s_add_u32 s4, s4, s6
	s_addc_u32 s5, s5, s7
	s_load_dword s4, s[4:5], 0x0
	s_waitcnt lgkmcnt(0)
	v_lshl_add_u32 v14, v1, 2, s4
	ds_read_b32 v14, v14 offset:64
	s_waitcnt lgkmcnt(0)
	v_add_f32_e32 v3, v14, v3
	s_or_b64 exec, exec, s[2:3]
	s_and_saveexec_b64 s[2:3], vcc
	s_cbranch_execz .LBB284_1609
.LBB284_1625:
	s_ashr_i32 s17, s16, 31
	s_lshl_b64 s[4:5], s[16:17], 2
	s_getpc_b64 s[6:7]
	s_add_u32 s6, s6, llvm.amdgcn.dynlds.offset.table@rel32@lo+4
	s_addc_u32 s7, s7, llvm.amdgcn.dynlds.offset.table@rel32@hi+12
	s_add_u32 s4, s4, s6
	s_addc_u32 s5, s5, s7
	s_load_dword s4, s[4:5], 0x0
	s_waitcnt lgkmcnt(0)
	v_lshl_add_u32 v14, v1, 2, s4
	ds_read_b32 v14, v14 offset:128
	s_waitcnt lgkmcnt(0)
	v_add_f32_e32 v12, v14, v12
	s_or_b64 exec, exec, s[2:3]
	s_and_saveexec_b64 s[2:3], vcc
	s_cbranch_execz .LBB284_1610
.LBB284_1626:
	s_ashr_i32 s17, s16, 31
	s_lshl_b64 s[4:5], s[16:17], 2
	s_getpc_b64 s[6:7]
	s_add_u32 s6, s6, llvm.amdgcn.dynlds.offset.table@rel32@lo+4
	s_addc_u32 s7, s7, llvm.amdgcn.dynlds.offset.table@rel32@hi+12
	s_add_u32 s4, s4, s6
	s_addc_u32 s5, s5, s7
	s_load_dword s4, s[4:5], 0x0
	s_waitcnt lgkmcnt(0)
	v_lshl_add_u32 v14, v1, 2, s4
	ds_read_b32 v14, v14 offset:192
	s_waitcnt lgkmcnt(0)
	v_add_f32_e32 v13, v14, v13
	s_or_b64 exec, exec, s[2:3]
	s_and_saveexec_b64 s[2:3], vcc
	s_cbranch_execz .LBB284_1611
.LBB284_1627:
	s_ashr_i32 s17, s16, 31
	s_lshl_b64 s[4:5], s[16:17], 2
	s_getpc_b64 s[6:7]
	s_add_u32 s6, s6, llvm.amdgcn.dynlds.offset.table@rel32@lo+4
	s_addc_u32 s7, s7, llvm.amdgcn.dynlds.offset.table@rel32@hi+12
	s_add_u32 s4, s4, s6
	s_addc_u32 s5, s5, s7
	s_load_dword s4, s[4:5], 0x0
	s_waitcnt lgkmcnt(0)
	v_lshl_add_u32 v14, v1, 2, s4
	ds_read_b32 v14, v14 offset:256
	s_waitcnt lgkmcnt(0)
	v_add_f32_e32 v10, v14, v10
	s_or_b64 exec, exec, s[2:3]
	s_and_saveexec_b64 s[2:3], vcc
	s_cbranch_execz .LBB284_1612
.LBB284_1628:
	s_ashr_i32 s17, s16, 31
	s_lshl_b64 s[4:5], s[16:17], 2
	s_getpc_b64 s[6:7]
	s_add_u32 s6, s6, llvm.amdgcn.dynlds.offset.table@rel32@lo+4
	s_addc_u32 s7, s7, llvm.amdgcn.dynlds.offset.table@rel32@hi+12
	s_add_u32 s4, s4, s6
	s_addc_u32 s5, s5, s7
	s_load_dword s4, s[4:5], 0x0
	s_waitcnt lgkmcnt(0)
	v_lshl_add_u32 v14, v1, 2, s4
	ds_read_b32 v14, v14 offset:320
	s_waitcnt lgkmcnt(0)
	v_add_f32_e32 v11, v14, v11
	s_or_b64 exec, exec, s[2:3]
	s_and_saveexec_b64 s[2:3], vcc
	s_cbranch_execz .LBB284_1613
.LBB284_1629:
	s_ashr_i32 s17, s16, 31
	s_lshl_b64 s[4:5], s[16:17], 2
	s_getpc_b64 s[6:7]
	s_add_u32 s6, s6, llvm.amdgcn.dynlds.offset.table@rel32@lo+4
	s_addc_u32 s7, s7, llvm.amdgcn.dynlds.offset.table@rel32@hi+12
	s_add_u32 s4, s4, s6
	s_addc_u32 s5, s5, s7
	s_load_dword s4, s[4:5], 0x0
	s_waitcnt lgkmcnt(0)
	v_lshl_add_u32 v14, v1, 2, s4
	ds_read_b32 v14, v14 offset:384
	s_waitcnt lgkmcnt(0)
	v_add_f32_e32 v8, v14, v8
	s_or_b64 exec, exec, s[2:3]
	s_and_saveexec_b64 s[2:3], vcc
	s_cbranch_execz .LBB284_1614
.LBB284_1630:
	s_ashr_i32 s17, s16, 31
	s_lshl_b64 s[4:5], s[16:17], 2
	s_getpc_b64 s[6:7]
	s_add_u32 s6, s6, llvm.amdgcn.dynlds.offset.table@rel32@lo+4
	s_addc_u32 s7, s7, llvm.amdgcn.dynlds.offset.table@rel32@hi+12
	s_add_u32 s4, s4, s6
	s_addc_u32 s5, s5, s7
	s_load_dword s4, s[4:5], 0x0
	s_waitcnt lgkmcnt(0)
	v_lshl_add_u32 v14, v1, 2, s4
	ds_read_b32 v14, v14 offset:448
	s_waitcnt lgkmcnt(0)
	v_add_f32_e32 v9, v14, v9
	s_or_b64 exec, exec, s[2:3]
	s_and_saveexec_b64 s[2:3], vcc
	s_cbranch_execz .LBB284_1615
.LBB284_1631:
	s_ashr_i32 s17, s16, 31
	s_lshl_b64 s[4:5], s[16:17], 2
	s_getpc_b64 s[6:7]
	s_add_u32 s6, s6, llvm.amdgcn.dynlds.offset.table@rel32@lo+4
	s_addc_u32 s7, s7, llvm.amdgcn.dynlds.offset.table@rel32@hi+12
	s_add_u32 s4, s4, s6
	s_addc_u32 s5, s5, s7
	s_load_dword s4, s[4:5], 0x0
	s_waitcnt lgkmcnt(0)
	v_lshl_add_u32 v14, v1, 2, s4
	ds_read_b32 v14, v14 offset:512
	s_waitcnt lgkmcnt(0)
	v_add_f32_e32 v6, v14, v6
	s_or_b64 exec, exec, s[2:3]
	s_and_saveexec_b64 s[2:3], vcc
	s_cbranch_execz .LBB284_1616
.LBB284_1632:
	s_ashr_i32 s17, s16, 31
	s_lshl_b64 s[4:5], s[16:17], 2
	s_getpc_b64 s[6:7]
	s_add_u32 s6, s6, llvm.amdgcn.dynlds.offset.table@rel32@lo+4
	s_addc_u32 s7, s7, llvm.amdgcn.dynlds.offset.table@rel32@hi+12
	s_add_u32 s4, s4, s6
	s_addc_u32 s5, s5, s7
	s_load_dword s4, s[4:5], 0x0
	s_waitcnt lgkmcnt(0)
	v_lshl_add_u32 v14, v1, 2, s4
	ds_read_b32 v14, v14 offset:576
	s_waitcnt lgkmcnt(0)
	v_add_f32_e32 v7, v14, v7
	s_or_b64 exec, exec, s[2:3]
	s_and_saveexec_b64 s[2:3], vcc
	s_cbranch_execz .LBB284_1617
.LBB284_1633:
	s_ashr_i32 s17, s16, 31
	s_lshl_b64 s[4:5], s[16:17], 2
	s_getpc_b64 s[6:7]
	s_add_u32 s6, s6, llvm.amdgcn.dynlds.offset.table@rel32@lo+4
	s_addc_u32 s7, s7, llvm.amdgcn.dynlds.offset.table@rel32@hi+12
	s_add_u32 s4, s4, s6
	s_addc_u32 s5, s5, s7
	s_load_dword s4, s[4:5], 0x0
	s_waitcnt lgkmcnt(0)
	v_lshl_add_u32 v14, v1, 2, s4
	ds_read_b32 v14, v14 offset:640
	s_waitcnt lgkmcnt(0)
	v_add_f32_e32 v4, v14, v4
	s_or_b64 exec, exec, s[2:3]
	s_and_saveexec_b64 s[2:3], vcc
	s_cbranch_execnz .LBB284_1618
	s_branch .LBB284_1619
.Lfunc_end284:
	.size	_ZN4vllm22paged_attention_kernelIthLi192ELi32ELi128ELNS_18Fp8KVCacheDataTypeE1ELb0ELi0EEEvPfS2_PT_PKS3_PKT0_S9_ifPKiSB_iPKfiiiSD_SD_iiiii, .Lfunc_end284-_ZN4vllm22paged_attention_kernelIthLi192ELi32ELi128ELNS_18Fp8KVCacheDataTypeE1ELb0ELi0EEEvPfS2_PT_PKS3_PKT0_S9_ifPKiSB_iPKfiiiSD_SD_iiiii
                                        ; -- End function
	.section	.AMDGPU.csdata,"",@progbits
; Function info:
; codeLenInByte = 65352
; NumSgprs: 46
; NumVgprs: 64
; NumAgprs: 64
; TotalNumVgprs: 128
; ScratchSize: 428
; MemoryBound: 0
	.section	.text._ZN4vllm25paged_attention_v1_kernelIthLi192ELi32ELi128ELNS_18Fp8KVCacheDataTypeE1ELb0EEEvPT_PKS2_PKT0_S8_ifPKiSA_iPKfiiiSC_SC_iiiii,"axG",@progbits,_ZN4vllm25paged_attention_v1_kernelIthLi192ELi32ELi128ELNS_18Fp8KVCacheDataTypeE1ELb0EEEvPT_PKS2_PKT0_S8_ifPKiSA_iPKfiiiSC_SC_iiiii,comdat
	.protected	_ZN4vllm25paged_attention_v1_kernelIthLi192ELi32ELi128ELNS_18Fp8KVCacheDataTypeE1ELb0EEEvPT_PKS2_PKT0_S8_ifPKiSA_iPKfiiiSC_SC_iiiii ; -- Begin function _ZN4vllm25paged_attention_v1_kernelIthLi192ELi32ELi128ELNS_18Fp8KVCacheDataTypeE1ELb0EEEvPT_PKS2_PKT0_S8_ifPKiSA_iPKfiiiSC_SC_iiiii
	.globl	_ZN4vllm25paged_attention_v1_kernelIthLi192ELi32ELi128ELNS_18Fp8KVCacheDataTypeE1ELb0EEEvPT_PKS2_PKT0_S8_ifPKiSA_iPKfiiiSC_SC_iiiii
	.p2align	8
	.type	_ZN4vllm25paged_attention_v1_kernelIthLi192ELi32ELi128ELNS_18Fp8KVCacheDataTypeE1ELb0EEEvPT_PKS2_PKT0_S8_ifPKiSA_iPKfiiiSC_SC_iiiii,@function
_ZN4vllm25paged_attention_v1_kernelIthLi192ELi32ELi128ELNS_18Fp8KVCacheDataTypeE1ELb0EEEvPT_PKS2_PKT0_S8_ifPKiSA_iPKfiiiSC_SC_iiiii: ; @_ZN4vllm25paged_attention_v1_kernelIthLi192ELi32ELi128ELNS_18Fp8KVCacheDataTypeE1ELb0EEEvPT_PKS2_PKT0_S8_ifPKiSA_iPKfiiiSC_SC_iiiii
; %bb.0:
	s_load_dwordx8 s[16:23], s[0:1], 0x0
	s_load_dwordx4 s[36:39], s[0:1], 0x20
	s_load_dwordx2 s[6:7], s[0:1], 0x30
	s_load_dword s5, s[0:1], 0x38
	s_load_dwordx2 s[10:11], s[0:1], 0x40
	s_load_dwordx8 s[24:31], s[0:1], 0x48
	s_add_u32 s8, s0, 0x80
	s_addc_u32 s9, s1, 0
	s_mov_b32 s12, s2
	s_mov_b32 s13, s3
	;; [unrolled: 1-line block ×4, first 2 shown]
	v_mov_b32_e32 v31, v0
	s_waitcnt lgkmcnt(0)
	v_mov_b32_e32 v0, s16
	v_mov_b32_e32 v1, s17
	;; [unrolled: 1-line block ×24, first 2 shown]
	s_mov_b32 s32, 0
	s_getpc_b64 s[0:1]
	s_add_u32 s0, s0, _ZN4vllm22paged_attention_kernelIthLi192ELi32ELi128ELNS_18Fp8KVCacheDataTypeE1ELb0ELi0EEEvPfS2_PT_PKS3_PKT0_S9_ifPKiSB_iPKfiiiSD_SD_iiiii@rel32@lo+4
	s_addc_u32 s1, s1, _ZN4vllm22paged_attention_kernelIthLi192ELi32ELi128ELNS_18Fp8KVCacheDataTypeE1ELb0ELi0EEEvPfS2_PT_PKS3_PKT0_S9_ifPKiSB_iPKfiiiSD_SD_iiiii@rel32@hi+12
	s_swappc_b64 s[30:31], s[0:1]
	s_endpgm
	.section	.rodata,"a",@progbits
	.p2align	6, 0x0
	.amdhsa_kernel _ZN4vllm25paged_attention_v1_kernelIthLi192ELi32ELi128ELNS_18Fp8KVCacheDataTypeE1ELb0EEEvPT_PKS2_PKT0_S8_ifPKiSA_iPKfiiiSC_SC_iiiii
		.amdhsa_group_segment_fixed_size 400
		.amdhsa_private_segment_fixed_size 428
		.amdhsa_kernarg_size 384
		.amdhsa_user_sgpr_count 2
		.amdhsa_user_sgpr_dispatch_ptr 0
		.amdhsa_user_sgpr_queue_ptr 0
		.amdhsa_user_sgpr_kernarg_segment_ptr 1
		.amdhsa_user_sgpr_dispatch_id 0
		.amdhsa_user_sgpr_kernarg_preload_length 0
		.amdhsa_user_sgpr_kernarg_preload_offset 0
		.amdhsa_user_sgpr_private_segment_size 0
		.amdhsa_uses_dynamic_stack 0
		.amdhsa_enable_private_segment 1
		.amdhsa_system_sgpr_workgroup_id_x 1
		.amdhsa_system_sgpr_workgroup_id_y 1
		.amdhsa_system_sgpr_workgroup_id_z 1
		.amdhsa_system_sgpr_workgroup_info 0
		.amdhsa_system_vgpr_workitem_id 0
		.amdhsa_next_free_vgpr 128
		.amdhsa_next_free_sgpr 40
		.amdhsa_accum_offset 64
		.amdhsa_reserve_vcc 1
		.amdhsa_float_round_mode_32 0
		.amdhsa_float_round_mode_16_64 0
		.amdhsa_float_denorm_mode_32 3
		.amdhsa_float_denorm_mode_16_64 3
		.amdhsa_dx10_clamp 1
		.amdhsa_ieee_mode 1
		.amdhsa_fp16_overflow 0
		.amdhsa_tg_split 0
		.amdhsa_exception_fp_ieee_invalid_op 0
		.amdhsa_exception_fp_denorm_src 0
		.amdhsa_exception_fp_ieee_div_zero 0
		.amdhsa_exception_fp_ieee_overflow 0
		.amdhsa_exception_fp_ieee_underflow 0
		.amdhsa_exception_fp_ieee_inexact 0
		.amdhsa_exception_int_div_zero 0
	.end_amdhsa_kernel
	.section	.text._ZN4vllm25paged_attention_v1_kernelIthLi192ELi32ELi128ELNS_18Fp8KVCacheDataTypeE1ELb0EEEvPT_PKS2_PKT0_S8_ifPKiSA_iPKfiiiSC_SC_iiiii,"axG",@progbits,_ZN4vllm25paged_attention_v1_kernelIthLi192ELi32ELi128ELNS_18Fp8KVCacheDataTypeE1ELb0EEEvPT_PKS2_PKT0_S8_ifPKiSA_iPKfiiiSC_SC_iiiii,comdat
.Lfunc_end285:
	.size	_ZN4vllm25paged_attention_v1_kernelIthLi192ELi32ELi128ELNS_18Fp8KVCacheDataTypeE1ELb0EEEvPT_PKS2_PKT0_S8_ifPKiSA_iPKfiiiSC_SC_iiiii, .Lfunc_end285-_ZN4vllm25paged_attention_v1_kernelIthLi192ELi32ELi128ELNS_18Fp8KVCacheDataTypeE1ELb0EEEvPT_PKS2_PKT0_S8_ifPKiSA_iPKfiiiSC_SC_iiiii
                                        ; -- End function
	.section	.AMDGPU.csdata,"",@progbits
; Kernel info:
; codeLenInByte = 212
; NumSgprs: 46
; NumVgprs: 64
; NumAgprs: 64
; TotalNumVgprs: 128
; ScratchSize: 428
; MemoryBound: 0
; FloatMode: 240
; IeeeMode: 1
; LDSByteSize: 400 bytes/workgroup (compile time only)
; SGPRBlocks: 5
; VGPRBlocks: 15
; NumSGPRsForWavesPerEU: 46
; NumVGPRsForWavesPerEU: 128
; AccumOffset: 64
; Occupancy: 4
; WaveLimiterHint : 1
; COMPUTE_PGM_RSRC2:SCRATCH_EN: 1
; COMPUTE_PGM_RSRC2:USER_SGPR: 2
; COMPUTE_PGM_RSRC2:TRAP_HANDLER: 0
; COMPUTE_PGM_RSRC2:TGID_X_EN: 1
; COMPUTE_PGM_RSRC2:TGID_Y_EN: 1
; COMPUTE_PGM_RSRC2:TGID_Z_EN: 1
; COMPUTE_PGM_RSRC2:TIDIG_COMP_CNT: 0
; COMPUTE_PGM_RSRC3_GFX90A:ACCUM_OFFSET: 15
; COMPUTE_PGM_RSRC3_GFX90A:TG_SPLIT: 0
	.text
	.p2align	2                               ; -- Begin function _ZN4vllm22paged_attention_kernelIthLi256ELi32ELi128ELNS_18Fp8KVCacheDataTypeE1ELb0ELi0EEEvPfS2_PT_PKS3_PKT0_S9_ifPKiSB_iPKfiiiSD_SD_iiiii
	.type	_ZN4vllm22paged_attention_kernelIthLi256ELi32ELi128ELNS_18Fp8KVCacheDataTypeE1ELb0ELi0EEEvPfS2_PT_PKS3_PKT0_S9_ifPKiSB_iPKfiiiSD_SD_iiiii,@function
_ZN4vllm22paged_attention_kernelIthLi256ELi32ELi128ELNS_18Fp8KVCacheDataTypeE1ELb0ELi0EEEvPfS2_PT_PKS3_PKT0_S9_ifPKiSB_iPKfiiiSD_SD_iiiii: ; @_ZN4vllm22paged_attention_kernelIthLi256ELi32ELi128ELNS_18Fp8KVCacheDataTypeE1ELb0ELi0EEEvPfS2_PT_PKS3_PKT0_S9_ifPKiSB_iPKfiiiSD_SD_iiiii
; %bb.0:
	s_waitcnt vmcnt(0) expcnt(0) lgkmcnt(0)
	s_or_saveexec_b64 s[0:1], -1
	scratch_store_dword off, v63, s32 offset:652 ; 4-byte Folded Spill
	s_mov_b64 exec, s[0:1]
	scratch_store_dword off, v40, s32 offset:184 ; 4-byte Folded Spill
	scratch_store_dword off, v41, s32 offset:180 ; 4-byte Folded Spill
	;; [unrolled: 1-line block ×46, first 2 shown]
	scratch_store_dword off, a63, s32       ; 4-byte Folded Spill
	v_writelane_b32 v63, s34, 0
	v_writelane_b32 v63, s35, 1
	;; [unrolled: 1-line block ×17, first 2 shown]
	s_nop 1
	v_writelane_b32 v63, s31, 17
	s_mov_b32 s10, s13
	s_ashr_i32 s11, s13, 31
	scratch_store_dwordx2 off, v[22:23], s32 offset:188 ; 8-byte Folded Spill
	scratch_store_dwordx2 off, v[20:21], s32 offset:556 ; 8-byte Folded Spill
	scratch_store_dwordx2 off, v[18:19], s32 offset:472 ; 8-byte Folded Spill
	scratch_store_dwordx2 off, v[0:1], s32 offset:600 ; 8-byte Folded Spill
	v_lshl_add_u64 v[0:1], s[10:11], 2, v[12:13]
	flat_load_dword v0, v[0:1]
	v_mov_b32_e32 v35, v7
	scratch_store_dword off, v9, s32 offset:588 ; 4-byte Folded Spill
	v_mov_b32_e32 v34, v6
	v_mov_b32_e32 v25, v16
	;; [unrolled: 1-line block ×5, first 2 shown]
	s_mov_b32 s16, s15
	s_waitcnt vmcnt(0) lgkmcnt(0)
	scratch_store_dwordx2 off, v[0:1], s32 offset:196 ; 8-byte Folded Spill
	v_sub_u32_e32 v0, 0, v8
	v_max_i32_e32 v0, v8, v0
	v_cvt_f32_u32_e32 v1, v0
	s_load_dword s0, s[8:9], 0x10
	s_load_dword s2, s[8:9], 0x0
	v_sub_u32_e32 v7, 0, v0
	v_rcp_iflag_f32_e32 v1, v1
	s_waitcnt lgkmcnt(0)
	s_lshr_b32 s0, s0, 16
	s_cmp_lg_u32 s0, 0
	s_cselect_b64 s[0:1], -1, 0
	v_mul_f32_e32 v1, 0x4f7ffffe, v1
	v_cvt_u32_f32_e32 v1, v1
	s_cmp_lg_u64 s[0:1], 0
	s_addc_u32 s11, s2, 0
	s_abs_i32 s0, s11
	v_mul_lo_u32 v7, v7, v1
	v_mul_hi_u32 v7, v1, v7
	v_add_u32_e32 v1, v1, v7
	v_mul_hi_u32 v1, s0, v1
	v_mul_lo_u32 v7, v1, v0
	v_sub_u32_e32 v7, s0, v7
	v_xor_b32_e32 v6, s11, v8
	v_add_u32_e32 v8, 1, v1
	v_cmp_ge_u32_e32 vcc, v7, v0
	v_ashrrev_i32_e32 v6, 31, v6
	s_abs_i32 s4, s12
	v_cndmask_b32_e32 v1, v1, v8, vcc
	v_sub_u32_e32 v8, v7, v0
	v_cndmask_b32_e32 v7, v7, v8, vcc
	v_add_u32_e32 v8, 1, v1
	v_cmp_ge_u32_e32 vcc, v7, v0
	s_nop 1
	v_cndmask_b32_e32 v0, v1, v8, vcc
	v_xor_b32_e32 v0, v0, v6
	v_sub_u32_e32 v1, v0, v6
	v_sub_u32_e32 v0, 0, v1
	v_max_i32_e32 v0, v1, v0
	v_cvt_f32_u32_e32 v6, v0
	v_sub_u32_e32 v7, 0, v0
	v_cmp_ne_u64_e32 vcc, 0, v[24:25]
	v_rcp_iflag_f32_e32 v6, v6
	s_nop 0
	v_mul_f32_e32 v6, 0x4f7ffffe, v6
	v_cvt_u32_f32_e32 v6, v6
	v_mul_lo_u32 v7, v7, v6
	v_mul_hi_u32 v7, v6, v7
	v_add_u32_e32 v6, v6, v7
	v_mad_u64_u32 v[26:27], s[0:1], s4, v6, 0
	v_mov_b32_e32 v6, 0
	scratch_store_dword off, v6, s32 offset:584 ; 4-byte Folded Spill
	s_and_saveexec_b64 s[0:1], vcc
	s_cbranch_execz .LBB286_2
; %bb.1:
	s_ashr_i32 s13, s12, 31
	v_lshl_add_u64 v[6:7], s[12:13], 2, v[24:25]
	flat_load_dword v6, v[6:7]
	s_waitcnt vmcnt(0) lgkmcnt(0)
	scratch_store_dword off, v6, s32 offset:584 ; 4-byte Folded Spill
.LBB286_2:
	s_or_b64 exec, exec, s[0:1]
	v_and_b32_e32 v10, 0x3ff, v31
	s_ashr_i32 s5, s12, 31
	v_ashrrev_i32_e32 v6, 31, v1
	v_and_b32_e32 v1, 1, v10
	s_lshl_b32 s12, s12, 8
	v_cmp_gt_u32_e64 s[0:1], 64, v10
	v_lshlrev_b32_e32 v16, 3, v10
	s_and_saveexec_b64 s[2:3], s[0:1]
	s_cbranch_execz .LBB286_4
; %bb.3:
	v_mul_lo_u32 v12, s10, v17
	v_ashrrev_i32_e32 v13, 31, v12
	v_lshl_add_u64 v[2:3], v[12:13], 1, v[2:3]
	s_ashr_i32 s13, s12, 31
	v_lshl_add_u64 v[2:3], s[12:13], 1, v[2:3]
	v_mov_b32_e32 v17, 0
	v_lshl_add_u64 v[2:3], v[2:3], 0, v[16:17]
	flat_load_dwordx2 v[2:3], v[2:3]
	v_lshlrev_b32_e32 v7, 2, v10
	v_and_b32_e32 v7, 0xff8, v7
	v_lshl_add_u32 v7, v1, 8, v7
	s_waitcnt vmcnt(0) lgkmcnt(0)
	ds_write_b64 v7, v[2:3]
.LBB286_4:
	s_or_b64 exec, exec, s[2:3]
	scratch_load_dwordx2 v[2:3], off, s32 offset:196 ; 8-byte Folded Reload
	v_mul_lo_u32 v36, s10, v14
	scratch_store_dword off, v10, s32 offset:592 ; 4-byte Folded Spill
	v_lshrrev_b32_e32 v10, 6, v10
	v_ashrrev_i32_e32 v37, 31, v36
	s_waitcnt lgkmcnt(0)
	s_barrier
	s_waitcnt lgkmcnt(0)
                                        ; implicit-def: $sgpr6
	s_waitcnt vmcnt(1)
	v_add_u32_e32 v2, 31, v2
	v_ashrrev_i32_e32 v3, 31, v2
	v_lshrrev_b32_e32 v3, 27, v3
	v_add_u32_e32 v2, v2, v3
	v_mul_lo_u32 v3, v27, v0
	v_sub_u32_e32 v3, s4, v3
	v_ashrrev_i32_e32 v8, 5, v2
	v_xor_b32_e32 v2, s5, v6
	v_add_u32_e32 v6, 1, v27
	v_cmp_ge_u32_e32 vcc, v3, v0
	v_sub_u32_e32 v7, v3, v0
	v_cmp_lt_i32_e64 s[2:3], v10, v8
	v_cndmask_b32_e32 v6, v27, v6, vcc
	v_cndmask_b32_e32 v3, v3, v7, vcc
	v_add_u32_e32 v7, 1, v6
	v_cmp_ge_u32_e32 vcc, v3, v0
	scratch_store_dword off, v8, s32 offset:468 ; 4-byte Folded Spill
	scratch_store_dword off, v10, s32 offset:204 ; 4-byte Folded Spill
	v_cndmask_b32_e32 v0, v6, v7, vcc
	v_xor_b32_e32 v0, v0, v2
	v_sub_u32_e32 v3, v0, v2
	v_cmp_ge_i32_e32 vcc, v10, v8
	v_mbcnt_lo_u32_b32 v2, -1, 0
                                        ; implicit-def: $vgpr0
                                        ; kill: killed $vgpr0
                                        ; implicit-def: $vgpr0
	s_and_saveexec_b64 s[4:5], vcc
	s_xor_b64 s[4:5], exec, s[4:5]
	s_cbranch_execz .LBB286_6
; %bb.5:
	v_mbcnt_hi_u32_b32 v0, -1, v2
	scratch_store_dword off, v0, s32 offset:548 ; 4-byte Folded Spill
	v_and_b32_e32 v0, 64, v0
                                        ; implicit-def: $vgpr1
	v_add_u32_e32 v0, 64, v0
	s_mov_b32 s6, 0xff7fffff
                                        ; kill: killed $vgpr1
                                        ; implicit-def: $vgpr1
                                        ; implicit-def: $vgpr2
                                        ; kill: killed $vgpr1
	scratch_store_dwordx2 off, v[2:3], s32 offset:556 ; 8-byte Folded Spill
                                        ; implicit-def: $vgpr4
                                        ; implicit-def: $vgpr1
                                        ; implicit-def: $vgpr2
.LBB286_6:
	s_or_saveexec_b64 s[18:19], s[4:5]
	s_load_dword s15, s[8:9], 0x14
	s_load_dword s13, s[8:9], 0x8
	v_mul_lo_u32 v38, v3, v19
	scratch_load_dword v3, off, s32 offset:592 ; 4-byte Folded Reload
	v_mov_b32_e32 v6, s6
	v_ashrrev_i32_e32 v39, 31, v38
	scratch_store_dword off, v6, s32 offset:552 ; 4-byte Folded Spill
	s_waitcnt vmcnt(1)
	v_lshrrev_b32_e32 v18, 4, v3
	s_xor_b64 exec, exec, s[18:19]
	s_cbranch_execz .LBB286_1036
; %bb.7:
	scratch_store_dwordx2 off, v[16:17], s32 offset:636 ; 8-byte Folded Spill
	scratch_store_dwordx2 off, v[34:35], s32 offset:628 ; 8-byte Folded Spill
	v_lshlrev_b32_e32 v0, 8, v1
	scratch_store_dword off, v0, s32 offset:564 ; 4-byte Folded Spill
	scratch_load_dword v0, off, s32 offset:584 ; 4-byte Folded Reload
	v_bfe_u32 v3, v3, 1, 5
	v_lshl_add_u64 v[6:7], v[4:5], 0, v[38:39]
	v_lshlrev_b32_e32 v4, 4, v3
	v_mov_b32_e32 v5, 0
	v_lshl_add_u64 v[6:7], v[6:7], 0, v[4:5]
	v_and_b32_e32 v4, 60, v18
	scratch_store_dwordx2 off, v[6:7], s32 offset:568 ; 8-byte Folded Spill
	v_lshlrev_b32_e32 v6, 2, v1
	v_cmp_eq_u32_e64 s[4:5], 0, v1
	s_ashr_i32 s17, s16, 31
	s_lshl_b64 s[8:9], s[16:17], 2
	s_getpc_b64 s[20:21]
	s_add_u32 s20, s20, llvm.amdgcn.dynlds.offset.table@rel32@lo+4
	s_addc_u32 s21, s21, llvm.amdgcn.dynlds.offset.table@rel32@hi+12
	v_mov_b32_e32 v7, v5
	s_add_u32 s8, s8, s20
	scratch_store_dwordx2 off, v[6:7], s32 offset:576 ; 8-byte Folded Spill
	s_addc_u32 s9, s9, s21
	s_mov_b64 s[20:21], 0
	s_movk_i32 s17, 0x7f
	s_movk_i32 s46, 0x80
	s_mov_b32 s47, 0x8000
	s_mov_b64 s[22:23], 0x1000
	s_mov_b64 s[24:25], 0x1200
	;; [unrolled: 1-line block ×8, first 2 shown]
	v_mov_b32_e32 v34, 0x1c00
	scratch_store_dwordx2 off, v[38:39], s32 offset:608 ; 8-byte Folded Spill
	scratch_store_dword off, v18, s32 offset:616 ; 4-byte Folded Spill
	scratch_store_dwordx2 off, v[36:37], s32 offset:620 ; 8-byte Folded Spill
	scratch_store_dwordx2 off, v[22:23], s32 offset:644 ; 8-byte Folded Spill
	s_waitcnt vmcnt(6)
	v_cmp_neq_f32_e64 s[6:7], 0, v0
	v_lshl_add_u64 v[0:1], v[36:37], 2, v[4:5]
	v_lshl_add_u64 v[0:1], v[22:23], 0, v[0:1]
	scratch_store_dwordx2 off, v[0:1], s32 offset:208 ; 8-byte Folded Spill
	scratch_load_dwordx2 v[0:1], off, s32 offset:196 ; 8-byte Folded Reload
	s_waitcnt vmcnt(0)
	v_sub_u32_e32 v0, 1, v0
	scratch_load_dword v1, off, s32 offset:204 ; 4-byte Folded Reload
	s_waitcnt vmcnt(0)
	v_mov_b32_e32 v7, v1
	scratch_store_dword off, v0, s32 offset:596 ; 4-byte Folded Spill
	v_lshl_or_b32 v0, v1, 5, v3
	scratch_store_dword off, v0, s32 offset:460 ; 4-byte Folded Spill
	v_lshlrev_b32_e32 v0, 2, v3
	v_lshl_or_b32 v0, v1, 7, v0
	scratch_store_dword off, v0, s32 offset:464 ; 4-byte Folded Spill
	v_mov_b32_e32 v0, 0xff7fffff
	scratch_store_dword off, v0, s32 offset:552 ; 4-byte Folded Spill
	v_mbcnt_hi_u32_b32 v0, -1, v2
	scratch_store_dword off, v0, s32 offset:548 ; 4-byte Folded Spill
	s_branch .LBB286_9
.LBB286_8:                              ;   in Loop: Header=BB286_9 Depth=1
	s_or_b64 exec, exec, s[40:41]
	s_waitcnt lgkmcnt(0)
	scratch_load_dwordx2 v[2:3], off, s32 offset:208 ; 8-byte Folded Reload
	scratch_load_dword v1, off, s32 offset:460 ; 4-byte Folded Reload
	s_waitcnt vmcnt(2)
	v_add_u32_e32 v7, 2, v7
	s_waitcnt vmcnt(1)
	v_lshl_add_u64 v[2:3], v[2:3], 0, 8
	s_waitcnt vmcnt(0)
	v_add_u32_e32 v1, 64, v1
	scratch_store_dword off, v1, s32 offset:460 ; 4-byte Folded Spill
	scratch_load_dword v1, off, s32 offset:468 ; 4-byte Folded Reload
	s_waitcnt vmcnt(0)
	v_cmp_ge_i32_e32 vcc, v7, v1
	scratch_load_dword v1, off, s32 offset:464 ; 4-byte Folded Reload
	s_or_b64 s[20:21], vcc, s[20:21]
	scratch_store_dwordx2 off, v[2:3], s32 offset:208 ; 8-byte Folded Spill
	s_waitcnt vmcnt(1)
	v_add_u32_e32 v1, 0x100, v1
	scratch_store_dword off, v1, s32 offset:464 ; 4-byte Folded Spill
	s_andn2_b64 exec, exec, s[20:21]
	s_cbranch_execz .LBB286_1035
.LBB286_9:                              ; =>This Inner Loop Header: Depth=1
	scratch_load_dwordx2 v[0:1], off, s32 offset:208 ; 8-byte Folded Reload
                                        ; implicit-def: $sgpr44
	s_nop 0
	scratch_store_dword off, v7, s32 offset:480 ; 4-byte Folded Spill
	s_waitcnt vmcnt(1)
	flat_load_dword v0, v[0:1]
	s_nop 0
	scratch_load_dwordx2 v[6:7], off, s32 offset:568 ; 8-byte Folded Reload
	scratch_load_dwordx2 v[2:3], off, s32 offset:472 ; 8-byte Folded Reload
	s_waitcnt vmcnt(0) lgkmcnt(0)
	v_mad_i64_i32 v[0:1], vcc, v0, v2, v[6:7]
	scratch_load_dwordx2 v[2:3], off, s32 offset:576 ; 8-byte Folded Reload
	s_mov_b64 vcc, 0
	s_waitcnt vmcnt(0)
	v_lshl_add_u64 v[30:31], v[0:1], 0, v[2:3]
	flat_load_dword v8, v[30:31]
	scratch_load_dwordx2 v[0:1], off, s32 offset:556 ; 8-byte Folded Reload
	s_waitcnt vmcnt(0) lgkmcnt(0)
	v_cmp_gt_i16_sdwa s[40:41], v8, s17 src0_sel:BYTE_0 src1_sel:DWORD
	flat_load_dword v0, v[0:1]
	s_and_saveexec_b64 s[42:43], s[40:41]
	s_xor_b64 s[40:41], exec, s[42:43]
	s_cbranch_execnz .LBB286_767
; %bb.10:                               ;   in Loop: Header=BB286_9 Depth=1
	s_or_saveexec_b64 s[40:41], s[40:41]
	v_mov_b32_e32 v1, s44
	s_xor_b64 exec, exec, s[40:41]
	s_cbranch_execnz .LBB286_770
.LBB286_11:                             ;   in Loop: Header=BB286_9 Depth=1
	s_or_b64 exec, exec, s[40:41]
	s_and_saveexec_b64 s[40:41], vcc
	s_cbranch_execz .LBB286_13
.LBB286_12:                             ;   in Loop: Header=BB286_9 Depth=1
	v_and_b32_e32 v1, 7, v8
	v_ffbh_u32_e32 v2, v1
	v_min_u32_e32 v6, 32, v2
	v_subrev_u32_e32 v2, 28, v6
	v_bfe_u32 v4, v8, 3, 4
	v_lshlrev_b64 v[2:3], v2, v[8:9]
	v_sub_u32_e32 v3, 29, v6
	v_cmp_eq_u32_e32 vcc, 0, v4
	v_and_b32_e32 v2, 7, v2
	s_nop 0
	v_cndmask_b32_e32 v3, v4, v3, vcc
	v_cndmask_b32_e32 v1, v1, v2, vcc
	v_lshlrev_b32_e32 v2, 8, v8
	v_lshl_add_u32 v3, v3, 10, v34
	v_and_or_b32 v2, v2, s47, v3
	v_lshl_or_b32 v1, v1, 7, v2
	v_cvt_f32_f16_e32 v1, v1
.LBB286_13:                             ;   in Loop: Header=BB286_9 Depth=1
	s_or_b64 exec, exec, s[40:41]
	v_lshrrev_b16_e32 v4, 8, v8
	v_cmp_lt_i16_e32 vcc, s17, v4
	s_mov_b64 s[40:41], 0
	scratch_store_dword off, v1, s32 offset:484 ; 4-byte Folded Spill
                                        ; implicit-def: $sgpr48
	s_and_saveexec_b64 s[42:43], vcc
	s_xor_b64 s[42:43], exec, s[42:43]
	s_cbranch_execnz .LBB286_771
; %bb.14:                               ;   in Loop: Header=BB286_9 Depth=1
	s_or_saveexec_b64 s[42:43], s[42:43]
	v_mov_b32_e32 v9, s48
	s_xor_b64 exec, exec, s[42:43]
	s_cbranch_execnz .LBB286_774
.LBB286_15:                             ;   in Loop: Header=BB286_9 Depth=1
	s_or_b64 exec, exec, s[42:43]
	s_and_saveexec_b64 s[42:43], s[40:41]
	s_cbranch_execz .LBB286_17
.LBB286_16:                             ;   in Loop: Header=BB286_9 Depth=1
	v_and_b32_e32 v1, 7, v4
	v_ffbh_u32_e32 v2, v1
	v_min_u32_e32 v7, 32, v2
	v_subrev_u32_e32 v2, 28, v7
	v_bfe_u32 v6, v4, 3, 4
	v_lshlrev_b64 v[2:3], v2, v[4:5]
	v_sub_u32_e32 v3, 29, v7
	v_cmp_eq_u32_e32 vcc, 0, v6
	v_and_b32_e32 v2, 7, v2
	s_nop 0
	v_cndmask_b32_e32 v3, v6, v3, vcc
	v_cndmask_b32_e32 v1, v1, v2, vcc
	v_lshlrev_b32_e32 v2, 8, v4
	v_lshl_add_u32 v3, v3, 10, v34
	v_and_or_b32 v2, v2, s47, v3
	v_lshl_or_b32 v1, v1, 7, v2
	v_cvt_f32_f16_e32 v9, v1
.LBB286_17:                             ;   in Loop: Header=BB286_9 Depth=1
	s_or_b64 exec, exec, s[42:43]
	v_lshrrev_b32_e32 v4, 16, v8
	v_cmp_gt_i16_sdwa s[40:41], v4, s17 src0_sel:BYTE_0 src1_sel:DWORD
	s_mov_b64 vcc, 0
                                        ; implicit-def: $sgpr44
	s_and_saveexec_b64 s[42:43], s[40:41]
	s_xor_b64 s[40:41], exec, s[42:43]
	s_cbranch_execnz .LBB286_775
; %bb.18:                               ;   in Loop: Header=BB286_9 Depth=1
	s_or_saveexec_b64 s[40:41], s[40:41]
	v_mov_b32_e32 v62, s44
	s_xor_b64 exec, exec, s[40:41]
	s_cbranch_execnz .LBB286_778
.LBB286_19:                             ;   in Loop: Header=BB286_9 Depth=1
	s_or_b64 exec, exec, s[40:41]
	s_and_saveexec_b64 s[40:41], vcc
	s_cbranch_execz .LBB286_21
.LBB286_20:                             ;   in Loop: Header=BB286_9 Depth=1
	v_bfe_u32 v1, v8, 16, 3
	v_ffbh_u32_e32 v2, v1
	v_min_u32_e32 v7, 32, v2
	v_subrev_u32_e32 v2, 28, v7
	v_bfe_u32 v6, v8, 19, 4
	v_lshlrev_b64 v[2:3], v2, v[4:5]
	v_sub_u32_e32 v3, 29, v7
	v_cmp_eq_u32_e32 vcc, 0, v6
	v_and_b32_e32 v2, 7, v2
	s_nop 0
	v_cndmask_b32_e32 v3, v6, v3, vcc
	v_cndmask_b32_e32 v1, v1, v2, vcc
	v_lshlrev_b32_e32 v2, 8, v4
	v_lshl_add_u32 v3, v3, 10, v34
	v_and_or_b32 v2, v2, s47, v3
	v_lshl_or_b32 v1, v1, 7, v2
	v_cvt_f32_f16_e32 v62, v1
.LBB286_21:                             ;   in Loop: Header=BB286_9 Depth=1
	s_or_b64 exec, exec, s[40:41]
	v_lshrrev_b32_e32 v4, 24, v8
	v_cmp_lt_i16_e32 vcc, s17, v4
	s_mov_b64 s[40:41], 0
                                        ; implicit-def: $sgpr48
	s_and_saveexec_b64 s[42:43], vcc
	s_xor_b64 s[42:43], exec, s[42:43]
	s_cbranch_execz .LBB286_25
; %bb.22:                               ;   in Loop: Header=BB286_9 Depth=1
	v_cmp_eq_u16_e32 vcc, s46, v4
	s_mov_b64 s[40:41], -1
                                        ; implicit-def: $sgpr48
	s_and_saveexec_b64 s[44:45], vcc
; %bb.23:                               ;   in Loop: Header=BB286_9 Depth=1
	s_mov_b32 s48, 0x7fc02000
	s_xor_b64 s[40:41], exec, -1
; %bb.24:                               ;   in Loop: Header=BB286_9 Depth=1
	s_or_b64 exec, exec, s[44:45]
	s_and_b64 s[40:41], s[40:41], exec
.LBB286_25:                             ;   in Loop: Header=BB286_9 Depth=1
	s_or_saveexec_b64 s[42:43], s[42:43]
	v_mov_b32_e32 v1, s48
	scratch_store_dword off, v1, s32 offset:216 ; 4-byte Folded Spill
	s_xor_b64 exec, exec, s[42:43]
	s_cbranch_execz .LBB286_27
; %bb.26:                               ;   in Loop: Header=BB286_9 Depth=1
	v_cmp_ne_u16_e32 vcc, 0, v4
	s_andn2_b64 s[40:41], s[40:41], exec
	s_and_b64 vcc, vcc, exec
	v_mov_b32_e32 v1, 0
	s_or_b64 s[40:41], s[40:41], vcc
	scratch_store_dword off, v1, s32 offset:216 ; 4-byte Folded Spill
.LBB286_27:                             ;   in Loop: Header=BB286_9 Depth=1
	s_or_b64 exec, exec, s[42:43]
	s_and_saveexec_b64 s[42:43], s[40:41]
	s_cbranch_execz .LBB286_29
; %bb.28:                               ;   in Loop: Header=BB286_9 Depth=1
	v_bfe_u32 v1, v8, 24, 3
	v_ffbh_u32_e32 v2, v1
	v_min_u32_e32 v7, 32, v2
	v_subrev_u32_e32 v2, 28, v7
	v_bfe_u32 v6, v8, 27, 4
	v_lshlrev_b64 v[2:3], v2, v[4:5]
	v_sub_u32_e32 v3, 29, v7
	v_cmp_eq_u32_e32 vcc, 0, v6
	v_and_b32_e32 v2, 7, v2
	s_nop 0
	v_cndmask_b32_e32 v3, v6, v3, vcc
	v_cndmask_b32_e32 v1, v1, v2, vcc
	v_lshlrev_b32_e32 v2, 8, v4
	v_lshl_add_u32 v3, v3, 10, v34
	v_and_or_b32 v2, v2, s47, v3
	v_lshl_or_b32 v1, v1, 7, v2
	v_cvt_f32_f16_e32 v1, v1
	scratch_store_dword off, v1, s32 offset:216 ; 4-byte Folded Spill
.LBB286_29:                             ;   in Loop: Header=BB286_9 Depth=1
	s_or_b64 exec, exec, s[42:43]
	flat_load_dword v8, v[30:31] offset:8
	s_mov_b64 vcc, 0
                                        ; implicit-def: $sgpr44
	s_waitcnt vmcnt(0) lgkmcnt(0)
	v_cmp_gt_i16_sdwa s[40:41], v8, s17 src0_sel:BYTE_0 src1_sel:DWORD
	s_and_saveexec_b64 s[42:43], s[40:41]
	s_xor_b64 s[40:41], exec, s[42:43]
	s_cbranch_execnz .LBB286_779
; %bb.30:                               ;   in Loop: Header=BB286_9 Depth=1
	s_or_saveexec_b64 s[40:41], s[40:41]
	v_mov_b32_e32 v1, s44
	s_xor_b64 exec, exec, s[40:41]
	s_cbranch_execnz .LBB286_782
.LBB286_31:                             ;   in Loop: Header=BB286_9 Depth=1
	s_or_b64 exec, exec, s[40:41]
	s_and_saveexec_b64 s[40:41], vcc
	s_cbranch_execz .LBB286_33
.LBB286_32:                             ;   in Loop: Header=BB286_9 Depth=1
	v_and_b32_e32 v1, 7, v8
	v_ffbh_u32_e32 v2, v1
	v_min_u32_e32 v6, 32, v2
	v_subrev_u32_e32 v2, 28, v6
	v_bfe_u32 v4, v8, 3, 4
	v_lshlrev_b64 v[2:3], v2, v[8:9]
	v_sub_u32_e32 v3, 29, v6
	v_cmp_eq_u32_e32 vcc, 0, v4
	v_and_b32_e32 v2, 7, v2
	s_nop 0
	v_cndmask_b32_e32 v3, v4, v3, vcc
	v_cndmask_b32_e32 v1, v1, v2, vcc
	v_lshlrev_b32_e32 v2, 8, v8
	v_lshl_add_u32 v3, v3, 10, v34
	v_and_or_b32 v2, v2, s47, v3
	v_lshl_or_b32 v1, v1, 7, v2
	v_cvt_f32_f16_e32 v1, v1
.LBB286_33:                             ;   in Loop: Header=BB286_9 Depth=1
	s_or_b64 exec, exec, s[40:41]
	v_lshrrev_b16_e32 v4, 8, v8
	v_cmp_lt_i16_e32 vcc, s17, v4
	s_mov_b64 s[40:41], 0
	scratch_store_dword off, v1, s32 offset:488 ; 4-byte Folded Spill
                                        ; implicit-def: $sgpr48
	s_and_saveexec_b64 s[42:43], vcc
	s_xor_b64 s[42:43], exec, s[42:43]
	s_cbranch_execz .LBB286_37
; %bb.34:                               ;   in Loop: Header=BB286_9 Depth=1
	v_cmp_eq_u16_e32 vcc, s46, v4
	s_mov_b64 s[40:41], -1
                                        ; implicit-def: $sgpr48
	s_and_saveexec_b64 s[44:45], vcc
; %bb.35:                               ;   in Loop: Header=BB286_9 Depth=1
	s_mov_b32 s48, 0x7fc02000
	s_xor_b64 s[40:41], exec, -1
; %bb.36:                               ;   in Loop: Header=BB286_9 Depth=1
	s_or_b64 exec, exec, s[44:45]
	s_and_b64 s[40:41], s[40:41], exec
.LBB286_37:                             ;   in Loop: Header=BB286_9 Depth=1
	s_or_saveexec_b64 s[42:43], s[42:43]
	v_mov_b32_e32 v1, s48
	scratch_store_dword off, v1, s32 offset:220 ; 4-byte Folded Spill
	s_xor_b64 exec, exec, s[42:43]
	s_cbranch_execz .LBB286_39
; %bb.38:                               ;   in Loop: Header=BB286_9 Depth=1
	v_cmp_ne_u16_e32 vcc, 0, v4
	s_andn2_b64 s[40:41], s[40:41], exec
	s_and_b64 vcc, vcc, exec
	v_mov_b32_e32 v1, 0
	s_or_b64 s[40:41], s[40:41], vcc
	scratch_store_dword off, v1, s32 offset:220 ; 4-byte Folded Spill
.LBB286_39:                             ;   in Loop: Header=BB286_9 Depth=1
	s_or_b64 exec, exec, s[42:43]
	s_and_saveexec_b64 s[42:43], s[40:41]
	s_cbranch_execz .LBB286_41
; %bb.40:                               ;   in Loop: Header=BB286_9 Depth=1
	v_and_b32_e32 v1, 7, v4
	v_ffbh_u32_e32 v2, v1
	v_min_u32_e32 v7, 32, v2
	v_subrev_u32_e32 v2, 28, v7
	v_bfe_u32 v6, v4, 3, 4
	v_lshlrev_b64 v[2:3], v2, v[4:5]
	v_sub_u32_e32 v3, 29, v7
	v_cmp_eq_u32_e32 vcc, 0, v6
	v_and_b32_e32 v2, 7, v2
	s_nop 0
	v_cndmask_b32_e32 v3, v6, v3, vcc
	v_cndmask_b32_e32 v1, v1, v2, vcc
	v_lshlrev_b32_e32 v2, 8, v4
	v_lshl_add_u32 v3, v3, 10, v34
	v_and_or_b32 v2, v2, s47, v3
	v_lshl_or_b32 v1, v1, 7, v2
	v_cvt_f32_f16_e32 v1, v1
	scratch_store_dword off, v1, s32 offset:220 ; 4-byte Folded Spill
.LBB286_41:                             ;   in Loop: Header=BB286_9 Depth=1
	s_or_b64 exec, exec, s[42:43]
	v_lshrrev_b32_e32 v4, 16, v8
	v_cmp_gt_i16_sdwa s[40:41], v4, s17 src0_sel:BYTE_0 src1_sel:DWORD
	s_mov_b64 vcc, 0
                                        ; implicit-def: $sgpr44
	s_and_saveexec_b64 s[42:43], s[40:41]
	s_xor_b64 s[40:41], exec, s[42:43]
	s_cbranch_execz .LBB286_45
; %bb.42:                               ;   in Loop: Header=BB286_9 Depth=1
	v_cmp_eq_u16_sdwa s[48:49], v4, s46 src0_sel:BYTE_0 src1_sel:DWORD
	s_mov_b64 vcc, -1
                                        ; implicit-def: $sgpr44
	s_and_saveexec_b64 s[42:43], s[48:49]
; %bb.43:                               ;   in Loop: Header=BB286_9 Depth=1
	s_mov_b32 s44, 0x7fc02000
	s_xor_b64 vcc, exec, -1
; %bb.44:                               ;   in Loop: Header=BB286_9 Depth=1
	s_or_b64 exec, exec, s[42:43]
	s_and_b64 vcc, vcc, exec
.LBB286_45:                             ;   in Loop: Header=BB286_9 Depth=1
	s_or_saveexec_b64 s[40:41], s[40:41]
	v_mov_b32_e32 v1, s44
	scratch_store_dword off, v1, s32 offset:224 ; 4-byte Folded Spill
	s_xor_b64 exec, exec, s[40:41]
	s_cbranch_execz .LBB286_47
; %bb.46:                               ;   in Loop: Header=BB286_9 Depth=1
	v_cmp_ne_u16_sdwa s[42:43], v4, v5 src0_sel:BYTE_0 src1_sel:DWORD
	s_andn2_b64 vcc, vcc, exec
	s_and_b64 s[42:43], s[42:43], exec
	v_mov_b32_e32 v1, 0
	s_or_b64 vcc, vcc, s[42:43]
	scratch_store_dword off, v1, s32 offset:224 ; 4-byte Folded Spill
.LBB286_47:                             ;   in Loop: Header=BB286_9 Depth=1
	s_or_b64 exec, exec, s[40:41]
	s_and_saveexec_b64 s[40:41], vcc
	s_cbranch_execz .LBB286_49
; %bb.48:                               ;   in Loop: Header=BB286_9 Depth=1
	v_bfe_u32 v1, v8, 16, 3
	v_ffbh_u32_e32 v2, v1
	v_min_u32_e32 v7, 32, v2
	v_subrev_u32_e32 v2, 28, v7
	v_bfe_u32 v6, v8, 19, 4
	v_lshlrev_b64 v[2:3], v2, v[4:5]
	v_sub_u32_e32 v3, 29, v7
	v_cmp_eq_u32_e32 vcc, 0, v6
	v_and_b32_e32 v2, 7, v2
	s_nop 0
	v_cndmask_b32_e32 v3, v6, v3, vcc
	v_cndmask_b32_e32 v1, v1, v2, vcc
	v_lshlrev_b32_e32 v2, 8, v4
	v_lshl_add_u32 v3, v3, 10, v34
	v_and_or_b32 v2, v2, s47, v3
	v_lshl_or_b32 v1, v1, 7, v2
	v_cvt_f32_f16_e32 v1, v1
	scratch_store_dword off, v1, s32 offset:224 ; 4-byte Folded Spill
.LBB286_49:                             ;   in Loop: Header=BB286_9 Depth=1
	s_or_b64 exec, exec, s[40:41]
	v_lshrrev_b32_e32 v4, 24, v8
	v_cmp_lt_i16_e32 vcc, s17, v4
	s_mov_b64 s[40:41], 0
                                        ; implicit-def: $sgpr48
	s_and_saveexec_b64 s[42:43], vcc
	s_xor_b64 s[42:43], exec, s[42:43]
	s_cbranch_execz .LBB286_53
; %bb.50:                               ;   in Loop: Header=BB286_9 Depth=1
	v_cmp_eq_u16_e32 vcc, s46, v4
	s_mov_b64 s[40:41], -1
                                        ; implicit-def: $sgpr48
	s_and_saveexec_b64 s[44:45], vcc
; %bb.51:                               ;   in Loop: Header=BB286_9 Depth=1
	s_mov_b32 s48, 0x7fc02000
	s_xor_b64 s[40:41], exec, -1
; %bb.52:                               ;   in Loop: Header=BB286_9 Depth=1
	s_or_b64 exec, exec, s[44:45]
	s_and_b64 s[40:41], s[40:41], exec
.LBB286_53:                             ;   in Loop: Header=BB286_9 Depth=1
	s_or_saveexec_b64 s[42:43], s[42:43]
	v_mov_b32_e32 v1, s48
	scratch_store_dword off, v1, s32 offset:228 ; 4-byte Folded Spill
	s_xor_b64 exec, exec, s[42:43]
	s_cbranch_execz .LBB286_55
; %bb.54:                               ;   in Loop: Header=BB286_9 Depth=1
	v_cmp_ne_u16_e32 vcc, 0, v4
	s_andn2_b64 s[40:41], s[40:41], exec
	s_and_b64 vcc, vcc, exec
	v_mov_b32_e32 v1, 0
	s_or_b64 s[40:41], s[40:41], vcc
	scratch_store_dword off, v1, s32 offset:228 ; 4-byte Folded Spill
.LBB286_55:                             ;   in Loop: Header=BB286_9 Depth=1
	s_or_b64 exec, exec, s[42:43]
	s_and_saveexec_b64 s[42:43], s[40:41]
	s_cbranch_execz .LBB286_57
; %bb.56:                               ;   in Loop: Header=BB286_9 Depth=1
	v_bfe_u32 v1, v8, 24, 3
	v_ffbh_u32_e32 v2, v1
	v_min_u32_e32 v7, 32, v2
	v_subrev_u32_e32 v2, 28, v7
	v_bfe_u32 v6, v8, 27, 4
	v_lshlrev_b64 v[2:3], v2, v[4:5]
	v_sub_u32_e32 v3, 29, v7
	v_cmp_eq_u32_e32 vcc, 0, v6
	v_and_b32_e32 v2, 7, v2
	s_nop 0
	v_cndmask_b32_e32 v3, v6, v3, vcc
	v_cndmask_b32_e32 v1, v1, v2, vcc
	v_lshlrev_b32_e32 v2, 8, v4
	v_lshl_add_u32 v3, v3, 10, v34
	v_and_or_b32 v2, v2, s47, v3
	v_lshl_or_b32 v1, v1, 7, v2
	v_cvt_f32_f16_e32 v1, v1
	scratch_store_dword off, v1, s32 offset:228 ; 4-byte Folded Spill
.LBB286_57:                             ;   in Loop: Header=BB286_9 Depth=1
	s_or_b64 exec, exec, s[42:43]
	flat_load_dword v8, v[30:31] offset:512
	s_mov_b64 vcc, 0
                                        ; implicit-def: $sgpr44
	s_waitcnt vmcnt(0) lgkmcnt(0)
	v_cmp_gt_i16_sdwa s[40:41], v8, s17 src0_sel:BYTE_0 src1_sel:DWORD
	s_and_saveexec_b64 s[42:43], s[40:41]
	s_xor_b64 s[40:41], exec, s[42:43]
	s_cbranch_execnz .LBB286_783
; %bb.58:                               ;   in Loop: Header=BB286_9 Depth=1
	s_or_saveexec_b64 s[40:41], s[40:41]
	v_mov_b32_e32 v1, s44
	s_xor_b64 exec, exec, s[40:41]
	s_cbranch_execnz .LBB286_786
.LBB286_59:                             ;   in Loop: Header=BB286_9 Depth=1
	s_or_b64 exec, exec, s[40:41]
	s_and_saveexec_b64 s[40:41], vcc
	s_cbranch_execz .LBB286_61
.LBB286_60:                             ;   in Loop: Header=BB286_9 Depth=1
	v_and_b32_e32 v1, 7, v8
	v_ffbh_u32_e32 v2, v1
	v_min_u32_e32 v6, 32, v2
	v_subrev_u32_e32 v2, 28, v6
	v_bfe_u32 v4, v8, 3, 4
	v_lshlrev_b64 v[2:3], v2, v[8:9]
	v_sub_u32_e32 v3, 29, v6
	v_cmp_eq_u32_e32 vcc, 0, v4
	v_and_b32_e32 v2, 7, v2
	s_nop 0
	v_cndmask_b32_e32 v3, v4, v3, vcc
	v_cndmask_b32_e32 v1, v1, v2, vcc
	v_lshlrev_b32_e32 v2, 8, v8
	v_lshl_add_u32 v3, v3, 10, v34
	v_and_or_b32 v2, v2, s47, v3
	v_lshl_or_b32 v1, v1, 7, v2
	v_cvt_f32_f16_e32 v1, v1
.LBB286_61:                             ;   in Loop: Header=BB286_9 Depth=1
	s_or_b64 exec, exec, s[40:41]
	v_lshrrev_b16_e32 v4, 8, v8
	v_cmp_lt_i16_e32 vcc, s17, v4
	s_mov_b64 s[40:41], 0
	scratch_store_dword off, v1, s32 offset:492 ; 4-byte Folded Spill
                                        ; implicit-def: $sgpr48
	s_and_saveexec_b64 s[42:43], vcc
	s_xor_b64 s[42:43], exec, s[42:43]
	s_cbranch_execz .LBB286_65
; %bb.62:                               ;   in Loop: Header=BB286_9 Depth=1
	v_cmp_eq_u16_e32 vcc, s46, v4
	s_mov_b64 s[40:41], -1
                                        ; implicit-def: $sgpr48
	s_and_saveexec_b64 s[44:45], vcc
; %bb.63:                               ;   in Loop: Header=BB286_9 Depth=1
	s_mov_b32 s48, 0x7fc02000
	s_xor_b64 s[40:41], exec, -1
; %bb.64:                               ;   in Loop: Header=BB286_9 Depth=1
	s_or_b64 exec, exec, s[44:45]
	s_and_b64 s[40:41], s[40:41], exec
.LBB286_65:                             ;   in Loop: Header=BB286_9 Depth=1
	s_or_saveexec_b64 s[42:43], s[42:43]
	v_mov_b32_e32 v1, s48
	scratch_store_dword off, v1, s32 offset:232 ; 4-byte Folded Spill
	s_xor_b64 exec, exec, s[42:43]
	s_cbranch_execz .LBB286_67
; %bb.66:                               ;   in Loop: Header=BB286_9 Depth=1
	v_cmp_ne_u16_e32 vcc, 0, v4
	s_andn2_b64 s[40:41], s[40:41], exec
	s_and_b64 vcc, vcc, exec
	v_mov_b32_e32 v1, 0
	s_or_b64 s[40:41], s[40:41], vcc
	scratch_store_dword off, v1, s32 offset:232 ; 4-byte Folded Spill
.LBB286_67:                             ;   in Loop: Header=BB286_9 Depth=1
	s_or_b64 exec, exec, s[42:43]
	s_and_saveexec_b64 s[42:43], s[40:41]
	s_cbranch_execz .LBB286_69
; %bb.68:                               ;   in Loop: Header=BB286_9 Depth=1
	v_and_b32_e32 v1, 7, v4
	v_ffbh_u32_e32 v2, v1
	v_min_u32_e32 v7, 32, v2
	v_subrev_u32_e32 v2, 28, v7
	v_bfe_u32 v6, v4, 3, 4
	v_lshlrev_b64 v[2:3], v2, v[4:5]
	v_sub_u32_e32 v3, 29, v7
	v_cmp_eq_u32_e32 vcc, 0, v6
	v_and_b32_e32 v2, 7, v2
	s_nop 0
	v_cndmask_b32_e32 v3, v6, v3, vcc
	v_cndmask_b32_e32 v1, v1, v2, vcc
	v_lshlrev_b32_e32 v2, 8, v4
	v_lshl_add_u32 v3, v3, 10, v34
	v_and_or_b32 v2, v2, s47, v3
	v_lshl_or_b32 v1, v1, 7, v2
	v_cvt_f32_f16_e32 v1, v1
	scratch_store_dword off, v1, s32 offset:232 ; 4-byte Folded Spill
.LBB286_69:                             ;   in Loop: Header=BB286_9 Depth=1
	s_or_b64 exec, exec, s[42:43]
	v_lshrrev_b32_e32 v4, 16, v8
	v_cmp_gt_i16_sdwa s[40:41], v4, s17 src0_sel:BYTE_0 src1_sel:DWORD
	s_mov_b64 vcc, 0
                                        ; implicit-def: $sgpr44
	s_and_saveexec_b64 s[42:43], s[40:41]
	s_xor_b64 s[40:41], exec, s[42:43]
	s_cbranch_execz .LBB286_73
; %bb.70:                               ;   in Loop: Header=BB286_9 Depth=1
	v_cmp_eq_u16_sdwa s[48:49], v4, s46 src0_sel:BYTE_0 src1_sel:DWORD
	s_mov_b64 vcc, -1
                                        ; implicit-def: $sgpr44
	s_and_saveexec_b64 s[42:43], s[48:49]
; %bb.71:                               ;   in Loop: Header=BB286_9 Depth=1
	s_mov_b32 s44, 0x7fc02000
	s_xor_b64 vcc, exec, -1
; %bb.72:                               ;   in Loop: Header=BB286_9 Depth=1
	s_or_b64 exec, exec, s[42:43]
	s_and_b64 vcc, vcc, exec
.LBB286_73:                             ;   in Loop: Header=BB286_9 Depth=1
	s_or_saveexec_b64 s[40:41], s[40:41]
	v_mov_b32_e32 v1, s44
	scratch_store_dword off, v1, s32 offset:236 ; 4-byte Folded Spill
	s_xor_b64 exec, exec, s[40:41]
	s_cbranch_execz .LBB286_75
; %bb.74:                               ;   in Loop: Header=BB286_9 Depth=1
	v_cmp_ne_u16_sdwa s[42:43], v4, v5 src0_sel:BYTE_0 src1_sel:DWORD
	s_andn2_b64 vcc, vcc, exec
	s_and_b64 s[42:43], s[42:43], exec
	v_mov_b32_e32 v1, 0
	s_or_b64 vcc, vcc, s[42:43]
	scratch_store_dword off, v1, s32 offset:236 ; 4-byte Folded Spill
.LBB286_75:                             ;   in Loop: Header=BB286_9 Depth=1
	s_or_b64 exec, exec, s[40:41]
	s_and_saveexec_b64 s[40:41], vcc
	s_cbranch_execz .LBB286_77
; %bb.76:                               ;   in Loop: Header=BB286_9 Depth=1
	v_bfe_u32 v1, v8, 16, 3
	v_ffbh_u32_e32 v2, v1
	v_min_u32_e32 v7, 32, v2
	v_subrev_u32_e32 v2, 28, v7
	v_bfe_u32 v6, v8, 19, 4
	v_lshlrev_b64 v[2:3], v2, v[4:5]
	v_sub_u32_e32 v3, 29, v7
	v_cmp_eq_u32_e32 vcc, 0, v6
	v_and_b32_e32 v2, 7, v2
	s_nop 0
	v_cndmask_b32_e32 v3, v6, v3, vcc
	v_cndmask_b32_e32 v1, v1, v2, vcc
	v_lshlrev_b32_e32 v2, 8, v4
	v_lshl_add_u32 v3, v3, 10, v34
	v_and_or_b32 v2, v2, s47, v3
	v_lshl_or_b32 v1, v1, 7, v2
	v_cvt_f32_f16_e32 v1, v1
	scratch_store_dword off, v1, s32 offset:236 ; 4-byte Folded Spill
.LBB286_77:                             ;   in Loop: Header=BB286_9 Depth=1
	s_or_b64 exec, exec, s[40:41]
	v_lshrrev_b32_e32 v4, 24, v8
	v_cmp_lt_i16_e32 vcc, s17, v4
	s_mov_b64 s[40:41], 0
                                        ; implicit-def: $sgpr48
	s_and_saveexec_b64 s[42:43], vcc
	s_xor_b64 s[42:43], exec, s[42:43]
	s_cbranch_execz .LBB286_81
; %bb.78:                               ;   in Loop: Header=BB286_9 Depth=1
	v_cmp_eq_u16_e32 vcc, s46, v4
	s_mov_b64 s[40:41], -1
                                        ; implicit-def: $sgpr48
	s_and_saveexec_b64 s[44:45], vcc
; %bb.79:                               ;   in Loop: Header=BB286_9 Depth=1
	s_mov_b32 s48, 0x7fc02000
	s_xor_b64 s[40:41], exec, -1
; %bb.80:                               ;   in Loop: Header=BB286_9 Depth=1
	s_or_b64 exec, exec, s[44:45]
	s_and_b64 s[40:41], s[40:41], exec
.LBB286_81:                             ;   in Loop: Header=BB286_9 Depth=1
	s_or_saveexec_b64 s[42:43], s[42:43]
	v_mov_b32_e32 v1, s48
	scratch_store_dword off, v1, s32 offset:240 ; 4-byte Folded Spill
	s_xor_b64 exec, exec, s[42:43]
	s_cbranch_execz .LBB286_83
; %bb.82:                               ;   in Loop: Header=BB286_9 Depth=1
	v_cmp_ne_u16_e32 vcc, 0, v4
	s_andn2_b64 s[40:41], s[40:41], exec
	s_and_b64 vcc, vcc, exec
	v_mov_b32_e32 v1, 0
	s_or_b64 s[40:41], s[40:41], vcc
	scratch_store_dword off, v1, s32 offset:240 ; 4-byte Folded Spill
.LBB286_83:                             ;   in Loop: Header=BB286_9 Depth=1
	s_or_b64 exec, exec, s[42:43]
	s_and_saveexec_b64 s[42:43], s[40:41]
	s_cbranch_execz .LBB286_85
; %bb.84:                               ;   in Loop: Header=BB286_9 Depth=1
	v_bfe_u32 v1, v8, 24, 3
	v_ffbh_u32_e32 v2, v1
	v_min_u32_e32 v7, 32, v2
	v_subrev_u32_e32 v2, 28, v7
	v_bfe_u32 v6, v8, 27, 4
	v_lshlrev_b64 v[2:3], v2, v[4:5]
	v_sub_u32_e32 v3, 29, v7
	v_cmp_eq_u32_e32 vcc, 0, v6
	v_and_b32_e32 v2, 7, v2
	s_nop 0
	v_cndmask_b32_e32 v3, v6, v3, vcc
	v_cndmask_b32_e32 v1, v1, v2, vcc
	v_lshlrev_b32_e32 v2, 8, v4
	v_lshl_add_u32 v3, v3, 10, v34
	v_and_or_b32 v2, v2, s47, v3
	v_lshl_or_b32 v1, v1, 7, v2
	v_cvt_f32_f16_e32 v1, v1
	scratch_store_dword off, v1, s32 offset:240 ; 4-byte Folded Spill
.LBB286_85:                             ;   in Loop: Header=BB286_9 Depth=1
	s_or_b64 exec, exec, s[42:43]
	flat_load_dword v8, v[30:31] offset:520
	s_mov_b64 vcc, 0
                                        ; implicit-def: $sgpr44
	s_waitcnt vmcnt(0) lgkmcnt(0)
	v_cmp_gt_i16_sdwa s[40:41], v8, s17 src0_sel:BYTE_0 src1_sel:DWORD
	s_and_saveexec_b64 s[42:43], s[40:41]
	s_xor_b64 s[40:41], exec, s[42:43]
	s_cbranch_execnz .LBB286_787
; %bb.86:                               ;   in Loop: Header=BB286_9 Depth=1
	s_or_saveexec_b64 s[40:41], s[40:41]
	v_mov_b32_e32 v1, s44
	s_xor_b64 exec, exec, s[40:41]
	s_cbranch_execnz .LBB286_790
.LBB286_87:                             ;   in Loop: Header=BB286_9 Depth=1
	s_or_b64 exec, exec, s[40:41]
	s_and_saveexec_b64 s[40:41], vcc
	s_cbranch_execz .LBB286_89
.LBB286_88:                             ;   in Loop: Header=BB286_9 Depth=1
	v_and_b32_e32 v1, 7, v8
	v_ffbh_u32_e32 v2, v1
	v_min_u32_e32 v6, 32, v2
	v_subrev_u32_e32 v2, 28, v6
	v_bfe_u32 v4, v8, 3, 4
	v_lshlrev_b64 v[2:3], v2, v[8:9]
	v_sub_u32_e32 v3, 29, v6
	v_cmp_eq_u32_e32 vcc, 0, v4
	v_and_b32_e32 v2, 7, v2
	s_nop 0
	v_cndmask_b32_e32 v3, v4, v3, vcc
	v_cndmask_b32_e32 v1, v1, v2, vcc
	v_lshlrev_b32_e32 v2, 8, v8
	v_lshl_add_u32 v3, v3, 10, v34
	v_and_or_b32 v2, v2, s47, v3
	v_lshl_or_b32 v1, v1, 7, v2
	v_cvt_f32_f16_e32 v1, v1
.LBB286_89:                             ;   in Loop: Header=BB286_9 Depth=1
	s_or_b64 exec, exec, s[40:41]
	v_lshrrev_b16_e32 v4, 8, v8
	v_cmp_lt_i16_e32 vcc, s17, v4
	s_mov_b64 s[40:41], 0
	scratch_store_dword off, v1, s32 offset:496 ; 4-byte Folded Spill
                                        ; implicit-def: $sgpr48
	s_and_saveexec_b64 s[42:43], vcc
	s_xor_b64 s[42:43], exec, s[42:43]
	s_cbranch_execz .LBB286_93
; %bb.90:                               ;   in Loop: Header=BB286_9 Depth=1
	v_cmp_eq_u16_e32 vcc, s46, v4
	s_mov_b64 s[40:41], -1
                                        ; implicit-def: $sgpr48
	s_and_saveexec_b64 s[44:45], vcc
; %bb.91:                               ;   in Loop: Header=BB286_9 Depth=1
	s_mov_b32 s48, 0x7fc02000
	s_xor_b64 s[40:41], exec, -1
; %bb.92:                               ;   in Loop: Header=BB286_9 Depth=1
	s_or_b64 exec, exec, s[44:45]
	s_and_b64 s[40:41], s[40:41], exec
.LBB286_93:                             ;   in Loop: Header=BB286_9 Depth=1
	s_or_saveexec_b64 s[42:43], s[42:43]
	v_mov_b32_e32 v1, s48
	scratch_store_dword off, v1, s32 offset:244 ; 4-byte Folded Spill
	s_xor_b64 exec, exec, s[42:43]
	s_cbranch_execz .LBB286_95
; %bb.94:                               ;   in Loop: Header=BB286_9 Depth=1
	v_cmp_ne_u16_e32 vcc, 0, v4
	s_andn2_b64 s[40:41], s[40:41], exec
	s_and_b64 vcc, vcc, exec
	v_mov_b32_e32 v1, 0
	s_or_b64 s[40:41], s[40:41], vcc
	scratch_store_dword off, v1, s32 offset:244 ; 4-byte Folded Spill
.LBB286_95:                             ;   in Loop: Header=BB286_9 Depth=1
	s_or_b64 exec, exec, s[42:43]
	s_and_saveexec_b64 s[42:43], s[40:41]
	s_cbranch_execz .LBB286_97
; %bb.96:                               ;   in Loop: Header=BB286_9 Depth=1
	v_and_b32_e32 v1, 7, v4
	v_ffbh_u32_e32 v2, v1
	v_min_u32_e32 v7, 32, v2
	v_subrev_u32_e32 v2, 28, v7
	v_bfe_u32 v6, v4, 3, 4
	v_lshlrev_b64 v[2:3], v2, v[4:5]
	v_sub_u32_e32 v3, 29, v7
	v_cmp_eq_u32_e32 vcc, 0, v6
	v_and_b32_e32 v2, 7, v2
	s_nop 0
	v_cndmask_b32_e32 v3, v6, v3, vcc
	v_cndmask_b32_e32 v1, v1, v2, vcc
	v_lshlrev_b32_e32 v2, 8, v4
	v_lshl_add_u32 v3, v3, 10, v34
	v_and_or_b32 v2, v2, s47, v3
	v_lshl_or_b32 v1, v1, 7, v2
	v_cvt_f32_f16_e32 v1, v1
	scratch_store_dword off, v1, s32 offset:244 ; 4-byte Folded Spill
.LBB286_97:                             ;   in Loop: Header=BB286_9 Depth=1
	s_or_b64 exec, exec, s[42:43]
	v_lshrrev_b32_e32 v4, 16, v8
	v_cmp_gt_i16_sdwa s[40:41], v4, s17 src0_sel:BYTE_0 src1_sel:DWORD
	s_mov_b64 vcc, 0
                                        ; implicit-def: $sgpr44
	s_and_saveexec_b64 s[42:43], s[40:41]
	s_xor_b64 s[40:41], exec, s[42:43]
	s_cbranch_execz .LBB286_101
; %bb.98:                               ;   in Loop: Header=BB286_9 Depth=1
	v_cmp_eq_u16_sdwa s[48:49], v4, s46 src0_sel:BYTE_0 src1_sel:DWORD
	s_mov_b64 vcc, -1
                                        ; implicit-def: $sgpr44
	s_and_saveexec_b64 s[42:43], s[48:49]
; %bb.99:                               ;   in Loop: Header=BB286_9 Depth=1
	s_mov_b32 s44, 0x7fc02000
	s_xor_b64 vcc, exec, -1
; %bb.100:                              ;   in Loop: Header=BB286_9 Depth=1
	s_or_b64 exec, exec, s[42:43]
	s_and_b64 vcc, vcc, exec
.LBB286_101:                            ;   in Loop: Header=BB286_9 Depth=1
	s_or_saveexec_b64 s[40:41], s[40:41]
	v_mov_b32_e32 v1, s44
	scratch_store_dword off, v1, s32 offset:248 ; 4-byte Folded Spill
	s_xor_b64 exec, exec, s[40:41]
	s_cbranch_execz .LBB286_103
; %bb.102:                              ;   in Loop: Header=BB286_9 Depth=1
	v_cmp_ne_u16_sdwa s[42:43], v4, v5 src0_sel:BYTE_0 src1_sel:DWORD
	s_andn2_b64 vcc, vcc, exec
	s_and_b64 s[42:43], s[42:43], exec
	v_mov_b32_e32 v1, 0
	s_or_b64 vcc, vcc, s[42:43]
	scratch_store_dword off, v1, s32 offset:248 ; 4-byte Folded Spill
.LBB286_103:                            ;   in Loop: Header=BB286_9 Depth=1
	s_or_b64 exec, exec, s[40:41]
	s_and_saveexec_b64 s[40:41], vcc
	s_cbranch_execz .LBB286_105
; %bb.104:                              ;   in Loop: Header=BB286_9 Depth=1
	v_bfe_u32 v1, v8, 16, 3
	v_ffbh_u32_e32 v2, v1
	v_min_u32_e32 v7, 32, v2
	v_subrev_u32_e32 v2, 28, v7
	v_bfe_u32 v6, v8, 19, 4
	v_lshlrev_b64 v[2:3], v2, v[4:5]
	v_sub_u32_e32 v3, 29, v7
	v_cmp_eq_u32_e32 vcc, 0, v6
	v_and_b32_e32 v2, 7, v2
	s_nop 0
	v_cndmask_b32_e32 v3, v6, v3, vcc
	v_cndmask_b32_e32 v1, v1, v2, vcc
	v_lshlrev_b32_e32 v2, 8, v4
	v_lshl_add_u32 v3, v3, 10, v34
	v_and_or_b32 v2, v2, s47, v3
	v_lshl_or_b32 v1, v1, 7, v2
	v_cvt_f32_f16_e32 v1, v1
	scratch_store_dword off, v1, s32 offset:248 ; 4-byte Folded Spill
.LBB286_105:                            ;   in Loop: Header=BB286_9 Depth=1
	s_or_b64 exec, exec, s[40:41]
	v_lshrrev_b32_e32 v4, 24, v8
	v_cmp_lt_i16_e32 vcc, s17, v4
	s_mov_b64 s[40:41], 0
                                        ; implicit-def: $sgpr48
	s_and_saveexec_b64 s[42:43], vcc
	s_xor_b64 s[42:43], exec, s[42:43]
	s_cbranch_execz .LBB286_109
; %bb.106:                              ;   in Loop: Header=BB286_9 Depth=1
	v_cmp_eq_u16_e32 vcc, s46, v4
	s_mov_b64 s[40:41], -1
                                        ; implicit-def: $sgpr48
	s_and_saveexec_b64 s[44:45], vcc
; %bb.107:                              ;   in Loop: Header=BB286_9 Depth=1
	s_mov_b32 s48, 0x7fc02000
	s_xor_b64 s[40:41], exec, -1
; %bb.108:                              ;   in Loop: Header=BB286_9 Depth=1
	s_or_b64 exec, exec, s[44:45]
	s_and_b64 s[40:41], s[40:41], exec
.LBB286_109:                            ;   in Loop: Header=BB286_9 Depth=1
	s_or_saveexec_b64 s[42:43], s[42:43]
	v_mov_b32_e32 v1, s48
	scratch_store_dword off, v1, s32 offset:252 ; 4-byte Folded Spill
	s_xor_b64 exec, exec, s[42:43]
	s_cbranch_execz .LBB286_111
; %bb.110:                              ;   in Loop: Header=BB286_9 Depth=1
	v_cmp_ne_u16_e32 vcc, 0, v4
	s_andn2_b64 s[40:41], s[40:41], exec
	s_and_b64 vcc, vcc, exec
	v_mov_b32_e32 v1, 0
	s_or_b64 s[40:41], s[40:41], vcc
	scratch_store_dword off, v1, s32 offset:252 ; 4-byte Folded Spill
.LBB286_111:                            ;   in Loop: Header=BB286_9 Depth=1
	s_or_b64 exec, exec, s[42:43]
	s_and_saveexec_b64 s[42:43], s[40:41]
	s_cbranch_execz .LBB286_113
; %bb.112:                              ;   in Loop: Header=BB286_9 Depth=1
	v_bfe_u32 v1, v8, 24, 3
	v_ffbh_u32_e32 v2, v1
	v_min_u32_e32 v7, 32, v2
	v_subrev_u32_e32 v2, 28, v7
	v_bfe_u32 v6, v8, 27, 4
	v_lshlrev_b64 v[2:3], v2, v[4:5]
	v_sub_u32_e32 v3, 29, v7
	v_cmp_eq_u32_e32 vcc, 0, v6
	v_and_b32_e32 v2, 7, v2
	s_nop 0
	v_cndmask_b32_e32 v3, v6, v3, vcc
	v_cndmask_b32_e32 v1, v1, v2, vcc
	v_lshlrev_b32_e32 v2, 8, v4
	v_lshl_add_u32 v3, v3, 10, v34
	v_and_or_b32 v2, v2, s47, v3
	v_lshl_or_b32 v1, v1, 7, v2
	v_cvt_f32_f16_e32 v1, v1
	scratch_store_dword off, v1, s32 offset:252 ; 4-byte Folded Spill
.LBB286_113:                            ;   in Loop: Header=BB286_9 Depth=1
	s_or_b64 exec, exec, s[42:43]
	flat_load_dword v8, v[30:31] offset:1024
	s_mov_b64 vcc, 0
                                        ; implicit-def: $sgpr44
	s_waitcnt vmcnt(0) lgkmcnt(0)
	v_cmp_gt_i16_sdwa s[40:41], v8, s17 src0_sel:BYTE_0 src1_sel:DWORD
	s_and_saveexec_b64 s[42:43], s[40:41]
	s_xor_b64 s[40:41], exec, s[42:43]
	s_cbranch_execnz .LBB286_791
; %bb.114:                              ;   in Loop: Header=BB286_9 Depth=1
	s_or_saveexec_b64 s[40:41], s[40:41]
	v_mov_b32_e32 v1, s44
	s_xor_b64 exec, exec, s[40:41]
	s_cbranch_execnz .LBB286_794
.LBB286_115:                            ;   in Loop: Header=BB286_9 Depth=1
	s_or_b64 exec, exec, s[40:41]
	s_and_saveexec_b64 s[40:41], vcc
	s_cbranch_execz .LBB286_117
.LBB286_116:                            ;   in Loop: Header=BB286_9 Depth=1
	v_and_b32_e32 v1, 7, v8
	v_ffbh_u32_e32 v2, v1
	v_min_u32_e32 v6, 32, v2
	v_subrev_u32_e32 v2, 28, v6
	v_bfe_u32 v4, v8, 3, 4
	v_lshlrev_b64 v[2:3], v2, v[8:9]
	v_sub_u32_e32 v3, 29, v6
	v_cmp_eq_u32_e32 vcc, 0, v4
	v_and_b32_e32 v2, 7, v2
	s_nop 0
	v_cndmask_b32_e32 v3, v4, v3, vcc
	v_cndmask_b32_e32 v1, v1, v2, vcc
	v_lshlrev_b32_e32 v2, 8, v8
	v_lshl_add_u32 v3, v3, 10, v34
	v_and_or_b32 v2, v2, s47, v3
	v_lshl_or_b32 v1, v1, 7, v2
	v_cvt_f32_f16_e32 v1, v1
.LBB286_117:                            ;   in Loop: Header=BB286_9 Depth=1
	s_or_b64 exec, exec, s[40:41]
	v_lshrrev_b16_e32 v4, 8, v8
	v_cmp_lt_i16_e32 vcc, s17, v4
	s_mov_b64 s[40:41], 0
	scratch_store_dword off, v1, s32 offset:500 ; 4-byte Folded Spill
                                        ; implicit-def: $sgpr48
	s_and_saveexec_b64 s[42:43], vcc
	s_xor_b64 s[42:43], exec, s[42:43]
	s_cbranch_execz .LBB286_121
; %bb.118:                              ;   in Loop: Header=BB286_9 Depth=1
	v_cmp_eq_u16_e32 vcc, s46, v4
	s_mov_b64 s[40:41], -1
                                        ; implicit-def: $sgpr48
	s_and_saveexec_b64 s[44:45], vcc
; %bb.119:                              ;   in Loop: Header=BB286_9 Depth=1
	s_mov_b32 s48, 0x7fc02000
	s_xor_b64 s[40:41], exec, -1
; %bb.120:                              ;   in Loop: Header=BB286_9 Depth=1
	s_or_b64 exec, exec, s[44:45]
	s_and_b64 s[40:41], s[40:41], exec
.LBB286_121:                            ;   in Loop: Header=BB286_9 Depth=1
	s_or_saveexec_b64 s[42:43], s[42:43]
	v_mov_b32_e32 v1, s48
	scratch_store_dword off, v1, s32 offset:256 ; 4-byte Folded Spill
	s_xor_b64 exec, exec, s[42:43]
	s_cbranch_execz .LBB286_123
; %bb.122:                              ;   in Loop: Header=BB286_9 Depth=1
	v_cmp_ne_u16_e32 vcc, 0, v4
	s_andn2_b64 s[40:41], s[40:41], exec
	s_and_b64 vcc, vcc, exec
	v_mov_b32_e32 v1, 0
	s_or_b64 s[40:41], s[40:41], vcc
	scratch_store_dword off, v1, s32 offset:256 ; 4-byte Folded Spill
.LBB286_123:                            ;   in Loop: Header=BB286_9 Depth=1
	s_or_b64 exec, exec, s[42:43]
	s_and_saveexec_b64 s[42:43], s[40:41]
	s_cbranch_execz .LBB286_125
; %bb.124:                              ;   in Loop: Header=BB286_9 Depth=1
	v_and_b32_e32 v1, 7, v4
	v_ffbh_u32_e32 v2, v1
	v_min_u32_e32 v7, 32, v2
	v_subrev_u32_e32 v2, 28, v7
	v_bfe_u32 v6, v4, 3, 4
	v_lshlrev_b64 v[2:3], v2, v[4:5]
	v_sub_u32_e32 v3, 29, v7
	v_cmp_eq_u32_e32 vcc, 0, v6
	v_and_b32_e32 v2, 7, v2
	s_nop 0
	v_cndmask_b32_e32 v3, v6, v3, vcc
	v_cndmask_b32_e32 v1, v1, v2, vcc
	v_lshlrev_b32_e32 v2, 8, v4
	v_lshl_add_u32 v3, v3, 10, v34
	v_and_or_b32 v2, v2, s47, v3
	v_lshl_or_b32 v1, v1, 7, v2
	v_cvt_f32_f16_e32 v1, v1
	scratch_store_dword off, v1, s32 offset:256 ; 4-byte Folded Spill
.LBB286_125:                            ;   in Loop: Header=BB286_9 Depth=1
	s_or_b64 exec, exec, s[42:43]
	v_lshrrev_b32_e32 v4, 16, v8
	v_cmp_gt_i16_sdwa s[40:41], v4, s17 src0_sel:BYTE_0 src1_sel:DWORD
	s_mov_b64 vcc, 0
                                        ; implicit-def: $sgpr44
	s_and_saveexec_b64 s[42:43], s[40:41]
	s_xor_b64 s[40:41], exec, s[42:43]
	s_cbranch_execz .LBB286_129
; %bb.126:                              ;   in Loop: Header=BB286_9 Depth=1
	v_cmp_eq_u16_sdwa s[48:49], v4, s46 src0_sel:BYTE_0 src1_sel:DWORD
	s_mov_b64 vcc, -1
                                        ; implicit-def: $sgpr44
	s_and_saveexec_b64 s[42:43], s[48:49]
; %bb.127:                              ;   in Loop: Header=BB286_9 Depth=1
	s_mov_b32 s44, 0x7fc02000
	s_xor_b64 vcc, exec, -1
; %bb.128:                              ;   in Loop: Header=BB286_9 Depth=1
	s_or_b64 exec, exec, s[42:43]
	s_and_b64 vcc, vcc, exec
.LBB286_129:                            ;   in Loop: Header=BB286_9 Depth=1
	s_or_saveexec_b64 s[40:41], s[40:41]
	v_mov_b32_e32 v1, s44
	scratch_store_dword off, v1, s32 offset:260 ; 4-byte Folded Spill
	s_xor_b64 exec, exec, s[40:41]
	s_cbranch_execz .LBB286_131
; %bb.130:                              ;   in Loop: Header=BB286_9 Depth=1
	v_cmp_ne_u16_sdwa s[42:43], v4, v5 src0_sel:BYTE_0 src1_sel:DWORD
	s_andn2_b64 vcc, vcc, exec
	s_and_b64 s[42:43], s[42:43], exec
	v_mov_b32_e32 v1, 0
	s_or_b64 vcc, vcc, s[42:43]
	scratch_store_dword off, v1, s32 offset:260 ; 4-byte Folded Spill
.LBB286_131:                            ;   in Loop: Header=BB286_9 Depth=1
	s_or_b64 exec, exec, s[40:41]
	s_and_saveexec_b64 s[40:41], vcc
	s_cbranch_execz .LBB286_133
; %bb.132:                              ;   in Loop: Header=BB286_9 Depth=1
	v_bfe_u32 v1, v8, 16, 3
	v_ffbh_u32_e32 v2, v1
	v_min_u32_e32 v7, 32, v2
	v_subrev_u32_e32 v2, 28, v7
	v_bfe_u32 v6, v8, 19, 4
	v_lshlrev_b64 v[2:3], v2, v[4:5]
	v_sub_u32_e32 v3, 29, v7
	v_cmp_eq_u32_e32 vcc, 0, v6
	v_and_b32_e32 v2, 7, v2
	s_nop 0
	v_cndmask_b32_e32 v3, v6, v3, vcc
	v_cndmask_b32_e32 v1, v1, v2, vcc
	v_lshlrev_b32_e32 v2, 8, v4
	v_lshl_add_u32 v3, v3, 10, v34
	v_and_or_b32 v2, v2, s47, v3
	v_lshl_or_b32 v1, v1, 7, v2
	v_cvt_f32_f16_e32 v1, v1
	scratch_store_dword off, v1, s32 offset:260 ; 4-byte Folded Spill
.LBB286_133:                            ;   in Loop: Header=BB286_9 Depth=1
	s_or_b64 exec, exec, s[40:41]
	v_lshrrev_b32_e32 v4, 24, v8
	v_cmp_lt_i16_e32 vcc, s17, v4
	s_mov_b64 s[40:41], 0
                                        ; implicit-def: $sgpr48
	s_and_saveexec_b64 s[42:43], vcc
	s_xor_b64 s[42:43], exec, s[42:43]
	s_cbranch_execz .LBB286_137
; %bb.134:                              ;   in Loop: Header=BB286_9 Depth=1
	v_cmp_eq_u16_e32 vcc, s46, v4
	s_mov_b64 s[40:41], -1
                                        ; implicit-def: $sgpr48
	s_and_saveexec_b64 s[44:45], vcc
; %bb.135:                              ;   in Loop: Header=BB286_9 Depth=1
	s_mov_b32 s48, 0x7fc02000
	s_xor_b64 s[40:41], exec, -1
; %bb.136:                              ;   in Loop: Header=BB286_9 Depth=1
	s_or_b64 exec, exec, s[44:45]
	s_and_b64 s[40:41], s[40:41], exec
.LBB286_137:                            ;   in Loop: Header=BB286_9 Depth=1
	s_or_saveexec_b64 s[42:43], s[42:43]
	v_mov_b32_e32 v1, s48
	scratch_store_dword off, v1, s32 offset:264 ; 4-byte Folded Spill
	s_xor_b64 exec, exec, s[42:43]
	s_cbranch_execz .LBB286_139
; %bb.138:                              ;   in Loop: Header=BB286_9 Depth=1
	v_cmp_ne_u16_e32 vcc, 0, v4
	s_andn2_b64 s[40:41], s[40:41], exec
	s_and_b64 vcc, vcc, exec
	v_mov_b32_e32 v1, 0
	s_or_b64 s[40:41], s[40:41], vcc
	scratch_store_dword off, v1, s32 offset:264 ; 4-byte Folded Spill
.LBB286_139:                            ;   in Loop: Header=BB286_9 Depth=1
	s_or_b64 exec, exec, s[42:43]
	s_and_saveexec_b64 s[42:43], s[40:41]
	s_cbranch_execz .LBB286_141
; %bb.140:                              ;   in Loop: Header=BB286_9 Depth=1
	v_bfe_u32 v1, v8, 24, 3
	v_ffbh_u32_e32 v2, v1
	v_min_u32_e32 v7, 32, v2
	v_subrev_u32_e32 v2, 28, v7
	v_bfe_u32 v6, v8, 27, 4
	v_lshlrev_b64 v[2:3], v2, v[4:5]
	v_sub_u32_e32 v3, 29, v7
	v_cmp_eq_u32_e32 vcc, 0, v6
	v_and_b32_e32 v2, 7, v2
	s_nop 0
	v_cndmask_b32_e32 v3, v6, v3, vcc
	v_cndmask_b32_e32 v1, v1, v2, vcc
	v_lshlrev_b32_e32 v2, 8, v4
	v_lshl_add_u32 v3, v3, 10, v34
	v_and_or_b32 v2, v2, s47, v3
	v_lshl_or_b32 v1, v1, 7, v2
	v_cvt_f32_f16_e32 v1, v1
	scratch_store_dword off, v1, s32 offset:264 ; 4-byte Folded Spill
.LBB286_141:                            ;   in Loop: Header=BB286_9 Depth=1
	s_or_b64 exec, exec, s[42:43]
	flat_load_dword v8, v[30:31] offset:1032
	s_mov_b64 vcc, 0
                                        ; implicit-def: $sgpr44
	s_waitcnt vmcnt(0) lgkmcnt(0)
	v_cmp_gt_i16_sdwa s[40:41], v8, s17 src0_sel:BYTE_0 src1_sel:DWORD
	s_and_saveexec_b64 s[42:43], s[40:41]
	s_xor_b64 s[40:41], exec, s[42:43]
	s_cbranch_execnz .LBB286_795
; %bb.142:                              ;   in Loop: Header=BB286_9 Depth=1
	s_or_saveexec_b64 s[40:41], s[40:41]
	v_mov_b32_e32 v1, s44
	s_xor_b64 exec, exec, s[40:41]
	s_cbranch_execnz .LBB286_798
.LBB286_143:                            ;   in Loop: Header=BB286_9 Depth=1
	s_or_b64 exec, exec, s[40:41]
	s_and_saveexec_b64 s[40:41], vcc
	s_cbranch_execz .LBB286_145
.LBB286_144:                            ;   in Loop: Header=BB286_9 Depth=1
	v_and_b32_e32 v1, 7, v8
	v_ffbh_u32_e32 v2, v1
	v_min_u32_e32 v6, 32, v2
	v_subrev_u32_e32 v2, 28, v6
	v_bfe_u32 v4, v8, 3, 4
	v_lshlrev_b64 v[2:3], v2, v[8:9]
	v_sub_u32_e32 v3, 29, v6
	v_cmp_eq_u32_e32 vcc, 0, v4
	v_and_b32_e32 v2, 7, v2
	s_nop 0
	v_cndmask_b32_e32 v3, v4, v3, vcc
	v_cndmask_b32_e32 v1, v1, v2, vcc
	v_lshlrev_b32_e32 v2, 8, v8
	v_lshl_add_u32 v3, v3, 10, v34
	v_and_or_b32 v2, v2, s47, v3
	v_lshl_or_b32 v1, v1, 7, v2
	v_cvt_f32_f16_e32 v1, v1
.LBB286_145:                            ;   in Loop: Header=BB286_9 Depth=1
	s_or_b64 exec, exec, s[40:41]
	v_lshrrev_b16_e32 v4, 8, v8
	v_cmp_lt_i16_e32 vcc, s17, v4
	s_mov_b64 s[40:41], 0
	scratch_store_dword off, v1, s32 offset:504 ; 4-byte Folded Spill
                                        ; implicit-def: $sgpr48
	s_and_saveexec_b64 s[42:43], vcc
	s_xor_b64 s[42:43], exec, s[42:43]
	s_cbranch_execz .LBB286_149
; %bb.146:                              ;   in Loop: Header=BB286_9 Depth=1
	v_cmp_eq_u16_e32 vcc, s46, v4
	s_mov_b64 s[40:41], -1
                                        ; implicit-def: $sgpr48
	s_and_saveexec_b64 s[44:45], vcc
; %bb.147:                              ;   in Loop: Header=BB286_9 Depth=1
	s_mov_b32 s48, 0x7fc02000
	s_xor_b64 s[40:41], exec, -1
; %bb.148:                              ;   in Loop: Header=BB286_9 Depth=1
	s_or_b64 exec, exec, s[44:45]
	s_and_b64 s[40:41], s[40:41], exec
.LBB286_149:                            ;   in Loop: Header=BB286_9 Depth=1
	s_or_saveexec_b64 s[42:43], s[42:43]
	v_mov_b32_e32 v1, s48
	scratch_store_dword off, v1, s32 offset:268 ; 4-byte Folded Spill
	s_xor_b64 exec, exec, s[42:43]
	s_cbranch_execz .LBB286_151
; %bb.150:                              ;   in Loop: Header=BB286_9 Depth=1
	v_cmp_ne_u16_e32 vcc, 0, v4
	s_andn2_b64 s[40:41], s[40:41], exec
	s_and_b64 vcc, vcc, exec
	v_mov_b32_e32 v1, 0
	s_or_b64 s[40:41], s[40:41], vcc
	scratch_store_dword off, v1, s32 offset:268 ; 4-byte Folded Spill
.LBB286_151:                            ;   in Loop: Header=BB286_9 Depth=1
	s_or_b64 exec, exec, s[42:43]
	s_and_saveexec_b64 s[42:43], s[40:41]
	s_cbranch_execz .LBB286_153
; %bb.152:                              ;   in Loop: Header=BB286_9 Depth=1
	v_and_b32_e32 v1, 7, v4
	v_ffbh_u32_e32 v2, v1
	v_min_u32_e32 v7, 32, v2
	v_subrev_u32_e32 v2, 28, v7
	v_bfe_u32 v6, v4, 3, 4
	v_lshlrev_b64 v[2:3], v2, v[4:5]
	v_sub_u32_e32 v3, 29, v7
	v_cmp_eq_u32_e32 vcc, 0, v6
	v_and_b32_e32 v2, 7, v2
	s_nop 0
	v_cndmask_b32_e32 v3, v6, v3, vcc
	v_cndmask_b32_e32 v1, v1, v2, vcc
	v_lshlrev_b32_e32 v2, 8, v4
	v_lshl_add_u32 v3, v3, 10, v34
	v_and_or_b32 v2, v2, s47, v3
	v_lshl_or_b32 v1, v1, 7, v2
	v_cvt_f32_f16_e32 v1, v1
	scratch_store_dword off, v1, s32 offset:268 ; 4-byte Folded Spill
.LBB286_153:                            ;   in Loop: Header=BB286_9 Depth=1
	s_or_b64 exec, exec, s[42:43]
	v_lshrrev_b32_e32 v4, 16, v8
	v_cmp_gt_i16_sdwa s[40:41], v4, s17 src0_sel:BYTE_0 src1_sel:DWORD
	s_mov_b64 vcc, 0
                                        ; implicit-def: $sgpr44
	s_and_saveexec_b64 s[42:43], s[40:41]
	s_xor_b64 s[40:41], exec, s[42:43]
	s_cbranch_execz .LBB286_157
; %bb.154:                              ;   in Loop: Header=BB286_9 Depth=1
	v_cmp_eq_u16_sdwa s[48:49], v4, s46 src0_sel:BYTE_0 src1_sel:DWORD
	s_mov_b64 vcc, -1
                                        ; implicit-def: $sgpr44
	s_and_saveexec_b64 s[42:43], s[48:49]
; %bb.155:                              ;   in Loop: Header=BB286_9 Depth=1
	s_mov_b32 s44, 0x7fc02000
	s_xor_b64 vcc, exec, -1
; %bb.156:                              ;   in Loop: Header=BB286_9 Depth=1
	s_or_b64 exec, exec, s[42:43]
	s_and_b64 vcc, vcc, exec
.LBB286_157:                            ;   in Loop: Header=BB286_9 Depth=1
	s_or_saveexec_b64 s[40:41], s[40:41]
	v_mov_b32_e32 v1, s44
	scratch_store_dword off, v1, s32 offset:272 ; 4-byte Folded Spill
	s_xor_b64 exec, exec, s[40:41]
	s_cbranch_execz .LBB286_159
; %bb.158:                              ;   in Loop: Header=BB286_9 Depth=1
	v_cmp_ne_u16_sdwa s[42:43], v4, v5 src0_sel:BYTE_0 src1_sel:DWORD
	s_andn2_b64 vcc, vcc, exec
	s_and_b64 s[42:43], s[42:43], exec
	v_mov_b32_e32 v1, 0
	s_or_b64 vcc, vcc, s[42:43]
	scratch_store_dword off, v1, s32 offset:272 ; 4-byte Folded Spill
.LBB286_159:                            ;   in Loop: Header=BB286_9 Depth=1
	s_or_b64 exec, exec, s[40:41]
	s_and_saveexec_b64 s[40:41], vcc
	s_cbranch_execz .LBB286_161
; %bb.160:                              ;   in Loop: Header=BB286_9 Depth=1
	v_bfe_u32 v1, v8, 16, 3
	v_ffbh_u32_e32 v2, v1
	v_min_u32_e32 v7, 32, v2
	v_subrev_u32_e32 v2, 28, v7
	v_bfe_u32 v6, v8, 19, 4
	v_lshlrev_b64 v[2:3], v2, v[4:5]
	v_sub_u32_e32 v3, 29, v7
	v_cmp_eq_u32_e32 vcc, 0, v6
	v_and_b32_e32 v2, 7, v2
	s_nop 0
	v_cndmask_b32_e32 v3, v6, v3, vcc
	v_cndmask_b32_e32 v1, v1, v2, vcc
	v_lshlrev_b32_e32 v2, 8, v4
	v_lshl_add_u32 v3, v3, 10, v34
	v_and_or_b32 v2, v2, s47, v3
	v_lshl_or_b32 v1, v1, 7, v2
	v_cvt_f32_f16_e32 v1, v1
	scratch_store_dword off, v1, s32 offset:272 ; 4-byte Folded Spill
.LBB286_161:                            ;   in Loop: Header=BB286_9 Depth=1
	s_or_b64 exec, exec, s[40:41]
	v_lshrrev_b32_e32 v4, 24, v8
	v_cmp_lt_i16_e32 vcc, s17, v4
	s_mov_b64 s[40:41], 0
                                        ; implicit-def: $sgpr48
	s_and_saveexec_b64 s[42:43], vcc
	s_xor_b64 s[42:43], exec, s[42:43]
	s_cbranch_execz .LBB286_165
; %bb.162:                              ;   in Loop: Header=BB286_9 Depth=1
	v_cmp_eq_u16_e32 vcc, s46, v4
	s_mov_b64 s[40:41], -1
                                        ; implicit-def: $sgpr48
	s_and_saveexec_b64 s[44:45], vcc
; %bb.163:                              ;   in Loop: Header=BB286_9 Depth=1
	s_mov_b32 s48, 0x7fc02000
	s_xor_b64 s[40:41], exec, -1
; %bb.164:                              ;   in Loop: Header=BB286_9 Depth=1
	s_or_b64 exec, exec, s[44:45]
	s_and_b64 s[40:41], s[40:41], exec
.LBB286_165:                            ;   in Loop: Header=BB286_9 Depth=1
	s_or_saveexec_b64 s[42:43], s[42:43]
	v_mov_b32_e32 v1, s48
	scratch_store_dword off, v1, s32 offset:276 ; 4-byte Folded Spill
	s_xor_b64 exec, exec, s[42:43]
	s_cbranch_execz .LBB286_167
; %bb.166:                              ;   in Loop: Header=BB286_9 Depth=1
	v_cmp_ne_u16_e32 vcc, 0, v4
	s_andn2_b64 s[40:41], s[40:41], exec
	s_and_b64 vcc, vcc, exec
	v_mov_b32_e32 v1, 0
	s_or_b64 s[40:41], s[40:41], vcc
	scratch_store_dword off, v1, s32 offset:276 ; 4-byte Folded Spill
.LBB286_167:                            ;   in Loop: Header=BB286_9 Depth=1
	s_or_b64 exec, exec, s[42:43]
	s_and_saveexec_b64 s[42:43], s[40:41]
	s_cbranch_execz .LBB286_169
; %bb.168:                              ;   in Loop: Header=BB286_9 Depth=1
	v_bfe_u32 v1, v8, 24, 3
	v_ffbh_u32_e32 v2, v1
	v_min_u32_e32 v7, 32, v2
	v_subrev_u32_e32 v2, 28, v7
	v_bfe_u32 v6, v8, 27, 4
	v_lshlrev_b64 v[2:3], v2, v[4:5]
	v_sub_u32_e32 v3, 29, v7
	v_cmp_eq_u32_e32 vcc, 0, v6
	v_and_b32_e32 v2, 7, v2
	s_nop 0
	v_cndmask_b32_e32 v3, v6, v3, vcc
	v_cndmask_b32_e32 v1, v1, v2, vcc
	v_lshlrev_b32_e32 v2, 8, v4
	v_lshl_add_u32 v3, v3, 10, v34
	v_and_or_b32 v2, v2, s47, v3
	v_lshl_or_b32 v1, v1, 7, v2
	v_cvt_f32_f16_e32 v1, v1
	scratch_store_dword off, v1, s32 offset:276 ; 4-byte Folded Spill
.LBB286_169:                            ;   in Loop: Header=BB286_9 Depth=1
	s_or_b64 exec, exec, s[42:43]
	flat_load_dword v8, v[30:31] offset:1536
	s_mov_b64 vcc, 0
                                        ; implicit-def: $sgpr44
	s_waitcnt vmcnt(0) lgkmcnt(0)
	v_cmp_gt_i16_sdwa s[40:41], v8, s17 src0_sel:BYTE_0 src1_sel:DWORD
	s_and_saveexec_b64 s[42:43], s[40:41]
	s_xor_b64 s[40:41], exec, s[42:43]
	s_cbranch_execnz .LBB286_799
; %bb.170:                              ;   in Loop: Header=BB286_9 Depth=1
	s_or_saveexec_b64 s[40:41], s[40:41]
	v_mov_b32_e32 v1, s44
	s_xor_b64 exec, exec, s[40:41]
	s_cbranch_execnz .LBB286_802
.LBB286_171:                            ;   in Loop: Header=BB286_9 Depth=1
	s_or_b64 exec, exec, s[40:41]
	s_and_saveexec_b64 s[40:41], vcc
	s_cbranch_execz .LBB286_173
.LBB286_172:                            ;   in Loop: Header=BB286_9 Depth=1
	v_and_b32_e32 v1, 7, v8
	v_ffbh_u32_e32 v2, v1
	v_min_u32_e32 v6, 32, v2
	v_subrev_u32_e32 v2, 28, v6
	v_bfe_u32 v4, v8, 3, 4
	v_lshlrev_b64 v[2:3], v2, v[8:9]
	v_sub_u32_e32 v3, 29, v6
	v_cmp_eq_u32_e32 vcc, 0, v4
	v_and_b32_e32 v2, 7, v2
	s_nop 0
	v_cndmask_b32_e32 v3, v4, v3, vcc
	v_cndmask_b32_e32 v1, v1, v2, vcc
	v_lshlrev_b32_e32 v2, 8, v8
	v_lshl_add_u32 v3, v3, 10, v34
	v_and_or_b32 v2, v2, s47, v3
	v_lshl_or_b32 v1, v1, 7, v2
	v_cvt_f32_f16_e32 v1, v1
.LBB286_173:                            ;   in Loop: Header=BB286_9 Depth=1
	s_or_b64 exec, exec, s[40:41]
	v_lshrrev_b16_e32 v4, 8, v8
	v_cmp_lt_i16_e32 vcc, s17, v4
	s_mov_b64 s[40:41], 0
	scratch_store_dword off, v1, s32 offset:508 ; 4-byte Folded Spill
                                        ; implicit-def: $sgpr48
	s_and_saveexec_b64 s[42:43], vcc
	s_xor_b64 s[42:43], exec, s[42:43]
	s_cbranch_execz .LBB286_177
; %bb.174:                              ;   in Loop: Header=BB286_9 Depth=1
	v_cmp_eq_u16_e32 vcc, s46, v4
	s_mov_b64 s[40:41], -1
                                        ; implicit-def: $sgpr48
	s_and_saveexec_b64 s[44:45], vcc
; %bb.175:                              ;   in Loop: Header=BB286_9 Depth=1
	s_mov_b32 s48, 0x7fc02000
	s_xor_b64 s[40:41], exec, -1
; %bb.176:                              ;   in Loop: Header=BB286_9 Depth=1
	s_or_b64 exec, exec, s[44:45]
	s_and_b64 s[40:41], s[40:41], exec
.LBB286_177:                            ;   in Loop: Header=BB286_9 Depth=1
	s_or_saveexec_b64 s[42:43], s[42:43]
	v_mov_b32_e32 v1, s48
	scratch_store_dword off, v1, s32 offset:280 ; 4-byte Folded Spill
	s_xor_b64 exec, exec, s[42:43]
	s_cbranch_execz .LBB286_179
; %bb.178:                              ;   in Loop: Header=BB286_9 Depth=1
	v_cmp_ne_u16_e32 vcc, 0, v4
	s_andn2_b64 s[40:41], s[40:41], exec
	s_and_b64 vcc, vcc, exec
	v_mov_b32_e32 v1, 0
	s_or_b64 s[40:41], s[40:41], vcc
	scratch_store_dword off, v1, s32 offset:280 ; 4-byte Folded Spill
.LBB286_179:                            ;   in Loop: Header=BB286_9 Depth=1
	s_or_b64 exec, exec, s[42:43]
	s_and_saveexec_b64 s[42:43], s[40:41]
	s_cbranch_execz .LBB286_181
; %bb.180:                              ;   in Loop: Header=BB286_9 Depth=1
	v_and_b32_e32 v1, 7, v4
	v_ffbh_u32_e32 v2, v1
	v_min_u32_e32 v7, 32, v2
	v_subrev_u32_e32 v2, 28, v7
	v_bfe_u32 v6, v4, 3, 4
	v_lshlrev_b64 v[2:3], v2, v[4:5]
	v_sub_u32_e32 v3, 29, v7
	v_cmp_eq_u32_e32 vcc, 0, v6
	v_and_b32_e32 v2, 7, v2
	s_nop 0
	v_cndmask_b32_e32 v3, v6, v3, vcc
	v_cndmask_b32_e32 v1, v1, v2, vcc
	v_lshlrev_b32_e32 v2, 8, v4
	v_lshl_add_u32 v3, v3, 10, v34
	v_and_or_b32 v2, v2, s47, v3
	v_lshl_or_b32 v1, v1, 7, v2
	v_cvt_f32_f16_e32 v1, v1
	scratch_store_dword off, v1, s32 offset:280 ; 4-byte Folded Spill
.LBB286_181:                            ;   in Loop: Header=BB286_9 Depth=1
	s_or_b64 exec, exec, s[42:43]
	v_lshrrev_b32_e32 v4, 16, v8
	v_cmp_gt_i16_sdwa s[40:41], v4, s17 src0_sel:BYTE_0 src1_sel:DWORD
	s_mov_b64 vcc, 0
                                        ; implicit-def: $sgpr44
	s_and_saveexec_b64 s[42:43], s[40:41]
	s_xor_b64 s[40:41], exec, s[42:43]
	s_cbranch_execz .LBB286_185
; %bb.182:                              ;   in Loop: Header=BB286_9 Depth=1
	v_cmp_eq_u16_sdwa s[48:49], v4, s46 src0_sel:BYTE_0 src1_sel:DWORD
	s_mov_b64 vcc, -1
                                        ; implicit-def: $sgpr44
	s_and_saveexec_b64 s[42:43], s[48:49]
; %bb.183:                              ;   in Loop: Header=BB286_9 Depth=1
	s_mov_b32 s44, 0x7fc02000
	s_xor_b64 vcc, exec, -1
; %bb.184:                              ;   in Loop: Header=BB286_9 Depth=1
	s_or_b64 exec, exec, s[42:43]
	s_and_b64 vcc, vcc, exec
.LBB286_185:                            ;   in Loop: Header=BB286_9 Depth=1
	s_or_saveexec_b64 s[40:41], s[40:41]
	v_mov_b32_e32 v1, s44
	scratch_store_dword off, v1, s32 offset:284 ; 4-byte Folded Spill
	s_xor_b64 exec, exec, s[40:41]
	s_cbranch_execz .LBB286_187
; %bb.186:                              ;   in Loop: Header=BB286_9 Depth=1
	v_cmp_ne_u16_sdwa s[42:43], v4, v5 src0_sel:BYTE_0 src1_sel:DWORD
	s_andn2_b64 vcc, vcc, exec
	s_and_b64 s[42:43], s[42:43], exec
	v_mov_b32_e32 v1, 0
	s_or_b64 vcc, vcc, s[42:43]
	scratch_store_dword off, v1, s32 offset:284 ; 4-byte Folded Spill
.LBB286_187:                            ;   in Loop: Header=BB286_9 Depth=1
	s_or_b64 exec, exec, s[40:41]
	s_and_saveexec_b64 s[40:41], vcc
	s_cbranch_execz .LBB286_189
; %bb.188:                              ;   in Loop: Header=BB286_9 Depth=1
	v_bfe_u32 v1, v8, 16, 3
	v_ffbh_u32_e32 v2, v1
	v_min_u32_e32 v7, 32, v2
	v_subrev_u32_e32 v2, 28, v7
	v_bfe_u32 v6, v8, 19, 4
	v_lshlrev_b64 v[2:3], v2, v[4:5]
	v_sub_u32_e32 v3, 29, v7
	v_cmp_eq_u32_e32 vcc, 0, v6
	v_and_b32_e32 v2, 7, v2
	s_nop 0
	v_cndmask_b32_e32 v3, v6, v3, vcc
	v_cndmask_b32_e32 v1, v1, v2, vcc
	v_lshlrev_b32_e32 v2, 8, v4
	v_lshl_add_u32 v3, v3, 10, v34
	v_and_or_b32 v2, v2, s47, v3
	v_lshl_or_b32 v1, v1, 7, v2
	v_cvt_f32_f16_e32 v1, v1
	scratch_store_dword off, v1, s32 offset:284 ; 4-byte Folded Spill
.LBB286_189:                            ;   in Loop: Header=BB286_9 Depth=1
	s_or_b64 exec, exec, s[40:41]
	v_lshrrev_b32_e32 v4, 24, v8
	v_cmp_lt_i16_e32 vcc, s17, v4
	s_mov_b64 s[40:41], 0
                                        ; implicit-def: $sgpr48
	s_and_saveexec_b64 s[42:43], vcc
	s_xor_b64 s[42:43], exec, s[42:43]
	s_cbranch_execz .LBB286_193
; %bb.190:                              ;   in Loop: Header=BB286_9 Depth=1
	v_cmp_eq_u16_e32 vcc, s46, v4
	s_mov_b64 s[40:41], -1
                                        ; implicit-def: $sgpr48
	s_and_saveexec_b64 s[44:45], vcc
; %bb.191:                              ;   in Loop: Header=BB286_9 Depth=1
	s_mov_b32 s48, 0x7fc02000
	s_xor_b64 s[40:41], exec, -1
; %bb.192:                              ;   in Loop: Header=BB286_9 Depth=1
	s_or_b64 exec, exec, s[44:45]
	s_and_b64 s[40:41], s[40:41], exec
.LBB286_193:                            ;   in Loop: Header=BB286_9 Depth=1
	s_or_saveexec_b64 s[42:43], s[42:43]
	v_mov_b32_e32 v1, s48
	scratch_store_dword off, v1, s32 offset:288 ; 4-byte Folded Spill
	s_xor_b64 exec, exec, s[42:43]
	s_cbranch_execz .LBB286_195
; %bb.194:                              ;   in Loop: Header=BB286_9 Depth=1
	v_cmp_ne_u16_e32 vcc, 0, v4
	s_andn2_b64 s[40:41], s[40:41], exec
	s_and_b64 vcc, vcc, exec
	v_mov_b32_e32 v1, 0
	s_or_b64 s[40:41], s[40:41], vcc
	scratch_store_dword off, v1, s32 offset:288 ; 4-byte Folded Spill
.LBB286_195:                            ;   in Loop: Header=BB286_9 Depth=1
	s_or_b64 exec, exec, s[42:43]
	s_and_saveexec_b64 s[42:43], s[40:41]
	s_cbranch_execz .LBB286_197
; %bb.196:                              ;   in Loop: Header=BB286_9 Depth=1
	v_bfe_u32 v1, v8, 24, 3
	v_ffbh_u32_e32 v2, v1
	v_min_u32_e32 v7, 32, v2
	v_subrev_u32_e32 v2, 28, v7
	v_bfe_u32 v6, v8, 27, 4
	v_lshlrev_b64 v[2:3], v2, v[4:5]
	v_sub_u32_e32 v3, 29, v7
	v_cmp_eq_u32_e32 vcc, 0, v6
	v_and_b32_e32 v2, 7, v2
	s_nop 0
	v_cndmask_b32_e32 v3, v6, v3, vcc
	v_cndmask_b32_e32 v1, v1, v2, vcc
	v_lshlrev_b32_e32 v2, 8, v4
	v_lshl_add_u32 v3, v3, 10, v34
	v_and_or_b32 v2, v2, s47, v3
	v_lshl_or_b32 v1, v1, 7, v2
	v_cvt_f32_f16_e32 v1, v1
	scratch_store_dword off, v1, s32 offset:288 ; 4-byte Folded Spill
.LBB286_197:                            ;   in Loop: Header=BB286_9 Depth=1
	s_or_b64 exec, exec, s[42:43]
	flat_load_dword v8, v[30:31] offset:1544
	s_mov_b64 vcc, 0
                                        ; implicit-def: $sgpr44
	s_waitcnt vmcnt(0) lgkmcnt(0)
	v_cmp_gt_i16_sdwa s[40:41], v8, s17 src0_sel:BYTE_0 src1_sel:DWORD
	s_and_saveexec_b64 s[42:43], s[40:41]
	s_xor_b64 s[40:41], exec, s[42:43]
	s_cbranch_execz .LBB286_201
; %bb.198:                              ;   in Loop: Header=BB286_9 Depth=1
	v_cmp_eq_u16_sdwa s[48:49], v8, s46 src0_sel:BYTE_0 src1_sel:DWORD
	s_mov_b64 vcc, -1
                                        ; implicit-def: $sgpr44
	s_and_saveexec_b64 s[42:43], s[48:49]
; %bb.199:                              ;   in Loop: Header=BB286_9 Depth=1
	s_mov_b32 s44, 0x7fc02000
	s_xor_b64 vcc, exec, -1
; %bb.200:                              ;   in Loop: Header=BB286_9 Depth=1
	s_or_b64 exec, exec, s[42:43]
	s_and_b64 vcc, vcc, exec
.LBB286_201:                            ;   in Loop: Header=BB286_9 Depth=1
	s_or_saveexec_b64 s[40:41], s[40:41]
	v_mov_b32_e32 v1, s44
	scratch_store_dword off, v1, s32 offset:292 ; 4-byte Folded Spill
	s_xor_b64 exec, exec, s[40:41]
	s_cbranch_execz .LBB286_203
; %bb.202:                              ;   in Loop: Header=BB286_9 Depth=1
	v_cmp_ne_u16_sdwa s[42:43], v8, v5 src0_sel:BYTE_0 src1_sel:DWORD
	s_andn2_b64 vcc, vcc, exec
	s_and_b64 s[42:43], s[42:43], exec
	v_mov_b32_e32 v1, 0
	s_or_b64 vcc, vcc, s[42:43]
	scratch_store_dword off, v1, s32 offset:292 ; 4-byte Folded Spill
.LBB286_203:                            ;   in Loop: Header=BB286_9 Depth=1
	s_or_b64 exec, exec, s[40:41]
	s_and_saveexec_b64 s[40:41], vcc
	s_cbranch_execz .LBB286_205
; %bb.204:                              ;   in Loop: Header=BB286_9 Depth=1
	v_and_b32_e32 v1, 7, v8
	v_ffbh_u32_e32 v2, v1
	v_min_u32_e32 v6, 32, v2
	v_subrev_u32_e32 v2, 28, v6
	v_bfe_u32 v4, v8, 3, 4
	v_lshlrev_b64 v[2:3], v2, v[8:9]
	v_sub_u32_e32 v3, 29, v6
	v_cmp_eq_u32_e32 vcc, 0, v4
	v_and_b32_e32 v2, 7, v2
	s_nop 0
	v_cndmask_b32_e32 v3, v4, v3, vcc
	v_cndmask_b32_e32 v1, v1, v2, vcc
	v_lshlrev_b32_e32 v2, 8, v8
	v_lshl_add_u32 v3, v3, 10, v34
	v_and_or_b32 v2, v2, s47, v3
	v_lshl_or_b32 v1, v1, 7, v2
	v_cvt_f32_f16_e32 v1, v1
	scratch_store_dword off, v1, s32 offset:292 ; 4-byte Folded Spill
.LBB286_205:                            ;   in Loop: Header=BB286_9 Depth=1
	s_or_b64 exec, exec, s[40:41]
	v_lshrrev_b16_e32 v4, 8, v8
	v_cmp_lt_i16_e32 vcc, s17, v4
	s_mov_b64 s[40:41], 0
                                        ; implicit-def: $sgpr48
	s_and_saveexec_b64 s[42:43], vcc
	s_xor_b64 s[42:43], exec, s[42:43]
	s_cbranch_execz .LBB286_209
; %bb.206:                              ;   in Loop: Header=BB286_9 Depth=1
	v_cmp_eq_u16_e32 vcc, s46, v4
	s_mov_b64 s[40:41], -1
                                        ; implicit-def: $sgpr48
	s_and_saveexec_b64 s[44:45], vcc
; %bb.207:                              ;   in Loop: Header=BB286_9 Depth=1
	s_mov_b32 s48, 0x7fc02000
	s_xor_b64 s[40:41], exec, -1
; %bb.208:                              ;   in Loop: Header=BB286_9 Depth=1
	s_or_b64 exec, exec, s[44:45]
	s_and_b64 s[40:41], s[40:41], exec
.LBB286_209:                            ;   in Loop: Header=BB286_9 Depth=1
	s_or_saveexec_b64 s[42:43], s[42:43]
	v_mov_b32_e32 v1, s48
	scratch_store_dword off, v1, s32 offset:296 ; 4-byte Folded Spill
	s_xor_b64 exec, exec, s[42:43]
	s_cbranch_execz .LBB286_211
; %bb.210:                              ;   in Loop: Header=BB286_9 Depth=1
	v_cmp_ne_u16_e32 vcc, 0, v4
	s_andn2_b64 s[40:41], s[40:41], exec
	s_and_b64 vcc, vcc, exec
	v_mov_b32_e32 v1, 0
	s_or_b64 s[40:41], s[40:41], vcc
	scratch_store_dword off, v1, s32 offset:296 ; 4-byte Folded Spill
.LBB286_211:                            ;   in Loop: Header=BB286_9 Depth=1
	s_or_b64 exec, exec, s[42:43]
	s_and_saveexec_b64 s[42:43], s[40:41]
	s_cbranch_execz .LBB286_213
; %bb.212:                              ;   in Loop: Header=BB286_9 Depth=1
	v_and_b32_e32 v1, 7, v4
	v_ffbh_u32_e32 v2, v1
	v_min_u32_e32 v7, 32, v2
	v_subrev_u32_e32 v2, 28, v7
	v_bfe_u32 v6, v4, 3, 4
	v_lshlrev_b64 v[2:3], v2, v[4:5]
	v_sub_u32_e32 v3, 29, v7
	v_cmp_eq_u32_e32 vcc, 0, v6
	v_and_b32_e32 v2, 7, v2
	s_nop 0
	v_cndmask_b32_e32 v3, v6, v3, vcc
	v_cndmask_b32_e32 v1, v1, v2, vcc
	v_lshlrev_b32_e32 v2, 8, v4
	v_lshl_add_u32 v3, v3, 10, v34
	v_and_or_b32 v2, v2, s47, v3
	v_lshl_or_b32 v1, v1, 7, v2
	v_cvt_f32_f16_e32 v1, v1
	scratch_store_dword off, v1, s32 offset:296 ; 4-byte Folded Spill
.LBB286_213:                            ;   in Loop: Header=BB286_9 Depth=1
	s_or_b64 exec, exec, s[42:43]
	v_lshrrev_b32_e32 v4, 16, v8
	v_cmp_gt_i16_sdwa s[40:41], v4, s17 src0_sel:BYTE_0 src1_sel:DWORD
	s_mov_b64 vcc, 0
                                        ; implicit-def: $sgpr44
	s_and_saveexec_b64 s[42:43], s[40:41]
	s_xor_b64 s[40:41], exec, s[42:43]
	s_cbranch_execz .LBB286_217
; %bb.214:                              ;   in Loop: Header=BB286_9 Depth=1
	v_cmp_eq_u16_sdwa s[48:49], v4, s46 src0_sel:BYTE_0 src1_sel:DWORD
	s_mov_b64 vcc, -1
                                        ; implicit-def: $sgpr44
	s_and_saveexec_b64 s[42:43], s[48:49]
; %bb.215:                              ;   in Loop: Header=BB286_9 Depth=1
	s_mov_b32 s44, 0x7fc02000
	s_xor_b64 vcc, exec, -1
; %bb.216:                              ;   in Loop: Header=BB286_9 Depth=1
	s_or_b64 exec, exec, s[42:43]
	s_and_b64 vcc, vcc, exec
.LBB286_217:                            ;   in Loop: Header=BB286_9 Depth=1
	s_or_saveexec_b64 s[40:41], s[40:41]
	v_mov_b32_e32 v1, s44
	scratch_store_dword off, v1, s32 offset:300 ; 4-byte Folded Spill
	s_xor_b64 exec, exec, s[40:41]
	s_cbranch_execz .LBB286_219
; %bb.218:                              ;   in Loop: Header=BB286_9 Depth=1
	v_cmp_ne_u16_sdwa s[42:43], v4, v5 src0_sel:BYTE_0 src1_sel:DWORD
	s_andn2_b64 vcc, vcc, exec
	s_and_b64 s[42:43], s[42:43], exec
	v_mov_b32_e32 v1, 0
	s_or_b64 vcc, vcc, s[42:43]
	scratch_store_dword off, v1, s32 offset:300 ; 4-byte Folded Spill
.LBB286_219:                            ;   in Loop: Header=BB286_9 Depth=1
	s_or_b64 exec, exec, s[40:41]
	s_and_saveexec_b64 s[40:41], vcc
	s_cbranch_execz .LBB286_221
; %bb.220:                              ;   in Loop: Header=BB286_9 Depth=1
	v_bfe_u32 v1, v8, 16, 3
	v_ffbh_u32_e32 v2, v1
	v_min_u32_e32 v7, 32, v2
	v_subrev_u32_e32 v2, 28, v7
	v_bfe_u32 v6, v8, 19, 4
	v_lshlrev_b64 v[2:3], v2, v[4:5]
	v_sub_u32_e32 v3, 29, v7
	v_cmp_eq_u32_e32 vcc, 0, v6
	v_and_b32_e32 v2, 7, v2
	s_nop 0
	v_cndmask_b32_e32 v3, v6, v3, vcc
	v_cndmask_b32_e32 v1, v1, v2, vcc
	v_lshlrev_b32_e32 v2, 8, v4
	v_lshl_add_u32 v3, v3, 10, v34
	v_and_or_b32 v2, v2, s47, v3
	v_lshl_or_b32 v1, v1, 7, v2
	v_cvt_f32_f16_e32 v1, v1
	scratch_store_dword off, v1, s32 offset:300 ; 4-byte Folded Spill
.LBB286_221:                            ;   in Loop: Header=BB286_9 Depth=1
	s_or_b64 exec, exec, s[40:41]
	v_lshrrev_b32_e32 v4, 24, v8
	v_cmp_lt_i16_e32 vcc, s17, v4
	s_mov_b64 s[40:41], 0
                                        ; implicit-def: $sgpr48
	s_and_saveexec_b64 s[42:43], vcc
	s_xor_b64 s[42:43], exec, s[42:43]
	s_cbranch_execz .LBB286_225
; %bb.222:                              ;   in Loop: Header=BB286_9 Depth=1
	v_cmp_eq_u16_e32 vcc, s46, v4
	s_mov_b64 s[40:41], -1
                                        ; implicit-def: $sgpr48
	s_and_saveexec_b64 s[44:45], vcc
; %bb.223:                              ;   in Loop: Header=BB286_9 Depth=1
	s_mov_b32 s48, 0x7fc02000
	s_xor_b64 s[40:41], exec, -1
; %bb.224:                              ;   in Loop: Header=BB286_9 Depth=1
	s_or_b64 exec, exec, s[44:45]
	s_and_b64 s[40:41], s[40:41], exec
.LBB286_225:                            ;   in Loop: Header=BB286_9 Depth=1
	s_or_saveexec_b64 s[42:43], s[42:43]
	v_mov_b32_e32 v1, s48
	scratch_store_dword off, v1, s32 offset:304 ; 4-byte Folded Spill
	s_xor_b64 exec, exec, s[42:43]
	s_cbranch_execz .LBB286_227
; %bb.226:                              ;   in Loop: Header=BB286_9 Depth=1
	v_cmp_ne_u16_e32 vcc, 0, v4
	s_andn2_b64 s[40:41], s[40:41], exec
	s_and_b64 vcc, vcc, exec
	v_mov_b32_e32 v1, 0
	s_or_b64 s[40:41], s[40:41], vcc
	scratch_store_dword off, v1, s32 offset:304 ; 4-byte Folded Spill
.LBB286_227:                            ;   in Loop: Header=BB286_9 Depth=1
	s_or_b64 exec, exec, s[42:43]
	s_and_saveexec_b64 s[42:43], s[40:41]
	s_cbranch_execz .LBB286_229
; %bb.228:                              ;   in Loop: Header=BB286_9 Depth=1
	v_bfe_u32 v1, v8, 24, 3
	v_ffbh_u32_e32 v2, v1
	v_min_u32_e32 v7, 32, v2
	v_subrev_u32_e32 v2, 28, v7
	v_bfe_u32 v6, v8, 27, 4
	v_lshlrev_b64 v[2:3], v2, v[4:5]
	v_sub_u32_e32 v3, 29, v7
	v_cmp_eq_u32_e32 vcc, 0, v6
	v_and_b32_e32 v2, 7, v2
	s_nop 0
	v_cndmask_b32_e32 v3, v6, v3, vcc
	v_cndmask_b32_e32 v1, v1, v2, vcc
	v_lshlrev_b32_e32 v2, 8, v4
	v_lshl_add_u32 v3, v3, 10, v34
	v_and_or_b32 v2, v2, s47, v3
	v_lshl_or_b32 v1, v1, 7, v2
	v_cvt_f32_f16_e32 v1, v1
	scratch_store_dword off, v1, s32 offset:304 ; 4-byte Folded Spill
.LBB286_229:                            ;   in Loop: Header=BB286_9 Depth=1
	s_or_b64 exec, exec, s[42:43]
	flat_load_dword v8, v[30:31] offset:2048
	s_mov_b64 vcc, 0
                                        ; implicit-def: $sgpr44
	s_waitcnt vmcnt(0) lgkmcnt(0)
	v_cmp_gt_i16_sdwa s[40:41], v8, s17 src0_sel:BYTE_0 src1_sel:DWORD
	s_and_saveexec_b64 s[42:43], s[40:41]
	s_xor_b64 s[40:41], exec, s[42:43]
	s_cbranch_execz .LBB286_233
; %bb.230:                              ;   in Loop: Header=BB286_9 Depth=1
	v_cmp_eq_u16_sdwa s[48:49], v8, s46 src0_sel:BYTE_0 src1_sel:DWORD
	s_mov_b64 vcc, -1
                                        ; implicit-def: $sgpr44
	s_and_saveexec_b64 s[42:43], s[48:49]
; %bb.231:                              ;   in Loop: Header=BB286_9 Depth=1
	s_mov_b32 s44, 0x7fc02000
	s_xor_b64 vcc, exec, -1
; %bb.232:                              ;   in Loop: Header=BB286_9 Depth=1
	s_or_b64 exec, exec, s[42:43]
	s_and_b64 vcc, vcc, exec
.LBB286_233:                            ;   in Loop: Header=BB286_9 Depth=1
	s_or_saveexec_b64 s[40:41], s[40:41]
	v_mov_b32_e32 v1, s44
	scratch_store_dword off, v1, s32 offset:308 ; 4-byte Folded Spill
	s_xor_b64 exec, exec, s[40:41]
	s_cbranch_execz .LBB286_235
; %bb.234:                              ;   in Loop: Header=BB286_9 Depth=1
	v_cmp_ne_u16_sdwa s[42:43], v8, v5 src0_sel:BYTE_0 src1_sel:DWORD
	s_andn2_b64 vcc, vcc, exec
	s_and_b64 s[42:43], s[42:43], exec
	v_mov_b32_e32 v1, 0
	s_or_b64 vcc, vcc, s[42:43]
	scratch_store_dword off, v1, s32 offset:308 ; 4-byte Folded Spill
.LBB286_235:                            ;   in Loop: Header=BB286_9 Depth=1
	s_or_b64 exec, exec, s[40:41]
	s_and_saveexec_b64 s[40:41], vcc
	s_cbranch_execz .LBB286_237
; %bb.236:                              ;   in Loop: Header=BB286_9 Depth=1
	v_and_b32_e32 v1, 7, v8
	v_ffbh_u32_e32 v2, v1
	v_min_u32_e32 v6, 32, v2
	v_subrev_u32_e32 v2, 28, v6
	v_bfe_u32 v4, v8, 3, 4
	v_lshlrev_b64 v[2:3], v2, v[8:9]
	v_sub_u32_e32 v3, 29, v6
	v_cmp_eq_u32_e32 vcc, 0, v4
	v_and_b32_e32 v2, 7, v2
	s_nop 0
	v_cndmask_b32_e32 v3, v4, v3, vcc
	v_cndmask_b32_e32 v1, v1, v2, vcc
	v_lshlrev_b32_e32 v2, 8, v8
	v_lshl_add_u32 v3, v3, 10, v34
	v_and_or_b32 v2, v2, s47, v3
	v_lshl_or_b32 v1, v1, 7, v2
	v_cvt_f32_f16_e32 v1, v1
	scratch_store_dword off, v1, s32 offset:308 ; 4-byte Folded Spill
.LBB286_237:                            ;   in Loop: Header=BB286_9 Depth=1
	s_or_b64 exec, exec, s[40:41]
	v_lshrrev_b16_e32 v4, 8, v8
	v_cmp_lt_i16_e32 vcc, s17, v4
	s_mov_b64 s[40:41], 0
                                        ; implicit-def: $sgpr48
	s_and_saveexec_b64 s[42:43], vcc
	s_xor_b64 s[42:43], exec, s[42:43]
	s_cbranch_execz .LBB286_241
; %bb.238:                              ;   in Loop: Header=BB286_9 Depth=1
	v_cmp_eq_u16_e32 vcc, s46, v4
	s_mov_b64 s[40:41], -1
                                        ; implicit-def: $sgpr48
	s_and_saveexec_b64 s[44:45], vcc
; %bb.239:                              ;   in Loop: Header=BB286_9 Depth=1
	s_mov_b32 s48, 0x7fc02000
	s_xor_b64 s[40:41], exec, -1
; %bb.240:                              ;   in Loop: Header=BB286_9 Depth=1
	s_or_b64 exec, exec, s[44:45]
	s_and_b64 s[40:41], s[40:41], exec
.LBB286_241:                            ;   in Loop: Header=BB286_9 Depth=1
	s_or_saveexec_b64 s[42:43], s[42:43]
	v_mov_b32_e32 v1, s48
	scratch_store_dword off, v1, s32 offset:312 ; 4-byte Folded Spill
	s_xor_b64 exec, exec, s[42:43]
	s_cbranch_execz .LBB286_243
; %bb.242:                              ;   in Loop: Header=BB286_9 Depth=1
	v_cmp_ne_u16_e32 vcc, 0, v4
	s_andn2_b64 s[40:41], s[40:41], exec
	s_and_b64 vcc, vcc, exec
	v_mov_b32_e32 v1, 0
	s_or_b64 s[40:41], s[40:41], vcc
	scratch_store_dword off, v1, s32 offset:312 ; 4-byte Folded Spill
.LBB286_243:                            ;   in Loop: Header=BB286_9 Depth=1
	s_or_b64 exec, exec, s[42:43]
	s_and_saveexec_b64 s[42:43], s[40:41]
	s_cbranch_execz .LBB286_245
; %bb.244:                              ;   in Loop: Header=BB286_9 Depth=1
	v_and_b32_e32 v1, 7, v4
	v_ffbh_u32_e32 v2, v1
	v_min_u32_e32 v7, 32, v2
	v_subrev_u32_e32 v2, 28, v7
	v_bfe_u32 v6, v4, 3, 4
	v_lshlrev_b64 v[2:3], v2, v[4:5]
	v_sub_u32_e32 v3, 29, v7
	v_cmp_eq_u32_e32 vcc, 0, v6
	v_and_b32_e32 v2, 7, v2
	s_nop 0
	v_cndmask_b32_e32 v3, v6, v3, vcc
	v_cndmask_b32_e32 v1, v1, v2, vcc
	v_lshlrev_b32_e32 v2, 8, v4
	v_lshl_add_u32 v3, v3, 10, v34
	v_and_or_b32 v2, v2, s47, v3
	v_lshl_or_b32 v1, v1, 7, v2
	v_cvt_f32_f16_e32 v1, v1
	scratch_store_dword off, v1, s32 offset:312 ; 4-byte Folded Spill
.LBB286_245:                            ;   in Loop: Header=BB286_9 Depth=1
	s_or_b64 exec, exec, s[42:43]
	v_lshrrev_b32_e32 v4, 16, v8
	v_cmp_gt_i16_sdwa s[40:41], v4, s17 src0_sel:BYTE_0 src1_sel:DWORD
	s_mov_b64 vcc, 0
                                        ; implicit-def: $sgpr44
	s_and_saveexec_b64 s[42:43], s[40:41]
	s_xor_b64 s[40:41], exec, s[42:43]
	s_cbranch_execz .LBB286_249
; %bb.246:                              ;   in Loop: Header=BB286_9 Depth=1
	v_cmp_eq_u16_sdwa s[48:49], v4, s46 src0_sel:BYTE_0 src1_sel:DWORD
	s_mov_b64 vcc, -1
                                        ; implicit-def: $sgpr44
	s_and_saveexec_b64 s[42:43], s[48:49]
; %bb.247:                              ;   in Loop: Header=BB286_9 Depth=1
	s_mov_b32 s44, 0x7fc02000
	s_xor_b64 vcc, exec, -1
; %bb.248:                              ;   in Loop: Header=BB286_9 Depth=1
	s_or_b64 exec, exec, s[42:43]
	s_and_b64 vcc, vcc, exec
.LBB286_249:                            ;   in Loop: Header=BB286_9 Depth=1
	s_or_saveexec_b64 s[40:41], s[40:41]
	v_mov_b32_e32 v1, s44
	scratch_store_dword off, v1, s32 offset:316 ; 4-byte Folded Spill
	s_xor_b64 exec, exec, s[40:41]
	s_cbranch_execz .LBB286_251
; %bb.250:                              ;   in Loop: Header=BB286_9 Depth=1
	v_cmp_ne_u16_sdwa s[42:43], v4, v5 src0_sel:BYTE_0 src1_sel:DWORD
	s_andn2_b64 vcc, vcc, exec
	s_and_b64 s[42:43], s[42:43], exec
	v_mov_b32_e32 v1, 0
	s_or_b64 vcc, vcc, s[42:43]
	scratch_store_dword off, v1, s32 offset:316 ; 4-byte Folded Spill
.LBB286_251:                            ;   in Loop: Header=BB286_9 Depth=1
	s_or_b64 exec, exec, s[40:41]
	s_and_saveexec_b64 s[40:41], vcc
	s_cbranch_execz .LBB286_253
; %bb.252:                              ;   in Loop: Header=BB286_9 Depth=1
	v_bfe_u32 v1, v8, 16, 3
	v_ffbh_u32_e32 v2, v1
	v_min_u32_e32 v7, 32, v2
	v_subrev_u32_e32 v2, 28, v7
	v_bfe_u32 v6, v8, 19, 4
	v_lshlrev_b64 v[2:3], v2, v[4:5]
	v_sub_u32_e32 v3, 29, v7
	v_cmp_eq_u32_e32 vcc, 0, v6
	v_and_b32_e32 v2, 7, v2
	s_nop 0
	v_cndmask_b32_e32 v3, v6, v3, vcc
	v_cndmask_b32_e32 v1, v1, v2, vcc
	v_lshlrev_b32_e32 v2, 8, v4
	v_lshl_add_u32 v3, v3, 10, v34
	v_and_or_b32 v2, v2, s47, v3
	v_lshl_or_b32 v1, v1, 7, v2
	v_cvt_f32_f16_e32 v1, v1
	scratch_store_dword off, v1, s32 offset:316 ; 4-byte Folded Spill
.LBB286_253:                            ;   in Loop: Header=BB286_9 Depth=1
	s_or_b64 exec, exec, s[40:41]
	v_lshrrev_b32_e32 v4, 24, v8
	v_cmp_lt_i16_e32 vcc, s17, v4
	s_mov_b64 s[40:41], 0
                                        ; implicit-def: $sgpr48
	s_and_saveexec_b64 s[42:43], vcc
	s_xor_b64 s[42:43], exec, s[42:43]
	s_cbranch_execz .LBB286_257
; %bb.254:                              ;   in Loop: Header=BB286_9 Depth=1
	v_cmp_eq_u16_e32 vcc, s46, v4
	s_mov_b64 s[40:41], -1
                                        ; implicit-def: $sgpr48
	s_and_saveexec_b64 s[44:45], vcc
; %bb.255:                              ;   in Loop: Header=BB286_9 Depth=1
	s_mov_b32 s48, 0x7fc02000
	s_xor_b64 s[40:41], exec, -1
; %bb.256:                              ;   in Loop: Header=BB286_9 Depth=1
	s_or_b64 exec, exec, s[44:45]
	s_and_b64 s[40:41], s[40:41], exec
.LBB286_257:                            ;   in Loop: Header=BB286_9 Depth=1
	s_or_saveexec_b64 s[42:43], s[42:43]
	v_mov_b32_e32 v1, s48
	scratch_store_dword off, v1, s32 offset:320 ; 4-byte Folded Spill
	s_xor_b64 exec, exec, s[42:43]
	s_cbranch_execz .LBB286_259
; %bb.258:                              ;   in Loop: Header=BB286_9 Depth=1
	v_cmp_ne_u16_e32 vcc, 0, v4
	s_andn2_b64 s[40:41], s[40:41], exec
	s_and_b64 vcc, vcc, exec
	v_mov_b32_e32 v1, 0
	s_or_b64 s[40:41], s[40:41], vcc
	scratch_store_dword off, v1, s32 offset:320 ; 4-byte Folded Spill
.LBB286_259:                            ;   in Loop: Header=BB286_9 Depth=1
	s_or_b64 exec, exec, s[42:43]
	s_and_saveexec_b64 s[42:43], s[40:41]
	s_cbranch_execz .LBB286_261
; %bb.260:                              ;   in Loop: Header=BB286_9 Depth=1
	v_bfe_u32 v1, v8, 24, 3
	v_ffbh_u32_e32 v2, v1
	v_min_u32_e32 v7, 32, v2
	v_subrev_u32_e32 v2, 28, v7
	v_bfe_u32 v6, v8, 27, 4
	v_lshlrev_b64 v[2:3], v2, v[4:5]
	v_sub_u32_e32 v3, 29, v7
	v_cmp_eq_u32_e32 vcc, 0, v6
	v_and_b32_e32 v2, 7, v2
	s_nop 0
	v_cndmask_b32_e32 v3, v6, v3, vcc
	v_cndmask_b32_e32 v1, v1, v2, vcc
	v_lshlrev_b32_e32 v2, 8, v4
	v_lshl_add_u32 v3, v3, 10, v34
	v_and_or_b32 v2, v2, s47, v3
	v_lshl_or_b32 v1, v1, 7, v2
	v_cvt_f32_f16_e32 v1, v1
	scratch_store_dword off, v1, s32 offset:320 ; 4-byte Folded Spill
.LBB286_261:                            ;   in Loop: Header=BB286_9 Depth=1
	s_or_b64 exec, exec, s[42:43]
	flat_load_dword v8, v[30:31] offset:2056
	s_mov_b64 vcc, 0
                                        ; implicit-def: $sgpr44
	s_waitcnt vmcnt(0) lgkmcnt(0)
	v_cmp_gt_i16_sdwa s[40:41], v8, s17 src0_sel:BYTE_0 src1_sel:DWORD
	s_and_saveexec_b64 s[42:43], s[40:41]
	s_xor_b64 s[40:41], exec, s[42:43]
	s_cbranch_execz .LBB286_265
; %bb.262:                              ;   in Loop: Header=BB286_9 Depth=1
	v_cmp_eq_u16_sdwa s[48:49], v8, s46 src0_sel:BYTE_0 src1_sel:DWORD
	s_mov_b64 vcc, -1
                                        ; implicit-def: $sgpr44
	s_and_saveexec_b64 s[42:43], s[48:49]
; %bb.263:                              ;   in Loop: Header=BB286_9 Depth=1
	s_mov_b32 s44, 0x7fc02000
	s_xor_b64 vcc, exec, -1
; %bb.264:                              ;   in Loop: Header=BB286_9 Depth=1
	s_or_b64 exec, exec, s[42:43]
	s_and_b64 vcc, vcc, exec
.LBB286_265:                            ;   in Loop: Header=BB286_9 Depth=1
	s_or_saveexec_b64 s[40:41], s[40:41]
	v_mov_b32_e32 v1, s44
	scratch_store_dword off, v1, s32 offset:324 ; 4-byte Folded Spill
	s_xor_b64 exec, exec, s[40:41]
	s_cbranch_execz .LBB286_267
; %bb.266:                              ;   in Loop: Header=BB286_9 Depth=1
	v_cmp_ne_u16_sdwa s[42:43], v8, v5 src0_sel:BYTE_0 src1_sel:DWORD
	s_andn2_b64 vcc, vcc, exec
	s_and_b64 s[42:43], s[42:43], exec
	v_mov_b32_e32 v1, 0
	s_or_b64 vcc, vcc, s[42:43]
	scratch_store_dword off, v1, s32 offset:324 ; 4-byte Folded Spill
.LBB286_267:                            ;   in Loop: Header=BB286_9 Depth=1
	s_or_b64 exec, exec, s[40:41]
	s_and_saveexec_b64 s[40:41], vcc
	s_cbranch_execz .LBB286_269
; %bb.268:                              ;   in Loop: Header=BB286_9 Depth=1
	v_and_b32_e32 v1, 7, v8
	v_ffbh_u32_e32 v2, v1
	v_min_u32_e32 v6, 32, v2
	v_subrev_u32_e32 v2, 28, v6
	v_bfe_u32 v4, v8, 3, 4
	v_lshlrev_b64 v[2:3], v2, v[8:9]
	v_sub_u32_e32 v3, 29, v6
	v_cmp_eq_u32_e32 vcc, 0, v4
	v_and_b32_e32 v2, 7, v2
	s_nop 0
	v_cndmask_b32_e32 v3, v4, v3, vcc
	v_cndmask_b32_e32 v1, v1, v2, vcc
	v_lshlrev_b32_e32 v2, 8, v8
	v_lshl_add_u32 v3, v3, 10, v34
	v_and_or_b32 v2, v2, s47, v3
	v_lshl_or_b32 v1, v1, 7, v2
	v_cvt_f32_f16_e32 v1, v1
	scratch_store_dword off, v1, s32 offset:324 ; 4-byte Folded Spill
.LBB286_269:                            ;   in Loop: Header=BB286_9 Depth=1
	s_or_b64 exec, exec, s[40:41]
	v_lshrrev_b16_e32 v4, 8, v8
	v_cmp_lt_i16_e32 vcc, s17, v4
	s_mov_b64 s[40:41], 0
                                        ; implicit-def: $sgpr48
	s_and_saveexec_b64 s[42:43], vcc
	s_xor_b64 s[42:43], exec, s[42:43]
	s_cbranch_execz .LBB286_273
; %bb.270:                              ;   in Loop: Header=BB286_9 Depth=1
	v_cmp_eq_u16_e32 vcc, s46, v4
	s_mov_b64 s[40:41], -1
                                        ; implicit-def: $sgpr48
	s_and_saveexec_b64 s[44:45], vcc
; %bb.271:                              ;   in Loop: Header=BB286_9 Depth=1
	s_mov_b32 s48, 0x7fc02000
	s_xor_b64 s[40:41], exec, -1
; %bb.272:                              ;   in Loop: Header=BB286_9 Depth=1
	s_or_b64 exec, exec, s[44:45]
	s_and_b64 s[40:41], s[40:41], exec
.LBB286_273:                            ;   in Loop: Header=BB286_9 Depth=1
	s_or_saveexec_b64 s[42:43], s[42:43]
	v_mov_b32_e32 v1, s48
	scratch_store_dword off, v1, s32 offset:328 ; 4-byte Folded Spill
	s_xor_b64 exec, exec, s[42:43]
	s_cbranch_execz .LBB286_275
; %bb.274:                              ;   in Loop: Header=BB286_9 Depth=1
	v_cmp_ne_u16_e32 vcc, 0, v4
	s_andn2_b64 s[40:41], s[40:41], exec
	s_and_b64 vcc, vcc, exec
	v_mov_b32_e32 v1, 0
	s_or_b64 s[40:41], s[40:41], vcc
	scratch_store_dword off, v1, s32 offset:328 ; 4-byte Folded Spill
.LBB286_275:                            ;   in Loop: Header=BB286_9 Depth=1
	s_or_b64 exec, exec, s[42:43]
	s_and_saveexec_b64 s[42:43], s[40:41]
	s_cbranch_execz .LBB286_277
; %bb.276:                              ;   in Loop: Header=BB286_9 Depth=1
	v_and_b32_e32 v1, 7, v4
	v_ffbh_u32_e32 v2, v1
	v_min_u32_e32 v7, 32, v2
	v_subrev_u32_e32 v2, 28, v7
	v_bfe_u32 v6, v4, 3, 4
	v_lshlrev_b64 v[2:3], v2, v[4:5]
	v_sub_u32_e32 v3, 29, v7
	v_cmp_eq_u32_e32 vcc, 0, v6
	v_and_b32_e32 v2, 7, v2
	s_nop 0
	v_cndmask_b32_e32 v3, v6, v3, vcc
	v_cndmask_b32_e32 v1, v1, v2, vcc
	v_lshlrev_b32_e32 v2, 8, v4
	v_lshl_add_u32 v3, v3, 10, v34
	v_and_or_b32 v2, v2, s47, v3
	v_lshl_or_b32 v1, v1, 7, v2
	v_cvt_f32_f16_e32 v1, v1
	scratch_store_dword off, v1, s32 offset:328 ; 4-byte Folded Spill
.LBB286_277:                            ;   in Loop: Header=BB286_9 Depth=1
	s_or_b64 exec, exec, s[42:43]
	v_lshrrev_b32_e32 v4, 16, v8
	v_cmp_gt_i16_sdwa s[40:41], v4, s17 src0_sel:BYTE_0 src1_sel:DWORD
	s_mov_b64 vcc, 0
                                        ; implicit-def: $sgpr44
	s_and_saveexec_b64 s[42:43], s[40:41]
	s_xor_b64 s[40:41], exec, s[42:43]
	s_cbranch_execz .LBB286_281
; %bb.278:                              ;   in Loop: Header=BB286_9 Depth=1
	v_cmp_eq_u16_sdwa s[48:49], v4, s46 src0_sel:BYTE_0 src1_sel:DWORD
	s_mov_b64 vcc, -1
                                        ; implicit-def: $sgpr44
	s_and_saveexec_b64 s[42:43], s[48:49]
; %bb.279:                              ;   in Loop: Header=BB286_9 Depth=1
	s_mov_b32 s44, 0x7fc02000
	s_xor_b64 vcc, exec, -1
; %bb.280:                              ;   in Loop: Header=BB286_9 Depth=1
	s_or_b64 exec, exec, s[42:43]
	s_and_b64 vcc, vcc, exec
.LBB286_281:                            ;   in Loop: Header=BB286_9 Depth=1
	s_or_saveexec_b64 s[40:41], s[40:41]
	v_mov_b32_e32 v1, s44
	scratch_store_dword off, v1, s32 offset:332 ; 4-byte Folded Spill
	s_xor_b64 exec, exec, s[40:41]
	s_cbranch_execz .LBB286_283
; %bb.282:                              ;   in Loop: Header=BB286_9 Depth=1
	v_cmp_ne_u16_sdwa s[42:43], v4, v5 src0_sel:BYTE_0 src1_sel:DWORD
	s_andn2_b64 vcc, vcc, exec
	s_and_b64 s[42:43], s[42:43], exec
	v_mov_b32_e32 v1, 0
	s_or_b64 vcc, vcc, s[42:43]
	scratch_store_dword off, v1, s32 offset:332 ; 4-byte Folded Spill
.LBB286_283:                            ;   in Loop: Header=BB286_9 Depth=1
	s_or_b64 exec, exec, s[40:41]
	s_and_saveexec_b64 s[40:41], vcc
	s_cbranch_execz .LBB286_285
; %bb.284:                              ;   in Loop: Header=BB286_9 Depth=1
	v_bfe_u32 v1, v8, 16, 3
	v_ffbh_u32_e32 v2, v1
	v_min_u32_e32 v7, 32, v2
	v_subrev_u32_e32 v2, 28, v7
	v_bfe_u32 v6, v8, 19, 4
	v_lshlrev_b64 v[2:3], v2, v[4:5]
	v_sub_u32_e32 v3, 29, v7
	v_cmp_eq_u32_e32 vcc, 0, v6
	v_and_b32_e32 v2, 7, v2
	s_nop 0
	v_cndmask_b32_e32 v3, v6, v3, vcc
	v_cndmask_b32_e32 v1, v1, v2, vcc
	v_lshlrev_b32_e32 v2, 8, v4
	v_lshl_add_u32 v3, v3, 10, v34
	v_and_or_b32 v2, v2, s47, v3
	v_lshl_or_b32 v1, v1, 7, v2
	v_cvt_f32_f16_e32 v1, v1
	scratch_store_dword off, v1, s32 offset:332 ; 4-byte Folded Spill
.LBB286_285:                            ;   in Loop: Header=BB286_9 Depth=1
	s_or_b64 exec, exec, s[40:41]
	v_lshrrev_b32_e32 v4, 24, v8
	v_cmp_lt_i16_e32 vcc, s17, v4
	s_mov_b64 s[40:41], 0
                                        ; implicit-def: $sgpr48
	s_and_saveexec_b64 s[42:43], vcc
	s_xor_b64 s[42:43], exec, s[42:43]
	s_cbranch_execz .LBB286_289
; %bb.286:                              ;   in Loop: Header=BB286_9 Depth=1
	v_cmp_eq_u16_e32 vcc, s46, v4
	s_mov_b64 s[40:41], -1
                                        ; implicit-def: $sgpr48
	s_and_saveexec_b64 s[44:45], vcc
; %bb.287:                              ;   in Loop: Header=BB286_9 Depth=1
	s_mov_b32 s48, 0x7fc02000
	s_xor_b64 s[40:41], exec, -1
; %bb.288:                              ;   in Loop: Header=BB286_9 Depth=1
	s_or_b64 exec, exec, s[44:45]
	s_and_b64 s[40:41], s[40:41], exec
.LBB286_289:                            ;   in Loop: Header=BB286_9 Depth=1
	s_or_saveexec_b64 s[42:43], s[42:43]
	v_mov_b32_e32 v1, s48
	scratch_store_dword off, v1, s32 offset:336 ; 4-byte Folded Spill
	s_xor_b64 exec, exec, s[42:43]
	s_cbranch_execz .LBB286_291
; %bb.290:                              ;   in Loop: Header=BB286_9 Depth=1
	v_cmp_ne_u16_e32 vcc, 0, v4
	s_andn2_b64 s[40:41], s[40:41], exec
	s_and_b64 vcc, vcc, exec
	v_mov_b32_e32 v1, 0
	s_or_b64 s[40:41], s[40:41], vcc
	scratch_store_dword off, v1, s32 offset:336 ; 4-byte Folded Spill
.LBB286_291:                            ;   in Loop: Header=BB286_9 Depth=1
	s_or_b64 exec, exec, s[42:43]
	s_and_saveexec_b64 s[42:43], s[40:41]
	s_cbranch_execz .LBB286_293
; %bb.292:                              ;   in Loop: Header=BB286_9 Depth=1
	v_bfe_u32 v1, v8, 24, 3
	v_ffbh_u32_e32 v2, v1
	v_min_u32_e32 v7, 32, v2
	v_subrev_u32_e32 v2, 28, v7
	v_bfe_u32 v6, v8, 27, 4
	v_lshlrev_b64 v[2:3], v2, v[4:5]
	v_sub_u32_e32 v3, 29, v7
	v_cmp_eq_u32_e32 vcc, 0, v6
	v_and_b32_e32 v2, 7, v2
	s_nop 0
	v_cndmask_b32_e32 v3, v6, v3, vcc
	v_cndmask_b32_e32 v1, v1, v2, vcc
	v_lshlrev_b32_e32 v2, 8, v4
	v_lshl_add_u32 v3, v3, 10, v34
	v_and_or_b32 v2, v2, s47, v3
	v_lshl_or_b32 v1, v1, 7, v2
	v_cvt_f32_f16_e32 v1, v1
	scratch_store_dword off, v1, s32 offset:336 ; 4-byte Folded Spill
.LBB286_293:                            ;   in Loop: Header=BB286_9 Depth=1
	s_or_b64 exec, exec, s[42:43]
	flat_load_dword v8, v[30:31] offset:2560
	s_mov_b64 vcc, 0
                                        ; implicit-def: $sgpr44
	s_waitcnt vmcnt(0) lgkmcnt(0)
	v_cmp_gt_i16_sdwa s[40:41], v8, s17 src0_sel:BYTE_0 src1_sel:DWORD
	s_and_saveexec_b64 s[42:43], s[40:41]
	s_xor_b64 s[40:41], exec, s[42:43]
	s_cbranch_execz .LBB286_297
; %bb.294:                              ;   in Loop: Header=BB286_9 Depth=1
	v_cmp_eq_u16_sdwa s[48:49], v8, s46 src0_sel:BYTE_0 src1_sel:DWORD
	s_mov_b64 vcc, -1
                                        ; implicit-def: $sgpr44
	s_and_saveexec_b64 s[42:43], s[48:49]
; %bb.295:                              ;   in Loop: Header=BB286_9 Depth=1
	s_mov_b32 s44, 0x7fc02000
	s_xor_b64 vcc, exec, -1
; %bb.296:                              ;   in Loop: Header=BB286_9 Depth=1
	s_or_b64 exec, exec, s[42:43]
	s_and_b64 vcc, vcc, exec
.LBB286_297:                            ;   in Loop: Header=BB286_9 Depth=1
	s_or_saveexec_b64 s[40:41], s[40:41]
	v_mov_b32_e32 v1, s44
	scratch_store_dword off, v1, s32 offset:340 ; 4-byte Folded Spill
	s_xor_b64 exec, exec, s[40:41]
	s_cbranch_execz .LBB286_299
; %bb.298:                              ;   in Loop: Header=BB286_9 Depth=1
	v_cmp_ne_u16_sdwa s[42:43], v8, v5 src0_sel:BYTE_0 src1_sel:DWORD
	s_andn2_b64 vcc, vcc, exec
	s_and_b64 s[42:43], s[42:43], exec
	v_mov_b32_e32 v1, 0
	s_or_b64 vcc, vcc, s[42:43]
	scratch_store_dword off, v1, s32 offset:340 ; 4-byte Folded Spill
.LBB286_299:                            ;   in Loop: Header=BB286_9 Depth=1
	s_or_b64 exec, exec, s[40:41]
	s_and_saveexec_b64 s[40:41], vcc
	s_cbranch_execz .LBB286_301
; %bb.300:                              ;   in Loop: Header=BB286_9 Depth=1
	v_and_b32_e32 v1, 7, v8
	v_ffbh_u32_e32 v2, v1
	v_min_u32_e32 v6, 32, v2
	v_subrev_u32_e32 v2, 28, v6
	v_bfe_u32 v4, v8, 3, 4
	v_lshlrev_b64 v[2:3], v2, v[8:9]
	v_sub_u32_e32 v3, 29, v6
	v_cmp_eq_u32_e32 vcc, 0, v4
	v_and_b32_e32 v2, 7, v2
	s_nop 0
	v_cndmask_b32_e32 v3, v4, v3, vcc
	v_cndmask_b32_e32 v1, v1, v2, vcc
	v_lshlrev_b32_e32 v2, 8, v8
	v_lshl_add_u32 v3, v3, 10, v34
	v_and_or_b32 v2, v2, s47, v3
	v_lshl_or_b32 v1, v1, 7, v2
	v_cvt_f32_f16_e32 v1, v1
	scratch_store_dword off, v1, s32 offset:340 ; 4-byte Folded Spill
.LBB286_301:                            ;   in Loop: Header=BB286_9 Depth=1
	s_or_b64 exec, exec, s[40:41]
	v_lshrrev_b16_e32 v4, 8, v8
	v_cmp_lt_i16_e32 vcc, s17, v4
	s_mov_b64 s[40:41], 0
                                        ; implicit-def: $sgpr48
	s_and_saveexec_b64 s[42:43], vcc
	s_xor_b64 s[42:43], exec, s[42:43]
	s_cbranch_execz .LBB286_305
; %bb.302:                              ;   in Loop: Header=BB286_9 Depth=1
	v_cmp_eq_u16_e32 vcc, s46, v4
	s_mov_b64 s[40:41], -1
                                        ; implicit-def: $sgpr48
	s_and_saveexec_b64 s[44:45], vcc
; %bb.303:                              ;   in Loop: Header=BB286_9 Depth=1
	s_mov_b32 s48, 0x7fc02000
	s_xor_b64 s[40:41], exec, -1
; %bb.304:                              ;   in Loop: Header=BB286_9 Depth=1
	s_or_b64 exec, exec, s[44:45]
	s_and_b64 s[40:41], s[40:41], exec
.LBB286_305:                            ;   in Loop: Header=BB286_9 Depth=1
	s_or_saveexec_b64 s[42:43], s[42:43]
	v_mov_b32_e32 v1, s48
	scratch_store_dword off, v1, s32 offset:344 ; 4-byte Folded Spill
	s_xor_b64 exec, exec, s[42:43]
	s_cbranch_execz .LBB286_307
; %bb.306:                              ;   in Loop: Header=BB286_9 Depth=1
	v_cmp_ne_u16_e32 vcc, 0, v4
	s_andn2_b64 s[40:41], s[40:41], exec
	s_and_b64 vcc, vcc, exec
	v_mov_b32_e32 v1, 0
	s_or_b64 s[40:41], s[40:41], vcc
	scratch_store_dword off, v1, s32 offset:344 ; 4-byte Folded Spill
.LBB286_307:                            ;   in Loop: Header=BB286_9 Depth=1
	s_or_b64 exec, exec, s[42:43]
	s_and_saveexec_b64 s[42:43], s[40:41]
	s_cbranch_execz .LBB286_309
; %bb.308:                              ;   in Loop: Header=BB286_9 Depth=1
	v_and_b32_e32 v1, 7, v4
	v_ffbh_u32_e32 v2, v1
	v_min_u32_e32 v7, 32, v2
	v_subrev_u32_e32 v2, 28, v7
	v_bfe_u32 v6, v4, 3, 4
	v_lshlrev_b64 v[2:3], v2, v[4:5]
	v_sub_u32_e32 v3, 29, v7
	v_cmp_eq_u32_e32 vcc, 0, v6
	v_and_b32_e32 v2, 7, v2
	s_nop 0
	v_cndmask_b32_e32 v3, v6, v3, vcc
	v_cndmask_b32_e32 v1, v1, v2, vcc
	v_lshlrev_b32_e32 v2, 8, v4
	v_lshl_add_u32 v3, v3, 10, v34
	v_and_or_b32 v2, v2, s47, v3
	v_lshl_or_b32 v1, v1, 7, v2
	v_cvt_f32_f16_e32 v1, v1
	scratch_store_dword off, v1, s32 offset:344 ; 4-byte Folded Spill
.LBB286_309:                            ;   in Loop: Header=BB286_9 Depth=1
	s_or_b64 exec, exec, s[42:43]
	v_lshrrev_b32_e32 v4, 16, v8
	v_cmp_gt_i16_sdwa s[40:41], v4, s17 src0_sel:BYTE_0 src1_sel:DWORD
	s_mov_b64 vcc, 0
                                        ; implicit-def: $sgpr44
	s_and_saveexec_b64 s[42:43], s[40:41]
	s_xor_b64 s[40:41], exec, s[42:43]
	s_cbranch_execz .LBB286_313
; %bb.310:                              ;   in Loop: Header=BB286_9 Depth=1
	v_cmp_eq_u16_sdwa s[48:49], v4, s46 src0_sel:BYTE_0 src1_sel:DWORD
	s_mov_b64 vcc, -1
                                        ; implicit-def: $sgpr44
	s_and_saveexec_b64 s[42:43], s[48:49]
; %bb.311:                              ;   in Loop: Header=BB286_9 Depth=1
	s_mov_b32 s44, 0x7fc02000
	s_xor_b64 vcc, exec, -1
; %bb.312:                              ;   in Loop: Header=BB286_9 Depth=1
	s_or_b64 exec, exec, s[42:43]
	s_and_b64 vcc, vcc, exec
.LBB286_313:                            ;   in Loop: Header=BB286_9 Depth=1
	s_or_saveexec_b64 s[40:41], s[40:41]
	v_mov_b32_e32 v1, s44
	scratch_store_dword off, v1, s32 offset:348 ; 4-byte Folded Spill
	s_xor_b64 exec, exec, s[40:41]
	s_cbranch_execz .LBB286_315
; %bb.314:                              ;   in Loop: Header=BB286_9 Depth=1
	v_cmp_ne_u16_sdwa s[42:43], v4, v5 src0_sel:BYTE_0 src1_sel:DWORD
	s_andn2_b64 vcc, vcc, exec
	s_and_b64 s[42:43], s[42:43], exec
	v_mov_b32_e32 v1, 0
	s_or_b64 vcc, vcc, s[42:43]
	scratch_store_dword off, v1, s32 offset:348 ; 4-byte Folded Spill
.LBB286_315:                            ;   in Loop: Header=BB286_9 Depth=1
	s_or_b64 exec, exec, s[40:41]
	s_and_saveexec_b64 s[40:41], vcc
	s_cbranch_execz .LBB286_317
; %bb.316:                              ;   in Loop: Header=BB286_9 Depth=1
	v_bfe_u32 v1, v8, 16, 3
	v_ffbh_u32_e32 v2, v1
	v_min_u32_e32 v7, 32, v2
	v_subrev_u32_e32 v2, 28, v7
	v_bfe_u32 v6, v8, 19, 4
	v_lshlrev_b64 v[2:3], v2, v[4:5]
	v_sub_u32_e32 v3, 29, v7
	v_cmp_eq_u32_e32 vcc, 0, v6
	v_and_b32_e32 v2, 7, v2
	s_nop 0
	v_cndmask_b32_e32 v3, v6, v3, vcc
	v_cndmask_b32_e32 v1, v1, v2, vcc
	v_lshlrev_b32_e32 v2, 8, v4
	v_lshl_add_u32 v3, v3, 10, v34
	v_and_or_b32 v2, v2, s47, v3
	v_lshl_or_b32 v1, v1, 7, v2
	v_cvt_f32_f16_e32 v1, v1
	scratch_store_dword off, v1, s32 offset:348 ; 4-byte Folded Spill
.LBB286_317:                            ;   in Loop: Header=BB286_9 Depth=1
	s_or_b64 exec, exec, s[40:41]
	v_lshrrev_b32_e32 v4, 24, v8
	v_cmp_lt_i16_e32 vcc, s17, v4
	s_mov_b64 s[40:41], 0
                                        ; implicit-def: $sgpr48
	s_and_saveexec_b64 s[42:43], vcc
	s_xor_b64 s[42:43], exec, s[42:43]
	s_cbranch_execz .LBB286_321
; %bb.318:                              ;   in Loop: Header=BB286_9 Depth=1
	v_cmp_eq_u16_e32 vcc, s46, v4
	s_mov_b64 s[40:41], -1
                                        ; implicit-def: $sgpr48
	s_and_saveexec_b64 s[44:45], vcc
; %bb.319:                              ;   in Loop: Header=BB286_9 Depth=1
	s_mov_b32 s48, 0x7fc02000
	s_xor_b64 s[40:41], exec, -1
; %bb.320:                              ;   in Loop: Header=BB286_9 Depth=1
	s_or_b64 exec, exec, s[44:45]
	s_and_b64 s[40:41], s[40:41], exec
.LBB286_321:                            ;   in Loop: Header=BB286_9 Depth=1
	s_or_saveexec_b64 s[42:43], s[42:43]
	v_mov_b32_e32 v1, s48
	scratch_store_dword off, v1, s32 offset:352 ; 4-byte Folded Spill
	s_xor_b64 exec, exec, s[42:43]
	s_cbranch_execz .LBB286_323
; %bb.322:                              ;   in Loop: Header=BB286_9 Depth=1
	v_cmp_ne_u16_e32 vcc, 0, v4
	s_andn2_b64 s[40:41], s[40:41], exec
	s_and_b64 vcc, vcc, exec
	v_mov_b32_e32 v1, 0
	s_or_b64 s[40:41], s[40:41], vcc
	scratch_store_dword off, v1, s32 offset:352 ; 4-byte Folded Spill
.LBB286_323:                            ;   in Loop: Header=BB286_9 Depth=1
	s_or_b64 exec, exec, s[42:43]
	s_and_saveexec_b64 s[42:43], s[40:41]
	s_cbranch_execz .LBB286_325
; %bb.324:                              ;   in Loop: Header=BB286_9 Depth=1
	v_bfe_u32 v1, v8, 24, 3
	v_ffbh_u32_e32 v2, v1
	v_min_u32_e32 v7, 32, v2
	v_subrev_u32_e32 v2, 28, v7
	v_bfe_u32 v6, v8, 27, 4
	v_lshlrev_b64 v[2:3], v2, v[4:5]
	v_sub_u32_e32 v3, 29, v7
	v_cmp_eq_u32_e32 vcc, 0, v6
	v_and_b32_e32 v2, 7, v2
	s_nop 0
	v_cndmask_b32_e32 v3, v6, v3, vcc
	v_cndmask_b32_e32 v1, v1, v2, vcc
	v_lshlrev_b32_e32 v2, 8, v4
	v_lshl_add_u32 v3, v3, 10, v34
	v_and_or_b32 v2, v2, s47, v3
	v_lshl_or_b32 v1, v1, 7, v2
	v_cvt_f32_f16_e32 v1, v1
	scratch_store_dword off, v1, s32 offset:352 ; 4-byte Folded Spill
.LBB286_325:                            ;   in Loop: Header=BB286_9 Depth=1
	s_or_b64 exec, exec, s[42:43]
	flat_load_dword v8, v[30:31] offset:2568
	s_mov_b64 vcc, 0
                                        ; implicit-def: $sgpr44
	s_waitcnt vmcnt(0) lgkmcnt(0)
	v_cmp_gt_i16_sdwa s[40:41], v8, s17 src0_sel:BYTE_0 src1_sel:DWORD
	s_and_saveexec_b64 s[42:43], s[40:41]
	s_xor_b64 s[40:41], exec, s[42:43]
	s_cbranch_execz .LBB286_329
; %bb.326:                              ;   in Loop: Header=BB286_9 Depth=1
	v_cmp_eq_u16_sdwa s[48:49], v8, s46 src0_sel:BYTE_0 src1_sel:DWORD
	s_mov_b64 vcc, -1
                                        ; implicit-def: $sgpr44
	s_and_saveexec_b64 s[42:43], s[48:49]
; %bb.327:                              ;   in Loop: Header=BB286_9 Depth=1
	s_mov_b32 s44, 0x7fc02000
	s_xor_b64 vcc, exec, -1
; %bb.328:                              ;   in Loop: Header=BB286_9 Depth=1
	s_or_b64 exec, exec, s[42:43]
	s_and_b64 vcc, vcc, exec
.LBB286_329:                            ;   in Loop: Header=BB286_9 Depth=1
	s_or_saveexec_b64 s[40:41], s[40:41]
	v_mov_b32_e32 v1, s44
	scratch_store_dword off, v1, s32 offset:356 ; 4-byte Folded Spill
	s_xor_b64 exec, exec, s[40:41]
	s_cbranch_execz .LBB286_331
; %bb.330:                              ;   in Loop: Header=BB286_9 Depth=1
	v_cmp_ne_u16_sdwa s[42:43], v8, v5 src0_sel:BYTE_0 src1_sel:DWORD
	s_andn2_b64 vcc, vcc, exec
	s_and_b64 s[42:43], s[42:43], exec
	v_mov_b32_e32 v1, 0
	s_or_b64 vcc, vcc, s[42:43]
	scratch_store_dword off, v1, s32 offset:356 ; 4-byte Folded Spill
.LBB286_331:                            ;   in Loop: Header=BB286_9 Depth=1
	s_or_b64 exec, exec, s[40:41]
	s_and_saveexec_b64 s[40:41], vcc
	s_cbranch_execz .LBB286_333
; %bb.332:                              ;   in Loop: Header=BB286_9 Depth=1
	v_and_b32_e32 v1, 7, v8
	v_ffbh_u32_e32 v2, v1
	v_min_u32_e32 v6, 32, v2
	v_subrev_u32_e32 v2, 28, v6
	v_bfe_u32 v4, v8, 3, 4
	v_lshlrev_b64 v[2:3], v2, v[8:9]
	v_sub_u32_e32 v3, 29, v6
	v_cmp_eq_u32_e32 vcc, 0, v4
	v_and_b32_e32 v2, 7, v2
	s_nop 0
	v_cndmask_b32_e32 v3, v4, v3, vcc
	v_cndmask_b32_e32 v1, v1, v2, vcc
	v_lshlrev_b32_e32 v2, 8, v8
	v_lshl_add_u32 v3, v3, 10, v34
	v_and_or_b32 v2, v2, s47, v3
	v_lshl_or_b32 v1, v1, 7, v2
	v_cvt_f32_f16_e32 v1, v1
	scratch_store_dword off, v1, s32 offset:356 ; 4-byte Folded Spill
.LBB286_333:                            ;   in Loop: Header=BB286_9 Depth=1
	s_or_b64 exec, exec, s[40:41]
	v_lshrrev_b16_e32 v4, 8, v8
	v_cmp_lt_i16_e32 vcc, s17, v4
	s_mov_b64 s[40:41], 0
                                        ; implicit-def: $sgpr48
	s_and_saveexec_b64 s[42:43], vcc
	s_xor_b64 s[42:43], exec, s[42:43]
	s_cbranch_execz .LBB286_337
; %bb.334:                              ;   in Loop: Header=BB286_9 Depth=1
	v_cmp_eq_u16_e32 vcc, s46, v4
	s_mov_b64 s[40:41], -1
                                        ; implicit-def: $sgpr48
	s_and_saveexec_b64 s[44:45], vcc
; %bb.335:                              ;   in Loop: Header=BB286_9 Depth=1
	s_mov_b32 s48, 0x7fc02000
	s_xor_b64 s[40:41], exec, -1
; %bb.336:                              ;   in Loop: Header=BB286_9 Depth=1
	s_or_b64 exec, exec, s[44:45]
	s_and_b64 s[40:41], s[40:41], exec
.LBB286_337:                            ;   in Loop: Header=BB286_9 Depth=1
	s_or_saveexec_b64 s[42:43], s[42:43]
	v_mov_b32_e32 v1, s48
	scratch_store_dword off, v1, s32 offset:360 ; 4-byte Folded Spill
	s_xor_b64 exec, exec, s[42:43]
	s_cbranch_execz .LBB286_339
; %bb.338:                              ;   in Loop: Header=BB286_9 Depth=1
	v_cmp_ne_u16_e32 vcc, 0, v4
	s_andn2_b64 s[40:41], s[40:41], exec
	s_and_b64 vcc, vcc, exec
	v_mov_b32_e32 v1, 0
	s_or_b64 s[40:41], s[40:41], vcc
	scratch_store_dword off, v1, s32 offset:360 ; 4-byte Folded Spill
.LBB286_339:                            ;   in Loop: Header=BB286_9 Depth=1
	s_or_b64 exec, exec, s[42:43]
	s_and_saveexec_b64 s[42:43], s[40:41]
	s_cbranch_execz .LBB286_341
; %bb.340:                              ;   in Loop: Header=BB286_9 Depth=1
	v_and_b32_e32 v1, 7, v4
	v_ffbh_u32_e32 v2, v1
	v_min_u32_e32 v7, 32, v2
	v_subrev_u32_e32 v2, 28, v7
	v_bfe_u32 v6, v4, 3, 4
	v_lshlrev_b64 v[2:3], v2, v[4:5]
	v_sub_u32_e32 v3, 29, v7
	v_cmp_eq_u32_e32 vcc, 0, v6
	v_and_b32_e32 v2, 7, v2
	s_nop 0
	v_cndmask_b32_e32 v3, v6, v3, vcc
	v_cndmask_b32_e32 v1, v1, v2, vcc
	v_lshlrev_b32_e32 v2, 8, v4
	v_lshl_add_u32 v3, v3, 10, v34
	v_and_or_b32 v2, v2, s47, v3
	v_lshl_or_b32 v1, v1, 7, v2
	v_cvt_f32_f16_e32 v1, v1
	scratch_store_dword off, v1, s32 offset:360 ; 4-byte Folded Spill
.LBB286_341:                            ;   in Loop: Header=BB286_9 Depth=1
	s_or_b64 exec, exec, s[42:43]
	v_lshrrev_b32_e32 v4, 16, v8
	v_cmp_gt_i16_sdwa s[40:41], v4, s17 src0_sel:BYTE_0 src1_sel:DWORD
	s_mov_b64 vcc, 0
                                        ; implicit-def: $sgpr44
	s_and_saveexec_b64 s[42:43], s[40:41]
	s_xor_b64 s[40:41], exec, s[42:43]
	s_cbranch_execz .LBB286_345
; %bb.342:                              ;   in Loop: Header=BB286_9 Depth=1
	v_cmp_eq_u16_sdwa s[48:49], v4, s46 src0_sel:BYTE_0 src1_sel:DWORD
	s_mov_b64 vcc, -1
                                        ; implicit-def: $sgpr44
	s_and_saveexec_b64 s[42:43], s[48:49]
; %bb.343:                              ;   in Loop: Header=BB286_9 Depth=1
	s_mov_b32 s44, 0x7fc02000
	s_xor_b64 vcc, exec, -1
; %bb.344:                              ;   in Loop: Header=BB286_9 Depth=1
	s_or_b64 exec, exec, s[42:43]
	s_and_b64 vcc, vcc, exec
.LBB286_345:                            ;   in Loop: Header=BB286_9 Depth=1
	s_or_saveexec_b64 s[40:41], s[40:41]
	v_mov_b32_e32 v1, s44
	scratch_store_dword off, v1, s32 offset:364 ; 4-byte Folded Spill
	s_xor_b64 exec, exec, s[40:41]
	s_cbranch_execz .LBB286_347
; %bb.346:                              ;   in Loop: Header=BB286_9 Depth=1
	v_cmp_ne_u16_sdwa s[42:43], v4, v5 src0_sel:BYTE_0 src1_sel:DWORD
	s_andn2_b64 vcc, vcc, exec
	s_and_b64 s[42:43], s[42:43], exec
	v_mov_b32_e32 v1, 0
	s_or_b64 vcc, vcc, s[42:43]
	scratch_store_dword off, v1, s32 offset:364 ; 4-byte Folded Spill
.LBB286_347:                            ;   in Loop: Header=BB286_9 Depth=1
	s_or_b64 exec, exec, s[40:41]
	s_and_saveexec_b64 s[40:41], vcc
	s_cbranch_execz .LBB286_349
; %bb.348:                              ;   in Loop: Header=BB286_9 Depth=1
	v_bfe_u32 v1, v8, 16, 3
	v_ffbh_u32_e32 v2, v1
	v_min_u32_e32 v7, 32, v2
	v_subrev_u32_e32 v2, 28, v7
	v_bfe_u32 v6, v8, 19, 4
	v_lshlrev_b64 v[2:3], v2, v[4:5]
	v_sub_u32_e32 v3, 29, v7
	v_cmp_eq_u32_e32 vcc, 0, v6
	v_and_b32_e32 v2, 7, v2
	s_nop 0
	v_cndmask_b32_e32 v3, v6, v3, vcc
	v_cndmask_b32_e32 v1, v1, v2, vcc
	v_lshlrev_b32_e32 v2, 8, v4
	v_lshl_add_u32 v3, v3, 10, v34
	v_and_or_b32 v2, v2, s47, v3
	v_lshl_or_b32 v1, v1, 7, v2
	v_cvt_f32_f16_e32 v1, v1
	scratch_store_dword off, v1, s32 offset:364 ; 4-byte Folded Spill
.LBB286_349:                            ;   in Loop: Header=BB286_9 Depth=1
	s_or_b64 exec, exec, s[40:41]
	v_lshrrev_b32_e32 v4, 24, v8
	v_cmp_lt_i16_e32 vcc, s17, v4
	s_mov_b64 s[40:41], 0
                                        ; implicit-def: $sgpr48
	s_and_saveexec_b64 s[42:43], vcc
	s_xor_b64 s[42:43], exec, s[42:43]
	s_cbranch_execz .LBB286_353
; %bb.350:                              ;   in Loop: Header=BB286_9 Depth=1
	v_cmp_eq_u16_e32 vcc, s46, v4
	s_mov_b64 s[40:41], -1
                                        ; implicit-def: $sgpr48
	s_and_saveexec_b64 s[44:45], vcc
; %bb.351:                              ;   in Loop: Header=BB286_9 Depth=1
	s_mov_b32 s48, 0x7fc02000
	s_xor_b64 s[40:41], exec, -1
; %bb.352:                              ;   in Loop: Header=BB286_9 Depth=1
	s_or_b64 exec, exec, s[44:45]
	s_and_b64 s[40:41], s[40:41], exec
.LBB286_353:                            ;   in Loop: Header=BB286_9 Depth=1
	s_or_saveexec_b64 s[42:43], s[42:43]
	v_mov_b32_e32 v1, s48
	scratch_store_dword off, v1, s32 offset:368 ; 4-byte Folded Spill
	s_xor_b64 exec, exec, s[42:43]
	s_cbranch_execz .LBB286_355
; %bb.354:                              ;   in Loop: Header=BB286_9 Depth=1
	v_cmp_ne_u16_e32 vcc, 0, v4
	s_andn2_b64 s[40:41], s[40:41], exec
	s_and_b64 vcc, vcc, exec
	v_mov_b32_e32 v1, 0
	s_or_b64 s[40:41], s[40:41], vcc
	scratch_store_dword off, v1, s32 offset:368 ; 4-byte Folded Spill
.LBB286_355:                            ;   in Loop: Header=BB286_9 Depth=1
	s_or_b64 exec, exec, s[42:43]
	s_and_saveexec_b64 s[42:43], s[40:41]
	s_cbranch_execz .LBB286_357
; %bb.356:                              ;   in Loop: Header=BB286_9 Depth=1
	v_bfe_u32 v1, v8, 24, 3
	v_ffbh_u32_e32 v2, v1
	v_min_u32_e32 v7, 32, v2
	v_subrev_u32_e32 v2, 28, v7
	v_bfe_u32 v6, v8, 27, 4
	v_lshlrev_b64 v[2:3], v2, v[4:5]
	v_sub_u32_e32 v3, 29, v7
	v_cmp_eq_u32_e32 vcc, 0, v6
	v_and_b32_e32 v2, 7, v2
	s_nop 0
	v_cndmask_b32_e32 v3, v6, v3, vcc
	v_cndmask_b32_e32 v1, v1, v2, vcc
	v_lshlrev_b32_e32 v2, 8, v4
	v_lshl_add_u32 v3, v3, 10, v34
	v_and_or_b32 v2, v2, s47, v3
	v_lshl_or_b32 v1, v1, 7, v2
	v_cvt_f32_f16_e32 v1, v1
	scratch_store_dword off, v1, s32 offset:368 ; 4-byte Folded Spill
.LBB286_357:                            ;   in Loop: Header=BB286_9 Depth=1
	s_or_b64 exec, exec, s[42:43]
	flat_load_dword v8, v[30:31] offset:3072
	s_mov_b64 vcc, 0
                                        ; implicit-def: $sgpr44
	s_waitcnt vmcnt(0) lgkmcnt(0)
	v_cmp_gt_i16_sdwa s[40:41], v8, s17 src0_sel:BYTE_0 src1_sel:DWORD
	s_and_saveexec_b64 s[42:43], s[40:41]
	s_xor_b64 s[40:41], exec, s[42:43]
	s_cbranch_execz .LBB286_361
; %bb.358:                              ;   in Loop: Header=BB286_9 Depth=1
	v_cmp_eq_u16_sdwa s[48:49], v8, s46 src0_sel:BYTE_0 src1_sel:DWORD
	s_mov_b64 vcc, -1
                                        ; implicit-def: $sgpr44
	s_and_saveexec_b64 s[42:43], s[48:49]
; %bb.359:                              ;   in Loop: Header=BB286_9 Depth=1
	s_mov_b32 s44, 0x7fc02000
	s_xor_b64 vcc, exec, -1
; %bb.360:                              ;   in Loop: Header=BB286_9 Depth=1
	s_or_b64 exec, exec, s[42:43]
	s_and_b64 vcc, vcc, exec
.LBB286_361:                            ;   in Loop: Header=BB286_9 Depth=1
	s_or_saveexec_b64 s[40:41], s[40:41]
	v_mov_b32_e32 v1, s44
	scratch_store_dword off, v1, s32 offset:372 ; 4-byte Folded Spill
	s_xor_b64 exec, exec, s[40:41]
	s_cbranch_execz .LBB286_363
; %bb.362:                              ;   in Loop: Header=BB286_9 Depth=1
	v_cmp_ne_u16_sdwa s[42:43], v8, v5 src0_sel:BYTE_0 src1_sel:DWORD
	s_andn2_b64 vcc, vcc, exec
	s_and_b64 s[42:43], s[42:43], exec
	v_mov_b32_e32 v1, 0
	s_or_b64 vcc, vcc, s[42:43]
	scratch_store_dword off, v1, s32 offset:372 ; 4-byte Folded Spill
.LBB286_363:                            ;   in Loop: Header=BB286_9 Depth=1
	s_or_b64 exec, exec, s[40:41]
	s_and_saveexec_b64 s[40:41], vcc
	s_cbranch_execz .LBB286_365
; %bb.364:                              ;   in Loop: Header=BB286_9 Depth=1
	v_and_b32_e32 v1, 7, v8
	v_ffbh_u32_e32 v2, v1
	v_min_u32_e32 v6, 32, v2
	v_subrev_u32_e32 v2, 28, v6
	v_bfe_u32 v4, v8, 3, 4
	v_lshlrev_b64 v[2:3], v2, v[8:9]
	v_sub_u32_e32 v3, 29, v6
	v_cmp_eq_u32_e32 vcc, 0, v4
	v_and_b32_e32 v2, 7, v2
	s_nop 0
	v_cndmask_b32_e32 v3, v4, v3, vcc
	v_cndmask_b32_e32 v1, v1, v2, vcc
	v_lshlrev_b32_e32 v2, 8, v8
	v_lshl_add_u32 v3, v3, 10, v34
	v_and_or_b32 v2, v2, s47, v3
	v_lshl_or_b32 v1, v1, 7, v2
	v_cvt_f32_f16_e32 v1, v1
	scratch_store_dword off, v1, s32 offset:372 ; 4-byte Folded Spill
.LBB286_365:                            ;   in Loop: Header=BB286_9 Depth=1
	s_or_b64 exec, exec, s[40:41]
	v_lshrrev_b16_e32 v4, 8, v8
	v_cmp_lt_i16_e32 vcc, s17, v4
	s_mov_b64 s[40:41], 0
                                        ; implicit-def: $sgpr48
	s_and_saveexec_b64 s[42:43], vcc
	s_xor_b64 s[42:43], exec, s[42:43]
	s_cbranch_execz .LBB286_369
; %bb.366:                              ;   in Loop: Header=BB286_9 Depth=1
	v_cmp_eq_u16_e32 vcc, s46, v4
	s_mov_b64 s[40:41], -1
                                        ; implicit-def: $sgpr48
	s_and_saveexec_b64 s[44:45], vcc
; %bb.367:                              ;   in Loop: Header=BB286_9 Depth=1
	s_mov_b32 s48, 0x7fc02000
	s_xor_b64 s[40:41], exec, -1
; %bb.368:                              ;   in Loop: Header=BB286_9 Depth=1
	s_or_b64 exec, exec, s[44:45]
	s_and_b64 s[40:41], s[40:41], exec
.LBB286_369:                            ;   in Loop: Header=BB286_9 Depth=1
	s_or_saveexec_b64 s[42:43], s[42:43]
	v_mov_b32_e32 v1, s48
	scratch_store_dword off, v1, s32 offset:376 ; 4-byte Folded Spill
	s_xor_b64 exec, exec, s[42:43]
	s_cbranch_execz .LBB286_371
; %bb.370:                              ;   in Loop: Header=BB286_9 Depth=1
	v_cmp_ne_u16_e32 vcc, 0, v4
	s_andn2_b64 s[40:41], s[40:41], exec
	s_and_b64 vcc, vcc, exec
	v_mov_b32_e32 v1, 0
	s_or_b64 s[40:41], s[40:41], vcc
	scratch_store_dword off, v1, s32 offset:376 ; 4-byte Folded Spill
.LBB286_371:                            ;   in Loop: Header=BB286_9 Depth=1
	s_or_b64 exec, exec, s[42:43]
	s_and_saveexec_b64 s[42:43], s[40:41]
	s_cbranch_execz .LBB286_373
; %bb.372:                              ;   in Loop: Header=BB286_9 Depth=1
	v_and_b32_e32 v1, 7, v4
	v_ffbh_u32_e32 v2, v1
	v_min_u32_e32 v7, 32, v2
	v_subrev_u32_e32 v2, 28, v7
	v_bfe_u32 v6, v4, 3, 4
	v_lshlrev_b64 v[2:3], v2, v[4:5]
	v_sub_u32_e32 v3, 29, v7
	v_cmp_eq_u32_e32 vcc, 0, v6
	v_and_b32_e32 v2, 7, v2
	s_nop 0
	v_cndmask_b32_e32 v3, v6, v3, vcc
	v_cndmask_b32_e32 v1, v1, v2, vcc
	v_lshlrev_b32_e32 v2, 8, v4
	v_lshl_add_u32 v3, v3, 10, v34
	v_and_or_b32 v2, v2, s47, v3
	v_lshl_or_b32 v1, v1, 7, v2
	v_cvt_f32_f16_e32 v1, v1
	scratch_store_dword off, v1, s32 offset:376 ; 4-byte Folded Spill
.LBB286_373:                            ;   in Loop: Header=BB286_9 Depth=1
	s_or_b64 exec, exec, s[42:43]
	v_lshrrev_b32_e32 v4, 16, v8
	v_cmp_gt_i16_sdwa s[40:41], v4, s17 src0_sel:BYTE_0 src1_sel:DWORD
	s_mov_b64 vcc, 0
                                        ; implicit-def: $sgpr44
	s_and_saveexec_b64 s[42:43], s[40:41]
	s_xor_b64 s[40:41], exec, s[42:43]
	s_cbranch_execz .LBB286_377
; %bb.374:                              ;   in Loop: Header=BB286_9 Depth=1
	v_cmp_eq_u16_sdwa s[48:49], v4, s46 src0_sel:BYTE_0 src1_sel:DWORD
	s_mov_b64 vcc, -1
                                        ; implicit-def: $sgpr44
	s_and_saveexec_b64 s[42:43], s[48:49]
; %bb.375:                              ;   in Loop: Header=BB286_9 Depth=1
	s_mov_b32 s44, 0x7fc02000
	s_xor_b64 vcc, exec, -1
; %bb.376:                              ;   in Loop: Header=BB286_9 Depth=1
	s_or_b64 exec, exec, s[42:43]
	s_and_b64 vcc, vcc, exec
.LBB286_377:                            ;   in Loop: Header=BB286_9 Depth=1
	s_or_saveexec_b64 s[40:41], s[40:41]
	v_mov_b32_e32 v1, s44
	scratch_store_dword off, v1, s32 offset:380 ; 4-byte Folded Spill
	s_xor_b64 exec, exec, s[40:41]
	s_cbranch_execz .LBB286_379
; %bb.378:                              ;   in Loop: Header=BB286_9 Depth=1
	v_cmp_ne_u16_sdwa s[42:43], v4, v5 src0_sel:BYTE_0 src1_sel:DWORD
	s_andn2_b64 vcc, vcc, exec
	s_and_b64 s[42:43], s[42:43], exec
	v_mov_b32_e32 v1, 0
	s_or_b64 vcc, vcc, s[42:43]
	scratch_store_dword off, v1, s32 offset:380 ; 4-byte Folded Spill
.LBB286_379:                            ;   in Loop: Header=BB286_9 Depth=1
	s_or_b64 exec, exec, s[40:41]
	s_and_saveexec_b64 s[40:41], vcc
	s_cbranch_execz .LBB286_381
; %bb.380:                              ;   in Loop: Header=BB286_9 Depth=1
	v_bfe_u32 v1, v8, 16, 3
	v_ffbh_u32_e32 v2, v1
	v_min_u32_e32 v7, 32, v2
	v_subrev_u32_e32 v2, 28, v7
	v_bfe_u32 v6, v8, 19, 4
	v_lshlrev_b64 v[2:3], v2, v[4:5]
	v_sub_u32_e32 v3, 29, v7
	v_cmp_eq_u32_e32 vcc, 0, v6
	v_and_b32_e32 v2, 7, v2
	s_nop 0
	v_cndmask_b32_e32 v3, v6, v3, vcc
	v_cndmask_b32_e32 v1, v1, v2, vcc
	v_lshlrev_b32_e32 v2, 8, v4
	v_lshl_add_u32 v3, v3, 10, v34
	v_and_or_b32 v2, v2, s47, v3
	v_lshl_or_b32 v1, v1, 7, v2
	v_cvt_f32_f16_e32 v1, v1
	scratch_store_dword off, v1, s32 offset:380 ; 4-byte Folded Spill
.LBB286_381:                            ;   in Loop: Header=BB286_9 Depth=1
	s_or_b64 exec, exec, s[40:41]
	v_lshrrev_b32_e32 v4, 24, v8
	v_cmp_lt_i16_e32 vcc, s17, v4
	s_mov_b64 s[40:41], 0
                                        ; implicit-def: $sgpr48
	s_and_saveexec_b64 s[42:43], vcc
	s_xor_b64 s[42:43], exec, s[42:43]
	s_cbranch_execz .LBB286_385
; %bb.382:                              ;   in Loop: Header=BB286_9 Depth=1
	v_cmp_eq_u16_e32 vcc, s46, v4
	s_mov_b64 s[40:41], -1
                                        ; implicit-def: $sgpr48
	s_and_saveexec_b64 s[44:45], vcc
; %bb.383:                              ;   in Loop: Header=BB286_9 Depth=1
	s_mov_b32 s48, 0x7fc02000
	s_xor_b64 s[40:41], exec, -1
; %bb.384:                              ;   in Loop: Header=BB286_9 Depth=1
	s_or_b64 exec, exec, s[44:45]
	s_and_b64 s[40:41], s[40:41], exec
.LBB286_385:                            ;   in Loop: Header=BB286_9 Depth=1
	s_or_saveexec_b64 s[42:43], s[42:43]
	v_mov_b32_e32 v1, s48
	scratch_store_dword off, v1, s32 offset:384 ; 4-byte Folded Spill
	s_xor_b64 exec, exec, s[42:43]
	s_cbranch_execz .LBB286_387
; %bb.386:                              ;   in Loop: Header=BB286_9 Depth=1
	v_cmp_ne_u16_e32 vcc, 0, v4
	s_andn2_b64 s[40:41], s[40:41], exec
	s_and_b64 vcc, vcc, exec
	v_mov_b32_e32 v1, 0
	s_or_b64 s[40:41], s[40:41], vcc
	scratch_store_dword off, v1, s32 offset:384 ; 4-byte Folded Spill
.LBB286_387:                            ;   in Loop: Header=BB286_9 Depth=1
	s_or_b64 exec, exec, s[42:43]
	s_and_saveexec_b64 s[42:43], s[40:41]
	s_cbranch_execz .LBB286_389
; %bb.388:                              ;   in Loop: Header=BB286_9 Depth=1
	v_bfe_u32 v1, v8, 24, 3
	v_ffbh_u32_e32 v2, v1
	v_min_u32_e32 v7, 32, v2
	v_subrev_u32_e32 v2, 28, v7
	v_bfe_u32 v6, v8, 27, 4
	v_lshlrev_b64 v[2:3], v2, v[4:5]
	v_sub_u32_e32 v3, 29, v7
	v_cmp_eq_u32_e32 vcc, 0, v6
	v_and_b32_e32 v2, 7, v2
	s_nop 0
	v_cndmask_b32_e32 v3, v6, v3, vcc
	v_cndmask_b32_e32 v1, v1, v2, vcc
	v_lshlrev_b32_e32 v2, 8, v4
	v_lshl_add_u32 v3, v3, 10, v34
	v_and_or_b32 v2, v2, s47, v3
	v_lshl_or_b32 v1, v1, 7, v2
	v_cvt_f32_f16_e32 v1, v1
	scratch_store_dword off, v1, s32 offset:384 ; 4-byte Folded Spill
.LBB286_389:                            ;   in Loop: Header=BB286_9 Depth=1
	s_or_b64 exec, exec, s[42:43]
	flat_load_dword v8, v[30:31] offset:3080
	s_mov_b64 vcc, 0
                                        ; implicit-def: $sgpr44
	s_waitcnt vmcnt(0) lgkmcnt(0)
	v_cmp_gt_i16_sdwa s[40:41], v8, s17 src0_sel:BYTE_0 src1_sel:DWORD
	s_and_saveexec_b64 s[42:43], s[40:41]
	s_xor_b64 s[40:41], exec, s[42:43]
	s_cbranch_execz .LBB286_393
; %bb.390:                              ;   in Loop: Header=BB286_9 Depth=1
	v_cmp_eq_u16_sdwa s[48:49], v8, s46 src0_sel:BYTE_0 src1_sel:DWORD
	s_mov_b64 vcc, -1
                                        ; implicit-def: $sgpr44
	s_and_saveexec_b64 s[42:43], s[48:49]
; %bb.391:                              ;   in Loop: Header=BB286_9 Depth=1
	s_mov_b32 s44, 0x7fc02000
	s_xor_b64 vcc, exec, -1
; %bb.392:                              ;   in Loop: Header=BB286_9 Depth=1
	s_or_b64 exec, exec, s[42:43]
	s_and_b64 vcc, vcc, exec
.LBB286_393:                            ;   in Loop: Header=BB286_9 Depth=1
	s_or_saveexec_b64 s[40:41], s[40:41]
	v_mov_b32_e32 v1, s44
	scratch_store_dword off, v1, s32 offset:388 ; 4-byte Folded Spill
	s_xor_b64 exec, exec, s[40:41]
	s_cbranch_execz .LBB286_395
; %bb.394:                              ;   in Loop: Header=BB286_9 Depth=1
	v_cmp_ne_u16_sdwa s[42:43], v8, v5 src0_sel:BYTE_0 src1_sel:DWORD
	s_andn2_b64 vcc, vcc, exec
	s_and_b64 s[42:43], s[42:43], exec
	v_mov_b32_e32 v1, 0
	s_or_b64 vcc, vcc, s[42:43]
	scratch_store_dword off, v1, s32 offset:388 ; 4-byte Folded Spill
.LBB286_395:                            ;   in Loop: Header=BB286_9 Depth=1
	s_or_b64 exec, exec, s[40:41]
	s_and_saveexec_b64 s[40:41], vcc
	s_cbranch_execz .LBB286_397
; %bb.396:                              ;   in Loop: Header=BB286_9 Depth=1
	v_and_b32_e32 v1, 7, v8
	v_ffbh_u32_e32 v2, v1
	v_min_u32_e32 v6, 32, v2
	v_subrev_u32_e32 v2, 28, v6
	v_bfe_u32 v4, v8, 3, 4
	v_lshlrev_b64 v[2:3], v2, v[8:9]
	v_sub_u32_e32 v3, 29, v6
	v_cmp_eq_u32_e32 vcc, 0, v4
	v_and_b32_e32 v2, 7, v2
	s_nop 0
	v_cndmask_b32_e32 v3, v4, v3, vcc
	v_cndmask_b32_e32 v1, v1, v2, vcc
	v_lshlrev_b32_e32 v2, 8, v8
	v_lshl_add_u32 v3, v3, 10, v34
	v_and_or_b32 v2, v2, s47, v3
	v_lshl_or_b32 v1, v1, 7, v2
	v_cvt_f32_f16_e32 v1, v1
	scratch_store_dword off, v1, s32 offset:388 ; 4-byte Folded Spill
.LBB286_397:                            ;   in Loop: Header=BB286_9 Depth=1
	s_or_b64 exec, exec, s[40:41]
	v_lshrrev_b16_e32 v4, 8, v8
	v_cmp_lt_i16_e32 vcc, s17, v4
	s_mov_b64 s[40:41], 0
                                        ; implicit-def: $sgpr48
	s_and_saveexec_b64 s[42:43], vcc
	s_xor_b64 s[42:43], exec, s[42:43]
	s_cbranch_execz .LBB286_401
; %bb.398:                              ;   in Loop: Header=BB286_9 Depth=1
	v_cmp_eq_u16_e32 vcc, s46, v4
	s_mov_b64 s[40:41], -1
                                        ; implicit-def: $sgpr48
	s_and_saveexec_b64 s[44:45], vcc
; %bb.399:                              ;   in Loop: Header=BB286_9 Depth=1
	s_mov_b32 s48, 0x7fc02000
	s_xor_b64 s[40:41], exec, -1
; %bb.400:                              ;   in Loop: Header=BB286_9 Depth=1
	s_or_b64 exec, exec, s[44:45]
	s_and_b64 s[40:41], s[40:41], exec
.LBB286_401:                            ;   in Loop: Header=BB286_9 Depth=1
	s_or_saveexec_b64 s[42:43], s[42:43]
	v_mov_b32_e32 v1, s48
	scratch_store_dword off, v1, s32 offset:392 ; 4-byte Folded Spill
	s_xor_b64 exec, exec, s[42:43]
	s_cbranch_execz .LBB286_403
; %bb.402:                              ;   in Loop: Header=BB286_9 Depth=1
	v_cmp_ne_u16_e32 vcc, 0, v4
	s_andn2_b64 s[40:41], s[40:41], exec
	s_and_b64 vcc, vcc, exec
	v_mov_b32_e32 v1, 0
	s_or_b64 s[40:41], s[40:41], vcc
	scratch_store_dword off, v1, s32 offset:392 ; 4-byte Folded Spill
.LBB286_403:                            ;   in Loop: Header=BB286_9 Depth=1
	s_or_b64 exec, exec, s[42:43]
	s_and_saveexec_b64 s[42:43], s[40:41]
	s_cbranch_execz .LBB286_405
; %bb.404:                              ;   in Loop: Header=BB286_9 Depth=1
	v_and_b32_e32 v1, 7, v4
	v_ffbh_u32_e32 v2, v1
	v_min_u32_e32 v7, 32, v2
	v_subrev_u32_e32 v2, 28, v7
	v_bfe_u32 v6, v4, 3, 4
	v_lshlrev_b64 v[2:3], v2, v[4:5]
	v_sub_u32_e32 v3, 29, v7
	v_cmp_eq_u32_e32 vcc, 0, v6
	v_and_b32_e32 v2, 7, v2
	s_nop 0
	v_cndmask_b32_e32 v3, v6, v3, vcc
	v_cndmask_b32_e32 v1, v1, v2, vcc
	v_lshlrev_b32_e32 v2, 8, v4
	v_lshl_add_u32 v3, v3, 10, v34
	v_and_or_b32 v2, v2, s47, v3
	v_lshl_or_b32 v1, v1, 7, v2
	v_cvt_f32_f16_e32 v1, v1
	scratch_store_dword off, v1, s32 offset:392 ; 4-byte Folded Spill
.LBB286_405:                            ;   in Loop: Header=BB286_9 Depth=1
	s_or_b64 exec, exec, s[42:43]
	v_lshrrev_b32_e32 v4, 16, v8
	v_cmp_gt_i16_sdwa s[40:41], v4, s17 src0_sel:BYTE_0 src1_sel:DWORD
	s_mov_b64 vcc, 0
                                        ; implicit-def: $sgpr44
	s_and_saveexec_b64 s[42:43], s[40:41]
	s_xor_b64 s[40:41], exec, s[42:43]
	s_cbranch_execz .LBB286_409
; %bb.406:                              ;   in Loop: Header=BB286_9 Depth=1
	v_cmp_eq_u16_sdwa s[48:49], v4, s46 src0_sel:BYTE_0 src1_sel:DWORD
	s_mov_b64 vcc, -1
                                        ; implicit-def: $sgpr44
	s_and_saveexec_b64 s[42:43], s[48:49]
; %bb.407:                              ;   in Loop: Header=BB286_9 Depth=1
	s_mov_b32 s44, 0x7fc02000
	s_xor_b64 vcc, exec, -1
; %bb.408:                              ;   in Loop: Header=BB286_9 Depth=1
	s_or_b64 exec, exec, s[42:43]
	s_and_b64 vcc, vcc, exec
.LBB286_409:                            ;   in Loop: Header=BB286_9 Depth=1
	s_or_saveexec_b64 s[40:41], s[40:41]
	v_mov_b32_e32 v1, s44
	scratch_store_dword off, v1, s32 offset:396 ; 4-byte Folded Spill
	s_xor_b64 exec, exec, s[40:41]
	s_cbranch_execz .LBB286_411
; %bb.410:                              ;   in Loop: Header=BB286_9 Depth=1
	v_cmp_ne_u16_sdwa s[42:43], v4, v5 src0_sel:BYTE_0 src1_sel:DWORD
	s_andn2_b64 vcc, vcc, exec
	s_and_b64 s[42:43], s[42:43], exec
	v_mov_b32_e32 v1, 0
	s_or_b64 vcc, vcc, s[42:43]
	scratch_store_dword off, v1, s32 offset:396 ; 4-byte Folded Spill
.LBB286_411:                            ;   in Loop: Header=BB286_9 Depth=1
	s_or_b64 exec, exec, s[40:41]
	s_and_saveexec_b64 s[40:41], vcc
	s_cbranch_execz .LBB286_413
; %bb.412:                              ;   in Loop: Header=BB286_9 Depth=1
	v_bfe_u32 v1, v8, 16, 3
	v_ffbh_u32_e32 v2, v1
	v_min_u32_e32 v7, 32, v2
	v_subrev_u32_e32 v2, 28, v7
	v_bfe_u32 v6, v8, 19, 4
	v_lshlrev_b64 v[2:3], v2, v[4:5]
	v_sub_u32_e32 v3, 29, v7
	v_cmp_eq_u32_e32 vcc, 0, v6
	v_and_b32_e32 v2, 7, v2
	s_nop 0
	v_cndmask_b32_e32 v3, v6, v3, vcc
	v_cndmask_b32_e32 v1, v1, v2, vcc
	v_lshlrev_b32_e32 v2, 8, v4
	v_lshl_add_u32 v3, v3, 10, v34
	v_and_or_b32 v2, v2, s47, v3
	v_lshl_or_b32 v1, v1, 7, v2
	v_cvt_f32_f16_e32 v1, v1
	scratch_store_dword off, v1, s32 offset:396 ; 4-byte Folded Spill
.LBB286_413:                            ;   in Loop: Header=BB286_9 Depth=1
	s_or_b64 exec, exec, s[40:41]
	v_lshrrev_b32_e32 v4, 24, v8
	v_cmp_lt_i16_e32 vcc, s17, v4
	s_mov_b64 s[40:41], 0
                                        ; implicit-def: $sgpr48
	s_and_saveexec_b64 s[42:43], vcc
	s_xor_b64 s[42:43], exec, s[42:43]
	s_cbranch_execz .LBB286_417
; %bb.414:                              ;   in Loop: Header=BB286_9 Depth=1
	v_cmp_eq_u16_e32 vcc, s46, v4
	s_mov_b64 s[40:41], -1
                                        ; implicit-def: $sgpr48
	s_and_saveexec_b64 s[44:45], vcc
; %bb.415:                              ;   in Loop: Header=BB286_9 Depth=1
	s_mov_b32 s48, 0x7fc02000
	s_xor_b64 s[40:41], exec, -1
; %bb.416:                              ;   in Loop: Header=BB286_9 Depth=1
	s_or_b64 exec, exec, s[44:45]
	s_and_b64 s[40:41], s[40:41], exec
.LBB286_417:                            ;   in Loop: Header=BB286_9 Depth=1
	s_or_saveexec_b64 s[42:43], s[42:43]
	v_mov_b32_e32 v1, s48
	scratch_store_dword off, v1, s32 offset:400 ; 4-byte Folded Spill
	s_xor_b64 exec, exec, s[42:43]
	s_cbranch_execz .LBB286_419
; %bb.418:                              ;   in Loop: Header=BB286_9 Depth=1
	v_cmp_ne_u16_e32 vcc, 0, v4
	s_andn2_b64 s[40:41], s[40:41], exec
	s_and_b64 vcc, vcc, exec
	v_mov_b32_e32 v1, 0
	s_or_b64 s[40:41], s[40:41], vcc
	scratch_store_dword off, v1, s32 offset:400 ; 4-byte Folded Spill
.LBB286_419:                            ;   in Loop: Header=BB286_9 Depth=1
	s_or_b64 exec, exec, s[42:43]
	s_and_saveexec_b64 s[42:43], s[40:41]
	s_cbranch_execz .LBB286_421
; %bb.420:                              ;   in Loop: Header=BB286_9 Depth=1
	v_bfe_u32 v1, v8, 24, 3
	v_ffbh_u32_e32 v2, v1
	v_min_u32_e32 v7, 32, v2
	v_subrev_u32_e32 v2, 28, v7
	v_bfe_u32 v6, v8, 27, 4
	v_lshlrev_b64 v[2:3], v2, v[4:5]
	v_sub_u32_e32 v3, 29, v7
	v_cmp_eq_u32_e32 vcc, 0, v6
	v_and_b32_e32 v2, 7, v2
	s_nop 0
	v_cndmask_b32_e32 v3, v6, v3, vcc
	v_cndmask_b32_e32 v1, v1, v2, vcc
	v_lshlrev_b32_e32 v2, 8, v4
	v_lshl_add_u32 v3, v3, 10, v34
	v_and_or_b32 v2, v2, s47, v3
	v_lshl_or_b32 v1, v1, 7, v2
	v_cvt_f32_f16_e32 v1, v1
	scratch_store_dword off, v1, s32 offset:400 ; 4-byte Folded Spill
.LBB286_421:                            ;   in Loop: Header=BB286_9 Depth=1
	s_or_b64 exec, exec, s[42:43]
	flat_load_dword v8, v[30:31] offset:3584
	s_mov_b64 vcc, 0
                                        ; implicit-def: $sgpr44
	s_waitcnt vmcnt(0) lgkmcnt(0)
	v_cmp_gt_i16_sdwa s[40:41], v8, s17 src0_sel:BYTE_0 src1_sel:DWORD
	s_and_saveexec_b64 s[42:43], s[40:41]
	s_xor_b64 s[40:41], exec, s[42:43]
	s_cbranch_execz .LBB286_425
; %bb.422:                              ;   in Loop: Header=BB286_9 Depth=1
	v_cmp_eq_u16_sdwa s[48:49], v8, s46 src0_sel:BYTE_0 src1_sel:DWORD
	s_mov_b64 vcc, -1
                                        ; implicit-def: $sgpr44
	s_and_saveexec_b64 s[42:43], s[48:49]
; %bb.423:                              ;   in Loop: Header=BB286_9 Depth=1
	s_mov_b32 s44, 0x7fc02000
	s_xor_b64 vcc, exec, -1
; %bb.424:                              ;   in Loop: Header=BB286_9 Depth=1
	s_or_b64 exec, exec, s[42:43]
	s_and_b64 vcc, vcc, exec
.LBB286_425:                            ;   in Loop: Header=BB286_9 Depth=1
	s_or_saveexec_b64 s[40:41], s[40:41]
	v_mov_b32_e32 v1, s44
	scratch_store_dword off, v1, s32 offset:404 ; 4-byte Folded Spill
	s_xor_b64 exec, exec, s[40:41]
	s_cbranch_execz .LBB286_427
; %bb.426:                              ;   in Loop: Header=BB286_9 Depth=1
	v_cmp_ne_u16_sdwa s[42:43], v8, v5 src0_sel:BYTE_0 src1_sel:DWORD
	s_andn2_b64 vcc, vcc, exec
	s_and_b64 s[42:43], s[42:43], exec
	v_mov_b32_e32 v1, 0
	s_or_b64 vcc, vcc, s[42:43]
	scratch_store_dword off, v1, s32 offset:404 ; 4-byte Folded Spill
.LBB286_427:                            ;   in Loop: Header=BB286_9 Depth=1
	s_or_b64 exec, exec, s[40:41]
	s_and_saveexec_b64 s[40:41], vcc
	s_cbranch_execz .LBB286_429
; %bb.428:                              ;   in Loop: Header=BB286_9 Depth=1
	v_and_b32_e32 v1, 7, v8
	v_ffbh_u32_e32 v2, v1
	v_min_u32_e32 v6, 32, v2
	v_subrev_u32_e32 v2, 28, v6
	v_bfe_u32 v4, v8, 3, 4
	v_lshlrev_b64 v[2:3], v2, v[8:9]
	v_sub_u32_e32 v3, 29, v6
	v_cmp_eq_u32_e32 vcc, 0, v4
	v_and_b32_e32 v2, 7, v2
	s_nop 0
	v_cndmask_b32_e32 v3, v4, v3, vcc
	v_cndmask_b32_e32 v1, v1, v2, vcc
	v_lshlrev_b32_e32 v2, 8, v8
	v_lshl_add_u32 v3, v3, 10, v34
	v_and_or_b32 v2, v2, s47, v3
	v_lshl_or_b32 v1, v1, 7, v2
	v_cvt_f32_f16_e32 v1, v1
	scratch_store_dword off, v1, s32 offset:404 ; 4-byte Folded Spill
.LBB286_429:                            ;   in Loop: Header=BB286_9 Depth=1
	s_or_b64 exec, exec, s[40:41]
	v_lshrrev_b16_e32 v4, 8, v8
	v_cmp_lt_i16_e32 vcc, s17, v4
	s_mov_b64 s[40:41], 0
                                        ; implicit-def: $sgpr48
	s_and_saveexec_b64 s[42:43], vcc
	s_xor_b64 s[42:43], exec, s[42:43]
	s_cbranch_execz .LBB286_433
; %bb.430:                              ;   in Loop: Header=BB286_9 Depth=1
	v_cmp_eq_u16_e32 vcc, s46, v4
	s_mov_b64 s[40:41], -1
                                        ; implicit-def: $sgpr48
	s_and_saveexec_b64 s[44:45], vcc
; %bb.431:                              ;   in Loop: Header=BB286_9 Depth=1
	s_mov_b32 s48, 0x7fc02000
	s_xor_b64 s[40:41], exec, -1
; %bb.432:                              ;   in Loop: Header=BB286_9 Depth=1
	s_or_b64 exec, exec, s[44:45]
	s_and_b64 s[40:41], s[40:41], exec
.LBB286_433:                            ;   in Loop: Header=BB286_9 Depth=1
	s_or_saveexec_b64 s[42:43], s[42:43]
	v_mov_b32_e32 v1, s48
	scratch_store_dword off, v1, s32 offset:408 ; 4-byte Folded Spill
	s_xor_b64 exec, exec, s[42:43]
	s_cbranch_execz .LBB286_435
; %bb.434:                              ;   in Loop: Header=BB286_9 Depth=1
	v_cmp_ne_u16_e32 vcc, 0, v4
	s_andn2_b64 s[40:41], s[40:41], exec
	s_and_b64 vcc, vcc, exec
	v_mov_b32_e32 v1, 0
	s_or_b64 s[40:41], s[40:41], vcc
	scratch_store_dword off, v1, s32 offset:408 ; 4-byte Folded Spill
.LBB286_435:                            ;   in Loop: Header=BB286_9 Depth=1
	s_or_b64 exec, exec, s[42:43]
	s_and_saveexec_b64 s[42:43], s[40:41]
	s_cbranch_execz .LBB286_437
; %bb.436:                              ;   in Loop: Header=BB286_9 Depth=1
	v_and_b32_e32 v1, 7, v4
	v_ffbh_u32_e32 v2, v1
	v_min_u32_e32 v7, 32, v2
	v_subrev_u32_e32 v2, 28, v7
	v_bfe_u32 v6, v4, 3, 4
	v_lshlrev_b64 v[2:3], v2, v[4:5]
	v_sub_u32_e32 v3, 29, v7
	v_cmp_eq_u32_e32 vcc, 0, v6
	v_and_b32_e32 v2, 7, v2
	s_nop 0
	v_cndmask_b32_e32 v3, v6, v3, vcc
	v_cndmask_b32_e32 v1, v1, v2, vcc
	v_lshlrev_b32_e32 v2, 8, v4
	v_lshl_add_u32 v3, v3, 10, v34
	v_and_or_b32 v2, v2, s47, v3
	v_lshl_or_b32 v1, v1, 7, v2
	v_cvt_f32_f16_e32 v1, v1
	scratch_store_dword off, v1, s32 offset:408 ; 4-byte Folded Spill
.LBB286_437:                            ;   in Loop: Header=BB286_9 Depth=1
	s_or_b64 exec, exec, s[42:43]
	v_lshrrev_b32_e32 v4, 16, v8
	v_cmp_gt_i16_sdwa s[40:41], v4, s17 src0_sel:BYTE_0 src1_sel:DWORD
	s_mov_b64 vcc, 0
                                        ; implicit-def: $sgpr44
	s_and_saveexec_b64 s[42:43], s[40:41]
	s_xor_b64 s[40:41], exec, s[42:43]
	s_cbranch_execz .LBB286_441
; %bb.438:                              ;   in Loop: Header=BB286_9 Depth=1
	v_cmp_eq_u16_sdwa s[48:49], v4, s46 src0_sel:BYTE_0 src1_sel:DWORD
	s_mov_b64 vcc, -1
                                        ; implicit-def: $sgpr44
	s_and_saveexec_b64 s[42:43], s[48:49]
; %bb.439:                              ;   in Loop: Header=BB286_9 Depth=1
	s_mov_b32 s44, 0x7fc02000
	s_xor_b64 vcc, exec, -1
; %bb.440:                              ;   in Loop: Header=BB286_9 Depth=1
	s_or_b64 exec, exec, s[42:43]
	s_and_b64 vcc, vcc, exec
.LBB286_441:                            ;   in Loop: Header=BB286_9 Depth=1
	s_or_saveexec_b64 s[40:41], s[40:41]
	v_mov_b32_e32 v1, s44
	scratch_store_dword off, v1, s32 offset:412 ; 4-byte Folded Spill
	s_xor_b64 exec, exec, s[40:41]
	s_cbranch_execz .LBB286_443
; %bb.442:                              ;   in Loop: Header=BB286_9 Depth=1
	v_cmp_ne_u16_sdwa s[42:43], v4, v5 src0_sel:BYTE_0 src1_sel:DWORD
	s_andn2_b64 vcc, vcc, exec
	s_and_b64 s[42:43], s[42:43], exec
	v_mov_b32_e32 v1, 0
	s_or_b64 vcc, vcc, s[42:43]
	scratch_store_dword off, v1, s32 offset:412 ; 4-byte Folded Spill
.LBB286_443:                            ;   in Loop: Header=BB286_9 Depth=1
	s_or_b64 exec, exec, s[40:41]
	s_and_saveexec_b64 s[40:41], vcc
	s_cbranch_execz .LBB286_445
; %bb.444:                              ;   in Loop: Header=BB286_9 Depth=1
	v_bfe_u32 v1, v8, 16, 3
	v_ffbh_u32_e32 v2, v1
	v_min_u32_e32 v7, 32, v2
	v_subrev_u32_e32 v2, 28, v7
	v_bfe_u32 v6, v8, 19, 4
	v_lshlrev_b64 v[2:3], v2, v[4:5]
	v_sub_u32_e32 v3, 29, v7
	v_cmp_eq_u32_e32 vcc, 0, v6
	v_and_b32_e32 v2, 7, v2
	s_nop 0
	v_cndmask_b32_e32 v3, v6, v3, vcc
	v_cndmask_b32_e32 v1, v1, v2, vcc
	v_lshlrev_b32_e32 v2, 8, v4
	v_lshl_add_u32 v3, v3, 10, v34
	v_and_or_b32 v2, v2, s47, v3
	v_lshl_or_b32 v1, v1, 7, v2
	v_cvt_f32_f16_e32 v1, v1
	scratch_store_dword off, v1, s32 offset:412 ; 4-byte Folded Spill
.LBB286_445:                            ;   in Loop: Header=BB286_9 Depth=1
	s_or_b64 exec, exec, s[40:41]
	v_lshrrev_b32_e32 v4, 24, v8
	v_cmp_lt_i16_e32 vcc, s17, v4
	s_mov_b64 s[40:41], 0
                                        ; implicit-def: $sgpr48
	s_and_saveexec_b64 s[42:43], vcc
	s_xor_b64 s[42:43], exec, s[42:43]
	s_cbranch_execz .LBB286_449
; %bb.446:                              ;   in Loop: Header=BB286_9 Depth=1
	v_cmp_eq_u16_e32 vcc, s46, v4
	s_mov_b64 s[40:41], -1
                                        ; implicit-def: $sgpr48
	s_and_saveexec_b64 s[44:45], vcc
; %bb.447:                              ;   in Loop: Header=BB286_9 Depth=1
	s_mov_b32 s48, 0x7fc02000
	s_xor_b64 s[40:41], exec, -1
; %bb.448:                              ;   in Loop: Header=BB286_9 Depth=1
	s_or_b64 exec, exec, s[44:45]
	s_and_b64 s[40:41], s[40:41], exec
.LBB286_449:                            ;   in Loop: Header=BB286_9 Depth=1
	s_or_saveexec_b64 s[42:43], s[42:43]
	v_mov_b32_e32 v1, s48
	scratch_store_dword off, v1, s32 offset:416 ; 4-byte Folded Spill
	s_xor_b64 exec, exec, s[42:43]
	s_cbranch_execz .LBB286_451
; %bb.450:                              ;   in Loop: Header=BB286_9 Depth=1
	v_cmp_ne_u16_e32 vcc, 0, v4
	s_andn2_b64 s[40:41], s[40:41], exec
	s_and_b64 vcc, vcc, exec
	v_mov_b32_e32 v1, 0
	s_or_b64 s[40:41], s[40:41], vcc
	scratch_store_dword off, v1, s32 offset:416 ; 4-byte Folded Spill
.LBB286_451:                            ;   in Loop: Header=BB286_9 Depth=1
	s_or_b64 exec, exec, s[42:43]
	s_and_saveexec_b64 s[42:43], s[40:41]
	s_cbranch_execz .LBB286_453
; %bb.452:                              ;   in Loop: Header=BB286_9 Depth=1
	v_bfe_u32 v1, v8, 24, 3
	v_ffbh_u32_e32 v2, v1
	v_min_u32_e32 v7, 32, v2
	v_subrev_u32_e32 v2, 28, v7
	v_bfe_u32 v6, v8, 27, 4
	v_lshlrev_b64 v[2:3], v2, v[4:5]
	v_sub_u32_e32 v3, 29, v7
	v_cmp_eq_u32_e32 vcc, 0, v6
	v_and_b32_e32 v2, 7, v2
	s_nop 0
	v_cndmask_b32_e32 v3, v6, v3, vcc
	v_cndmask_b32_e32 v1, v1, v2, vcc
	v_lshlrev_b32_e32 v2, 8, v4
	v_lshl_add_u32 v3, v3, 10, v34
	v_and_or_b32 v2, v2, s47, v3
	v_lshl_or_b32 v1, v1, 7, v2
	v_cvt_f32_f16_e32 v1, v1
	scratch_store_dword off, v1, s32 offset:416 ; 4-byte Folded Spill
.LBB286_453:                            ;   in Loop: Header=BB286_9 Depth=1
	s_or_b64 exec, exec, s[42:43]
	flat_load_dword v8, v[30:31] offset:3592
	s_mov_b64 vcc, 0
                                        ; implicit-def: $sgpr44
	s_waitcnt vmcnt(0) lgkmcnt(0)
	v_cmp_gt_i16_sdwa s[40:41], v8, s17 src0_sel:BYTE_0 src1_sel:DWORD
	s_and_saveexec_b64 s[42:43], s[40:41]
	s_xor_b64 s[40:41], exec, s[42:43]
	s_cbranch_execz .LBB286_457
; %bb.454:                              ;   in Loop: Header=BB286_9 Depth=1
	v_cmp_eq_u16_sdwa s[48:49], v8, s46 src0_sel:BYTE_0 src1_sel:DWORD
	s_mov_b64 vcc, -1
                                        ; implicit-def: $sgpr44
	s_and_saveexec_b64 s[42:43], s[48:49]
; %bb.455:                              ;   in Loop: Header=BB286_9 Depth=1
	s_mov_b32 s44, 0x7fc02000
	s_xor_b64 vcc, exec, -1
; %bb.456:                              ;   in Loop: Header=BB286_9 Depth=1
	s_or_b64 exec, exec, s[42:43]
	s_and_b64 vcc, vcc, exec
.LBB286_457:                            ;   in Loop: Header=BB286_9 Depth=1
	s_or_saveexec_b64 s[40:41], s[40:41]
	v_mov_b32_e32 v1, s44
	scratch_store_dword off, v1, s32 offset:420 ; 4-byte Folded Spill
	s_xor_b64 exec, exec, s[40:41]
	s_cbranch_execz .LBB286_459
; %bb.458:                              ;   in Loop: Header=BB286_9 Depth=1
	v_cmp_ne_u16_sdwa s[42:43], v8, v5 src0_sel:BYTE_0 src1_sel:DWORD
	s_andn2_b64 vcc, vcc, exec
	s_and_b64 s[42:43], s[42:43], exec
	v_mov_b32_e32 v1, 0
	s_or_b64 vcc, vcc, s[42:43]
	scratch_store_dword off, v1, s32 offset:420 ; 4-byte Folded Spill
.LBB286_459:                            ;   in Loop: Header=BB286_9 Depth=1
	s_or_b64 exec, exec, s[40:41]
	s_and_saveexec_b64 s[40:41], vcc
	s_cbranch_execz .LBB286_461
; %bb.460:                              ;   in Loop: Header=BB286_9 Depth=1
	v_and_b32_e32 v1, 7, v8
	v_ffbh_u32_e32 v2, v1
	v_min_u32_e32 v6, 32, v2
	v_subrev_u32_e32 v2, 28, v6
	v_bfe_u32 v4, v8, 3, 4
	v_lshlrev_b64 v[2:3], v2, v[8:9]
	v_sub_u32_e32 v3, 29, v6
	v_cmp_eq_u32_e32 vcc, 0, v4
	v_and_b32_e32 v2, 7, v2
	s_nop 0
	v_cndmask_b32_e32 v3, v4, v3, vcc
	v_cndmask_b32_e32 v1, v1, v2, vcc
	v_lshlrev_b32_e32 v2, 8, v8
	v_lshl_add_u32 v3, v3, 10, v34
	v_and_or_b32 v2, v2, s47, v3
	v_lshl_or_b32 v1, v1, 7, v2
	v_cvt_f32_f16_e32 v1, v1
	scratch_store_dword off, v1, s32 offset:420 ; 4-byte Folded Spill
.LBB286_461:                            ;   in Loop: Header=BB286_9 Depth=1
	s_or_b64 exec, exec, s[40:41]
	v_lshrrev_b16_e32 v4, 8, v8
	v_cmp_lt_i16_e32 vcc, s17, v4
	s_mov_b64 s[40:41], 0
                                        ; implicit-def: $sgpr48
	s_and_saveexec_b64 s[42:43], vcc
	s_xor_b64 s[42:43], exec, s[42:43]
	s_cbranch_execz .LBB286_465
; %bb.462:                              ;   in Loop: Header=BB286_9 Depth=1
	v_cmp_eq_u16_e32 vcc, s46, v4
	s_mov_b64 s[40:41], -1
                                        ; implicit-def: $sgpr48
	s_and_saveexec_b64 s[44:45], vcc
; %bb.463:                              ;   in Loop: Header=BB286_9 Depth=1
	s_mov_b32 s48, 0x7fc02000
	s_xor_b64 s[40:41], exec, -1
; %bb.464:                              ;   in Loop: Header=BB286_9 Depth=1
	s_or_b64 exec, exec, s[44:45]
	s_and_b64 s[40:41], s[40:41], exec
.LBB286_465:                            ;   in Loop: Header=BB286_9 Depth=1
	s_or_saveexec_b64 s[42:43], s[42:43]
	v_mov_b32_e32 v1, s48
	scratch_store_dword off, v1, s32 offset:424 ; 4-byte Folded Spill
	s_xor_b64 exec, exec, s[42:43]
	s_cbranch_execz .LBB286_467
; %bb.466:                              ;   in Loop: Header=BB286_9 Depth=1
	v_cmp_ne_u16_e32 vcc, 0, v4
	s_andn2_b64 s[40:41], s[40:41], exec
	s_and_b64 vcc, vcc, exec
	v_mov_b32_e32 v1, 0
	s_or_b64 s[40:41], s[40:41], vcc
	scratch_store_dword off, v1, s32 offset:424 ; 4-byte Folded Spill
.LBB286_467:                            ;   in Loop: Header=BB286_9 Depth=1
	s_or_b64 exec, exec, s[42:43]
	s_and_saveexec_b64 s[42:43], s[40:41]
	s_cbranch_execz .LBB286_469
; %bb.468:                              ;   in Loop: Header=BB286_9 Depth=1
	v_and_b32_e32 v1, 7, v4
	v_ffbh_u32_e32 v2, v1
	v_min_u32_e32 v7, 32, v2
	v_subrev_u32_e32 v2, 28, v7
	v_bfe_u32 v6, v4, 3, 4
	v_lshlrev_b64 v[2:3], v2, v[4:5]
	v_sub_u32_e32 v3, 29, v7
	v_cmp_eq_u32_e32 vcc, 0, v6
	v_and_b32_e32 v2, 7, v2
	s_nop 0
	v_cndmask_b32_e32 v3, v6, v3, vcc
	v_cndmask_b32_e32 v1, v1, v2, vcc
	v_lshlrev_b32_e32 v2, 8, v4
	v_lshl_add_u32 v3, v3, 10, v34
	v_and_or_b32 v2, v2, s47, v3
	v_lshl_or_b32 v1, v1, 7, v2
	v_cvt_f32_f16_e32 v1, v1
	scratch_store_dword off, v1, s32 offset:424 ; 4-byte Folded Spill
.LBB286_469:                            ;   in Loop: Header=BB286_9 Depth=1
	s_or_b64 exec, exec, s[42:43]
	v_lshrrev_b32_e32 v4, 16, v8
	v_cmp_gt_i16_sdwa s[40:41], v4, s17 src0_sel:BYTE_0 src1_sel:DWORD
	s_mov_b64 vcc, 0
                                        ; implicit-def: $sgpr44
	s_and_saveexec_b64 s[42:43], s[40:41]
	s_xor_b64 s[40:41], exec, s[42:43]
	s_cbranch_execnz .LBB286_803
; %bb.470:                              ;   in Loop: Header=BB286_9 Depth=1
	s_or_saveexec_b64 s[40:41], s[40:41]
	v_mov_b32_e32 v1, s44
	s_xor_b64 exec, exec, s[40:41]
	s_cbranch_execnz .LBB286_806
.LBB286_471:                            ;   in Loop: Header=BB286_9 Depth=1
	s_or_b64 exec, exec, s[40:41]
	s_and_saveexec_b64 s[40:41], vcc
	s_cbranch_execz .LBB286_473
.LBB286_472:                            ;   in Loop: Header=BB286_9 Depth=1
	v_bfe_u32 v1, v8, 16, 3
	v_ffbh_u32_e32 v2, v1
	v_min_u32_e32 v7, 32, v2
	v_subrev_u32_e32 v2, 28, v7
	v_bfe_u32 v6, v8, 19, 4
	v_lshlrev_b64 v[2:3], v2, v[4:5]
	v_sub_u32_e32 v3, 29, v7
	v_cmp_eq_u32_e32 vcc, 0, v6
	v_and_b32_e32 v2, 7, v2
	s_nop 0
	v_cndmask_b32_e32 v3, v6, v3, vcc
	v_cndmask_b32_e32 v1, v1, v2, vcc
	v_lshlrev_b32_e32 v2, 8, v4
	v_lshl_add_u32 v3, v3, 10, v34
	v_and_or_b32 v2, v2, s47, v3
	v_lshl_or_b32 v1, v1, 7, v2
	v_cvt_f32_f16_e32 v1, v1
.LBB286_473:                            ;   in Loop: Header=BB286_9 Depth=1
	s_or_b64 exec, exec, s[40:41]
	v_lshrrev_b32_e32 v4, 24, v8
	v_cmp_lt_i16_e32 vcc, s17, v4
	s_mov_b64 s[40:41], 0
                                        ; implicit-def: $sgpr48
	s_and_saveexec_b64 s[42:43], vcc
	s_xor_b64 s[42:43], exec, s[42:43]
	s_cbranch_execnz .LBB286_807
; %bb.474:                              ;   in Loop: Header=BB286_9 Depth=1
	s_or_saveexec_b64 s[42:43], s[42:43]
	v_mov_b32_e32 v2, s48
	s_xor_b64 exec, exec, s[42:43]
	s_cbranch_execnz .LBB286_810
.LBB286_475:                            ;   in Loop: Header=BB286_9 Depth=1
	s_or_b64 exec, exec, s[42:43]
	v_accvgpr_write_b32 a0, v1
	s_and_saveexec_b64 s[42:43], s[40:41]
	s_cbranch_execz .LBB286_477
.LBB286_476:                            ;   in Loop: Header=BB286_9 Depth=1
	v_bfe_u32 v1, v8, 24, 3
	v_ffbh_u32_e32 v2, v1
	v_min_u32_e32 v7, 32, v2
	v_subrev_u32_e32 v2, 28, v7
	v_bfe_u32 v6, v8, 27, 4
	v_lshlrev_b64 v[2:3], v2, v[4:5]
	v_sub_u32_e32 v3, 29, v7
	v_cmp_eq_u32_e32 vcc, 0, v6
	v_and_b32_e32 v2, 7, v2
	s_nop 0
	v_cndmask_b32_e32 v3, v6, v3, vcc
	v_cndmask_b32_e32 v1, v1, v2, vcc
	v_lshlrev_b32_e32 v2, 8, v4
	v_lshl_add_u32 v3, v3, 10, v34
	v_and_or_b32 v2, v2, s47, v3
	v_lshl_or_b32 v1, v1, 7, v2
	v_cvt_f32_f16_e32 v2, v1
.LBB286_477:                            ;   in Loop: Header=BB286_9 Depth=1
	s_or_b64 exec, exec, s[42:43]
	v_accvgpr_write_b32 a1, v2
	v_add_co_u32_e32 v2, vcc, 0x1000, v30
                                        ; implicit-def: $sgpr44
	s_nop 1
	v_addc_co_u32_e32 v3, vcc, 0, v31, vcc
	flat_load_dword v8, v[2:3]
	s_mov_b64 vcc, 0
	s_waitcnt vmcnt(0) lgkmcnt(0)
	v_cmp_gt_i16_sdwa s[40:41], v8, s17 src0_sel:BYTE_0 src1_sel:DWORD
	s_and_saveexec_b64 s[42:43], s[40:41]
	s_xor_b64 s[40:41], exec, s[42:43]
	s_cbranch_execz .LBB286_481
; %bb.478:                              ;   in Loop: Header=BB286_9 Depth=1
	v_cmp_eq_u16_sdwa s[48:49], v8, s46 src0_sel:BYTE_0 src1_sel:DWORD
	s_mov_b64 vcc, -1
                                        ; implicit-def: $sgpr44
	s_and_saveexec_b64 s[42:43], s[48:49]
; %bb.479:                              ;   in Loop: Header=BB286_9 Depth=1
	s_mov_b32 s44, 0x7fc02000
	s_xor_b64 vcc, exec, -1
; %bb.480:                              ;   in Loop: Header=BB286_9 Depth=1
	s_or_b64 exec, exec, s[42:43]
	s_and_b64 vcc, vcc, exec
.LBB286_481:                            ;   in Loop: Header=BB286_9 Depth=1
	s_or_saveexec_b64 s[40:41], s[40:41]
	v_mov_b32_e32 v1, s44
	scratch_store_dword off, v1, s32 offset:428 ; 4-byte Folded Spill
	s_xor_b64 exec, exec, s[40:41]
	s_cbranch_execz .LBB286_483
; %bb.482:                              ;   in Loop: Header=BB286_9 Depth=1
	v_cmp_ne_u16_sdwa s[42:43], v8, v5 src0_sel:BYTE_0 src1_sel:DWORD
	s_andn2_b64 vcc, vcc, exec
	s_and_b64 s[42:43], s[42:43], exec
	v_mov_b32_e32 v1, 0
	s_or_b64 vcc, vcc, s[42:43]
	scratch_store_dword off, v1, s32 offset:428 ; 4-byte Folded Spill
.LBB286_483:                            ;   in Loop: Header=BB286_9 Depth=1
	s_or_b64 exec, exec, s[40:41]
	s_and_saveexec_b64 s[40:41], vcc
	s_cbranch_execz .LBB286_485
; %bb.484:                              ;   in Loop: Header=BB286_9 Depth=1
	v_and_b32_e32 v1, 7, v8
	v_ffbh_u32_e32 v2, v1
	v_min_u32_e32 v6, 32, v2
	v_subrev_u32_e32 v2, 28, v6
	v_bfe_u32 v4, v8, 3, 4
	v_lshlrev_b64 v[2:3], v2, v[8:9]
	v_sub_u32_e32 v3, 29, v6
	v_cmp_eq_u32_e32 vcc, 0, v4
	v_and_b32_e32 v2, 7, v2
	s_nop 0
	v_cndmask_b32_e32 v3, v4, v3, vcc
	v_cndmask_b32_e32 v1, v1, v2, vcc
	v_lshlrev_b32_e32 v2, 8, v8
	v_lshl_add_u32 v3, v3, 10, v34
	v_and_or_b32 v2, v2, s47, v3
	v_lshl_or_b32 v1, v1, 7, v2
	v_cvt_f32_f16_e32 v1, v1
	scratch_store_dword off, v1, s32 offset:428 ; 4-byte Folded Spill
.LBB286_485:                            ;   in Loop: Header=BB286_9 Depth=1
	s_or_b64 exec, exec, s[40:41]
	v_lshrrev_b16_e32 v4, 8, v8
	v_lshl_add_u64 v[32:33], v[30:31], 0, s[22:23]
	v_cmp_lt_i16_e32 vcc, s17, v4
	s_mov_b64 s[40:41], 0
                                        ; implicit-def: $sgpr48
	s_and_saveexec_b64 s[42:43], vcc
	s_xor_b64 s[42:43], exec, s[42:43]
	s_cbranch_execz .LBB286_489
; %bb.486:                              ;   in Loop: Header=BB286_9 Depth=1
	v_cmp_eq_u16_e32 vcc, s46, v4
	s_mov_b64 s[40:41], -1
                                        ; implicit-def: $sgpr48
	s_and_saveexec_b64 s[44:45], vcc
; %bb.487:                              ;   in Loop: Header=BB286_9 Depth=1
	s_mov_b32 s48, 0x7fc02000
	s_xor_b64 s[40:41], exec, -1
; %bb.488:                              ;   in Loop: Header=BB286_9 Depth=1
	s_or_b64 exec, exec, s[44:45]
	s_and_b64 s[40:41], s[40:41], exec
.LBB286_489:                            ;   in Loop: Header=BB286_9 Depth=1
	s_or_saveexec_b64 s[42:43], s[42:43]
	v_mov_b32_e32 v1, s48
	scratch_store_dword off, v1, s32 offset:432 ; 4-byte Folded Spill
	s_xor_b64 exec, exec, s[42:43]
	s_cbranch_execz .LBB286_491
; %bb.490:                              ;   in Loop: Header=BB286_9 Depth=1
	v_cmp_ne_u16_e32 vcc, 0, v4
	s_andn2_b64 s[40:41], s[40:41], exec
	s_and_b64 vcc, vcc, exec
	v_mov_b32_e32 v1, 0
	s_or_b64 s[40:41], s[40:41], vcc
	scratch_store_dword off, v1, s32 offset:432 ; 4-byte Folded Spill
.LBB286_491:                            ;   in Loop: Header=BB286_9 Depth=1
	s_or_b64 exec, exec, s[42:43]
	s_and_saveexec_b64 s[42:43], s[40:41]
	s_cbranch_execz .LBB286_493
; %bb.492:                              ;   in Loop: Header=BB286_9 Depth=1
	v_and_b32_e32 v1, 7, v4
	v_ffbh_u32_e32 v2, v1
	v_min_u32_e32 v7, 32, v2
	v_subrev_u32_e32 v2, 28, v7
	v_bfe_u32 v6, v4, 3, 4
	v_lshlrev_b64 v[2:3], v2, v[4:5]
	v_sub_u32_e32 v3, 29, v7
	v_cmp_eq_u32_e32 vcc, 0, v6
	v_and_b32_e32 v2, 7, v2
	s_nop 0
	v_cndmask_b32_e32 v3, v6, v3, vcc
	v_cndmask_b32_e32 v1, v1, v2, vcc
	v_lshlrev_b32_e32 v2, 8, v4
	v_lshl_add_u32 v3, v3, 10, v34
	v_and_or_b32 v2, v2, s47, v3
	v_lshl_or_b32 v1, v1, 7, v2
	v_cvt_f32_f16_e32 v1, v1
	scratch_store_dword off, v1, s32 offset:432 ; 4-byte Folded Spill
.LBB286_493:                            ;   in Loop: Header=BB286_9 Depth=1
	s_or_b64 exec, exec, s[42:43]
	v_lshrrev_b32_e32 v4, 16, v8
	v_cmp_gt_i16_sdwa s[40:41], v4, s17 src0_sel:BYTE_0 src1_sel:DWORD
	s_mov_b64 vcc, 0
                                        ; implicit-def: $sgpr44
	s_and_saveexec_b64 s[42:43], s[40:41]
	s_xor_b64 s[40:41], exec, s[42:43]
	s_cbranch_execz .LBB286_497
; %bb.494:                              ;   in Loop: Header=BB286_9 Depth=1
	v_cmp_eq_u16_sdwa s[48:49], v4, s46 src0_sel:BYTE_0 src1_sel:DWORD
	s_mov_b64 vcc, -1
                                        ; implicit-def: $sgpr44
	s_and_saveexec_b64 s[42:43], s[48:49]
; %bb.495:                              ;   in Loop: Header=BB286_9 Depth=1
	s_mov_b32 s44, 0x7fc02000
	s_xor_b64 vcc, exec, -1
; %bb.496:                              ;   in Loop: Header=BB286_9 Depth=1
	s_or_b64 exec, exec, s[42:43]
	s_and_b64 vcc, vcc, exec
.LBB286_497:                            ;   in Loop: Header=BB286_9 Depth=1
	s_or_saveexec_b64 s[40:41], s[40:41]
	v_mov_b32_e32 v1, s44
	scratch_store_dword off, v1, s32 offset:436 ; 4-byte Folded Spill
	s_xor_b64 exec, exec, s[40:41]
	s_cbranch_execz .LBB286_499
; %bb.498:                              ;   in Loop: Header=BB286_9 Depth=1
	v_cmp_ne_u16_sdwa s[42:43], v4, v5 src0_sel:BYTE_0 src1_sel:DWORD
	s_andn2_b64 vcc, vcc, exec
	s_and_b64 s[42:43], s[42:43], exec
	v_mov_b32_e32 v1, 0
	s_or_b64 vcc, vcc, s[42:43]
	scratch_store_dword off, v1, s32 offset:436 ; 4-byte Folded Spill
.LBB286_499:                            ;   in Loop: Header=BB286_9 Depth=1
	s_or_b64 exec, exec, s[40:41]
	s_and_saveexec_b64 s[40:41], vcc
	s_cbranch_execz .LBB286_501
; %bb.500:                              ;   in Loop: Header=BB286_9 Depth=1
	v_bfe_u32 v1, v8, 16, 3
	v_ffbh_u32_e32 v2, v1
	v_min_u32_e32 v7, 32, v2
	v_subrev_u32_e32 v2, 28, v7
	v_bfe_u32 v6, v8, 19, 4
	v_lshlrev_b64 v[2:3], v2, v[4:5]
	v_sub_u32_e32 v3, 29, v7
	v_cmp_eq_u32_e32 vcc, 0, v6
	v_and_b32_e32 v2, 7, v2
	s_nop 0
	v_cndmask_b32_e32 v3, v6, v3, vcc
	v_cndmask_b32_e32 v1, v1, v2, vcc
	v_lshlrev_b32_e32 v2, 8, v4
	v_lshl_add_u32 v3, v3, 10, v34
	v_and_or_b32 v2, v2, s47, v3
	v_lshl_or_b32 v1, v1, 7, v2
	v_cvt_f32_f16_e32 v1, v1
	scratch_store_dword off, v1, s32 offset:436 ; 4-byte Folded Spill
.LBB286_501:                            ;   in Loop: Header=BB286_9 Depth=1
	s_or_b64 exec, exec, s[40:41]
	v_lshrrev_b32_e32 v4, 24, v8
	v_cmp_lt_i16_e32 vcc, s17, v4
	s_mov_b64 s[40:41], 0
                                        ; implicit-def: $sgpr48
	s_and_saveexec_b64 s[42:43], vcc
	s_xor_b64 s[42:43], exec, s[42:43]
	s_cbranch_execz .LBB286_505
; %bb.502:                              ;   in Loop: Header=BB286_9 Depth=1
	v_cmp_eq_u16_e32 vcc, s46, v4
	s_mov_b64 s[40:41], -1
                                        ; implicit-def: $sgpr48
	s_and_saveexec_b64 s[44:45], vcc
; %bb.503:                              ;   in Loop: Header=BB286_9 Depth=1
	s_mov_b32 s48, 0x7fc02000
	s_xor_b64 s[40:41], exec, -1
; %bb.504:                              ;   in Loop: Header=BB286_9 Depth=1
	s_or_b64 exec, exec, s[44:45]
	s_and_b64 s[40:41], s[40:41], exec
.LBB286_505:                            ;   in Loop: Header=BB286_9 Depth=1
	s_or_saveexec_b64 s[42:43], s[42:43]
	v_mov_b32_e32 v1, s48
	scratch_store_dword off, v1, s32 offset:440 ; 4-byte Folded Spill
	s_xor_b64 exec, exec, s[42:43]
	s_cbranch_execz .LBB286_507
; %bb.506:                              ;   in Loop: Header=BB286_9 Depth=1
	v_cmp_ne_u16_e32 vcc, 0, v4
	s_andn2_b64 s[40:41], s[40:41], exec
	s_and_b64 vcc, vcc, exec
	v_mov_b32_e32 v1, 0
	s_or_b64 s[40:41], s[40:41], vcc
	scratch_store_dword off, v1, s32 offset:440 ; 4-byte Folded Spill
.LBB286_507:                            ;   in Loop: Header=BB286_9 Depth=1
	s_or_b64 exec, exec, s[42:43]
	s_and_saveexec_b64 s[42:43], s[40:41]
	s_cbranch_execz .LBB286_509
; %bb.508:                              ;   in Loop: Header=BB286_9 Depth=1
	v_bfe_u32 v1, v8, 24, 3
	v_ffbh_u32_e32 v2, v1
	v_min_u32_e32 v7, 32, v2
	v_subrev_u32_e32 v2, 28, v7
	v_bfe_u32 v6, v8, 27, 4
	v_lshlrev_b64 v[2:3], v2, v[4:5]
	v_sub_u32_e32 v3, 29, v7
	v_cmp_eq_u32_e32 vcc, 0, v6
	v_and_b32_e32 v2, 7, v2
	s_nop 0
	v_cndmask_b32_e32 v3, v6, v3, vcc
	v_cndmask_b32_e32 v1, v1, v2, vcc
	v_lshlrev_b32_e32 v2, 8, v4
	v_lshl_add_u32 v3, v3, 10, v34
	v_and_or_b32 v2, v2, s47, v3
	v_lshl_or_b32 v1, v1, 7, v2
	v_cvt_f32_f16_e32 v1, v1
	scratch_store_dword off, v1, s32 offset:440 ; 4-byte Folded Spill
.LBB286_509:                            ;   in Loop: Header=BB286_9 Depth=1
	s_or_b64 exec, exec, s[42:43]
	flat_load_dword v8, v[32:33] offset:8
	s_mov_b64 vcc, 0
                                        ; implicit-def: $sgpr44
	s_waitcnt vmcnt(0) lgkmcnt(0)
	v_cmp_gt_i16_sdwa s[40:41], v8, s17 src0_sel:BYTE_0 src1_sel:DWORD
	s_and_saveexec_b64 s[42:43], s[40:41]
	s_xor_b64 s[40:41], exec, s[42:43]
	s_cbranch_execz .LBB286_513
; %bb.510:                              ;   in Loop: Header=BB286_9 Depth=1
	v_cmp_eq_u16_sdwa s[48:49], v8, s46 src0_sel:BYTE_0 src1_sel:DWORD
	s_mov_b64 vcc, -1
                                        ; implicit-def: $sgpr44
	s_and_saveexec_b64 s[42:43], s[48:49]
; %bb.511:                              ;   in Loop: Header=BB286_9 Depth=1
	s_mov_b32 s44, 0x7fc02000
	s_xor_b64 vcc, exec, -1
; %bb.512:                              ;   in Loop: Header=BB286_9 Depth=1
	s_or_b64 exec, exec, s[42:43]
	s_and_b64 vcc, vcc, exec
.LBB286_513:                            ;   in Loop: Header=BB286_9 Depth=1
	s_or_saveexec_b64 s[40:41], s[40:41]
	v_mov_b32_e32 v1, s44
	scratch_store_dword off, v1, s32 offset:444 ; 4-byte Folded Spill
	s_xor_b64 exec, exec, s[40:41]
	s_cbranch_execz .LBB286_515
; %bb.514:                              ;   in Loop: Header=BB286_9 Depth=1
	v_cmp_ne_u16_sdwa s[42:43], v8, v5 src0_sel:BYTE_0 src1_sel:DWORD
	s_andn2_b64 vcc, vcc, exec
	s_and_b64 s[42:43], s[42:43], exec
	v_mov_b32_e32 v1, 0
	s_or_b64 vcc, vcc, s[42:43]
	scratch_store_dword off, v1, s32 offset:444 ; 4-byte Folded Spill
.LBB286_515:                            ;   in Loop: Header=BB286_9 Depth=1
	s_or_b64 exec, exec, s[40:41]
	s_and_saveexec_b64 s[40:41], vcc
	s_cbranch_execz .LBB286_517
; %bb.516:                              ;   in Loop: Header=BB286_9 Depth=1
	v_and_b32_e32 v1, 7, v8
	v_ffbh_u32_e32 v2, v1
	v_min_u32_e32 v6, 32, v2
	v_subrev_u32_e32 v2, 28, v6
	v_bfe_u32 v4, v8, 3, 4
	v_lshlrev_b64 v[2:3], v2, v[8:9]
	v_sub_u32_e32 v3, 29, v6
	v_cmp_eq_u32_e32 vcc, 0, v4
	v_and_b32_e32 v2, 7, v2
	s_nop 0
	v_cndmask_b32_e32 v3, v4, v3, vcc
	v_cndmask_b32_e32 v1, v1, v2, vcc
	v_lshlrev_b32_e32 v2, 8, v8
	v_lshl_add_u32 v3, v3, 10, v34
	v_and_or_b32 v2, v2, s47, v3
	v_lshl_or_b32 v1, v1, 7, v2
	v_cvt_f32_f16_e32 v1, v1
	scratch_store_dword off, v1, s32 offset:444 ; 4-byte Folded Spill
.LBB286_517:                            ;   in Loop: Header=BB286_9 Depth=1
	s_or_b64 exec, exec, s[40:41]
	v_lshrrev_b16_e32 v4, 8, v8
	v_cmp_lt_i16_e32 vcc, s17, v4
	s_mov_b64 s[40:41], 0
                                        ; implicit-def: $sgpr48
	s_and_saveexec_b64 s[42:43], vcc
	s_xor_b64 s[42:43], exec, s[42:43]
	s_cbranch_execz .LBB286_521
; %bb.518:                              ;   in Loop: Header=BB286_9 Depth=1
	v_cmp_eq_u16_e32 vcc, s46, v4
	s_mov_b64 s[40:41], -1
                                        ; implicit-def: $sgpr48
	s_and_saveexec_b64 s[44:45], vcc
; %bb.519:                              ;   in Loop: Header=BB286_9 Depth=1
	s_mov_b32 s48, 0x7fc02000
	s_xor_b64 s[40:41], exec, -1
; %bb.520:                              ;   in Loop: Header=BB286_9 Depth=1
	s_or_b64 exec, exec, s[44:45]
	s_and_b64 s[40:41], s[40:41], exec
.LBB286_521:                            ;   in Loop: Header=BB286_9 Depth=1
	s_or_saveexec_b64 s[42:43], s[42:43]
	v_mov_b32_e32 v1, s48
	scratch_store_dword off, v1, s32 offset:448 ; 4-byte Folded Spill
	s_xor_b64 exec, exec, s[42:43]
	s_cbranch_execz .LBB286_523
; %bb.522:                              ;   in Loop: Header=BB286_9 Depth=1
	v_cmp_ne_u16_e32 vcc, 0, v4
	s_andn2_b64 s[40:41], s[40:41], exec
	s_and_b64 vcc, vcc, exec
	v_mov_b32_e32 v1, 0
	s_or_b64 s[40:41], s[40:41], vcc
	scratch_store_dword off, v1, s32 offset:448 ; 4-byte Folded Spill
.LBB286_523:                            ;   in Loop: Header=BB286_9 Depth=1
	s_or_b64 exec, exec, s[42:43]
	s_and_saveexec_b64 s[42:43], s[40:41]
	s_cbranch_execz .LBB286_525
; %bb.524:                              ;   in Loop: Header=BB286_9 Depth=1
	v_and_b32_e32 v1, 7, v4
	v_ffbh_u32_e32 v2, v1
	v_min_u32_e32 v7, 32, v2
	v_subrev_u32_e32 v2, 28, v7
	v_bfe_u32 v6, v4, 3, 4
	v_lshlrev_b64 v[2:3], v2, v[4:5]
	v_sub_u32_e32 v3, 29, v7
	v_cmp_eq_u32_e32 vcc, 0, v6
	v_and_b32_e32 v2, 7, v2
	s_nop 0
	v_cndmask_b32_e32 v3, v6, v3, vcc
	v_cndmask_b32_e32 v1, v1, v2, vcc
	v_lshlrev_b32_e32 v2, 8, v4
	v_lshl_add_u32 v3, v3, 10, v34
	v_and_or_b32 v2, v2, s47, v3
	v_lshl_or_b32 v1, v1, 7, v2
	v_cvt_f32_f16_e32 v1, v1
	scratch_store_dword off, v1, s32 offset:448 ; 4-byte Folded Spill
.LBB286_525:                            ;   in Loop: Header=BB286_9 Depth=1
	s_or_b64 exec, exec, s[42:43]
	v_lshrrev_b32_e32 v4, 16, v8
	v_cmp_gt_i16_sdwa s[40:41], v4, s17 src0_sel:BYTE_0 src1_sel:DWORD
	s_mov_b64 vcc, 0
                                        ; implicit-def: $sgpr44
	s_and_saveexec_b64 s[42:43], s[40:41]
	s_xor_b64 s[40:41], exec, s[42:43]
	s_cbranch_execnz .LBB286_811
; %bb.526:                              ;   in Loop: Header=BB286_9 Depth=1
	s_or_saveexec_b64 s[40:41], s[40:41]
	v_mov_b32_e32 v1, s44
	s_xor_b64 exec, exec, s[40:41]
	s_cbranch_execnz .LBB286_814
.LBB286_527:                            ;   in Loop: Header=BB286_9 Depth=1
	s_or_b64 exec, exec, s[40:41]
	s_and_saveexec_b64 s[40:41], vcc
	s_cbranch_execz .LBB286_529
.LBB286_528:                            ;   in Loop: Header=BB286_9 Depth=1
	v_bfe_u32 v1, v8, 16, 3
	v_ffbh_u32_e32 v2, v1
	v_min_u32_e32 v7, 32, v2
	v_subrev_u32_e32 v2, 28, v7
	v_bfe_u32 v6, v8, 19, 4
	v_lshlrev_b64 v[2:3], v2, v[4:5]
	v_sub_u32_e32 v3, 29, v7
	v_cmp_eq_u32_e32 vcc, 0, v6
	v_and_b32_e32 v2, 7, v2
	s_nop 0
	v_cndmask_b32_e32 v3, v6, v3, vcc
	v_cndmask_b32_e32 v1, v1, v2, vcc
	v_lshlrev_b32_e32 v2, 8, v4
	v_lshl_add_u32 v3, v3, 10, v34
	v_and_or_b32 v2, v2, s47, v3
	v_lshl_or_b32 v1, v1, 7, v2
	v_cvt_f32_f16_e32 v1, v1
.LBB286_529:                            ;   in Loop: Header=BB286_9 Depth=1
	s_or_b64 exec, exec, s[40:41]
	v_lshrrev_b32_e32 v4, 24, v8
	v_cmp_lt_i16_e32 vcc, s17, v4
	s_mov_b64 s[40:41], 0
                                        ; implicit-def: $sgpr48
	s_and_saveexec_b64 s[42:43], vcc
	s_xor_b64 s[42:43], exec, s[42:43]
	s_cbranch_execnz .LBB286_815
; %bb.530:                              ;   in Loop: Header=BB286_9 Depth=1
	s_or_saveexec_b64 s[42:43], s[42:43]
	v_mov_b32_e32 v2, s48
	s_xor_b64 exec, exec, s[42:43]
	s_cbranch_execnz .LBB286_818
.LBB286_531:                            ;   in Loop: Header=BB286_9 Depth=1
	s_or_b64 exec, exec, s[42:43]
	v_accvgpr_write_b32 a44, v1
	s_and_saveexec_b64 s[42:43], s[40:41]
	s_cbranch_execz .LBB286_533
.LBB286_532:                            ;   in Loop: Header=BB286_9 Depth=1
	v_bfe_u32 v1, v8, 24, 3
	v_ffbh_u32_e32 v2, v1
	v_min_u32_e32 v7, 32, v2
	v_subrev_u32_e32 v2, 28, v7
	v_bfe_u32 v6, v8, 27, 4
	v_lshlrev_b64 v[2:3], v2, v[4:5]
	v_sub_u32_e32 v3, 29, v7
	v_cmp_eq_u32_e32 vcc, 0, v6
	v_and_b32_e32 v2, 7, v2
	s_nop 0
	v_cndmask_b32_e32 v3, v6, v3, vcc
	v_cndmask_b32_e32 v1, v1, v2, vcc
	v_lshlrev_b32_e32 v2, 8, v4
	v_lshl_add_u32 v3, v3, 10, v34
	v_and_or_b32 v2, v2, s47, v3
	v_lshl_or_b32 v1, v1, 7, v2
	v_cvt_f32_f16_e32 v2, v1
.LBB286_533:                            ;   in Loop: Header=BB286_9 Depth=1
	s_or_b64 exec, exec, s[42:43]
	v_accvgpr_write_b32 a45, v2
	v_add_co_u32_e32 v2, vcc, 0x1000, v30
                                        ; implicit-def: $sgpr44
	s_nop 1
	v_addc_co_u32_e32 v3, vcc, 0, v31, vcc
	flat_load_dword v8, v[2:3] offset:512
	s_mov_b64 vcc, 0
	s_waitcnt vmcnt(0) lgkmcnt(0)
	v_cmp_gt_i16_sdwa s[40:41], v8, s17 src0_sel:BYTE_0 src1_sel:DWORD
	s_and_saveexec_b64 s[42:43], s[40:41]
	s_xor_b64 s[40:41], exec, s[42:43]
	s_cbranch_execz .LBB286_537
; %bb.534:                              ;   in Loop: Header=BB286_9 Depth=1
	v_cmp_eq_u16_sdwa s[48:49], v8, s46 src0_sel:BYTE_0 src1_sel:DWORD
	s_mov_b64 vcc, -1
                                        ; implicit-def: $sgpr44
	s_and_saveexec_b64 s[42:43], s[48:49]
; %bb.535:                              ;   in Loop: Header=BB286_9 Depth=1
	s_mov_b32 s44, 0x7fc02000
	s_xor_b64 vcc, exec, -1
; %bb.536:                              ;   in Loop: Header=BB286_9 Depth=1
	s_or_b64 exec, exec, s[42:43]
	s_and_b64 vcc, vcc, exec
.LBB286_537:                            ;   in Loop: Header=BB286_9 Depth=1
	s_or_saveexec_b64 s[40:41], s[40:41]
	v_mov_b32_e32 v1, s44
	scratch_store_dword off, v1, s32 offset:452 ; 4-byte Folded Spill
	s_xor_b64 exec, exec, s[40:41]
	s_cbranch_execz .LBB286_539
; %bb.538:                              ;   in Loop: Header=BB286_9 Depth=1
	v_cmp_ne_u16_sdwa s[42:43], v8, v5 src0_sel:BYTE_0 src1_sel:DWORD
	s_andn2_b64 vcc, vcc, exec
	s_and_b64 s[42:43], s[42:43], exec
	v_mov_b32_e32 v1, 0
	s_or_b64 vcc, vcc, s[42:43]
	scratch_store_dword off, v1, s32 offset:452 ; 4-byte Folded Spill
.LBB286_539:                            ;   in Loop: Header=BB286_9 Depth=1
	s_or_b64 exec, exec, s[40:41]
	s_and_saveexec_b64 s[40:41], vcc
	s_cbranch_execz .LBB286_541
; %bb.540:                              ;   in Loop: Header=BB286_9 Depth=1
	v_and_b32_e32 v1, 7, v8
	v_ffbh_u32_e32 v2, v1
	v_min_u32_e32 v6, 32, v2
	v_subrev_u32_e32 v2, 28, v6
	v_bfe_u32 v4, v8, 3, 4
	v_lshlrev_b64 v[2:3], v2, v[8:9]
	v_sub_u32_e32 v3, 29, v6
	v_cmp_eq_u32_e32 vcc, 0, v4
	v_and_b32_e32 v2, 7, v2
	s_nop 0
	v_cndmask_b32_e32 v3, v4, v3, vcc
	v_cndmask_b32_e32 v1, v1, v2, vcc
	v_lshlrev_b32_e32 v2, 8, v8
	v_lshl_add_u32 v3, v3, 10, v34
	v_and_or_b32 v2, v2, s47, v3
	v_lshl_or_b32 v1, v1, 7, v2
	v_cvt_f32_f16_e32 v1, v1
	scratch_store_dword off, v1, s32 offset:452 ; 4-byte Folded Spill
.LBB286_541:                            ;   in Loop: Header=BB286_9 Depth=1
	s_or_b64 exec, exec, s[40:41]
	v_lshrrev_b16_e32 v4, 8, v8
	v_lshl_add_u64 v[32:33], v[30:31], 0, s[24:25]
	v_cmp_lt_i16_e32 vcc, s17, v4
	s_mov_b64 s[40:41], 0
                                        ; implicit-def: $sgpr48
	s_and_saveexec_b64 s[42:43], vcc
	s_xor_b64 s[42:43], exec, s[42:43]
	s_cbranch_execz .LBB286_545
; %bb.542:                              ;   in Loop: Header=BB286_9 Depth=1
	v_cmp_eq_u16_e32 vcc, s46, v4
	s_mov_b64 s[40:41], -1
                                        ; implicit-def: $sgpr48
	s_and_saveexec_b64 s[44:45], vcc
; %bb.543:                              ;   in Loop: Header=BB286_9 Depth=1
	s_mov_b32 s48, 0x7fc02000
	s_xor_b64 s[40:41], exec, -1
; %bb.544:                              ;   in Loop: Header=BB286_9 Depth=1
	s_or_b64 exec, exec, s[44:45]
	s_and_b64 s[40:41], s[40:41], exec
.LBB286_545:                            ;   in Loop: Header=BB286_9 Depth=1
	s_or_saveexec_b64 s[42:43], s[42:43]
	v_mov_b32_e32 v1, s48
	scratch_store_dword off, v1, s32 offset:456 ; 4-byte Folded Spill
	s_xor_b64 exec, exec, s[42:43]
	s_cbranch_execz .LBB286_547
; %bb.546:                              ;   in Loop: Header=BB286_9 Depth=1
	v_cmp_ne_u16_e32 vcc, 0, v4
	s_andn2_b64 s[40:41], s[40:41], exec
	s_and_b64 vcc, vcc, exec
	v_mov_b32_e32 v1, 0
	s_or_b64 s[40:41], s[40:41], vcc
	scratch_store_dword off, v1, s32 offset:456 ; 4-byte Folded Spill
.LBB286_547:                            ;   in Loop: Header=BB286_9 Depth=1
	s_or_b64 exec, exec, s[42:43]
	s_and_saveexec_b64 s[42:43], s[40:41]
	s_cbranch_execz .LBB286_549
; %bb.548:                              ;   in Loop: Header=BB286_9 Depth=1
	v_and_b32_e32 v1, 7, v4
	v_ffbh_u32_e32 v2, v1
	v_min_u32_e32 v7, 32, v2
	v_subrev_u32_e32 v2, 28, v7
	v_bfe_u32 v6, v4, 3, 4
	v_lshlrev_b64 v[2:3], v2, v[4:5]
	v_sub_u32_e32 v3, 29, v7
	v_cmp_eq_u32_e32 vcc, 0, v6
	v_and_b32_e32 v2, 7, v2
	s_nop 0
	v_cndmask_b32_e32 v3, v6, v3, vcc
	v_cndmask_b32_e32 v1, v1, v2, vcc
	v_lshlrev_b32_e32 v2, 8, v4
	v_lshl_add_u32 v3, v3, 10, v34
	v_and_or_b32 v2, v2, s47, v3
	v_lshl_or_b32 v1, v1, 7, v2
	v_cvt_f32_f16_e32 v1, v1
	scratch_store_dword off, v1, s32 offset:456 ; 4-byte Folded Spill
.LBB286_549:                            ;   in Loop: Header=BB286_9 Depth=1
	s_or_b64 exec, exec, s[42:43]
	v_lshrrev_b32_e32 v4, 16, v8
	v_cmp_gt_i16_sdwa s[40:41], v4, s17 src0_sel:BYTE_0 src1_sel:DWORD
	s_mov_b64 vcc, 0
                                        ; implicit-def: $sgpr44
	s_and_saveexec_b64 s[42:43], s[40:41]
	s_xor_b64 s[40:41], exec, s[42:43]
	s_cbranch_execnz .LBB286_819
; %bb.550:                              ;   in Loop: Header=BB286_9 Depth=1
	s_or_saveexec_b64 s[40:41], s[40:41]
	v_mov_b32_e32 v28, s44
	s_xor_b64 exec, exec, s[40:41]
	s_cbranch_execnz .LBB286_822
.LBB286_551:                            ;   in Loop: Header=BB286_9 Depth=1
	s_or_b64 exec, exec, s[40:41]
	s_and_saveexec_b64 s[40:41], vcc
	s_cbranch_execz .LBB286_553
.LBB286_552:                            ;   in Loop: Header=BB286_9 Depth=1
	v_bfe_u32 v1, v8, 16, 3
	v_ffbh_u32_e32 v6, v1
	v_min_u32_e32 v2, 32, v6
	v_subrev_u32_e32 v6, 28, v2
	v_bfe_u32 v3, v8, 19, 4
	v_lshlrev_b64 v[6:7], v6, v[4:5]
	v_sub_u32_e32 v7, 29, v2
	v_cmp_eq_u32_e32 vcc, 0, v3
	v_and_b32_e32 v6, 7, v6
	v_lshlrev_b32_e32 v4, 8, v4
	v_cndmask_b32_e32 v3, v3, v7, vcc
	v_lshl_add_u32 v3, v3, 10, v34
	v_cndmask_b32_e32 v1, v1, v6, vcc
	v_and_or_b32 v3, v4, s47, v3
	v_lshl_or_b32 v1, v1, 7, v3
	v_cvt_f32_f16_e32 v28, v1
.LBB286_553:                            ;   in Loop: Header=BB286_9 Depth=1
	s_or_b64 exec, exec, s[40:41]
	v_lshrrev_b32_e32 v4, 24, v8
	v_cmp_lt_i16_e32 vcc, s17, v4
	s_mov_b64 s[40:41], 0
                                        ; implicit-def: $sgpr48
	s_and_saveexec_b64 s[42:43], vcc
	s_xor_b64 s[42:43], exec, s[42:43]
	s_cbranch_execnz .LBB286_823
; %bb.554:                              ;   in Loop: Header=BB286_9 Depth=1
	s_or_saveexec_b64 s[42:43], s[42:43]
	v_mov_b32_e32 v59, s48
	s_xor_b64 exec, exec, s[42:43]
	s_cbranch_execnz .LBB286_826
.LBB286_555:                            ;   in Loop: Header=BB286_9 Depth=1
	s_or_b64 exec, exec, s[42:43]
	s_and_saveexec_b64 s[42:43], s[40:41]
	s_cbranch_execz .LBB286_557
.LBB286_556:                            ;   in Loop: Header=BB286_9 Depth=1
	v_bfe_u32 v1, v8, 24, 3
	v_ffbh_u32_e32 v6, v1
	v_bfe_u32 v3, v8, 27, 4
	v_min_u32_e32 v8, 32, v6
	v_subrev_u32_e32 v6, 28, v8
	v_lshlrev_b64 v[6:7], v6, v[4:5]
	v_sub_u32_e32 v7, 29, v8
	v_cmp_eq_u32_e32 vcc, 0, v3
	v_and_b32_e32 v6, 7, v6
	v_lshlrev_b32_e32 v4, 8, v4
	v_cndmask_b32_e32 v3, v3, v7, vcc
	v_lshl_add_u32 v3, v3, 10, v34
	v_cndmask_b32_e32 v1, v1, v6, vcc
	v_and_or_b32 v3, v4, s47, v3
	v_lshl_or_b32 v1, v1, 7, v3
	v_cvt_f32_f16_e32 v59, v1
.LBB286_557:                            ;   in Loop: Header=BB286_9 Depth=1
	s_or_b64 exec, exec, s[42:43]
	flat_load_dword v8, v[32:33] offset:8
	s_mov_b64 vcc, 0
                                        ; implicit-def: $sgpr44
	s_waitcnt vmcnt(0) lgkmcnt(0)
	v_cmp_gt_i16_sdwa s[40:41], v8, s17 src0_sel:BYTE_0 src1_sel:DWORD
	s_and_saveexec_b64 s[42:43], s[40:41]
	s_xor_b64 s[40:41], exec, s[42:43]
	s_cbranch_execnz .LBB286_827
; %bb.558:                              ;   in Loop: Header=BB286_9 Depth=1
	s_or_saveexec_b64 s[40:41], s[40:41]
	v_mov_b32_e32 v60, s44
	s_xor_b64 exec, exec, s[40:41]
	s_cbranch_execnz .LBB286_830
.LBB286_559:                            ;   in Loop: Header=BB286_9 Depth=1
	s_or_b64 exec, exec, s[40:41]
	s_and_saveexec_b64 s[40:41], vcc
	s_cbranch_execz .LBB286_561
.LBB286_560:                            ;   in Loop: Header=BB286_9 Depth=1
	v_and_b32_e32 v1, 7, v8
	v_ffbh_u32_e32 v4, v1
	v_bfe_u32 v3, v8, 3, 4
	v_min_u32_e32 v4, 32, v4
	v_subrev_u32_e32 v6, 28, v4
	v_sub_u32_e32 v4, 29, v4
	v_cmp_eq_u32_e32 vcc, 0, v3
	v_lshlrev_b64 v[6:7], v6, v[8:9]
	v_and_b32_e32 v6, 7, v6
	v_cndmask_b32_e32 v3, v3, v4, vcc
	v_lshlrev_b32_e32 v4, 8, v8
	v_lshl_add_u32 v3, v3, 10, v34
	v_cndmask_b32_e32 v1, v1, v6, vcc
	v_and_or_b32 v3, v4, s47, v3
	v_lshl_or_b32 v1, v1, 7, v3
	v_cvt_f32_f16_e32 v60, v1
.LBB286_561:                            ;   in Loop: Header=BB286_9 Depth=1
	s_or_b64 exec, exec, s[40:41]
	v_lshrrev_b16_e32 v4, 8, v8
	v_cmp_lt_i16_e32 vcc, s17, v4
	s_mov_b64 s[40:41], 0
                                        ; implicit-def: $sgpr48
	s_and_saveexec_b64 s[42:43], vcc
	s_xor_b64 s[42:43], exec, s[42:43]
	s_cbranch_execnz .LBB286_831
; %bb.562:                              ;   in Loop: Header=BB286_9 Depth=1
	s_or_saveexec_b64 s[42:43], s[42:43]
	v_mov_b32_e32 v40, s48
	s_xor_b64 exec, exec, s[42:43]
	s_cbranch_execnz .LBB286_834
.LBB286_563:                            ;   in Loop: Header=BB286_9 Depth=1
	s_or_b64 exec, exec, s[42:43]
	s_and_saveexec_b64 s[42:43], s[40:41]
	s_cbranch_execz .LBB286_565
.LBB286_564:                            ;   in Loop: Header=BB286_9 Depth=1
	v_and_b32_e32 v1, 7, v4
	v_ffbh_u32_e32 v6, v1
	v_min_u32_e32 v2, 32, v6
	v_subrev_u32_e32 v6, 28, v2
	v_bfe_u32 v3, v4, 3, 4
	v_lshlrev_b64 v[6:7], v6, v[4:5]
	v_sub_u32_e32 v7, 29, v2
	v_cmp_eq_u32_e32 vcc, 0, v3
	v_and_b32_e32 v6, 7, v6
	v_lshlrev_b32_e32 v4, 8, v4
	v_cndmask_b32_e32 v3, v3, v7, vcc
	v_lshl_add_u32 v3, v3, 10, v34
	v_cndmask_b32_e32 v1, v1, v6, vcc
	v_and_or_b32 v3, v4, s47, v3
	v_lshl_or_b32 v1, v1, 7, v3
	v_cvt_f32_f16_e32 v40, v1
.LBB286_565:                            ;   in Loop: Header=BB286_9 Depth=1
	s_or_b64 exec, exec, s[42:43]
	v_lshrrev_b32_e32 v4, 16, v8
	v_cmp_gt_i16_sdwa s[40:41], v4, s17 src0_sel:BYTE_0 src1_sel:DWORD
	s_mov_b64 vcc, 0
                                        ; implicit-def: $sgpr44
	s_and_saveexec_b64 s[42:43], s[40:41]
	s_xor_b64 s[40:41], exec, s[42:43]
	s_cbranch_execnz .LBB286_835
; %bb.566:                              ;   in Loop: Header=BB286_9 Depth=1
	s_or_saveexec_b64 s[40:41], s[40:41]
	v_mov_b32_e32 v13, s44
	s_xor_b64 exec, exec, s[40:41]
	s_cbranch_execnz .LBB286_838
.LBB286_567:                            ;   in Loop: Header=BB286_9 Depth=1
	s_or_b64 exec, exec, s[40:41]
	s_and_saveexec_b64 s[40:41], vcc
	s_cbranch_execz .LBB286_569
.LBB286_568:                            ;   in Loop: Header=BB286_9 Depth=1
	v_bfe_u32 v1, v8, 16, 3
	v_ffbh_u32_e32 v6, v1
	v_min_u32_e32 v2, 32, v6
	v_subrev_u32_e32 v6, 28, v2
	v_bfe_u32 v3, v8, 19, 4
	v_lshlrev_b64 v[6:7], v6, v[4:5]
	v_sub_u32_e32 v7, 29, v2
	v_cmp_eq_u32_e32 vcc, 0, v3
	v_and_b32_e32 v6, 7, v6
	v_lshlrev_b32_e32 v4, 8, v4
	v_cndmask_b32_e32 v3, v3, v7, vcc
	v_lshl_add_u32 v3, v3, 10, v34
	v_cndmask_b32_e32 v1, v1, v6, vcc
	v_and_or_b32 v3, v4, s47, v3
	v_lshl_or_b32 v1, v1, 7, v3
	v_cvt_f32_f16_e32 v13, v1
.LBB286_569:                            ;   in Loop: Header=BB286_9 Depth=1
	s_or_b64 exec, exec, s[40:41]
	v_lshrrev_b32_e32 v4, 24, v8
	v_cmp_lt_i16_e32 vcc, s17, v4
	s_mov_b64 s[40:41], 0
                                        ; implicit-def: $sgpr48
	s_and_saveexec_b64 s[42:43], vcc
	s_xor_b64 s[42:43], exec, s[42:43]
	s_cbranch_execnz .LBB286_839
; %bb.570:                              ;   in Loop: Header=BB286_9 Depth=1
	s_or_saveexec_b64 s[42:43], s[42:43]
	v_mov_b32_e32 v2, s48
	s_xor_b64 exec, exec, s[42:43]
	s_cbranch_execnz .LBB286_842
.LBB286_571:                            ;   in Loop: Header=BB286_9 Depth=1
	s_or_b64 exec, exec, s[42:43]
	s_and_saveexec_b64 s[42:43], s[40:41]
	s_cbranch_execz .LBB286_573
.LBB286_572:                            ;   in Loop: Header=BB286_9 Depth=1
	v_bfe_u32 v1, v8, 24, 3
	v_ffbh_u32_e32 v6, v1
	v_bfe_u32 v3, v8, 27, 4
	v_min_u32_e32 v8, 32, v6
	v_subrev_u32_e32 v6, 28, v8
	v_lshlrev_b64 v[6:7], v6, v[4:5]
	v_sub_u32_e32 v7, 29, v8
	v_cmp_eq_u32_e32 vcc, 0, v3
	v_and_b32_e32 v6, 7, v6
	v_lshlrev_b32_e32 v4, 8, v4
	v_cndmask_b32_e32 v3, v3, v7, vcc
	v_lshl_add_u32 v3, v3, 10, v34
	v_cndmask_b32_e32 v1, v1, v6, vcc
	v_and_or_b32 v3, v4, s47, v3
	v_lshl_or_b32 v1, v1, 7, v3
	v_cvt_f32_f16_e32 v2, v1
.LBB286_573:                            ;   in Loop: Header=BB286_9 Depth=1
	s_or_b64 exec, exec, s[42:43]
	v_add_co_u32_e32 v6, vcc, 0x1000, v30
                                        ; implicit-def: $sgpr44
	s_nop 1
	v_addc_co_u32_e32 v7, vcc, 0, v31, vcc
	flat_load_dword v8, v[6:7] offset:1024
	s_mov_b64 vcc, 0
	s_waitcnt vmcnt(0) lgkmcnt(0)
	v_cmp_gt_i16_sdwa s[40:41], v8, s17 src0_sel:BYTE_0 src1_sel:DWORD
	s_and_saveexec_b64 s[42:43], s[40:41]
	s_xor_b64 s[40:41], exec, s[42:43]
	s_cbranch_execnz .LBB286_843
; %bb.574:                              ;   in Loop: Header=BB286_9 Depth=1
	s_or_saveexec_b64 s[40:41], s[40:41]
	v_mov_b32_e32 v20, s44
	s_xor_b64 exec, exec, s[40:41]
	s_cbranch_execnz .LBB286_846
.LBB286_575:                            ;   in Loop: Header=BB286_9 Depth=1
	s_or_b64 exec, exec, s[40:41]
	s_and_saveexec_b64 s[40:41], vcc
	s_cbranch_execz .LBB286_577
.LBB286_576:                            ;   in Loop: Header=BB286_9 Depth=1
	v_and_b32_e32 v1, 7, v8
	v_ffbh_u32_e32 v4, v1
	v_bfe_u32 v3, v8, 3, 4
	v_min_u32_e32 v4, 32, v4
	v_subrev_u32_e32 v6, 28, v4
	v_sub_u32_e32 v4, 29, v4
	v_cmp_eq_u32_e32 vcc, 0, v3
	v_lshlrev_b64 v[6:7], v6, v[8:9]
	v_and_b32_e32 v6, 7, v6
	v_cndmask_b32_e32 v3, v3, v4, vcc
	v_lshlrev_b32_e32 v4, 8, v8
	v_lshl_add_u32 v3, v3, 10, v34
	v_cndmask_b32_e32 v1, v1, v6, vcc
	v_and_or_b32 v3, v4, s47, v3
	v_lshl_or_b32 v1, v1, 7, v3
	v_cvt_f32_f16_e32 v20, v1
.LBB286_577:                            ;   in Loop: Header=BB286_9 Depth=1
	s_or_b64 exec, exec, s[40:41]
	v_lshrrev_b16_e32 v4, 8, v8
	v_lshl_add_u64 v[32:33], v[30:31], 0, s[26:27]
	v_cmp_lt_i16_e32 vcc, s17, v4
	s_mov_b64 s[40:41], 0
                                        ; implicit-def: $sgpr48
	s_and_saveexec_b64 s[42:43], vcc
	s_xor_b64 s[42:43], exec, s[42:43]
	s_cbranch_execnz .LBB286_847
; %bb.578:                              ;   in Loop: Header=BB286_9 Depth=1
	s_or_saveexec_b64 s[42:43], s[42:43]
	v_mov_b32_e32 v24, s48
	s_xor_b64 exec, exec, s[42:43]
	s_cbranch_execnz .LBB286_850
.LBB286_579:                            ;   in Loop: Header=BB286_9 Depth=1
	s_or_b64 exec, exec, s[42:43]
	s_and_saveexec_b64 s[42:43], s[40:41]
	s_cbranch_execz .LBB286_581
.LBB286_580:                            ;   in Loop: Header=BB286_9 Depth=1
	v_and_b32_e32 v1, 7, v4
	v_ffbh_u32_e32 v6, v1
	v_min_u32_e32 v10, 32, v6
	v_subrev_u32_e32 v6, 28, v10
	v_bfe_u32 v3, v4, 3, 4
	v_lshlrev_b64 v[6:7], v6, v[4:5]
	v_sub_u32_e32 v7, 29, v10
	v_cmp_eq_u32_e32 vcc, 0, v3
	v_and_b32_e32 v6, 7, v6
	v_lshlrev_b32_e32 v4, 8, v4
	v_cndmask_b32_e32 v3, v3, v7, vcc
	v_lshl_add_u32 v3, v3, 10, v34
	v_cndmask_b32_e32 v1, v1, v6, vcc
	v_and_or_b32 v3, v4, s47, v3
	v_lshl_or_b32 v1, v1, 7, v3
	v_cvt_f32_f16_e32 v24, v1
.LBB286_581:                            ;   in Loop: Header=BB286_9 Depth=1
	s_or_b64 exec, exec, s[42:43]
	v_lshrrev_b32_e32 v4, 16, v8
	v_cmp_gt_i16_sdwa s[40:41], v4, s17 src0_sel:BYTE_0 src1_sel:DWORD
	s_mov_b64 vcc, 0
                                        ; implicit-def: $sgpr44
	s_and_saveexec_b64 s[42:43], s[40:41]
	s_xor_b64 s[40:41], exec, s[42:43]
	s_cbranch_execnz .LBB286_851
; %bb.582:                              ;   in Loop: Header=BB286_9 Depth=1
	s_or_saveexec_b64 s[40:41], s[40:41]
	v_mov_b32_e32 v55, s44
	s_xor_b64 exec, exec, s[40:41]
	s_cbranch_execnz .LBB286_854
.LBB286_583:                            ;   in Loop: Header=BB286_9 Depth=1
	s_or_b64 exec, exec, s[40:41]
	s_and_saveexec_b64 s[40:41], vcc
	s_cbranch_execz .LBB286_585
.LBB286_584:                            ;   in Loop: Header=BB286_9 Depth=1
	v_bfe_u32 v1, v8, 16, 3
	v_ffbh_u32_e32 v6, v1
	v_min_u32_e32 v10, 32, v6
	v_subrev_u32_e32 v6, 28, v10
	v_bfe_u32 v3, v8, 19, 4
	v_lshlrev_b64 v[6:7], v6, v[4:5]
	v_sub_u32_e32 v7, 29, v10
	v_cmp_eq_u32_e32 vcc, 0, v3
	v_and_b32_e32 v6, 7, v6
	v_lshlrev_b32_e32 v4, 8, v4
	v_cndmask_b32_e32 v3, v3, v7, vcc
	v_lshl_add_u32 v3, v3, 10, v34
	v_cndmask_b32_e32 v1, v1, v6, vcc
	v_and_or_b32 v3, v4, s47, v3
	v_lshl_or_b32 v1, v1, 7, v3
	v_cvt_f32_f16_e32 v55, v1
.LBB286_585:                            ;   in Loop: Header=BB286_9 Depth=1
	s_or_b64 exec, exec, s[40:41]
	v_lshrrev_b32_e32 v4, 24, v8
	v_cmp_lt_i16_e32 vcc, s17, v4
	s_mov_b64 s[40:41], 0
                                        ; implicit-def: $sgpr48
	s_and_saveexec_b64 s[42:43], vcc
	s_xor_b64 s[42:43], exec, s[42:43]
	s_cbranch_execnz .LBB286_855
; %bb.586:                              ;   in Loop: Header=BB286_9 Depth=1
	s_or_saveexec_b64 s[42:43], s[42:43]
	v_mov_b32_e32 v26, s48
	s_xor_b64 exec, exec, s[42:43]
	s_cbranch_execnz .LBB286_858
.LBB286_587:                            ;   in Loop: Header=BB286_9 Depth=1
	s_or_b64 exec, exec, s[42:43]
	s_and_saveexec_b64 s[42:43], s[40:41]
	s_cbranch_execz .LBB286_589
.LBB286_588:                            ;   in Loop: Header=BB286_9 Depth=1
	v_bfe_u32 v1, v8, 24, 3
	v_ffbh_u32_e32 v6, v1
	v_bfe_u32 v3, v8, 27, 4
	v_min_u32_e32 v8, 32, v6
	v_subrev_u32_e32 v6, 28, v8
	v_lshlrev_b64 v[6:7], v6, v[4:5]
	v_sub_u32_e32 v7, 29, v8
	v_cmp_eq_u32_e32 vcc, 0, v3
	v_and_b32_e32 v6, 7, v6
	v_lshlrev_b32_e32 v4, 8, v4
	v_cndmask_b32_e32 v3, v3, v7, vcc
	v_lshl_add_u32 v3, v3, 10, v34
	v_cndmask_b32_e32 v1, v1, v6, vcc
	v_and_or_b32 v3, v4, s47, v3
	v_lshl_or_b32 v1, v1, 7, v3
	v_cvt_f32_f16_e32 v26, v1
.LBB286_589:                            ;   in Loop: Header=BB286_9 Depth=1
	s_or_b64 exec, exec, s[42:43]
	flat_load_dword v8, v[32:33] offset:8
	s_mov_b64 vcc, 0
                                        ; implicit-def: $sgpr44
	s_waitcnt vmcnt(0) lgkmcnt(0)
	v_cmp_gt_i16_sdwa s[40:41], v8, s17 src0_sel:BYTE_0 src1_sel:DWORD
	s_and_saveexec_b64 s[42:43], s[40:41]
	s_xor_b64 s[40:41], exec, s[42:43]
	s_cbranch_execnz .LBB286_859
; %bb.590:                              ;   in Loop: Header=BB286_9 Depth=1
	s_or_saveexec_b64 s[40:41], s[40:41]
	v_mov_b32_e32 v21, s44
	s_xor_b64 exec, exec, s[40:41]
	s_cbranch_execnz .LBB286_862
.LBB286_591:                            ;   in Loop: Header=BB286_9 Depth=1
	s_or_b64 exec, exec, s[40:41]
	s_and_saveexec_b64 s[40:41], vcc
	s_cbranch_execz .LBB286_593
.LBB286_592:                            ;   in Loop: Header=BB286_9 Depth=1
	v_and_b32_e32 v1, 7, v8
	v_ffbh_u32_e32 v4, v1
	v_bfe_u32 v3, v8, 3, 4
	v_min_u32_e32 v4, 32, v4
	v_subrev_u32_e32 v6, 28, v4
	v_sub_u32_e32 v4, 29, v4
	v_cmp_eq_u32_e32 vcc, 0, v3
	v_lshlrev_b64 v[6:7], v6, v[8:9]
	v_and_b32_e32 v6, 7, v6
	v_cndmask_b32_e32 v3, v3, v4, vcc
	v_lshlrev_b32_e32 v4, 8, v8
	v_lshl_add_u32 v3, v3, 10, v34
	v_cndmask_b32_e32 v1, v1, v6, vcc
	v_and_or_b32 v3, v4, s47, v3
	v_lshl_or_b32 v1, v1, 7, v3
	v_cvt_f32_f16_e32 v21, v1
.LBB286_593:                            ;   in Loop: Header=BB286_9 Depth=1
	s_or_b64 exec, exec, s[40:41]
	v_lshrrev_b16_e32 v4, 8, v8
	v_cmp_lt_i16_e32 vcc, s17, v4
	s_mov_b64 s[40:41], 0
                                        ; implicit-def: $sgpr48
	s_and_saveexec_b64 s[42:43], vcc
	s_xor_b64 s[42:43], exec, s[42:43]
	s_cbranch_execnz .LBB286_863
; %bb.594:                              ;   in Loop: Header=BB286_9 Depth=1
	s_or_saveexec_b64 s[42:43], s[42:43]
	v_mov_b32_e32 v58, s48
	s_xor_b64 exec, exec, s[42:43]
	s_cbranch_execnz .LBB286_866
.LBB286_595:                            ;   in Loop: Header=BB286_9 Depth=1
	s_or_b64 exec, exec, s[42:43]
	s_and_saveexec_b64 s[42:43], s[40:41]
	s_cbranch_execz .LBB286_597
.LBB286_596:                            ;   in Loop: Header=BB286_9 Depth=1
	v_and_b32_e32 v1, 7, v4
	v_ffbh_u32_e32 v6, v1
	v_min_u32_e32 v10, 32, v6
	v_subrev_u32_e32 v6, 28, v10
	v_bfe_u32 v3, v4, 3, 4
	v_lshlrev_b64 v[6:7], v6, v[4:5]
	v_sub_u32_e32 v7, 29, v10
	v_cmp_eq_u32_e32 vcc, 0, v3
	v_and_b32_e32 v6, 7, v6
	v_lshlrev_b32_e32 v4, 8, v4
	v_cndmask_b32_e32 v3, v3, v7, vcc
	v_lshl_add_u32 v3, v3, 10, v34
	v_cndmask_b32_e32 v1, v1, v6, vcc
	v_and_or_b32 v3, v4, s47, v3
	v_lshl_or_b32 v1, v1, 7, v3
	v_cvt_f32_f16_e32 v58, v1
.LBB286_597:                            ;   in Loop: Header=BB286_9 Depth=1
	s_or_b64 exec, exec, s[42:43]
	v_lshrrev_b32_e32 v4, 16, v8
	v_cmp_gt_i16_sdwa s[40:41], v4, s17 src0_sel:BYTE_0 src1_sel:DWORD
	s_mov_b64 vcc, 0
                                        ; implicit-def: $sgpr44
	s_and_saveexec_b64 s[42:43], s[40:41]
	s_xor_b64 s[40:41], exec, s[42:43]
	s_cbranch_execnz .LBB286_867
; %bb.598:                              ;   in Loop: Header=BB286_9 Depth=1
	s_or_saveexec_b64 s[40:41], s[40:41]
	v_mov_b32_e32 v61, s44
	s_xor_b64 exec, exec, s[40:41]
	s_cbranch_execnz .LBB286_870
.LBB286_599:                            ;   in Loop: Header=BB286_9 Depth=1
	s_or_b64 exec, exec, s[40:41]
	s_and_saveexec_b64 s[40:41], vcc
	s_cbranch_execz .LBB286_601
.LBB286_600:                            ;   in Loop: Header=BB286_9 Depth=1
	v_bfe_u32 v1, v8, 16, 3
	v_ffbh_u32_e32 v6, v1
	v_min_u32_e32 v10, 32, v6
	v_subrev_u32_e32 v6, 28, v10
	v_bfe_u32 v3, v8, 19, 4
	v_lshlrev_b64 v[6:7], v6, v[4:5]
	v_sub_u32_e32 v7, 29, v10
	v_cmp_eq_u32_e32 vcc, 0, v3
	v_and_b32_e32 v6, 7, v6
	v_lshlrev_b32_e32 v4, 8, v4
	v_cndmask_b32_e32 v3, v3, v7, vcc
	v_lshl_add_u32 v3, v3, 10, v34
	v_cndmask_b32_e32 v1, v1, v6, vcc
	v_and_or_b32 v3, v4, s47, v3
	v_lshl_or_b32 v1, v1, 7, v3
	v_cvt_f32_f16_e32 v61, v1
.LBB286_601:                            ;   in Loop: Header=BB286_9 Depth=1
	s_or_b64 exec, exec, s[40:41]
	v_lshrrev_b32_e32 v4, 24, v8
	v_cmp_lt_i16_e32 vcc, s17, v4
	s_mov_b64 s[40:41], 0
                                        ; implicit-def: $sgpr48
	s_and_saveexec_b64 s[42:43], vcc
	s_xor_b64 s[42:43], exec, s[42:43]
	s_cbranch_execnz .LBB286_871
; %bb.602:                              ;   in Loop: Header=BB286_9 Depth=1
	s_or_saveexec_b64 s[42:43], s[42:43]
	v_mov_b32_e32 v57, s48
	s_xor_b64 exec, exec, s[42:43]
	s_cbranch_execnz .LBB286_874
.LBB286_603:                            ;   in Loop: Header=BB286_9 Depth=1
	s_or_b64 exec, exec, s[42:43]
	s_and_saveexec_b64 s[42:43], s[40:41]
	s_cbranch_execz .LBB286_605
.LBB286_604:                            ;   in Loop: Header=BB286_9 Depth=1
	v_bfe_u32 v1, v8, 24, 3
	v_ffbh_u32_e32 v6, v1
	v_bfe_u32 v3, v8, 27, 4
	v_min_u32_e32 v8, 32, v6
	v_subrev_u32_e32 v6, 28, v8
	v_lshlrev_b64 v[6:7], v6, v[4:5]
	v_sub_u32_e32 v7, 29, v8
	v_cmp_eq_u32_e32 vcc, 0, v3
	v_and_b32_e32 v6, 7, v6
	v_lshlrev_b32_e32 v4, 8, v4
	v_cndmask_b32_e32 v3, v3, v7, vcc
	v_lshl_add_u32 v3, v3, 10, v34
	v_cndmask_b32_e32 v1, v1, v6, vcc
	v_and_or_b32 v3, v4, s47, v3
	v_lshl_or_b32 v1, v1, 7, v3
	v_cvt_f32_f16_e32 v57, v1
.LBB286_605:                            ;   in Loop: Header=BB286_9 Depth=1
	s_or_b64 exec, exec, s[42:43]
	v_add_co_u32_e32 v6, vcc, 0x1000, v30
                                        ; implicit-def: $sgpr44
	s_nop 1
	v_addc_co_u32_e32 v7, vcc, 0, v31, vcc
	flat_load_dword v8, v[6:7] offset:1536
	s_mov_b64 vcc, 0
	s_waitcnt vmcnt(0) lgkmcnt(0)
	v_cmp_gt_i16_sdwa s[40:41], v8, s17 src0_sel:BYTE_0 src1_sel:DWORD
	s_and_saveexec_b64 s[42:43], s[40:41]
	s_xor_b64 s[40:41], exec, s[42:43]
	s_cbranch_execnz .LBB286_875
; %bb.606:                              ;   in Loop: Header=BB286_9 Depth=1
	s_or_saveexec_b64 s[40:41], s[40:41]
	v_mov_b32_e32 v1, s44
	s_xor_b64 exec, exec, s[40:41]
	s_cbranch_execnz .LBB286_878
.LBB286_607:                            ;   in Loop: Header=BB286_9 Depth=1
	s_or_b64 exec, exec, s[40:41]
	s_and_saveexec_b64 s[40:41], vcc
	s_cbranch_execz .LBB286_609
.LBB286_608:                            ;   in Loop: Header=BB286_9 Depth=1
	v_and_b32_e32 v1, 7, v8
	v_ffbh_u32_e32 v4, v1
	v_bfe_u32 v3, v8, 3, 4
	v_min_u32_e32 v4, 32, v4
	v_subrev_u32_e32 v6, 28, v4
	v_sub_u32_e32 v4, 29, v4
	v_cmp_eq_u32_e32 vcc, 0, v3
	v_lshlrev_b64 v[6:7], v6, v[8:9]
	v_and_b32_e32 v6, 7, v6
	v_cndmask_b32_e32 v3, v3, v4, vcc
	v_lshlrev_b32_e32 v4, 8, v8
	v_lshl_add_u32 v3, v3, 10, v34
	v_cndmask_b32_e32 v1, v1, v6, vcc
	v_and_or_b32 v3, v4, s47, v3
	v_lshl_or_b32 v1, v1, 7, v3
	v_cvt_f32_f16_e32 v1, v1
.LBB286_609:                            ;   in Loop: Header=BB286_9 Depth=1
	s_or_b64 exec, exec, s[40:41]
	v_lshrrev_b16_e32 v4, 8, v8
	v_lshl_add_u64 v[32:33], v[30:31], 0, s[28:29]
	v_cmp_lt_i16_e32 vcc, s17, v4
	s_mov_b64 s[40:41], 0
                                        ; implicit-def: $sgpr48
	s_and_saveexec_b64 s[42:43], vcc
	s_xor_b64 s[42:43], exec, s[42:43]
	s_cbranch_execnz .LBB286_879
; %bb.610:                              ;   in Loop: Header=BB286_9 Depth=1
	s_or_saveexec_b64 s[42:43], s[42:43]
	v_mov_b32_e32 v44, s48
	s_xor_b64 exec, exec, s[42:43]
	s_cbranch_execnz .LBB286_882
.LBB286_611:                            ;   in Loop: Header=BB286_9 Depth=1
	s_or_b64 exec, exec, s[42:43]
	s_and_saveexec_b64 s[42:43], s[40:41]
	s_cbranch_execz .LBB286_613
.LBB286_612:                            ;   in Loop: Header=BB286_9 Depth=1
	v_and_b32_e32 v3, 7, v4
	v_ffbh_u32_e32 v6, v3
	v_min_u32_e32 v11, 32, v6
	v_subrev_u32_e32 v6, 28, v11
	v_bfe_u32 v10, v4, 3, 4
	v_lshlrev_b64 v[6:7], v6, v[4:5]
	v_sub_u32_e32 v7, 29, v11
	v_cmp_eq_u32_e32 vcc, 0, v10
	v_and_b32_e32 v6, 7, v6
	v_lshlrev_b32_e32 v4, 8, v4
	v_cndmask_b32_e32 v7, v10, v7, vcc
	v_cndmask_b32_e32 v3, v3, v6, vcc
	v_lshl_add_u32 v6, v7, 10, v34
	v_and_or_b32 v4, v4, s47, v6
	v_lshl_or_b32 v3, v3, 7, v4
	v_cvt_f32_f16_e32 v44, v3
.LBB286_613:                            ;   in Loop: Header=BB286_9 Depth=1
	s_or_b64 exec, exec, s[42:43]
	v_lshrrev_b32_e32 v4, 16, v8
	v_cmp_gt_i16_sdwa s[40:41], v4, s17 src0_sel:BYTE_0 src1_sel:DWORD
	s_mov_b64 vcc, 0
                                        ; implicit-def: $sgpr44
	s_and_saveexec_b64 s[42:43], s[40:41]
	s_xor_b64 s[40:41], exec, s[42:43]
	s_cbranch_execnz .LBB286_883
; %bb.614:                              ;   in Loop: Header=BB286_9 Depth=1
	s_or_saveexec_b64 s[40:41], s[40:41]
	v_mov_b32_e32 v52, s44
	s_xor_b64 exec, exec, s[40:41]
	s_cbranch_execnz .LBB286_886
.LBB286_615:                            ;   in Loop: Header=BB286_9 Depth=1
	s_or_b64 exec, exec, s[40:41]
	s_and_saveexec_b64 s[40:41], vcc
	s_cbranch_execz .LBB286_617
.LBB286_616:                            ;   in Loop: Header=BB286_9 Depth=1
	v_bfe_u32 v3, v8, 16, 3
	v_ffbh_u32_e32 v6, v3
	v_min_u32_e32 v11, 32, v6
	v_subrev_u32_e32 v6, 28, v11
	v_bfe_u32 v10, v8, 19, 4
	v_lshlrev_b64 v[6:7], v6, v[4:5]
	v_sub_u32_e32 v7, 29, v11
	v_cmp_eq_u32_e32 vcc, 0, v10
	v_and_b32_e32 v6, 7, v6
	v_lshlrev_b32_e32 v4, 8, v4
	v_cndmask_b32_e32 v7, v10, v7, vcc
	v_cndmask_b32_e32 v3, v3, v6, vcc
	v_lshl_add_u32 v6, v7, 10, v34
	v_and_or_b32 v4, v4, s47, v6
	v_lshl_or_b32 v3, v3, 7, v4
	v_cvt_f32_f16_e32 v52, v3
.LBB286_617:                            ;   in Loop: Header=BB286_9 Depth=1
	s_or_b64 exec, exec, s[40:41]
	v_lshrrev_b32_e32 v4, 24, v8
	v_cmp_lt_i16_e32 vcc, s17, v4
	s_mov_b64 s[40:41], 0
                                        ; implicit-def: $sgpr48
	s_and_saveexec_b64 s[42:43], vcc
	s_xor_b64 s[42:43], exec, s[42:43]
	s_cbranch_execnz .LBB286_887
; %bb.618:                              ;   in Loop: Header=BB286_9 Depth=1
	s_or_saveexec_b64 s[42:43], s[42:43]
	v_mov_b32_e32 v18, s48
	s_xor_b64 exec, exec, s[42:43]
	s_cbranch_execnz .LBB286_890
.LBB286_619:                            ;   in Loop: Header=BB286_9 Depth=1
	s_or_b64 exec, exec, s[42:43]
	s_and_saveexec_b64 s[42:43], s[40:41]
	s_cbranch_execz .LBB286_621
.LBB286_620:                            ;   in Loop: Header=BB286_9 Depth=1
	v_bfe_u32 v3, v8, 24, 3
	v_ffbh_u32_e32 v6, v3
	v_min_u32_e32 v10, 32, v6
	v_subrev_u32_e32 v6, 28, v10
	v_bfe_u32 v8, v8, 27, 4
	v_lshlrev_b64 v[6:7], v6, v[4:5]
	v_sub_u32_e32 v7, 29, v10
	v_cmp_eq_u32_e32 vcc, 0, v8
	v_and_b32_e32 v6, 7, v6
	v_lshlrev_b32_e32 v4, 8, v4
	v_cndmask_b32_e32 v7, v8, v7, vcc
	v_cndmask_b32_e32 v3, v3, v6, vcc
	v_lshl_add_u32 v6, v7, 10, v34
	v_and_or_b32 v4, v4, s47, v6
	v_lshl_or_b32 v3, v3, 7, v4
	v_cvt_f32_f16_e32 v18, v3
.LBB286_621:                            ;   in Loop: Header=BB286_9 Depth=1
	s_or_b64 exec, exec, s[42:43]
	flat_load_dword v8, v[32:33] offset:8
	s_mov_b64 vcc, 0
                                        ; implicit-def: $sgpr44
	s_waitcnt vmcnt(0) lgkmcnt(0)
	v_cmp_gt_i16_sdwa s[40:41], v8, s17 src0_sel:BYTE_0 src1_sel:DWORD
	s_and_saveexec_b64 s[42:43], s[40:41]
	s_xor_b64 s[40:41], exec, s[42:43]
	s_cbranch_execnz .LBB286_891
; %bb.622:                              ;   in Loop: Header=BB286_9 Depth=1
	s_or_saveexec_b64 s[40:41], s[40:41]
	v_mov_b32_e32 v42, s44
	s_xor_b64 exec, exec, s[40:41]
	s_cbranch_execnz .LBB286_894
.LBB286_623:                            ;   in Loop: Header=BB286_9 Depth=1
	s_or_b64 exec, exec, s[40:41]
	s_and_saveexec_b64 s[40:41], vcc
	s_cbranch_execz .LBB286_625
.LBB286_624:                            ;   in Loop: Header=BB286_9 Depth=1
	v_and_b32_e32 v3, 7, v8
	v_ffbh_u32_e32 v6, v3
	v_min_u32_e32 v10, 32, v6
	v_subrev_u32_e32 v6, 28, v10
	v_bfe_u32 v4, v8, 3, 4
	v_lshlrev_b64 v[6:7], v6, v[8:9]
	v_sub_u32_e32 v7, 29, v10
	v_cmp_eq_u32_e32 vcc, 0, v4
	v_and_b32_e32 v6, 7, v6
	s_nop 0
	v_cndmask_b32_e32 v4, v4, v7, vcc
	v_cndmask_b32_e32 v3, v3, v6, vcc
	v_lshlrev_b32_e32 v6, 8, v8
	v_lshl_add_u32 v4, v4, 10, v34
	v_and_or_b32 v4, v6, s47, v4
	v_lshl_or_b32 v3, v3, 7, v4
	v_cvt_f32_f16_e32 v42, v3
.LBB286_625:                            ;   in Loop: Header=BB286_9 Depth=1
	s_or_b64 exec, exec, s[40:41]
	v_lshrrev_b16_e32 v4, 8, v8
	v_cmp_lt_i16_e32 vcc, s17, v4
	s_mov_b64 s[40:41], 0
                                        ; implicit-def: $sgpr48
	s_and_saveexec_b64 s[42:43], vcc
	s_xor_b64 s[42:43], exec, s[42:43]
	s_cbranch_execnz .LBB286_895
; %bb.626:                              ;   in Loop: Header=BB286_9 Depth=1
	s_or_saveexec_b64 s[42:43], s[42:43]
	v_mov_b32_e32 v43, s48
	s_xor_b64 exec, exec, s[42:43]
	s_cbranch_execnz .LBB286_898
.LBB286_627:                            ;   in Loop: Header=BB286_9 Depth=1
	s_or_b64 exec, exec, s[42:43]
	s_and_saveexec_b64 s[42:43], s[40:41]
	s_cbranch_execz .LBB286_629
.LBB286_628:                            ;   in Loop: Header=BB286_9 Depth=1
	v_and_b32_e32 v3, 7, v4
	v_ffbh_u32_e32 v6, v3
	v_min_u32_e32 v11, 32, v6
	v_subrev_u32_e32 v6, 28, v11
	v_bfe_u32 v10, v4, 3, 4
	v_lshlrev_b64 v[6:7], v6, v[4:5]
	v_sub_u32_e32 v7, 29, v11
	v_cmp_eq_u32_e32 vcc, 0, v10
	v_and_b32_e32 v6, 7, v6
	v_lshlrev_b32_e32 v4, 8, v4
	v_cndmask_b32_e32 v7, v10, v7, vcc
	v_cndmask_b32_e32 v3, v3, v6, vcc
	v_lshl_add_u32 v6, v7, 10, v34
	v_and_or_b32 v4, v4, s47, v6
	v_lshl_or_b32 v3, v3, 7, v4
	v_cvt_f32_f16_e32 v43, v3
.LBB286_629:                            ;   in Loop: Header=BB286_9 Depth=1
	s_or_b64 exec, exec, s[42:43]
	v_lshrrev_b32_e32 v4, 16, v8
	v_cmp_gt_i16_sdwa s[40:41], v4, s17 src0_sel:BYTE_0 src1_sel:DWORD
	s_mov_b64 vcc, 0
                                        ; implicit-def: $sgpr44
	s_and_saveexec_b64 s[42:43], s[40:41]
	s_xor_b64 s[40:41], exec, s[42:43]
	s_cbranch_execnz .LBB286_899
; %bb.630:                              ;   in Loop: Header=BB286_9 Depth=1
	s_or_saveexec_b64 s[40:41], s[40:41]
	v_mov_b32_e32 v29, s44
	s_xor_b64 exec, exec, s[40:41]
	s_cbranch_execnz .LBB286_902
.LBB286_631:                            ;   in Loop: Header=BB286_9 Depth=1
	s_or_b64 exec, exec, s[40:41]
	s_and_saveexec_b64 s[40:41], vcc
	s_cbranch_execz .LBB286_633
.LBB286_632:                            ;   in Loop: Header=BB286_9 Depth=1
	v_bfe_u32 v3, v8, 16, 3
	v_ffbh_u32_e32 v6, v3
	v_min_u32_e32 v11, 32, v6
	v_subrev_u32_e32 v6, 28, v11
	v_bfe_u32 v10, v8, 19, 4
	v_lshlrev_b64 v[6:7], v6, v[4:5]
	v_sub_u32_e32 v7, 29, v11
	v_cmp_eq_u32_e32 vcc, 0, v10
	v_and_b32_e32 v6, 7, v6
	v_lshlrev_b32_e32 v4, 8, v4
	v_cndmask_b32_e32 v7, v10, v7, vcc
	v_cndmask_b32_e32 v3, v3, v6, vcc
	v_lshl_add_u32 v6, v7, 10, v34
	v_and_or_b32 v4, v4, s47, v6
	v_lshl_or_b32 v3, v3, 7, v4
	v_cvt_f32_f16_e32 v29, v3
.LBB286_633:                            ;   in Loop: Header=BB286_9 Depth=1
	s_or_b64 exec, exec, s[40:41]
	v_lshrrev_b32_e32 v4, 24, v8
	v_cmp_lt_i16_e32 vcc, s17, v4
	s_mov_b64 s[40:41], 0
                                        ; implicit-def: $sgpr48
	s_and_saveexec_b64 s[42:43], vcc
	s_xor_b64 s[42:43], exec, s[42:43]
	s_cbranch_execnz .LBB286_903
; %bb.634:                              ;   in Loop: Header=BB286_9 Depth=1
	s_or_saveexec_b64 s[42:43], s[42:43]
	v_mov_b32_e32 v19, s48
	s_xor_b64 exec, exec, s[42:43]
	s_cbranch_execnz .LBB286_906
.LBB286_635:                            ;   in Loop: Header=BB286_9 Depth=1
	s_or_b64 exec, exec, s[42:43]
	s_and_saveexec_b64 s[42:43], s[40:41]
	s_cbranch_execz .LBB286_637
.LBB286_636:                            ;   in Loop: Header=BB286_9 Depth=1
	v_bfe_u32 v3, v8, 24, 3
	v_ffbh_u32_e32 v6, v3
	v_min_u32_e32 v10, 32, v6
	v_subrev_u32_e32 v6, 28, v10
	v_bfe_u32 v8, v8, 27, 4
	v_lshlrev_b64 v[6:7], v6, v[4:5]
	v_sub_u32_e32 v7, 29, v10
	v_cmp_eq_u32_e32 vcc, 0, v8
	v_and_b32_e32 v6, 7, v6
	v_lshlrev_b32_e32 v4, 8, v4
	v_cndmask_b32_e32 v7, v8, v7, vcc
	v_cndmask_b32_e32 v3, v3, v6, vcc
	v_lshl_add_u32 v6, v7, 10, v34
	v_and_or_b32 v4, v4, s47, v6
	v_lshl_or_b32 v3, v3, 7, v4
	v_cvt_f32_f16_e32 v19, v3
.LBB286_637:                            ;   in Loop: Header=BB286_9 Depth=1
	s_or_b64 exec, exec, s[42:43]
	v_add_co_u32_e32 v6, vcc, 0x1000, v30
                                        ; implicit-def: $sgpr44
	s_nop 1
	v_addc_co_u32_e32 v7, vcc, 0, v31, vcc
	flat_load_dword v8, v[6:7] offset:2048
	s_mov_b64 vcc, 0
	s_waitcnt vmcnt(0) lgkmcnt(0)
	v_cmp_gt_i16_sdwa s[40:41], v8, s17 src0_sel:BYTE_0 src1_sel:DWORD
	s_and_saveexec_b64 s[42:43], s[40:41]
	s_xor_b64 s[40:41], exec, s[42:43]
	s_cbranch_execnz .LBB286_907
; %bb.638:                              ;   in Loop: Header=BB286_9 Depth=1
	s_or_saveexec_b64 s[40:41], s[40:41]
	v_mov_b32_e32 v47, s44
	s_xor_b64 exec, exec, s[40:41]
	s_cbranch_execnz .LBB286_910
.LBB286_639:                            ;   in Loop: Header=BB286_9 Depth=1
	s_or_b64 exec, exec, s[40:41]
	s_and_saveexec_b64 s[40:41], vcc
	s_cbranch_execz .LBB286_641
.LBB286_640:                            ;   in Loop: Header=BB286_9 Depth=1
	v_and_b32_e32 v3, 7, v8
	v_ffbh_u32_e32 v6, v3
	v_min_u32_e32 v10, 32, v6
	v_subrev_u32_e32 v6, 28, v10
	v_bfe_u32 v4, v8, 3, 4
	v_lshlrev_b64 v[6:7], v6, v[8:9]
	v_sub_u32_e32 v7, 29, v10
	v_cmp_eq_u32_e32 vcc, 0, v4
	v_and_b32_e32 v6, 7, v6
	s_nop 0
	v_cndmask_b32_e32 v4, v4, v7, vcc
	v_cndmask_b32_e32 v3, v3, v6, vcc
	v_lshlrev_b32_e32 v6, 8, v8
	v_lshl_add_u32 v4, v4, 10, v34
	v_and_or_b32 v4, v6, s47, v4
	v_lshl_or_b32 v3, v3, 7, v4
	v_cvt_f32_f16_e32 v47, v3
.LBB286_641:                            ;   in Loop: Header=BB286_9 Depth=1
	s_or_b64 exec, exec, s[40:41]
	v_lshrrev_b16_e32 v4, 8, v8
	v_lshl_add_u64 v[32:33], v[30:31], 0, s[30:31]
	v_cmp_lt_i16_e32 vcc, s17, v4
	s_mov_b64 s[40:41], 0
                                        ; implicit-def: $sgpr48
	s_and_saveexec_b64 s[42:43], vcc
	s_xor_b64 s[42:43], exec, s[42:43]
	s_cbranch_execnz .LBB286_911
; %bb.642:                              ;   in Loop: Header=BB286_9 Depth=1
	s_or_saveexec_b64 s[42:43], s[42:43]
	v_mov_b32_e32 v50, s48
	s_xor_b64 exec, exec, s[42:43]
	s_cbranch_execnz .LBB286_914
.LBB286_643:                            ;   in Loop: Header=BB286_9 Depth=1
	s_or_b64 exec, exec, s[42:43]
	s_and_saveexec_b64 s[42:43], s[40:41]
	s_cbranch_execz .LBB286_645
.LBB286_644:                            ;   in Loop: Header=BB286_9 Depth=1
	v_and_b32_e32 v3, 7, v4
	v_ffbh_u32_e32 v6, v3
	v_min_u32_e32 v11, 32, v6
	v_subrev_u32_e32 v6, 28, v11
	v_bfe_u32 v10, v4, 3, 4
	v_lshlrev_b64 v[6:7], v6, v[4:5]
	v_sub_u32_e32 v7, 29, v11
	v_cmp_eq_u32_e32 vcc, 0, v10
	v_and_b32_e32 v6, 7, v6
	v_lshlrev_b32_e32 v4, 8, v4
	v_cndmask_b32_e32 v7, v10, v7, vcc
	v_cndmask_b32_e32 v3, v3, v6, vcc
	v_lshl_add_u32 v6, v7, 10, v34
	v_and_or_b32 v4, v4, s47, v6
	v_lshl_or_b32 v3, v3, 7, v4
	v_cvt_f32_f16_e32 v50, v3
.LBB286_645:                            ;   in Loop: Header=BB286_9 Depth=1
	s_or_b64 exec, exec, s[42:43]
	v_lshrrev_b32_e32 v4, 16, v8
	v_cmp_gt_i16_sdwa s[40:41], v4, s17 src0_sel:BYTE_0 src1_sel:DWORD
	s_mov_b64 vcc, 0
                                        ; implicit-def: $sgpr44
	s_and_saveexec_b64 s[42:43], s[40:41]
	s_xor_b64 s[40:41], exec, s[42:43]
	s_cbranch_execnz .LBB286_915
; %bb.646:                              ;   in Loop: Header=BB286_9 Depth=1
	s_or_saveexec_b64 s[40:41], s[40:41]
	v_mov_b32_e32 v25, s44
	s_xor_b64 exec, exec, s[40:41]
	s_cbranch_execnz .LBB286_918
.LBB286_647:                            ;   in Loop: Header=BB286_9 Depth=1
	s_or_b64 exec, exec, s[40:41]
	s_and_saveexec_b64 s[40:41], vcc
	s_cbranch_execz .LBB286_649
.LBB286_648:                            ;   in Loop: Header=BB286_9 Depth=1
	v_bfe_u32 v3, v8, 16, 3
	v_ffbh_u32_e32 v6, v3
	v_min_u32_e32 v11, 32, v6
	v_subrev_u32_e32 v6, 28, v11
	v_bfe_u32 v10, v8, 19, 4
	v_lshlrev_b64 v[6:7], v6, v[4:5]
	v_sub_u32_e32 v7, 29, v11
	v_cmp_eq_u32_e32 vcc, 0, v10
	v_and_b32_e32 v6, 7, v6
	v_lshlrev_b32_e32 v4, 8, v4
	v_cndmask_b32_e32 v7, v10, v7, vcc
	v_cndmask_b32_e32 v3, v3, v6, vcc
	v_lshl_add_u32 v6, v7, 10, v34
	v_and_or_b32 v4, v4, s47, v6
	v_lshl_or_b32 v3, v3, 7, v4
	v_cvt_f32_f16_e32 v25, v3
.LBB286_649:                            ;   in Loop: Header=BB286_9 Depth=1
	s_or_b64 exec, exec, s[40:41]
	v_lshrrev_b32_e32 v4, 24, v8
	v_cmp_lt_i16_e32 vcc, s17, v4
	s_mov_b64 s[40:41], 0
                                        ; implicit-def: $sgpr48
	s_and_saveexec_b64 s[42:43], vcc
	s_xor_b64 s[42:43], exec, s[42:43]
	s_cbranch_execnz .LBB286_919
; %bb.650:                              ;   in Loop: Header=BB286_9 Depth=1
	s_or_saveexec_b64 s[42:43], s[42:43]
	v_mov_b32_e32 v27, s48
	s_xor_b64 exec, exec, s[42:43]
	s_cbranch_execnz .LBB286_922
.LBB286_651:                            ;   in Loop: Header=BB286_9 Depth=1
	s_or_b64 exec, exec, s[42:43]
	s_and_saveexec_b64 s[42:43], s[40:41]
	s_cbranch_execz .LBB286_653
.LBB286_652:                            ;   in Loop: Header=BB286_9 Depth=1
	v_bfe_u32 v3, v8, 24, 3
	v_ffbh_u32_e32 v6, v3
	v_min_u32_e32 v10, 32, v6
	v_subrev_u32_e32 v6, 28, v10
	v_bfe_u32 v8, v8, 27, 4
	v_lshlrev_b64 v[6:7], v6, v[4:5]
	v_sub_u32_e32 v7, 29, v10
	v_cmp_eq_u32_e32 vcc, 0, v8
	v_and_b32_e32 v6, 7, v6
	v_lshlrev_b32_e32 v4, 8, v4
	v_cndmask_b32_e32 v7, v8, v7, vcc
	v_cndmask_b32_e32 v3, v3, v6, vcc
	v_lshl_add_u32 v6, v7, 10, v34
	v_and_or_b32 v4, v4, s47, v6
	v_lshl_or_b32 v3, v3, 7, v4
	v_cvt_f32_f16_e32 v27, v3
.LBB286_653:                            ;   in Loop: Header=BB286_9 Depth=1
	s_or_b64 exec, exec, s[42:43]
	flat_load_dword v8, v[32:33] offset:8
	s_mov_b64 vcc, 0
                                        ; implicit-def: $sgpr44
	s_waitcnt vmcnt(0) lgkmcnt(0)
	v_cmp_gt_i16_sdwa s[40:41], v8, s17 src0_sel:BYTE_0 src1_sel:DWORD
	s_and_saveexec_b64 s[42:43], s[40:41]
	s_xor_b64 s[40:41], exec, s[42:43]
	s_cbranch_execnz .LBB286_923
; %bb.654:                              ;   in Loop: Header=BB286_9 Depth=1
	s_or_saveexec_b64 s[40:41], s[40:41]
	v_mov_b32_e32 v39, s44
	s_xor_b64 exec, exec, s[40:41]
	s_cbranch_execnz .LBB286_926
.LBB286_655:                            ;   in Loop: Header=BB286_9 Depth=1
	s_or_b64 exec, exec, s[40:41]
	s_and_saveexec_b64 s[40:41], vcc
	s_cbranch_execz .LBB286_657
.LBB286_656:                            ;   in Loop: Header=BB286_9 Depth=1
	v_and_b32_e32 v3, 7, v8
	v_ffbh_u32_e32 v6, v3
	v_min_u32_e32 v10, 32, v6
	v_subrev_u32_e32 v6, 28, v10
	v_bfe_u32 v4, v8, 3, 4
	v_lshlrev_b64 v[6:7], v6, v[8:9]
	v_sub_u32_e32 v7, 29, v10
	v_cmp_eq_u32_e32 vcc, 0, v4
	v_and_b32_e32 v6, 7, v6
	s_nop 0
	v_cndmask_b32_e32 v4, v4, v7, vcc
	v_cndmask_b32_e32 v3, v3, v6, vcc
	v_lshlrev_b32_e32 v6, 8, v8
	v_lshl_add_u32 v4, v4, 10, v34
	v_and_or_b32 v4, v6, s47, v4
	v_lshl_or_b32 v3, v3, 7, v4
	v_cvt_f32_f16_e32 v39, v3
.LBB286_657:                            ;   in Loop: Header=BB286_9 Depth=1
	s_or_b64 exec, exec, s[40:41]
	v_lshrrev_b16_e32 v4, 8, v8
	v_cmp_lt_i16_e32 vcc, s17, v4
	s_mov_b64 s[40:41], 0
                                        ; implicit-def: $sgpr48
	s_and_saveexec_b64 s[42:43], vcc
	s_xor_b64 s[42:43], exec, s[42:43]
	s_cbranch_execnz .LBB286_927
; %bb.658:                              ;   in Loop: Header=BB286_9 Depth=1
	s_or_saveexec_b64 s[42:43], s[42:43]
	v_mov_b32_e32 v36, s48
	s_xor_b64 exec, exec, s[42:43]
	s_cbranch_execnz .LBB286_930
.LBB286_659:                            ;   in Loop: Header=BB286_9 Depth=1
	s_or_b64 exec, exec, s[42:43]
	s_and_saveexec_b64 s[42:43], s[40:41]
	s_cbranch_execz .LBB286_661
.LBB286_660:                            ;   in Loop: Header=BB286_9 Depth=1
	v_and_b32_e32 v3, 7, v4
	v_ffbh_u32_e32 v6, v3
	v_min_u32_e32 v11, 32, v6
	v_subrev_u32_e32 v6, 28, v11
	v_bfe_u32 v10, v4, 3, 4
	v_lshlrev_b64 v[6:7], v6, v[4:5]
	v_sub_u32_e32 v7, 29, v11
	v_cmp_eq_u32_e32 vcc, 0, v10
	v_and_b32_e32 v6, 7, v6
	v_lshlrev_b32_e32 v4, 8, v4
	v_cndmask_b32_e32 v7, v10, v7, vcc
	v_cndmask_b32_e32 v3, v3, v6, vcc
	v_lshl_add_u32 v6, v7, 10, v34
	v_and_or_b32 v4, v4, s47, v6
	v_lshl_or_b32 v3, v3, 7, v4
	v_cvt_f32_f16_e32 v36, v3
.LBB286_661:                            ;   in Loop: Header=BB286_9 Depth=1
	s_or_b64 exec, exec, s[42:43]
	v_lshrrev_b32_e32 v4, 16, v8
	v_cmp_gt_i16_sdwa s[40:41], v4, s17 src0_sel:BYTE_0 src1_sel:DWORD
	s_mov_b64 vcc, 0
                                        ; implicit-def: $sgpr44
	s_and_saveexec_b64 s[42:43], s[40:41]
	s_xor_b64 s[40:41], exec, s[42:43]
	s_cbranch_execnz .LBB286_931
; %bb.662:                              ;   in Loop: Header=BB286_9 Depth=1
	s_or_saveexec_b64 s[40:41], s[40:41]
	v_mov_b32_e32 v35, s44
	s_xor_b64 exec, exec, s[40:41]
	s_cbranch_execnz .LBB286_934
.LBB286_663:                            ;   in Loop: Header=BB286_9 Depth=1
	s_or_b64 exec, exec, s[40:41]
	s_and_saveexec_b64 s[40:41], vcc
	s_cbranch_execz .LBB286_665
.LBB286_664:                            ;   in Loop: Header=BB286_9 Depth=1
	v_bfe_u32 v3, v8, 16, 3
	v_ffbh_u32_e32 v6, v3
	v_min_u32_e32 v11, 32, v6
	v_subrev_u32_e32 v6, 28, v11
	v_bfe_u32 v10, v8, 19, 4
	v_lshlrev_b64 v[6:7], v6, v[4:5]
	v_sub_u32_e32 v7, 29, v11
	v_cmp_eq_u32_e32 vcc, 0, v10
	v_and_b32_e32 v6, 7, v6
	v_lshlrev_b32_e32 v4, 8, v4
	v_cndmask_b32_e32 v7, v10, v7, vcc
	v_cndmask_b32_e32 v3, v3, v6, vcc
	v_lshl_add_u32 v6, v7, 10, v34
	v_and_or_b32 v4, v4, s47, v6
	v_lshl_or_b32 v3, v3, 7, v4
	v_cvt_f32_f16_e32 v35, v3
.LBB286_665:                            ;   in Loop: Header=BB286_9 Depth=1
	s_or_b64 exec, exec, s[40:41]
	v_lshrrev_b32_e32 v4, 24, v8
	v_cmp_lt_i16_e32 vcc, s17, v4
	s_mov_b64 s[40:41], 0
                                        ; implicit-def: $sgpr48
	s_and_saveexec_b64 s[42:43], vcc
	s_xor_b64 s[42:43], exec, s[42:43]
	s_cbranch_execnz .LBB286_935
; %bb.666:                              ;   in Loop: Header=BB286_9 Depth=1
	s_or_saveexec_b64 s[42:43], s[42:43]
	v_mov_b32_e32 v38, s48
	s_xor_b64 exec, exec, s[42:43]
	s_cbranch_execnz .LBB286_938
.LBB286_667:                            ;   in Loop: Header=BB286_9 Depth=1
	s_or_b64 exec, exec, s[42:43]
	s_and_saveexec_b64 s[42:43], s[40:41]
	s_cbranch_execz .LBB286_669
.LBB286_668:                            ;   in Loop: Header=BB286_9 Depth=1
	v_bfe_u32 v3, v8, 24, 3
	v_ffbh_u32_e32 v6, v3
	v_min_u32_e32 v10, 32, v6
	v_subrev_u32_e32 v6, 28, v10
	v_bfe_u32 v8, v8, 27, 4
	v_lshlrev_b64 v[6:7], v6, v[4:5]
	v_sub_u32_e32 v7, 29, v10
	v_cmp_eq_u32_e32 vcc, 0, v8
	v_and_b32_e32 v6, 7, v6
	v_lshlrev_b32_e32 v4, 8, v4
	v_cndmask_b32_e32 v7, v8, v7, vcc
	v_cndmask_b32_e32 v3, v3, v6, vcc
	v_lshl_add_u32 v6, v7, 10, v34
	v_and_or_b32 v4, v4, s47, v6
	v_lshl_or_b32 v3, v3, 7, v4
	v_cvt_f32_f16_e32 v38, v3
.LBB286_669:                            ;   in Loop: Header=BB286_9 Depth=1
	s_or_b64 exec, exec, s[42:43]
	v_add_co_u32_e32 v6, vcc, 0x1000, v30
                                        ; implicit-def: $sgpr44
	s_nop 1
	v_addc_co_u32_e32 v7, vcc, 0, v31, vcc
	flat_load_dword v8, v[6:7] offset:2560
	s_mov_b64 vcc, 0
	s_waitcnt vmcnt(0) lgkmcnt(0)
	v_cmp_gt_i16_sdwa s[40:41], v8, s17 src0_sel:BYTE_0 src1_sel:DWORD
	s_and_saveexec_b64 s[42:43], s[40:41]
	s_xor_b64 s[40:41], exec, s[42:43]
	s_cbranch_execnz .LBB286_939
; %bb.670:                              ;   in Loop: Header=BB286_9 Depth=1
	s_or_saveexec_b64 s[40:41], s[40:41]
	v_mov_b32_e32 v23, s44
	s_xor_b64 exec, exec, s[40:41]
	s_cbranch_execnz .LBB286_942
.LBB286_671:                            ;   in Loop: Header=BB286_9 Depth=1
	s_or_b64 exec, exec, s[40:41]
	s_and_saveexec_b64 s[40:41], vcc
	s_cbranch_execz .LBB286_673
.LBB286_672:                            ;   in Loop: Header=BB286_9 Depth=1
	v_and_b32_e32 v3, 7, v8
	v_ffbh_u32_e32 v6, v3
	v_min_u32_e32 v10, 32, v6
	v_subrev_u32_e32 v6, 28, v10
	v_bfe_u32 v4, v8, 3, 4
	v_lshlrev_b64 v[6:7], v6, v[8:9]
	v_sub_u32_e32 v7, 29, v10
	v_cmp_eq_u32_e32 vcc, 0, v4
	v_and_b32_e32 v6, 7, v6
	s_nop 0
	v_cndmask_b32_e32 v4, v4, v7, vcc
	v_cndmask_b32_e32 v3, v3, v6, vcc
	v_lshlrev_b32_e32 v6, 8, v8
	v_lshl_add_u32 v4, v4, 10, v34
	v_and_or_b32 v4, v6, s47, v4
	v_lshl_or_b32 v3, v3, 7, v4
	v_cvt_f32_f16_e32 v23, v3
.LBB286_673:                            ;   in Loop: Header=BB286_9 Depth=1
	s_or_b64 exec, exec, s[40:41]
	v_lshrrev_b16_e32 v4, 8, v8
	v_lshl_add_u64 v[32:33], v[30:31], 0, s[34:35]
	v_cmp_lt_i16_e32 vcc, s17, v4
	s_mov_b64 s[40:41], 0
                                        ; implicit-def: $sgpr48
	s_and_saveexec_b64 s[42:43], vcc
	s_xor_b64 s[42:43], exec, s[42:43]
	s_cbranch_execnz .LBB286_943
; %bb.674:                              ;   in Loop: Header=BB286_9 Depth=1
	s_or_saveexec_b64 s[42:43], s[42:43]
	v_mov_b32_e32 v6, s48
	s_xor_b64 exec, exec, s[42:43]
	s_cbranch_execnz .LBB286_946
.LBB286_675:                            ;   in Loop: Header=BB286_9 Depth=1
	s_or_b64 exec, exec, s[42:43]
	s_and_saveexec_b64 s[42:43], s[40:41]
	s_cbranch_execz .LBB286_677
.LBB286_676:                            ;   in Loop: Header=BB286_9 Depth=1
	v_and_b32_e32 v3, 7, v4
	v_ffbh_u32_e32 v6, v3
	v_min_u32_e32 v11, 32, v6
	v_subrev_u32_e32 v6, 28, v11
	v_bfe_u32 v10, v4, 3, 4
	v_lshlrev_b64 v[6:7], v6, v[4:5]
	v_sub_u32_e32 v7, 29, v11
	v_cmp_eq_u32_e32 vcc, 0, v10
	v_and_b32_e32 v6, 7, v6
	v_lshlrev_b32_e32 v4, 8, v4
	v_cndmask_b32_e32 v7, v10, v7, vcc
	v_cndmask_b32_e32 v3, v3, v6, vcc
	v_lshl_add_u32 v6, v7, 10, v34
	v_and_or_b32 v4, v4, s47, v6
	v_lshl_or_b32 v3, v3, 7, v4
	v_cvt_f32_f16_e32 v6, v3
.LBB286_677:                            ;   in Loop: Header=BB286_9 Depth=1
	s_or_b64 exec, exec, s[42:43]
	v_lshrrev_b32_e32 v4, 16, v8
	v_cmp_gt_i16_sdwa s[40:41], v4, s17 src0_sel:BYTE_0 src1_sel:DWORD
	s_mov_b64 vcc, 0
                                        ; implicit-def: $sgpr44
	s_and_saveexec_b64 s[42:43], s[40:41]
	s_xor_b64 s[40:41], exec, s[42:43]
	s_cbranch_execnz .LBB286_947
; %bb.678:                              ;   in Loop: Header=BB286_9 Depth=1
	s_or_saveexec_b64 s[40:41], s[40:41]
	v_mov_b32_e32 v14, s44
	s_xor_b64 exec, exec, s[40:41]
	s_cbranch_execnz .LBB286_950
.LBB286_679:                            ;   in Loop: Header=BB286_9 Depth=1
	s_or_b64 exec, exec, s[40:41]
	s_and_saveexec_b64 s[40:41], vcc
	s_cbranch_execz .LBB286_681
.LBB286_680:                            ;   in Loop: Header=BB286_9 Depth=1
	v_bfe_u32 v3, v8, 16, 3
	v_ffbh_u32_e32 v10, v3
	v_bfe_u32 v7, v8, 19, 4
	v_min_u32_e32 v10, 32, v10
	v_subrev_u32_e32 v11, 28, v10
	v_sub_u32_e32 v10, 29, v10
	v_cmp_eq_u32_e32 vcc, 0, v7
	v_lshlrev_b64 v[14:15], v11, v[4:5]
	v_and_b32_e32 v11, 7, v14
	v_cndmask_b32_e32 v7, v7, v10, vcc
	v_lshlrev_b32_e32 v4, 8, v4
	v_lshl_add_u32 v7, v7, 10, v34
	v_cndmask_b32_e32 v3, v3, v11, vcc
	v_and_or_b32 v4, v4, s47, v7
	v_lshl_or_b32 v3, v3, 7, v4
	v_cvt_f32_f16_e32 v14, v3
.LBB286_681:                            ;   in Loop: Header=BB286_9 Depth=1
	s_or_b64 exec, exec, s[40:41]
	v_lshrrev_b32_e32 v4, 24, v8
	v_cmp_lt_i16_e32 vcc, s17, v4
	s_mov_b64 s[40:41], 0
                                        ; implicit-def: $sgpr48
	s_and_saveexec_b64 s[42:43], vcc
	s_xor_b64 s[42:43], exec, s[42:43]
	s_cbranch_execnz .LBB286_951
; %bb.682:                              ;   in Loop: Header=BB286_9 Depth=1
	s_or_saveexec_b64 s[42:43], s[42:43]
	v_mov_b32_e32 v49, s48
	s_xor_b64 exec, exec, s[42:43]
	s_cbranch_execnz .LBB286_954
.LBB286_683:                            ;   in Loop: Header=BB286_9 Depth=1
	s_or_b64 exec, exec, s[42:43]
	s_and_saveexec_b64 s[42:43], s[40:41]
	s_cbranch_execz .LBB286_685
.LBB286_684:                            ;   in Loop: Header=BB286_9 Depth=1
	v_bfe_u32 v3, v8, 24, 3
	v_bfe_u32 v7, v8, 27, 4
	v_ffbh_u32_e32 v8, v3
	v_min_u32_e32 v8, 32, v8
	v_subrev_u32_e32 v10, 28, v8
	v_sub_u32_e32 v8, 29, v8
	v_cmp_eq_u32_e32 vcc, 0, v7
	v_lshlrev_b64 v[16:17], v10, v[4:5]
	v_and_b32_e32 v10, 7, v16
	v_cndmask_b32_e32 v7, v7, v8, vcc
	v_lshlrev_b32_e32 v4, 8, v4
	v_lshl_add_u32 v7, v7, 10, v34
	v_cndmask_b32_e32 v3, v3, v10, vcc
	v_and_or_b32 v4, v4, s47, v7
	v_lshl_or_b32 v3, v3, 7, v4
	v_cvt_f32_f16_e32 v49, v3
.LBB286_685:                            ;   in Loop: Header=BB286_9 Depth=1
	s_or_b64 exec, exec, s[42:43]
	flat_load_dword v8, v[32:33] offset:8
	s_mov_b64 vcc, 0
                                        ; implicit-def: $sgpr44
	s_waitcnt vmcnt(0) lgkmcnt(0)
	v_cmp_gt_i16_sdwa s[40:41], v8, s17 src0_sel:BYTE_0 src1_sel:DWORD
	s_and_saveexec_b64 s[42:43], s[40:41]
	s_xor_b64 s[40:41], exec, s[42:43]
	s_cbranch_execnz .LBB286_955
; %bb.686:                              ;   in Loop: Header=BB286_9 Depth=1
	s_or_saveexec_b64 s[40:41], s[40:41]
	v_mov_b32_e32 v7, s44
	s_xor_b64 exec, exec, s[40:41]
	s_cbranch_execnz .LBB286_958
.LBB286_687:                            ;   in Loop: Header=BB286_9 Depth=1
	s_or_b64 exec, exec, s[40:41]
	s_and_saveexec_b64 s[40:41], vcc
	s_cbranch_execz .LBB286_689
.LBB286_688:                            ;   in Loop: Header=BB286_9 Depth=1
	v_and_b32_e32 v3, 7, v8
	v_ffbh_u32_e32 v7, v3
	v_bfe_u32 v4, v8, 3, 4
	v_min_u32_e32 v7, 32, v7
	v_subrev_u32_e32 v10, 28, v7
	v_sub_u32_e32 v7, 29, v7
	v_cmp_eq_u32_e32 vcc, 0, v4
	v_lshlrev_b64 v[16:17], v10, v[8:9]
	v_and_b32_e32 v10, 7, v16
	v_cndmask_b32_e32 v4, v4, v7, vcc
	v_lshlrev_b32_e32 v7, 8, v8
	v_lshl_add_u32 v4, v4, 10, v34
	v_cndmask_b32_e32 v3, v3, v10, vcc
	v_and_or_b32 v4, v7, s47, v4
	v_lshl_or_b32 v3, v3, 7, v4
	v_cvt_f32_f16_e32 v7, v3
.LBB286_689:                            ;   in Loop: Header=BB286_9 Depth=1
	s_or_b64 exec, exec, s[40:41]
	v_lshrrev_b16_e32 v4, 8, v8
	v_cmp_lt_i16_e32 vcc, s17, v4
	s_mov_b64 s[40:41], 0
                                        ; implicit-def: $sgpr48
	s_and_saveexec_b64 s[42:43], vcc
	s_xor_b64 s[42:43], exec, s[42:43]
	s_cbranch_execnz .LBB286_959
; %bb.690:                              ;   in Loop: Header=BB286_9 Depth=1
	s_or_saveexec_b64 s[42:43], s[42:43]
	v_mov_b32_e32 v15, s48
	s_xor_b64 exec, exec, s[42:43]
	s_cbranch_execnz .LBB286_962
.LBB286_691:                            ;   in Loop: Header=BB286_9 Depth=1
	s_or_b64 exec, exec, s[42:43]
	s_and_saveexec_b64 s[42:43], s[40:41]
	s_cbranch_execz .LBB286_693
.LBB286_692:                            ;   in Loop: Header=BB286_9 Depth=1
	v_and_b32_e32 v3, 7, v4
	v_ffbh_u32_e32 v11, v3
	v_bfe_u32 v10, v4, 3, 4
	v_min_u32_e32 v11, 32, v11
	v_subrev_u32_e32 v12, 28, v11
	v_sub_u32_e32 v11, 29, v11
	v_cmp_eq_u32_e32 vcc, 0, v10
	v_lshlrev_b64 v[16:17], v12, v[4:5]
	v_and_b32_e32 v12, 7, v16
	v_cndmask_b32_e32 v10, v10, v11, vcc
	v_lshlrev_b32_e32 v4, 8, v4
	v_lshl_add_u32 v10, v10, 10, v34
	v_cndmask_b32_e32 v3, v3, v12, vcc
	v_and_or_b32 v4, v4, s47, v10
	v_lshl_or_b32 v3, v3, 7, v4
	v_cvt_f32_f16_e32 v15, v3
.LBB286_693:                            ;   in Loop: Header=BB286_9 Depth=1
	s_or_b64 exec, exec, s[42:43]
	v_lshrrev_b32_e32 v4, 16, v8
	v_cmp_gt_i16_sdwa s[40:41], v4, s17 src0_sel:BYTE_0 src1_sel:DWORD
	s_mov_b64 vcc, 0
                                        ; implicit-def: $sgpr44
	s_and_saveexec_b64 s[42:43], s[40:41]
	s_xor_b64 s[40:41], exec, s[42:43]
	s_cbranch_execnz .LBB286_963
; %bb.694:                              ;   in Loop: Header=BB286_9 Depth=1
	s_or_saveexec_b64 s[40:41], s[40:41]
	v_mov_b32_e32 v16, s44
	s_xor_b64 exec, exec, s[40:41]
	s_cbranch_execnz .LBB286_966
.LBB286_695:                            ;   in Loop: Header=BB286_9 Depth=1
	s_or_b64 exec, exec, s[40:41]
	s_and_saveexec_b64 s[40:41], vcc
	s_cbranch_execz .LBB286_697
.LBB286_696:                            ;   in Loop: Header=BB286_9 Depth=1
	v_bfe_u32 v3, v8, 16, 3
	v_ffbh_u32_e32 v11, v3
	v_bfe_u32 v10, v8, 19, 4
	v_min_u32_e32 v11, 32, v11
	v_subrev_u32_e32 v12, 28, v11
	v_sub_u32_e32 v11, 29, v11
	v_cmp_eq_u32_e32 vcc, 0, v10
	v_lshlrev_b64 v[16:17], v12, v[4:5]
	v_and_b32_e32 v12, 7, v16
	v_cndmask_b32_e32 v10, v10, v11, vcc
	v_lshlrev_b32_e32 v4, 8, v4
	v_lshl_add_u32 v10, v10, 10, v34
	v_cndmask_b32_e32 v3, v3, v12, vcc
	v_and_or_b32 v4, v4, s47, v10
	v_lshl_or_b32 v3, v3, 7, v4
	v_cvt_f32_f16_e32 v16, v3
.LBB286_697:                            ;   in Loop: Header=BB286_9 Depth=1
	s_or_b64 exec, exec, s[40:41]
	v_lshrrev_b32_e32 v4, 24, v8
	v_cmp_lt_i16_e32 vcc, s17, v4
	s_mov_b64 s[40:41], 0
                                        ; implicit-def: $sgpr48
	s_and_saveexec_b64 s[42:43], vcc
	s_xor_b64 s[42:43], exec, s[42:43]
	s_cbranch_execnz .LBB286_967
; %bb.698:                              ;   in Loop: Header=BB286_9 Depth=1
	s_or_saveexec_b64 s[42:43], s[42:43]
	v_mov_b32_e32 v22, s48
	s_xor_b64 exec, exec, s[42:43]
	s_cbranch_execnz .LBB286_970
.LBB286_699:                            ;   in Loop: Header=BB286_9 Depth=1
	s_or_b64 exec, exec, s[42:43]
	s_and_saveexec_b64 s[42:43], s[40:41]
	s_cbranch_execz .LBB286_701
.LBB286_700:                            ;   in Loop: Header=BB286_9 Depth=1
	v_bfe_u32 v3, v8, 24, 3
	v_ffbh_u32_e32 v10, v3
	v_bfe_u32 v8, v8, 27, 4
	v_min_u32_e32 v10, 32, v10
	v_subrev_u32_e32 v11, 28, v10
	v_sub_u32_e32 v10, 29, v10
	v_cmp_eq_u32_e32 vcc, 0, v8
	v_lshlrev_b64 v[32:33], v11, v[4:5]
	v_and_b32_e32 v11, 7, v32
	v_cndmask_b32_e32 v8, v8, v10, vcc
	v_lshlrev_b32_e32 v4, 8, v4
	v_lshl_add_u32 v8, v8, 10, v34
	v_cndmask_b32_e32 v3, v3, v11, vcc
	v_and_or_b32 v4, v4, s47, v8
	v_lshl_or_b32 v3, v3, 7, v4
	v_cvt_f32_f16_e32 v22, v3
.LBB286_701:                            ;   in Loop: Header=BB286_9 Depth=1
	s_or_b64 exec, exec, s[42:43]
	v_add_co_u32_e32 v32, vcc, 0x1000, v30
                                        ; implicit-def: $sgpr44
	s_nop 1
	v_addc_co_u32_e32 v33, vcc, 0, v31, vcc
	flat_load_dword v8, v[32:33] offset:3072
	s_mov_b64 vcc, 0
	s_waitcnt vmcnt(0) lgkmcnt(0)
	v_cmp_gt_i16_sdwa s[40:41], v8, s17 src0_sel:BYTE_0 src1_sel:DWORD
	s_and_saveexec_b64 s[42:43], s[40:41]
	s_xor_b64 s[40:41], exec, s[42:43]
	s_cbranch_execnz .LBB286_971
; %bb.702:                              ;   in Loop: Header=BB286_9 Depth=1
	s_or_saveexec_b64 s[40:41], s[40:41]
	v_mov_b32_e32 v3, s44
	s_xor_b64 exec, exec, s[40:41]
	s_cbranch_execnz .LBB286_974
.LBB286_703:                            ;   in Loop: Header=BB286_9 Depth=1
	s_or_b64 exec, exec, s[40:41]
	s_and_saveexec_b64 s[40:41], vcc
	s_cbranch_execz .LBB286_705
.LBB286_704:                            ;   in Loop: Header=BB286_9 Depth=1
	v_and_b32_e32 v3, 7, v8
	v_ffbh_u32_e32 v10, v3
	v_bfe_u32 v4, v8, 3, 4
	v_min_u32_e32 v10, 32, v10
	v_subrev_u32_e32 v11, 28, v10
	v_sub_u32_e32 v10, 29, v10
	v_cmp_eq_u32_e32 vcc, 0, v4
	v_lshlrev_b64 v[32:33], v11, v[8:9]
	v_and_b32_e32 v11, 7, v32
	v_cndmask_b32_e32 v4, v4, v10, vcc
	v_lshlrev_b32_e32 v10, 8, v8
	v_lshl_add_u32 v4, v4, 10, v34
	v_cndmask_b32_e32 v3, v3, v11, vcc
	v_and_or_b32 v4, v10, s47, v4
	v_lshl_or_b32 v3, v3, 7, v4
	v_cvt_f32_f16_e32 v3, v3
.LBB286_705:                            ;   in Loop: Header=BB286_9 Depth=1
	s_or_b64 exec, exec, s[40:41]
	v_lshrrev_b16_e32 v4, 8, v8
	v_lshl_add_u64 v[32:33], v[30:31], 0, s[36:37]
	v_cmp_lt_i16_e32 vcc, s17, v4
	s_mov_b64 s[40:41], 0
                                        ; implicit-def: $sgpr48
	s_and_saveexec_b64 s[42:43], vcc
	s_xor_b64 s[42:43], exec, s[42:43]
	s_cbranch_execnz .LBB286_975
; %bb.706:                              ;   in Loop: Header=BB286_9 Depth=1
	s_or_saveexec_b64 s[42:43], s[42:43]
	v_mov_b32_e32 v37, s48
	s_xor_b64 exec, exec, s[42:43]
	s_cbranch_execnz .LBB286_978
.LBB286_707:                            ;   in Loop: Header=BB286_9 Depth=1
	s_or_b64 exec, exec, s[42:43]
	s_and_saveexec_b64 s[42:43], s[40:41]
	s_cbranch_execz .LBB286_709
.LBB286_708:                            ;   in Loop: Header=BB286_9 Depth=1
	v_and_b32_e32 v12, 7, v4
	v_ffbh_u32_e32 v10, v12
	v_min_u32_e32 v37, 32, v10
	v_subrev_u32_e32 v10, 28, v37
	v_bfe_u32 v17, v4, 3, 4
	v_lshlrev_b64 v[10:11], v10, v[4:5]
	v_sub_u32_e32 v11, 29, v37
	v_cmp_eq_u32_e32 vcc, 0, v17
	v_and_b32_e32 v10, 7, v10
	v_lshlrev_b32_e32 v4, 8, v4
	v_cndmask_b32_e32 v11, v17, v11, vcc
	v_lshl_add_u32 v11, v11, 10, v34
	v_cndmask_b32_e32 v10, v12, v10, vcc
	v_and_or_b32 v4, v4, s47, v11
	v_lshl_or_b32 v4, v10, 7, v4
	v_cvt_f32_f16_e32 v37, v4
.LBB286_709:                            ;   in Loop: Header=BB286_9 Depth=1
	s_or_b64 exec, exec, s[42:43]
	v_lshrrev_b32_e32 v4, 16, v8
	v_cmp_gt_i16_sdwa s[40:41], v4, s17 src0_sel:BYTE_0 src1_sel:DWORD
	s_mov_b64 vcc, 0
                                        ; implicit-def: $sgpr44
	s_and_saveexec_b64 s[42:43], s[40:41]
	s_xor_b64 s[40:41], exec, s[42:43]
	s_cbranch_execnz .LBB286_979
; %bb.710:                              ;   in Loop: Header=BB286_9 Depth=1
	s_or_saveexec_b64 s[40:41], s[40:41]
	v_mov_b32_e32 v51, s44
	s_xor_b64 exec, exec, s[40:41]
	s_cbranch_execnz .LBB286_982
.LBB286_711:                            ;   in Loop: Header=BB286_9 Depth=1
	s_or_b64 exec, exec, s[40:41]
	s_and_saveexec_b64 s[40:41], vcc
	s_cbranch_execz .LBB286_713
.LBB286_712:                            ;   in Loop: Header=BB286_9 Depth=1
	v_bfe_u32 v12, v8, 16, 3
	v_ffbh_u32_e32 v10, v12
	v_min_u32_e32 v48, 32, v10
	v_subrev_u32_e32 v10, 28, v48
	v_bfe_u32 v17, v8, 19, 4
	v_lshlrev_b64 v[10:11], v10, v[4:5]
	v_sub_u32_e32 v11, 29, v48
	v_cmp_eq_u32_e32 vcc, 0, v17
	v_and_b32_e32 v10, 7, v10
	v_lshlrev_b32_e32 v4, 8, v4
	v_cndmask_b32_e32 v11, v17, v11, vcc
	v_lshl_add_u32 v11, v11, 10, v34
	v_cndmask_b32_e32 v10, v12, v10, vcc
	v_and_or_b32 v4, v4, s47, v11
	v_lshl_or_b32 v4, v10, 7, v4
	v_cvt_f32_f16_e32 v51, v4
.LBB286_713:                            ;   in Loop: Header=BB286_9 Depth=1
	s_or_b64 exec, exec, s[40:41]
	v_lshrrev_b32_e32 v4, 24, v8
	v_cmp_lt_i16_e32 vcc, s17, v4
	s_mov_b64 s[40:41], 0
                                        ; implicit-def: $sgpr48
	s_and_saveexec_b64 s[42:43], vcc
	s_xor_b64 s[42:43], exec, s[42:43]
	s_cbranch_execnz .LBB286_983
; %bb.714:                              ;   in Loop: Header=BB286_9 Depth=1
	s_or_saveexec_b64 s[42:43], s[42:43]
	v_mov_b32_e32 v53, s48
	s_xor_b64 exec, exec, s[42:43]
	s_cbranch_execnz .LBB286_986
.LBB286_715:                            ;   in Loop: Header=BB286_9 Depth=1
	s_or_b64 exec, exec, s[42:43]
	s_and_saveexec_b64 s[42:43], s[40:41]
	s_cbranch_execz .LBB286_717
.LBB286_716:                            ;   in Loop: Header=BB286_9 Depth=1
	v_bfe_u32 v12, v8, 24, 3
	v_ffbh_u32_e32 v10, v12
	v_min_u32_e32 v17, 32, v10
	v_subrev_u32_e32 v10, 28, v17
	v_bfe_u32 v8, v8, 27, 4
	v_lshlrev_b64 v[10:11], v10, v[4:5]
	v_sub_u32_e32 v11, 29, v17
	v_cmp_eq_u32_e32 vcc, 0, v8
	v_and_b32_e32 v10, 7, v10
	v_lshlrev_b32_e32 v4, 8, v4
	v_cndmask_b32_e32 v8, v8, v11, vcc
	v_lshl_add_u32 v8, v8, 10, v34
	v_cndmask_b32_e32 v10, v12, v10, vcc
	v_and_or_b32 v4, v4, s47, v8
	v_lshl_or_b32 v4, v10, 7, v4
	v_cvt_f32_f16_e32 v53, v4
.LBB286_717:                            ;   in Loop: Header=BB286_9 Depth=1
	s_or_b64 exec, exec, s[42:43]
	flat_load_dword v8, v[32:33] offset:8
	s_mov_b64 vcc, 0
                                        ; implicit-def: $sgpr44
	s_waitcnt vmcnt(0) lgkmcnt(0)
	v_cmp_gt_i16_sdwa s[40:41], v8, s17 src0_sel:BYTE_0 src1_sel:DWORD
	s_and_saveexec_b64 s[42:43], s[40:41]
	s_xor_b64 s[40:41], exec, s[42:43]
	s_cbranch_execnz .LBB286_987
; %bb.718:                              ;   in Loop: Header=BB286_9 Depth=1
	s_or_saveexec_b64 s[40:41], s[40:41]
	v_mov_b32_e32 v32, s44
	s_xor_b64 exec, exec, s[40:41]
	s_cbranch_execnz .LBB286_990
.LBB286_719:                            ;   in Loop: Header=BB286_9 Depth=1
	s_or_b64 exec, exec, s[40:41]
	s_and_saveexec_b64 s[40:41], vcc
	s_cbranch_execz .LBB286_721
.LBB286_720:                            ;   in Loop: Header=BB286_9 Depth=1
	v_and_b32_e32 v4, 7, v8
	v_ffbh_u32_e32 v10, v4
	v_min_u32_e32 v17, 32, v10
	v_subrev_u32_e32 v10, 28, v17
	v_bfe_u32 v12, v8, 3, 4
	v_lshlrev_b64 v[10:11], v10, v[8:9]
	v_sub_u32_e32 v11, 29, v17
	v_cmp_eq_u32_e32 vcc, 0, v12
	v_and_b32_e32 v10, 7, v10
	s_nop 0
	v_cndmask_b32_e32 v11, v12, v11, vcc
	v_cndmask_b32_e32 v4, v4, v10, vcc
	v_lshlrev_b32_e32 v10, 8, v8
	v_lshl_add_u32 v11, v11, 10, v34
	v_and_or_b32 v10, v10, s47, v11
	v_lshl_or_b32 v4, v4, 7, v10
	v_cvt_f32_f16_e32 v32, v4
.LBB286_721:                            ;   in Loop: Header=BB286_9 Depth=1
	s_or_b64 exec, exec, s[40:41]
	v_lshrrev_b16_e32 v4, 8, v8
	v_cmp_lt_i16_e32 vcc, s17, v4
	s_mov_b64 s[40:41], 0
                                        ; implicit-def: $sgpr48
	s_and_saveexec_b64 s[42:43], vcc
	s_xor_b64 s[42:43], exec, s[42:43]
	s_cbranch_execnz .LBB286_991
; %bb.722:                              ;   in Loop: Header=BB286_9 Depth=1
	s_or_saveexec_b64 s[42:43], s[42:43]
	v_mov_b32_e32 v12, s48
	s_xor_b64 exec, exec, s[42:43]
	s_cbranch_execnz .LBB286_994
.LBB286_723:                            ;   in Loop: Header=BB286_9 Depth=1
	s_or_b64 exec, exec, s[42:43]
	s_and_saveexec_b64 s[42:43], s[40:41]
	s_cbranch_execz .LBB286_725
.LBB286_724:                            ;   in Loop: Header=BB286_9 Depth=1
	v_and_b32_e32 v12, 7, v4
	v_ffbh_u32_e32 v10, v12
	v_min_u32_e32 v33, 32, v10
	v_subrev_u32_e32 v10, 28, v33
	v_bfe_u32 v17, v4, 3, 4
	v_lshlrev_b64 v[10:11], v10, v[4:5]
	v_sub_u32_e32 v11, 29, v33
	v_cmp_eq_u32_e32 vcc, 0, v17
	v_and_b32_e32 v10, 7, v10
	v_lshlrev_b32_e32 v4, 8, v4
	v_cndmask_b32_e32 v11, v17, v11, vcc
	v_lshl_add_u32 v11, v11, 10, v34
	v_cndmask_b32_e32 v10, v12, v10, vcc
	v_and_or_b32 v4, v4, s47, v11
	v_lshl_or_b32 v4, v10, 7, v4
	v_cvt_f32_f16_e32 v12, v4
.LBB286_725:                            ;   in Loop: Header=BB286_9 Depth=1
	s_or_b64 exec, exec, s[42:43]
	v_lshrrev_b32_e32 v4, 16, v8
	v_cmp_gt_i16_sdwa s[40:41], v4, s17 src0_sel:BYTE_0 src1_sel:DWORD
	s_mov_b64 vcc, 0
                                        ; implicit-def: $sgpr44
	s_and_saveexec_b64 s[42:43], s[40:41]
	s_xor_b64 s[40:41], exec, s[42:43]
	s_cbranch_execnz .LBB286_995
; %bb.726:                              ;   in Loop: Header=BB286_9 Depth=1
	s_or_saveexec_b64 s[40:41], s[40:41]
	v_mov_b32_e32 v33, s44
	s_xor_b64 exec, exec, s[40:41]
	s_cbranch_execnz .LBB286_998
.LBB286_727:                            ;   in Loop: Header=BB286_9 Depth=1
	s_or_b64 exec, exec, s[40:41]
	s_and_saveexec_b64 s[40:41], vcc
	s_cbranch_execz .LBB286_729
.LBB286_728:                            ;   in Loop: Header=BB286_9 Depth=1
	v_bfe_u32 v17, v8, 16, 3
	v_ffbh_u32_e32 v10, v17
	v_min_u32_e32 v48, 32, v10
	v_subrev_u32_e32 v10, 28, v48
	v_bfe_u32 v33, v8, 19, 4
	v_lshlrev_b64 v[10:11], v10, v[4:5]
	v_sub_u32_e32 v11, 29, v48
	v_cmp_eq_u32_e32 vcc, 0, v33
	v_and_b32_e32 v10, 7, v10
	v_lshlrev_b32_e32 v4, 8, v4
	v_cndmask_b32_e32 v11, v33, v11, vcc
	v_lshl_add_u32 v11, v11, 10, v34
	v_cndmask_b32_e32 v10, v17, v10, vcc
	v_and_or_b32 v4, v4, s47, v11
	v_lshl_or_b32 v4, v10, 7, v4
	v_cvt_f32_f16_e32 v33, v4
.LBB286_729:                            ;   in Loop: Header=BB286_9 Depth=1
	s_or_b64 exec, exec, s[40:41]
	v_lshrrev_b32_e32 v4, 24, v8
	v_cmp_lt_i16_e32 vcc, s17, v4
	s_mov_b64 s[40:41], 0
                                        ; implicit-def: $sgpr48
	s_and_saveexec_b64 s[42:43], vcc
	s_xor_b64 s[42:43], exec, s[42:43]
	s_cbranch_execnz .LBB286_999
; %bb.730:                              ;   in Loop: Header=BB286_9 Depth=1
	s_or_saveexec_b64 s[42:43], s[42:43]
	v_mov_b32_e32 v41, s48
	s_xor_b64 exec, exec, s[42:43]
	s_cbranch_execnz .LBB286_1002
.LBB286_731:                            ;   in Loop: Header=BB286_9 Depth=1
	s_or_b64 exec, exec, s[42:43]
	s_and_saveexec_b64 s[42:43], s[40:41]
	s_cbranch_execz .LBB286_733
.LBB286_732:                            ;   in Loop: Header=BB286_9 Depth=1
	v_bfe_u32 v17, v8, 24, 3
	v_ffbh_u32_e32 v10, v17
	v_min_u32_e32 v48, 32, v10
	v_subrev_u32_e32 v10, 28, v48
	v_bfe_u32 v8, v8, 27, 4
	v_lshlrev_b64 v[10:11], v10, v[4:5]
	v_sub_u32_e32 v11, 29, v48
	v_cmp_eq_u32_e32 vcc, 0, v8
	v_and_b32_e32 v10, 7, v10
	v_lshlrev_b32_e32 v4, 8, v4
	v_cndmask_b32_e32 v8, v8, v11, vcc
	v_lshl_add_u32 v8, v8, 10, v34
	v_cndmask_b32_e32 v10, v17, v10, vcc
	v_and_or_b32 v4, v4, s47, v8
	v_lshl_or_b32 v4, v10, 7, v4
	v_cvt_f32_f16_e32 v41, v4
.LBB286_733:                            ;   in Loop: Header=BB286_9 Depth=1
	s_or_b64 exec, exec, s[42:43]
	v_add_co_u32_e32 v10, vcc, 0x1000, v30
                                        ; implicit-def: $sgpr44
	s_nop 1
	v_addc_co_u32_e32 v11, vcc, 0, v31, vcc
	flat_load_dword v8, v[10:11] offset:3584
	s_mov_b64 vcc, 0
	s_waitcnt vmcnt(0) lgkmcnt(0)
	v_cmp_gt_i16_sdwa s[40:41], v8, s17 src0_sel:BYTE_0 src1_sel:DWORD
	s_and_saveexec_b64 s[42:43], s[40:41]
	s_xor_b64 s[40:41], exec, s[42:43]
	s_cbranch_execnz .LBB286_1003
; %bb.734:                              ;   in Loop: Header=BB286_9 Depth=1
	s_or_saveexec_b64 s[40:41], s[40:41]
	v_mov_b32_e32 v45, s44
	s_xor_b64 exec, exec, s[40:41]
	s_cbranch_execnz .LBB286_1006
.LBB286_735:                            ;   in Loop: Header=BB286_9 Depth=1
	s_or_b64 exec, exec, s[40:41]
	s_and_saveexec_b64 s[40:41], vcc
	s_cbranch_execz .LBB286_737
.LBB286_736:                            ;   in Loop: Header=BB286_9 Depth=1
	v_and_b32_e32 v4, 7, v8
	v_ffbh_u32_e32 v10, v4
	v_min_u32_e32 v48, 32, v10
	v_subrev_u32_e32 v10, 28, v48
	v_bfe_u32 v17, v8, 3, 4
	v_lshlrev_b64 v[10:11], v10, v[8:9]
	v_sub_u32_e32 v11, 29, v48
	v_cmp_eq_u32_e32 vcc, 0, v17
	v_and_b32_e32 v10, 7, v10
	s_nop 0
	v_cndmask_b32_e32 v11, v17, v11, vcc
	v_cndmask_b32_e32 v4, v4, v10, vcc
	v_lshlrev_b32_e32 v10, 8, v8
	v_lshl_add_u32 v11, v11, 10, v34
	v_and_or_b32 v10, v10, s47, v11
	v_lshl_or_b32 v4, v4, 7, v10
	v_cvt_f32_f16_e32 v45, v4
.LBB286_737:                            ;   in Loop: Header=BB286_9 Depth=1
	s_or_b64 exec, exec, s[40:41]
	v_lshrrev_b16_e32 v4, 8, v8
	v_lshl_add_u64 v[30:31], v[30:31], 0, s[38:39]
	v_cmp_lt_i16_e32 vcc, s17, v4
	s_mov_b64 s[40:41], 0
                                        ; implicit-def: $sgpr48
	s_and_saveexec_b64 s[42:43], vcc
	s_xor_b64 s[42:43], exec, s[42:43]
	s_cbranch_execnz .LBB286_1007
; %bb.738:                              ;   in Loop: Header=BB286_9 Depth=1
	s_or_saveexec_b64 s[42:43], s[42:43]
	v_mov_b32_e32 v46, s48
	s_xor_b64 exec, exec, s[42:43]
	s_cbranch_execnz .LBB286_1010
.LBB286_739:                            ;   in Loop: Header=BB286_9 Depth=1
	s_or_b64 exec, exec, s[42:43]
	s_and_saveexec_b64 s[42:43], s[40:41]
	s_cbranch_execz .LBB286_741
.LBB286_740:                            ;   in Loop: Header=BB286_9 Depth=1
	v_and_b32_e32 v17, 7, v4
	v_ffbh_u32_e32 v10, v17
	v_min_u32_e32 v54, 32, v10
	v_subrev_u32_e32 v10, 28, v54
	v_bfe_u32 v48, v4, 3, 4
	v_lshlrev_b64 v[10:11], v10, v[4:5]
	v_sub_u32_e32 v11, 29, v54
	v_cmp_eq_u32_e32 vcc, 0, v48
	v_and_b32_e32 v10, 7, v10
	v_lshlrev_b32_e32 v4, 8, v4
	v_cndmask_b32_e32 v11, v48, v11, vcc
	v_lshl_add_u32 v11, v11, 10, v34
	v_cndmask_b32_e32 v10, v17, v10, vcc
	v_and_or_b32 v4, v4, s47, v11
	v_lshl_or_b32 v4, v10, 7, v4
	v_cvt_f32_f16_e32 v46, v4
.LBB286_741:                            ;   in Loop: Header=BB286_9 Depth=1
	s_or_b64 exec, exec, s[42:43]
	v_lshrrev_b32_e32 v4, 16, v8
	v_cmp_gt_i16_sdwa s[40:41], v4, s17 src0_sel:BYTE_0 src1_sel:DWORD
	s_mov_b64 vcc, 0
                                        ; implicit-def: $sgpr44
	s_and_saveexec_b64 s[42:43], s[40:41]
	s_xor_b64 s[40:41], exec, s[42:43]
	s_cbranch_execnz .LBB286_1011
; %bb.742:                              ;   in Loop: Header=BB286_9 Depth=1
	s_or_saveexec_b64 s[40:41], s[40:41]
	v_mov_b32_e32 v48, s44
	s_xor_b64 exec, exec, s[40:41]
	s_cbranch_execnz .LBB286_1014
.LBB286_743:                            ;   in Loop: Header=BB286_9 Depth=1
	s_or_b64 exec, exec, s[40:41]
	s_and_saveexec_b64 s[40:41], vcc
	s_cbranch_execz .LBB286_745
.LBB286_744:                            ;   in Loop: Header=BB286_9 Depth=1
	v_bfe_u32 v17, v8, 16, 3
	v_ffbh_u32_e32 v10, v17
	v_min_u32_e32 v54, 32, v10
	v_subrev_u32_e32 v10, 28, v54
	v_bfe_u32 v48, v8, 19, 4
	v_lshlrev_b64 v[10:11], v10, v[4:5]
	v_sub_u32_e32 v11, 29, v54
	v_cmp_eq_u32_e32 vcc, 0, v48
	v_and_b32_e32 v10, 7, v10
	v_lshlrev_b32_e32 v4, 8, v4
	v_cndmask_b32_e32 v11, v48, v11, vcc
	v_lshl_add_u32 v11, v11, 10, v34
	v_cndmask_b32_e32 v10, v17, v10, vcc
	v_and_or_b32 v4, v4, s47, v11
	v_lshl_or_b32 v4, v10, 7, v4
	v_cvt_f32_f16_e32 v48, v4
.LBB286_745:                            ;   in Loop: Header=BB286_9 Depth=1
	s_or_b64 exec, exec, s[40:41]
	v_lshrrev_b32_e32 v4, 24, v8
	v_cmp_lt_i16_e32 vcc, s17, v4
	s_mov_b64 s[40:41], 0
                                        ; implicit-def: $sgpr48
	s_and_saveexec_b64 s[42:43], vcc
	s_xor_b64 s[42:43], exec, s[42:43]
	s_cbranch_execnz .LBB286_1015
; %bb.746:                              ;   in Loop: Header=BB286_9 Depth=1
	s_or_saveexec_b64 s[42:43], s[42:43]
	v_mov_b32_e32 v56, s48
	s_xor_b64 exec, exec, s[42:43]
	s_cbranch_execnz .LBB286_1018
.LBB286_747:                            ;   in Loop: Header=BB286_9 Depth=1
	s_or_b64 exec, exec, s[42:43]
	s_and_saveexec_b64 s[42:43], s[40:41]
	s_cbranch_execz .LBB286_749
.LBB286_748:                            ;   in Loop: Header=BB286_9 Depth=1
	v_bfe_u32 v17, v8, 24, 3
	v_ffbh_u32_e32 v10, v17
	v_min_u32_e32 v54, 32, v10
	v_subrev_u32_e32 v10, 28, v54
	v_bfe_u32 v8, v8, 27, 4
	v_lshlrev_b64 v[10:11], v10, v[4:5]
	v_sub_u32_e32 v11, 29, v54
	v_cmp_eq_u32_e32 vcc, 0, v8
	v_and_b32_e32 v10, 7, v10
	v_lshlrev_b32_e32 v4, 8, v4
	v_cndmask_b32_e32 v8, v8, v11, vcc
	v_lshl_add_u32 v8, v8, 10, v34
	v_cndmask_b32_e32 v10, v17, v10, vcc
	v_and_or_b32 v4, v4, s47, v8
	v_lshl_or_b32 v4, v10, 7, v4
	v_cvt_f32_f16_e32 v56, v4
.LBB286_749:                            ;   in Loop: Header=BB286_9 Depth=1
	s_or_b64 exec, exec, s[42:43]
	flat_load_dword v8, v[30:31] offset:8
	s_mov_b64 vcc, 0
                                        ; implicit-def: $sgpr44
	s_waitcnt vmcnt(0) lgkmcnt(0)
	v_cmp_gt_i16_sdwa s[40:41], v8, s17 src0_sel:BYTE_0 src1_sel:DWORD
	s_and_saveexec_b64 s[42:43], s[40:41]
	s_xor_b64 s[40:41], exec, s[42:43]
	s_cbranch_execnz .LBB286_1019
; %bb.750:                              ;   in Loop: Header=BB286_9 Depth=1
	s_or_saveexec_b64 s[40:41], s[40:41]
	v_mov_b32_e32 v31, s44
	s_xor_b64 exec, exec, s[40:41]
	s_cbranch_execnz .LBB286_1022
.LBB286_751:                            ;   in Loop: Header=BB286_9 Depth=1
	s_or_b64 exec, exec, s[40:41]
	s_and_saveexec_b64 s[40:41], vcc
	s_cbranch_execz .LBB286_753
.LBB286_752:                            ;   in Loop: Header=BB286_9 Depth=1
	v_and_b32_e32 v4, 7, v8
	v_ffbh_u32_e32 v10, v4
	v_min_u32_e32 v30, 32, v10
	v_subrev_u32_e32 v10, 28, v30
	v_bfe_u32 v17, v8, 3, 4
	v_lshlrev_b64 v[10:11], v10, v[8:9]
	v_sub_u32_e32 v11, 29, v30
	v_cmp_eq_u32_e32 vcc, 0, v17
	v_and_b32_e32 v10, 7, v10
	s_nop 0
	v_cndmask_b32_e32 v11, v17, v11, vcc
	v_cndmask_b32_e32 v4, v4, v10, vcc
	v_lshlrev_b32_e32 v10, 8, v8
	v_lshl_add_u32 v11, v11, 10, v34
	v_and_or_b32 v10, v10, s47, v11
	v_lshl_or_b32 v4, v4, 7, v10
	v_cvt_f32_f16_e32 v31, v4
.LBB286_753:                            ;   in Loop: Header=BB286_9 Depth=1
	s_or_b64 exec, exec, s[40:41]
	v_lshrrev_b16_e32 v4, 8, v8
	v_cmp_lt_i16_e32 vcc, s17, v4
	s_mov_b64 s[40:41], 0
                                        ; implicit-def: $sgpr48
	s_and_saveexec_b64 s[42:43], vcc
	s_xor_b64 s[42:43], exec, s[42:43]
	s_cbranch_execnz .LBB286_1023
; %bb.754:                              ;   in Loop: Header=BB286_9 Depth=1
	s_or_saveexec_b64 s[42:43], s[42:43]
	v_mov_b32_e32 v30, s48
	s_xor_b64 exec, exec, s[42:43]
	s_cbranch_execnz .LBB286_1026
.LBB286_755:                            ;   in Loop: Header=BB286_9 Depth=1
	s_or_b64 exec, exec, s[42:43]
	s_and_saveexec_b64 s[42:43], s[40:41]
	s_cbranch_execz .LBB286_757
.LBB286_756:                            ;   in Loop: Header=BB286_9 Depth=1
	v_and_b32_e32 v17, 7, v4
	v_ffbh_u32_e32 v10, v17
	v_min_u32_e32 v54, 32, v10
	v_subrev_u32_e32 v10, 28, v54
	v_bfe_u32 v30, v4, 3, 4
	v_lshlrev_b64 v[10:11], v10, v[4:5]
	v_sub_u32_e32 v11, 29, v54
	v_cmp_eq_u32_e32 vcc, 0, v30
	v_and_b32_e32 v10, 7, v10
	v_lshlrev_b32_e32 v4, 8, v4
	v_cndmask_b32_e32 v11, v30, v11, vcc
	v_lshl_add_u32 v11, v11, 10, v34
	v_cndmask_b32_e32 v10, v17, v10, vcc
	v_and_or_b32 v4, v4, s47, v11
	v_lshl_or_b32 v4, v10, 7, v4
	v_cvt_f32_f16_e32 v30, v4
.LBB286_757:                            ;   in Loop: Header=BB286_9 Depth=1
	s_or_b64 exec, exec, s[42:43]
	v_lshrrev_b32_e32 v4, 16, v8
	v_cmp_gt_i16_sdwa s[40:41], v4, s17 src0_sel:BYTE_0 src1_sel:DWORD
	s_mov_b64 vcc, 0
                                        ; implicit-def: $sgpr44
	s_and_saveexec_b64 s[42:43], s[40:41]
	s_xor_b64 s[40:41], exec, s[42:43]
	s_cbranch_execnz .LBB286_1027
; %bb.758:                              ;   in Loop: Header=BB286_9 Depth=1
	s_or_saveexec_b64 s[40:41], s[40:41]
	v_mov_b32_e32 v54, s44
	s_xor_b64 exec, exec, s[40:41]
	s_cbranch_execnz .LBB286_1030
.LBB286_759:                            ;   in Loop: Header=BB286_9 Depth=1
	s_or_b64 exec, exec, s[40:41]
	s_and_saveexec_b64 s[40:41], vcc
	s_cbranch_execz .LBB286_761
.LBB286_760:                            ;   in Loop: Header=BB286_9 Depth=1
	v_bfe_u32 v17, v8, 16, 3
	v_ffbh_u32_e32 v10, v17
	v_accvgpr_write_b32 a35, v62
	v_min_u32_e32 v62, 32, v10
	v_subrev_u32_e32 v10, 28, v62
	v_bfe_u32 v54, v8, 19, 4
	v_lshlrev_b64 v[10:11], v10, v[4:5]
	v_sub_u32_e32 v11, 29, v62
	v_cmp_eq_u32_e32 vcc, 0, v54
	v_and_b32_e32 v10, 7, v10
	v_lshlrev_b32_e32 v4, 8, v4
	v_cndmask_b32_e32 v11, v54, v11, vcc
	v_lshl_add_u32 v11, v11, 10, v34
	v_cndmask_b32_e32 v10, v17, v10, vcc
	v_and_or_b32 v4, v4, s47, v11
	v_lshl_or_b32 v4, v10, 7, v4
	v_cvt_f32_f16_e32 v54, v4
	v_accvgpr_read_b32 v62, a35
.LBB286_761:                            ;   in Loop: Header=BB286_9 Depth=1
	s_or_b64 exec, exec, s[40:41]
	v_lshrrev_b32_e32 v4, 24, v8
	v_cmp_lt_i16_e32 vcc, s17, v4
	s_mov_b64 s[40:41], 0
                                        ; implicit-def: $sgpr48
	s_and_saveexec_b64 s[42:43], vcc
	s_xor_b64 s[42:43], exec, s[42:43]
	s_cbranch_execnz .LBB286_1031
; %bb.762:                              ;   in Loop: Header=BB286_9 Depth=1
	s_or_saveexec_b64 s[42:43], s[42:43]
	v_mov_b32_e32 v17, s48
	s_xor_b64 exec, exec, s[42:43]
	s_cbranch_execnz .LBB286_1034
.LBB286_763:                            ;   in Loop: Header=BB286_9 Depth=1
	s_or_b64 exec, exec, s[42:43]
	v_accvgpr_write_b32 a35, v9
	s_and_saveexec_b64 s[42:43], s[40:41]
	s_cbranch_execz .LBB286_765
.LBB286_764:                            ;   in Loop: Header=BB286_9 Depth=1
	v_bfe_u32 v17, v8, 24, 3
	v_ffbh_u32_e32 v10, v17
	v_mov_b32_e32 v9, v62
	v_min_u32_e32 v62, 32, v10
	v_subrev_u32_e32 v10, 28, v62
	v_bfe_u32 v8, v8, 27, 4
	v_lshlrev_b64 v[10:11], v10, v[4:5]
	v_sub_u32_e32 v11, 29, v62
	v_cmp_eq_u32_e32 vcc, 0, v8
	v_and_b32_e32 v10, 7, v10
	v_lshlrev_b32_e32 v4, 8, v4
	v_cndmask_b32_e32 v8, v8, v11, vcc
	v_lshl_add_u32 v8, v8, 10, v34
	v_cndmask_b32_e32 v10, v17, v10, vcc
	v_and_or_b32 v4, v4, s47, v8
	v_lshl_or_b32 v4, v10, 7, v4
	v_cvt_f32_f16_e32 v17, v4
	v_mov_b32_e32 v62, v9
.LBB286_765:                            ;   in Loop: Header=BB286_9 Depth=1
	s_or_b64 exec, exec, s[42:43]
	v_fma_mixlo_f16 v1, v0, v1, 0
	v_accvgpr_write_b32 a24, v1
	v_fma_mixlo_f16 v1, v0, v52, 0
	v_accvgpr_write_b32 a18, v1
	;; [unrolled: 2-line block ×15, first 2 shown]
	scratch_load_dword v1, off, s32 offset:456 ; 4-byte Folded Reload
	v_fma_mixlo_f16 v4, v0, v46, 0
	scratch_store_dword off, v4, s32 offset:520 ; 4-byte Folded Spill
	v_fma_mixlo_f16 v4, v0, v45, 0
	scratch_store_dword off, v4, s32 offset:524 ; 4-byte Folded Spill
	;; [unrolled: 2-line block ×8, first 2 shown]
	v_fma_mixlo_f16 v4, v0, v37, 0
	v_fma_mixlo_f16 v3, v0, v3, 0
	v_accvgpr_write_b32 a57, v3
	v_fma_mixlo_f16 v3, v0, v51, 0
	v_accvgpr_write_b32 a55, v3
	v_fma_mixlo_f16 v3, v0, v53, 0
	scratch_store_dword off, v3, s32 offset:544 ; 4-byte Folded Spill
	v_fma_mixlo_f16 v3, v0, v15, 0
	v_accvgpr_write_b32 a60, v3
	v_fma_mixlo_f16 v3, v0, v7, 0
	v_accvgpr_write_b32 a61, v3
	v_fma_mixlo_f16 v3, v0, v16, 0
	v_accvgpr_write_b32 a59, v3
	v_fma_mixlo_f16 v3, v0, v22, 0
	v_accvgpr_write_b32 a58, v3
	v_fma_mixlo_f16 v3, v0, v6, 0
	v_accvgpr_write_b32 a54, v3
	v_fma_mixlo_f16 v3, v0, v23, 0
	v_accvgpr_write_b32 a53, v3
	v_fma_mixlo_f16 v3, v0, v14, 0
	v_accvgpr_write_b32 a63, v3
	v_fma_mixlo_f16 v3, v0, v49, 0
	v_accvgpr_write_b32 a62, v3
	v_fma_mixlo_f16 v3, v0, v36, 0
	v_accvgpr_write_b32 a50, v3
	v_fma_mixlo_f16 v3, v0, v39, 0
	v_accvgpr_write_b32 a49, v3
	v_fma_mixlo_f16 v3, v0, v35, 0
	v_accvgpr_write_b32 a51, v3
	v_fma_mixlo_f16 v3, v0, v38, 0
	v_accvgpr_write_b32 a52, v3
	v_fma_mixlo_f16 v3, v0, v50, 0
	v_accvgpr_write_b32 a46, v3
	v_fma_mixlo_f16 v3, v0, v47, 0
	v_accvgpr_write_b32 a37, v3
	v_fma_mixlo_f16 v3, v0, v25, 0
	v_accvgpr_write_b32 a47, v3
	v_fma_mixlo_f16 v3, v0, v27, 0
	v_accvgpr_write_b32 a48, v3
	v_fma_mixlo_f16 v3, v0, v43, 0
	v_accvgpr_write_b32 a19, v3
	v_fma_mixlo_f16 v3, v0, v42, 0
	v_accvgpr_write_b32 a30, v3
	v_fma_mixlo_f16 v3, v0, v29, 0
	v_accvgpr_write_b32 a34, v3
	v_fma_mixlo_f16 v3, v0, v19, 0
	v_accvgpr_write_b32 a36, v3
	v_fma_mixlo_f16 v3, v0, v44, 0
	v_accvgpr_write_b32 a17, v3
	v_accvgpr_write_b32 a56, v4
	v_fma_mixlo_f16 v52, v0, v62, 0
	scratch_load_dword v6, off, s32 offset:268 ; 4-byte Folded Reload
	s_waitcnt vmcnt(10)
	v_fma_mixlo_f16 v1, v0, v1, 0
	v_accvgpr_write_b32 a31, v1
	scratch_load_dword v1, off, s32 offset:452 ; 4-byte Folded Reload
	s_waitcnt vmcnt(1)
	v_fma_mixlo_f16 v45, v0, v6, 0
	scratch_load_dword v6, off, s32 offset:504 ; 4-byte Folded Reload
	s_waitcnt vmcnt(1)
	v_fma_mixlo_f16 v1, v0, v1, 0
	v_accvgpr_write_b32 a32, v1
	v_fma_mixlo_f16 v1, v0, v28, 0
	v_accvgpr_write_b32 a14, v1
	;; [unrolled: 2-line block ×3, first 2 shown]
	scratch_load_dword v1, off, s32 offset:448 ; 4-byte Folded Reload
	s_waitcnt vmcnt(1)
	v_fma_mixlo_f16 v38, v0, v6, 0
	scratch_load_dword v6, off, s32 offset:272 ; 4-byte Folded Reload
	s_waitcnt vmcnt(1)
	v_fma_mixlo_f16 v1, v0, v1, 0
	v_accvgpr_write_b32 a43, v1
	scratch_load_dword v1, off, s32 offset:444 ; 4-byte Folded Reload
	s_waitcnt vmcnt(1)
	v_fma_mixlo_f16 v35, v0, v6, 0
	scratch_load_dword v6, off, s32 offset:276 ; 4-byte Folded Reload
	s_waitcnt vmcnt(1)
	v_fma_mixlo_f16 v1, v0, v1, 0
	v_accvgpr_write_b32 a28, v1
	v_accvgpr_read_b32 v1, a44
	v_fma_mixlo_f16 v1, v0, v1, 0
	v_accvgpr_write_b32 a42, v1
	v_accvgpr_read_b32 v1, a45
	v_fma_mixlo_f16 v1, v0, v1, 0
	v_accvgpr_write_b32 a44, v1
	scratch_load_dword v1, off, s32 offset:432 ; 4-byte Folded Reload
	s_waitcnt vmcnt(1)
	v_fma_mixlo_f16 v44, v0, v6, 0
	scratch_load_dword v6, off, s32 offset:256 ; 4-byte Folded Reload
	s_waitcnt vmcnt(1)
	v_fma_mixlo_f16 v1, v0, v1, 0
	v_accvgpr_write_b32 a13, v1
	scratch_load_dword v1, off, s32 offset:428 ; 4-byte Folded Reload
	s_waitcnt vmcnt(1)
	v_fma_mixlo_f16 v28, v0, v6, 0
	scratch_load_dword v6, off, s32 offset:500 ; 4-byte Folded Reload
	s_waitcnt vmcnt(1)
	;; [unrolled: 7-line block ×6, first 2 shown]
	v_fma_mixlo_f16 v1, v0, v1, 0
	v_accvgpr_write_b32 a8, v1
	v_accvgpr_read_b32 v1, a0
	v_fma_mixlo_f16 v1, v0, v1, 0
	v_accvgpr_write_b32 a10, v1
	v_accvgpr_read_b32 v1, a1
	v_fma_mixlo_f16 v1, v0, v1, 0
	v_accvgpr_write_b32 a11, v1
	scratch_load_dword v1, off, s32 offset:408 ; 4-byte Folded Reload
	s_waitcnt vmcnt(1)
	v_fma_mixlo_f16 v58, v0, v6, 0
	scratch_load_dword v6, off, s32 offset:248 ; 4-byte Folded Reload
	s_waitcnt vmcnt(1)
	v_fma_mixlo_f16 v1, v0, v1, 0
	v_accvgpr_write_b32 a5, v1
	scratch_load_dword v1, off, s32 offset:404 ; 4-byte Folded Reload
	s_waitcnt vmcnt(1)
	v_fma_mixlo_f16 v57, v0, v6, 0
	scratch_load_dword v6, off, s32 offset:252 ; 4-byte Folded Reload
	s_waitcnt vmcnt(1)
	;; [unrolled: 7-line block ×7, first 2 shown]
	v_fma_mixlo_f16 v1, v0, v1, 0
	v_accvgpr_write_b32 a2, v1
	scratch_load_dword v1, off, s32 offset:400 ; 4-byte Folded Reload
	s_waitcnt vmcnt(1)
	v_fma_mixlo_f16 v21, v0, v6, 0
	scratch_load_dword v6, off, s32 offset:488 ; 4-byte Folded Reload
	v_and_b32_e32 v21, 0xffff, v21
	s_waitcnt vmcnt(1)
	v_fma_mixlo_f16 v1, v0, v1, 0
	v_accvgpr_write_b32 a3, v1
	scratch_load_dword v1, off, s32 offset:376 ; 4-byte Folded Reload
	s_waitcnt vmcnt(1)
	v_fma_mixlo_f16 v10, v0, v6, 0
	scratch_load_dword v6, off, s32 offset:224 ; 4-byte Folded Reload
	v_and_b32_e32 v10, 0xffff, v10
	s_waitcnt vmcnt(1)
	v_fma_mixlo_f16 v37, v0, v1, 0
	scratch_load_dword v1, off, s32 offset:372 ; 4-byte Folded Reload
	s_waitcnt vmcnt(1)
	v_fma_mixlo_f16 v13, v0, v6, 0
	scratch_load_dword v6, off, s32 offset:228 ; 4-byte Folded Reload
	v_and_b32_e32 v13, 0xffff, v13
	s_waitcnt vmcnt(1)
	v_fma_mixlo_f16 v33, v0, v1, 0
	scratch_load_dword v1, off, s32 offset:380 ; 4-byte Folded Reload
	s_waitcnt vmcnt(1)
	v_fma_mixlo_f16 v11, v0, v6, 0
	v_accvgpr_read_b32 v6, a35
	v_fma_mixlo_f16 v19, v0, v6, 0
	scratch_load_dword v6, off, s32 offset:484 ; 4-byte Folded Reload
	v_and_b32_e32 v11, 0xffff, v11
	v_and_b32_e32 v19, 0xffff, v19
	s_waitcnt vmcnt(1)
	v_fma_mixlo_f16 v51, v0, v1, 0
	scratch_load_dword v1, off, s32 offset:384 ; 4-byte Folded Reload
	s_waitcnt vmcnt(1)
	v_fma_mixlo_f16 v49, v0, v6, 0
	scratch_load_dword v6, off, s32 offset:216 ; 4-byte Folded Reload
	;; [unrolled: 3-line block ×3, first 2 shown]
	s_waitcnt vmcnt(1)
	v_fma_mixlo_f16 v62, v0, v6, 0
	v_fma_mixlo_f16 v6, v0, v30, 0
	scratch_store_dword off, v6, s32 offset:224 ; 4-byte Folded Spill
	v_fma_mixlo_f16 v6, v0, v31, 0
	v_accvgpr_write_b32 a35, v6
	v_fma_mixlo_f16 v6, v0, v54, 0
	scratch_store_dword off, v6, s32 offset:220 ; 4-byte Folded Spill
	scratch_load_dword v6, off, s32 offset:564 ; 4-byte Folded Reload
	s_waitcnt vmcnt(3)
	v_fma_mixlo_f16 v55, v0, v1, 0
	scratch_load_dword v1, off, s32 offset:356 ; 4-byte Folded Reload
	s_waitcnt vmcnt(1)
	ds_read_b64 v[30:31], v6
	s_waitcnt vmcnt(0)
	v_fma_mixlo_f16 v20, v0, v1, 0
	scratch_load_dword v1, off, s32 offset:364 ; 4-byte Folded Reload
	s_waitcnt vmcnt(0)
	v_fma_mixlo_f16 v22, v0, v1, 0
	scratch_load_dword v1, off, s32 offset:368 ; 4-byte Folded Reload
	;; [unrolled: 3-line block ×16, first 2 shown]
	v_and_b32_e32 v3, 0xffff, v3
	s_waitcnt vmcnt(0)
	v_fma_mixlo_f16 v2, v0, v1, 0
	scratch_load_dword v1, off, s32 offset:300 ; 4-byte Folded Reload
	v_and_b32_e32 v2, 0xffff, v2
	s_waitcnt vmcnt(0)
	v_fma_mixlo_f16 v4, v0, v1, 0
	scratch_load_dword v1, off, s32 offset:304 ; 4-byte Folded Reload
	s_waitcnt vmcnt(0)
	v_fma_mixlo_f16 v7, v0, v1, 0
	scratch_load_dword v1, off, s32 offset:280 ; 4-byte Folded Reload
	;; [unrolled: 3-line block ×5, first 2 shown]
	s_waitcnt vmcnt(0)
	v_fma_mixlo_f16 v1, v0, v1, 0
	v_fma_mixlo_f16 v0, v0, v17, 0
	s_waitcnt lgkmcnt(0)
	v_lshrrev_b32_e32 v17, 16, v30
	v_and_b32_e32 v30, 0xffff, v30
	scratch_store_dword off, v0, s32 offset:216 ; 4-byte Folded Spill
	;;#ASMSTART
	v_cvt_f32_f16 v54, v30;
	;;#ASMEND
	v_and_b32_e32 v30, 0xffff, v49
	;;#ASMSTART
	v_cvt_f32_f16 v17, v17;
	;;#ASMEND
	;;#ASMSTART
	v_cvt_f32_f16 v49, v30;
	;;#ASMEND
	;; [unrolled: 3-line block ×3, first 2 shown]
	v_and_b32_e32 v1, 0xffff, v1
	v_lshrrev_b32_e32 v30, 16, v31
	v_and_b32_e32 v31, 0xffff, v31
	;;#ASMSTART
	v_cvt_f32_f16 v0, v31;
	;;#ASMEND
	;;#ASMSTART
	v_cvt_f32_f16 v61, v30;
	;;#ASMEND
	v_and_b32_e32 v30, 0xffff, v52
	;;#ASMSTART
	v_cvt_f32_f16 v52, v30;
	;;#ASMEND
	v_and_b32_e32 v30, 0xffff, v62
	;;#ASMSTART
	v_cvt_f32_f16 v62, v30;
	;;#ASMEND
	ds_read_b64 v[30:31], v6 offset:8
	s_waitcnt lgkmcnt(0)
	v_lshrrev_b32_e32 v18, 16, v30
	v_and_b32_e32 v30, 0xffff, v30
	;;#ASMSTART
	v_cvt_f32_f16 v30, v30;
	;;#ASMEND
	;;#ASMSTART
	v_cvt_f32_f16 v18, v18;
	;;#ASMEND
	;; [unrolled: 3-line block ×4, first 2 shown]
	s_nop 0
	v_mul_f32_e32 v50, v30, v10
	v_mul_f32_e32 v10, v18, v21
	v_and_b32_e32 v18, 0xffff, v31
	v_fmac_f32_e32 v50, v54, v49
	v_fmac_f32_e32 v10, v17, v19
	v_lshrrev_b32_e32 v17, 16, v31
	;;#ASMSTART
	v_cvt_f32_f16 v18, v18;
	;;#ASMEND
	;;#ASMSTART
	v_cvt_f32_f16 v17, v17;
	;;#ASMEND
	;; [unrolled: 3-line block ×4, first 2 shown]
	ds_read_b64 v[30:31], v6 offset:16
	v_mul_f32_e32 v11, v18, v13
	v_and_b32_e32 v18, 0xffff, v60
	v_fmac_f32_e32 v11, v0, v52
	v_mul_f32_e32 v13, v17, v19
	v_and_b32_e32 v19, 0xffff, v48
	v_fmac_f32_e32 v13, v61, v62
	s_waitcnt lgkmcnt(0)
	v_lshrrev_b32_e32 v0, 16, v30
	v_and_b32_e32 v17, 0xffff, v30
	;;#ASMSTART
	v_cvt_f32_f16 v17, v17;
	;;#ASMEND
	;;#ASMSTART
	v_cvt_f32_f16 v0, v0;
	;;#ASMEND
	;;#ASMSTART
	v_cvt_f32_f16 v18, v18;
	;;#ASMEND
	;;#ASMSTART
	v_cvt_f32_f16 v19, v19;
	;;#ASMEND
	s_nop 0
	v_fmac_f32_e32 v50, v17, v18
	v_fmac_f32_e32 v10, v0, v19
	v_lshrrev_b32_e32 v0, 16, v31
	v_and_b32_e32 v17, 0xffff, v31
	v_and_b32_e32 v18, 0xffff, v59
	v_and_b32_e32 v19, 0xffff, v29
	;;#ASMSTART
	v_cvt_f32_f16 v17, v17;
	;;#ASMEND
	;;#ASMSTART
	v_cvt_f32_f16 v0, v0;
	;;#ASMEND
	;;#ASMSTART
	v_cvt_f32_f16 v18, v18;
	;;#ASMEND
	;;#ASMSTART
	v_cvt_f32_f16 v19, v19;
	;;#ASMEND
	ds_read_b64 v[30:31], v6 offset:24
	v_fmac_f32_e32 v11, v17, v18
	v_fmac_f32_e32 v13, v0, v19
	v_and_b32_e32 v18, 0xffff, v58
	v_and_b32_e32 v19, 0xffff, v42
	s_waitcnt lgkmcnt(0)
	v_lshrrev_b32_e32 v0, 16, v30
	v_and_b32_e32 v17, 0xffff, v30
	;;#ASMSTART
	v_cvt_f32_f16 v17, v17;
	;;#ASMEND
	;;#ASMSTART
	v_cvt_f32_f16 v0, v0;
	;;#ASMEND
	;;#ASMSTART
	v_cvt_f32_f16 v18, v18;
	;;#ASMEND
	;;#ASMSTART
	v_cvt_f32_f16 v19, v19;
	;;#ASMEND
	s_nop 0
	v_fmac_f32_e32 v50, v17, v18
	v_fmac_f32_e32 v10, v0, v19
	v_lshrrev_b32_e32 v0, 16, v31
	v_and_b32_e32 v17, 0xffff, v31
	v_and_b32_e32 v18, 0xffff, v57
	v_and_b32_e32 v19, 0xffff, v23
	;;#ASMSTART
	v_cvt_f32_f16 v17, v17;
	;;#ASMEND
	;;#ASMSTART
	v_cvt_f32_f16 v0, v0;
	;;#ASMEND
	;;#ASMSTART
	v_cvt_f32_f16 v18, v18;
	;;#ASMEND
	;;#ASMSTART
	v_cvt_f32_f16 v19, v19;
	;;#ASMEND
	ds_read_b64 v[30:31], v6 offset:32
	v_fmac_f32_e32 v11, v17, v18
	v_fmac_f32_e32 v13, v0, v19
	v_and_b32_e32 v18, 0xffff, v56
	v_and_b32_e32 v19, 0xffff, v28
	;; [unrolled: 39-line block ×4, first 2 shown]
	s_waitcnt lgkmcnt(0)
	v_lshrrev_b32_e32 v0, 16, v28
	v_and_b32_e32 v17, 0xffff, v28
	;;#ASMSTART
	v_cvt_f32_f16 v17, v17;
	;;#ASMEND
	;;#ASMSTART
	v_cvt_f32_f16 v0, v0;
	;;#ASMEND
	;; [unrolled: 3-line block ×4, first 2 shown]
	s_nop 0
	v_fmac_f32_e32 v50, v17, v18
	v_fmac_f32_e32 v10, v0, v19
	v_lshrrev_b32_e32 v0, 16, v29
	v_and_b32_e32 v17, 0xffff, v29
	v_and_b32_e32 v18, 0xffff, v39
	;;#ASMSTART
	v_cvt_f32_f16 v17, v17;
	;;#ASMEND
	;;#ASMSTART
	v_cvt_f32_f16 v0, v0;
	;;#ASMEND
	;; [unrolled: 3-line block ×4, first 2 shown]
	ds_read_b64 v[28:29], v6 offset:56
	v_fmac_f32_e32 v13, v0, v1
	v_fmac_f32_e32 v11, v17, v18
	s_waitcnt lgkmcnt(0)
	v_lshrrev_b32_e32 v0, 16, v28
	v_and_b32_e32 v1, 0xffff, v28
	;;#ASMSTART
	v_cvt_f32_f16 v1, v1;
	;;#ASMEND
	;;#ASMSTART
	v_cvt_f32_f16 v0, v0;
	;;#ASMEND
	;;#ASMSTART
	v_cvt_f32_f16 v2, v2;
	;;#ASMEND
	;;#ASMSTART
	v_cvt_f32_f16 v3, v3;
	;;#ASMEND
	s_nop 0
	v_fmac_f32_e32 v50, v1, v2
	v_fmac_f32_e32 v10, v0, v3
	v_lshrrev_b32_e32 v0, 16, v29
	v_and_b32_e32 v1, 0xffff, v29
	v_and_b32_e32 v2, 0xffff, v4
	v_and_b32_e32 v3, 0xffff, v7
	v_and_b32_e32 v4, 0xffff, v9
	;;#ASMSTART
	v_cvt_f32_f16 v1, v1;
	;;#ASMEND
	;;#ASMSTART
	v_cvt_f32_f16 v0, v0;
	;;#ASMEND
	;;#ASMSTART
	v_cvt_f32_f16 v2, v2;
	;;#ASMEND
	;;#ASMSTART
	v_cvt_f32_f16 v3, v3;
	;;#ASMEND
	s_nop 0
	v_fmac_f32_e32 v11, v1, v2
	v_fmac_f32_e32 v13, v0, v3
	ds_read_b64 v[2:3], v6 offset:64
	s_waitcnt lgkmcnt(0)
	v_lshrrev_b32_e32 v0, 16, v2
	v_and_b32_e32 v1, 0xffff, v2
	v_and_b32_e32 v2, 0xffff, v8
	;;#ASMSTART
	v_cvt_f32_f16 v1, v1;
	;;#ASMEND
	;;#ASMSTART
	v_cvt_f32_f16 v0, v0;
	;;#ASMEND
	;;#ASMSTART
	v_cvt_f32_f16 v2, v2;
	;;#ASMEND
	;;#ASMSTART
	v_cvt_f32_f16 v4, v4;
	;;#ASMEND
	s_nop 0
	v_fmac_f32_e32 v50, v1, v2
	v_fmac_f32_e32 v10, v0, v4
	v_lshrrev_b32_e32 v0, 16, v3
	v_and_b32_e32 v1, 0xffff, v3
	v_and_b32_e32 v2, 0xffff, v12
	v_and_b32_e32 v3, 0xffff, v14
	v_and_b32_e32 v4, 0xffff, v16
	;;#ASMSTART
	v_cvt_f32_f16 v1, v1;
	;;#ASMEND
	;;#ASMSTART
	v_cvt_f32_f16 v0, v0;
	;;#ASMEND
	;;#ASMSTART
	v_cvt_f32_f16 v2, v2;
	;;#ASMEND
	;;#ASMSTART
	v_cvt_f32_f16 v3, v3;
	;;#ASMEND
	s_nop 0
	v_fmac_f32_e32 v11, v1, v2
	v_fmac_f32_e32 v13, v0, v3
	ds_read_b64 v[2:3], v6 offset:72
	s_waitcnt lgkmcnt(0)
	v_lshrrev_b32_e32 v0, 16, v2
	v_and_b32_e32 v1, 0xffff, v2
	;; [unrolled: 40-line block ×5, first 2 shown]
	v_and_b32_e32 v2, 0xffff, v33
	;;#ASMSTART
	v_cvt_f32_f16 v1, v1;
	;;#ASMEND
	;;#ASMSTART
	v_cvt_f32_f16 v0, v0;
	;;#ASMEND
	;; [unrolled: 3-line block ×4, first 2 shown]
	s_nop 0
	v_fmac_f32_e32 v50, v1, v2
	v_fmac_f32_e32 v10, v0, v4
	v_lshrrev_b32_e32 v0, 16, v3
	v_and_b32_e32 v1, 0xffff, v3
	v_and_b32_e32 v2, 0xffff, v51
	v_and_b32_e32 v3, 0xffff, v53
	v_accvgpr_read_b32 v4, a1
	;;#ASMSTART
	v_cvt_f32_f16 v1, v1;
	;;#ASMEND
	;;#ASMSTART
	v_cvt_f32_f16 v0, v0;
	;;#ASMEND
	;; [unrolled: 3-line block ×4, first 2 shown]
	v_and_b32_e32 v4, 0xffff, v4
	v_fmac_f32_e32 v11, v1, v2
	v_fmac_f32_e32 v13, v0, v3
	ds_read_b64 v[2:3], v6 offset:104
	s_waitcnt lgkmcnt(0)
	v_lshrrev_b32_e32 v0, 16, v2
	v_and_b32_e32 v1, 0xffff, v2
	v_accvgpr_read_b32 v2, a0
	v_and_b32_e32 v2, 0xffff, v2
	;;#ASMSTART
	v_cvt_f32_f16 v1, v1;
	;;#ASMEND
	;;#ASMSTART
	v_cvt_f32_f16 v0, v0;
	;;#ASMEND
	;;#ASMSTART
	v_cvt_f32_f16 v2, v2;
	;;#ASMEND
	;;#ASMSTART
	v_cvt_f32_f16 v4, v4;
	;;#ASMEND
	s_nop 0
	v_fmac_f32_e32 v50, v1, v2
	v_fmac_f32_e32 v10, v0, v4
	v_lshrrev_b32_e32 v0, 16, v3
	v_and_b32_e32 v1, 0xffff, v3
	v_accvgpr_read_b32 v3, a3
	v_accvgpr_read_b32 v2, a2
	v_and_b32_e32 v3, 0xffff, v3
	;;#ASMSTART
	v_cvt_f32_f16 v1, v1;
	;;#ASMEND
	;;#ASMSTART
	v_cvt_f32_f16 v0, v0;
	;;#ASMEND
	v_accvgpr_read_b32 v4, a5
	v_and_b32_e32 v2, 0xffff, v2
	v_and_b32_e32 v4, 0xffff, v4
	;;#ASMSTART
	v_cvt_f32_f16 v2, v2;
	;;#ASMEND
	;;#ASMSTART
	v_cvt_f32_f16 v3, v3;
	;;#ASMEND
	s_nop 0
	v_fmac_f32_e32 v11, v1, v2
	v_fmac_f32_e32 v13, v0, v3
	ds_read_b64 v[2:3], v6 offset:112
	s_waitcnt lgkmcnt(0)
	v_lshrrev_b32_e32 v0, 16, v2
	v_and_b32_e32 v1, 0xffff, v2
	v_accvgpr_read_b32 v2, a4
	v_and_b32_e32 v2, 0xffff, v2
	;;#ASMSTART
	v_cvt_f32_f16 v1, v1;
	;;#ASMEND
	;;#ASMSTART
	v_cvt_f32_f16 v0, v0;
	;;#ASMEND
	;;#ASMSTART
	v_cvt_f32_f16 v2, v2;
	;;#ASMEND
	;;#ASMSTART
	v_cvt_f32_f16 v4, v4;
	;;#ASMEND
	s_nop 0
	v_fmac_f32_e32 v50, v1, v2
	v_fmac_f32_e32 v10, v0, v4
	v_lshrrev_b32_e32 v0, 16, v3
	v_and_b32_e32 v1, 0xffff, v3
	v_accvgpr_read_b32 v3, a7
	v_accvgpr_read_b32 v2, a6
	v_and_b32_e32 v3, 0xffff, v3
	;;#ASMSTART
	v_cvt_f32_f16 v1, v1;
	;;#ASMEND
	;;#ASMSTART
	v_cvt_f32_f16 v0, v0;
	;;#ASMEND
	v_accvgpr_read_b32 v4, a9
	v_and_b32_e32 v2, 0xffff, v2
	v_and_b32_e32 v4, 0xffff, v4
	;;#ASMSTART
	v_cvt_f32_f16 v2, v2;
	;;#ASMEND
	;;#ASMSTART
	v_cvt_f32_f16 v3, v3;
	;;#ASMEND
	s_nop 0
	;; [unrolled: 44-line block ×5, first 2 shown]
	v_fmac_f32_e32 v11, v1, v2
	v_fmac_f32_e32 v13, v0, v3
	ds_read_b64 v[2:3], v6 offset:144
	s_waitcnt lgkmcnt(0)
	v_lshrrev_b32_e32 v0, 16, v2
	v_and_b32_e32 v1, 0xffff, v2
	v_accvgpr_read_b32 v2, a32
	v_and_b32_e32 v2, 0xffff, v2
	;;#ASMSTART
	v_cvt_f32_f16 v1, v1;
	;;#ASMEND
	;;#ASMSTART
	v_cvt_f32_f16 v0, v0;
	;;#ASMEND
	;;#ASMSTART
	v_cvt_f32_f16 v2, v2;
	;;#ASMEND
	;;#ASMSTART
	v_cvt_f32_f16 v4, v4;
	;;#ASMEND
	s_nop 0
	v_fmac_f32_e32 v50, v1, v2
	v_fmac_f32_e32 v10, v0, v4
	v_lshrrev_b32_e32 v0, 16, v3
	v_and_b32_e32 v1, 0xffff, v3
	v_accvgpr_read_b32 v3, a41
	v_accvgpr_read_b32 v2, a14
	v_and_b32_e32 v3, 0xffff, v3
	;;#ASMSTART
	v_cvt_f32_f16 v1, v1;
	;;#ASMEND
	;;#ASMSTART
	v_cvt_f32_f16 v0, v0;
	;;#ASMEND
	v_accvgpr_read_b32 v4, a22
	v_and_b32_e32 v2, 0xffff, v2
	v_and_b32_e32 v4, 0xffff, v4
	;;#ASMSTART
	v_cvt_f32_f16 v2, v2;
	;;#ASMEND
	;;#ASMSTART
	v_cvt_f32_f16 v3, v3;
	;;#ASMEND
	ds_read_b64 v[30:31], v6 offset:152
	v_fmac_f32_e32 v11, v1, v2
	v_fmac_f32_e32 v13, v0, v3
	v_accvgpr_read_b32 v2, a40
	v_accvgpr_read_b32 v3, a39
	v_and_b32_e32 v2, 0xffff, v2
	v_and_b32_e32 v3, 0xffff, v3
	s_waitcnt lgkmcnt(0)
	v_lshrrev_b32_e32 v0, 16, v30
	v_and_b32_e32 v1, 0xffff, v30
	;;#ASMSTART
	v_cvt_f32_f16 v1, v1;
	;;#ASMEND
	;;#ASMSTART
	v_cvt_f32_f16 v0, v0;
	;;#ASMEND
	;; [unrolled: 3-line block ×4, first 2 shown]
	s_nop 0
	v_fmac_f32_e32 v50, v1, v2
	v_fmac_f32_e32 v10, v0, v3
	v_accvgpr_read_b32 v2, a38
	v_accvgpr_read_b32 v3, a15
	v_lshrrev_b32_e32 v0, 16, v31
	v_and_b32_e32 v1, 0xffff, v31
	v_and_b32_e32 v2, 0xffff, v2
	;; [unrolled: 1-line block ×3, first 2 shown]
	;;#ASMSTART
	v_cvt_f32_f16 v1, v1;
	;;#ASMEND
	;;#ASMSTART
	v_cvt_f32_f16 v0, v0;
	;;#ASMEND
	;; [unrolled: 3-line block ×4, first 2 shown]
	s_nop 0
	v_fmac_f32_e32 v11, v1, v2
	v_fmac_f32_e32 v13, v0, v3
	ds_read_b64 v[2:3], v6 offset:160
	s_waitcnt lgkmcnt(0)
	v_lshrrev_b32_e32 v0, 16, v2
	v_and_b32_e32 v1, 0xffff, v2
	v_accvgpr_read_b32 v2, a33
	v_and_b32_e32 v2, 0xffff, v2
	;;#ASMSTART
	v_cvt_f32_f16 v1, v1;
	;;#ASMEND
	;;#ASMSTART
	v_cvt_f32_f16 v0, v0;
	;;#ASMEND
	;; [unrolled: 3-line block ×4, first 2 shown]
	s_nop 0
	v_fmac_f32_e32 v50, v1, v2
	v_fmac_f32_e32 v10, v0, v4
	v_lshrrev_b32_e32 v0, 16, v3
	v_and_b32_e32 v1, 0xffff, v3
	v_accvgpr_read_b32 v3, a21
	v_accvgpr_read_b32 v2, a16
	v_and_b32_e32 v3, 0xffff, v3
	;;#ASMSTART
	v_cvt_f32_f16 v1, v1;
	;;#ASMEND
	;;#ASMSTART
	v_cvt_f32_f16 v0, v0;
	;;#ASMEND
	v_accvgpr_read_b32 v4, a17
	v_and_b32_e32 v2, 0xffff, v2
	v_and_b32_e32 v4, 0xffff, v4
	;;#ASMSTART
	v_cvt_f32_f16 v2, v2;
	;;#ASMEND
	;;#ASMSTART
	v_cvt_f32_f16 v3, v3;
	;;#ASMEND
	ds_read_b64 v[30:31], v6 offset:168
	v_fmac_f32_e32 v11, v1, v2
	v_fmac_f32_e32 v13, v0, v3
	v_accvgpr_read_b32 v2, a20
	v_accvgpr_read_b32 v3, a27
	v_and_b32_e32 v2, 0xffff, v2
	v_and_b32_e32 v3, 0xffff, v3
	s_waitcnt lgkmcnt(0)
	v_lshrrev_b32_e32 v0, 16, v30
	v_and_b32_e32 v1, 0xffff, v30
	;;#ASMSTART
	v_cvt_f32_f16 v1, v1;
	;;#ASMEND
	;;#ASMSTART
	v_cvt_f32_f16 v0, v0;
	;;#ASMEND
	;; [unrolled: 3-line block ×4, first 2 shown]
	s_nop 0
	v_fmac_f32_e32 v50, v1, v2
	v_fmac_f32_e32 v10, v0, v3
	v_accvgpr_read_b32 v2, a26
	v_accvgpr_read_b32 v3, a25
	v_lshrrev_b32_e32 v0, 16, v31
	v_and_b32_e32 v1, 0xffff, v31
	v_and_b32_e32 v2, 0xffff, v2
	;; [unrolled: 1-line block ×3, first 2 shown]
	;;#ASMSTART
	v_cvt_f32_f16 v1, v1;
	;;#ASMEND
	;;#ASMSTART
	v_cvt_f32_f16 v0, v0;
	;;#ASMEND
	;; [unrolled: 3-line block ×4, first 2 shown]
	s_nop 0
	v_fmac_f32_e32 v11, v1, v2
	v_fmac_f32_e32 v13, v0, v3
	ds_read_b64 v[2:3], v6 offset:176
	s_waitcnt lgkmcnt(0)
	v_lshrrev_b32_e32 v0, 16, v2
	v_and_b32_e32 v1, 0xffff, v2
	v_accvgpr_read_b32 v2, a24
	v_and_b32_e32 v2, 0xffff, v2
	;;#ASMSTART
	v_cvt_f32_f16 v1, v1;
	;;#ASMEND
	;;#ASMSTART
	v_cvt_f32_f16 v0, v0;
	;;#ASMEND
	;;#ASMSTART
	v_cvt_f32_f16 v2, v2;
	;;#ASMEND
	;;#ASMSTART
	v_cvt_f32_f16 v4, v4;
	;;#ASMEND
	s_nop 0
	v_fmac_f32_e32 v50, v1, v2
	v_fmac_f32_e32 v10, v0, v4
	v_lshrrev_b32_e32 v0, 16, v3
	v_and_b32_e32 v1, 0xffff, v3
	v_accvgpr_read_b32 v3, a23
	v_accvgpr_read_b32 v2, a18
	v_and_b32_e32 v3, 0xffff, v3
	;;#ASMSTART
	v_cvt_f32_f16 v1, v1;
	;;#ASMEND
	;;#ASMSTART
	v_cvt_f32_f16 v0, v0;
	;;#ASMEND
	v_accvgpr_read_b32 v4, a19
	v_and_b32_e32 v2, 0xffff, v2
	v_and_b32_e32 v4, 0xffff, v4
	;;#ASMSTART
	v_cvt_f32_f16 v2, v2;
	;;#ASMEND
	;;#ASMSTART
	v_cvt_f32_f16 v3, v3;
	;;#ASMEND
	s_nop 0
	v_fmac_f32_e32 v11, v1, v2
	v_fmac_f32_e32 v13, v0, v3
	ds_read_b64 v[2:3], v6 offset:184
	s_waitcnt lgkmcnt(0)
	v_lshrrev_b32_e32 v0, 16, v2
	v_and_b32_e32 v1, 0xffff, v2
	v_accvgpr_read_b32 v2, a30
	v_and_b32_e32 v2, 0xffff, v2
	;;#ASMSTART
	v_cvt_f32_f16 v1, v1;
	;;#ASMEND
	;;#ASMSTART
	v_cvt_f32_f16 v0, v0;
	;;#ASMEND
	;;#ASMSTART
	v_cvt_f32_f16 v2, v2;
	;;#ASMEND
	;;#ASMSTART
	v_cvt_f32_f16 v4, v4;
	;;#ASMEND
	s_nop 0
	v_fmac_f32_e32 v50, v1, v2
	v_fmac_f32_e32 v10, v0, v4
	v_lshrrev_b32_e32 v0, 16, v3
	v_and_b32_e32 v1, 0xffff, v3
	v_accvgpr_read_b32 v3, a36
	v_accvgpr_read_b32 v2, a34
	v_and_b32_e32 v3, 0xffff, v3
	;;#ASMSTART
	v_cvt_f32_f16 v1, v1;
	;;#ASMEND
	;;#ASMSTART
	v_cvt_f32_f16 v0, v0;
	;;#ASMEND
	v_accvgpr_read_b32 v4, a46
	v_and_b32_e32 v2, 0xffff, v2
	v_and_b32_e32 v4, 0xffff, v4
	;;#ASMSTART
	v_cvt_f32_f16 v2, v2;
	;;#ASMEND
	;;#ASMSTART
	v_cvt_f32_f16 v3, v3;
	;;#ASMEND
	;; [unrolled: 44-line block ×6, first 2 shown]
	s_nop 0
	v_fmac_f32_e32 v11, v1, v2
	v_fmac_f32_e32 v13, v0, v3
	ds_read_b64 v[2:3], v6 offset:224
	s_waitcnt lgkmcnt(0)
	v_lshrrev_b32_e32 v0, 16, v2
	v_and_b32_e32 v1, 0xffff, v2
	v_accvgpr_read_b32 v2, a57
	v_and_b32_e32 v2, 0xffff, v2
	;;#ASMSTART
	v_cvt_f32_f16 v1, v1;
	;;#ASMEND
	;;#ASMSTART
	v_cvt_f32_f16 v0, v0;
	;;#ASMEND
	;;#ASMSTART
	v_cvt_f32_f16 v2, v2;
	;;#ASMEND
	;;#ASMSTART
	v_cvt_f32_f16 v4, v4;
	;;#ASMEND
	s_nop 0
	v_fmac_f32_e32 v50, v1, v2
	v_fmac_f32_e32 v10, v0, v4
	v_lshrrev_b32_e32 v0, 16, v3
	v_and_b32_e32 v1, 0xffff, v3
	v_accvgpr_read_b32 v2, a55
	;;#ASMSTART
	v_cvt_f32_f16 v1, v1;
	;;#ASMEND
	;;#ASMSTART
	v_cvt_f32_f16 v0, v0;
	;;#ASMEND
	v_and_b32_e32 v2, 0xffff, v2
	;;#ASMSTART
	v_cvt_f32_f16 v2, v2;
	;;#ASMEND
	scratch_load_dword v3, off, s32 offset:544 ; 4-byte Folded Reload
	v_fmac_f32_e32 v11, v1, v2
	s_waitcnt vmcnt(0)
	v_and_b32_e32 v3, 0xffff, v3
	;;#ASMSTART
	v_cvt_f32_f16 v3, v3;
	;;#ASMEND
	s_nop 0
	v_fmac_f32_e32 v13, v0, v3
	ds_read_b64 v[2:3], v6 offset:232
	s_waitcnt lgkmcnt(0)
	v_lshrrev_b32_e32 v0, 16, v2
	v_and_b32_e32 v1, 0xffff, v2
	;;#ASMSTART
	v_cvt_f32_f16 v1, v1;
	;;#ASMEND
	;;#ASMSTART
	v_cvt_f32_f16 v0, v0;
	;;#ASMEND
	scratch_load_dword v2, off, s32 offset:540 ; 4-byte Folded Reload
	s_waitcnt vmcnt(0)
	v_and_b32_e32 v2, 0xffff, v2
	;;#ASMSTART
	v_cvt_f32_f16 v2, v2;
	;;#ASMEND
	scratch_load_dword v4, off, s32 offset:536 ; 4-byte Folded Reload
	v_fmac_f32_e32 v50, v1, v2
	v_and_b32_e32 v1, 0xffff, v3
	s_waitcnt vmcnt(0)
	v_and_b32_e32 v4, 0xffff, v4
	;;#ASMSTART
	v_cvt_f32_f16 v4, v4;
	;;#ASMEND
	;;#ASMSTART
	v_cvt_f32_f16 v1, v1;
	;;#ASMEND
	s_nop 0
	v_fmac_f32_e32 v10, v0, v4
	v_lshrrev_b32_e32 v0, 16, v3
	;;#ASMSTART
	v_cvt_f32_f16 v0, v0;
	;;#ASMEND
	scratch_load_dword v2, off, s32 offset:532 ; 4-byte Folded Reload
	s_waitcnt vmcnt(0)
	v_and_b32_e32 v2, 0xffff, v2
	;;#ASMSTART
	v_cvt_f32_f16 v2, v2;
	;;#ASMEND
	scratch_load_dword v3, off, s32 offset:528 ; 4-byte Folded Reload
	v_fmac_f32_e32 v11, v1, v2
	s_waitcnt vmcnt(0)
	v_and_b32_e32 v3, 0xffff, v3
	;;#ASMSTART
	v_cvt_f32_f16 v3, v3;
	;;#ASMEND
	s_nop 0
	v_fmac_f32_e32 v13, v0, v3
	ds_read_b64 v[2:3], v6 offset:240
	s_waitcnt lgkmcnt(0)
	v_lshrrev_b32_e32 v0, 16, v2
	v_and_b32_e32 v1, 0xffff, v2
	;;#ASMSTART
	v_cvt_f32_f16 v1, v1;
	;;#ASMEND
	;;#ASMSTART
	v_cvt_f32_f16 v0, v0;
	;;#ASMEND
	scratch_load_dword v2, off, s32 offset:524 ; 4-byte Folded Reload
	s_waitcnt vmcnt(0)
	v_and_b32_e32 v2, 0xffff, v2
	;;#ASMSTART
	v_cvt_f32_f16 v2, v2;
	;;#ASMEND
	scratch_load_dword v4, off, s32 offset:520 ; 4-byte Folded Reload
	v_fmac_f32_e32 v50, v1, v2
	v_and_b32_e32 v1, 0xffff, v3
	s_waitcnt vmcnt(0)
	v_and_b32_e32 v4, 0xffff, v4
	;;#ASMSTART
	v_cvt_f32_f16 v4, v4;
	;;#ASMEND
	;;#ASMSTART
	v_cvt_f32_f16 v1, v1;
	;;#ASMEND
	s_nop 0
	v_fmac_f32_e32 v10, v0, v4
	v_lshrrev_b32_e32 v0, 16, v3
	;;#ASMSTART
	v_cvt_f32_f16 v0, v0;
	;;#ASMEND
	scratch_load_dword v2, off, s32 offset:516 ; 4-byte Folded Reload
	s_waitcnt vmcnt(0)
	v_and_b32_e32 v2, 0xffff, v2
	;;#ASMSTART
	v_cvt_f32_f16 v2, v2;
	;;#ASMEND
	scratch_load_dword v3, off, s32 offset:512 ; 4-byte Folded Reload
	v_fmac_f32_e32 v11, v1, v2
	s_waitcnt vmcnt(0)
	v_and_b32_e32 v3, 0xffff, v3
	;;#ASMSTART
	v_cvt_f32_f16 v3, v3;
	;;#ASMEND
	s_nop 0
	v_fmac_f32_e32 v13, v0, v3
	ds_read_b64 v[2:3], v6 offset:248
	s_waitcnt lgkmcnt(0)
	v_lshrrev_b32_e32 v0, 16, v2
	v_and_b32_e32 v1, 0xffff, v2
	v_accvgpr_read_b32 v2, a35
	v_and_b32_e32 v2, 0xffff, v2
	;;#ASMSTART
	v_cvt_f32_f16 v1, v1;
	;;#ASMEND
	;;#ASMSTART
	v_cvt_f32_f16 v0, v0;
	;;#ASMEND
	;; [unrolled: 3-line block ×3, first 2 shown]
	scratch_load_dword v4, off, s32 offset:224 ; 4-byte Folded Reload
	v_fmac_f32_e32 v50, v1, v2
	v_and_b32_e32 v1, 0xffff, v3
	s_waitcnt vmcnt(0)
	v_and_b32_e32 v4, 0xffff, v4
	;;#ASMSTART
	v_cvt_f32_f16 v4, v4;
	;;#ASMEND
	;;#ASMSTART
	v_cvt_f32_f16 v1, v1;
	;;#ASMEND
	s_nop 0
	v_fmac_f32_e32 v10, v0, v4
	v_lshrrev_b32_e32 v0, 16, v3
	;;#ASMSTART
	v_cvt_f32_f16 v0, v0;
	;;#ASMEND
	scratch_load_dword v2, off, s32 offset:220 ; 4-byte Folded Reload
	s_waitcnt vmcnt(0)
	v_and_b32_e32 v2, 0xffff, v2
	;;#ASMSTART
	v_cvt_f32_f16 v2, v2;
	;;#ASMEND
	scratch_load_dword v3, off, s32 offset:216 ; 4-byte Folded Reload
	v_fmac_f32_e32 v11, v1, v2
	s_waitcnt vmcnt(0)
	v_and_b32_e32 v3, 0xffff, v3
	;;#ASMSTART
	v_cvt_f32_f16 v3, v3;
	;;#ASMEND
	s_nop 0
	v_fmac_f32_e32 v13, v0, v3
	v_add_f32_e32 v0, v50, v10
	scratch_load_dword v3, off, s32 offset:548 ; 4-byte Folded Reload
	v_add_f32_e32 v0, v0, v11
	v_add_f32_e32 v1, v13, v0
	s_waitcnt vmcnt(0)
	v_and_b32_e32 v0, 64, v3
	v_xor_b32_e32 v2, 1, v3
	v_add_u32_e32 v0, 64, v0
	v_cmp_lt_i32_e32 vcc, v2, v0
	s_nop 1
	v_cndmask_b32_e32 v2, v3, v2, vcc
	v_lshlrev_b32_e32 v2, 2, v2
	ds_bpermute_b32 v2, v2, v1
	s_mov_b64 s[40:41], exec
	scratch_load_dword v7, off, s32 offset:480 ; 4-byte Folded Reload
	s_and_b64 vcc, s[40:41], s[4:5]
	s_mov_b64 exec, vcc
	s_cbranch_execz .LBB286_8
; %bb.766:                              ;   in Loop: Header=BB286_9 Depth=1
	scratch_load_dword v6, off, s32 offset:460 ; 4-byte Folded Reload
	scratch_load_dword v3, off, s32 offset:596 ; 4-byte Folded Reload
	s_waitcnt lgkmcnt(0)
	v_add_f32_e32 v1, v1, v2
	scratch_load_dword v2, off, s32 offset:584 ; 4-byte Folded Reload
	s_load_dword vcc_lo, s[8:9], 0x0
	scratch_load_dword v4, off, s32 offset:588 ; 4-byte Folded Reload
	scratch_load_dwordx2 v[8:9], off, s32 offset:196 ; 8-byte Folded Reload
	s_waitcnt vmcnt(3)
	v_add_u32_e32 v3, v3, v6
	v_cvt_f32_i32_e32 v3, v3
	s_waitcnt vmcnt(2)
	v_mul_f32_e32 v2, v2, v3
	scratch_load_dword v3, off, s32 offset:464 ; 4-byte Folded Reload
	v_cndmask_b32_e64 v2, 0, v2, s[6:7]
	s_waitcnt vmcnt(2)
	v_fmac_f32_e32 v2, v1, v4
	s_waitcnt vmcnt(0) lgkmcnt(0)
	v_add_u32_e32 v3, vcc_lo, v3
	v_cmp_lt_i32_e32 vcc, v6, v8
	s_nop 1
	v_cndmask_b32_e32 v1, 0, v2, vcc
	ds_write_b32 v3, v1
	scratch_load_dword v3, off, s32 offset:552 ; 4-byte Folded Reload
	s_waitcnt vmcnt(0)
	v_max_f32_e32 v1, v3, v3
	v_max_f32_e32 v1, v1, v2
	v_cndmask_b32_e32 v3, v3, v1, vcc
	scratch_store_dword off, v3, s32 offset:552 ; 4-byte Folded Spill
	s_branch .LBB286_8
.LBB286_767:                            ;   in Loop: Header=BB286_9 Depth=1
	v_cmp_eq_u16_sdwa s[48:49], v8, s46 src0_sel:BYTE_0 src1_sel:DWORD
	s_mov_b64 vcc, -1
                                        ; implicit-def: $sgpr44
	s_and_saveexec_b64 s[42:43], s[48:49]
; %bb.768:                              ;   in Loop: Header=BB286_9 Depth=1
	s_mov_b32 s44, 0x7fc02000
	s_xor_b64 vcc, exec, -1
; %bb.769:                              ;   in Loop: Header=BB286_9 Depth=1
	s_or_b64 exec, exec, s[42:43]
	s_and_b64 vcc, vcc, exec
	s_or_saveexec_b64 s[40:41], s[40:41]
	v_mov_b32_e32 v1, s44
	s_xor_b64 exec, exec, s[40:41]
	s_cbranch_execz .LBB286_11
.LBB286_770:                            ;   in Loop: Header=BB286_9 Depth=1
	v_cmp_ne_u16_sdwa s[42:43], v8, v5 src0_sel:BYTE_0 src1_sel:DWORD
	s_andn2_b64 vcc, vcc, exec
	s_and_b64 s[42:43], s[42:43], exec
	v_mov_b32_e32 v1, 0
	s_or_b64 vcc, vcc, s[42:43]
	s_or_b64 exec, exec, s[40:41]
	s_and_saveexec_b64 s[40:41], vcc
	s_cbranch_execnz .LBB286_12
	s_branch .LBB286_13
.LBB286_771:                            ;   in Loop: Header=BB286_9 Depth=1
	v_cmp_eq_u16_e32 vcc, s46, v4
	s_mov_b64 s[40:41], -1
                                        ; implicit-def: $sgpr48
	s_and_saveexec_b64 s[44:45], vcc
; %bb.772:                              ;   in Loop: Header=BB286_9 Depth=1
	s_mov_b32 s48, 0x7fc02000
	s_xor_b64 s[40:41], exec, -1
; %bb.773:                              ;   in Loop: Header=BB286_9 Depth=1
	s_or_b64 exec, exec, s[44:45]
	s_and_b64 s[40:41], s[40:41], exec
	s_or_saveexec_b64 s[42:43], s[42:43]
	v_mov_b32_e32 v9, s48
	s_xor_b64 exec, exec, s[42:43]
	s_cbranch_execz .LBB286_15
.LBB286_774:                            ;   in Loop: Header=BB286_9 Depth=1
	v_cmp_ne_u16_e32 vcc, 0, v4
	s_andn2_b64 s[40:41], s[40:41], exec
	s_and_b64 vcc, vcc, exec
	v_mov_b32_e32 v9, 0
	s_or_b64 s[40:41], s[40:41], vcc
	s_or_b64 exec, exec, s[42:43]
	s_and_saveexec_b64 s[42:43], s[40:41]
	s_cbranch_execnz .LBB286_16
	s_branch .LBB286_17
.LBB286_775:                            ;   in Loop: Header=BB286_9 Depth=1
	v_cmp_eq_u16_sdwa s[48:49], v4, s46 src0_sel:BYTE_0 src1_sel:DWORD
	s_mov_b64 vcc, -1
                                        ; implicit-def: $sgpr44
	s_and_saveexec_b64 s[42:43], s[48:49]
; %bb.776:                              ;   in Loop: Header=BB286_9 Depth=1
	s_mov_b32 s44, 0x7fc02000
	s_xor_b64 vcc, exec, -1
; %bb.777:                              ;   in Loop: Header=BB286_9 Depth=1
	s_or_b64 exec, exec, s[42:43]
	s_and_b64 vcc, vcc, exec
	s_or_saveexec_b64 s[40:41], s[40:41]
	v_mov_b32_e32 v62, s44
	s_xor_b64 exec, exec, s[40:41]
	s_cbranch_execz .LBB286_19
.LBB286_778:                            ;   in Loop: Header=BB286_9 Depth=1
	v_cmp_ne_u16_sdwa s[42:43], v4, v5 src0_sel:BYTE_0 src1_sel:DWORD
	s_andn2_b64 vcc, vcc, exec
	s_and_b64 s[42:43], s[42:43], exec
	v_mov_b32_e32 v62, 0
	s_or_b64 vcc, vcc, s[42:43]
	s_or_b64 exec, exec, s[40:41]
	s_and_saveexec_b64 s[40:41], vcc
	s_cbranch_execnz .LBB286_20
	s_branch .LBB286_21
.LBB286_779:                            ;   in Loop: Header=BB286_9 Depth=1
	v_cmp_eq_u16_sdwa s[48:49], v8, s46 src0_sel:BYTE_0 src1_sel:DWORD
	s_mov_b64 vcc, -1
                                        ; implicit-def: $sgpr44
	s_and_saveexec_b64 s[42:43], s[48:49]
; %bb.780:                              ;   in Loop: Header=BB286_9 Depth=1
	s_mov_b32 s44, 0x7fc02000
	s_xor_b64 vcc, exec, -1
; %bb.781:                              ;   in Loop: Header=BB286_9 Depth=1
	s_or_b64 exec, exec, s[42:43]
	s_and_b64 vcc, vcc, exec
	s_or_saveexec_b64 s[40:41], s[40:41]
	v_mov_b32_e32 v1, s44
	s_xor_b64 exec, exec, s[40:41]
	s_cbranch_execz .LBB286_31
.LBB286_782:                            ;   in Loop: Header=BB286_9 Depth=1
	v_cmp_ne_u16_sdwa s[42:43], v8, v5 src0_sel:BYTE_0 src1_sel:DWORD
	s_andn2_b64 vcc, vcc, exec
	s_and_b64 s[42:43], s[42:43], exec
	v_mov_b32_e32 v1, 0
	s_or_b64 vcc, vcc, s[42:43]
	s_or_b64 exec, exec, s[40:41]
	s_and_saveexec_b64 s[40:41], vcc
	s_cbranch_execnz .LBB286_32
	s_branch .LBB286_33
.LBB286_783:                            ;   in Loop: Header=BB286_9 Depth=1
	v_cmp_eq_u16_sdwa s[48:49], v8, s46 src0_sel:BYTE_0 src1_sel:DWORD
	s_mov_b64 vcc, -1
                                        ; implicit-def: $sgpr44
	s_and_saveexec_b64 s[42:43], s[48:49]
; %bb.784:                              ;   in Loop: Header=BB286_9 Depth=1
	s_mov_b32 s44, 0x7fc02000
	s_xor_b64 vcc, exec, -1
; %bb.785:                              ;   in Loop: Header=BB286_9 Depth=1
	s_or_b64 exec, exec, s[42:43]
	s_and_b64 vcc, vcc, exec
	s_or_saveexec_b64 s[40:41], s[40:41]
	v_mov_b32_e32 v1, s44
	s_xor_b64 exec, exec, s[40:41]
	s_cbranch_execz .LBB286_59
.LBB286_786:                            ;   in Loop: Header=BB286_9 Depth=1
	v_cmp_ne_u16_sdwa s[42:43], v8, v5 src0_sel:BYTE_0 src1_sel:DWORD
	s_andn2_b64 vcc, vcc, exec
	s_and_b64 s[42:43], s[42:43], exec
	v_mov_b32_e32 v1, 0
	s_or_b64 vcc, vcc, s[42:43]
	s_or_b64 exec, exec, s[40:41]
	s_and_saveexec_b64 s[40:41], vcc
	s_cbranch_execnz .LBB286_60
	s_branch .LBB286_61
.LBB286_787:                            ;   in Loop: Header=BB286_9 Depth=1
	v_cmp_eq_u16_sdwa s[48:49], v8, s46 src0_sel:BYTE_0 src1_sel:DWORD
	s_mov_b64 vcc, -1
                                        ; implicit-def: $sgpr44
	s_and_saveexec_b64 s[42:43], s[48:49]
; %bb.788:                              ;   in Loop: Header=BB286_9 Depth=1
	s_mov_b32 s44, 0x7fc02000
	s_xor_b64 vcc, exec, -1
; %bb.789:                              ;   in Loop: Header=BB286_9 Depth=1
	s_or_b64 exec, exec, s[42:43]
	s_and_b64 vcc, vcc, exec
	s_or_saveexec_b64 s[40:41], s[40:41]
	v_mov_b32_e32 v1, s44
	s_xor_b64 exec, exec, s[40:41]
	s_cbranch_execz .LBB286_87
.LBB286_790:                            ;   in Loop: Header=BB286_9 Depth=1
	v_cmp_ne_u16_sdwa s[42:43], v8, v5 src0_sel:BYTE_0 src1_sel:DWORD
	s_andn2_b64 vcc, vcc, exec
	s_and_b64 s[42:43], s[42:43], exec
	v_mov_b32_e32 v1, 0
	s_or_b64 vcc, vcc, s[42:43]
	s_or_b64 exec, exec, s[40:41]
	s_and_saveexec_b64 s[40:41], vcc
	s_cbranch_execnz .LBB286_88
	s_branch .LBB286_89
.LBB286_791:                            ;   in Loop: Header=BB286_9 Depth=1
	v_cmp_eq_u16_sdwa s[48:49], v8, s46 src0_sel:BYTE_0 src1_sel:DWORD
	s_mov_b64 vcc, -1
                                        ; implicit-def: $sgpr44
	s_and_saveexec_b64 s[42:43], s[48:49]
; %bb.792:                              ;   in Loop: Header=BB286_9 Depth=1
	s_mov_b32 s44, 0x7fc02000
	s_xor_b64 vcc, exec, -1
; %bb.793:                              ;   in Loop: Header=BB286_9 Depth=1
	s_or_b64 exec, exec, s[42:43]
	s_and_b64 vcc, vcc, exec
	s_or_saveexec_b64 s[40:41], s[40:41]
	v_mov_b32_e32 v1, s44
	s_xor_b64 exec, exec, s[40:41]
	s_cbranch_execz .LBB286_115
.LBB286_794:                            ;   in Loop: Header=BB286_9 Depth=1
	v_cmp_ne_u16_sdwa s[42:43], v8, v5 src0_sel:BYTE_0 src1_sel:DWORD
	s_andn2_b64 vcc, vcc, exec
	s_and_b64 s[42:43], s[42:43], exec
	v_mov_b32_e32 v1, 0
	s_or_b64 vcc, vcc, s[42:43]
	s_or_b64 exec, exec, s[40:41]
	s_and_saveexec_b64 s[40:41], vcc
	s_cbranch_execnz .LBB286_116
	s_branch .LBB286_117
.LBB286_795:                            ;   in Loop: Header=BB286_9 Depth=1
	v_cmp_eq_u16_sdwa s[48:49], v8, s46 src0_sel:BYTE_0 src1_sel:DWORD
	s_mov_b64 vcc, -1
                                        ; implicit-def: $sgpr44
	s_and_saveexec_b64 s[42:43], s[48:49]
; %bb.796:                              ;   in Loop: Header=BB286_9 Depth=1
	s_mov_b32 s44, 0x7fc02000
	s_xor_b64 vcc, exec, -1
; %bb.797:                              ;   in Loop: Header=BB286_9 Depth=1
	s_or_b64 exec, exec, s[42:43]
	s_and_b64 vcc, vcc, exec
	s_or_saveexec_b64 s[40:41], s[40:41]
	v_mov_b32_e32 v1, s44
	s_xor_b64 exec, exec, s[40:41]
	s_cbranch_execz .LBB286_143
.LBB286_798:                            ;   in Loop: Header=BB286_9 Depth=1
	v_cmp_ne_u16_sdwa s[42:43], v8, v5 src0_sel:BYTE_0 src1_sel:DWORD
	s_andn2_b64 vcc, vcc, exec
	s_and_b64 s[42:43], s[42:43], exec
	v_mov_b32_e32 v1, 0
	s_or_b64 vcc, vcc, s[42:43]
	s_or_b64 exec, exec, s[40:41]
	s_and_saveexec_b64 s[40:41], vcc
	s_cbranch_execnz .LBB286_144
	s_branch .LBB286_145
.LBB286_799:                            ;   in Loop: Header=BB286_9 Depth=1
	v_cmp_eq_u16_sdwa s[48:49], v8, s46 src0_sel:BYTE_0 src1_sel:DWORD
	s_mov_b64 vcc, -1
                                        ; implicit-def: $sgpr44
	s_and_saveexec_b64 s[42:43], s[48:49]
; %bb.800:                              ;   in Loop: Header=BB286_9 Depth=1
	s_mov_b32 s44, 0x7fc02000
	s_xor_b64 vcc, exec, -1
; %bb.801:                              ;   in Loop: Header=BB286_9 Depth=1
	s_or_b64 exec, exec, s[42:43]
	s_and_b64 vcc, vcc, exec
	s_or_saveexec_b64 s[40:41], s[40:41]
	v_mov_b32_e32 v1, s44
	s_xor_b64 exec, exec, s[40:41]
	s_cbranch_execz .LBB286_171
.LBB286_802:                            ;   in Loop: Header=BB286_9 Depth=1
	v_cmp_ne_u16_sdwa s[42:43], v8, v5 src0_sel:BYTE_0 src1_sel:DWORD
	s_andn2_b64 vcc, vcc, exec
	s_and_b64 s[42:43], s[42:43], exec
	v_mov_b32_e32 v1, 0
	s_or_b64 vcc, vcc, s[42:43]
	s_or_b64 exec, exec, s[40:41]
	s_and_saveexec_b64 s[40:41], vcc
	s_cbranch_execnz .LBB286_172
	s_branch .LBB286_173
.LBB286_803:                            ;   in Loop: Header=BB286_9 Depth=1
	v_cmp_eq_u16_sdwa s[48:49], v4, s46 src0_sel:BYTE_0 src1_sel:DWORD
	s_mov_b64 vcc, -1
                                        ; implicit-def: $sgpr44
	s_and_saveexec_b64 s[42:43], s[48:49]
; %bb.804:                              ;   in Loop: Header=BB286_9 Depth=1
	s_mov_b32 s44, 0x7fc02000
	s_xor_b64 vcc, exec, -1
; %bb.805:                              ;   in Loop: Header=BB286_9 Depth=1
	s_or_b64 exec, exec, s[42:43]
	s_and_b64 vcc, vcc, exec
	s_or_saveexec_b64 s[40:41], s[40:41]
	v_mov_b32_e32 v1, s44
	s_xor_b64 exec, exec, s[40:41]
	s_cbranch_execz .LBB286_471
.LBB286_806:                            ;   in Loop: Header=BB286_9 Depth=1
	v_cmp_ne_u16_sdwa s[42:43], v4, v5 src0_sel:BYTE_0 src1_sel:DWORD
	s_andn2_b64 vcc, vcc, exec
	s_and_b64 s[42:43], s[42:43], exec
	v_mov_b32_e32 v1, 0
	s_or_b64 vcc, vcc, s[42:43]
	s_or_b64 exec, exec, s[40:41]
	s_and_saveexec_b64 s[40:41], vcc
	s_cbranch_execnz .LBB286_472
	s_branch .LBB286_473
.LBB286_807:                            ;   in Loop: Header=BB286_9 Depth=1
	v_cmp_eq_u16_e32 vcc, s46, v4
	s_mov_b64 s[40:41], -1
                                        ; implicit-def: $sgpr48
	s_and_saveexec_b64 s[44:45], vcc
; %bb.808:                              ;   in Loop: Header=BB286_9 Depth=1
	s_mov_b32 s48, 0x7fc02000
	s_xor_b64 s[40:41], exec, -1
; %bb.809:                              ;   in Loop: Header=BB286_9 Depth=1
	s_or_b64 exec, exec, s[44:45]
	s_and_b64 s[40:41], s[40:41], exec
	s_or_saveexec_b64 s[42:43], s[42:43]
	v_mov_b32_e32 v2, s48
	s_xor_b64 exec, exec, s[42:43]
	s_cbranch_execz .LBB286_475
.LBB286_810:                            ;   in Loop: Header=BB286_9 Depth=1
	v_cmp_ne_u16_e32 vcc, 0, v4
	s_andn2_b64 s[40:41], s[40:41], exec
	s_and_b64 vcc, vcc, exec
	v_mov_b32_e32 v2, 0
	s_or_b64 s[40:41], s[40:41], vcc
	s_or_b64 exec, exec, s[42:43]
	v_accvgpr_write_b32 a0, v1
	s_and_saveexec_b64 s[42:43], s[40:41]
	s_cbranch_execnz .LBB286_476
	s_branch .LBB286_477
.LBB286_811:                            ;   in Loop: Header=BB286_9 Depth=1
	v_cmp_eq_u16_sdwa s[48:49], v4, s46 src0_sel:BYTE_0 src1_sel:DWORD
	s_mov_b64 vcc, -1
                                        ; implicit-def: $sgpr44
	s_and_saveexec_b64 s[42:43], s[48:49]
; %bb.812:                              ;   in Loop: Header=BB286_9 Depth=1
	s_mov_b32 s44, 0x7fc02000
	s_xor_b64 vcc, exec, -1
; %bb.813:                              ;   in Loop: Header=BB286_9 Depth=1
	s_or_b64 exec, exec, s[42:43]
	s_and_b64 vcc, vcc, exec
	s_or_saveexec_b64 s[40:41], s[40:41]
	v_mov_b32_e32 v1, s44
	s_xor_b64 exec, exec, s[40:41]
	s_cbranch_execz .LBB286_527
.LBB286_814:                            ;   in Loop: Header=BB286_9 Depth=1
	v_cmp_ne_u16_sdwa s[42:43], v4, v5 src0_sel:BYTE_0 src1_sel:DWORD
	s_andn2_b64 vcc, vcc, exec
	s_and_b64 s[42:43], s[42:43], exec
	v_mov_b32_e32 v1, 0
	s_or_b64 vcc, vcc, s[42:43]
	s_or_b64 exec, exec, s[40:41]
	s_and_saveexec_b64 s[40:41], vcc
	s_cbranch_execnz .LBB286_528
	s_branch .LBB286_529
.LBB286_815:                            ;   in Loop: Header=BB286_9 Depth=1
	v_cmp_eq_u16_e32 vcc, s46, v4
	s_mov_b64 s[40:41], -1
                                        ; implicit-def: $sgpr48
	s_and_saveexec_b64 s[44:45], vcc
; %bb.816:                              ;   in Loop: Header=BB286_9 Depth=1
	s_mov_b32 s48, 0x7fc02000
	s_xor_b64 s[40:41], exec, -1
; %bb.817:                              ;   in Loop: Header=BB286_9 Depth=1
	s_or_b64 exec, exec, s[44:45]
	s_and_b64 s[40:41], s[40:41], exec
	s_or_saveexec_b64 s[42:43], s[42:43]
	v_mov_b32_e32 v2, s48
	s_xor_b64 exec, exec, s[42:43]
	s_cbranch_execz .LBB286_531
.LBB286_818:                            ;   in Loop: Header=BB286_9 Depth=1
	v_cmp_ne_u16_e32 vcc, 0, v4
	s_andn2_b64 s[40:41], s[40:41], exec
	s_and_b64 vcc, vcc, exec
	v_mov_b32_e32 v2, 0
	s_or_b64 s[40:41], s[40:41], vcc
	s_or_b64 exec, exec, s[42:43]
	v_accvgpr_write_b32 a44, v1
	s_and_saveexec_b64 s[42:43], s[40:41]
	s_cbranch_execnz .LBB286_532
	s_branch .LBB286_533
.LBB286_819:                            ;   in Loop: Header=BB286_9 Depth=1
	v_cmp_eq_u16_sdwa s[48:49], v4, s46 src0_sel:BYTE_0 src1_sel:DWORD
	s_mov_b64 vcc, -1
                                        ; implicit-def: $sgpr44
	s_and_saveexec_b64 s[42:43], s[48:49]
; %bb.820:                              ;   in Loop: Header=BB286_9 Depth=1
	s_mov_b32 s44, 0x7fc02000
	s_xor_b64 vcc, exec, -1
; %bb.821:                              ;   in Loop: Header=BB286_9 Depth=1
	s_or_b64 exec, exec, s[42:43]
	s_and_b64 vcc, vcc, exec
	s_or_saveexec_b64 s[40:41], s[40:41]
	v_mov_b32_e32 v28, s44
	s_xor_b64 exec, exec, s[40:41]
	s_cbranch_execz .LBB286_551
.LBB286_822:                            ;   in Loop: Header=BB286_9 Depth=1
	v_cmp_ne_u16_sdwa s[42:43], v4, v5 src0_sel:BYTE_0 src1_sel:DWORD
	s_andn2_b64 vcc, vcc, exec
	s_and_b64 s[42:43], s[42:43], exec
	v_mov_b32_e32 v28, 0
	s_or_b64 vcc, vcc, s[42:43]
	s_or_b64 exec, exec, s[40:41]
	s_and_saveexec_b64 s[40:41], vcc
	s_cbranch_execnz .LBB286_552
	s_branch .LBB286_553
.LBB286_823:                            ;   in Loop: Header=BB286_9 Depth=1
	v_cmp_eq_u16_e32 vcc, s46, v4
	s_mov_b64 s[40:41], -1
                                        ; implicit-def: $sgpr48
	s_and_saveexec_b64 s[44:45], vcc
; %bb.824:                              ;   in Loop: Header=BB286_9 Depth=1
	s_mov_b32 s48, 0x7fc02000
	s_xor_b64 s[40:41], exec, -1
; %bb.825:                              ;   in Loop: Header=BB286_9 Depth=1
	s_or_b64 exec, exec, s[44:45]
	s_and_b64 s[40:41], s[40:41], exec
	s_or_saveexec_b64 s[42:43], s[42:43]
	v_mov_b32_e32 v59, s48
	s_xor_b64 exec, exec, s[42:43]
	s_cbranch_execz .LBB286_555
.LBB286_826:                            ;   in Loop: Header=BB286_9 Depth=1
	v_cmp_ne_u16_e32 vcc, 0, v4
	s_andn2_b64 s[40:41], s[40:41], exec
	s_and_b64 vcc, vcc, exec
	v_mov_b32_e32 v59, 0
	s_or_b64 s[40:41], s[40:41], vcc
	s_or_b64 exec, exec, s[42:43]
	s_and_saveexec_b64 s[42:43], s[40:41]
	s_cbranch_execnz .LBB286_556
	s_branch .LBB286_557
.LBB286_827:                            ;   in Loop: Header=BB286_9 Depth=1
	v_cmp_eq_u16_sdwa s[48:49], v8, s46 src0_sel:BYTE_0 src1_sel:DWORD
	s_mov_b64 vcc, -1
                                        ; implicit-def: $sgpr44
	s_and_saveexec_b64 s[42:43], s[48:49]
; %bb.828:                              ;   in Loop: Header=BB286_9 Depth=1
	s_mov_b32 s44, 0x7fc02000
	s_xor_b64 vcc, exec, -1
; %bb.829:                              ;   in Loop: Header=BB286_9 Depth=1
	s_or_b64 exec, exec, s[42:43]
	s_and_b64 vcc, vcc, exec
	s_or_saveexec_b64 s[40:41], s[40:41]
	v_mov_b32_e32 v60, s44
	s_xor_b64 exec, exec, s[40:41]
	s_cbranch_execz .LBB286_559
.LBB286_830:                            ;   in Loop: Header=BB286_9 Depth=1
	v_cmp_ne_u16_sdwa s[42:43], v8, v5 src0_sel:BYTE_0 src1_sel:DWORD
	s_andn2_b64 vcc, vcc, exec
	s_and_b64 s[42:43], s[42:43], exec
	v_mov_b32_e32 v60, 0
	s_or_b64 vcc, vcc, s[42:43]
	s_or_b64 exec, exec, s[40:41]
	s_and_saveexec_b64 s[40:41], vcc
	s_cbranch_execnz .LBB286_560
	s_branch .LBB286_561
.LBB286_831:                            ;   in Loop: Header=BB286_9 Depth=1
	v_cmp_eq_u16_e32 vcc, s46, v4
	s_mov_b64 s[40:41], -1
                                        ; implicit-def: $sgpr48
	s_and_saveexec_b64 s[44:45], vcc
; %bb.832:                              ;   in Loop: Header=BB286_9 Depth=1
	s_mov_b32 s48, 0x7fc02000
	s_xor_b64 s[40:41], exec, -1
; %bb.833:                              ;   in Loop: Header=BB286_9 Depth=1
	s_or_b64 exec, exec, s[44:45]
	s_and_b64 s[40:41], s[40:41], exec
	s_or_saveexec_b64 s[42:43], s[42:43]
	v_mov_b32_e32 v40, s48
	s_xor_b64 exec, exec, s[42:43]
	s_cbranch_execz .LBB286_563
.LBB286_834:                            ;   in Loop: Header=BB286_9 Depth=1
	v_cmp_ne_u16_e32 vcc, 0, v4
	s_andn2_b64 s[40:41], s[40:41], exec
	s_and_b64 vcc, vcc, exec
	v_mov_b32_e32 v40, 0
	s_or_b64 s[40:41], s[40:41], vcc
	s_or_b64 exec, exec, s[42:43]
	s_and_saveexec_b64 s[42:43], s[40:41]
	s_cbranch_execnz .LBB286_564
	s_branch .LBB286_565
.LBB286_835:                            ;   in Loop: Header=BB286_9 Depth=1
	v_cmp_eq_u16_sdwa s[48:49], v4, s46 src0_sel:BYTE_0 src1_sel:DWORD
	s_mov_b64 vcc, -1
                                        ; implicit-def: $sgpr44
	s_and_saveexec_b64 s[42:43], s[48:49]
; %bb.836:                              ;   in Loop: Header=BB286_9 Depth=1
	s_mov_b32 s44, 0x7fc02000
	s_xor_b64 vcc, exec, -1
; %bb.837:                              ;   in Loop: Header=BB286_9 Depth=1
	s_or_b64 exec, exec, s[42:43]
	s_and_b64 vcc, vcc, exec
	s_or_saveexec_b64 s[40:41], s[40:41]
	v_mov_b32_e32 v13, s44
	s_xor_b64 exec, exec, s[40:41]
	s_cbranch_execz .LBB286_567
.LBB286_838:                            ;   in Loop: Header=BB286_9 Depth=1
	v_cmp_ne_u16_sdwa s[42:43], v4, v5 src0_sel:BYTE_0 src1_sel:DWORD
	s_andn2_b64 vcc, vcc, exec
	s_and_b64 s[42:43], s[42:43], exec
	v_mov_b32_e32 v13, 0
	s_or_b64 vcc, vcc, s[42:43]
	s_or_b64 exec, exec, s[40:41]
	s_and_saveexec_b64 s[40:41], vcc
	s_cbranch_execnz .LBB286_568
	s_branch .LBB286_569
.LBB286_839:                            ;   in Loop: Header=BB286_9 Depth=1
	v_cmp_eq_u16_e32 vcc, s46, v4
	s_mov_b64 s[40:41], -1
                                        ; implicit-def: $sgpr48
	s_and_saveexec_b64 s[44:45], vcc
; %bb.840:                              ;   in Loop: Header=BB286_9 Depth=1
	s_mov_b32 s48, 0x7fc02000
	s_xor_b64 s[40:41], exec, -1
; %bb.841:                              ;   in Loop: Header=BB286_9 Depth=1
	s_or_b64 exec, exec, s[44:45]
	s_and_b64 s[40:41], s[40:41], exec
	s_or_saveexec_b64 s[42:43], s[42:43]
	v_mov_b32_e32 v2, s48
	s_xor_b64 exec, exec, s[42:43]
	s_cbranch_execz .LBB286_571
.LBB286_842:                            ;   in Loop: Header=BB286_9 Depth=1
	v_cmp_ne_u16_e32 vcc, 0, v4
	s_andn2_b64 s[40:41], s[40:41], exec
	s_and_b64 vcc, vcc, exec
	v_mov_b32_e32 v2, 0
	s_or_b64 s[40:41], s[40:41], vcc
	s_or_b64 exec, exec, s[42:43]
	s_and_saveexec_b64 s[42:43], s[40:41]
	s_cbranch_execnz .LBB286_572
	s_branch .LBB286_573
.LBB286_843:                            ;   in Loop: Header=BB286_9 Depth=1
	v_cmp_eq_u16_sdwa s[48:49], v8, s46 src0_sel:BYTE_0 src1_sel:DWORD
	s_mov_b64 vcc, -1
                                        ; implicit-def: $sgpr44
	s_and_saveexec_b64 s[42:43], s[48:49]
; %bb.844:                              ;   in Loop: Header=BB286_9 Depth=1
	s_mov_b32 s44, 0x7fc02000
	s_xor_b64 vcc, exec, -1
; %bb.845:                              ;   in Loop: Header=BB286_9 Depth=1
	s_or_b64 exec, exec, s[42:43]
	s_and_b64 vcc, vcc, exec
	s_or_saveexec_b64 s[40:41], s[40:41]
	v_mov_b32_e32 v20, s44
	s_xor_b64 exec, exec, s[40:41]
	s_cbranch_execz .LBB286_575
.LBB286_846:                            ;   in Loop: Header=BB286_9 Depth=1
	v_cmp_ne_u16_sdwa s[42:43], v8, v5 src0_sel:BYTE_0 src1_sel:DWORD
	s_andn2_b64 vcc, vcc, exec
	s_and_b64 s[42:43], s[42:43], exec
	v_mov_b32_e32 v20, 0
	s_or_b64 vcc, vcc, s[42:43]
	s_or_b64 exec, exec, s[40:41]
	s_and_saveexec_b64 s[40:41], vcc
	s_cbranch_execnz .LBB286_576
	s_branch .LBB286_577
.LBB286_847:                            ;   in Loop: Header=BB286_9 Depth=1
	v_cmp_eq_u16_e32 vcc, s46, v4
	s_mov_b64 s[40:41], -1
                                        ; implicit-def: $sgpr48
	s_and_saveexec_b64 s[44:45], vcc
; %bb.848:                              ;   in Loop: Header=BB286_9 Depth=1
	s_mov_b32 s48, 0x7fc02000
	s_xor_b64 s[40:41], exec, -1
; %bb.849:                              ;   in Loop: Header=BB286_9 Depth=1
	s_or_b64 exec, exec, s[44:45]
	s_and_b64 s[40:41], s[40:41], exec
	s_or_saveexec_b64 s[42:43], s[42:43]
	v_mov_b32_e32 v24, s48
	s_xor_b64 exec, exec, s[42:43]
	s_cbranch_execz .LBB286_579
.LBB286_850:                            ;   in Loop: Header=BB286_9 Depth=1
	v_cmp_ne_u16_e32 vcc, 0, v4
	s_andn2_b64 s[40:41], s[40:41], exec
	s_and_b64 vcc, vcc, exec
	v_mov_b32_e32 v24, 0
	s_or_b64 s[40:41], s[40:41], vcc
	s_or_b64 exec, exec, s[42:43]
	s_and_saveexec_b64 s[42:43], s[40:41]
	s_cbranch_execnz .LBB286_580
	s_branch .LBB286_581
.LBB286_851:                            ;   in Loop: Header=BB286_9 Depth=1
	v_cmp_eq_u16_sdwa s[48:49], v4, s46 src0_sel:BYTE_0 src1_sel:DWORD
	s_mov_b64 vcc, -1
                                        ; implicit-def: $sgpr44
	s_and_saveexec_b64 s[42:43], s[48:49]
; %bb.852:                              ;   in Loop: Header=BB286_9 Depth=1
	s_mov_b32 s44, 0x7fc02000
	s_xor_b64 vcc, exec, -1
; %bb.853:                              ;   in Loop: Header=BB286_9 Depth=1
	s_or_b64 exec, exec, s[42:43]
	s_and_b64 vcc, vcc, exec
	s_or_saveexec_b64 s[40:41], s[40:41]
	v_mov_b32_e32 v55, s44
	s_xor_b64 exec, exec, s[40:41]
	s_cbranch_execz .LBB286_583
.LBB286_854:                            ;   in Loop: Header=BB286_9 Depth=1
	v_cmp_ne_u16_sdwa s[42:43], v4, v5 src0_sel:BYTE_0 src1_sel:DWORD
	s_andn2_b64 vcc, vcc, exec
	s_and_b64 s[42:43], s[42:43], exec
	v_mov_b32_e32 v55, 0
	s_or_b64 vcc, vcc, s[42:43]
	s_or_b64 exec, exec, s[40:41]
	s_and_saveexec_b64 s[40:41], vcc
	s_cbranch_execnz .LBB286_584
	s_branch .LBB286_585
.LBB286_855:                            ;   in Loop: Header=BB286_9 Depth=1
	v_cmp_eq_u16_e32 vcc, s46, v4
	s_mov_b64 s[40:41], -1
                                        ; implicit-def: $sgpr48
	s_and_saveexec_b64 s[44:45], vcc
; %bb.856:                              ;   in Loop: Header=BB286_9 Depth=1
	s_mov_b32 s48, 0x7fc02000
	s_xor_b64 s[40:41], exec, -1
; %bb.857:                              ;   in Loop: Header=BB286_9 Depth=1
	s_or_b64 exec, exec, s[44:45]
	s_and_b64 s[40:41], s[40:41], exec
	s_or_saveexec_b64 s[42:43], s[42:43]
	v_mov_b32_e32 v26, s48
	s_xor_b64 exec, exec, s[42:43]
	s_cbranch_execz .LBB286_587
.LBB286_858:                            ;   in Loop: Header=BB286_9 Depth=1
	v_cmp_ne_u16_e32 vcc, 0, v4
	s_andn2_b64 s[40:41], s[40:41], exec
	s_and_b64 vcc, vcc, exec
	v_mov_b32_e32 v26, 0
	s_or_b64 s[40:41], s[40:41], vcc
	s_or_b64 exec, exec, s[42:43]
	s_and_saveexec_b64 s[42:43], s[40:41]
	s_cbranch_execnz .LBB286_588
	s_branch .LBB286_589
.LBB286_859:                            ;   in Loop: Header=BB286_9 Depth=1
	v_cmp_eq_u16_sdwa s[48:49], v8, s46 src0_sel:BYTE_0 src1_sel:DWORD
	s_mov_b64 vcc, -1
                                        ; implicit-def: $sgpr44
	s_and_saveexec_b64 s[42:43], s[48:49]
; %bb.860:                              ;   in Loop: Header=BB286_9 Depth=1
	s_mov_b32 s44, 0x7fc02000
	s_xor_b64 vcc, exec, -1
; %bb.861:                              ;   in Loop: Header=BB286_9 Depth=1
	s_or_b64 exec, exec, s[42:43]
	s_and_b64 vcc, vcc, exec
	s_or_saveexec_b64 s[40:41], s[40:41]
	v_mov_b32_e32 v21, s44
	s_xor_b64 exec, exec, s[40:41]
	s_cbranch_execz .LBB286_591
.LBB286_862:                            ;   in Loop: Header=BB286_9 Depth=1
	v_cmp_ne_u16_sdwa s[42:43], v8, v5 src0_sel:BYTE_0 src1_sel:DWORD
	s_andn2_b64 vcc, vcc, exec
	s_and_b64 s[42:43], s[42:43], exec
	v_mov_b32_e32 v21, 0
	s_or_b64 vcc, vcc, s[42:43]
	s_or_b64 exec, exec, s[40:41]
	s_and_saveexec_b64 s[40:41], vcc
	s_cbranch_execnz .LBB286_592
	s_branch .LBB286_593
.LBB286_863:                            ;   in Loop: Header=BB286_9 Depth=1
	v_cmp_eq_u16_e32 vcc, s46, v4
	s_mov_b64 s[40:41], -1
                                        ; implicit-def: $sgpr48
	s_and_saveexec_b64 s[44:45], vcc
; %bb.864:                              ;   in Loop: Header=BB286_9 Depth=1
	s_mov_b32 s48, 0x7fc02000
	s_xor_b64 s[40:41], exec, -1
; %bb.865:                              ;   in Loop: Header=BB286_9 Depth=1
	s_or_b64 exec, exec, s[44:45]
	s_and_b64 s[40:41], s[40:41], exec
	s_or_saveexec_b64 s[42:43], s[42:43]
	v_mov_b32_e32 v58, s48
	s_xor_b64 exec, exec, s[42:43]
	s_cbranch_execz .LBB286_595
.LBB286_866:                            ;   in Loop: Header=BB286_9 Depth=1
	v_cmp_ne_u16_e32 vcc, 0, v4
	s_andn2_b64 s[40:41], s[40:41], exec
	s_and_b64 vcc, vcc, exec
	v_mov_b32_e32 v58, 0
	s_or_b64 s[40:41], s[40:41], vcc
	s_or_b64 exec, exec, s[42:43]
	s_and_saveexec_b64 s[42:43], s[40:41]
	s_cbranch_execnz .LBB286_596
	s_branch .LBB286_597
.LBB286_867:                            ;   in Loop: Header=BB286_9 Depth=1
	v_cmp_eq_u16_sdwa s[48:49], v4, s46 src0_sel:BYTE_0 src1_sel:DWORD
	s_mov_b64 vcc, -1
                                        ; implicit-def: $sgpr44
	s_and_saveexec_b64 s[42:43], s[48:49]
; %bb.868:                              ;   in Loop: Header=BB286_9 Depth=1
	s_mov_b32 s44, 0x7fc02000
	s_xor_b64 vcc, exec, -1
; %bb.869:                              ;   in Loop: Header=BB286_9 Depth=1
	s_or_b64 exec, exec, s[42:43]
	s_and_b64 vcc, vcc, exec
	s_or_saveexec_b64 s[40:41], s[40:41]
	v_mov_b32_e32 v61, s44
	s_xor_b64 exec, exec, s[40:41]
	s_cbranch_execz .LBB286_599
.LBB286_870:                            ;   in Loop: Header=BB286_9 Depth=1
	v_cmp_ne_u16_sdwa s[42:43], v4, v5 src0_sel:BYTE_0 src1_sel:DWORD
	s_andn2_b64 vcc, vcc, exec
	s_and_b64 s[42:43], s[42:43], exec
	v_mov_b32_e32 v61, 0
	s_or_b64 vcc, vcc, s[42:43]
	s_or_b64 exec, exec, s[40:41]
	s_and_saveexec_b64 s[40:41], vcc
	s_cbranch_execnz .LBB286_600
	s_branch .LBB286_601
.LBB286_871:                            ;   in Loop: Header=BB286_9 Depth=1
	v_cmp_eq_u16_e32 vcc, s46, v4
	s_mov_b64 s[40:41], -1
                                        ; implicit-def: $sgpr48
	s_and_saveexec_b64 s[44:45], vcc
; %bb.872:                              ;   in Loop: Header=BB286_9 Depth=1
	s_mov_b32 s48, 0x7fc02000
	s_xor_b64 s[40:41], exec, -1
; %bb.873:                              ;   in Loop: Header=BB286_9 Depth=1
	s_or_b64 exec, exec, s[44:45]
	s_and_b64 s[40:41], s[40:41], exec
	s_or_saveexec_b64 s[42:43], s[42:43]
	v_mov_b32_e32 v57, s48
	s_xor_b64 exec, exec, s[42:43]
	s_cbranch_execz .LBB286_603
.LBB286_874:                            ;   in Loop: Header=BB286_9 Depth=1
	v_cmp_ne_u16_e32 vcc, 0, v4
	s_andn2_b64 s[40:41], s[40:41], exec
	s_and_b64 vcc, vcc, exec
	v_mov_b32_e32 v57, 0
	s_or_b64 s[40:41], s[40:41], vcc
	s_or_b64 exec, exec, s[42:43]
	s_and_saveexec_b64 s[42:43], s[40:41]
	s_cbranch_execnz .LBB286_604
	s_branch .LBB286_605
.LBB286_875:                            ;   in Loop: Header=BB286_9 Depth=1
	v_cmp_eq_u16_sdwa s[48:49], v8, s46 src0_sel:BYTE_0 src1_sel:DWORD
	s_mov_b64 vcc, -1
                                        ; implicit-def: $sgpr44
	s_and_saveexec_b64 s[42:43], s[48:49]
; %bb.876:                              ;   in Loop: Header=BB286_9 Depth=1
	s_mov_b32 s44, 0x7fc02000
	s_xor_b64 vcc, exec, -1
; %bb.877:                              ;   in Loop: Header=BB286_9 Depth=1
	s_or_b64 exec, exec, s[42:43]
	s_and_b64 vcc, vcc, exec
	s_or_saveexec_b64 s[40:41], s[40:41]
	v_mov_b32_e32 v1, s44
	s_xor_b64 exec, exec, s[40:41]
	s_cbranch_execz .LBB286_607
.LBB286_878:                            ;   in Loop: Header=BB286_9 Depth=1
	v_cmp_ne_u16_sdwa s[42:43], v8, v5 src0_sel:BYTE_0 src1_sel:DWORD
	s_andn2_b64 vcc, vcc, exec
	s_and_b64 s[42:43], s[42:43], exec
	v_mov_b32_e32 v1, 0
	s_or_b64 vcc, vcc, s[42:43]
	s_or_b64 exec, exec, s[40:41]
	s_and_saveexec_b64 s[40:41], vcc
	s_cbranch_execnz .LBB286_608
	s_branch .LBB286_609
.LBB286_879:                            ;   in Loop: Header=BB286_9 Depth=1
	v_cmp_eq_u16_e32 vcc, s46, v4
	s_mov_b64 s[40:41], -1
                                        ; implicit-def: $sgpr48
	s_and_saveexec_b64 s[44:45], vcc
; %bb.880:                              ;   in Loop: Header=BB286_9 Depth=1
	s_mov_b32 s48, 0x7fc02000
	s_xor_b64 s[40:41], exec, -1
; %bb.881:                              ;   in Loop: Header=BB286_9 Depth=1
	s_or_b64 exec, exec, s[44:45]
	s_and_b64 s[40:41], s[40:41], exec
	s_or_saveexec_b64 s[42:43], s[42:43]
	v_mov_b32_e32 v44, s48
	s_xor_b64 exec, exec, s[42:43]
	s_cbranch_execz .LBB286_611
.LBB286_882:                            ;   in Loop: Header=BB286_9 Depth=1
	v_cmp_ne_u16_e32 vcc, 0, v4
	s_andn2_b64 s[40:41], s[40:41], exec
	s_and_b64 vcc, vcc, exec
	v_mov_b32_e32 v44, 0
	s_or_b64 s[40:41], s[40:41], vcc
	s_or_b64 exec, exec, s[42:43]
	s_and_saveexec_b64 s[42:43], s[40:41]
	s_cbranch_execnz .LBB286_612
	s_branch .LBB286_613
.LBB286_883:                            ;   in Loop: Header=BB286_9 Depth=1
	v_cmp_eq_u16_sdwa s[48:49], v4, s46 src0_sel:BYTE_0 src1_sel:DWORD
	s_mov_b64 vcc, -1
                                        ; implicit-def: $sgpr44
	s_and_saveexec_b64 s[42:43], s[48:49]
; %bb.884:                              ;   in Loop: Header=BB286_9 Depth=1
	s_mov_b32 s44, 0x7fc02000
	s_xor_b64 vcc, exec, -1
; %bb.885:                              ;   in Loop: Header=BB286_9 Depth=1
	s_or_b64 exec, exec, s[42:43]
	s_and_b64 vcc, vcc, exec
	s_or_saveexec_b64 s[40:41], s[40:41]
	v_mov_b32_e32 v52, s44
	s_xor_b64 exec, exec, s[40:41]
	s_cbranch_execz .LBB286_615
.LBB286_886:                            ;   in Loop: Header=BB286_9 Depth=1
	v_cmp_ne_u16_sdwa s[42:43], v4, v5 src0_sel:BYTE_0 src1_sel:DWORD
	s_andn2_b64 vcc, vcc, exec
	s_and_b64 s[42:43], s[42:43], exec
	v_mov_b32_e32 v52, 0
	s_or_b64 vcc, vcc, s[42:43]
	s_or_b64 exec, exec, s[40:41]
	s_and_saveexec_b64 s[40:41], vcc
	s_cbranch_execnz .LBB286_616
	s_branch .LBB286_617
.LBB286_887:                            ;   in Loop: Header=BB286_9 Depth=1
	v_cmp_eq_u16_e32 vcc, s46, v4
	s_mov_b64 s[40:41], -1
                                        ; implicit-def: $sgpr48
	s_and_saveexec_b64 s[44:45], vcc
; %bb.888:                              ;   in Loop: Header=BB286_9 Depth=1
	s_mov_b32 s48, 0x7fc02000
	s_xor_b64 s[40:41], exec, -1
; %bb.889:                              ;   in Loop: Header=BB286_9 Depth=1
	s_or_b64 exec, exec, s[44:45]
	s_and_b64 s[40:41], s[40:41], exec
	s_or_saveexec_b64 s[42:43], s[42:43]
	v_mov_b32_e32 v18, s48
	s_xor_b64 exec, exec, s[42:43]
	s_cbranch_execz .LBB286_619
.LBB286_890:                            ;   in Loop: Header=BB286_9 Depth=1
	v_cmp_ne_u16_e32 vcc, 0, v4
	s_andn2_b64 s[40:41], s[40:41], exec
	s_and_b64 vcc, vcc, exec
	v_mov_b32_e32 v18, 0
	s_or_b64 s[40:41], s[40:41], vcc
	s_or_b64 exec, exec, s[42:43]
	s_and_saveexec_b64 s[42:43], s[40:41]
	s_cbranch_execnz .LBB286_620
	s_branch .LBB286_621
.LBB286_891:                            ;   in Loop: Header=BB286_9 Depth=1
	v_cmp_eq_u16_sdwa s[48:49], v8, s46 src0_sel:BYTE_0 src1_sel:DWORD
	s_mov_b64 vcc, -1
                                        ; implicit-def: $sgpr44
	s_and_saveexec_b64 s[42:43], s[48:49]
; %bb.892:                              ;   in Loop: Header=BB286_9 Depth=1
	s_mov_b32 s44, 0x7fc02000
	s_xor_b64 vcc, exec, -1
; %bb.893:                              ;   in Loop: Header=BB286_9 Depth=1
	s_or_b64 exec, exec, s[42:43]
	s_and_b64 vcc, vcc, exec
	s_or_saveexec_b64 s[40:41], s[40:41]
	v_mov_b32_e32 v42, s44
	s_xor_b64 exec, exec, s[40:41]
	s_cbranch_execz .LBB286_623
.LBB286_894:                            ;   in Loop: Header=BB286_9 Depth=1
	v_cmp_ne_u16_sdwa s[42:43], v8, v5 src0_sel:BYTE_0 src1_sel:DWORD
	s_andn2_b64 vcc, vcc, exec
	s_and_b64 s[42:43], s[42:43], exec
	v_mov_b32_e32 v42, 0
	s_or_b64 vcc, vcc, s[42:43]
	s_or_b64 exec, exec, s[40:41]
	s_and_saveexec_b64 s[40:41], vcc
	s_cbranch_execnz .LBB286_624
	s_branch .LBB286_625
.LBB286_895:                            ;   in Loop: Header=BB286_9 Depth=1
	v_cmp_eq_u16_e32 vcc, s46, v4
	s_mov_b64 s[40:41], -1
                                        ; implicit-def: $sgpr48
	s_and_saveexec_b64 s[44:45], vcc
; %bb.896:                              ;   in Loop: Header=BB286_9 Depth=1
	s_mov_b32 s48, 0x7fc02000
	s_xor_b64 s[40:41], exec, -1
; %bb.897:                              ;   in Loop: Header=BB286_9 Depth=1
	s_or_b64 exec, exec, s[44:45]
	s_and_b64 s[40:41], s[40:41], exec
	s_or_saveexec_b64 s[42:43], s[42:43]
	v_mov_b32_e32 v43, s48
	s_xor_b64 exec, exec, s[42:43]
	s_cbranch_execz .LBB286_627
.LBB286_898:                            ;   in Loop: Header=BB286_9 Depth=1
	v_cmp_ne_u16_e32 vcc, 0, v4
	s_andn2_b64 s[40:41], s[40:41], exec
	s_and_b64 vcc, vcc, exec
	v_mov_b32_e32 v43, 0
	s_or_b64 s[40:41], s[40:41], vcc
	s_or_b64 exec, exec, s[42:43]
	s_and_saveexec_b64 s[42:43], s[40:41]
	s_cbranch_execnz .LBB286_628
	s_branch .LBB286_629
.LBB286_899:                            ;   in Loop: Header=BB286_9 Depth=1
	v_cmp_eq_u16_sdwa s[48:49], v4, s46 src0_sel:BYTE_0 src1_sel:DWORD
	s_mov_b64 vcc, -1
                                        ; implicit-def: $sgpr44
	s_and_saveexec_b64 s[42:43], s[48:49]
; %bb.900:                              ;   in Loop: Header=BB286_9 Depth=1
	s_mov_b32 s44, 0x7fc02000
	s_xor_b64 vcc, exec, -1
; %bb.901:                              ;   in Loop: Header=BB286_9 Depth=1
	s_or_b64 exec, exec, s[42:43]
	s_and_b64 vcc, vcc, exec
	s_or_saveexec_b64 s[40:41], s[40:41]
	v_mov_b32_e32 v29, s44
	s_xor_b64 exec, exec, s[40:41]
	s_cbranch_execz .LBB286_631
.LBB286_902:                            ;   in Loop: Header=BB286_9 Depth=1
	v_cmp_ne_u16_sdwa s[42:43], v4, v5 src0_sel:BYTE_0 src1_sel:DWORD
	s_andn2_b64 vcc, vcc, exec
	s_and_b64 s[42:43], s[42:43], exec
	v_mov_b32_e32 v29, 0
	s_or_b64 vcc, vcc, s[42:43]
	s_or_b64 exec, exec, s[40:41]
	s_and_saveexec_b64 s[40:41], vcc
	s_cbranch_execnz .LBB286_632
	s_branch .LBB286_633
.LBB286_903:                            ;   in Loop: Header=BB286_9 Depth=1
	v_cmp_eq_u16_e32 vcc, s46, v4
	s_mov_b64 s[40:41], -1
                                        ; implicit-def: $sgpr48
	s_and_saveexec_b64 s[44:45], vcc
; %bb.904:                              ;   in Loop: Header=BB286_9 Depth=1
	s_mov_b32 s48, 0x7fc02000
	s_xor_b64 s[40:41], exec, -1
; %bb.905:                              ;   in Loop: Header=BB286_9 Depth=1
	s_or_b64 exec, exec, s[44:45]
	s_and_b64 s[40:41], s[40:41], exec
	s_or_saveexec_b64 s[42:43], s[42:43]
	v_mov_b32_e32 v19, s48
	s_xor_b64 exec, exec, s[42:43]
	s_cbranch_execz .LBB286_635
.LBB286_906:                            ;   in Loop: Header=BB286_9 Depth=1
	v_cmp_ne_u16_e32 vcc, 0, v4
	s_andn2_b64 s[40:41], s[40:41], exec
	s_and_b64 vcc, vcc, exec
	v_mov_b32_e32 v19, 0
	s_or_b64 s[40:41], s[40:41], vcc
	s_or_b64 exec, exec, s[42:43]
	s_and_saveexec_b64 s[42:43], s[40:41]
	s_cbranch_execnz .LBB286_636
	s_branch .LBB286_637
.LBB286_907:                            ;   in Loop: Header=BB286_9 Depth=1
	v_cmp_eq_u16_sdwa s[48:49], v8, s46 src0_sel:BYTE_0 src1_sel:DWORD
	s_mov_b64 vcc, -1
                                        ; implicit-def: $sgpr44
	s_and_saveexec_b64 s[42:43], s[48:49]
; %bb.908:                              ;   in Loop: Header=BB286_9 Depth=1
	s_mov_b32 s44, 0x7fc02000
	s_xor_b64 vcc, exec, -1
; %bb.909:                              ;   in Loop: Header=BB286_9 Depth=1
	s_or_b64 exec, exec, s[42:43]
	s_and_b64 vcc, vcc, exec
	s_or_saveexec_b64 s[40:41], s[40:41]
	v_mov_b32_e32 v47, s44
	s_xor_b64 exec, exec, s[40:41]
	s_cbranch_execz .LBB286_639
.LBB286_910:                            ;   in Loop: Header=BB286_9 Depth=1
	v_cmp_ne_u16_sdwa s[42:43], v8, v5 src0_sel:BYTE_0 src1_sel:DWORD
	s_andn2_b64 vcc, vcc, exec
	s_and_b64 s[42:43], s[42:43], exec
	v_mov_b32_e32 v47, 0
	s_or_b64 vcc, vcc, s[42:43]
	s_or_b64 exec, exec, s[40:41]
	s_and_saveexec_b64 s[40:41], vcc
	s_cbranch_execnz .LBB286_640
	s_branch .LBB286_641
.LBB286_911:                            ;   in Loop: Header=BB286_9 Depth=1
	v_cmp_eq_u16_e32 vcc, s46, v4
	s_mov_b64 s[40:41], -1
                                        ; implicit-def: $sgpr48
	s_and_saveexec_b64 s[44:45], vcc
; %bb.912:                              ;   in Loop: Header=BB286_9 Depth=1
	s_mov_b32 s48, 0x7fc02000
	s_xor_b64 s[40:41], exec, -1
; %bb.913:                              ;   in Loop: Header=BB286_9 Depth=1
	s_or_b64 exec, exec, s[44:45]
	s_and_b64 s[40:41], s[40:41], exec
	s_or_saveexec_b64 s[42:43], s[42:43]
	v_mov_b32_e32 v50, s48
	s_xor_b64 exec, exec, s[42:43]
	s_cbranch_execz .LBB286_643
.LBB286_914:                            ;   in Loop: Header=BB286_9 Depth=1
	v_cmp_ne_u16_e32 vcc, 0, v4
	s_andn2_b64 s[40:41], s[40:41], exec
	s_and_b64 vcc, vcc, exec
	v_mov_b32_e32 v50, 0
	s_or_b64 s[40:41], s[40:41], vcc
	s_or_b64 exec, exec, s[42:43]
	s_and_saveexec_b64 s[42:43], s[40:41]
	s_cbranch_execnz .LBB286_644
	s_branch .LBB286_645
.LBB286_915:                            ;   in Loop: Header=BB286_9 Depth=1
	v_cmp_eq_u16_sdwa s[48:49], v4, s46 src0_sel:BYTE_0 src1_sel:DWORD
	s_mov_b64 vcc, -1
                                        ; implicit-def: $sgpr44
	s_and_saveexec_b64 s[42:43], s[48:49]
; %bb.916:                              ;   in Loop: Header=BB286_9 Depth=1
	s_mov_b32 s44, 0x7fc02000
	s_xor_b64 vcc, exec, -1
; %bb.917:                              ;   in Loop: Header=BB286_9 Depth=1
	s_or_b64 exec, exec, s[42:43]
	s_and_b64 vcc, vcc, exec
	s_or_saveexec_b64 s[40:41], s[40:41]
	v_mov_b32_e32 v25, s44
	s_xor_b64 exec, exec, s[40:41]
	s_cbranch_execz .LBB286_647
.LBB286_918:                            ;   in Loop: Header=BB286_9 Depth=1
	v_cmp_ne_u16_sdwa s[42:43], v4, v5 src0_sel:BYTE_0 src1_sel:DWORD
	s_andn2_b64 vcc, vcc, exec
	s_and_b64 s[42:43], s[42:43], exec
	v_mov_b32_e32 v25, 0
	s_or_b64 vcc, vcc, s[42:43]
	s_or_b64 exec, exec, s[40:41]
	s_and_saveexec_b64 s[40:41], vcc
	s_cbranch_execnz .LBB286_648
	s_branch .LBB286_649
.LBB286_919:                            ;   in Loop: Header=BB286_9 Depth=1
	v_cmp_eq_u16_e32 vcc, s46, v4
	s_mov_b64 s[40:41], -1
                                        ; implicit-def: $sgpr48
	s_and_saveexec_b64 s[44:45], vcc
; %bb.920:                              ;   in Loop: Header=BB286_9 Depth=1
	s_mov_b32 s48, 0x7fc02000
	s_xor_b64 s[40:41], exec, -1
; %bb.921:                              ;   in Loop: Header=BB286_9 Depth=1
	s_or_b64 exec, exec, s[44:45]
	s_and_b64 s[40:41], s[40:41], exec
	s_or_saveexec_b64 s[42:43], s[42:43]
	v_mov_b32_e32 v27, s48
	s_xor_b64 exec, exec, s[42:43]
	s_cbranch_execz .LBB286_651
.LBB286_922:                            ;   in Loop: Header=BB286_9 Depth=1
	v_cmp_ne_u16_e32 vcc, 0, v4
	s_andn2_b64 s[40:41], s[40:41], exec
	s_and_b64 vcc, vcc, exec
	v_mov_b32_e32 v27, 0
	s_or_b64 s[40:41], s[40:41], vcc
	s_or_b64 exec, exec, s[42:43]
	s_and_saveexec_b64 s[42:43], s[40:41]
	s_cbranch_execnz .LBB286_652
	s_branch .LBB286_653
.LBB286_923:                            ;   in Loop: Header=BB286_9 Depth=1
	v_cmp_eq_u16_sdwa s[48:49], v8, s46 src0_sel:BYTE_0 src1_sel:DWORD
	s_mov_b64 vcc, -1
                                        ; implicit-def: $sgpr44
	s_and_saveexec_b64 s[42:43], s[48:49]
; %bb.924:                              ;   in Loop: Header=BB286_9 Depth=1
	s_mov_b32 s44, 0x7fc02000
	s_xor_b64 vcc, exec, -1
; %bb.925:                              ;   in Loop: Header=BB286_9 Depth=1
	s_or_b64 exec, exec, s[42:43]
	s_and_b64 vcc, vcc, exec
	s_or_saveexec_b64 s[40:41], s[40:41]
	v_mov_b32_e32 v39, s44
	s_xor_b64 exec, exec, s[40:41]
	s_cbranch_execz .LBB286_655
.LBB286_926:                            ;   in Loop: Header=BB286_9 Depth=1
	v_cmp_ne_u16_sdwa s[42:43], v8, v5 src0_sel:BYTE_0 src1_sel:DWORD
	s_andn2_b64 vcc, vcc, exec
	s_and_b64 s[42:43], s[42:43], exec
	v_mov_b32_e32 v39, 0
	s_or_b64 vcc, vcc, s[42:43]
	s_or_b64 exec, exec, s[40:41]
	s_and_saveexec_b64 s[40:41], vcc
	s_cbranch_execnz .LBB286_656
	s_branch .LBB286_657
.LBB286_927:                            ;   in Loop: Header=BB286_9 Depth=1
	v_cmp_eq_u16_e32 vcc, s46, v4
	s_mov_b64 s[40:41], -1
                                        ; implicit-def: $sgpr48
	s_and_saveexec_b64 s[44:45], vcc
; %bb.928:                              ;   in Loop: Header=BB286_9 Depth=1
	s_mov_b32 s48, 0x7fc02000
	s_xor_b64 s[40:41], exec, -1
; %bb.929:                              ;   in Loop: Header=BB286_9 Depth=1
	s_or_b64 exec, exec, s[44:45]
	s_and_b64 s[40:41], s[40:41], exec
	s_or_saveexec_b64 s[42:43], s[42:43]
	v_mov_b32_e32 v36, s48
	s_xor_b64 exec, exec, s[42:43]
	s_cbranch_execz .LBB286_659
.LBB286_930:                            ;   in Loop: Header=BB286_9 Depth=1
	v_cmp_ne_u16_e32 vcc, 0, v4
	s_andn2_b64 s[40:41], s[40:41], exec
	s_and_b64 vcc, vcc, exec
	v_mov_b32_e32 v36, 0
	s_or_b64 s[40:41], s[40:41], vcc
	s_or_b64 exec, exec, s[42:43]
	s_and_saveexec_b64 s[42:43], s[40:41]
	s_cbranch_execnz .LBB286_660
	s_branch .LBB286_661
.LBB286_931:                            ;   in Loop: Header=BB286_9 Depth=1
	v_cmp_eq_u16_sdwa s[48:49], v4, s46 src0_sel:BYTE_0 src1_sel:DWORD
	s_mov_b64 vcc, -1
                                        ; implicit-def: $sgpr44
	s_and_saveexec_b64 s[42:43], s[48:49]
; %bb.932:                              ;   in Loop: Header=BB286_9 Depth=1
	s_mov_b32 s44, 0x7fc02000
	s_xor_b64 vcc, exec, -1
; %bb.933:                              ;   in Loop: Header=BB286_9 Depth=1
	s_or_b64 exec, exec, s[42:43]
	s_and_b64 vcc, vcc, exec
	s_or_saveexec_b64 s[40:41], s[40:41]
	v_mov_b32_e32 v35, s44
	s_xor_b64 exec, exec, s[40:41]
	s_cbranch_execz .LBB286_663
.LBB286_934:                            ;   in Loop: Header=BB286_9 Depth=1
	v_cmp_ne_u16_sdwa s[42:43], v4, v5 src0_sel:BYTE_0 src1_sel:DWORD
	s_andn2_b64 vcc, vcc, exec
	s_and_b64 s[42:43], s[42:43], exec
	v_mov_b32_e32 v35, 0
	s_or_b64 vcc, vcc, s[42:43]
	s_or_b64 exec, exec, s[40:41]
	s_and_saveexec_b64 s[40:41], vcc
	s_cbranch_execnz .LBB286_664
	s_branch .LBB286_665
.LBB286_935:                            ;   in Loop: Header=BB286_9 Depth=1
	v_cmp_eq_u16_e32 vcc, s46, v4
	s_mov_b64 s[40:41], -1
                                        ; implicit-def: $sgpr48
	s_and_saveexec_b64 s[44:45], vcc
; %bb.936:                              ;   in Loop: Header=BB286_9 Depth=1
	s_mov_b32 s48, 0x7fc02000
	s_xor_b64 s[40:41], exec, -1
; %bb.937:                              ;   in Loop: Header=BB286_9 Depth=1
	s_or_b64 exec, exec, s[44:45]
	s_and_b64 s[40:41], s[40:41], exec
	s_or_saveexec_b64 s[42:43], s[42:43]
	v_mov_b32_e32 v38, s48
	s_xor_b64 exec, exec, s[42:43]
	s_cbranch_execz .LBB286_667
.LBB286_938:                            ;   in Loop: Header=BB286_9 Depth=1
	v_cmp_ne_u16_e32 vcc, 0, v4
	s_andn2_b64 s[40:41], s[40:41], exec
	s_and_b64 vcc, vcc, exec
	v_mov_b32_e32 v38, 0
	s_or_b64 s[40:41], s[40:41], vcc
	s_or_b64 exec, exec, s[42:43]
	s_and_saveexec_b64 s[42:43], s[40:41]
	s_cbranch_execnz .LBB286_668
	s_branch .LBB286_669
.LBB286_939:                            ;   in Loop: Header=BB286_9 Depth=1
	v_cmp_eq_u16_sdwa s[48:49], v8, s46 src0_sel:BYTE_0 src1_sel:DWORD
	s_mov_b64 vcc, -1
                                        ; implicit-def: $sgpr44
	s_and_saveexec_b64 s[42:43], s[48:49]
; %bb.940:                              ;   in Loop: Header=BB286_9 Depth=1
	s_mov_b32 s44, 0x7fc02000
	s_xor_b64 vcc, exec, -1
; %bb.941:                              ;   in Loop: Header=BB286_9 Depth=1
	s_or_b64 exec, exec, s[42:43]
	s_and_b64 vcc, vcc, exec
	s_or_saveexec_b64 s[40:41], s[40:41]
	v_mov_b32_e32 v23, s44
	s_xor_b64 exec, exec, s[40:41]
	s_cbranch_execz .LBB286_671
.LBB286_942:                            ;   in Loop: Header=BB286_9 Depth=1
	v_cmp_ne_u16_sdwa s[42:43], v8, v5 src0_sel:BYTE_0 src1_sel:DWORD
	s_andn2_b64 vcc, vcc, exec
	s_and_b64 s[42:43], s[42:43], exec
	v_mov_b32_e32 v23, 0
	s_or_b64 vcc, vcc, s[42:43]
	s_or_b64 exec, exec, s[40:41]
	s_and_saveexec_b64 s[40:41], vcc
	s_cbranch_execnz .LBB286_672
	s_branch .LBB286_673
.LBB286_943:                            ;   in Loop: Header=BB286_9 Depth=1
	v_cmp_eq_u16_e32 vcc, s46, v4
	s_mov_b64 s[40:41], -1
                                        ; implicit-def: $sgpr48
	s_and_saveexec_b64 s[44:45], vcc
; %bb.944:                              ;   in Loop: Header=BB286_9 Depth=1
	s_mov_b32 s48, 0x7fc02000
	s_xor_b64 s[40:41], exec, -1
; %bb.945:                              ;   in Loop: Header=BB286_9 Depth=1
	s_or_b64 exec, exec, s[44:45]
	s_and_b64 s[40:41], s[40:41], exec
	s_or_saveexec_b64 s[42:43], s[42:43]
	v_mov_b32_e32 v6, s48
	s_xor_b64 exec, exec, s[42:43]
	s_cbranch_execz .LBB286_675
.LBB286_946:                            ;   in Loop: Header=BB286_9 Depth=1
	v_cmp_ne_u16_e32 vcc, 0, v4
	s_andn2_b64 s[40:41], s[40:41], exec
	s_and_b64 vcc, vcc, exec
	v_mov_b32_e32 v6, 0
	s_or_b64 s[40:41], s[40:41], vcc
	s_or_b64 exec, exec, s[42:43]
	s_and_saveexec_b64 s[42:43], s[40:41]
	s_cbranch_execnz .LBB286_676
	s_branch .LBB286_677
.LBB286_947:                            ;   in Loop: Header=BB286_9 Depth=1
	v_cmp_eq_u16_sdwa s[48:49], v4, s46 src0_sel:BYTE_0 src1_sel:DWORD
	s_mov_b64 vcc, -1
                                        ; implicit-def: $sgpr44
	s_and_saveexec_b64 s[42:43], s[48:49]
; %bb.948:                              ;   in Loop: Header=BB286_9 Depth=1
	s_mov_b32 s44, 0x7fc02000
	s_xor_b64 vcc, exec, -1
; %bb.949:                              ;   in Loop: Header=BB286_9 Depth=1
	s_or_b64 exec, exec, s[42:43]
	s_and_b64 vcc, vcc, exec
	s_or_saveexec_b64 s[40:41], s[40:41]
	v_mov_b32_e32 v14, s44
	s_xor_b64 exec, exec, s[40:41]
	s_cbranch_execz .LBB286_679
.LBB286_950:                            ;   in Loop: Header=BB286_9 Depth=1
	v_cmp_ne_u16_sdwa s[42:43], v4, v5 src0_sel:BYTE_0 src1_sel:DWORD
	s_andn2_b64 vcc, vcc, exec
	s_and_b64 s[42:43], s[42:43], exec
	v_mov_b32_e32 v14, 0
	s_or_b64 vcc, vcc, s[42:43]
	s_or_b64 exec, exec, s[40:41]
	s_and_saveexec_b64 s[40:41], vcc
	s_cbranch_execnz .LBB286_680
	s_branch .LBB286_681
.LBB286_951:                            ;   in Loop: Header=BB286_9 Depth=1
	v_cmp_eq_u16_e32 vcc, s46, v4
	s_mov_b64 s[40:41], -1
                                        ; implicit-def: $sgpr48
	s_and_saveexec_b64 s[44:45], vcc
; %bb.952:                              ;   in Loop: Header=BB286_9 Depth=1
	s_mov_b32 s48, 0x7fc02000
	s_xor_b64 s[40:41], exec, -1
; %bb.953:                              ;   in Loop: Header=BB286_9 Depth=1
	s_or_b64 exec, exec, s[44:45]
	s_and_b64 s[40:41], s[40:41], exec
	s_or_saveexec_b64 s[42:43], s[42:43]
	v_mov_b32_e32 v49, s48
	s_xor_b64 exec, exec, s[42:43]
	s_cbranch_execz .LBB286_683
.LBB286_954:                            ;   in Loop: Header=BB286_9 Depth=1
	v_cmp_ne_u16_e32 vcc, 0, v4
	s_andn2_b64 s[40:41], s[40:41], exec
	s_and_b64 vcc, vcc, exec
	v_mov_b32_e32 v49, 0
	s_or_b64 s[40:41], s[40:41], vcc
	s_or_b64 exec, exec, s[42:43]
	s_and_saveexec_b64 s[42:43], s[40:41]
	s_cbranch_execnz .LBB286_684
	s_branch .LBB286_685
.LBB286_955:                            ;   in Loop: Header=BB286_9 Depth=1
	v_cmp_eq_u16_sdwa s[48:49], v8, s46 src0_sel:BYTE_0 src1_sel:DWORD
	s_mov_b64 vcc, -1
                                        ; implicit-def: $sgpr44
	s_and_saveexec_b64 s[42:43], s[48:49]
; %bb.956:                              ;   in Loop: Header=BB286_9 Depth=1
	s_mov_b32 s44, 0x7fc02000
	s_xor_b64 vcc, exec, -1
; %bb.957:                              ;   in Loop: Header=BB286_9 Depth=1
	s_or_b64 exec, exec, s[42:43]
	s_and_b64 vcc, vcc, exec
	s_or_saveexec_b64 s[40:41], s[40:41]
	v_mov_b32_e32 v7, s44
	s_xor_b64 exec, exec, s[40:41]
	s_cbranch_execz .LBB286_687
.LBB286_958:                            ;   in Loop: Header=BB286_9 Depth=1
	v_cmp_ne_u16_sdwa s[42:43], v8, v5 src0_sel:BYTE_0 src1_sel:DWORD
	s_andn2_b64 vcc, vcc, exec
	s_and_b64 s[42:43], s[42:43], exec
	v_mov_b32_e32 v7, 0
	s_or_b64 vcc, vcc, s[42:43]
	s_or_b64 exec, exec, s[40:41]
	s_and_saveexec_b64 s[40:41], vcc
	s_cbranch_execnz .LBB286_688
	s_branch .LBB286_689
.LBB286_959:                            ;   in Loop: Header=BB286_9 Depth=1
	v_cmp_eq_u16_e32 vcc, s46, v4
	s_mov_b64 s[40:41], -1
                                        ; implicit-def: $sgpr48
	s_and_saveexec_b64 s[44:45], vcc
; %bb.960:                              ;   in Loop: Header=BB286_9 Depth=1
	s_mov_b32 s48, 0x7fc02000
	s_xor_b64 s[40:41], exec, -1
; %bb.961:                              ;   in Loop: Header=BB286_9 Depth=1
	s_or_b64 exec, exec, s[44:45]
	s_and_b64 s[40:41], s[40:41], exec
	s_or_saveexec_b64 s[42:43], s[42:43]
	v_mov_b32_e32 v15, s48
	s_xor_b64 exec, exec, s[42:43]
	s_cbranch_execz .LBB286_691
.LBB286_962:                            ;   in Loop: Header=BB286_9 Depth=1
	v_cmp_ne_u16_e32 vcc, 0, v4
	s_andn2_b64 s[40:41], s[40:41], exec
	s_and_b64 vcc, vcc, exec
	v_mov_b32_e32 v15, 0
	s_or_b64 s[40:41], s[40:41], vcc
	s_or_b64 exec, exec, s[42:43]
	s_and_saveexec_b64 s[42:43], s[40:41]
	s_cbranch_execnz .LBB286_692
	s_branch .LBB286_693
.LBB286_963:                            ;   in Loop: Header=BB286_9 Depth=1
	v_cmp_eq_u16_sdwa s[48:49], v4, s46 src0_sel:BYTE_0 src1_sel:DWORD
	s_mov_b64 vcc, -1
                                        ; implicit-def: $sgpr44
	s_and_saveexec_b64 s[42:43], s[48:49]
; %bb.964:                              ;   in Loop: Header=BB286_9 Depth=1
	s_mov_b32 s44, 0x7fc02000
	s_xor_b64 vcc, exec, -1
; %bb.965:                              ;   in Loop: Header=BB286_9 Depth=1
	s_or_b64 exec, exec, s[42:43]
	s_and_b64 vcc, vcc, exec
	s_or_saveexec_b64 s[40:41], s[40:41]
	v_mov_b32_e32 v16, s44
	s_xor_b64 exec, exec, s[40:41]
	s_cbranch_execz .LBB286_695
.LBB286_966:                            ;   in Loop: Header=BB286_9 Depth=1
	v_cmp_ne_u16_sdwa s[42:43], v4, v5 src0_sel:BYTE_0 src1_sel:DWORD
	s_andn2_b64 vcc, vcc, exec
	s_and_b64 s[42:43], s[42:43], exec
	v_mov_b32_e32 v16, 0
	s_or_b64 vcc, vcc, s[42:43]
	s_or_b64 exec, exec, s[40:41]
	s_and_saveexec_b64 s[40:41], vcc
	s_cbranch_execnz .LBB286_696
	s_branch .LBB286_697
.LBB286_967:                            ;   in Loop: Header=BB286_9 Depth=1
	v_cmp_eq_u16_e32 vcc, s46, v4
	s_mov_b64 s[40:41], -1
                                        ; implicit-def: $sgpr48
	s_and_saveexec_b64 s[44:45], vcc
; %bb.968:                              ;   in Loop: Header=BB286_9 Depth=1
	s_mov_b32 s48, 0x7fc02000
	s_xor_b64 s[40:41], exec, -1
; %bb.969:                              ;   in Loop: Header=BB286_9 Depth=1
	s_or_b64 exec, exec, s[44:45]
	s_and_b64 s[40:41], s[40:41], exec
	s_or_saveexec_b64 s[42:43], s[42:43]
	v_mov_b32_e32 v22, s48
	s_xor_b64 exec, exec, s[42:43]
	s_cbranch_execz .LBB286_699
.LBB286_970:                            ;   in Loop: Header=BB286_9 Depth=1
	v_cmp_ne_u16_e32 vcc, 0, v4
	s_andn2_b64 s[40:41], s[40:41], exec
	s_and_b64 vcc, vcc, exec
	v_mov_b32_e32 v22, 0
	s_or_b64 s[40:41], s[40:41], vcc
	s_or_b64 exec, exec, s[42:43]
	s_and_saveexec_b64 s[42:43], s[40:41]
	s_cbranch_execnz .LBB286_700
	s_branch .LBB286_701
.LBB286_971:                            ;   in Loop: Header=BB286_9 Depth=1
	v_cmp_eq_u16_sdwa s[48:49], v8, s46 src0_sel:BYTE_0 src1_sel:DWORD
	s_mov_b64 vcc, -1
                                        ; implicit-def: $sgpr44
	s_and_saveexec_b64 s[42:43], s[48:49]
; %bb.972:                              ;   in Loop: Header=BB286_9 Depth=1
	s_mov_b32 s44, 0x7fc02000
	s_xor_b64 vcc, exec, -1
; %bb.973:                              ;   in Loop: Header=BB286_9 Depth=1
	s_or_b64 exec, exec, s[42:43]
	s_and_b64 vcc, vcc, exec
	s_or_saveexec_b64 s[40:41], s[40:41]
	v_mov_b32_e32 v3, s44
	s_xor_b64 exec, exec, s[40:41]
	s_cbranch_execz .LBB286_703
.LBB286_974:                            ;   in Loop: Header=BB286_9 Depth=1
	v_cmp_ne_u16_sdwa s[42:43], v8, v5 src0_sel:BYTE_0 src1_sel:DWORD
	s_andn2_b64 vcc, vcc, exec
	s_and_b64 s[42:43], s[42:43], exec
	v_mov_b32_e32 v3, 0
	s_or_b64 vcc, vcc, s[42:43]
	s_or_b64 exec, exec, s[40:41]
	s_and_saveexec_b64 s[40:41], vcc
	s_cbranch_execnz .LBB286_704
	s_branch .LBB286_705
.LBB286_975:                            ;   in Loop: Header=BB286_9 Depth=1
	v_cmp_eq_u16_e32 vcc, s46, v4
	s_mov_b64 s[40:41], -1
                                        ; implicit-def: $sgpr48
	s_and_saveexec_b64 s[44:45], vcc
; %bb.976:                              ;   in Loop: Header=BB286_9 Depth=1
	s_mov_b32 s48, 0x7fc02000
	s_xor_b64 s[40:41], exec, -1
; %bb.977:                              ;   in Loop: Header=BB286_9 Depth=1
	s_or_b64 exec, exec, s[44:45]
	s_and_b64 s[40:41], s[40:41], exec
	s_or_saveexec_b64 s[42:43], s[42:43]
	v_mov_b32_e32 v37, s48
	s_xor_b64 exec, exec, s[42:43]
	s_cbranch_execz .LBB286_707
.LBB286_978:                            ;   in Loop: Header=BB286_9 Depth=1
	v_cmp_ne_u16_e32 vcc, 0, v4
	s_andn2_b64 s[40:41], s[40:41], exec
	s_and_b64 vcc, vcc, exec
	v_mov_b32_e32 v37, 0
	s_or_b64 s[40:41], s[40:41], vcc
	s_or_b64 exec, exec, s[42:43]
	s_and_saveexec_b64 s[42:43], s[40:41]
	s_cbranch_execnz .LBB286_708
	s_branch .LBB286_709
.LBB286_979:                            ;   in Loop: Header=BB286_9 Depth=1
	v_cmp_eq_u16_sdwa s[48:49], v4, s46 src0_sel:BYTE_0 src1_sel:DWORD
	s_mov_b64 vcc, -1
                                        ; implicit-def: $sgpr44
	s_and_saveexec_b64 s[42:43], s[48:49]
; %bb.980:                              ;   in Loop: Header=BB286_9 Depth=1
	s_mov_b32 s44, 0x7fc02000
	s_xor_b64 vcc, exec, -1
; %bb.981:                              ;   in Loop: Header=BB286_9 Depth=1
	s_or_b64 exec, exec, s[42:43]
	s_and_b64 vcc, vcc, exec
	s_or_saveexec_b64 s[40:41], s[40:41]
	v_mov_b32_e32 v51, s44
	s_xor_b64 exec, exec, s[40:41]
	s_cbranch_execz .LBB286_711
.LBB286_982:                            ;   in Loop: Header=BB286_9 Depth=1
	v_cmp_ne_u16_sdwa s[42:43], v4, v5 src0_sel:BYTE_0 src1_sel:DWORD
	s_andn2_b64 vcc, vcc, exec
	s_and_b64 s[42:43], s[42:43], exec
	v_mov_b32_e32 v51, 0
	s_or_b64 vcc, vcc, s[42:43]
	s_or_b64 exec, exec, s[40:41]
	s_and_saveexec_b64 s[40:41], vcc
	s_cbranch_execnz .LBB286_712
	s_branch .LBB286_713
.LBB286_983:                            ;   in Loop: Header=BB286_9 Depth=1
	v_cmp_eq_u16_e32 vcc, s46, v4
	s_mov_b64 s[40:41], -1
                                        ; implicit-def: $sgpr48
	s_and_saveexec_b64 s[44:45], vcc
; %bb.984:                              ;   in Loop: Header=BB286_9 Depth=1
	s_mov_b32 s48, 0x7fc02000
	s_xor_b64 s[40:41], exec, -1
; %bb.985:                              ;   in Loop: Header=BB286_9 Depth=1
	s_or_b64 exec, exec, s[44:45]
	s_and_b64 s[40:41], s[40:41], exec
	s_or_saveexec_b64 s[42:43], s[42:43]
	v_mov_b32_e32 v53, s48
	s_xor_b64 exec, exec, s[42:43]
	s_cbranch_execz .LBB286_715
.LBB286_986:                            ;   in Loop: Header=BB286_9 Depth=1
	v_cmp_ne_u16_e32 vcc, 0, v4
	s_andn2_b64 s[40:41], s[40:41], exec
	s_and_b64 vcc, vcc, exec
	v_mov_b32_e32 v53, 0
	s_or_b64 s[40:41], s[40:41], vcc
	s_or_b64 exec, exec, s[42:43]
	s_and_saveexec_b64 s[42:43], s[40:41]
	s_cbranch_execnz .LBB286_716
	s_branch .LBB286_717
.LBB286_987:                            ;   in Loop: Header=BB286_9 Depth=1
	v_cmp_eq_u16_sdwa s[48:49], v8, s46 src0_sel:BYTE_0 src1_sel:DWORD
	s_mov_b64 vcc, -1
                                        ; implicit-def: $sgpr44
	s_and_saveexec_b64 s[42:43], s[48:49]
; %bb.988:                              ;   in Loop: Header=BB286_9 Depth=1
	s_mov_b32 s44, 0x7fc02000
	s_xor_b64 vcc, exec, -1
; %bb.989:                              ;   in Loop: Header=BB286_9 Depth=1
	s_or_b64 exec, exec, s[42:43]
	s_and_b64 vcc, vcc, exec
	s_or_saveexec_b64 s[40:41], s[40:41]
	v_mov_b32_e32 v32, s44
	s_xor_b64 exec, exec, s[40:41]
	s_cbranch_execz .LBB286_719
.LBB286_990:                            ;   in Loop: Header=BB286_9 Depth=1
	v_cmp_ne_u16_sdwa s[42:43], v8, v5 src0_sel:BYTE_0 src1_sel:DWORD
	s_andn2_b64 vcc, vcc, exec
	s_and_b64 s[42:43], s[42:43], exec
	v_mov_b32_e32 v32, 0
	s_or_b64 vcc, vcc, s[42:43]
	s_or_b64 exec, exec, s[40:41]
	s_and_saveexec_b64 s[40:41], vcc
	s_cbranch_execnz .LBB286_720
	s_branch .LBB286_721
.LBB286_991:                            ;   in Loop: Header=BB286_9 Depth=1
	v_cmp_eq_u16_e32 vcc, s46, v4
	s_mov_b64 s[40:41], -1
                                        ; implicit-def: $sgpr48
	s_and_saveexec_b64 s[44:45], vcc
; %bb.992:                              ;   in Loop: Header=BB286_9 Depth=1
	s_mov_b32 s48, 0x7fc02000
	s_xor_b64 s[40:41], exec, -1
; %bb.993:                              ;   in Loop: Header=BB286_9 Depth=1
	s_or_b64 exec, exec, s[44:45]
	s_and_b64 s[40:41], s[40:41], exec
	s_or_saveexec_b64 s[42:43], s[42:43]
	v_mov_b32_e32 v12, s48
	s_xor_b64 exec, exec, s[42:43]
	s_cbranch_execz .LBB286_723
.LBB286_994:                            ;   in Loop: Header=BB286_9 Depth=1
	v_cmp_ne_u16_e32 vcc, 0, v4
	s_andn2_b64 s[40:41], s[40:41], exec
	s_and_b64 vcc, vcc, exec
	v_mov_b32_e32 v12, 0
	s_or_b64 s[40:41], s[40:41], vcc
	s_or_b64 exec, exec, s[42:43]
	s_and_saveexec_b64 s[42:43], s[40:41]
	s_cbranch_execnz .LBB286_724
	s_branch .LBB286_725
.LBB286_995:                            ;   in Loop: Header=BB286_9 Depth=1
	v_cmp_eq_u16_sdwa s[48:49], v4, s46 src0_sel:BYTE_0 src1_sel:DWORD
	s_mov_b64 vcc, -1
                                        ; implicit-def: $sgpr44
	s_and_saveexec_b64 s[42:43], s[48:49]
; %bb.996:                              ;   in Loop: Header=BB286_9 Depth=1
	s_mov_b32 s44, 0x7fc02000
	s_xor_b64 vcc, exec, -1
; %bb.997:                              ;   in Loop: Header=BB286_9 Depth=1
	s_or_b64 exec, exec, s[42:43]
	s_and_b64 vcc, vcc, exec
	s_or_saveexec_b64 s[40:41], s[40:41]
	v_mov_b32_e32 v33, s44
	s_xor_b64 exec, exec, s[40:41]
	s_cbranch_execz .LBB286_727
.LBB286_998:                            ;   in Loop: Header=BB286_9 Depth=1
	v_cmp_ne_u16_sdwa s[42:43], v4, v5 src0_sel:BYTE_0 src1_sel:DWORD
	s_andn2_b64 vcc, vcc, exec
	s_and_b64 s[42:43], s[42:43], exec
	v_mov_b32_e32 v33, 0
	s_or_b64 vcc, vcc, s[42:43]
	s_or_b64 exec, exec, s[40:41]
	s_and_saveexec_b64 s[40:41], vcc
	s_cbranch_execnz .LBB286_728
	s_branch .LBB286_729
.LBB286_999:                            ;   in Loop: Header=BB286_9 Depth=1
	v_cmp_eq_u16_e32 vcc, s46, v4
	s_mov_b64 s[40:41], -1
                                        ; implicit-def: $sgpr48
	s_and_saveexec_b64 s[44:45], vcc
; %bb.1000:                             ;   in Loop: Header=BB286_9 Depth=1
	s_mov_b32 s48, 0x7fc02000
	s_xor_b64 s[40:41], exec, -1
; %bb.1001:                             ;   in Loop: Header=BB286_9 Depth=1
	s_or_b64 exec, exec, s[44:45]
	s_and_b64 s[40:41], s[40:41], exec
	s_or_saveexec_b64 s[42:43], s[42:43]
	v_mov_b32_e32 v41, s48
	s_xor_b64 exec, exec, s[42:43]
	s_cbranch_execz .LBB286_731
.LBB286_1002:                           ;   in Loop: Header=BB286_9 Depth=1
	v_cmp_ne_u16_e32 vcc, 0, v4
	s_andn2_b64 s[40:41], s[40:41], exec
	s_and_b64 vcc, vcc, exec
	v_mov_b32_e32 v41, 0
	s_or_b64 s[40:41], s[40:41], vcc
	s_or_b64 exec, exec, s[42:43]
	s_and_saveexec_b64 s[42:43], s[40:41]
	s_cbranch_execnz .LBB286_732
	s_branch .LBB286_733
.LBB286_1003:                           ;   in Loop: Header=BB286_9 Depth=1
	v_cmp_eq_u16_sdwa s[48:49], v8, s46 src0_sel:BYTE_0 src1_sel:DWORD
	s_mov_b64 vcc, -1
                                        ; implicit-def: $sgpr44
	s_and_saveexec_b64 s[42:43], s[48:49]
; %bb.1004:                             ;   in Loop: Header=BB286_9 Depth=1
	s_mov_b32 s44, 0x7fc02000
	s_xor_b64 vcc, exec, -1
; %bb.1005:                             ;   in Loop: Header=BB286_9 Depth=1
	s_or_b64 exec, exec, s[42:43]
	s_and_b64 vcc, vcc, exec
	s_or_saveexec_b64 s[40:41], s[40:41]
	v_mov_b32_e32 v45, s44
	s_xor_b64 exec, exec, s[40:41]
	s_cbranch_execz .LBB286_735
.LBB286_1006:                           ;   in Loop: Header=BB286_9 Depth=1
	v_cmp_ne_u16_sdwa s[42:43], v8, v5 src0_sel:BYTE_0 src1_sel:DWORD
	s_andn2_b64 vcc, vcc, exec
	s_and_b64 s[42:43], s[42:43], exec
	v_mov_b32_e32 v45, 0
	s_or_b64 vcc, vcc, s[42:43]
	s_or_b64 exec, exec, s[40:41]
	s_and_saveexec_b64 s[40:41], vcc
	s_cbranch_execnz .LBB286_736
	s_branch .LBB286_737
.LBB286_1007:                           ;   in Loop: Header=BB286_9 Depth=1
	v_cmp_eq_u16_e32 vcc, s46, v4
	s_mov_b64 s[40:41], -1
                                        ; implicit-def: $sgpr48
	s_and_saveexec_b64 s[44:45], vcc
; %bb.1008:                             ;   in Loop: Header=BB286_9 Depth=1
	s_mov_b32 s48, 0x7fc02000
	s_xor_b64 s[40:41], exec, -1
; %bb.1009:                             ;   in Loop: Header=BB286_9 Depth=1
	s_or_b64 exec, exec, s[44:45]
	s_and_b64 s[40:41], s[40:41], exec
	s_or_saveexec_b64 s[42:43], s[42:43]
	v_mov_b32_e32 v46, s48
	s_xor_b64 exec, exec, s[42:43]
	s_cbranch_execz .LBB286_739
.LBB286_1010:                           ;   in Loop: Header=BB286_9 Depth=1
	v_cmp_ne_u16_e32 vcc, 0, v4
	s_andn2_b64 s[40:41], s[40:41], exec
	s_and_b64 vcc, vcc, exec
	v_mov_b32_e32 v46, 0
	s_or_b64 s[40:41], s[40:41], vcc
	s_or_b64 exec, exec, s[42:43]
	s_and_saveexec_b64 s[42:43], s[40:41]
	s_cbranch_execnz .LBB286_740
	s_branch .LBB286_741
.LBB286_1011:                           ;   in Loop: Header=BB286_9 Depth=1
	v_cmp_eq_u16_sdwa s[48:49], v4, s46 src0_sel:BYTE_0 src1_sel:DWORD
	s_mov_b64 vcc, -1
                                        ; implicit-def: $sgpr44
	s_and_saveexec_b64 s[42:43], s[48:49]
; %bb.1012:                             ;   in Loop: Header=BB286_9 Depth=1
	s_mov_b32 s44, 0x7fc02000
	s_xor_b64 vcc, exec, -1
; %bb.1013:                             ;   in Loop: Header=BB286_9 Depth=1
	s_or_b64 exec, exec, s[42:43]
	s_and_b64 vcc, vcc, exec
	s_or_saveexec_b64 s[40:41], s[40:41]
	v_mov_b32_e32 v48, s44
	s_xor_b64 exec, exec, s[40:41]
	s_cbranch_execz .LBB286_743
.LBB286_1014:                           ;   in Loop: Header=BB286_9 Depth=1
	v_cmp_ne_u16_sdwa s[42:43], v4, v5 src0_sel:BYTE_0 src1_sel:DWORD
	s_andn2_b64 vcc, vcc, exec
	s_and_b64 s[42:43], s[42:43], exec
	v_mov_b32_e32 v48, 0
	s_or_b64 vcc, vcc, s[42:43]
	s_or_b64 exec, exec, s[40:41]
	s_and_saveexec_b64 s[40:41], vcc
	s_cbranch_execnz .LBB286_744
	s_branch .LBB286_745
.LBB286_1015:                           ;   in Loop: Header=BB286_9 Depth=1
	v_cmp_eq_u16_e32 vcc, s46, v4
	s_mov_b64 s[40:41], -1
                                        ; implicit-def: $sgpr48
	s_and_saveexec_b64 s[44:45], vcc
; %bb.1016:                             ;   in Loop: Header=BB286_9 Depth=1
	s_mov_b32 s48, 0x7fc02000
	s_xor_b64 s[40:41], exec, -1
; %bb.1017:                             ;   in Loop: Header=BB286_9 Depth=1
	s_or_b64 exec, exec, s[44:45]
	s_and_b64 s[40:41], s[40:41], exec
	s_or_saveexec_b64 s[42:43], s[42:43]
	v_mov_b32_e32 v56, s48
	s_xor_b64 exec, exec, s[42:43]
	s_cbranch_execz .LBB286_747
.LBB286_1018:                           ;   in Loop: Header=BB286_9 Depth=1
	v_cmp_ne_u16_e32 vcc, 0, v4
	s_andn2_b64 s[40:41], s[40:41], exec
	s_and_b64 vcc, vcc, exec
	v_mov_b32_e32 v56, 0
	s_or_b64 s[40:41], s[40:41], vcc
	s_or_b64 exec, exec, s[42:43]
	s_and_saveexec_b64 s[42:43], s[40:41]
	s_cbranch_execnz .LBB286_748
	s_branch .LBB286_749
.LBB286_1019:                           ;   in Loop: Header=BB286_9 Depth=1
	v_cmp_eq_u16_sdwa s[48:49], v8, s46 src0_sel:BYTE_0 src1_sel:DWORD
	s_mov_b64 vcc, -1
                                        ; implicit-def: $sgpr44
	s_and_saveexec_b64 s[42:43], s[48:49]
; %bb.1020:                             ;   in Loop: Header=BB286_9 Depth=1
	s_mov_b32 s44, 0x7fc02000
	s_xor_b64 vcc, exec, -1
; %bb.1021:                             ;   in Loop: Header=BB286_9 Depth=1
	s_or_b64 exec, exec, s[42:43]
	s_and_b64 vcc, vcc, exec
	s_or_saveexec_b64 s[40:41], s[40:41]
	v_mov_b32_e32 v31, s44
	s_xor_b64 exec, exec, s[40:41]
	s_cbranch_execz .LBB286_751
.LBB286_1022:                           ;   in Loop: Header=BB286_9 Depth=1
	v_cmp_ne_u16_sdwa s[42:43], v8, v5 src0_sel:BYTE_0 src1_sel:DWORD
	s_andn2_b64 vcc, vcc, exec
	s_and_b64 s[42:43], s[42:43], exec
	v_mov_b32_e32 v31, 0
	s_or_b64 vcc, vcc, s[42:43]
	s_or_b64 exec, exec, s[40:41]
	s_and_saveexec_b64 s[40:41], vcc
	s_cbranch_execnz .LBB286_752
	s_branch .LBB286_753
.LBB286_1023:                           ;   in Loop: Header=BB286_9 Depth=1
	v_cmp_eq_u16_e32 vcc, s46, v4
	s_mov_b64 s[40:41], -1
                                        ; implicit-def: $sgpr48
	s_and_saveexec_b64 s[44:45], vcc
; %bb.1024:                             ;   in Loop: Header=BB286_9 Depth=1
	s_mov_b32 s48, 0x7fc02000
	s_xor_b64 s[40:41], exec, -1
; %bb.1025:                             ;   in Loop: Header=BB286_9 Depth=1
	s_or_b64 exec, exec, s[44:45]
	s_and_b64 s[40:41], s[40:41], exec
	s_or_saveexec_b64 s[42:43], s[42:43]
	v_mov_b32_e32 v30, s48
	s_xor_b64 exec, exec, s[42:43]
	s_cbranch_execz .LBB286_755
.LBB286_1026:                           ;   in Loop: Header=BB286_9 Depth=1
	v_cmp_ne_u16_e32 vcc, 0, v4
	s_andn2_b64 s[40:41], s[40:41], exec
	s_and_b64 vcc, vcc, exec
	v_mov_b32_e32 v30, 0
	s_or_b64 s[40:41], s[40:41], vcc
	s_or_b64 exec, exec, s[42:43]
	s_and_saveexec_b64 s[42:43], s[40:41]
	s_cbranch_execnz .LBB286_756
	s_branch .LBB286_757
.LBB286_1027:                           ;   in Loop: Header=BB286_9 Depth=1
	v_cmp_eq_u16_sdwa s[48:49], v4, s46 src0_sel:BYTE_0 src1_sel:DWORD
	s_mov_b64 vcc, -1
                                        ; implicit-def: $sgpr44
	s_and_saveexec_b64 s[42:43], s[48:49]
; %bb.1028:                             ;   in Loop: Header=BB286_9 Depth=1
	s_mov_b32 s44, 0x7fc02000
	s_xor_b64 vcc, exec, -1
; %bb.1029:                             ;   in Loop: Header=BB286_9 Depth=1
	s_or_b64 exec, exec, s[42:43]
	s_and_b64 vcc, vcc, exec
	s_or_saveexec_b64 s[40:41], s[40:41]
	v_mov_b32_e32 v54, s44
	s_xor_b64 exec, exec, s[40:41]
	s_cbranch_execz .LBB286_759
.LBB286_1030:                           ;   in Loop: Header=BB286_9 Depth=1
	v_cmp_ne_u16_sdwa s[42:43], v4, v5 src0_sel:BYTE_0 src1_sel:DWORD
	s_andn2_b64 vcc, vcc, exec
	s_and_b64 s[42:43], s[42:43], exec
	v_mov_b32_e32 v54, 0
	s_or_b64 vcc, vcc, s[42:43]
	s_or_b64 exec, exec, s[40:41]
	s_and_saveexec_b64 s[40:41], vcc
	s_cbranch_execnz .LBB286_760
	s_branch .LBB286_761
.LBB286_1031:                           ;   in Loop: Header=BB286_9 Depth=1
	v_cmp_eq_u16_e32 vcc, s46, v4
	s_mov_b64 s[40:41], -1
                                        ; implicit-def: $sgpr48
	s_and_saveexec_b64 s[44:45], vcc
; %bb.1032:                             ;   in Loop: Header=BB286_9 Depth=1
	s_mov_b32 s48, 0x7fc02000
	s_xor_b64 s[40:41], exec, -1
; %bb.1033:                             ;   in Loop: Header=BB286_9 Depth=1
	s_or_b64 exec, exec, s[44:45]
	s_and_b64 s[40:41], s[40:41], exec
	s_or_saveexec_b64 s[42:43], s[42:43]
	v_mov_b32_e32 v17, s48
	s_xor_b64 exec, exec, s[42:43]
	s_cbranch_execz .LBB286_763
.LBB286_1034:                           ;   in Loop: Header=BB286_9 Depth=1
	v_cmp_ne_u16_e32 vcc, 0, v4
	s_andn2_b64 s[40:41], s[40:41], exec
	s_and_b64 vcc, vcc, exec
	v_mov_b32_e32 v17, 0
	s_or_b64 s[40:41], s[40:41], vcc
	s_or_b64 exec, exec, s[42:43]
	v_accvgpr_write_b32 a35, v9
	s_and_saveexec_b64 s[42:43], s[40:41]
	s_cbranch_execnz .LBB286_764
	s_branch .LBB286_765
.LBB286_1035:
	s_or_b64 exec, exec, s[20:21]
	scratch_load_dwordx2 v[22:23], off, s32 offset:644 ; 8-byte Folded Reload
	scratch_load_dwordx2 v[34:35], off, s32 offset:628 ; 8-byte Folded Reload
	;; [unrolled: 1-line block ×4, first 2 shown]
	scratch_load_dword v18, off, s32 offset:616 ; 4-byte Folded Reload
	scratch_load_dwordx2 v[38:39], off, s32 offset:608 ; 8-byte Folded Reload
.LBB286_1036:
	s_or_b64 exec, exec, s[18:19]
	scratch_load_dword v8, off, s32 offset:548 ; 4-byte Folded Reload
	scratch_load_dword v9, off, s32 offset:552 ; 4-byte Folded Reload
	s_waitcnt lgkmcnt(0)
	s_lshr_b32 s15, s15, 16
	s_waitcnt vmcnt(1)
	v_xor_b32_e32 v1, 32, v8
	v_cmp_lt_i32_e32 vcc, v1, v0
	v_xor_b32_e32 v4, 16, v8
	s_waitcnt vmcnt(0)
	v_max_f32_e32 v3, v9, v9
	v_cndmask_b32_e32 v1, v8, v1, vcc
	v_lshlrev_b32_e32 v1, 2, v1
	ds_bpermute_b32 v2, v1, v9
	v_cmp_lt_i32_e32 vcc, v4, v0
	v_xor_b32_e32 v5, 8, v8
	v_xor_b32_e32 v6, 4, v8
	;; [unrolled: 1-line block ×3, first 2 shown]
	s_waitcnt lgkmcnt(0)
	v_max_f32_e32 v2, v2, v2
	v_max_f32_e32 v3, v3, v2
	v_cndmask_b32_e32 v2, v8, v4, vcc
	v_lshlrev_b32_e32 v2, 2, v2
	ds_bpermute_b32 v4, v2, v3
	v_cmp_lt_i32_e32 vcc, v5, v0
	s_waitcnt lgkmcnt(0)
	v_max_f32_e32 v4, v4, v4
	v_max_f32_e32 v4, v3, v4
	v_cndmask_b32_e32 v3, v8, v5, vcc
	v_lshlrev_b32_e32 v3, 2, v3
	ds_bpermute_b32 v5, v3, v4
	v_cmp_lt_i32_e32 vcc, v6, v0
	;; [unrolled: 7-line block ×3, first 2 shown]
	s_waitcnt lgkmcnt(0)
	v_max_f32_e32 v6, v6, v6
	v_max_f32_e32 v6, v5, v6
	v_cndmask_b32_e32 v5, v8, v7, vcc
	v_lshlrev_b32_e32 v49, 2, v5
	scratch_load_dword v5, off, s32 offset:592 ; 4-byte Folded Reload
	ds_bpermute_b32 v7, v49, v6
	s_waitcnt vmcnt(0)
	v_and_b32_e32 v48, 63, v5
	scratch_load_dword v5, off, s32 offset:204 ; 4-byte Folded Reload
	v_cmp_eq_u32_e32 vcc, 0, v48
	s_waitcnt vmcnt(0)
	v_lshlrev_b32_e32 v5, 2, v5
	s_and_saveexec_b64 s[4:5], vcc
	s_cbranch_execz .LBB286_1038
; %bb.1037:
	s_waitcnt lgkmcnt(0)
	v_max_f32_e32 v7, v7, v7
	v_max_f32_e32 v6, v6, v6
	;; [unrolled: 1-line block ×3, first 2 shown]
	ds_write_b32 v5, v6 offset:512
.LBB286_1038:
	s_or_b64 exec, exec, s[4:5]
	v_cmp_gt_u32_e64 s[4:5], 2, v48
	s_waitcnt lgkmcnt(0)
	v_mov_b32_e32 v7, 0xff7fffff
	v_lshlrev_b32_e32 v6, 2, v48
	s_barrier
	s_and_saveexec_b64 s[6:7], s[4:5]
	s_cbranch_execz .LBB286_1040
; %bb.1039:
	ds_read_b32 v7, v6 offset:512
.LBB286_1040:
	s_or_b64 exec, exec, s[6:7]
	scratch_load_dword v9, off, s32 offset:548 ; 4-byte Folded Reload
	s_waitcnt vmcnt(0)
	v_xor_b32_e32 v8, 1, v9
	v_cmp_lt_i32_e64 s[6:7], v8, v0
	s_nop 1
	v_cndmask_b32_e64 v0, v9, v8, s[6:7]
	v_lshlrev_b32_e32 v50, 2, v0
	s_waitcnt lgkmcnt(0)
	ds_bpermute_b32 v0, v50, v7
	v_max_f32_e32 v7, v7, v7
	v_lshlrev_b32_e32 v8, 2, v9
	scratch_load_dword v9, off, s32 offset:592 ; 4-byte Folded Reload
	scratch_load_dwordx2 v[10:11], off, s32 offset:196 ; 8-byte Folded Reload
	s_waitcnt lgkmcnt(0)
	v_max_f32_e32 v0, v0, v0
	v_max_f32_e32 v0, v7, v0
	v_and_b32_e32 v7, 0xffffff00, v8
	ds_bpermute_b32 v8, v7, v0
	scratch_load_dword v0, off, s32 offset:468 ; 4-byte Folded Reload
	s_waitcnt vmcnt(0)
	v_lshlrev_b32_e32 v0, 5, v0
	v_min_i32_e32 v0, v0, v10
	v_cmp_lt_i32_e64 s[6:7], v9, v0
	v_mov_b32_e32 v9, 0
	s_and_saveexec_b64 s[18:19], s[6:7]
	s_cbranch_execz .LBB286_1044
; %bb.1041:
	scratch_load_dword v11, off, s32 offset:592 ; 4-byte Folded Reload
	s_ashr_i32 s17, s16, 31
	s_lshl_b64 s[8:9], s[16:17], 2
	s_getpc_b64 s[20:21]
	s_add_u32 s20, s20, llvm.amdgcn.dynlds.offset.table@rel32@lo+4
	s_addc_u32 s21, s21, llvm.amdgcn.dynlds.offset.table@rel32@hi+12
	s_add_u32 s8, s8, s20
	s_addc_u32 s9, s9, s21
	s_load_dword s8, s[8:9], 0x0
	s_mov_b64 s[20:21], 0
	v_mov_b32_e32 v9, 0
	s_waitcnt vmcnt(0) lgkmcnt(0)
	v_lshl_add_u32 v10, v11, 2, s8
.LBB286_1042:                           ; =>This Inner Loop Header: Depth=1
	ds_read_b32 v12, v10
	v_add_u32_e32 v11, 0x80, v11
	v_cmp_ge_i32_e64 s[8:9], v11, v0
	s_or_b64 s[20:21], s[8:9], s[20:21]
	s_waitcnt lgkmcnt(0)
	v_sub_f32_e32 v12, v12, v8
	v_mul_f32_e32 v12, 0x3fb8aa3b, v12
	v_exp_f32_e32 v12, v12
	ds_write_b32 v10, v12
	v_add_f32_e32 v9, v9, v12
	v_add_u32_e32 v10, 0x200, v10
	s_andn2_b64 exec, exec, s[20:21]
	s_cbranch_execnz .LBB286_1042
; %bb.1043:
	s_or_b64 exec, exec, s[20:21]
.LBB286_1044:
	s_or_b64 exec, exec, s[18:19]
	ds_bpermute_b32 v1, v1, v9
	s_waitcnt lgkmcnt(0)
	v_add_f32_e32 v1, v9, v1
	ds_bpermute_b32 v2, v2, v1
	s_waitcnt lgkmcnt(0)
	v_add_f32_e32 v1, v1, v2
	;; [unrolled: 3-line block ×6, first 2 shown]
	s_and_saveexec_b64 s[8:9], vcc
	s_cbranch_execz .LBB286_1046
; %bb.1045:
	ds_write_b32 v5, v1 offset:520
.LBB286_1046:
	s_or_b64 exec, exec, s[8:9]
	s_waitcnt lgkmcnt(0)
	s_barrier
	s_and_saveexec_b64 s[8:9], s[4:5]
	s_cbranch_execz .LBB286_1048
; %bb.1047:
	ds_read_b32 v1, v6 offset:520
.LBB286_1048:
	s_or_b64 exec, exec, s[8:9]
	s_waitcnt lgkmcnt(0)
	ds_bpermute_b32 v2, v50, v1
	s_waitcnt lgkmcnt(0)
	v_add_f32_e32 v1, v1, v2
	ds_bpermute_b32 v1, v7, v1
	s_and_saveexec_b64 s[4:5], s[6:7]
	s_cbranch_execz .LBB286_1061
; %bb.1049:
	s_waitcnt lgkmcnt(0)
	v_add_f32_e32 v1, 0x358637bd, v1
	v_div_scale_f32 v2, s[6:7], v1, v1, 1.0
	v_rcp_f32_e32 v3, v2
	v_div_scale_f32 v4, vcc, 1.0, v1, 1.0
	s_movk_i32 s6, 0x7f
	v_fma_f32 v5, -v2, v3, 1.0
	v_fmac_f32_e32 v3, v5, v3
	v_mul_f32_e32 v5, v4, v3
	v_fma_f32 v6, -v2, v5, v4
	v_fmac_f32_e32 v5, v6, v3
	v_fma_f32 v2, -v2, v5, v4
	v_div_fmas_f32 v2, v2, v3, v5
	v_div_fixup_f32 v4, v2, v1, 1.0
	scratch_load_dword v1, off, s32 offset:592 ; 4-byte Folded Reload
	s_mov_b64 s[8:9], -1
	s_waitcnt vmcnt(0)
	v_xad_u32 v2, v1, -1, v0
	v_cmp_lt_u32_e32 vcc, s6, v2
	s_and_saveexec_b64 s[6:7], vcc
	s_cbranch_execz .LBB286_1058
; %bb.1050:
	v_lshrrev_b32_e32 v1, 7, v2
	v_add_u32_e32 v3, -1, v1
	v_lshrrev_b32_e32 v2, 1, v3
	v_mov_b32_e32 v5, v4
	v_add_u32_e32 v2, 1, v2
	v_cmp_lt_u32_e32 vcc, 13, v3
	v_mov_b32_e32 v7, 0
	s_and_saveexec_b64 s[8:9], vcc
	s_cbranch_execz .LBB286_1054
; %bb.1051:
	scratch_load_dword v6, off, s32 offset:592 ; 4-byte Folded Reload
	s_ashr_i32 s17, s16, 31
	s_lshl_b64 s[18:19], s[16:17], 2
	s_getpc_b64 s[20:21]
	s_add_u32 s20, s20, llvm.amdgcn.dynlds.offset.table@rel32@lo+4
	s_addc_u32 s21, s21, llvm.amdgcn.dynlds.offset.table@rel32@hi+12
	s_add_u32 s18, s18, s20
	s_addc_u32 s19, s19, s21
	s_load_dword s18, s[18:19], 0x0
	v_and_b32_e32 v3, -8, v2
	s_mov_b32 s17, 0
	s_waitcnt vmcnt(0) lgkmcnt(0)
	v_lshl_add_u32 v6, v6, 2, s18
	s_mov_b64 s[18:19], 0
.LBB286_1052:                           ; =>This Inner Loop Header: Depth=1
	ds_read2st64_b32 v[8:9], v6 offset1:2
	ds_read2st64_b32 v[10:11], v6 offset0:4 offset1:6
	ds_read2st64_b32 v[12:13], v6 offset0:8 offset1:10
	;; [unrolled: 1-line block ×3, first 2 shown]
	v_add_u32_e32 v3, -8, v3
	s_waitcnt lgkmcnt(3)
	v_pk_mul_f32 v[8:9], v[4:5], v[8:9]
	s_waitcnt lgkmcnt(2)
	v_pk_mul_f32 v[10:11], v[4:5], v[10:11]
	ds_write2st64_b32 v6, v8, v9 offset1:2
	ds_write2st64_b32 v6, v10, v11 offset0:4 offset1:6
	ds_read2st64_b32 v[10:11], v6 offset0:16 offset1:18
	s_waitcnt lgkmcnt(4)
	v_pk_mul_f32 v[8:9], v[4:5], v[12:13]
	ds_write2st64_b32 v6, v8, v9 offset0:8 offset1:10
	s_waitcnt lgkmcnt(4)
	v_pk_mul_f32 v[8:9], v[4:5], v[14:15]
	ds_write2st64_b32 v6, v8, v9 offset0:12 offset1:14
	ds_read2st64_b32 v[8:9], v6 offset0:20 offset1:22
	s_waitcnt lgkmcnt(3)
	v_pk_mul_f32 v[10:11], v[4:5], v[10:11]
	ds_read2st64_b32 v[12:13], v6 offset0:24 offset1:26
	ds_write2st64_b32 v6, v10, v11 offset0:16 offset1:18
	ds_read2st64_b32 v[10:11], v6 offset0:28 offset1:30
	s_waitcnt lgkmcnt(3)
	v_pk_mul_f32 v[8:9], v[4:5], v[8:9]
	ds_write2st64_b32 v6, v8, v9 offset0:20 offset1:22
	s_waitcnt lgkmcnt(3)
	v_pk_mul_f32 v[8:9], v[4:5], v[12:13]
	ds_write2st64_b32 v6, v8, v9 offset0:24 offset1:26
	s_waitcnt lgkmcnt(2)
	v_pk_mul_f32 v[8:9], v[4:5], v[10:11]
	s_add_i32 s17, s17, 16
	v_cmp_eq_u32_e32 vcc, 0, v3
	ds_write2st64_b32 v6, v8, v9 offset0:28 offset1:30
	v_add_u32_e32 v6, 0x2000, v6
	s_or_b64 s[18:19], vcc, s[18:19]
	v_mov_b32_e32 v7, s17
	s_andn2_b64 exec, exec, s[18:19]
	s_cbranch_execnz .LBB286_1052
; %bb.1053:
	s_or_b64 exec, exec, s[18:19]
.LBB286_1054:
	s_or_b64 exec, exec, s[8:9]
	v_and_b32_e32 v2, 7, v2
	v_cmp_ne_u32_e32 vcc, 0, v2
	s_and_saveexec_b64 s[8:9], vcc
	s_cbranch_execz .LBB286_1057
; %bb.1055:
	scratch_load_dword v6, off, s32 offset:592 ; 4-byte Folded Reload
	s_ashr_i32 s17, s16, 31
	s_lshl_b64 s[18:19], s[16:17], 2
	s_getpc_b64 s[20:21]
	s_add_u32 s20, s20, llvm.amdgcn.dynlds.offset.table@rel32@lo+4
	s_addc_u32 s21, s21, llvm.amdgcn.dynlds.offset.table@rel32@hi+12
	s_add_u32 s18, s18, s20
	s_addc_u32 s19, s19, s21
	s_load_dword s17, s[18:19], 0x0
	v_lshlrev_b32_e32 v3, 9, v7
	s_mov_b64 s[18:19], 0
	s_waitcnt vmcnt(0)
	v_lshlrev_b32_e32 v6, 2, v6
	s_waitcnt lgkmcnt(0)
	v_add3_u32 v3, v3, v6, s17
.LBB286_1056:                           ; =>This Inner Loop Header: Depth=1
	ds_read2st64_b32 v[6:7], v3 offset1:2
	v_add_u32_e32 v2, -1, v2
	v_cmp_eq_u32_e32 vcc, 0, v2
	s_or_b64 s[18:19], vcc, s[18:19]
	s_waitcnt lgkmcnt(0)
	v_pk_mul_f32 v[6:7], v[4:5], v[6:7]
	ds_write2st64_b32 v3, v6, v7 offset1:2
	v_add_u32_e32 v3, 0x400, v3
	s_andn2_b64 exec, exec, s[18:19]
	s_cbranch_execnz .LBB286_1056
.LBB286_1057:
	s_or_b64 exec, exec, s[8:9]
	v_add_u32_e32 v2, 1, v1
	scratch_load_dword v1, off, s32 offset:592 ; 4-byte Folded Reload
	v_and_b32_e32 v3, 0x3fffffe, v2
	v_cmp_ne_u32_e32 vcc, v2, v3
	s_orn2_b64 s[8:9], vcc, exec
	s_waitcnt vmcnt(0)
	v_lshl_add_u32 v1, v3, 7, v1
.LBB286_1058:
	s_or_b64 exec, exec, s[6:7]
	s_and_b64 exec, exec, s[8:9]
	s_cbranch_execz .LBB286_1061
; %bb.1059:
	s_ashr_i32 s17, s16, 31
	s_lshl_b64 s[6:7], s[16:17], 2
	s_getpc_b64 s[8:9]
	s_add_u32 s8, s8, llvm.amdgcn.dynlds.offset.table@rel32@lo+4
	s_addc_u32 s9, s9, llvm.amdgcn.dynlds.offset.table@rel32@hi+12
	s_add_u32 s6, s6, s8
	s_addc_u32 s7, s7, s9
	s_load_dword s6, s[6:7], 0x0
	s_waitcnt lgkmcnt(0)
	v_lshl_add_u32 v2, v1, 2, s6
	s_mov_b64 s[6:7], 0
.LBB286_1060:                           ; =>This Inner Loop Header: Depth=1
	ds_read_b32 v3, v2
	v_add_u32_e32 v1, 0x80, v1
	v_cmp_ge_i32_e32 vcc, v1, v0
	s_or_b64 s[6:7], vcc, s[6:7]
	s_waitcnt lgkmcnt(0)
	v_mul_f32_e32 v3, v4, v3
	ds_write_b32 v2, v3
	v_add_u32_e32 v2, 0x200, v2
	s_andn2_b64 exec, exec, s[6:7]
	s_cbranch_execnz .LBB286_1060
.LBB286_1061:
	s_or_b64 exec, exec, s[4:5]
	s_waitcnt lgkmcnt(0)
	s_barrier
	scratch_load_dword v0, off, s32 offset:592 ; 4-byte Folded Reload
	v_mov_b32_e32 v32, 0
	v_mov_b32_e32 v33, 0
	;; [unrolled: 1-line block ×16, first 2 shown]
	s_waitcnt vmcnt(0)
	v_and_b32_e32 v51, 3, v0
	s_and_saveexec_b64 s[4:5], s[2:3]
	s_cbranch_execz .LBB286_2121
; %bb.1062:
	v_lshl_add_u64 v[0:1], v[34:35], 0, v[38:39]
	v_accvgpr_write_b32 a15, v1
	v_accvgpr_write_b32 a14, v0
	scratch_load_dword v0, off, s32 offset:468 ; 4-byte Folded Reload
	v_mov_b32_e32 v17, 0
	v_mov_b32_e32 v3, v17
	;; [unrolled: 1-line block ×3, first 2 shown]
	v_and_b32_e32 v4, 24, v16
	s_ashr_i32 s17, s16, 31
	s_lshl_b64 s[2:3], s[16:17], 2
	s_getpc_b64 s[6:7]
	s_add_u32 s6, s6, llvm.amdgcn.dynlds.offset.table@rel32@lo+4
	s_addc_u32 s7, s7, llvm.amdgcn.dynlds.offset.table@rel32@hi+12
	s_add_u32 s2, s2, s6
	s_addc_u32 s3, s3, s7
	s_load_dword s2, s[2:3], 0x0
	v_accvgpr_write_b32 a11, v50
	v_accvgpr_write_b32 a10, v49
	;; [unrolled: 1-line block ×4, first 2 shown]
	s_mov_b64 s[6:7], 0
	s_movk_i32 s17, 0x7f
	s_movk_i32 s22, 0x80
	s_mov_b32 s23, 0x8000
	s_movk_i32 s24, 0x380
	s_mov_b32 s25, 0x3020706
	s_mov_b32 s26, 0x1000504
	;; [unrolled: 1-line block ×3, first 2 shown]
	v_mov_b32_e32 v61, 0x1c00
	v_mov_b32_e32 v5, 0
	;; [unrolled: 1-line block ×16, first 2 shown]
	s_waitcnt vmcnt(0)
	v_add_u32_e32 v0, -1, v0
	v_accvgpr_write_b32 a13, v0
	v_and_b32_e32 v0, 0x1f8, v16
	v_or_b32_e32 v2, 0x1000, v0
	v_accvgpr_write_b32 a19, v3
	v_accvgpr_write_b32 a18, v2
	v_or_b32_e32 v2, 0x1200, v0
	v_accvgpr_write_b32 a21, v3
	v_accvgpr_write_b32 a20, v2
	;; [unrolled: 3-line block ×5, first 2 shown]
	v_accvgpr_write_b32 a26, v2
	v_or_b32_e32 v2, 0x1a00, v0
	v_accvgpr_write_b32 a16, v0
	v_or_b32_e32 v0, 0x1c00, v0
	v_accvgpr_write_b32 a31, v1
	v_accvgpr_write_b32 a30, v0
	v_or_b32_e32 v0, 0x1e00, v16
	v_accvgpr_write_b32 a33, v1
	v_accvgpr_write_b32 a32, v0
	scratch_load_dwordx2 v[0:1], off, s32 offset:196 ; 8-byte Folded Reload
	v_and_b32_e32 v16, 60, v18
	v_accvgpr_write_b32 a29, v3
	v_accvgpr_write_b32 a28, v2
	s_waitcnt vmcnt(0)
	v_mov_b32_e32 v13, v0
	v_lshl_add_u64 v[0:1], v[36:37], 2, v[16:17]
	v_lshl_add_u64 v[2:3], v[22:23], 0, v[0:1]
	scratch_load_dword v1, off, s32 offset:204 ; 4-byte Folded Reload
	v_lshlrev_b32_e32 v0, 5, v51
	s_waitcnt vmcnt(0)
	v_lshl_or_b32 v0, v1, 7, v0
	v_lshl_or_b32 v60, v1, 5, v4
	s_waitcnt lgkmcnt(0)
	v_add_u32_e32 v0, s2, v0
	v_mov_b32_e32 v4, 0
	s_branch .LBB286_1064
.LBB286_1063:                           ;   in Loop: Header=BB286_1064 Depth=1
	s_or_b64 exec, exec, s[2:3]
	v_add_f32_e32 v1, v12, v56
	v_add_f32_e32 v4, v4, v1
	;; [unrolled: 1-line block ×14, first 2 shown]
	v_accvgpr_read_b32 v1, a48
	v_add_f32_e32 v1, v1, v50
	v_add_f32_e32 v27, v27, v1
	v_accvgpr_read_b32 v1, a46
	v_accvgpr_read_b32 v6, a47
	v_add_f32_e32 v1, v1, v6
	v_add_f32_e32 v26, v26, v1
	v_accvgpr_read_b32 v1, a44
	;; [unrolled: 4-line block ×7, first 2 shown]
	v_accvgpr_read_b32 v6, a35
	v_add_f32_e32 v1, v1, v6
	v_add_f32_e32 v32, v32, v1
	;;#ASMSTART
	v_pk_mul_f16 v1, v34, v43;

	;;#ASMEND
	;;#ASMSTART
	v_pk_mul_f16 v6, v35, v16;

	;;#ASMEND
	;; [unrolled: 4-line block ×4, first 2 shown]
	v_lshl_add_u64 v[2:3], v[2:3], 0, 8
	;;#ASMSTART
	v_pk_add_f16 v1, v1, v6;

	;;#ASMEND
	v_add_u32_e32 v60, 64, v60
	;;#ASMSTART
	v_pk_add_f16 v1, v1, v7;

	;;#ASMEND
	v_add_u32_e32 v0, 0x100, v0
	;;#ASMSTART
	v_pk_add_f16 v1, v1, v10;

	;;#ASMEND
	s_nop 0
	v_lshrrev_b32_e32 v6, 16, v1
	v_and_b32_e32 v1, 0xffff, v1
	;;#ASMSTART
	v_cvt_f32_f16 v1, v1;
	;;#ASMEND
	;;#ASMSTART
	v_cvt_f32_f16 v6, v6;
	;;#ASMEND
	s_nop 0
	v_add_f32_e32 v1, v1, v6
	scratch_load_dword v6, off, s32 offset:204 ; 4-byte Folded Reload
	v_add_f32_e32 v5, v5, v1
	scratch_load_dword v1, off, s32 offset:468 ; 4-byte Folded Reload
	s_waitcnt vmcnt(1)
	v_add_u32_e32 v6, 2, v6
	scratch_store_dword off, v6, s32 offset:204 ; 4-byte Folded Spill
	s_waitcnt vmcnt(1)
	v_cmp_ge_i32_e32 vcc, v6, v1
	s_or_b64 s[6:7], vcc, s[6:7]
	s_andn2_b64 exec, exec, s[6:7]
	s_cbranch_execz .LBB286_2120
.LBB286_1064:                           ; =>This Inner Loop Header: Depth=1
	ds_read2_b64 v[34:37], v0 offset1:1
	ds_read2_b64 v[48:51], v0 offset0:2 offset1:3
	v_accvgpr_read_b32 v10, a14
	v_accvgpr_read_b32 v11, a15
                                        ; implicit-def: $sgpr20
	s_waitcnt lgkmcnt(1)
	;;#ASMSTART
	v_cvt_f16_f32 v12, v34;

	;;#ASMEND
	;;#ASMSTART
	v_cvt_f16_f32 v14, v35;

	;;#ASMEND
	;;#ASMSTART
	v_cvt_f16_f32 v15, v36;

	;;#ASMEND
	;;#ASMSTART
	v_cvt_f16_f32 v18, v37;

	;;#ASMEND
	s_waitcnt lgkmcnt(0)
	;;#ASMSTART
	v_cvt_f16_f32 v22, v48;

	;;#ASMEND
	;;#ASMSTART
	v_cvt_f16_f32 v23, v49;

	;;#ASMEND
	;; [unrolled: 4-line block ×4, first 2 shown]
	flat_load_dword v1, v[2:3]
	scratch_load_dwordx2 v[6:7], off, s32 offset:472 ; 8-byte Folded Reload
	s_waitcnt vmcnt(0) lgkmcnt(0)
	v_mad_i64_i32 v[10:11], s[2:3], v1, v6, v[10:11]
	v_accvgpr_read_b32 v6, a16
	v_accvgpr_read_b32 v7, a17
	v_lshl_add_u64 v[42:43], v[10:11], 0, v[6:7]
	flat_load_dwordx2 v[46:47], v[42:43]
	scratch_load_dwordx2 v[6:7], off, s32 offset:188 ; 8-byte Folded Reload
	s_mov_b64 s[2:3], 0
	s_waitcnt vmcnt(0) lgkmcnt(0)
	v_cmp_gt_i16_sdwa s[8:9], v46, s17 src0_sel:BYTE_0 src1_sel:DWORD
	flat_load_dword v44, v[6:7]
	s_and_saveexec_b64 s[18:19], s[8:9]
	s_xor_b64 s[8:9], exec, s[18:19]
	s_cbranch_execnz .LBB286_1608
; %bb.1065:                             ;   in Loop: Header=BB286_1064 Depth=1
	s_or_saveexec_b64 s[8:9], s[8:9]
	v_mov_b32_e32 v56, s20
	s_xor_b64 exec, exec, s[8:9]
	s_cbranch_execnz .LBB286_1611
.LBB286_1066:                           ;   in Loop: Header=BB286_1064 Depth=1
	s_or_b64 exec, exec, s[8:9]
	s_and_saveexec_b64 s[8:9], s[2:3]
	s_cbranch_execz .LBB286_1068
.LBB286_1067:                           ;   in Loop: Header=BB286_1064 Depth=1
	v_and_b32_e32 v1, 7, v46
	v_ffbh_u32_e32 v1, v1
	v_bfe_u32 v6, v46, 3, 4
	v_min_u32_e32 v1, 32, v1
	v_subrev_u32_e32 v7, 28, v1
	v_sub_u32_e32 v1, 29, v1
	v_cmp_eq_u32_e32 vcc, 0, v6
	s_nop 1
	v_cndmask_b32_e32 v1, v6, v1, vcc
	v_cndmask_b32_e32 v6, 0, v7, vcc
	v_lshlrev_b64 v[6:7], v6, v[46:47]
	v_lshlrev_b32_e32 v7, 8, v46
	v_lshl_add_u32 v1, v1, 10, v61
	v_lshlrev_b32_e32 v6, 7, v6
	v_and_or_b32 v1, v7, s23, v1
	v_and_or_b32 v1, v6, s24, v1
	v_cvt_f32_f16_e32 v56, v1
.LBB286_1068:                           ;   in Loop: Header=BB286_1064 Depth=1
	s_or_b64 exec, exec, s[8:9]
	v_lshrrev_b16_e32 v16, 8, v46
	v_cmp_lt_i16_e32 vcc, s17, v16
	s_mov_b64 s[2:3], 0
                                        ; implicit-def: $sgpr20
	s_and_saveexec_b64 s[8:9], vcc
	s_xor_b64 s[8:9], exec, s[8:9]
	s_cbranch_execnz .LBB286_1612
; %bb.1069:                             ;   in Loop: Header=BB286_1064 Depth=1
	s_or_saveexec_b64 s[8:9], s[8:9]
	v_mov_b32_e32 v58, s20
	s_xor_b64 exec, exec, s[8:9]
	s_cbranch_execnz .LBB286_1615
.LBB286_1070:                           ;   in Loop: Header=BB286_1064 Depth=1
	s_or_b64 exec, exec, s[8:9]
	s_and_saveexec_b64 s[8:9], s[2:3]
	s_cbranch_execz .LBB286_1072
.LBB286_1071:                           ;   in Loop: Header=BB286_1064 Depth=1
	v_and_b32_e32 v1, 7, v16
	v_ffbh_u32_e32 v6, v1
	v_min_u32_e32 v34, 32, v6
	v_subrev_u32_e32 v6, 28, v34
	v_bfe_u32 v19, v16, 3, 4
	v_lshlrev_b64 v[6:7], v6, v[16:17]
	v_sub_u32_e32 v7, 29, v34
	v_cmp_eq_u32_e32 vcc, 0, v19
	v_and_b32_e32 v6, 7, v6
	s_nop 0
	v_cndmask_b32_e32 v7, v19, v7, vcc
	v_cndmask_b32_e32 v1, v1, v6, vcc
	v_lshlrev_b32_e32 v6, 8, v16
	v_lshl_add_u32 v7, v7, 10, v61
	v_and_or_b32 v6, v6, s23, v7
	v_lshl_or_b32 v1, v1, 7, v6
	v_cvt_f32_f16_e32 v58, v1
.LBB286_1072:                           ;   in Loop: Header=BB286_1064 Depth=1
	s_or_b64 exec, exec, s[8:9]
	v_lshrrev_b32_e32 v16, 16, v46
	v_cmp_gt_i16_sdwa s[8:9], v16, s17 src0_sel:BYTE_0 src1_sel:DWORD
	s_mov_b64 s[2:3], 0
                                        ; implicit-def: $sgpr20
	s_and_saveexec_b64 s[18:19], s[8:9]
	s_xor_b64 s[8:9], exec, s[18:19]
	s_cbranch_execnz .LBB286_1616
; %bb.1073:                             ;   in Loop: Header=BB286_1064 Depth=1
	s_or_saveexec_b64 s[8:9], s[8:9]
	v_mov_b32_e32 v57, s20
	s_xor_b64 exec, exec, s[8:9]
	s_cbranch_execnz .LBB286_1619
.LBB286_1074:                           ;   in Loop: Header=BB286_1064 Depth=1
	s_or_b64 exec, exec, s[8:9]
	s_and_saveexec_b64 s[8:9], s[2:3]
	s_cbranch_execz .LBB286_1076
.LBB286_1075:                           ;   in Loop: Header=BB286_1064 Depth=1
	v_bfe_u32 v1, v46, 16, 3
	v_ffbh_u32_e32 v6, v1
	v_min_u32_e32 v34, 32, v6
	v_subrev_u32_e32 v6, 28, v34
	v_bfe_u32 v19, v46, 19, 4
	v_lshlrev_b64 v[6:7], v6, v[16:17]
	v_sub_u32_e32 v7, 29, v34
	v_cmp_eq_u32_e32 vcc, 0, v19
	v_and_b32_e32 v6, 7, v6
	s_nop 0
	v_cndmask_b32_e32 v7, v19, v7, vcc
	v_cndmask_b32_e32 v1, v1, v6, vcc
	v_lshlrev_b32_e32 v6, 8, v16
	v_lshl_add_u32 v7, v7, 10, v61
	v_and_or_b32 v6, v6, s23, v7
	v_lshl_or_b32 v1, v1, 7, v6
	v_cvt_f32_f16_e32 v57, v1
.LBB286_1076:                           ;   in Loop: Header=BB286_1064 Depth=1
	s_or_b64 exec, exec, s[8:9]
	v_lshrrev_b32_e32 v16, 24, v46
	v_cmp_lt_i16_e32 vcc, s17, v16
	s_mov_b64 s[2:3], 0
                                        ; implicit-def: $sgpr20
	s_and_saveexec_b64 s[8:9], vcc
	s_xor_b64 s[8:9], exec, s[8:9]
	s_cbranch_execnz .LBB286_1620
; %bb.1077:                             ;   in Loop: Header=BB286_1064 Depth=1
	s_or_saveexec_b64 s[8:9], s[8:9]
	v_mov_b32_e32 v59, s20
	s_xor_b64 exec, exec, s[8:9]
	s_cbranch_execnz .LBB286_1623
.LBB286_1078:                           ;   in Loop: Header=BB286_1064 Depth=1
	s_or_b64 exec, exec, s[8:9]
	s_and_saveexec_b64 s[8:9], s[2:3]
	s_cbranch_execz .LBB286_1080
.LBB286_1079:                           ;   in Loop: Header=BB286_1064 Depth=1
	v_bfe_u32 v1, v46, 24, 3
	v_ffbh_u32_e32 v6, v1
	v_min_u32_e32 v34, 32, v6
	v_subrev_u32_e32 v6, 28, v34
	v_bfe_u32 v19, v46, 27, 4
	v_lshlrev_b64 v[6:7], v6, v[16:17]
	v_sub_u32_e32 v7, 29, v34
	v_cmp_eq_u32_e32 vcc, 0, v19
	v_and_b32_e32 v6, 7, v6
	s_nop 0
	v_cndmask_b32_e32 v7, v19, v7, vcc
	v_cndmask_b32_e32 v1, v1, v6, vcc
	v_lshlrev_b32_e32 v6, 8, v16
	v_lshl_add_u32 v7, v7, 10, v61
	v_and_or_b32 v6, v6, s23, v7
	v_lshl_or_b32 v1, v1, 7, v6
	v_cvt_f32_f16_e32 v59, v1
.LBB286_1080:                           ;   in Loop: Header=BB286_1064 Depth=1
	s_or_b64 exec, exec, s[8:9]
	v_cmp_gt_i16_sdwa s[8:9], v47, s17 src0_sel:BYTE_0 src1_sel:DWORD
	s_mov_b64 s[2:3], 0
                                        ; implicit-def: $sgpr20
	s_and_saveexec_b64 s[18:19], s[8:9]
	s_xor_b64 s[8:9], exec, s[18:19]
	s_cbranch_execnz .LBB286_1624
; %bb.1081:                             ;   in Loop: Header=BB286_1064 Depth=1
	s_or_saveexec_b64 s[8:9], s[8:9]
	v_mov_b32_e32 v1, s20
	s_xor_b64 exec, exec, s[8:9]
	s_cbranch_execnz .LBB286_1627
.LBB286_1082:                           ;   in Loop: Header=BB286_1064 Depth=1
	s_or_b64 exec, exec, s[8:9]
	v_mov_b32_e32 v16, v47
	s_and_saveexec_b64 s[8:9], s[2:3]
	s_cbranch_execz .LBB286_1084
.LBB286_1083:                           ;   in Loop: Header=BB286_1064 Depth=1
	v_and_b32_e32 v1, 7, v47
	v_ffbh_u32_e32 v1, v1
	v_bfe_u32 v6, v47, 3, 4
	v_min_u32_e32 v1, 32, v1
	v_subrev_u32_e32 v7, 28, v1
	v_sub_u32_e32 v1, 29, v1
	v_cmp_eq_u32_e32 vcc, 0, v6
	s_nop 1
	v_cndmask_b32_e32 v1, v6, v1, vcc
	v_cndmask_b32_e32 v6, 0, v7, vcc
	v_lshlrev_b64 v[6:7], v6, v[16:17]
	v_lshlrev_b32_e32 v7, 8, v47
	v_lshl_add_u32 v1, v1, 10, v61
	v_lshlrev_b32_e32 v6, 7, v6
	v_and_or_b32 v1, v7, s23, v1
	v_and_or_b32 v1, v6, s24, v1
	v_cvt_f32_f16_e32 v1, v1
.LBB286_1084:                           ;   in Loop: Header=BB286_1064 Depth=1
	s_or_b64 exec, exec, s[8:9]
	v_lshrrev_b16_e32 v16, 8, v16
	v_cmp_lt_i16_e32 vcc, s17, v16
	s_mov_b64 s[2:3], 0
                                        ; implicit-def: $sgpr20
	s_and_saveexec_b64 s[8:9], vcc
	s_xor_b64 s[8:9], exec, s[8:9]
	s_cbranch_execnz .LBB286_1628
; %bb.1085:                             ;   in Loop: Header=BB286_1064 Depth=1
	s_or_saveexec_b64 s[8:9], s[8:9]
	v_mov_b32_e32 v6, s20
	s_xor_b64 exec, exec, s[8:9]
	s_cbranch_execnz .LBB286_1631
.LBB286_1086:                           ;   in Loop: Header=BB286_1064 Depth=1
	s_or_b64 exec, exec, s[8:9]
	s_and_saveexec_b64 s[8:9], s[2:3]
	s_cbranch_execz .LBB286_1088
.LBB286_1087:                           ;   in Loop: Header=BB286_1064 Depth=1
	v_and_b32_e32 v19, 7, v16
	v_ffbh_u32_e32 v6, v19
	v_min_u32_e32 v35, 32, v6
	v_subrev_u32_e32 v6, 28, v35
	v_bfe_u32 v34, v16, 3, 4
	v_lshlrev_b64 v[6:7], v6, v[16:17]
	v_sub_u32_e32 v7, 29, v35
	v_cmp_eq_u32_e32 vcc, 0, v34
	v_and_b32_e32 v6, 7, v6
	v_lshlrev_b32_e32 v16, 8, v16
	v_cndmask_b32_e32 v7, v34, v7, vcc
	v_lshl_add_u32 v7, v7, 10, v61
	v_cndmask_b32_e32 v6, v19, v6, vcc
	v_and_or_b32 v7, v16, s23, v7
	v_lshl_or_b32 v6, v6, 7, v7
	v_cvt_f32_f16_e32 v6, v6
.LBB286_1088:                           ;   in Loop: Header=BB286_1064 Depth=1
	s_or_b64 exec, exec, s[8:9]
	v_lshrrev_b32_e32 v16, 16, v47
	v_cmp_gt_i16_sdwa s[8:9], v16, s17 src0_sel:BYTE_0 src1_sel:DWORD
	s_mov_b64 s[2:3], 0
                                        ; implicit-def: $sgpr20
	s_and_saveexec_b64 s[18:19], s[8:9]
	s_xor_b64 s[8:9], exec, s[18:19]
	s_cbranch_execnz .LBB286_1632
; %bb.1089:                             ;   in Loop: Header=BB286_1064 Depth=1
	s_or_saveexec_b64 s[8:9], s[8:9]
	v_mov_b32_e32 v7, s20
	s_xor_b64 exec, exec, s[8:9]
	s_cbranch_execnz .LBB286_1635
.LBB286_1090:                           ;   in Loop: Header=BB286_1064 Depth=1
	s_or_b64 exec, exec, s[8:9]
	s_and_saveexec_b64 s[8:9], s[2:3]
	s_cbranch_execz .LBB286_1092
.LBB286_1091:                           ;   in Loop: Header=BB286_1064 Depth=1
	v_bfe_u32 v7, v47, 16, 3
	v_ffbh_u32_e32 v34, v7
	v_min_u32_e32 v36, 32, v34
	v_subrev_u32_e32 v34, 28, v36
	v_bfe_u32 v19, v47, 19, 4
	v_lshlrev_b64 v[34:35], v34, v[16:17]
	v_sub_u32_e32 v35, 29, v36
	v_cmp_eq_u32_e32 vcc, 0, v19
	v_and_b32_e32 v34, 7, v34
	v_lshlrev_b32_e32 v16, 8, v16
	v_cndmask_b32_e32 v19, v19, v35, vcc
	v_lshl_add_u32 v19, v19, 10, v61
	v_cndmask_b32_e32 v7, v7, v34, vcc
	v_and_or_b32 v16, v16, s23, v19
	v_lshl_or_b32 v7, v7, 7, v16
	v_cvt_f32_f16_e32 v7, v7
.LBB286_1092:                           ;   in Loop: Header=BB286_1064 Depth=1
	s_or_b64 exec, exec, s[8:9]
	v_lshrrev_b32_e32 v16, 24, v47
	v_cmp_lt_i16_e32 vcc, s17, v16
	s_mov_b64 s[2:3], 0
                                        ; implicit-def: $sgpr20
	s_and_saveexec_b64 s[8:9], vcc
	s_xor_b64 s[8:9], exec, s[8:9]
	s_cbranch_execnz .LBB286_1636
; %bb.1093:                             ;   in Loop: Header=BB286_1064 Depth=1
	s_or_saveexec_b64 s[8:9], s[8:9]
	v_mov_b32_e32 v19, s20
	s_xor_b64 exec, exec, s[8:9]
	s_cbranch_execnz .LBB286_1639
.LBB286_1094:                           ;   in Loop: Header=BB286_1064 Depth=1
	s_or_b64 exec, exec, s[8:9]
	s_and_saveexec_b64 s[8:9], s[2:3]
	s_cbranch_execz .LBB286_1096
.LBB286_1095:                           ;   in Loop: Header=BB286_1064 Depth=1
	v_bfe_u32 v19, v47, 24, 3
	v_ffbh_u32_e32 v34, v19
	v_min_u32_e32 v38, 32, v34
	v_subrev_u32_e32 v34, 28, v38
	v_bfe_u32 v36, v47, 27, 4
	v_lshlrev_b64 v[34:35], v34, v[16:17]
	v_sub_u32_e32 v35, 29, v38
	v_cmp_eq_u32_e32 vcc, 0, v36
	v_and_b32_e32 v34, 7, v34
	v_lshlrev_b32_e32 v16, 8, v16
	v_cndmask_b32_e32 v35, v36, v35, vcc
	v_cndmask_b32_e32 v19, v19, v34, vcc
	v_lshl_add_u32 v34, v35, 10, v61
	v_and_or_b32 v16, v16, s23, v34
	v_lshl_or_b32 v16, v19, 7, v16
	v_cvt_f32_f16_e32 v19, v16
.LBB286_1096:                           ;   in Loop: Header=BB286_1064 Depth=1
	s_or_b64 exec, exec, s[8:9]
	s_waitcnt vmcnt(0) lgkmcnt(0)
	v_pk_mul_f32 v[38:39], v[44:45], v[56:57] op_sel_hi:[0,1]
	v_cvt_f16_f32_e32 v36, v38
	scratch_load_dword v38, off, s32 offset:204 ; 4-byte Folded Reload
	v_pk_mul_f32 v[34:35], v[44:45], v[58:59] op_sel_hi:[0,1]
	v_cvt_f16_f32_e32 v16, v35
	v_cvt_f16_f32_e32 v34, v34
	;; [unrolled: 1-line block ×3, first 2 shown]
	v_fma_mixlo_f16 v6, v44, v6, 0
	v_lshlrev_b32_e32 v6, 16, v6
	v_fma_mixlo_f16 v1, v44, v1, 0
	v_pack_b32_f16 v34, v34, v16
	v_pack_b32_f16 v35, v36, v35
	v_or_b32_sdwa v51, v6, v1 dst_sel:DWORD dst_unused:UNUSED_PAD src0_sel:DWORD src1_sel:WORD_0
	v_fma_mixlo_f16 v1, v44, v19, 0
	v_accvgpr_read_b32 v39, a13
	v_perm_b32 v16, v35, v34, s25
	v_perm_b32 v50, v35, v34, s26
	v_fma_mixlo_f16 v34, v44, v7, 0
	v_lshlrev_b32_e32 v1, 16, v1
	v_or_b32_sdwa v52, v1, v34 dst_sel:DWORD dst_unused:UNUSED_PAD src0_sel:DWORD src1_sel:WORD_0
	v_add_u32_e32 v48, 1, v60
	v_or_b32_e32 v7, 5, v60
	v_or_b32_e32 v6, 4, v60
	;; [unrolled: 1-line block ×4, first 2 shown]
	s_waitcnt vmcnt(0)
	v_cmp_eq_u32_e32 vcc, v39, v38
	v_or_b32_e32 v39, 3, v60
	v_or_b32_e32 v38, 2, v60
	s_and_saveexec_b64 s[8:9], vcc
	s_cbranch_execz .LBB286_1098
; %bb.1097:                             ;   in Loop: Header=BB286_1064 Depth=1
	scratch_load_dwordx2 v[54:55], off, s32 offset:196 ; 8-byte Folded Reload
	v_lshrrev_b32_e32 v35, 16, v50
	v_cmp_lt_i32_e64 s[2:3], v48, v13
	s_nop 1
	v_cndmask_b32_e64 v35, 0, v35, s[2:3]
	s_waitcnt vmcnt(0)
	v_cmp_lt_i32_e64 s[2:3], v60, v54
	s_nop 1
	v_cndmask_b32_e64 v36, 0, v50, s[2:3]
	v_perm_b32 v50, v35, v36, s27
	v_lshrrev_b32_e32 v35, 16, v16
	v_cmp_lt_i32_e64 s[2:3], v39, v13
	s_nop 1
	v_cndmask_b32_e64 v35, 0, v35, s[2:3]
	v_cmp_lt_i32_e64 s[2:3], v38, v54
	s_nop 1
	v_cndmask_b32_e64 v16, 0, v16, s[2:3]
	v_perm_b32 v16, v35, v16, s27
	v_lshrrev_b32_e32 v35, 16, v51
	v_cmp_lt_i32_e64 s[2:3], v7, v13
	s_nop 1
	v_cndmask_b32_e64 v35, 0, v35, s[2:3]
	;; [unrolled: 8-line block ×3, first 2 shown]
	v_cmp_lt_i32_e64 s[2:3], v1, v54
	s_nop 1
	v_cndmask_b32_e64 v34, 0, v34, s[2:3]
	v_perm_b32 v52, v35, v34, s27
.LBB286_1098:                           ;   in Loop: Header=BB286_1064 Depth=1
	s_or_b64 exec, exec, s[8:9]
	v_and_b32_e32 v12, 0xffff, v12
	v_lshl_or_b32 v34, v14, 16, v12
	v_and_b32_e32 v12, 0xffff, v15
	v_lshl_or_b32 v35, v18, 16, v12
	;; [unrolled: 2-line block ×4, first 2 shown]
	;;#ASMSTART
	v_pk_mul_f16 v12, v34, v50;

	;;#ASMEND
	;;#ASMSTART
	v_pk_mul_f16 v14, v35, v16;

	;;#ASMEND
	;; [unrolled: 4-line block ×4, first 2 shown]
	s_mov_b64 s[2:3], 0
	;;#ASMSTART
	v_pk_add_f16 v12, v12, v14;

	;;#ASMEND
                                        ; implicit-def: $sgpr20
	s_nop 0
	;;#ASMSTART
	v_pk_add_f16 v12, v12, v15;

	;;#ASMEND
	s_nop 0
	;;#ASMSTART
	v_pk_add_f16 v12, v12, v16;

	;;#ASMEND
	s_nop 0
	v_lshrrev_b32_e32 v14, 16, v12
	v_and_b32_e32 v12, 0xffff, v12
	;;#ASMSTART
	v_cvt_f32_f16 v12, v12;
	;;#ASMEND
	s_nop 0
	v_accvgpr_write_b32 a34, v12
	;;#ASMSTART
	v_cvt_f32_f16 v12, v14;
	;;#ASMEND
	flat_load_dwordx2 v[46:47], v[42:43] offset:512
	scratch_load_dwordx2 v[14:15], off, s32 offset:188 ; 8-byte Folded Reload
	v_accvgpr_write_b32 a35, v12
	s_waitcnt vmcnt(0) lgkmcnt(0)
	v_cmp_gt_i16_sdwa s[8:9], v46, s17 src0_sel:BYTE_0 src1_sel:DWORD
	flat_load_dword v44, v[14:15]
	s_and_saveexec_b64 s[18:19], s[8:9]
	s_xor_b64 s[8:9], exec, s[18:19]
	s_cbranch_execnz .LBB286_1640
; %bb.1099:                             ;   in Loop: Header=BB286_1064 Depth=1
	s_or_saveexec_b64 s[8:9], s[8:9]
	v_mov_b32_e32 v56, s20
	s_xor_b64 exec, exec, s[8:9]
	s_cbranch_execnz .LBB286_1643
.LBB286_1100:                           ;   in Loop: Header=BB286_1064 Depth=1
	s_or_b64 exec, exec, s[8:9]
	s_and_saveexec_b64 s[8:9], s[2:3]
	s_cbranch_execz .LBB286_1102
.LBB286_1101:                           ;   in Loop: Header=BB286_1064 Depth=1
	v_and_b32_e32 v12, 7, v46
	v_ffbh_u32_e32 v12, v12
	v_bfe_u32 v14, v46, 3, 4
	v_min_u32_e32 v12, 32, v12
	v_subrev_u32_e32 v15, 28, v12
	v_sub_u32_e32 v12, 29, v12
	v_cmp_eq_u32_e64 s[2:3], 0, v14
	s_nop 1
	v_cndmask_b32_e64 v12, v14, v12, s[2:3]
	v_cndmask_b32_e64 v14, 0, v15, s[2:3]
	v_lshlrev_b64 v[14:15], v14, v[46:47]
	v_lshlrev_b32_e32 v15, 8, v46
	v_lshl_add_u32 v12, v12, 10, v61
	v_lshlrev_b32_e32 v14, 7, v14
	v_and_or_b32 v12, v15, s23, v12
	v_and_or_b32 v12, v14, s24, v12
	v_cvt_f32_f16_e32 v56, v12
.LBB286_1102:                           ;   in Loop: Header=BB286_1064 Depth=1
	s_or_b64 exec, exec, s[8:9]
	v_lshrrev_b16_e32 v16, 8, v46
	v_cmp_lt_i16_e64 s[2:3], s17, v16
	s_mov_b64 s[8:9], 0
                                        ; implicit-def: $sgpr28
	s_and_saveexec_b64 s[18:19], s[2:3]
	s_xor_b64 s[18:19], exec, s[18:19]
	s_cbranch_execnz .LBB286_1644
; %bb.1103:                             ;   in Loop: Header=BB286_1064 Depth=1
	s_or_saveexec_b64 s[18:19], s[18:19]
	v_mov_b32_e32 v58, s28
	s_xor_b64 exec, exec, s[18:19]
	s_cbranch_execnz .LBB286_1647
.LBB286_1104:                           ;   in Loop: Header=BB286_1064 Depth=1
	s_or_b64 exec, exec, s[18:19]
	s_and_saveexec_b64 s[18:19], s[8:9]
	s_cbranch_execz .LBB286_1106
.LBB286_1105:                           ;   in Loop: Header=BB286_1064 Depth=1
	v_and_b32_e32 v12, 7, v16
	v_ffbh_u32_e32 v14, v12
	v_min_u32_e32 v22, 32, v14
	v_subrev_u32_e32 v14, 28, v22
	v_bfe_u32 v18, v16, 3, 4
	v_lshlrev_b64 v[14:15], v14, v[16:17]
	v_sub_u32_e32 v15, 29, v22
	v_cmp_eq_u32_e64 s[2:3], 0, v18
	v_and_b32_e32 v14, 7, v14
	s_nop 0
	v_cndmask_b32_e64 v15, v18, v15, s[2:3]
	v_cndmask_b32_e64 v12, v12, v14, s[2:3]
	v_lshlrev_b32_e32 v14, 8, v16
	v_lshl_add_u32 v15, v15, 10, v61
	v_and_or_b32 v14, v14, s23, v15
	v_lshl_or_b32 v12, v12, 7, v14
	v_cvt_f32_f16_e32 v58, v12
.LBB286_1106:                           ;   in Loop: Header=BB286_1064 Depth=1
	s_or_b64 exec, exec, s[18:19]
	v_lshrrev_b32_e32 v16, 16, v46
	v_cmp_gt_i16_sdwa s[8:9], v16, s17 src0_sel:BYTE_0 src1_sel:DWORD
	s_mov_b64 s[2:3], 0
                                        ; implicit-def: $sgpr20
	s_and_saveexec_b64 s[18:19], s[8:9]
	s_xor_b64 s[8:9], exec, s[18:19]
	s_cbranch_execnz .LBB286_1648
; %bb.1107:                             ;   in Loop: Header=BB286_1064 Depth=1
	s_or_saveexec_b64 s[8:9], s[8:9]
	v_mov_b32_e32 v57, s20
	s_xor_b64 exec, exec, s[8:9]
	s_cbranch_execnz .LBB286_1651
.LBB286_1108:                           ;   in Loop: Header=BB286_1064 Depth=1
	s_or_b64 exec, exec, s[8:9]
	s_and_saveexec_b64 s[8:9], s[2:3]
	s_cbranch_execz .LBB286_1110
.LBB286_1109:                           ;   in Loop: Header=BB286_1064 Depth=1
	v_bfe_u32 v12, v46, 16, 3
	v_ffbh_u32_e32 v14, v12
	v_min_u32_e32 v22, 32, v14
	v_subrev_u32_e32 v14, 28, v22
	v_bfe_u32 v18, v46, 19, 4
	v_lshlrev_b64 v[14:15], v14, v[16:17]
	v_sub_u32_e32 v15, 29, v22
	v_cmp_eq_u32_e64 s[2:3], 0, v18
	v_and_b32_e32 v14, 7, v14
	s_nop 0
	v_cndmask_b32_e64 v15, v18, v15, s[2:3]
	v_cndmask_b32_e64 v12, v12, v14, s[2:3]
	v_lshlrev_b32_e32 v14, 8, v16
	v_lshl_add_u32 v15, v15, 10, v61
	v_and_or_b32 v14, v14, s23, v15
	v_lshl_or_b32 v12, v12, 7, v14
	v_cvt_f32_f16_e32 v57, v12
.LBB286_1110:                           ;   in Loop: Header=BB286_1064 Depth=1
	s_or_b64 exec, exec, s[8:9]
	v_lshrrev_b32_e32 v16, 24, v46
	v_cmp_lt_i16_e64 s[2:3], s17, v16
	s_mov_b64 s[8:9], 0
                                        ; implicit-def: $sgpr28
	s_and_saveexec_b64 s[18:19], s[2:3]
	s_xor_b64 s[18:19], exec, s[18:19]
	s_cbranch_execnz .LBB286_1652
; %bb.1111:                             ;   in Loop: Header=BB286_1064 Depth=1
	s_or_saveexec_b64 s[18:19], s[18:19]
	v_mov_b32_e32 v59, s28
	s_xor_b64 exec, exec, s[18:19]
	s_cbranch_execnz .LBB286_1655
.LBB286_1112:                           ;   in Loop: Header=BB286_1064 Depth=1
	s_or_b64 exec, exec, s[18:19]
	s_and_saveexec_b64 s[18:19], s[8:9]
	s_cbranch_execz .LBB286_1114
.LBB286_1113:                           ;   in Loop: Header=BB286_1064 Depth=1
	v_bfe_u32 v12, v46, 24, 3
	v_ffbh_u32_e32 v14, v12
	v_min_u32_e32 v22, 32, v14
	v_subrev_u32_e32 v14, 28, v22
	v_bfe_u32 v18, v46, 27, 4
	v_lshlrev_b64 v[14:15], v14, v[16:17]
	v_sub_u32_e32 v15, 29, v22
	v_cmp_eq_u32_e64 s[2:3], 0, v18
	v_and_b32_e32 v14, 7, v14
	s_nop 0
	v_cndmask_b32_e64 v15, v18, v15, s[2:3]
	v_cndmask_b32_e64 v12, v12, v14, s[2:3]
	v_lshlrev_b32_e32 v14, 8, v16
	v_lshl_add_u32 v15, v15, 10, v61
	v_and_or_b32 v14, v14, s23, v15
	v_lshl_or_b32 v12, v12, 7, v14
	v_cvt_f32_f16_e32 v59, v12
.LBB286_1114:                           ;   in Loop: Header=BB286_1064 Depth=1
	s_or_b64 exec, exec, s[18:19]
	v_cmp_gt_i16_sdwa s[8:9], v47, s17 src0_sel:BYTE_0 src1_sel:DWORD
	s_mov_b64 s[2:3], 0
                                        ; implicit-def: $sgpr20
	s_and_saveexec_b64 s[18:19], s[8:9]
	s_xor_b64 s[8:9], exec, s[18:19]
	s_cbranch_execnz .LBB286_1656
; %bb.1115:                             ;   in Loop: Header=BB286_1064 Depth=1
	s_or_saveexec_b64 s[8:9], s[8:9]
	v_mov_b32_e32 v12, s20
	s_xor_b64 exec, exec, s[8:9]
	s_cbranch_execnz .LBB286_1659
.LBB286_1116:                           ;   in Loop: Header=BB286_1064 Depth=1
	s_or_b64 exec, exec, s[8:9]
	v_mov_b32_e32 v16, v47
	s_and_saveexec_b64 s[8:9], s[2:3]
	s_cbranch_execz .LBB286_1118
.LBB286_1117:                           ;   in Loop: Header=BB286_1064 Depth=1
	v_and_b32_e32 v12, 7, v47
	v_ffbh_u32_e32 v12, v12
	v_bfe_u32 v14, v47, 3, 4
	v_min_u32_e32 v12, 32, v12
	v_subrev_u32_e32 v15, 28, v12
	v_sub_u32_e32 v12, 29, v12
	v_cmp_eq_u32_e64 s[2:3], 0, v14
	s_nop 1
	v_cndmask_b32_e64 v12, v14, v12, s[2:3]
	v_cndmask_b32_e64 v14, 0, v15, s[2:3]
	v_lshlrev_b64 v[14:15], v14, v[16:17]
	v_lshlrev_b32_e32 v15, 8, v47
	v_lshl_add_u32 v12, v12, 10, v61
	v_lshlrev_b32_e32 v14, 7, v14
	v_and_or_b32 v12, v15, s23, v12
	v_and_or_b32 v12, v14, s24, v12
	v_cvt_f32_f16_e32 v12, v12
.LBB286_1118:                           ;   in Loop: Header=BB286_1064 Depth=1
	s_or_b64 exec, exec, s[8:9]
	v_lshrrev_b16_e32 v16, 8, v16
	v_cmp_lt_i16_e64 s[2:3], s17, v16
	s_mov_b64 s[8:9], 0
                                        ; implicit-def: $sgpr28
	s_and_saveexec_b64 s[18:19], s[2:3]
	s_xor_b64 s[18:19], exec, s[18:19]
	s_cbranch_execnz .LBB286_1660
; %bb.1119:                             ;   in Loop: Header=BB286_1064 Depth=1
	s_or_saveexec_b64 s[18:19], s[18:19]
	v_mov_b32_e32 v14, s28
	s_xor_b64 exec, exec, s[18:19]
	s_cbranch_execnz .LBB286_1663
.LBB286_1120:                           ;   in Loop: Header=BB286_1064 Depth=1
	s_or_b64 exec, exec, s[18:19]
	s_and_saveexec_b64 s[18:19], s[8:9]
	s_cbranch_execz .LBB286_1122
.LBB286_1121:                           ;   in Loop: Header=BB286_1064 Depth=1
	v_and_b32_e32 v18, 7, v16
	v_ffbh_u32_e32 v14, v18
	v_min_u32_e32 v23, 32, v14
	v_subrev_u32_e32 v14, 28, v23
	v_bfe_u32 v22, v16, 3, 4
	v_lshlrev_b64 v[14:15], v14, v[16:17]
	v_sub_u32_e32 v15, 29, v23
	v_cmp_eq_u32_e64 s[2:3], 0, v22
	v_and_b32_e32 v14, 7, v14
	v_lshlrev_b32_e32 v16, 8, v16
	v_cndmask_b32_e64 v15, v22, v15, s[2:3]
	v_lshl_add_u32 v15, v15, 10, v61
	v_cndmask_b32_e64 v14, v18, v14, s[2:3]
	v_and_or_b32 v15, v16, s23, v15
	v_lshl_or_b32 v14, v14, 7, v15
	v_cvt_f32_f16_e32 v14, v14
.LBB286_1122:                           ;   in Loop: Header=BB286_1064 Depth=1
	s_or_b64 exec, exec, s[18:19]
	v_lshrrev_b32_e32 v16, 16, v47
	v_cmp_gt_i16_sdwa s[8:9], v16, s17 src0_sel:BYTE_0 src1_sel:DWORD
	s_mov_b64 s[2:3], 0
                                        ; implicit-def: $sgpr20
	s_and_saveexec_b64 s[18:19], s[8:9]
	s_xor_b64 s[8:9], exec, s[18:19]
	s_cbranch_execnz .LBB286_1664
; %bb.1123:                             ;   in Loop: Header=BB286_1064 Depth=1
	s_or_saveexec_b64 s[8:9], s[8:9]
	v_mov_b32_e32 v15, s20
	s_xor_b64 exec, exec, s[8:9]
	s_cbranch_execnz .LBB286_1667
.LBB286_1124:                           ;   in Loop: Header=BB286_1064 Depth=1
	s_or_b64 exec, exec, s[8:9]
	s_and_saveexec_b64 s[8:9], s[2:3]
	s_cbranch_execz .LBB286_1126
.LBB286_1125:                           ;   in Loop: Header=BB286_1064 Depth=1
	v_bfe_u32 v15, v47, 16, 3
	v_ffbh_u32_e32 v22, v15
	v_min_u32_e32 v49, 32, v22
	v_subrev_u32_e32 v22, 28, v49
	v_bfe_u32 v18, v47, 19, 4
	v_lshlrev_b64 v[22:23], v22, v[16:17]
	v_sub_u32_e32 v23, 29, v49
	v_cmp_eq_u32_e64 s[2:3], 0, v18
	v_and_b32_e32 v22, 7, v22
	v_lshlrev_b32_e32 v16, 8, v16
	v_cndmask_b32_e64 v18, v18, v23, s[2:3]
	v_lshl_add_u32 v18, v18, 10, v61
	v_cndmask_b32_e64 v15, v15, v22, s[2:3]
	v_and_or_b32 v16, v16, s23, v18
	v_lshl_or_b32 v15, v15, 7, v16
	v_cvt_f32_f16_e32 v15, v15
.LBB286_1126:                           ;   in Loop: Header=BB286_1064 Depth=1
	s_or_b64 exec, exec, s[8:9]
	v_lshrrev_b32_e32 v16, 24, v47
	v_cmp_lt_i16_e64 s[2:3], s17, v16
	s_mov_b64 s[8:9], 0
                                        ; implicit-def: $sgpr28
	s_and_saveexec_b64 s[18:19], s[2:3]
	s_xor_b64 s[18:19], exec, s[18:19]
	s_cbranch_execnz .LBB286_1668
; %bb.1127:                             ;   in Loop: Header=BB286_1064 Depth=1
	s_or_saveexec_b64 s[18:19], s[18:19]
	v_mov_b32_e32 v22, s28
	s_xor_b64 exec, exec, s[18:19]
	s_cbranch_execnz .LBB286_1671
.LBB286_1128:                           ;   in Loop: Header=BB286_1064 Depth=1
	s_or_b64 exec, exec, s[18:19]
	s_and_saveexec_b64 s[18:19], s[8:9]
	s_cbranch_execz .LBB286_1130
.LBB286_1129:                           ;   in Loop: Header=BB286_1064 Depth=1
	v_bfe_u32 v18, v47, 24, 3
	v_ffbh_u32_e32 v22, v18
	v_min_u32_e32 v50, 32, v22
	v_subrev_u32_e32 v22, 28, v50
	v_bfe_u32 v49, v47, 27, 4
	v_lshlrev_b64 v[22:23], v22, v[16:17]
	v_sub_u32_e32 v23, 29, v50
	v_cmp_eq_u32_e64 s[2:3], 0, v49
	v_and_b32_e32 v22, 7, v22
	v_lshlrev_b32_e32 v16, 8, v16
	v_cndmask_b32_e64 v23, v49, v23, s[2:3]
	v_cndmask_b32_e64 v18, v18, v22, s[2:3]
	v_lshl_add_u32 v22, v23, 10, v61
	v_and_or_b32 v16, v16, s23, v22
	v_lshl_or_b32 v16, v18, 7, v16
	v_cvt_f32_f16_e32 v22, v16
.LBB286_1130:                           ;   in Loop: Header=BB286_1064 Depth=1
	s_or_b64 exec, exec, s[18:19]
	s_waitcnt vmcnt(0) lgkmcnt(0)
	v_pk_mul_f32 v[50:51], v[44:45], v[58:59] op_sel_hi:[0,1]
	v_pk_mul_f32 v[52:53], v[44:45], v[56:57] op_sel_hi:[0,1]
	v_cvt_f16_f32_e32 v16, v51
	v_cvt_f16_f32_e32 v18, v50
	;; [unrolled: 1-line block ×4, first 2 shown]
	v_fma_mixlo_f16 v14, v44, v14, 0
	v_lshlrev_b32_e32 v14, 16, v14
	v_fma_mixlo_f16 v12, v44, v12, 0
	v_or_b32_sdwa v12, v14, v12 dst_sel:DWORD dst_unused:UNUSED_PAD src0_sel:DWORD src1_sel:WORD_0
	v_fma_mixlo_f16 v14, v44, v22, 0
	v_pack_b32_f16 v18, v18, v16
	v_pack_b32_f16 v23, v49, v23
	v_fma_mixlo_f16 v15, v44, v15, 0
	v_lshlrev_b32_e32 v14, 16, v14
	v_perm_b32 v16, v23, v18, s25
	v_perm_b32 v18, v23, v18, s26
	v_or_b32_sdwa v14, v14, v15 dst_sel:DWORD dst_unused:UNUSED_PAD src0_sel:DWORD src1_sel:WORD_0
	s_and_saveexec_b64 s[8:9], vcc
	s_cbranch_execz .LBB286_1132
; %bb.1131:                             ;   in Loop: Header=BB286_1064 Depth=1
	scratch_load_dwordx2 v[50:51], off, s32 offset:196 ; 8-byte Folded Reload
	v_lshrrev_b32_e32 v22, 16, v18
	v_cmp_lt_i32_e64 s[2:3], v48, v13
	v_lshrrev_b32_e32 v14, 16, v14
	s_nop 0
	v_cndmask_b32_e64 v22, 0, v22, s[2:3]
	s_waitcnt vmcnt(0)
	v_cmp_lt_i32_e64 s[2:3], v60, v50
	s_nop 1
	v_cndmask_b32_e64 v18, 0, v18, s[2:3]
	v_perm_b32 v18, v22, v18, s27
	v_lshrrev_b32_e32 v22, 16, v16
	v_cmp_lt_i32_e64 s[2:3], v39, v13
	s_nop 1
	v_cndmask_b32_e64 v22, 0, v22, s[2:3]
	v_cmp_lt_i32_e64 s[2:3], v38, v50
	s_nop 1
	v_cndmask_b32_e64 v16, 0, v16, s[2:3]
	v_perm_b32 v16, v22, v16, s27
	v_lshrrev_b32_e32 v22, 16, v12
	v_cmp_lt_i32_e64 s[2:3], v7, v13
	s_nop 1
	v_cndmask_b32_e64 v22, 0, v22, s[2:3]
	v_cmp_lt_i32_e64 s[2:3], v6, v50
	s_nop 1
	v_cndmask_b32_e64 v12, 0, v12, s[2:3]
	v_cmp_lt_i32_e64 s[2:3], v19, v13
	v_perm_b32 v12, v22, v12, s27
	s_nop 0
	v_cndmask_b32_e64 v14, 0, v14, s[2:3]
	v_cmp_lt_i32_e64 s[2:3], v1, v50
	s_nop 1
	v_cndmask_b32_e64 v15, 0, v15, s[2:3]
	v_perm_b32 v14, v14, v15, s27
.LBB286_1132:                           ;   in Loop: Header=BB286_1064 Depth=1
	s_or_b64 exec, exec, s[8:9]
	;;#ASMSTART
	v_pk_mul_f16 v15, v34, v18;

	;;#ASMEND
	;;#ASMSTART
	v_pk_mul_f16 v16, v35, v16;

	;;#ASMEND
	;; [unrolled: 4-line block ×4, first 2 shown]
	s_mov_b64 s[2:3], 0
	;;#ASMSTART
	v_pk_add_f16 v15, v15, v16;

	;;#ASMEND
                                        ; implicit-def: $sgpr20
	s_nop 0
	;;#ASMSTART
	v_pk_add_f16 v12, v15, v12;

	;;#ASMEND
	s_nop 0
	;;#ASMSTART
	v_pk_add_f16 v12, v12, v14;

	;;#ASMEND
	s_nop 0
	v_lshrrev_b32_e32 v14, 16, v12
	v_and_b32_e32 v12, 0xffff, v12
	;;#ASMSTART
	v_cvt_f32_f16 v12, v12;
	;;#ASMEND
	s_nop 0
	v_accvgpr_write_b32 a36, v12
	;;#ASMSTART
	v_cvt_f32_f16 v12, v14;
	;;#ASMEND
	flat_load_dwordx2 v[46:47], v[42:43] offset:1024
	scratch_load_dwordx2 v[14:15], off, s32 offset:188 ; 8-byte Folded Reload
	v_accvgpr_write_b32 a37, v12
	s_waitcnt vmcnt(0) lgkmcnt(0)
	v_cmp_gt_i16_sdwa s[8:9], v46, s17 src0_sel:BYTE_0 src1_sel:DWORD
	flat_load_dword v44, v[14:15]
	s_and_saveexec_b64 s[18:19], s[8:9]
	s_xor_b64 s[8:9], exec, s[18:19]
	s_cbranch_execnz .LBB286_1672
; %bb.1133:                             ;   in Loop: Header=BB286_1064 Depth=1
	s_or_saveexec_b64 s[8:9], s[8:9]
	v_mov_b32_e32 v56, s20
	s_xor_b64 exec, exec, s[8:9]
	s_cbranch_execnz .LBB286_1675
.LBB286_1134:                           ;   in Loop: Header=BB286_1064 Depth=1
	s_or_b64 exec, exec, s[8:9]
	s_and_saveexec_b64 s[8:9], s[2:3]
	s_cbranch_execz .LBB286_1136
.LBB286_1135:                           ;   in Loop: Header=BB286_1064 Depth=1
	v_and_b32_e32 v12, 7, v46
	v_ffbh_u32_e32 v12, v12
	v_bfe_u32 v14, v46, 3, 4
	v_min_u32_e32 v12, 32, v12
	v_subrev_u32_e32 v15, 28, v12
	v_sub_u32_e32 v12, 29, v12
	v_cmp_eq_u32_e64 s[2:3], 0, v14
	s_nop 1
	v_cndmask_b32_e64 v12, v14, v12, s[2:3]
	v_cndmask_b32_e64 v14, 0, v15, s[2:3]
	v_lshlrev_b64 v[14:15], v14, v[46:47]
	v_lshlrev_b32_e32 v15, 8, v46
	v_lshl_add_u32 v12, v12, 10, v61
	v_lshlrev_b32_e32 v14, 7, v14
	v_and_or_b32 v12, v15, s23, v12
	v_and_or_b32 v12, v14, s24, v12
	v_cvt_f32_f16_e32 v56, v12
.LBB286_1136:                           ;   in Loop: Header=BB286_1064 Depth=1
	s_or_b64 exec, exec, s[8:9]
	v_lshrrev_b16_e32 v16, 8, v46
	v_cmp_lt_i16_e64 s[2:3], s17, v16
	s_mov_b64 s[8:9], 0
                                        ; implicit-def: $sgpr28
	s_and_saveexec_b64 s[18:19], s[2:3]
	s_xor_b64 s[18:19], exec, s[18:19]
	s_cbranch_execnz .LBB286_1676
; %bb.1137:                             ;   in Loop: Header=BB286_1064 Depth=1
	s_or_saveexec_b64 s[18:19], s[18:19]
	v_mov_b32_e32 v58, s28
	s_xor_b64 exec, exec, s[18:19]
	s_cbranch_execnz .LBB286_1679
.LBB286_1138:                           ;   in Loop: Header=BB286_1064 Depth=1
	s_or_b64 exec, exec, s[18:19]
	s_and_saveexec_b64 s[18:19], s[8:9]
	s_cbranch_execz .LBB286_1140
.LBB286_1139:                           ;   in Loop: Header=BB286_1064 Depth=1
	v_and_b32_e32 v12, 7, v16
	v_ffbh_u32_e32 v14, v12
	v_min_u32_e32 v22, 32, v14
	v_subrev_u32_e32 v14, 28, v22
	v_bfe_u32 v18, v16, 3, 4
	v_lshlrev_b64 v[14:15], v14, v[16:17]
	v_sub_u32_e32 v15, 29, v22
	v_cmp_eq_u32_e64 s[2:3], 0, v18
	v_and_b32_e32 v14, 7, v14
	s_nop 0
	v_cndmask_b32_e64 v15, v18, v15, s[2:3]
	v_cndmask_b32_e64 v12, v12, v14, s[2:3]
	v_lshlrev_b32_e32 v14, 8, v16
	v_lshl_add_u32 v15, v15, 10, v61
	v_and_or_b32 v14, v14, s23, v15
	v_lshl_or_b32 v12, v12, 7, v14
	v_cvt_f32_f16_e32 v58, v12
.LBB286_1140:                           ;   in Loop: Header=BB286_1064 Depth=1
	s_or_b64 exec, exec, s[18:19]
	v_lshrrev_b32_e32 v16, 16, v46
	v_cmp_gt_i16_sdwa s[8:9], v16, s17 src0_sel:BYTE_0 src1_sel:DWORD
	s_mov_b64 s[2:3], 0
                                        ; implicit-def: $sgpr20
	s_and_saveexec_b64 s[18:19], s[8:9]
	s_xor_b64 s[8:9], exec, s[18:19]
	s_cbranch_execnz .LBB286_1680
; %bb.1141:                             ;   in Loop: Header=BB286_1064 Depth=1
	s_or_saveexec_b64 s[8:9], s[8:9]
	v_mov_b32_e32 v57, s20
	s_xor_b64 exec, exec, s[8:9]
	s_cbranch_execnz .LBB286_1683
.LBB286_1142:                           ;   in Loop: Header=BB286_1064 Depth=1
	s_or_b64 exec, exec, s[8:9]
	s_and_saveexec_b64 s[8:9], s[2:3]
	s_cbranch_execz .LBB286_1144
.LBB286_1143:                           ;   in Loop: Header=BB286_1064 Depth=1
	v_bfe_u32 v12, v46, 16, 3
	v_ffbh_u32_e32 v14, v12
	v_min_u32_e32 v22, 32, v14
	v_subrev_u32_e32 v14, 28, v22
	v_bfe_u32 v18, v46, 19, 4
	v_lshlrev_b64 v[14:15], v14, v[16:17]
	v_sub_u32_e32 v15, 29, v22
	v_cmp_eq_u32_e64 s[2:3], 0, v18
	v_and_b32_e32 v14, 7, v14
	s_nop 0
	v_cndmask_b32_e64 v15, v18, v15, s[2:3]
	v_cndmask_b32_e64 v12, v12, v14, s[2:3]
	v_lshlrev_b32_e32 v14, 8, v16
	v_lshl_add_u32 v15, v15, 10, v61
	v_and_or_b32 v14, v14, s23, v15
	v_lshl_or_b32 v12, v12, 7, v14
	v_cvt_f32_f16_e32 v57, v12
.LBB286_1144:                           ;   in Loop: Header=BB286_1064 Depth=1
	s_or_b64 exec, exec, s[8:9]
	v_lshrrev_b32_e32 v16, 24, v46
	v_cmp_lt_i16_e64 s[2:3], s17, v16
	s_mov_b64 s[8:9], 0
                                        ; implicit-def: $sgpr28
	s_and_saveexec_b64 s[18:19], s[2:3]
	s_xor_b64 s[18:19], exec, s[18:19]
	s_cbranch_execnz .LBB286_1684
; %bb.1145:                             ;   in Loop: Header=BB286_1064 Depth=1
	s_or_saveexec_b64 s[18:19], s[18:19]
	v_mov_b32_e32 v59, s28
	s_xor_b64 exec, exec, s[18:19]
	s_cbranch_execnz .LBB286_1687
.LBB286_1146:                           ;   in Loop: Header=BB286_1064 Depth=1
	s_or_b64 exec, exec, s[18:19]
	s_and_saveexec_b64 s[18:19], s[8:9]
	s_cbranch_execz .LBB286_1148
.LBB286_1147:                           ;   in Loop: Header=BB286_1064 Depth=1
	v_bfe_u32 v12, v46, 24, 3
	v_ffbh_u32_e32 v14, v12
	v_min_u32_e32 v22, 32, v14
	v_subrev_u32_e32 v14, 28, v22
	v_bfe_u32 v18, v46, 27, 4
	v_lshlrev_b64 v[14:15], v14, v[16:17]
	v_sub_u32_e32 v15, 29, v22
	v_cmp_eq_u32_e64 s[2:3], 0, v18
	v_and_b32_e32 v14, 7, v14
	s_nop 0
	v_cndmask_b32_e64 v15, v18, v15, s[2:3]
	v_cndmask_b32_e64 v12, v12, v14, s[2:3]
	v_lshlrev_b32_e32 v14, 8, v16
	v_lshl_add_u32 v15, v15, 10, v61
	v_and_or_b32 v14, v14, s23, v15
	v_lshl_or_b32 v12, v12, 7, v14
	v_cvt_f32_f16_e32 v59, v12
.LBB286_1148:                           ;   in Loop: Header=BB286_1064 Depth=1
	s_or_b64 exec, exec, s[18:19]
	v_cmp_gt_i16_sdwa s[8:9], v47, s17 src0_sel:BYTE_0 src1_sel:DWORD
	s_mov_b64 s[2:3], 0
                                        ; implicit-def: $sgpr20
	s_and_saveexec_b64 s[18:19], s[8:9]
	s_xor_b64 s[8:9], exec, s[18:19]
	s_cbranch_execnz .LBB286_1688
; %bb.1149:                             ;   in Loop: Header=BB286_1064 Depth=1
	s_or_saveexec_b64 s[8:9], s[8:9]
	v_mov_b32_e32 v12, s20
	s_xor_b64 exec, exec, s[8:9]
	s_cbranch_execnz .LBB286_1691
.LBB286_1150:                           ;   in Loop: Header=BB286_1064 Depth=1
	s_or_b64 exec, exec, s[8:9]
	v_mov_b32_e32 v16, v47
	s_and_saveexec_b64 s[8:9], s[2:3]
	s_cbranch_execz .LBB286_1152
.LBB286_1151:                           ;   in Loop: Header=BB286_1064 Depth=1
	v_and_b32_e32 v12, 7, v47
	v_ffbh_u32_e32 v12, v12
	v_bfe_u32 v14, v47, 3, 4
	v_min_u32_e32 v12, 32, v12
	v_subrev_u32_e32 v15, 28, v12
	v_sub_u32_e32 v12, 29, v12
	v_cmp_eq_u32_e64 s[2:3], 0, v14
	s_nop 1
	v_cndmask_b32_e64 v12, v14, v12, s[2:3]
	v_cndmask_b32_e64 v14, 0, v15, s[2:3]
	v_lshlrev_b64 v[14:15], v14, v[16:17]
	v_lshlrev_b32_e32 v15, 8, v47
	v_lshl_add_u32 v12, v12, 10, v61
	v_lshlrev_b32_e32 v14, 7, v14
	v_and_or_b32 v12, v15, s23, v12
	v_and_or_b32 v12, v14, s24, v12
	v_cvt_f32_f16_e32 v12, v12
.LBB286_1152:                           ;   in Loop: Header=BB286_1064 Depth=1
	s_or_b64 exec, exec, s[8:9]
	v_lshrrev_b16_e32 v16, 8, v16
	v_cmp_lt_i16_e64 s[2:3], s17, v16
	s_mov_b64 s[8:9], 0
                                        ; implicit-def: $sgpr28
	s_and_saveexec_b64 s[18:19], s[2:3]
	s_xor_b64 s[18:19], exec, s[18:19]
	s_cbranch_execnz .LBB286_1692
; %bb.1153:                             ;   in Loop: Header=BB286_1064 Depth=1
	s_or_saveexec_b64 s[18:19], s[18:19]
	v_mov_b32_e32 v14, s28
	s_xor_b64 exec, exec, s[18:19]
	s_cbranch_execnz .LBB286_1695
.LBB286_1154:                           ;   in Loop: Header=BB286_1064 Depth=1
	s_or_b64 exec, exec, s[18:19]
	s_and_saveexec_b64 s[18:19], s[8:9]
	s_cbranch_execz .LBB286_1156
.LBB286_1155:                           ;   in Loop: Header=BB286_1064 Depth=1
	v_and_b32_e32 v18, 7, v16
	v_ffbh_u32_e32 v14, v18
	v_min_u32_e32 v23, 32, v14
	v_subrev_u32_e32 v14, 28, v23
	v_bfe_u32 v22, v16, 3, 4
	v_lshlrev_b64 v[14:15], v14, v[16:17]
	v_sub_u32_e32 v15, 29, v23
	v_cmp_eq_u32_e64 s[2:3], 0, v22
	v_and_b32_e32 v14, 7, v14
	v_lshlrev_b32_e32 v16, 8, v16
	v_cndmask_b32_e64 v15, v22, v15, s[2:3]
	v_lshl_add_u32 v15, v15, 10, v61
	v_cndmask_b32_e64 v14, v18, v14, s[2:3]
	v_and_or_b32 v15, v16, s23, v15
	v_lshl_or_b32 v14, v14, 7, v15
	v_cvt_f32_f16_e32 v14, v14
.LBB286_1156:                           ;   in Loop: Header=BB286_1064 Depth=1
	s_or_b64 exec, exec, s[18:19]
	v_lshrrev_b32_e32 v16, 16, v47
	v_cmp_gt_i16_sdwa s[8:9], v16, s17 src0_sel:BYTE_0 src1_sel:DWORD
	s_mov_b64 s[2:3], 0
                                        ; implicit-def: $sgpr20
	s_and_saveexec_b64 s[18:19], s[8:9]
	s_xor_b64 s[8:9], exec, s[18:19]
	s_cbranch_execnz .LBB286_1696
; %bb.1157:                             ;   in Loop: Header=BB286_1064 Depth=1
	s_or_saveexec_b64 s[8:9], s[8:9]
	v_mov_b32_e32 v15, s20
	s_xor_b64 exec, exec, s[8:9]
	s_cbranch_execnz .LBB286_1699
.LBB286_1158:                           ;   in Loop: Header=BB286_1064 Depth=1
	s_or_b64 exec, exec, s[8:9]
	s_and_saveexec_b64 s[8:9], s[2:3]
	s_cbranch_execz .LBB286_1160
.LBB286_1159:                           ;   in Loop: Header=BB286_1064 Depth=1
	v_bfe_u32 v15, v47, 16, 3
	v_ffbh_u32_e32 v22, v15
	v_min_u32_e32 v49, 32, v22
	v_subrev_u32_e32 v22, 28, v49
	v_bfe_u32 v18, v47, 19, 4
	v_lshlrev_b64 v[22:23], v22, v[16:17]
	v_sub_u32_e32 v23, 29, v49
	v_cmp_eq_u32_e64 s[2:3], 0, v18
	v_and_b32_e32 v22, 7, v22
	v_lshlrev_b32_e32 v16, 8, v16
	v_cndmask_b32_e64 v18, v18, v23, s[2:3]
	v_lshl_add_u32 v18, v18, 10, v61
	v_cndmask_b32_e64 v15, v15, v22, s[2:3]
	v_and_or_b32 v16, v16, s23, v18
	v_lshl_or_b32 v15, v15, 7, v16
	v_cvt_f32_f16_e32 v15, v15
.LBB286_1160:                           ;   in Loop: Header=BB286_1064 Depth=1
	s_or_b64 exec, exec, s[8:9]
	v_lshrrev_b32_e32 v16, 24, v47
	v_cmp_lt_i16_e64 s[2:3], s17, v16
	s_mov_b64 s[8:9], 0
                                        ; implicit-def: $sgpr28
	s_and_saveexec_b64 s[18:19], s[2:3]
	s_xor_b64 s[18:19], exec, s[18:19]
	s_cbranch_execnz .LBB286_1700
; %bb.1161:                             ;   in Loop: Header=BB286_1064 Depth=1
	s_or_saveexec_b64 s[18:19], s[18:19]
	v_mov_b32_e32 v22, s28
	s_xor_b64 exec, exec, s[18:19]
	s_cbranch_execnz .LBB286_1703
.LBB286_1162:                           ;   in Loop: Header=BB286_1064 Depth=1
	s_or_b64 exec, exec, s[18:19]
	s_and_saveexec_b64 s[18:19], s[8:9]
	s_cbranch_execz .LBB286_1164
.LBB286_1163:                           ;   in Loop: Header=BB286_1064 Depth=1
	v_bfe_u32 v18, v47, 24, 3
	v_ffbh_u32_e32 v22, v18
	v_min_u32_e32 v50, 32, v22
	v_subrev_u32_e32 v22, 28, v50
	v_bfe_u32 v49, v47, 27, 4
	v_lshlrev_b64 v[22:23], v22, v[16:17]
	v_sub_u32_e32 v23, 29, v50
	v_cmp_eq_u32_e64 s[2:3], 0, v49
	v_and_b32_e32 v22, 7, v22
	v_lshlrev_b32_e32 v16, 8, v16
	v_cndmask_b32_e64 v23, v49, v23, s[2:3]
	v_cndmask_b32_e64 v18, v18, v22, s[2:3]
	v_lshl_add_u32 v22, v23, 10, v61
	v_and_or_b32 v16, v16, s23, v22
	v_lshl_or_b32 v16, v18, 7, v16
	v_cvt_f32_f16_e32 v22, v16
.LBB286_1164:                           ;   in Loop: Header=BB286_1064 Depth=1
	s_or_b64 exec, exec, s[18:19]
	s_waitcnt vmcnt(0) lgkmcnt(0)
	v_pk_mul_f32 v[50:51], v[44:45], v[58:59] op_sel_hi:[0,1]
	v_pk_mul_f32 v[52:53], v[44:45], v[56:57] op_sel_hi:[0,1]
	v_cvt_f16_f32_e32 v16, v51
	v_cvt_f16_f32_e32 v18, v50
	;; [unrolled: 1-line block ×4, first 2 shown]
	v_fma_mixlo_f16 v14, v44, v14, 0
	v_lshlrev_b32_e32 v14, 16, v14
	v_fma_mixlo_f16 v12, v44, v12, 0
	v_or_b32_sdwa v12, v14, v12 dst_sel:DWORD dst_unused:UNUSED_PAD src0_sel:DWORD src1_sel:WORD_0
	v_fma_mixlo_f16 v14, v44, v22, 0
	v_pack_b32_f16 v18, v18, v16
	v_pack_b32_f16 v23, v49, v23
	v_fma_mixlo_f16 v15, v44, v15, 0
	v_lshlrev_b32_e32 v14, 16, v14
	v_perm_b32 v16, v23, v18, s25
	v_perm_b32 v18, v23, v18, s26
	v_or_b32_sdwa v14, v14, v15 dst_sel:DWORD dst_unused:UNUSED_PAD src0_sel:DWORD src1_sel:WORD_0
	s_and_saveexec_b64 s[8:9], vcc
	s_cbranch_execz .LBB286_1166
; %bb.1165:                             ;   in Loop: Header=BB286_1064 Depth=1
	scratch_load_dwordx2 v[50:51], off, s32 offset:196 ; 8-byte Folded Reload
	v_lshrrev_b32_e32 v22, 16, v18
	v_cmp_lt_i32_e64 s[2:3], v48, v13
	v_lshrrev_b32_e32 v14, 16, v14
	s_nop 0
	v_cndmask_b32_e64 v22, 0, v22, s[2:3]
	s_waitcnt vmcnt(0)
	v_cmp_lt_i32_e64 s[2:3], v60, v50
	s_nop 1
	v_cndmask_b32_e64 v18, 0, v18, s[2:3]
	v_perm_b32 v18, v22, v18, s27
	v_lshrrev_b32_e32 v22, 16, v16
	v_cmp_lt_i32_e64 s[2:3], v39, v13
	s_nop 1
	v_cndmask_b32_e64 v22, 0, v22, s[2:3]
	v_cmp_lt_i32_e64 s[2:3], v38, v50
	s_nop 1
	v_cndmask_b32_e64 v16, 0, v16, s[2:3]
	v_perm_b32 v16, v22, v16, s27
	v_lshrrev_b32_e32 v22, 16, v12
	v_cmp_lt_i32_e64 s[2:3], v7, v13
	s_nop 1
	v_cndmask_b32_e64 v22, 0, v22, s[2:3]
	v_cmp_lt_i32_e64 s[2:3], v6, v50
	s_nop 1
	v_cndmask_b32_e64 v12, 0, v12, s[2:3]
	v_cmp_lt_i32_e64 s[2:3], v19, v13
	v_perm_b32 v12, v22, v12, s27
	s_nop 0
	v_cndmask_b32_e64 v14, 0, v14, s[2:3]
	v_cmp_lt_i32_e64 s[2:3], v1, v50
	s_nop 1
	v_cndmask_b32_e64 v15, 0, v15, s[2:3]
	v_perm_b32 v14, v14, v15, s27
.LBB286_1166:                           ;   in Loop: Header=BB286_1064 Depth=1
	s_or_b64 exec, exec, s[8:9]
	;;#ASMSTART
	v_pk_mul_f16 v15, v34, v18;

	;;#ASMEND
	;;#ASMSTART
	v_pk_mul_f16 v16, v35, v16;

	;;#ASMEND
	;; [unrolled: 4-line block ×4, first 2 shown]
	s_mov_b64 s[2:3], 0
	;;#ASMSTART
	v_pk_add_f16 v15, v15, v16;

	;;#ASMEND
                                        ; implicit-def: $sgpr20
	s_nop 0
	;;#ASMSTART
	v_pk_add_f16 v12, v15, v12;

	;;#ASMEND
	s_nop 0
	;;#ASMSTART
	v_pk_add_f16 v12, v12, v14;

	;;#ASMEND
	s_nop 0
	v_lshrrev_b32_e32 v14, 16, v12
	v_and_b32_e32 v12, 0xffff, v12
	;;#ASMSTART
	v_cvt_f32_f16 v12, v12;
	;;#ASMEND
	s_nop 0
	v_accvgpr_write_b32 a38, v12
	;;#ASMSTART
	v_cvt_f32_f16 v12, v14;
	;;#ASMEND
	flat_load_dwordx2 v[46:47], v[42:43] offset:1536
	scratch_load_dwordx2 v[14:15], off, s32 offset:188 ; 8-byte Folded Reload
	v_accvgpr_write_b32 a39, v12
	s_waitcnt vmcnt(0) lgkmcnt(0)
	v_cmp_gt_i16_sdwa s[8:9], v46, s17 src0_sel:BYTE_0 src1_sel:DWORD
	flat_load_dword v44, v[14:15]
	s_and_saveexec_b64 s[18:19], s[8:9]
	s_xor_b64 s[8:9], exec, s[18:19]
	s_cbranch_execnz .LBB286_1704
; %bb.1167:                             ;   in Loop: Header=BB286_1064 Depth=1
	s_or_saveexec_b64 s[8:9], s[8:9]
	v_mov_b32_e32 v56, s20
	s_xor_b64 exec, exec, s[8:9]
	s_cbranch_execnz .LBB286_1707
.LBB286_1168:                           ;   in Loop: Header=BB286_1064 Depth=1
	s_or_b64 exec, exec, s[8:9]
	s_and_saveexec_b64 s[8:9], s[2:3]
	s_cbranch_execz .LBB286_1170
.LBB286_1169:                           ;   in Loop: Header=BB286_1064 Depth=1
	v_and_b32_e32 v12, 7, v46
	v_ffbh_u32_e32 v12, v12
	v_bfe_u32 v14, v46, 3, 4
	v_min_u32_e32 v12, 32, v12
	v_subrev_u32_e32 v15, 28, v12
	v_sub_u32_e32 v12, 29, v12
	v_cmp_eq_u32_e64 s[2:3], 0, v14
	s_nop 1
	v_cndmask_b32_e64 v12, v14, v12, s[2:3]
	v_cndmask_b32_e64 v14, 0, v15, s[2:3]
	v_lshlrev_b64 v[14:15], v14, v[46:47]
	v_lshlrev_b32_e32 v15, 8, v46
	v_lshl_add_u32 v12, v12, 10, v61
	v_lshlrev_b32_e32 v14, 7, v14
	v_and_or_b32 v12, v15, s23, v12
	v_and_or_b32 v12, v14, s24, v12
	v_cvt_f32_f16_e32 v56, v12
.LBB286_1170:                           ;   in Loop: Header=BB286_1064 Depth=1
	s_or_b64 exec, exec, s[8:9]
	v_lshrrev_b16_e32 v16, 8, v46
	v_cmp_lt_i16_e64 s[2:3], s17, v16
	s_mov_b64 s[8:9], 0
                                        ; implicit-def: $sgpr28
	s_and_saveexec_b64 s[18:19], s[2:3]
	s_xor_b64 s[18:19], exec, s[18:19]
	s_cbranch_execnz .LBB286_1708
; %bb.1171:                             ;   in Loop: Header=BB286_1064 Depth=1
	s_or_saveexec_b64 s[18:19], s[18:19]
	v_mov_b32_e32 v58, s28
	s_xor_b64 exec, exec, s[18:19]
	s_cbranch_execnz .LBB286_1711
.LBB286_1172:                           ;   in Loop: Header=BB286_1064 Depth=1
	s_or_b64 exec, exec, s[18:19]
	s_and_saveexec_b64 s[18:19], s[8:9]
	s_cbranch_execz .LBB286_1174
.LBB286_1173:                           ;   in Loop: Header=BB286_1064 Depth=1
	v_and_b32_e32 v12, 7, v16
	v_ffbh_u32_e32 v14, v12
	v_min_u32_e32 v22, 32, v14
	v_subrev_u32_e32 v14, 28, v22
	v_bfe_u32 v18, v16, 3, 4
	v_lshlrev_b64 v[14:15], v14, v[16:17]
	v_sub_u32_e32 v15, 29, v22
	v_cmp_eq_u32_e64 s[2:3], 0, v18
	v_and_b32_e32 v14, 7, v14
	s_nop 0
	v_cndmask_b32_e64 v15, v18, v15, s[2:3]
	v_cndmask_b32_e64 v12, v12, v14, s[2:3]
	v_lshlrev_b32_e32 v14, 8, v16
	v_lshl_add_u32 v15, v15, 10, v61
	v_and_or_b32 v14, v14, s23, v15
	v_lshl_or_b32 v12, v12, 7, v14
	v_cvt_f32_f16_e32 v58, v12
.LBB286_1174:                           ;   in Loop: Header=BB286_1064 Depth=1
	s_or_b64 exec, exec, s[18:19]
	v_lshrrev_b32_e32 v16, 16, v46
	v_cmp_gt_i16_sdwa s[8:9], v16, s17 src0_sel:BYTE_0 src1_sel:DWORD
	s_mov_b64 s[2:3], 0
                                        ; implicit-def: $sgpr20
	s_and_saveexec_b64 s[18:19], s[8:9]
	s_xor_b64 s[8:9], exec, s[18:19]
	s_cbranch_execnz .LBB286_1712
; %bb.1175:                             ;   in Loop: Header=BB286_1064 Depth=1
	s_or_saveexec_b64 s[8:9], s[8:9]
	v_mov_b32_e32 v57, s20
	s_xor_b64 exec, exec, s[8:9]
	s_cbranch_execnz .LBB286_1715
.LBB286_1176:                           ;   in Loop: Header=BB286_1064 Depth=1
	s_or_b64 exec, exec, s[8:9]
	s_and_saveexec_b64 s[8:9], s[2:3]
	s_cbranch_execz .LBB286_1178
.LBB286_1177:                           ;   in Loop: Header=BB286_1064 Depth=1
	v_bfe_u32 v12, v46, 16, 3
	v_ffbh_u32_e32 v14, v12
	v_min_u32_e32 v22, 32, v14
	v_subrev_u32_e32 v14, 28, v22
	v_bfe_u32 v18, v46, 19, 4
	v_lshlrev_b64 v[14:15], v14, v[16:17]
	v_sub_u32_e32 v15, 29, v22
	v_cmp_eq_u32_e64 s[2:3], 0, v18
	v_and_b32_e32 v14, 7, v14
	s_nop 0
	v_cndmask_b32_e64 v15, v18, v15, s[2:3]
	v_cndmask_b32_e64 v12, v12, v14, s[2:3]
	v_lshlrev_b32_e32 v14, 8, v16
	v_lshl_add_u32 v15, v15, 10, v61
	v_and_or_b32 v14, v14, s23, v15
	v_lshl_or_b32 v12, v12, 7, v14
	v_cvt_f32_f16_e32 v57, v12
.LBB286_1178:                           ;   in Loop: Header=BB286_1064 Depth=1
	s_or_b64 exec, exec, s[8:9]
	v_lshrrev_b32_e32 v16, 24, v46
	v_cmp_lt_i16_e64 s[2:3], s17, v16
	s_mov_b64 s[8:9], 0
                                        ; implicit-def: $sgpr28
	s_and_saveexec_b64 s[18:19], s[2:3]
	s_xor_b64 s[18:19], exec, s[18:19]
	s_cbranch_execnz .LBB286_1716
; %bb.1179:                             ;   in Loop: Header=BB286_1064 Depth=1
	s_or_saveexec_b64 s[18:19], s[18:19]
	v_mov_b32_e32 v59, s28
	s_xor_b64 exec, exec, s[18:19]
	s_cbranch_execnz .LBB286_1719
.LBB286_1180:                           ;   in Loop: Header=BB286_1064 Depth=1
	s_or_b64 exec, exec, s[18:19]
	s_and_saveexec_b64 s[18:19], s[8:9]
	s_cbranch_execz .LBB286_1182
.LBB286_1181:                           ;   in Loop: Header=BB286_1064 Depth=1
	v_bfe_u32 v12, v46, 24, 3
	v_ffbh_u32_e32 v14, v12
	v_min_u32_e32 v22, 32, v14
	v_subrev_u32_e32 v14, 28, v22
	v_bfe_u32 v18, v46, 27, 4
	v_lshlrev_b64 v[14:15], v14, v[16:17]
	v_sub_u32_e32 v15, 29, v22
	v_cmp_eq_u32_e64 s[2:3], 0, v18
	v_and_b32_e32 v14, 7, v14
	s_nop 0
	v_cndmask_b32_e64 v15, v18, v15, s[2:3]
	v_cndmask_b32_e64 v12, v12, v14, s[2:3]
	v_lshlrev_b32_e32 v14, 8, v16
	v_lshl_add_u32 v15, v15, 10, v61
	v_and_or_b32 v14, v14, s23, v15
	v_lshl_or_b32 v12, v12, 7, v14
	v_cvt_f32_f16_e32 v59, v12
.LBB286_1182:                           ;   in Loop: Header=BB286_1064 Depth=1
	s_or_b64 exec, exec, s[18:19]
	v_cmp_gt_i16_sdwa s[8:9], v47, s17 src0_sel:BYTE_0 src1_sel:DWORD
	s_mov_b64 s[2:3], 0
                                        ; implicit-def: $sgpr20
	s_and_saveexec_b64 s[18:19], s[8:9]
	s_xor_b64 s[8:9], exec, s[18:19]
	s_cbranch_execnz .LBB286_1720
; %bb.1183:                             ;   in Loop: Header=BB286_1064 Depth=1
	s_or_saveexec_b64 s[8:9], s[8:9]
	v_mov_b32_e32 v12, s20
	s_xor_b64 exec, exec, s[8:9]
	s_cbranch_execnz .LBB286_1723
.LBB286_1184:                           ;   in Loop: Header=BB286_1064 Depth=1
	s_or_b64 exec, exec, s[8:9]
	v_mov_b32_e32 v16, v47
	s_and_saveexec_b64 s[8:9], s[2:3]
	s_cbranch_execz .LBB286_1186
.LBB286_1185:                           ;   in Loop: Header=BB286_1064 Depth=1
	v_and_b32_e32 v12, 7, v47
	v_ffbh_u32_e32 v12, v12
	v_bfe_u32 v14, v47, 3, 4
	v_min_u32_e32 v12, 32, v12
	v_subrev_u32_e32 v15, 28, v12
	v_sub_u32_e32 v12, 29, v12
	v_cmp_eq_u32_e64 s[2:3], 0, v14
	s_nop 1
	v_cndmask_b32_e64 v12, v14, v12, s[2:3]
	v_cndmask_b32_e64 v14, 0, v15, s[2:3]
	v_lshlrev_b64 v[14:15], v14, v[16:17]
	v_lshlrev_b32_e32 v15, 8, v47
	v_lshl_add_u32 v12, v12, 10, v61
	v_lshlrev_b32_e32 v14, 7, v14
	v_and_or_b32 v12, v15, s23, v12
	v_and_or_b32 v12, v14, s24, v12
	v_cvt_f32_f16_e32 v12, v12
.LBB286_1186:                           ;   in Loop: Header=BB286_1064 Depth=1
	s_or_b64 exec, exec, s[8:9]
	v_lshrrev_b16_e32 v16, 8, v16
	v_cmp_lt_i16_e64 s[2:3], s17, v16
	s_mov_b64 s[8:9], 0
                                        ; implicit-def: $sgpr28
	s_and_saveexec_b64 s[18:19], s[2:3]
	s_xor_b64 s[18:19], exec, s[18:19]
	s_cbranch_execnz .LBB286_1724
; %bb.1187:                             ;   in Loop: Header=BB286_1064 Depth=1
	s_or_saveexec_b64 s[18:19], s[18:19]
	v_mov_b32_e32 v14, s28
	s_xor_b64 exec, exec, s[18:19]
	s_cbranch_execnz .LBB286_1727
.LBB286_1188:                           ;   in Loop: Header=BB286_1064 Depth=1
	s_or_b64 exec, exec, s[18:19]
	s_and_saveexec_b64 s[18:19], s[8:9]
	s_cbranch_execz .LBB286_1190
.LBB286_1189:                           ;   in Loop: Header=BB286_1064 Depth=1
	v_and_b32_e32 v18, 7, v16
	v_ffbh_u32_e32 v14, v18
	v_min_u32_e32 v23, 32, v14
	v_subrev_u32_e32 v14, 28, v23
	v_bfe_u32 v22, v16, 3, 4
	v_lshlrev_b64 v[14:15], v14, v[16:17]
	v_sub_u32_e32 v15, 29, v23
	v_cmp_eq_u32_e64 s[2:3], 0, v22
	v_and_b32_e32 v14, 7, v14
	v_lshlrev_b32_e32 v16, 8, v16
	v_cndmask_b32_e64 v15, v22, v15, s[2:3]
	v_lshl_add_u32 v15, v15, 10, v61
	v_cndmask_b32_e64 v14, v18, v14, s[2:3]
	v_and_or_b32 v15, v16, s23, v15
	v_lshl_or_b32 v14, v14, 7, v15
	v_cvt_f32_f16_e32 v14, v14
.LBB286_1190:                           ;   in Loop: Header=BB286_1064 Depth=1
	s_or_b64 exec, exec, s[18:19]
	v_lshrrev_b32_e32 v16, 16, v47
	v_cmp_gt_i16_sdwa s[8:9], v16, s17 src0_sel:BYTE_0 src1_sel:DWORD
	s_mov_b64 s[2:3], 0
                                        ; implicit-def: $sgpr20
	s_and_saveexec_b64 s[18:19], s[8:9]
	s_xor_b64 s[8:9], exec, s[18:19]
	s_cbranch_execnz .LBB286_1728
; %bb.1191:                             ;   in Loop: Header=BB286_1064 Depth=1
	s_or_saveexec_b64 s[8:9], s[8:9]
	v_mov_b32_e32 v15, s20
	s_xor_b64 exec, exec, s[8:9]
	s_cbranch_execnz .LBB286_1731
.LBB286_1192:                           ;   in Loop: Header=BB286_1064 Depth=1
	s_or_b64 exec, exec, s[8:9]
	s_and_saveexec_b64 s[8:9], s[2:3]
	s_cbranch_execz .LBB286_1194
.LBB286_1193:                           ;   in Loop: Header=BB286_1064 Depth=1
	v_bfe_u32 v15, v47, 16, 3
	v_ffbh_u32_e32 v22, v15
	v_min_u32_e32 v49, 32, v22
	v_subrev_u32_e32 v22, 28, v49
	v_bfe_u32 v18, v47, 19, 4
	v_lshlrev_b64 v[22:23], v22, v[16:17]
	v_sub_u32_e32 v23, 29, v49
	v_cmp_eq_u32_e64 s[2:3], 0, v18
	v_and_b32_e32 v22, 7, v22
	v_lshlrev_b32_e32 v16, 8, v16
	v_cndmask_b32_e64 v18, v18, v23, s[2:3]
	v_lshl_add_u32 v18, v18, 10, v61
	v_cndmask_b32_e64 v15, v15, v22, s[2:3]
	v_and_or_b32 v16, v16, s23, v18
	v_lshl_or_b32 v15, v15, 7, v16
	v_cvt_f32_f16_e32 v15, v15
.LBB286_1194:                           ;   in Loop: Header=BB286_1064 Depth=1
	s_or_b64 exec, exec, s[8:9]
	v_lshrrev_b32_e32 v16, 24, v47
	v_cmp_lt_i16_e64 s[2:3], s17, v16
	s_mov_b64 s[8:9], 0
                                        ; implicit-def: $sgpr28
	s_and_saveexec_b64 s[18:19], s[2:3]
	s_xor_b64 s[18:19], exec, s[18:19]
	s_cbranch_execnz .LBB286_1732
; %bb.1195:                             ;   in Loop: Header=BB286_1064 Depth=1
	s_or_saveexec_b64 s[18:19], s[18:19]
	v_mov_b32_e32 v22, s28
	s_xor_b64 exec, exec, s[18:19]
	s_cbranch_execnz .LBB286_1735
.LBB286_1196:                           ;   in Loop: Header=BB286_1064 Depth=1
	s_or_b64 exec, exec, s[18:19]
	s_and_saveexec_b64 s[18:19], s[8:9]
	s_cbranch_execz .LBB286_1198
.LBB286_1197:                           ;   in Loop: Header=BB286_1064 Depth=1
	v_bfe_u32 v18, v47, 24, 3
	v_ffbh_u32_e32 v22, v18
	v_min_u32_e32 v50, 32, v22
	v_subrev_u32_e32 v22, 28, v50
	v_bfe_u32 v49, v47, 27, 4
	v_lshlrev_b64 v[22:23], v22, v[16:17]
	v_sub_u32_e32 v23, 29, v50
	v_cmp_eq_u32_e64 s[2:3], 0, v49
	v_and_b32_e32 v22, 7, v22
	v_lshlrev_b32_e32 v16, 8, v16
	v_cndmask_b32_e64 v23, v49, v23, s[2:3]
	v_cndmask_b32_e64 v18, v18, v22, s[2:3]
	v_lshl_add_u32 v22, v23, 10, v61
	v_and_or_b32 v16, v16, s23, v22
	v_lshl_or_b32 v16, v18, 7, v16
	v_cvt_f32_f16_e32 v22, v16
.LBB286_1198:                           ;   in Loop: Header=BB286_1064 Depth=1
	s_or_b64 exec, exec, s[18:19]
	s_waitcnt vmcnt(0) lgkmcnt(0)
	v_pk_mul_f32 v[50:51], v[44:45], v[58:59] op_sel_hi:[0,1]
	v_pk_mul_f32 v[52:53], v[44:45], v[56:57] op_sel_hi:[0,1]
	v_cvt_f16_f32_e32 v16, v51
	v_cvt_f16_f32_e32 v18, v50
	;; [unrolled: 1-line block ×4, first 2 shown]
	v_fma_mixlo_f16 v14, v44, v14, 0
	v_lshlrev_b32_e32 v14, 16, v14
	v_fma_mixlo_f16 v12, v44, v12, 0
	v_or_b32_sdwa v12, v14, v12 dst_sel:DWORD dst_unused:UNUSED_PAD src0_sel:DWORD src1_sel:WORD_0
	v_fma_mixlo_f16 v14, v44, v22, 0
	v_pack_b32_f16 v18, v18, v16
	v_pack_b32_f16 v23, v49, v23
	v_fma_mixlo_f16 v15, v44, v15, 0
	v_lshlrev_b32_e32 v14, 16, v14
	v_perm_b32 v16, v23, v18, s25
	v_perm_b32 v18, v23, v18, s26
	v_or_b32_sdwa v14, v14, v15 dst_sel:DWORD dst_unused:UNUSED_PAD src0_sel:DWORD src1_sel:WORD_0
	s_and_saveexec_b64 s[8:9], vcc
	s_cbranch_execz .LBB286_1200
; %bb.1199:                             ;   in Loop: Header=BB286_1064 Depth=1
	scratch_load_dwordx2 v[50:51], off, s32 offset:196 ; 8-byte Folded Reload
	v_lshrrev_b32_e32 v22, 16, v18
	v_cmp_lt_i32_e64 s[2:3], v48, v13
	v_lshrrev_b32_e32 v14, 16, v14
	s_nop 0
	v_cndmask_b32_e64 v22, 0, v22, s[2:3]
	s_waitcnt vmcnt(0)
	v_cmp_lt_i32_e64 s[2:3], v60, v50
	s_nop 1
	v_cndmask_b32_e64 v18, 0, v18, s[2:3]
	v_perm_b32 v18, v22, v18, s27
	v_lshrrev_b32_e32 v22, 16, v16
	v_cmp_lt_i32_e64 s[2:3], v39, v13
	s_nop 1
	v_cndmask_b32_e64 v22, 0, v22, s[2:3]
	v_cmp_lt_i32_e64 s[2:3], v38, v50
	s_nop 1
	v_cndmask_b32_e64 v16, 0, v16, s[2:3]
	v_perm_b32 v16, v22, v16, s27
	v_lshrrev_b32_e32 v22, 16, v12
	v_cmp_lt_i32_e64 s[2:3], v7, v13
	s_nop 1
	v_cndmask_b32_e64 v22, 0, v22, s[2:3]
	v_cmp_lt_i32_e64 s[2:3], v6, v50
	s_nop 1
	v_cndmask_b32_e64 v12, 0, v12, s[2:3]
	v_cmp_lt_i32_e64 s[2:3], v19, v13
	v_perm_b32 v12, v22, v12, s27
	s_nop 0
	v_cndmask_b32_e64 v14, 0, v14, s[2:3]
	v_cmp_lt_i32_e64 s[2:3], v1, v50
	s_nop 1
	v_cndmask_b32_e64 v15, 0, v15, s[2:3]
	v_perm_b32 v14, v14, v15, s27
.LBB286_1200:                           ;   in Loop: Header=BB286_1064 Depth=1
	s_or_b64 exec, exec, s[8:9]
	;;#ASMSTART
	v_pk_mul_f16 v15, v34, v18;

	;;#ASMEND
	;;#ASMSTART
	v_pk_mul_f16 v16, v35, v16;

	;;#ASMEND
	;; [unrolled: 4-line block ×4, first 2 shown]
	s_mov_b64 s[2:3], 0
	;;#ASMSTART
	v_pk_add_f16 v15, v15, v16;

	;;#ASMEND
                                        ; implicit-def: $sgpr20
	s_nop 0
	;;#ASMSTART
	v_pk_add_f16 v12, v15, v12;

	;;#ASMEND
	s_nop 0
	;;#ASMSTART
	v_pk_add_f16 v12, v12, v14;

	;;#ASMEND
	s_nop 0
	v_lshrrev_b32_e32 v14, 16, v12
	v_and_b32_e32 v12, 0xffff, v12
	;;#ASMSTART
	v_cvt_f32_f16 v12, v12;
	;;#ASMEND
	s_nop 0
	v_accvgpr_write_b32 a40, v12
	;;#ASMSTART
	v_cvt_f32_f16 v12, v14;
	;;#ASMEND
	flat_load_dwordx2 v[46:47], v[42:43] offset:2048
	scratch_load_dwordx2 v[14:15], off, s32 offset:188 ; 8-byte Folded Reload
	v_accvgpr_write_b32 a41, v12
	s_waitcnt vmcnt(0) lgkmcnt(0)
	v_cmp_gt_i16_sdwa s[8:9], v46, s17 src0_sel:BYTE_0 src1_sel:DWORD
	flat_load_dword v44, v[14:15]
	s_and_saveexec_b64 s[18:19], s[8:9]
	s_xor_b64 s[8:9], exec, s[18:19]
	s_cbranch_execnz .LBB286_1736
; %bb.1201:                             ;   in Loop: Header=BB286_1064 Depth=1
	s_or_saveexec_b64 s[8:9], s[8:9]
	v_mov_b32_e32 v56, s20
	s_xor_b64 exec, exec, s[8:9]
	s_cbranch_execnz .LBB286_1739
.LBB286_1202:                           ;   in Loop: Header=BB286_1064 Depth=1
	s_or_b64 exec, exec, s[8:9]
	s_and_saveexec_b64 s[8:9], s[2:3]
	s_cbranch_execz .LBB286_1204
.LBB286_1203:                           ;   in Loop: Header=BB286_1064 Depth=1
	v_and_b32_e32 v12, 7, v46
	v_ffbh_u32_e32 v12, v12
	v_bfe_u32 v14, v46, 3, 4
	v_min_u32_e32 v12, 32, v12
	v_subrev_u32_e32 v15, 28, v12
	v_sub_u32_e32 v12, 29, v12
	v_cmp_eq_u32_e64 s[2:3], 0, v14
	s_nop 1
	v_cndmask_b32_e64 v12, v14, v12, s[2:3]
	v_cndmask_b32_e64 v14, 0, v15, s[2:3]
	v_lshlrev_b64 v[14:15], v14, v[46:47]
	v_lshlrev_b32_e32 v15, 8, v46
	v_lshl_add_u32 v12, v12, 10, v61
	v_lshlrev_b32_e32 v14, 7, v14
	v_and_or_b32 v12, v15, s23, v12
	v_and_or_b32 v12, v14, s24, v12
	v_cvt_f32_f16_e32 v56, v12
.LBB286_1204:                           ;   in Loop: Header=BB286_1064 Depth=1
	s_or_b64 exec, exec, s[8:9]
	v_lshrrev_b16_e32 v16, 8, v46
	v_cmp_lt_i16_e64 s[2:3], s17, v16
	s_mov_b64 s[8:9], 0
                                        ; implicit-def: $sgpr28
	s_and_saveexec_b64 s[18:19], s[2:3]
	s_xor_b64 s[18:19], exec, s[18:19]
	s_cbranch_execnz .LBB286_1740
; %bb.1205:                             ;   in Loop: Header=BB286_1064 Depth=1
	s_or_saveexec_b64 s[18:19], s[18:19]
	v_mov_b32_e32 v58, s28
	s_xor_b64 exec, exec, s[18:19]
	s_cbranch_execnz .LBB286_1743
.LBB286_1206:                           ;   in Loop: Header=BB286_1064 Depth=1
	s_or_b64 exec, exec, s[18:19]
	s_and_saveexec_b64 s[18:19], s[8:9]
	s_cbranch_execz .LBB286_1208
.LBB286_1207:                           ;   in Loop: Header=BB286_1064 Depth=1
	v_and_b32_e32 v12, 7, v16
	v_ffbh_u32_e32 v14, v12
	v_min_u32_e32 v22, 32, v14
	v_subrev_u32_e32 v14, 28, v22
	v_bfe_u32 v18, v16, 3, 4
	v_lshlrev_b64 v[14:15], v14, v[16:17]
	v_sub_u32_e32 v15, 29, v22
	v_cmp_eq_u32_e64 s[2:3], 0, v18
	v_and_b32_e32 v14, 7, v14
	s_nop 0
	v_cndmask_b32_e64 v15, v18, v15, s[2:3]
	v_cndmask_b32_e64 v12, v12, v14, s[2:3]
	v_lshlrev_b32_e32 v14, 8, v16
	v_lshl_add_u32 v15, v15, 10, v61
	v_and_or_b32 v14, v14, s23, v15
	v_lshl_or_b32 v12, v12, 7, v14
	v_cvt_f32_f16_e32 v58, v12
.LBB286_1208:                           ;   in Loop: Header=BB286_1064 Depth=1
	s_or_b64 exec, exec, s[18:19]
	v_lshrrev_b32_e32 v16, 16, v46
	v_cmp_gt_i16_sdwa s[8:9], v16, s17 src0_sel:BYTE_0 src1_sel:DWORD
	s_mov_b64 s[2:3], 0
                                        ; implicit-def: $sgpr20
	s_and_saveexec_b64 s[18:19], s[8:9]
	s_xor_b64 s[8:9], exec, s[18:19]
	s_cbranch_execnz .LBB286_1744
; %bb.1209:                             ;   in Loop: Header=BB286_1064 Depth=1
	s_or_saveexec_b64 s[8:9], s[8:9]
	v_mov_b32_e32 v57, s20
	s_xor_b64 exec, exec, s[8:9]
	s_cbranch_execnz .LBB286_1747
.LBB286_1210:                           ;   in Loop: Header=BB286_1064 Depth=1
	s_or_b64 exec, exec, s[8:9]
	s_and_saveexec_b64 s[8:9], s[2:3]
	s_cbranch_execz .LBB286_1212
.LBB286_1211:                           ;   in Loop: Header=BB286_1064 Depth=1
	v_bfe_u32 v12, v46, 16, 3
	v_ffbh_u32_e32 v14, v12
	v_min_u32_e32 v22, 32, v14
	v_subrev_u32_e32 v14, 28, v22
	v_bfe_u32 v18, v46, 19, 4
	v_lshlrev_b64 v[14:15], v14, v[16:17]
	v_sub_u32_e32 v15, 29, v22
	v_cmp_eq_u32_e64 s[2:3], 0, v18
	v_and_b32_e32 v14, 7, v14
	s_nop 0
	v_cndmask_b32_e64 v15, v18, v15, s[2:3]
	v_cndmask_b32_e64 v12, v12, v14, s[2:3]
	v_lshlrev_b32_e32 v14, 8, v16
	v_lshl_add_u32 v15, v15, 10, v61
	v_and_or_b32 v14, v14, s23, v15
	v_lshl_or_b32 v12, v12, 7, v14
	v_cvt_f32_f16_e32 v57, v12
.LBB286_1212:                           ;   in Loop: Header=BB286_1064 Depth=1
	s_or_b64 exec, exec, s[8:9]
	v_lshrrev_b32_e32 v16, 24, v46
	v_cmp_lt_i16_e64 s[2:3], s17, v16
	s_mov_b64 s[8:9], 0
                                        ; implicit-def: $sgpr28
	s_and_saveexec_b64 s[18:19], s[2:3]
	s_xor_b64 s[18:19], exec, s[18:19]
	s_cbranch_execnz .LBB286_1748
; %bb.1213:                             ;   in Loop: Header=BB286_1064 Depth=1
	s_or_saveexec_b64 s[18:19], s[18:19]
	v_mov_b32_e32 v59, s28
	s_xor_b64 exec, exec, s[18:19]
	s_cbranch_execnz .LBB286_1751
.LBB286_1214:                           ;   in Loop: Header=BB286_1064 Depth=1
	s_or_b64 exec, exec, s[18:19]
	s_and_saveexec_b64 s[18:19], s[8:9]
	s_cbranch_execz .LBB286_1216
.LBB286_1215:                           ;   in Loop: Header=BB286_1064 Depth=1
	v_bfe_u32 v12, v46, 24, 3
	v_ffbh_u32_e32 v14, v12
	v_min_u32_e32 v22, 32, v14
	v_subrev_u32_e32 v14, 28, v22
	v_bfe_u32 v18, v46, 27, 4
	v_lshlrev_b64 v[14:15], v14, v[16:17]
	v_sub_u32_e32 v15, 29, v22
	v_cmp_eq_u32_e64 s[2:3], 0, v18
	v_and_b32_e32 v14, 7, v14
	s_nop 0
	v_cndmask_b32_e64 v15, v18, v15, s[2:3]
	v_cndmask_b32_e64 v12, v12, v14, s[2:3]
	v_lshlrev_b32_e32 v14, 8, v16
	v_lshl_add_u32 v15, v15, 10, v61
	v_and_or_b32 v14, v14, s23, v15
	v_lshl_or_b32 v12, v12, 7, v14
	v_cvt_f32_f16_e32 v59, v12
.LBB286_1216:                           ;   in Loop: Header=BB286_1064 Depth=1
	s_or_b64 exec, exec, s[18:19]
	v_cmp_gt_i16_sdwa s[8:9], v47, s17 src0_sel:BYTE_0 src1_sel:DWORD
	s_mov_b64 s[2:3], 0
                                        ; implicit-def: $sgpr20
	s_and_saveexec_b64 s[18:19], s[8:9]
	s_xor_b64 s[8:9], exec, s[18:19]
	s_cbranch_execnz .LBB286_1752
; %bb.1217:                             ;   in Loop: Header=BB286_1064 Depth=1
	s_or_saveexec_b64 s[8:9], s[8:9]
	v_mov_b32_e32 v12, s20
	s_xor_b64 exec, exec, s[8:9]
	s_cbranch_execnz .LBB286_1755
.LBB286_1218:                           ;   in Loop: Header=BB286_1064 Depth=1
	s_or_b64 exec, exec, s[8:9]
	v_mov_b32_e32 v16, v47
	s_and_saveexec_b64 s[8:9], s[2:3]
	s_cbranch_execz .LBB286_1220
.LBB286_1219:                           ;   in Loop: Header=BB286_1064 Depth=1
	v_and_b32_e32 v12, 7, v47
	v_ffbh_u32_e32 v12, v12
	v_bfe_u32 v14, v47, 3, 4
	v_min_u32_e32 v12, 32, v12
	v_subrev_u32_e32 v15, 28, v12
	v_sub_u32_e32 v12, 29, v12
	v_cmp_eq_u32_e64 s[2:3], 0, v14
	s_nop 1
	v_cndmask_b32_e64 v12, v14, v12, s[2:3]
	v_cndmask_b32_e64 v14, 0, v15, s[2:3]
	v_lshlrev_b64 v[14:15], v14, v[16:17]
	v_lshlrev_b32_e32 v15, 8, v47
	v_lshl_add_u32 v12, v12, 10, v61
	v_lshlrev_b32_e32 v14, 7, v14
	v_and_or_b32 v12, v15, s23, v12
	v_and_or_b32 v12, v14, s24, v12
	v_cvt_f32_f16_e32 v12, v12
.LBB286_1220:                           ;   in Loop: Header=BB286_1064 Depth=1
	s_or_b64 exec, exec, s[8:9]
	v_lshrrev_b16_e32 v16, 8, v16
	v_cmp_lt_i16_e64 s[2:3], s17, v16
	s_mov_b64 s[8:9], 0
                                        ; implicit-def: $sgpr28
	s_and_saveexec_b64 s[18:19], s[2:3]
	s_xor_b64 s[18:19], exec, s[18:19]
	s_cbranch_execnz .LBB286_1756
; %bb.1221:                             ;   in Loop: Header=BB286_1064 Depth=1
	s_or_saveexec_b64 s[18:19], s[18:19]
	v_mov_b32_e32 v14, s28
	s_xor_b64 exec, exec, s[18:19]
	s_cbranch_execnz .LBB286_1759
.LBB286_1222:                           ;   in Loop: Header=BB286_1064 Depth=1
	s_or_b64 exec, exec, s[18:19]
	s_and_saveexec_b64 s[18:19], s[8:9]
	s_cbranch_execz .LBB286_1224
.LBB286_1223:                           ;   in Loop: Header=BB286_1064 Depth=1
	v_and_b32_e32 v18, 7, v16
	v_ffbh_u32_e32 v14, v18
	v_min_u32_e32 v23, 32, v14
	v_subrev_u32_e32 v14, 28, v23
	v_bfe_u32 v22, v16, 3, 4
	v_lshlrev_b64 v[14:15], v14, v[16:17]
	v_sub_u32_e32 v15, 29, v23
	v_cmp_eq_u32_e64 s[2:3], 0, v22
	v_and_b32_e32 v14, 7, v14
	v_lshlrev_b32_e32 v16, 8, v16
	v_cndmask_b32_e64 v15, v22, v15, s[2:3]
	v_lshl_add_u32 v15, v15, 10, v61
	v_cndmask_b32_e64 v14, v18, v14, s[2:3]
	v_and_or_b32 v15, v16, s23, v15
	v_lshl_or_b32 v14, v14, 7, v15
	v_cvt_f32_f16_e32 v14, v14
.LBB286_1224:                           ;   in Loop: Header=BB286_1064 Depth=1
	s_or_b64 exec, exec, s[18:19]
	v_lshrrev_b32_e32 v16, 16, v47
	v_cmp_gt_i16_sdwa s[8:9], v16, s17 src0_sel:BYTE_0 src1_sel:DWORD
	s_mov_b64 s[2:3], 0
                                        ; implicit-def: $sgpr20
	s_and_saveexec_b64 s[18:19], s[8:9]
	s_xor_b64 s[8:9], exec, s[18:19]
	s_cbranch_execnz .LBB286_1760
; %bb.1225:                             ;   in Loop: Header=BB286_1064 Depth=1
	s_or_saveexec_b64 s[8:9], s[8:9]
	v_mov_b32_e32 v15, s20
	s_xor_b64 exec, exec, s[8:9]
	s_cbranch_execnz .LBB286_1763
.LBB286_1226:                           ;   in Loop: Header=BB286_1064 Depth=1
	s_or_b64 exec, exec, s[8:9]
	s_and_saveexec_b64 s[8:9], s[2:3]
	s_cbranch_execz .LBB286_1228
.LBB286_1227:                           ;   in Loop: Header=BB286_1064 Depth=1
	v_bfe_u32 v15, v47, 16, 3
	v_ffbh_u32_e32 v22, v15
	v_min_u32_e32 v49, 32, v22
	v_subrev_u32_e32 v22, 28, v49
	v_bfe_u32 v18, v47, 19, 4
	v_lshlrev_b64 v[22:23], v22, v[16:17]
	v_sub_u32_e32 v23, 29, v49
	v_cmp_eq_u32_e64 s[2:3], 0, v18
	v_and_b32_e32 v22, 7, v22
	v_lshlrev_b32_e32 v16, 8, v16
	v_cndmask_b32_e64 v18, v18, v23, s[2:3]
	v_lshl_add_u32 v18, v18, 10, v61
	v_cndmask_b32_e64 v15, v15, v22, s[2:3]
	v_and_or_b32 v16, v16, s23, v18
	v_lshl_or_b32 v15, v15, 7, v16
	v_cvt_f32_f16_e32 v15, v15
.LBB286_1228:                           ;   in Loop: Header=BB286_1064 Depth=1
	s_or_b64 exec, exec, s[8:9]
	v_lshrrev_b32_e32 v16, 24, v47
	v_cmp_lt_i16_e64 s[2:3], s17, v16
	s_mov_b64 s[8:9], 0
                                        ; implicit-def: $sgpr28
	s_and_saveexec_b64 s[18:19], s[2:3]
	s_xor_b64 s[18:19], exec, s[18:19]
	s_cbranch_execnz .LBB286_1764
; %bb.1229:                             ;   in Loop: Header=BB286_1064 Depth=1
	s_or_saveexec_b64 s[18:19], s[18:19]
	v_mov_b32_e32 v22, s28
	s_xor_b64 exec, exec, s[18:19]
	s_cbranch_execnz .LBB286_1767
.LBB286_1230:                           ;   in Loop: Header=BB286_1064 Depth=1
	s_or_b64 exec, exec, s[18:19]
	s_and_saveexec_b64 s[18:19], s[8:9]
	s_cbranch_execz .LBB286_1232
.LBB286_1231:                           ;   in Loop: Header=BB286_1064 Depth=1
	v_bfe_u32 v18, v47, 24, 3
	v_ffbh_u32_e32 v22, v18
	v_min_u32_e32 v50, 32, v22
	v_subrev_u32_e32 v22, 28, v50
	v_bfe_u32 v49, v47, 27, 4
	v_lshlrev_b64 v[22:23], v22, v[16:17]
	v_sub_u32_e32 v23, 29, v50
	v_cmp_eq_u32_e64 s[2:3], 0, v49
	v_and_b32_e32 v22, 7, v22
	v_lshlrev_b32_e32 v16, 8, v16
	v_cndmask_b32_e64 v23, v49, v23, s[2:3]
	v_cndmask_b32_e64 v18, v18, v22, s[2:3]
	v_lshl_add_u32 v22, v23, 10, v61
	v_and_or_b32 v16, v16, s23, v22
	v_lshl_or_b32 v16, v18, 7, v16
	v_cvt_f32_f16_e32 v22, v16
.LBB286_1232:                           ;   in Loop: Header=BB286_1064 Depth=1
	s_or_b64 exec, exec, s[18:19]
	s_waitcnt vmcnt(0) lgkmcnt(0)
	v_pk_mul_f32 v[50:51], v[44:45], v[58:59] op_sel_hi:[0,1]
	v_pk_mul_f32 v[52:53], v[44:45], v[56:57] op_sel_hi:[0,1]
	v_cvt_f16_f32_e32 v16, v51
	v_cvt_f16_f32_e32 v18, v50
	;; [unrolled: 1-line block ×4, first 2 shown]
	v_fma_mixlo_f16 v14, v44, v14, 0
	v_lshlrev_b32_e32 v14, 16, v14
	v_fma_mixlo_f16 v12, v44, v12, 0
	v_or_b32_sdwa v12, v14, v12 dst_sel:DWORD dst_unused:UNUSED_PAD src0_sel:DWORD src1_sel:WORD_0
	v_fma_mixlo_f16 v14, v44, v22, 0
	v_pack_b32_f16 v18, v18, v16
	v_pack_b32_f16 v23, v49, v23
	v_fma_mixlo_f16 v15, v44, v15, 0
	v_lshlrev_b32_e32 v14, 16, v14
	v_perm_b32 v16, v23, v18, s25
	v_perm_b32 v18, v23, v18, s26
	v_or_b32_sdwa v14, v14, v15 dst_sel:DWORD dst_unused:UNUSED_PAD src0_sel:DWORD src1_sel:WORD_0
	s_and_saveexec_b64 s[8:9], vcc
	s_cbranch_execz .LBB286_1234
; %bb.1233:                             ;   in Loop: Header=BB286_1064 Depth=1
	scratch_load_dwordx2 v[50:51], off, s32 offset:196 ; 8-byte Folded Reload
	v_lshrrev_b32_e32 v22, 16, v18
	v_cmp_lt_i32_e64 s[2:3], v48, v13
	v_lshrrev_b32_e32 v14, 16, v14
	s_nop 0
	v_cndmask_b32_e64 v22, 0, v22, s[2:3]
	s_waitcnt vmcnt(0)
	v_cmp_lt_i32_e64 s[2:3], v60, v50
	s_nop 1
	v_cndmask_b32_e64 v18, 0, v18, s[2:3]
	v_perm_b32 v18, v22, v18, s27
	v_lshrrev_b32_e32 v22, 16, v16
	v_cmp_lt_i32_e64 s[2:3], v39, v13
	s_nop 1
	v_cndmask_b32_e64 v22, 0, v22, s[2:3]
	v_cmp_lt_i32_e64 s[2:3], v38, v50
	s_nop 1
	v_cndmask_b32_e64 v16, 0, v16, s[2:3]
	v_perm_b32 v16, v22, v16, s27
	v_lshrrev_b32_e32 v22, 16, v12
	v_cmp_lt_i32_e64 s[2:3], v7, v13
	s_nop 1
	v_cndmask_b32_e64 v22, 0, v22, s[2:3]
	v_cmp_lt_i32_e64 s[2:3], v6, v50
	s_nop 1
	v_cndmask_b32_e64 v12, 0, v12, s[2:3]
	v_cmp_lt_i32_e64 s[2:3], v19, v13
	v_perm_b32 v12, v22, v12, s27
	s_nop 0
	v_cndmask_b32_e64 v14, 0, v14, s[2:3]
	v_cmp_lt_i32_e64 s[2:3], v1, v50
	s_nop 1
	v_cndmask_b32_e64 v15, 0, v15, s[2:3]
	v_perm_b32 v14, v14, v15, s27
.LBB286_1234:                           ;   in Loop: Header=BB286_1064 Depth=1
	s_or_b64 exec, exec, s[8:9]
	;;#ASMSTART
	v_pk_mul_f16 v15, v34, v18;

	;;#ASMEND
	;;#ASMSTART
	v_pk_mul_f16 v16, v35, v16;

	;;#ASMEND
	;; [unrolled: 4-line block ×4, first 2 shown]
	s_mov_b64 s[2:3], 0
	;;#ASMSTART
	v_pk_add_f16 v15, v15, v16;

	;;#ASMEND
                                        ; implicit-def: $sgpr20
	s_nop 0
	;;#ASMSTART
	v_pk_add_f16 v12, v15, v12;

	;;#ASMEND
	s_nop 0
	;;#ASMSTART
	v_pk_add_f16 v12, v12, v14;

	;;#ASMEND
	s_nop 0
	v_lshrrev_b32_e32 v14, 16, v12
	v_and_b32_e32 v12, 0xffff, v12
	;;#ASMSTART
	v_cvt_f32_f16 v12, v12;
	;;#ASMEND
	s_nop 0
	v_accvgpr_write_b32 a42, v12
	;;#ASMSTART
	v_cvt_f32_f16 v12, v14;
	;;#ASMEND
	flat_load_dwordx2 v[46:47], v[42:43] offset:2560
	scratch_load_dwordx2 v[14:15], off, s32 offset:188 ; 8-byte Folded Reload
	v_accvgpr_write_b32 a43, v12
	s_waitcnt vmcnt(0) lgkmcnt(0)
	v_cmp_gt_i16_sdwa s[8:9], v46, s17 src0_sel:BYTE_0 src1_sel:DWORD
	flat_load_dword v44, v[14:15]
	s_and_saveexec_b64 s[18:19], s[8:9]
	s_xor_b64 s[8:9], exec, s[18:19]
	s_cbranch_execnz .LBB286_1768
; %bb.1235:                             ;   in Loop: Header=BB286_1064 Depth=1
	s_or_saveexec_b64 s[8:9], s[8:9]
	v_mov_b32_e32 v56, s20
	s_xor_b64 exec, exec, s[8:9]
	s_cbranch_execnz .LBB286_1771
.LBB286_1236:                           ;   in Loop: Header=BB286_1064 Depth=1
	s_or_b64 exec, exec, s[8:9]
	s_and_saveexec_b64 s[8:9], s[2:3]
	s_cbranch_execz .LBB286_1238
.LBB286_1237:                           ;   in Loop: Header=BB286_1064 Depth=1
	v_and_b32_e32 v12, 7, v46
	v_ffbh_u32_e32 v12, v12
	v_bfe_u32 v14, v46, 3, 4
	v_min_u32_e32 v12, 32, v12
	v_subrev_u32_e32 v15, 28, v12
	v_sub_u32_e32 v12, 29, v12
	v_cmp_eq_u32_e64 s[2:3], 0, v14
	s_nop 1
	v_cndmask_b32_e64 v12, v14, v12, s[2:3]
	v_cndmask_b32_e64 v14, 0, v15, s[2:3]
	v_lshlrev_b64 v[14:15], v14, v[46:47]
	v_lshlrev_b32_e32 v15, 8, v46
	v_lshl_add_u32 v12, v12, 10, v61
	v_lshlrev_b32_e32 v14, 7, v14
	v_and_or_b32 v12, v15, s23, v12
	v_and_or_b32 v12, v14, s24, v12
	v_cvt_f32_f16_e32 v56, v12
.LBB286_1238:                           ;   in Loop: Header=BB286_1064 Depth=1
	s_or_b64 exec, exec, s[8:9]
	v_lshrrev_b16_e32 v16, 8, v46
	v_cmp_lt_i16_e64 s[2:3], s17, v16
	s_mov_b64 s[8:9], 0
                                        ; implicit-def: $sgpr28
	s_and_saveexec_b64 s[18:19], s[2:3]
	s_xor_b64 s[18:19], exec, s[18:19]
	s_cbranch_execnz .LBB286_1772
; %bb.1239:                             ;   in Loop: Header=BB286_1064 Depth=1
	s_or_saveexec_b64 s[18:19], s[18:19]
	v_mov_b32_e32 v58, s28
	s_xor_b64 exec, exec, s[18:19]
	s_cbranch_execnz .LBB286_1775
.LBB286_1240:                           ;   in Loop: Header=BB286_1064 Depth=1
	s_or_b64 exec, exec, s[18:19]
	s_and_saveexec_b64 s[18:19], s[8:9]
	s_cbranch_execz .LBB286_1242
.LBB286_1241:                           ;   in Loop: Header=BB286_1064 Depth=1
	v_and_b32_e32 v12, 7, v16
	v_ffbh_u32_e32 v14, v12
	v_min_u32_e32 v22, 32, v14
	v_subrev_u32_e32 v14, 28, v22
	v_bfe_u32 v18, v16, 3, 4
	v_lshlrev_b64 v[14:15], v14, v[16:17]
	v_sub_u32_e32 v15, 29, v22
	v_cmp_eq_u32_e64 s[2:3], 0, v18
	v_and_b32_e32 v14, 7, v14
	s_nop 0
	v_cndmask_b32_e64 v15, v18, v15, s[2:3]
	v_cndmask_b32_e64 v12, v12, v14, s[2:3]
	v_lshlrev_b32_e32 v14, 8, v16
	v_lshl_add_u32 v15, v15, 10, v61
	v_and_or_b32 v14, v14, s23, v15
	v_lshl_or_b32 v12, v12, 7, v14
	v_cvt_f32_f16_e32 v58, v12
.LBB286_1242:                           ;   in Loop: Header=BB286_1064 Depth=1
	s_or_b64 exec, exec, s[18:19]
	v_lshrrev_b32_e32 v16, 16, v46
	v_cmp_gt_i16_sdwa s[8:9], v16, s17 src0_sel:BYTE_0 src1_sel:DWORD
	s_mov_b64 s[2:3], 0
                                        ; implicit-def: $sgpr20
	s_and_saveexec_b64 s[18:19], s[8:9]
	s_xor_b64 s[8:9], exec, s[18:19]
	s_cbranch_execnz .LBB286_1776
; %bb.1243:                             ;   in Loop: Header=BB286_1064 Depth=1
	s_or_saveexec_b64 s[8:9], s[8:9]
	v_mov_b32_e32 v57, s20
	s_xor_b64 exec, exec, s[8:9]
	s_cbranch_execnz .LBB286_1779
.LBB286_1244:                           ;   in Loop: Header=BB286_1064 Depth=1
	s_or_b64 exec, exec, s[8:9]
	s_and_saveexec_b64 s[8:9], s[2:3]
	s_cbranch_execz .LBB286_1246
.LBB286_1245:                           ;   in Loop: Header=BB286_1064 Depth=1
	v_bfe_u32 v12, v46, 16, 3
	v_ffbh_u32_e32 v14, v12
	v_min_u32_e32 v22, 32, v14
	v_subrev_u32_e32 v14, 28, v22
	v_bfe_u32 v18, v46, 19, 4
	v_lshlrev_b64 v[14:15], v14, v[16:17]
	v_sub_u32_e32 v15, 29, v22
	v_cmp_eq_u32_e64 s[2:3], 0, v18
	v_and_b32_e32 v14, 7, v14
	s_nop 0
	v_cndmask_b32_e64 v15, v18, v15, s[2:3]
	v_cndmask_b32_e64 v12, v12, v14, s[2:3]
	v_lshlrev_b32_e32 v14, 8, v16
	v_lshl_add_u32 v15, v15, 10, v61
	v_and_or_b32 v14, v14, s23, v15
	v_lshl_or_b32 v12, v12, 7, v14
	v_cvt_f32_f16_e32 v57, v12
.LBB286_1246:                           ;   in Loop: Header=BB286_1064 Depth=1
	s_or_b64 exec, exec, s[8:9]
	v_lshrrev_b32_e32 v16, 24, v46
	v_cmp_lt_i16_e64 s[2:3], s17, v16
	s_mov_b64 s[8:9], 0
                                        ; implicit-def: $sgpr28
	s_and_saveexec_b64 s[18:19], s[2:3]
	s_xor_b64 s[18:19], exec, s[18:19]
	s_cbranch_execnz .LBB286_1780
; %bb.1247:                             ;   in Loop: Header=BB286_1064 Depth=1
	s_or_saveexec_b64 s[18:19], s[18:19]
	v_mov_b32_e32 v59, s28
	s_xor_b64 exec, exec, s[18:19]
	s_cbranch_execnz .LBB286_1783
.LBB286_1248:                           ;   in Loop: Header=BB286_1064 Depth=1
	s_or_b64 exec, exec, s[18:19]
	s_and_saveexec_b64 s[18:19], s[8:9]
	s_cbranch_execz .LBB286_1250
.LBB286_1249:                           ;   in Loop: Header=BB286_1064 Depth=1
	v_bfe_u32 v12, v46, 24, 3
	v_ffbh_u32_e32 v14, v12
	v_min_u32_e32 v22, 32, v14
	v_subrev_u32_e32 v14, 28, v22
	v_bfe_u32 v18, v46, 27, 4
	v_lshlrev_b64 v[14:15], v14, v[16:17]
	v_sub_u32_e32 v15, 29, v22
	v_cmp_eq_u32_e64 s[2:3], 0, v18
	v_and_b32_e32 v14, 7, v14
	s_nop 0
	v_cndmask_b32_e64 v15, v18, v15, s[2:3]
	v_cndmask_b32_e64 v12, v12, v14, s[2:3]
	v_lshlrev_b32_e32 v14, 8, v16
	v_lshl_add_u32 v15, v15, 10, v61
	v_and_or_b32 v14, v14, s23, v15
	v_lshl_or_b32 v12, v12, 7, v14
	v_cvt_f32_f16_e32 v59, v12
.LBB286_1250:                           ;   in Loop: Header=BB286_1064 Depth=1
	s_or_b64 exec, exec, s[18:19]
	v_cmp_gt_i16_sdwa s[8:9], v47, s17 src0_sel:BYTE_0 src1_sel:DWORD
	s_mov_b64 s[2:3], 0
                                        ; implicit-def: $sgpr20
	s_and_saveexec_b64 s[18:19], s[8:9]
	s_xor_b64 s[8:9], exec, s[18:19]
	s_cbranch_execnz .LBB286_1784
; %bb.1251:                             ;   in Loop: Header=BB286_1064 Depth=1
	s_or_saveexec_b64 s[8:9], s[8:9]
	v_mov_b32_e32 v12, s20
	s_xor_b64 exec, exec, s[8:9]
	s_cbranch_execnz .LBB286_1787
.LBB286_1252:                           ;   in Loop: Header=BB286_1064 Depth=1
	s_or_b64 exec, exec, s[8:9]
	v_mov_b32_e32 v16, v47
	s_and_saveexec_b64 s[8:9], s[2:3]
	s_cbranch_execz .LBB286_1254
.LBB286_1253:                           ;   in Loop: Header=BB286_1064 Depth=1
	v_and_b32_e32 v12, 7, v47
	v_ffbh_u32_e32 v12, v12
	v_bfe_u32 v14, v47, 3, 4
	v_min_u32_e32 v12, 32, v12
	v_subrev_u32_e32 v15, 28, v12
	v_sub_u32_e32 v12, 29, v12
	v_cmp_eq_u32_e64 s[2:3], 0, v14
	s_nop 1
	v_cndmask_b32_e64 v12, v14, v12, s[2:3]
	v_cndmask_b32_e64 v14, 0, v15, s[2:3]
	v_lshlrev_b64 v[14:15], v14, v[16:17]
	v_lshlrev_b32_e32 v15, 8, v47
	v_lshl_add_u32 v12, v12, 10, v61
	v_lshlrev_b32_e32 v14, 7, v14
	v_and_or_b32 v12, v15, s23, v12
	v_and_or_b32 v12, v14, s24, v12
	v_cvt_f32_f16_e32 v12, v12
.LBB286_1254:                           ;   in Loop: Header=BB286_1064 Depth=1
	s_or_b64 exec, exec, s[8:9]
	v_lshrrev_b16_e32 v16, 8, v16
	v_cmp_lt_i16_e64 s[2:3], s17, v16
	s_mov_b64 s[8:9], 0
                                        ; implicit-def: $sgpr28
	s_and_saveexec_b64 s[18:19], s[2:3]
	s_xor_b64 s[18:19], exec, s[18:19]
	s_cbranch_execnz .LBB286_1788
; %bb.1255:                             ;   in Loop: Header=BB286_1064 Depth=1
	s_or_saveexec_b64 s[18:19], s[18:19]
	v_mov_b32_e32 v14, s28
	s_xor_b64 exec, exec, s[18:19]
	s_cbranch_execnz .LBB286_1791
.LBB286_1256:                           ;   in Loop: Header=BB286_1064 Depth=1
	s_or_b64 exec, exec, s[18:19]
	s_and_saveexec_b64 s[18:19], s[8:9]
	s_cbranch_execz .LBB286_1258
.LBB286_1257:                           ;   in Loop: Header=BB286_1064 Depth=1
	v_and_b32_e32 v18, 7, v16
	v_ffbh_u32_e32 v14, v18
	v_min_u32_e32 v23, 32, v14
	v_subrev_u32_e32 v14, 28, v23
	v_bfe_u32 v22, v16, 3, 4
	v_lshlrev_b64 v[14:15], v14, v[16:17]
	v_sub_u32_e32 v15, 29, v23
	v_cmp_eq_u32_e64 s[2:3], 0, v22
	v_and_b32_e32 v14, 7, v14
	v_lshlrev_b32_e32 v16, 8, v16
	v_cndmask_b32_e64 v15, v22, v15, s[2:3]
	v_lshl_add_u32 v15, v15, 10, v61
	v_cndmask_b32_e64 v14, v18, v14, s[2:3]
	v_and_or_b32 v15, v16, s23, v15
	v_lshl_or_b32 v14, v14, 7, v15
	v_cvt_f32_f16_e32 v14, v14
.LBB286_1258:                           ;   in Loop: Header=BB286_1064 Depth=1
	s_or_b64 exec, exec, s[18:19]
	v_lshrrev_b32_e32 v16, 16, v47
	v_cmp_gt_i16_sdwa s[8:9], v16, s17 src0_sel:BYTE_0 src1_sel:DWORD
	s_mov_b64 s[2:3], 0
                                        ; implicit-def: $sgpr20
	s_and_saveexec_b64 s[18:19], s[8:9]
	s_xor_b64 s[8:9], exec, s[18:19]
	s_cbranch_execnz .LBB286_1792
; %bb.1259:                             ;   in Loop: Header=BB286_1064 Depth=1
	s_or_saveexec_b64 s[8:9], s[8:9]
	v_mov_b32_e32 v15, s20
	s_xor_b64 exec, exec, s[8:9]
	s_cbranch_execnz .LBB286_1795
.LBB286_1260:                           ;   in Loop: Header=BB286_1064 Depth=1
	s_or_b64 exec, exec, s[8:9]
	s_and_saveexec_b64 s[8:9], s[2:3]
	s_cbranch_execz .LBB286_1262
.LBB286_1261:                           ;   in Loop: Header=BB286_1064 Depth=1
	v_bfe_u32 v15, v47, 16, 3
	v_ffbh_u32_e32 v22, v15
	v_min_u32_e32 v49, 32, v22
	v_subrev_u32_e32 v22, 28, v49
	v_bfe_u32 v18, v47, 19, 4
	v_lshlrev_b64 v[22:23], v22, v[16:17]
	v_sub_u32_e32 v23, 29, v49
	v_cmp_eq_u32_e64 s[2:3], 0, v18
	v_and_b32_e32 v22, 7, v22
	v_lshlrev_b32_e32 v16, 8, v16
	v_cndmask_b32_e64 v18, v18, v23, s[2:3]
	v_lshl_add_u32 v18, v18, 10, v61
	v_cndmask_b32_e64 v15, v15, v22, s[2:3]
	v_and_or_b32 v16, v16, s23, v18
	v_lshl_or_b32 v15, v15, 7, v16
	v_cvt_f32_f16_e32 v15, v15
.LBB286_1262:                           ;   in Loop: Header=BB286_1064 Depth=1
	s_or_b64 exec, exec, s[8:9]
	v_lshrrev_b32_e32 v16, 24, v47
	v_cmp_lt_i16_e64 s[2:3], s17, v16
	s_mov_b64 s[8:9], 0
                                        ; implicit-def: $sgpr28
	s_and_saveexec_b64 s[18:19], s[2:3]
	s_xor_b64 s[18:19], exec, s[18:19]
	s_cbranch_execnz .LBB286_1796
; %bb.1263:                             ;   in Loop: Header=BB286_1064 Depth=1
	s_or_saveexec_b64 s[18:19], s[18:19]
	v_mov_b32_e32 v22, s28
	s_xor_b64 exec, exec, s[18:19]
	s_cbranch_execnz .LBB286_1799
.LBB286_1264:                           ;   in Loop: Header=BB286_1064 Depth=1
	s_or_b64 exec, exec, s[18:19]
	s_and_saveexec_b64 s[18:19], s[8:9]
	s_cbranch_execz .LBB286_1266
.LBB286_1265:                           ;   in Loop: Header=BB286_1064 Depth=1
	v_bfe_u32 v18, v47, 24, 3
	v_ffbh_u32_e32 v22, v18
	v_min_u32_e32 v50, 32, v22
	v_subrev_u32_e32 v22, 28, v50
	v_bfe_u32 v49, v47, 27, 4
	v_lshlrev_b64 v[22:23], v22, v[16:17]
	v_sub_u32_e32 v23, 29, v50
	v_cmp_eq_u32_e64 s[2:3], 0, v49
	v_and_b32_e32 v22, 7, v22
	v_lshlrev_b32_e32 v16, 8, v16
	v_cndmask_b32_e64 v23, v49, v23, s[2:3]
	v_cndmask_b32_e64 v18, v18, v22, s[2:3]
	v_lshl_add_u32 v22, v23, 10, v61
	v_and_or_b32 v16, v16, s23, v22
	v_lshl_or_b32 v16, v18, 7, v16
	v_cvt_f32_f16_e32 v22, v16
.LBB286_1266:                           ;   in Loop: Header=BB286_1064 Depth=1
	s_or_b64 exec, exec, s[18:19]
	s_waitcnt vmcnt(0) lgkmcnt(0)
	v_pk_mul_f32 v[50:51], v[44:45], v[58:59] op_sel_hi:[0,1]
	v_pk_mul_f32 v[52:53], v[44:45], v[56:57] op_sel_hi:[0,1]
	v_cvt_f16_f32_e32 v16, v51
	v_cvt_f16_f32_e32 v18, v50
	;; [unrolled: 1-line block ×4, first 2 shown]
	v_fma_mixlo_f16 v14, v44, v14, 0
	v_lshlrev_b32_e32 v14, 16, v14
	v_fma_mixlo_f16 v12, v44, v12, 0
	v_or_b32_sdwa v12, v14, v12 dst_sel:DWORD dst_unused:UNUSED_PAD src0_sel:DWORD src1_sel:WORD_0
	v_fma_mixlo_f16 v14, v44, v22, 0
	v_pack_b32_f16 v18, v18, v16
	v_pack_b32_f16 v23, v49, v23
	v_fma_mixlo_f16 v15, v44, v15, 0
	v_lshlrev_b32_e32 v14, 16, v14
	v_perm_b32 v16, v23, v18, s25
	v_perm_b32 v18, v23, v18, s26
	v_or_b32_sdwa v14, v14, v15 dst_sel:DWORD dst_unused:UNUSED_PAD src0_sel:DWORD src1_sel:WORD_0
	s_and_saveexec_b64 s[8:9], vcc
	s_cbranch_execz .LBB286_1268
; %bb.1267:                             ;   in Loop: Header=BB286_1064 Depth=1
	scratch_load_dwordx2 v[50:51], off, s32 offset:196 ; 8-byte Folded Reload
	v_lshrrev_b32_e32 v22, 16, v18
	v_cmp_lt_i32_e64 s[2:3], v48, v13
	v_lshrrev_b32_e32 v14, 16, v14
	s_nop 0
	v_cndmask_b32_e64 v22, 0, v22, s[2:3]
	s_waitcnt vmcnt(0)
	v_cmp_lt_i32_e64 s[2:3], v60, v50
	s_nop 1
	v_cndmask_b32_e64 v18, 0, v18, s[2:3]
	v_perm_b32 v18, v22, v18, s27
	v_lshrrev_b32_e32 v22, 16, v16
	v_cmp_lt_i32_e64 s[2:3], v39, v13
	s_nop 1
	v_cndmask_b32_e64 v22, 0, v22, s[2:3]
	v_cmp_lt_i32_e64 s[2:3], v38, v50
	s_nop 1
	v_cndmask_b32_e64 v16, 0, v16, s[2:3]
	v_perm_b32 v16, v22, v16, s27
	v_lshrrev_b32_e32 v22, 16, v12
	v_cmp_lt_i32_e64 s[2:3], v7, v13
	s_nop 1
	v_cndmask_b32_e64 v22, 0, v22, s[2:3]
	v_cmp_lt_i32_e64 s[2:3], v6, v50
	s_nop 1
	v_cndmask_b32_e64 v12, 0, v12, s[2:3]
	v_cmp_lt_i32_e64 s[2:3], v19, v13
	v_perm_b32 v12, v22, v12, s27
	s_nop 0
	v_cndmask_b32_e64 v14, 0, v14, s[2:3]
	v_cmp_lt_i32_e64 s[2:3], v1, v50
	s_nop 1
	v_cndmask_b32_e64 v15, 0, v15, s[2:3]
	v_perm_b32 v14, v14, v15, s27
.LBB286_1268:                           ;   in Loop: Header=BB286_1064 Depth=1
	s_or_b64 exec, exec, s[8:9]
	;;#ASMSTART
	v_pk_mul_f16 v15, v34, v18;

	;;#ASMEND
	;;#ASMSTART
	v_pk_mul_f16 v16, v35, v16;

	;;#ASMEND
	;; [unrolled: 4-line block ×4, first 2 shown]
	s_mov_b64 s[2:3], 0
	;;#ASMSTART
	v_pk_add_f16 v15, v15, v16;

	;;#ASMEND
                                        ; implicit-def: $sgpr20
	s_nop 0
	;;#ASMSTART
	v_pk_add_f16 v12, v15, v12;

	;;#ASMEND
	s_nop 0
	;;#ASMSTART
	v_pk_add_f16 v12, v12, v14;

	;;#ASMEND
	s_nop 0
	v_lshrrev_b32_e32 v14, 16, v12
	v_and_b32_e32 v12, 0xffff, v12
	;;#ASMSTART
	v_cvt_f32_f16 v12, v12;
	;;#ASMEND
	s_nop 0
	v_accvgpr_write_b32 a44, v12
	;;#ASMSTART
	v_cvt_f32_f16 v12, v14;
	;;#ASMEND
	flat_load_dwordx2 v[46:47], v[42:43] offset:3072
	scratch_load_dwordx2 v[14:15], off, s32 offset:188 ; 8-byte Folded Reload
	v_accvgpr_write_b32 a45, v12
	s_waitcnt vmcnt(0) lgkmcnt(0)
	v_cmp_gt_i16_sdwa s[8:9], v46, s17 src0_sel:BYTE_0 src1_sel:DWORD
	flat_load_dword v44, v[14:15]
	s_and_saveexec_b64 s[18:19], s[8:9]
	s_xor_b64 s[8:9], exec, s[18:19]
	s_cbranch_execnz .LBB286_1800
; %bb.1269:                             ;   in Loop: Header=BB286_1064 Depth=1
	s_or_saveexec_b64 s[8:9], s[8:9]
	v_mov_b32_e32 v56, s20
	s_xor_b64 exec, exec, s[8:9]
	s_cbranch_execnz .LBB286_1803
.LBB286_1270:                           ;   in Loop: Header=BB286_1064 Depth=1
	s_or_b64 exec, exec, s[8:9]
	s_and_saveexec_b64 s[8:9], s[2:3]
	s_cbranch_execz .LBB286_1272
.LBB286_1271:                           ;   in Loop: Header=BB286_1064 Depth=1
	v_and_b32_e32 v12, 7, v46
	v_ffbh_u32_e32 v12, v12
	v_bfe_u32 v14, v46, 3, 4
	v_min_u32_e32 v12, 32, v12
	v_subrev_u32_e32 v15, 28, v12
	v_sub_u32_e32 v12, 29, v12
	v_cmp_eq_u32_e64 s[2:3], 0, v14
	s_nop 1
	v_cndmask_b32_e64 v12, v14, v12, s[2:3]
	v_cndmask_b32_e64 v14, 0, v15, s[2:3]
	v_lshlrev_b64 v[14:15], v14, v[46:47]
	v_lshlrev_b32_e32 v15, 8, v46
	v_lshl_add_u32 v12, v12, 10, v61
	v_lshlrev_b32_e32 v14, 7, v14
	v_and_or_b32 v12, v15, s23, v12
	v_and_or_b32 v12, v14, s24, v12
	v_cvt_f32_f16_e32 v56, v12
.LBB286_1272:                           ;   in Loop: Header=BB286_1064 Depth=1
	s_or_b64 exec, exec, s[8:9]
	v_lshrrev_b16_e32 v16, 8, v46
	v_cmp_lt_i16_e64 s[2:3], s17, v16
	s_mov_b64 s[8:9], 0
                                        ; implicit-def: $sgpr28
	s_and_saveexec_b64 s[18:19], s[2:3]
	s_xor_b64 s[18:19], exec, s[18:19]
	s_cbranch_execnz .LBB286_1804
; %bb.1273:                             ;   in Loop: Header=BB286_1064 Depth=1
	s_or_saveexec_b64 s[18:19], s[18:19]
	v_mov_b32_e32 v58, s28
	s_xor_b64 exec, exec, s[18:19]
	s_cbranch_execnz .LBB286_1807
.LBB286_1274:                           ;   in Loop: Header=BB286_1064 Depth=1
	s_or_b64 exec, exec, s[18:19]
	s_and_saveexec_b64 s[18:19], s[8:9]
	s_cbranch_execz .LBB286_1276
.LBB286_1275:                           ;   in Loop: Header=BB286_1064 Depth=1
	v_and_b32_e32 v12, 7, v16
	v_ffbh_u32_e32 v14, v12
	v_min_u32_e32 v22, 32, v14
	v_subrev_u32_e32 v14, 28, v22
	v_bfe_u32 v18, v16, 3, 4
	v_lshlrev_b64 v[14:15], v14, v[16:17]
	v_sub_u32_e32 v15, 29, v22
	v_cmp_eq_u32_e64 s[2:3], 0, v18
	v_and_b32_e32 v14, 7, v14
	s_nop 0
	v_cndmask_b32_e64 v15, v18, v15, s[2:3]
	v_cndmask_b32_e64 v12, v12, v14, s[2:3]
	v_lshlrev_b32_e32 v14, 8, v16
	v_lshl_add_u32 v15, v15, 10, v61
	v_and_or_b32 v14, v14, s23, v15
	v_lshl_or_b32 v12, v12, 7, v14
	v_cvt_f32_f16_e32 v58, v12
.LBB286_1276:                           ;   in Loop: Header=BB286_1064 Depth=1
	s_or_b64 exec, exec, s[18:19]
	v_lshrrev_b32_e32 v16, 16, v46
	v_cmp_gt_i16_sdwa s[8:9], v16, s17 src0_sel:BYTE_0 src1_sel:DWORD
	s_mov_b64 s[2:3], 0
                                        ; implicit-def: $sgpr20
	s_and_saveexec_b64 s[18:19], s[8:9]
	s_xor_b64 s[8:9], exec, s[18:19]
	s_cbranch_execnz .LBB286_1808
; %bb.1277:                             ;   in Loop: Header=BB286_1064 Depth=1
	s_or_saveexec_b64 s[8:9], s[8:9]
	v_mov_b32_e32 v57, s20
	s_xor_b64 exec, exec, s[8:9]
	s_cbranch_execnz .LBB286_1811
.LBB286_1278:                           ;   in Loop: Header=BB286_1064 Depth=1
	s_or_b64 exec, exec, s[8:9]
	s_and_saveexec_b64 s[8:9], s[2:3]
	s_cbranch_execz .LBB286_1280
.LBB286_1279:                           ;   in Loop: Header=BB286_1064 Depth=1
	v_bfe_u32 v12, v46, 16, 3
	v_ffbh_u32_e32 v14, v12
	v_min_u32_e32 v22, 32, v14
	v_subrev_u32_e32 v14, 28, v22
	v_bfe_u32 v18, v46, 19, 4
	v_lshlrev_b64 v[14:15], v14, v[16:17]
	v_sub_u32_e32 v15, 29, v22
	v_cmp_eq_u32_e64 s[2:3], 0, v18
	v_and_b32_e32 v14, 7, v14
	s_nop 0
	v_cndmask_b32_e64 v15, v18, v15, s[2:3]
	v_cndmask_b32_e64 v12, v12, v14, s[2:3]
	v_lshlrev_b32_e32 v14, 8, v16
	v_lshl_add_u32 v15, v15, 10, v61
	v_and_or_b32 v14, v14, s23, v15
	v_lshl_or_b32 v12, v12, 7, v14
	v_cvt_f32_f16_e32 v57, v12
.LBB286_1280:                           ;   in Loop: Header=BB286_1064 Depth=1
	s_or_b64 exec, exec, s[8:9]
	v_lshrrev_b32_e32 v16, 24, v46
	v_cmp_lt_i16_e64 s[2:3], s17, v16
	s_mov_b64 s[8:9], 0
                                        ; implicit-def: $sgpr28
	s_and_saveexec_b64 s[18:19], s[2:3]
	s_xor_b64 s[18:19], exec, s[18:19]
	s_cbranch_execnz .LBB286_1812
; %bb.1281:                             ;   in Loop: Header=BB286_1064 Depth=1
	s_or_saveexec_b64 s[18:19], s[18:19]
	v_mov_b32_e32 v59, s28
	s_xor_b64 exec, exec, s[18:19]
	s_cbranch_execnz .LBB286_1815
.LBB286_1282:                           ;   in Loop: Header=BB286_1064 Depth=1
	s_or_b64 exec, exec, s[18:19]
	s_and_saveexec_b64 s[18:19], s[8:9]
	s_cbranch_execz .LBB286_1284
.LBB286_1283:                           ;   in Loop: Header=BB286_1064 Depth=1
	v_bfe_u32 v12, v46, 24, 3
	v_ffbh_u32_e32 v14, v12
	v_min_u32_e32 v22, 32, v14
	v_subrev_u32_e32 v14, 28, v22
	v_bfe_u32 v18, v46, 27, 4
	v_lshlrev_b64 v[14:15], v14, v[16:17]
	v_sub_u32_e32 v15, 29, v22
	v_cmp_eq_u32_e64 s[2:3], 0, v18
	v_and_b32_e32 v14, 7, v14
	s_nop 0
	v_cndmask_b32_e64 v15, v18, v15, s[2:3]
	v_cndmask_b32_e64 v12, v12, v14, s[2:3]
	v_lshlrev_b32_e32 v14, 8, v16
	v_lshl_add_u32 v15, v15, 10, v61
	v_and_or_b32 v14, v14, s23, v15
	v_lshl_or_b32 v12, v12, 7, v14
	v_cvt_f32_f16_e32 v59, v12
.LBB286_1284:                           ;   in Loop: Header=BB286_1064 Depth=1
	s_or_b64 exec, exec, s[18:19]
	v_cmp_gt_i16_sdwa s[8:9], v47, s17 src0_sel:BYTE_0 src1_sel:DWORD
	s_mov_b64 s[2:3], 0
                                        ; implicit-def: $sgpr20
	s_and_saveexec_b64 s[18:19], s[8:9]
	s_xor_b64 s[8:9], exec, s[18:19]
	s_cbranch_execnz .LBB286_1816
; %bb.1285:                             ;   in Loop: Header=BB286_1064 Depth=1
	s_or_saveexec_b64 s[8:9], s[8:9]
	v_mov_b32_e32 v12, s20
	s_xor_b64 exec, exec, s[8:9]
	s_cbranch_execnz .LBB286_1819
.LBB286_1286:                           ;   in Loop: Header=BB286_1064 Depth=1
	s_or_b64 exec, exec, s[8:9]
	v_mov_b32_e32 v16, v47
	s_and_saveexec_b64 s[8:9], s[2:3]
	s_cbranch_execz .LBB286_1288
.LBB286_1287:                           ;   in Loop: Header=BB286_1064 Depth=1
	v_and_b32_e32 v12, 7, v47
	v_ffbh_u32_e32 v12, v12
	v_bfe_u32 v14, v47, 3, 4
	v_min_u32_e32 v12, 32, v12
	v_subrev_u32_e32 v15, 28, v12
	v_sub_u32_e32 v12, 29, v12
	v_cmp_eq_u32_e64 s[2:3], 0, v14
	s_nop 1
	v_cndmask_b32_e64 v12, v14, v12, s[2:3]
	v_cndmask_b32_e64 v14, 0, v15, s[2:3]
	v_lshlrev_b64 v[14:15], v14, v[16:17]
	v_lshlrev_b32_e32 v15, 8, v47
	v_lshl_add_u32 v12, v12, 10, v61
	v_lshlrev_b32_e32 v14, 7, v14
	v_and_or_b32 v12, v15, s23, v12
	v_and_or_b32 v12, v14, s24, v12
	v_cvt_f32_f16_e32 v12, v12
.LBB286_1288:                           ;   in Loop: Header=BB286_1064 Depth=1
	s_or_b64 exec, exec, s[8:9]
	v_lshrrev_b16_e32 v16, 8, v16
	v_cmp_lt_i16_e64 s[2:3], s17, v16
	s_mov_b64 s[8:9], 0
                                        ; implicit-def: $sgpr28
	s_and_saveexec_b64 s[18:19], s[2:3]
	s_xor_b64 s[18:19], exec, s[18:19]
	s_cbranch_execnz .LBB286_1820
; %bb.1289:                             ;   in Loop: Header=BB286_1064 Depth=1
	s_or_saveexec_b64 s[18:19], s[18:19]
	v_mov_b32_e32 v14, s28
	s_xor_b64 exec, exec, s[18:19]
	s_cbranch_execnz .LBB286_1823
.LBB286_1290:                           ;   in Loop: Header=BB286_1064 Depth=1
	s_or_b64 exec, exec, s[18:19]
	s_and_saveexec_b64 s[18:19], s[8:9]
	s_cbranch_execz .LBB286_1292
.LBB286_1291:                           ;   in Loop: Header=BB286_1064 Depth=1
	v_and_b32_e32 v18, 7, v16
	v_ffbh_u32_e32 v14, v18
	v_min_u32_e32 v23, 32, v14
	v_subrev_u32_e32 v14, 28, v23
	v_bfe_u32 v22, v16, 3, 4
	v_lshlrev_b64 v[14:15], v14, v[16:17]
	v_sub_u32_e32 v15, 29, v23
	v_cmp_eq_u32_e64 s[2:3], 0, v22
	v_and_b32_e32 v14, 7, v14
	v_lshlrev_b32_e32 v16, 8, v16
	v_cndmask_b32_e64 v15, v22, v15, s[2:3]
	v_lshl_add_u32 v15, v15, 10, v61
	v_cndmask_b32_e64 v14, v18, v14, s[2:3]
	v_and_or_b32 v15, v16, s23, v15
	v_lshl_or_b32 v14, v14, 7, v15
	v_cvt_f32_f16_e32 v14, v14
.LBB286_1292:                           ;   in Loop: Header=BB286_1064 Depth=1
	s_or_b64 exec, exec, s[18:19]
	v_lshrrev_b32_e32 v16, 16, v47
	v_cmp_gt_i16_sdwa s[8:9], v16, s17 src0_sel:BYTE_0 src1_sel:DWORD
	s_mov_b64 s[2:3], 0
                                        ; implicit-def: $sgpr20
	s_and_saveexec_b64 s[18:19], s[8:9]
	s_xor_b64 s[8:9], exec, s[18:19]
	s_cbranch_execnz .LBB286_1824
; %bb.1293:                             ;   in Loop: Header=BB286_1064 Depth=1
	s_or_saveexec_b64 s[8:9], s[8:9]
	v_mov_b32_e32 v15, s20
	s_xor_b64 exec, exec, s[8:9]
	s_cbranch_execnz .LBB286_1827
.LBB286_1294:                           ;   in Loop: Header=BB286_1064 Depth=1
	s_or_b64 exec, exec, s[8:9]
	s_and_saveexec_b64 s[8:9], s[2:3]
	s_cbranch_execz .LBB286_1296
.LBB286_1295:                           ;   in Loop: Header=BB286_1064 Depth=1
	v_bfe_u32 v15, v47, 16, 3
	v_ffbh_u32_e32 v22, v15
	v_min_u32_e32 v49, 32, v22
	v_subrev_u32_e32 v22, 28, v49
	v_bfe_u32 v18, v47, 19, 4
	v_lshlrev_b64 v[22:23], v22, v[16:17]
	v_sub_u32_e32 v23, 29, v49
	v_cmp_eq_u32_e64 s[2:3], 0, v18
	v_and_b32_e32 v22, 7, v22
	v_lshlrev_b32_e32 v16, 8, v16
	v_cndmask_b32_e64 v18, v18, v23, s[2:3]
	v_lshl_add_u32 v18, v18, 10, v61
	v_cndmask_b32_e64 v15, v15, v22, s[2:3]
	v_and_or_b32 v16, v16, s23, v18
	v_lshl_or_b32 v15, v15, 7, v16
	v_cvt_f32_f16_e32 v15, v15
.LBB286_1296:                           ;   in Loop: Header=BB286_1064 Depth=1
	s_or_b64 exec, exec, s[8:9]
	v_lshrrev_b32_e32 v16, 24, v47
	v_cmp_lt_i16_e64 s[2:3], s17, v16
	s_mov_b64 s[8:9], 0
                                        ; implicit-def: $sgpr28
	s_and_saveexec_b64 s[18:19], s[2:3]
	s_xor_b64 s[18:19], exec, s[18:19]
	s_cbranch_execnz .LBB286_1828
; %bb.1297:                             ;   in Loop: Header=BB286_1064 Depth=1
	s_or_saveexec_b64 s[18:19], s[18:19]
	v_mov_b32_e32 v23, s28
	s_xor_b64 exec, exec, s[18:19]
	s_cbranch_execnz .LBB286_1831
.LBB286_1298:                           ;   in Loop: Header=BB286_1064 Depth=1
	s_or_b64 exec, exec, s[18:19]
	s_and_saveexec_b64 s[18:19], s[8:9]
	s_cbranch_execz .LBB286_1300
.LBB286_1299:                           ;   in Loop: Header=BB286_1064 Depth=1
	v_bfe_u32 v18, v47, 24, 3
	v_ffbh_u32_e32 v22, v18
	v_min_u32_e32 v50, 32, v22
	v_subrev_u32_e32 v22, 28, v50
	v_bfe_u32 v49, v47, 27, 4
	v_lshlrev_b64 v[22:23], v22, v[16:17]
	v_sub_u32_e32 v23, 29, v50
	v_cmp_eq_u32_e64 s[2:3], 0, v49
	v_and_b32_e32 v22, 7, v22
	v_lshlrev_b32_e32 v16, 8, v16
	v_cndmask_b32_e64 v23, v49, v23, s[2:3]
	v_cndmask_b32_e64 v18, v18, v22, s[2:3]
	v_lshl_add_u32 v22, v23, 10, v61
	v_and_or_b32 v16, v16, s23, v22
	v_lshl_or_b32 v16, v18, 7, v16
	v_cvt_f32_f16_e32 v23, v16
.LBB286_1300:                           ;   in Loop: Header=BB286_1064 Depth=1
	s_or_b64 exec, exec, s[18:19]
	s_waitcnt vmcnt(0) lgkmcnt(0)
	v_pk_mul_f32 v[50:51], v[44:45], v[58:59] op_sel_hi:[0,1]
	v_pk_mul_f32 v[52:53], v[44:45], v[56:57] op_sel_hi:[0,1]
	v_cvt_f16_f32_e32 v16, v51
	v_cvt_f16_f32_e32 v18, v50
	;; [unrolled: 1-line block ×4, first 2 shown]
	v_fma_mixlo_f16 v14, v44, v14, 0
	v_lshlrev_b32_e32 v14, 16, v14
	v_fma_mixlo_f16 v12, v44, v12, 0
	v_or_b32_sdwa v12, v14, v12 dst_sel:DWORD dst_unused:UNUSED_PAD src0_sel:DWORD src1_sel:WORD_0
	v_fma_mixlo_f16 v14, v44, v23, 0
	v_pack_b32_f16 v18, v18, v16
	v_pack_b32_f16 v22, v49, v22
	v_fma_mixlo_f16 v15, v44, v15, 0
	v_lshlrev_b32_e32 v14, 16, v14
	v_perm_b32 v16, v22, v18, s25
	v_perm_b32 v22, v22, v18, s26
	v_or_b32_sdwa v14, v14, v15 dst_sel:DWORD dst_unused:UNUSED_PAD src0_sel:DWORD src1_sel:WORD_0
	s_and_saveexec_b64 s[8:9], vcc
	s_cbranch_execz .LBB286_1302
; %bb.1301:                             ;   in Loop: Header=BB286_1064 Depth=1
	scratch_load_dwordx2 v[50:51], off, s32 offset:196 ; 8-byte Folded Reload
	v_lshrrev_b32_e32 v18, 16, v22
	v_cmp_lt_i32_e64 s[2:3], v48, v13
	v_lshrrev_b32_e32 v14, 16, v14
	s_nop 0
	v_cndmask_b32_e64 v18, 0, v18, s[2:3]
	s_waitcnt vmcnt(0)
	v_cmp_lt_i32_e64 s[2:3], v60, v50
	s_nop 1
	v_cndmask_b32_e64 v22, 0, v22, s[2:3]
	v_perm_b32 v22, v18, v22, s27
	v_lshrrev_b32_e32 v18, 16, v16
	v_cmp_lt_i32_e64 s[2:3], v39, v13
	s_nop 1
	v_cndmask_b32_e64 v18, 0, v18, s[2:3]
	v_cmp_lt_i32_e64 s[2:3], v38, v50
	s_nop 1
	v_cndmask_b32_e64 v16, 0, v16, s[2:3]
	v_perm_b32 v16, v18, v16, s27
	v_lshrrev_b32_e32 v18, 16, v12
	v_cmp_lt_i32_e64 s[2:3], v7, v13
	s_nop 1
	v_cndmask_b32_e64 v18, 0, v18, s[2:3]
	v_cmp_lt_i32_e64 s[2:3], v6, v50
	s_nop 1
	v_cndmask_b32_e64 v12, 0, v12, s[2:3]
	v_cmp_lt_i32_e64 s[2:3], v19, v13
	v_perm_b32 v12, v18, v12, s27
	s_nop 0
	v_cndmask_b32_e64 v14, 0, v14, s[2:3]
	v_cmp_lt_i32_e64 s[2:3], v1, v50
	s_nop 1
	v_cndmask_b32_e64 v15, 0, v15, s[2:3]
	v_perm_b32 v14, v14, v15, s27
.LBB286_1302:                           ;   in Loop: Header=BB286_1064 Depth=1
	s_or_b64 exec, exec, s[8:9]
	;;#ASMSTART
	v_pk_mul_f16 v15, v34, v22;

	;;#ASMEND
	;;#ASMSTART
	v_pk_mul_f16 v16, v35, v16;

	;;#ASMEND
	;; [unrolled: 4-line block ×4, first 2 shown]
	s_mov_b64 s[2:3], 0
	;;#ASMSTART
	v_pk_add_f16 v15, v15, v16;

	;;#ASMEND
                                        ; implicit-def: $sgpr20
	s_nop 0
	;;#ASMSTART
	v_pk_add_f16 v12, v15, v12;

	;;#ASMEND
	s_nop 0
	;;#ASMSTART
	v_pk_add_f16 v12, v12, v14;

	;;#ASMEND
	s_nop 0
	v_lshrrev_b32_e32 v14, 16, v12
	v_and_b32_e32 v12, 0xffff, v12
	;;#ASMSTART
	v_cvt_f32_f16 v12, v12;
	;;#ASMEND
	s_nop 0
	v_accvgpr_write_b32 a46, v12
	;;#ASMSTART
	v_cvt_f32_f16 v12, v14;
	;;#ASMEND
	flat_load_dwordx2 v[44:45], v[42:43] offset:3584
	scratch_load_dwordx2 v[14:15], off, s32 offset:188 ; 8-byte Folded Reload
	v_accvgpr_write_b32 a47, v12
	s_waitcnt vmcnt(0) lgkmcnt(0)
	v_cmp_gt_i16_sdwa s[8:9], v44, s17 src0_sel:BYTE_0 src1_sel:DWORD
	flat_load_dword v42, v[14:15]
	s_and_saveexec_b64 s[18:19], s[8:9]
	s_xor_b64 s[8:9], exec, s[18:19]
	s_cbranch_execnz .LBB286_1832
; %bb.1303:                             ;   in Loop: Header=BB286_1064 Depth=1
	s_or_saveexec_b64 s[8:9], s[8:9]
	v_mov_b32_e32 v46, s20
	s_xor_b64 exec, exec, s[8:9]
	s_cbranch_execnz .LBB286_1835
.LBB286_1304:                           ;   in Loop: Header=BB286_1064 Depth=1
	s_or_b64 exec, exec, s[8:9]
	s_and_saveexec_b64 s[8:9], s[2:3]
	s_cbranch_execz .LBB286_1306
.LBB286_1305:                           ;   in Loop: Header=BB286_1064 Depth=1
	v_and_b32_e32 v12, 7, v44
	v_ffbh_u32_e32 v12, v12
	v_bfe_u32 v14, v44, 3, 4
	v_min_u32_e32 v12, 32, v12
	v_subrev_u32_e32 v15, 28, v12
	v_sub_u32_e32 v12, 29, v12
	v_cmp_eq_u32_e64 s[2:3], 0, v14
	s_nop 1
	v_cndmask_b32_e64 v12, v14, v12, s[2:3]
	v_cndmask_b32_e64 v14, 0, v15, s[2:3]
	v_lshlrev_b64 v[14:15], v14, v[44:45]
	v_lshlrev_b32_e32 v15, 8, v44
	v_lshl_add_u32 v12, v12, 10, v61
	v_lshlrev_b32_e32 v14, 7, v14
	v_and_or_b32 v12, v15, s23, v12
	v_and_or_b32 v12, v14, s24, v12
	v_cvt_f32_f16_e32 v46, v12
.LBB286_1306:                           ;   in Loop: Header=BB286_1064 Depth=1
	s_or_b64 exec, exec, s[8:9]
	v_lshrrev_b16_e32 v16, 8, v44
	v_cmp_lt_i16_e64 s[2:3], s17, v16
	s_mov_b64 s[8:9], 0
                                        ; implicit-def: $sgpr28
	s_and_saveexec_b64 s[18:19], s[2:3]
	s_xor_b64 s[18:19], exec, s[18:19]
	s_cbranch_execnz .LBB286_1836
; %bb.1307:                             ;   in Loop: Header=BB286_1064 Depth=1
	s_or_saveexec_b64 s[18:19], s[18:19]
	v_mov_b32_e32 v56, s28
	s_xor_b64 exec, exec, s[18:19]
	s_cbranch_execnz .LBB286_1839
.LBB286_1308:                           ;   in Loop: Header=BB286_1064 Depth=1
	s_or_b64 exec, exec, s[18:19]
	s_and_saveexec_b64 s[18:19], s[8:9]
	s_cbranch_execz .LBB286_1310
.LBB286_1309:                           ;   in Loop: Header=BB286_1064 Depth=1
	v_and_b32_e32 v12, 7, v16
	v_ffbh_u32_e32 v14, v12
	v_min_u32_e32 v22, 32, v14
	v_subrev_u32_e32 v14, 28, v22
	v_bfe_u32 v18, v16, 3, 4
	v_lshlrev_b64 v[14:15], v14, v[16:17]
	v_sub_u32_e32 v15, 29, v22
	v_cmp_eq_u32_e64 s[2:3], 0, v18
	v_and_b32_e32 v14, 7, v14
	s_nop 0
	v_cndmask_b32_e64 v15, v18, v15, s[2:3]
	v_cndmask_b32_e64 v12, v12, v14, s[2:3]
	v_lshlrev_b32_e32 v14, 8, v16
	v_lshl_add_u32 v15, v15, 10, v61
	v_and_or_b32 v14, v14, s23, v15
	v_lshl_or_b32 v12, v12, 7, v14
	v_cvt_f32_f16_e32 v56, v12
.LBB286_1310:                           ;   in Loop: Header=BB286_1064 Depth=1
	s_or_b64 exec, exec, s[18:19]
	v_lshrrev_b32_e32 v16, 16, v44
	v_cmp_gt_i16_sdwa s[8:9], v16, s17 src0_sel:BYTE_0 src1_sel:DWORD
	s_mov_b64 s[2:3], 0
                                        ; implicit-def: $sgpr20
	s_and_saveexec_b64 s[18:19], s[8:9]
	s_xor_b64 s[8:9], exec, s[18:19]
	s_cbranch_execnz .LBB286_1840
; %bb.1311:                             ;   in Loop: Header=BB286_1064 Depth=1
	s_or_saveexec_b64 s[8:9], s[8:9]
	v_mov_b32_e32 v47, s20
	s_xor_b64 exec, exec, s[8:9]
	s_cbranch_execnz .LBB286_1843
.LBB286_1312:                           ;   in Loop: Header=BB286_1064 Depth=1
	s_or_b64 exec, exec, s[8:9]
	s_and_saveexec_b64 s[8:9], s[2:3]
	s_cbranch_execz .LBB286_1314
.LBB286_1313:                           ;   in Loop: Header=BB286_1064 Depth=1
	v_bfe_u32 v12, v44, 16, 3
	v_ffbh_u32_e32 v14, v12
	v_min_u32_e32 v22, 32, v14
	v_subrev_u32_e32 v14, 28, v22
	v_bfe_u32 v18, v44, 19, 4
	v_lshlrev_b64 v[14:15], v14, v[16:17]
	v_sub_u32_e32 v15, 29, v22
	v_cmp_eq_u32_e64 s[2:3], 0, v18
	v_and_b32_e32 v14, 7, v14
	s_nop 0
	v_cndmask_b32_e64 v15, v18, v15, s[2:3]
	v_cndmask_b32_e64 v12, v12, v14, s[2:3]
	v_lshlrev_b32_e32 v14, 8, v16
	v_lshl_add_u32 v15, v15, 10, v61
	v_and_or_b32 v14, v14, s23, v15
	v_lshl_or_b32 v12, v12, 7, v14
	v_cvt_f32_f16_e32 v47, v12
.LBB286_1314:                           ;   in Loop: Header=BB286_1064 Depth=1
	s_or_b64 exec, exec, s[8:9]
	v_lshrrev_b32_e32 v16, 24, v44
	v_cmp_lt_i16_e64 s[2:3], s17, v16
	s_mov_b64 s[8:9], 0
                                        ; implicit-def: $sgpr28
	s_and_saveexec_b64 s[18:19], s[2:3]
	s_xor_b64 s[18:19], exec, s[18:19]
	s_cbranch_execnz .LBB286_1844
; %bb.1315:                             ;   in Loop: Header=BB286_1064 Depth=1
	s_or_saveexec_b64 s[18:19], s[18:19]
	v_mov_b32_e32 v57, s28
	s_xor_b64 exec, exec, s[18:19]
	s_cbranch_execnz .LBB286_1847
.LBB286_1316:                           ;   in Loop: Header=BB286_1064 Depth=1
	s_or_b64 exec, exec, s[18:19]
	s_and_saveexec_b64 s[18:19], s[8:9]
	s_cbranch_execz .LBB286_1318
.LBB286_1317:                           ;   in Loop: Header=BB286_1064 Depth=1
	v_bfe_u32 v12, v44, 24, 3
	v_ffbh_u32_e32 v14, v12
	v_min_u32_e32 v22, 32, v14
	v_subrev_u32_e32 v14, 28, v22
	v_bfe_u32 v18, v44, 27, 4
	v_lshlrev_b64 v[14:15], v14, v[16:17]
	v_sub_u32_e32 v15, 29, v22
	v_cmp_eq_u32_e64 s[2:3], 0, v18
	v_and_b32_e32 v14, 7, v14
	s_nop 0
	v_cndmask_b32_e64 v15, v18, v15, s[2:3]
	v_cndmask_b32_e64 v12, v12, v14, s[2:3]
	v_lshlrev_b32_e32 v14, 8, v16
	v_lshl_add_u32 v15, v15, 10, v61
	v_and_or_b32 v14, v14, s23, v15
	v_lshl_or_b32 v12, v12, 7, v14
	v_cvt_f32_f16_e32 v57, v12
.LBB286_1318:                           ;   in Loop: Header=BB286_1064 Depth=1
	s_or_b64 exec, exec, s[18:19]
	v_cmp_gt_i16_sdwa s[8:9], v45, s17 src0_sel:BYTE_0 src1_sel:DWORD
	s_mov_b64 s[2:3], 0
                                        ; implicit-def: $sgpr20
	s_and_saveexec_b64 s[18:19], s[8:9]
	s_xor_b64 s[8:9], exec, s[18:19]
	s_cbranch_execnz .LBB286_1848
; %bb.1319:                             ;   in Loop: Header=BB286_1064 Depth=1
	s_or_saveexec_b64 s[8:9], s[8:9]
	v_mov_b32_e32 v12, s20
	s_xor_b64 exec, exec, s[8:9]
	s_cbranch_execnz .LBB286_1851
.LBB286_1320:                           ;   in Loop: Header=BB286_1064 Depth=1
	s_or_b64 exec, exec, s[8:9]
	v_mov_b32_e32 v16, v45
	s_and_saveexec_b64 s[8:9], s[2:3]
	s_cbranch_execz .LBB286_1322
.LBB286_1321:                           ;   in Loop: Header=BB286_1064 Depth=1
	v_and_b32_e32 v12, 7, v45
	v_ffbh_u32_e32 v12, v12
	v_bfe_u32 v14, v45, 3, 4
	v_min_u32_e32 v12, 32, v12
	v_subrev_u32_e32 v15, 28, v12
	v_sub_u32_e32 v12, 29, v12
	v_cmp_eq_u32_e64 s[2:3], 0, v14
	s_nop 1
	v_cndmask_b32_e64 v12, v14, v12, s[2:3]
	v_cndmask_b32_e64 v14, 0, v15, s[2:3]
	v_lshlrev_b64 v[14:15], v14, v[16:17]
	v_lshlrev_b32_e32 v15, 8, v45
	v_lshl_add_u32 v12, v12, 10, v61
	v_lshlrev_b32_e32 v14, 7, v14
	v_and_or_b32 v12, v15, s23, v12
	v_and_or_b32 v12, v14, s24, v12
	v_cvt_f32_f16_e32 v12, v12
.LBB286_1322:                           ;   in Loop: Header=BB286_1064 Depth=1
	s_or_b64 exec, exec, s[8:9]
	v_lshrrev_b16_e32 v16, 8, v16
	v_cmp_lt_i16_e64 s[2:3], s17, v16
	s_mov_b64 s[8:9], 0
                                        ; implicit-def: $sgpr28
	s_and_saveexec_b64 s[18:19], s[2:3]
	s_xor_b64 s[18:19], exec, s[18:19]
	s_cbranch_execnz .LBB286_1852
; %bb.1323:                             ;   in Loop: Header=BB286_1064 Depth=1
	s_or_saveexec_b64 s[18:19], s[18:19]
	v_mov_b32_e32 v14, s28
	s_xor_b64 exec, exec, s[18:19]
	s_cbranch_execnz .LBB286_1855
.LBB286_1324:                           ;   in Loop: Header=BB286_1064 Depth=1
	s_or_b64 exec, exec, s[18:19]
	s_and_saveexec_b64 s[18:19], s[8:9]
	s_cbranch_execz .LBB286_1326
.LBB286_1325:                           ;   in Loop: Header=BB286_1064 Depth=1
	v_and_b32_e32 v18, 7, v16
	v_ffbh_u32_e32 v14, v18
	v_min_u32_e32 v23, 32, v14
	v_subrev_u32_e32 v14, 28, v23
	v_bfe_u32 v22, v16, 3, 4
	v_lshlrev_b64 v[14:15], v14, v[16:17]
	v_sub_u32_e32 v15, 29, v23
	v_cmp_eq_u32_e64 s[2:3], 0, v22
	v_and_b32_e32 v14, 7, v14
	v_lshlrev_b32_e32 v16, 8, v16
	v_cndmask_b32_e64 v15, v22, v15, s[2:3]
	v_lshl_add_u32 v15, v15, 10, v61
	v_cndmask_b32_e64 v14, v18, v14, s[2:3]
	v_and_or_b32 v15, v16, s23, v15
	v_lshl_or_b32 v14, v14, 7, v15
	v_cvt_f32_f16_e32 v14, v14
.LBB286_1326:                           ;   in Loop: Header=BB286_1064 Depth=1
	s_or_b64 exec, exec, s[18:19]
	v_lshrrev_b32_e32 v16, 16, v45
	v_cmp_gt_i16_sdwa s[8:9], v16, s17 src0_sel:BYTE_0 src1_sel:DWORD
	s_mov_b64 s[2:3], 0
                                        ; implicit-def: $sgpr20
	s_and_saveexec_b64 s[18:19], s[8:9]
	s_xor_b64 s[8:9], exec, s[18:19]
	s_cbranch_execnz .LBB286_1856
; %bb.1327:                             ;   in Loop: Header=BB286_1064 Depth=1
	s_or_saveexec_b64 s[8:9], s[8:9]
	v_mov_b32_e32 v15, s20
	s_xor_b64 exec, exec, s[8:9]
	s_cbranch_execnz .LBB286_1859
.LBB286_1328:                           ;   in Loop: Header=BB286_1064 Depth=1
	s_or_b64 exec, exec, s[8:9]
	s_and_saveexec_b64 s[8:9], s[2:3]
	s_cbranch_execz .LBB286_1330
.LBB286_1329:                           ;   in Loop: Header=BB286_1064 Depth=1
	v_bfe_u32 v15, v45, 16, 3
	v_ffbh_u32_e32 v22, v15
	v_min_u32_e32 v49, 32, v22
	v_subrev_u32_e32 v22, 28, v49
	v_bfe_u32 v18, v45, 19, 4
	v_lshlrev_b64 v[22:23], v22, v[16:17]
	v_sub_u32_e32 v23, 29, v49
	v_cmp_eq_u32_e64 s[2:3], 0, v18
	v_and_b32_e32 v22, 7, v22
	v_lshlrev_b32_e32 v16, 8, v16
	v_cndmask_b32_e64 v18, v18, v23, s[2:3]
	v_lshl_add_u32 v18, v18, 10, v61
	v_cndmask_b32_e64 v15, v15, v22, s[2:3]
	v_and_or_b32 v16, v16, s23, v18
	v_lshl_or_b32 v15, v15, 7, v16
	v_cvt_f32_f16_e32 v15, v15
.LBB286_1330:                           ;   in Loop: Header=BB286_1064 Depth=1
	s_or_b64 exec, exec, s[8:9]
	v_lshrrev_b32_e32 v16, 24, v45
	v_cmp_lt_i16_e64 s[2:3], s17, v16
	s_mov_b64 s[8:9], 0
                                        ; implicit-def: $sgpr28
	s_and_saveexec_b64 s[18:19], s[2:3]
	s_xor_b64 s[18:19], exec, s[18:19]
	s_cbranch_execnz .LBB286_1860
; %bb.1331:                             ;   in Loop: Header=BB286_1064 Depth=1
	s_or_saveexec_b64 s[18:19], s[18:19]
	v_mov_b32_e32 v23, s28
	s_xor_b64 exec, exec, s[18:19]
	s_cbranch_execnz .LBB286_1863
.LBB286_1332:                           ;   in Loop: Header=BB286_1064 Depth=1
	s_or_b64 exec, exec, s[18:19]
	s_and_saveexec_b64 s[18:19], s[8:9]
	s_cbranch_execz .LBB286_1334
.LBB286_1333:                           ;   in Loop: Header=BB286_1064 Depth=1
	v_bfe_u32 v18, v45, 24, 3
	v_ffbh_u32_e32 v22, v18
	v_min_u32_e32 v50, 32, v22
	v_subrev_u32_e32 v22, 28, v50
	v_bfe_u32 v49, v45, 27, 4
	v_lshlrev_b64 v[22:23], v22, v[16:17]
	v_sub_u32_e32 v23, 29, v50
	v_cmp_eq_u32_e64 s[2:3], 0, v49
	v_and_b32_e32 v22, 7, v22
	v_lshlrev_b32_e32 v16, 8, v16
	v_cndmask_b32_e64 v23, v49, v23, s[2:3]
	v_cndmask_b32_e64 v18, v18, v22, s[2:3]
	v_lshl_add_u32 v22, v23, 10, v61
	v_and_or_b32 v16, v16, s23, v22
	v_lshl_or_b32 v16, v18, 7, v16
	v_cvt_f32_f16_e32 v23, v16
.LBB286_1334:                           ;   in Loop: Header=BB286_1064 Depth=1
	s_or_b64 exec, exec, s[18:19]
	s_waitcnt vmcnt(0) lgkmcnt(0)
	v_pk_mul_f32 v[50:51], v[42:43], v[56:57] op_sel_hi:[0,1]
	v_pk_mul_f32 v[52:53], v[42:43], v[46:47] op_sel_hi:[0,1]
	v_cvt_f16_f32_e32 v16, v51
	v_cvt_f16_f32_e32 v18, v50
	;; [unrolled: 1-line block ×4, first 2 shown]
	v_fma_mixlo_f16 v14, v42, v14, 0
	v_lshlrev_b32_e32 v14, 16, v14
	v_fma_mixlo_f16 v12, v42, v12, 0
	v_or_b32_sdwa v12, v14, v12 dst_sel:DWORD dst_unused:UNUSED_PAD src0_sel:DWORD src1_sel:WORD_0
	v_fma_mixlo_f16 v14, v42, v23, 0
	v_pack_b32_f16 v18, v18, v16
	v_pack_b32_f16 v22, v49, v22
	v_fma_mixlo_f16 v15, v42, v15, 0
	v_lshlrev_b32_e32 v14, 16, v14
	v_perm_b32 v16, v22, v18, s25
	v_perm_b32 v22, v22, v18, s26
	v_or_b32_sdwa v14, v14, v15 dst_sel:DWORD dst_unused:UNUSED_PAD src0_sel:DWORD src1_sel:WORD_0
	s_and_saveexec_b64 s[8:9], vcc
	s_cbranch_execz .LBB286_1336
; %bb.1335:                             ;   in Loop: Header=BB286_1064 Depth=1
	scratch_load_dwordx2 v[50:51], off, s32 offset:196 ; 8-byte Folded Reload
	v_lshrrev_b32_e32 v18, 16, v22
	v_cmp_lt_i32_e64 s[2:3], v48, v13
	v_lshrrev_b32_e32 v14, 16, v14
	s_nop 0
	v_cndmask_b32_e64 v18, 0, v18, s[2:3]
	s_waitcnt vmcnt(0)
	v_cmp_lt_i32_e64 s[2:3], v60, v50
	s_nop 1
	v_cndmask_b32_e64 v22, 0, v22, s[2:3]
	v_perm_b32 v22, v18, v22, s27
	v_lshrrev_b32_e32 v18, 16, v16
	v_cmp_lt_i32_e64 s[2:3], v39, v13
	s_nop 1
	v_cndmask_b32_e64 v18, 0, v18, s[2:3]
	v_cmp_lt_i32_e64 s[2:3], v38, v50
	s_nop 1
	v_cndmask_b32_e64 v16, 0, v16, s[2:3]
	v_perm_b32 v16, v18, v16, s27
	v_lshrrev_b32_e32 v18, 16, v12
	v_cmp_lt_i32_e64 s[2:3], v7, v13
	s_nop 1
	v_cndmask_b32_e64 v18, 0, v18, s[2:3]
	v_cmp_lt_i32_e64 s[2:3], v6, v50
	s_nop 1
	v_cndmask_b32_e64 v12, 0, v12, s[2:3]
	v_cmp_lt_i32_e64 s[2:3], v19, v13
	v_perm_b32 v12, v18, v12, s27
	s_nop 0
	v_cndmask_b32_e64 v14, 0, v14, s[2:3]
	v_cmp_lt_i32_e64 s[2:3], v1, v50
	s_nop 1
	v_cndmask_b32_e64 v15, 0, v15, s[2:3]
	v_perm_b32 v14, v14, v15, s27
.LBB286_1336:                           ;   in Loop: Header=BB286_1064 Depth=1
	s_or_b64 exec, exec, s[8:9]
	;;#ASMSTART
	v_pk_mul_f16 v15, v34, v22;

	;;#ASMEND
	;;#ASMSTART
	v_pk_mul_f16 v16, v35, v16;

	;;#ASMEND
	;; [unrolled: 4-line block ×4, first 2 shown]
	s_mov_b64 s[2:3], 0
	;;#ASMSTART
	v_pk_add_f16 v15, v15, v16;

	;;#ASMEND
                                        ; implicit-def: $sgpr20
	s_nop 0
	;;#ASMSTART
	v_pk_add_f16 v12, v15, v12;

	;;#ASMEND
	s_nop 0
	;;#ASMSTART
	v_pk_add_f16 v12, v12, v14;

	;;#ASMEND
	s_nop 0
	v_lshrrev_b32_e32 v14, 16, v12
	v_and_b32_e32 v12, 0xffff, v12
	;;#ASMSTART
	v_cvt_f32_f16 v12, v12;
	;;#ASMEND
	;;#ASMSTART
	v_cvt_f32_f16 v50, v14;
	;;#ASMEND
	v_accvgpr_read_b32 v14, a18
	v_accvgpr_read_b32 v15, a19
	v_lshl_add_u64 v[14:15], v[10:11], 0, v[14:15]
	flat_load_dwordx2 v[44:45], v[14:15]
	s_nop 0
	scratch_load_dwordx2 v[14:15], off, s32 offset:188 ; 8-byte Folded Reload
	v_accvgpr_write_b32 a48, v12
	s_waitcnt vmcnt(0) lgkmcnt(0)
	v_cmp_gt_i16_sdwa s[8:9], v44, s17 src0_sel:BYTE_0 src1_sel:DWORD
	flat_load_dword v42, v[14:15]
	s_and_saveexec_b64 s[18:19], s[8:9]
	s_xor_b64 s[8:9], exec, s[18:19]
	s_cbranch_execnz .LBB286_1864
; %bb.1337:                             ;   in Loop: Header=BB286_1064 Depth=1
	s_or_saveexec_b64 s[8:9], s[8:9]
	v_mov_b32_e32 v46, s20
	s_xor_b64 exec, exec, s[8:9]
	s_cbranch_execnz .LBB286_1867
.LBB286_1338:                           ;   in Loop: Header=BB286_1064 Depth=1
	s_or_b64 exec, exec, s[8:9]
	s_and_saveexec_b64 s[8:9], s[2:3]
	s_cbranch_execz .LBB286_1340
.LBB286_1339:                           ;   in Loop: Header=BB286_1064 Depth=1
	v_and_b32_e32 v12, 7, v44
	v_ffbh_u32_e32 v12, v12
	v_bfe_u32 v14, v44, 3, 4
	v_min_u32_e32 v12, 32, v12
	v_subrev_u32_e32 v15, 28, v12
	v_sub_u32_e32 v12, 29, v12
	v_cmp_eq_u32_e64 s[2:3], 0, v14
	s_nop 1
	v_cndmask_b32_e64 v12, v14, v12, s[2:3]
	v_cndmask_b32_e64 v14, 0, v15, s[2:3]
	v_lshlrev_b64 v[14:15], v14, v[44:45]
	v_lshlrev_b32_e32 v15, 8, v44
	v_lshl_add_u32 v12, v12, 10, v61
	v_lshlrev_b32_e32 v14, 7, v14
	v_and_or_b32 v12, v15, s23, v12
	v_and_or_b32 v12, v14, s24, v12
	v_cvt_f32_f16_e32 v46, v12
.LBB286_1340:                           ;   in Loop: Header=BB286_1064 Depth=1
	s_or_b64 exec, exec, s[8:9]
	v_lshrrev_b16_e32 v16, 8, v44
	v_cmp_lt_i16_e64 s[2:3], s17, v16
	s_mov_b64 s[8:9], 0
                                        ; implicit-def: $sgpr28
	s_and_saveexec_b64 s[18:19], s[2:3]
	s_xor_b64 s[18:19], exec, s[18:19]
	s_cbranch_execnz .LBB286_1868
; %bb.1341:                             ;   in Loop: Header=BB286_1064 Depth=1
	s_or_saveexec_b64 s[18:19], s[18:19]
	v_mov_b32_e32 v56, s28
	s_xor_b64 exec, exec, s[18:19]
	s_cbranch_execnz .LBB286_1871
.LBB286_1342:                           ;   in Loop: Header=BB286_1064 Depth=1
	s_or_b64 exec, exec, s[18:19]
	s_and_saveexec_b64 s[18:19], s[8:9]
	s_cbranch_execz .LBB286_1344
.LBB286_1343:                           ;   in Loop: Header=BB286_1064 Depth=1
	v_and_b32_e32 v12, 7, v16
	v_ffbh_u32_e32 v14, v12
	v_min_u32_e32 v22, 32, v14
	v_subrev_u32_e32 v14, 28, v22
	v_bfe_u32 v18, v16, 3, 4
	v_lshlrev_b64 v[14:15], v14, v[16:17]
	v_sub_u32_e32 v15, 29, v22
	v_cmp_eq_u32_e64 s[2:3], 0, v18
	v_and_b32_e32 v14, 7, v14
	s_nop 0
	v_cndmask_b32_e64 v15, v18, v15, s[2:3]
	v_cndmask_b32_e64 v12, v12, v14, s[2:3]
	v_lshlrev_b32_e32 v14, 8, v16
	v_lshl_add_u32 v15, v15, 10, v61
	v_and_or_b32 v14, v14, s23, v15
	v_lshl_or_b32 v12, v12, 7, v14
	v_cvt_f32_f16_e32 v56, v12
.LBB286_1344:                           ;   in Loop: Header=BB286_1064 Depth=1
	s_or_b64 exec, exec, s[18:19]
	v_lshrrev_b32_e32 v16, 16, v44
	v_cmp_gt_i16_sdwa s[8:9], v16, s17 src0_sel:BYTE_0 src1_sel:DWORD
	s_mov_b64 s[2:3], 0
                                        ; implicit-def: $sgpr20
	s_and_saveexec_b64 s[18:19], s[8:9]
	s_xor_b64 s[8:9], exec, s[18:19]
	s_cbranch_execnz .LBB286_1872
; %bb.1345:                             ;   in Loop: Header=BB286_1064 Depth=1
	s_or_saveexec_b64 s[8:9], s[8:9]
	v_mov_b32_e32 v47, s20
	s_xor_b64 exec, exec, s[8:9]
	s_cbranch_execnz .LBB286_1875
.LBB286_1346:                           ;   in Loop: Header=BB286_1064 Depth=1
	s_or_b64 exec, exec, s[8:9]
	s_and_saveexec_b64 s[8:9], s[2:3]
	s_cbranch_execz .LBB286_1348
.LBB286_1347:                           ;   in Loop: Header=BB286_1064 Depth=1
	v_bfe_u32 v12, v44, 16, 3
	v_ffbh_u32_e32 v14, v12
	v_min_u32_e32 v22, 32, v14
	v_subrev_u32_e32 v14, 28, v22
	v_bfe_u32 v18, v44, 19, 4
	v_lshlrev_b64 v[14:15], v14, v[16:17]
	v_sub_u32_e32 v15, 29, v22
	v_cmp_eq_u32_e64 s[2:3], 0, v18
	v_and_b32_e32 v14, 7, v14
	s_nop 0
	v_cndmask_b32_e64 v15, v18, v15, s[2:3]
	v_cndmask_b32_e64 v12, v12, v14, s[2:3]
	v_lshlrev_b32_e32 v14, 8, v16
	v_lshl_add_u32 v15, v15, 10, v61
	v_and_or_b32 v14, v14, s23, v15
	v_lshl_or_b32 v12, v12, 7, v14
	v_cvt_f32_f16_e32 v47, v12
.LBB286_1348:                           ;   in Loop: Header=BB286_1064 Depth=1
	s_or_b64 exec, exec, s[8:9]
	v_lshrrev_b32_e32 v16, 24, v44
	v_cmp_lt_i16_e64 s[2:3], s17, v16
	s_mov_b64 s[8:9], 0
                                        ; implicit-def: $sgpr28
	s_and_saveexec_b64 s[18:19], s[2:3]
	s_xor_b64 s[18:19], exec, s[18:19]
	s_cbranch_execnz .LBB286_1876
; %bb.1349:                             ;   in Loop: Header=BB286_1064 Depth=1
	s_or_saveexec_b64 s[18:19], s[18:19]
	v_mov_b32_e32 v57, s28
	s_xor_b64 exec, exec, s[18:19]
	s_cbranch_execnz .LBB286_1879
.LBB286_1350:                           ;   in Loop: Header=BB286_1064 Depth=1
	s_or_b64 exec, exec, s[18:19]
	s_and_saveexec_b64 s[18:19], s[8:9]
	s_cbranch_execz .LBB286_1352
.LBB286_1351:                           ;   in Loop: Header=BB286_1064 Depth=1
	v_bfe_u32 v12, v44, 24, 3
	v_ffbh_u32_e32 v14, v12
	v_min_u32_e32 v22, 32, v14
	v_subrev_u32_e32 v14, 28, v22
	v_bfe_u32 v18, v44, 27, 4
	v_lshlrev_b64 v[14:15], v14, v[16:17]
	v_sub_u32_e32 v15, 29, v22
	v_cmp_eq_u32_e64 s[2:3], 0, v18
	v_and_b32_e32 v14, 7, v14
	s_nop 0
	v_cndmask_b32_e64 v15, v18, v15, s[2:3]
	v_cndmask_b32_e64 v12, v12, v14, s[2:3]
	v_lshlrev_b32_e32 v14, 8, v16
	v_lshl_add_u32 v15, v15, 10, v61
	v_and_or_b32 v14, v14, s23, v15
	v_lshl_or_b32 v12, v12, 7, v14
	v_cvt_f32_f16_e32 v57, v12
.LBB286_1352:                           ;   in Loop: Header=BB286_1064 Depth=1
	s_or_b64 exec, exec, s[18:19]
	v_cmp_gt_i16_sdwa s[8:9], v45, s17 src0_sel:BYTE_0 src1_sel:DWORD
	s_mov_b64 s[2:3], 0
                                        ; implicit-def: $sgpr20
	s_and_saveexec_b64 s[18:19], s[8:9]
	s_xor_b64 s[8:9], exec, s[18:19]
	s_cbranch_execnz .LBB286_1880
; %bb.1353:                             ;   in Loop: Header=BB286_1064 Depth=1
	s_or_saveexec_b64 s[8:9], s[8:9]
	v_mov_b32_e32 v12, s20
	s_xor_b64 exec, exec, s[8:9]
	s_cbranch_execnz .LBB286_1883
.LBB286_1354:                           ;   in Loop: Header=BB286_1064 Depth=1
	s_or_b64 exec, exec, s[8:9]
	v_mov_b32_e32 v16, v45
	s_and_saveexec_b64 s[8:9], s[2:3]
	s_cbranch_execz .LBB286_1356
.LBB286_1355:                           ;   in Loop: Header=BB286_1064 Depth=1
	v_and_b32_e32 v12, 7, v45
	v_ffbh_u32_e32 v12, v12
	v_bfe_u32 v14, v45, 3, 4
	v_min_u32_e32 v12, 32, v12
	v_subrev_u32_e32 v15, 28, v12
	v_sub_u32_e32 v12, 29, v12
	v_cmp_eq_u32_e64 s[2:3], 0, v14
	s_nop 1
	v_cndmask_b32_e64 v12, v14, v12, s[2:3]
	v_cndmask_b32_e64 v14, 0, v15, s[2:3]
	v_lshlrev_b64 v[14:15], v14, v[16:17]
	v_lshlrev_b32_e32 v15, 8, v45
	v_lshl_add_u32 v12, v12, 10, v61
	v_lshlrev_b32_e32 v14, 7, v14
	v_and_or_b32 v12, v15, s23, v12
	v_and_or_b32 v12, v14, s24, v12
	v_cvt_f32_f16_e32 v12, v12
.LBB286_1356:                           ;   in Loop: Header=BB286_1064 Depth=1
	s_or_b64 exec, exec, s[8:9]
	v_lshrrev_b16_e32 v16, 8, v16
	v_cmp_lt_i16_e64 s[2:3], s17, v16
	s_mov_b64 s[8:9], 0
                                        ; implicit-def: $sgpr28
	s_and_saveexec_b64 s[18:19], s[2:3]
	s_xor_b64 s[18:19], exec, s[18:19]
	s_cbranch_execnz .LBB286_1884
; %bb.1357:                             ;   in Loop: Header=BB286_1064 Depth=1
	s_or_saveexec_b64 s[18:19], s[18:19]
	v_mov_b32_e32 v14, s28
	s_xor_b64 exec, exec, s[18:19]
	s_cbranch_execnz .LBB286_1887
.LBB286_1358:                           ;   in Loop: Header=BB286_1064 Depth=1
	s_or_b64 exec, exec, s[18:19]
	s_and_saveexec_b64 s[18:19], s[8:9]
	s_cbranch_execz .LBB286_1360
.LBB286_1359:                           ;   in Loop: Header=BB286_1064 Depth=1
	v_and_b32_e32 v18, 7, v16
	v_ffbh_u32_e32 v14, v18
	v_min_u32_e32 v23, 32, v14
	v_subrev_u32_e32 v14, 28, v23
	v_bfe_u32 v22, v16, 3, 4
	v_lshlrev_b64 v[14:15], v14, v[16:17]
	v_sub_u32_e32 v15, 29, v23
	v_cmp_eq_u32_e64 s[2:3], 0, v22
	v_and_b32_e32 v14, 7, v14
	v_lshlrev_b32_e32 v16, 8, v16
	v_cndmask_b32_e64 v15, v22, v15, s[2:3]
	v_lshl_add_u32 v15, v15, 10, v61
	v_cndmask_b32_e64 v14, v18, v14, s[2:3]
	v_and_or_b32 v15, v16, s23, v15
	v_lshl_or_b32 v14, v14, 7, v15
	v_cvt_f32_f16_e32 v14, v14
.LBB286_1360:                           ;   in Loop: Header=BB286_1064 Depth=1
	s_or_b64 exec, exec, s[18:19]
	v_lshrrev_b32_e32 v16, 16, v45
	v_cmp_gt_i16_sdwa s[8:9], v16, s17 src0_sel:BYTE_0 src1_sel:DWORD
	s_mov_b64 s[2:3], 0
                                        ; implicit-def: $sgpr20
	s_and_saveexec_b64 s[18:19], s[8:9]
	s_xor_b64 s[8:9], exec, s[18:19]
	s_cbranch_execnz .LBB286_1888
; %bb.1361:                             ;   in Loop: Header=BB286_1064 Depth=1
	s_or_saveexec_b64 s[8:9], s[8:9]
	v_mov_b32_e32 v15, s20
	s_xor_b64 exec, exec, s[8:9]
	s_cbranch_execnz .LBB286_1891
.LBB286_1362:                           ;   in Loop: Header=BB286_1064 Depth=1
	s_or_b64 exec, exec, s[8:9]
	s_and_saveexec_b64 s[8:9], s[2:3]
	s_cbranch_execz .LBB286_1364
.LBB286_1363:                           ;   in Loop: Header=BB286_1064 Depth=1
	v_bfe_u32 v15, v45, 16, 3
	v_ffbh_u32_e32 v22, v15
	v_min_u32_e32 v51, 32, v22
	v_subrev_u32_e32 v22, 28, v51
	v_bfe_u32 v18, v45, 19, 4
	v_lshlrev_b64 v[22:23], v22, v[16:17]
	v_sub_u32_e32 v23, 29, v51
	v_cmp_eq_u32_e64 s[2:3], 0, v18
	v_and_b32_e32 v22, 7, v22
	v_lshlrev_b32_e32 v16, 8, v16
	v_cndmask_b32_e64 v18, v18, v23, s[2:3]
	v_lshl_add_u32 v18, v18, 10, v61
	v_cndmask_b32_e64 v15, v15, v22, s[2:3]
	v_and_or_b32 v16, v16, s23, v18
	v_lshl_or_b32 v15, v15, 7, v16
	v_cvt_f32_f16_e32 v15, v15
.LBB286_1364:                           ;   in Loop: Header=BB286_1064 Depth=1
	s_or_b64 exec, exec, s[8:9]
	v_lshrrev_b32_e32 v16, 24, v45
	v_cmp_lt_i16_e64 s[2:3], s17, v16
	s_mov_b64 s[8:9], 0
                                        ; implicit-def: $sgpr28
	s_and_saveexec_b64 s[18:19], s[2:3]
	s_xor_b64 s[18:19], exec, s[18:19]
	s_cbranch_execnz .LBB286_1892
; %bb.1365:                             ;   in Loop: Header=BB286_1064 Depth=1
	s_or_saveexec_b64 s[18:19], s[18:19]
	v_mov_b32_e32 v23, s28
	s_xor_b64 exec, exec, s[18:19]
	s_cbranch_execnz .LBB286_1895
.LBB286_1366:                           ;   in Loop: Header=BB286_1064 Depth=1
	s_or_b64 exec, exec, s[18:19]
	s_and_saveexec_b64 s[18:19], s[8:9]
	s_cbranch_execz .LBB286_1368
.LBB286_1367:                           ;   in Loop: Header=BB286_1064 Depth=1
	v_bfe_u32 v18, v45, 24, 3
	v_ffbh_u32_e32 v22, v18
	v_min_u32_e32 v52, 32, v22
	v_subrev_u32_e32 v22, 28, v52
	v_bfe_u32 v51, v45, 27, 4
	v_lshlrev_b64 v[22:23], v22, v[16:17]
	v_sub_u32_e32 v23, 29, v52
	v_cmp_eq_u32_e64 s[2:3], 0, v51
	v_and_b32_e32 v22, 7, v22
	v_lshlrev_b32_e32 v16, 8, v16
	v_cndmask_b32_e64 v23, v51, v23, s[2:3]
	v_cndmask_b32_e64 v18, v18, v22, s[2:3]
	v_lshl_add_u32 v22, v23, 10, v61
	v_and_or_b32 v16, v16, s23, v22
	v_lshl_or_b32 v16, v18, 7, v16
	v_cvt_f32_f16_e32 v23, v16
.LBB286_1368:                           ;   in Loop: Header=BB286_1064 Depth=1
	s_or_b64 exec, exec, s[18:19]
	s_waitcnt vmcnt(0) lgkmcnt(0)
	v_pk_mul_f32 v[52:53], v[42:43], v[56:57] op_sel_hi:[0,1]
	v_pk_mul_f32 v[54:55], v[42:43], v[46:47] op_sel_hi:[0,1]
	v_cvt_f16_f32_e32 v16, v53
	v_cvt_f16_f32_e32 v18, v52
	;; [unrolled: 1-line block ×4, first 2 shown]
	v_fma_mixlo_f16 v14, v42, v14, 0
	v_lshlrev_b32_e32 v14, 16, v14
	v_fma_mixlo_f16 v12, v42, v12, 0
	v_or_b32_sdwa v12, v14, v12 dst_sel:DWORD dst_unused:UNUSED_PAD src0_sel:DWORD src1_sel:WORD_0
	v_fma_mixlo_f16 v14, v42, v23, 0
	v_pack_b32_f16 v18, v18, v16
	v_pack_b32_f16 v22, v51, v22
	v_fma_mixlo_f16 v15, v42, v15, 0
	v_lshlrev_b32_e32 v14, 16, v14
	v_perm_b32 v16, v22, v18, s25
	v_perm_b32 v22, v22, v18, s26
	v_or_b32_sdwa v14, v14, v15 dst_sel:DWORD dst_unused:UNUSED_PAD src0_sel:DWORD src1_sel:WORD_0
	s_and_saveexec_b64 s[8:9], vcc
	s_cbranch_execz .LBB286_1370
; %bb.1369:                             ;   in Loop: Header=BB286_1064 Depth=1
	scratch_load_dwordx2 v[52:53], off, s32 offset:196 ; 8-byte Folded Reload
	v_lshrrev_b32_e32 v18, 16, v22
	v_cmp_lt_i32_e64 s[2:3], v48, v13
	v_lshrrev_b32_e32 v14, 16, v14
	s_nop 0
	v_cndmask_b32_e64 v18, 0, v18, s[2:3]
	s_waitcnt vmcnt(0)
	v_cmp_lt_i32_e64 s[2:3], v60, v52
	s_nop 1
	v_cndmask_b32_e64 v22, 0, v22, s[2:3]
	v_perm_b32 v22, v18, v22, s27
	v_lshrrev_b32_e32 v18, 16, v16
	v_cmp_lt_i32_e64 s[2:3], v39, v13
	s_nop 1
	v_cndmask_b32_e64 v18, 0, v18, s[2:3]
	v_cmp_lt_i32_e64 s[2:3], v38, v52
	s_nop 1
	v_cndmask_b32_e64 v16, 0, v16, s[2:3]
	v_perm_b32 v16, v18, v16, s27
	v_lshrrev_b32_e32 v18, 16, v12
	v_cmp_lt_i32_e64 s[2:3], v7, v13
	s_nop 1
	v_cndmask_b32_e64 v18, 0, v18, s[2:3]
	v_cmp_lt_i32_e64 s[2:3], v6, v52
	s_nop 1
	v_cndmask_b32_e64 v12, 0, v12, s[2:3]
	v_cmp_lt_i32_e64 s[2:3], v19, v13
	v_perm_b32 v12, v18, v12, s27
	s_nop 0
	v_cndmask_b32_e64 v14, 0, v14, s[2:3]
	v_cmp_lt_i32_e64 s[2:3], v1, v52
	s_nop 1
	v_cndmask_b32_e64 v15, 0, v15, s[2:3]
	v_perm_b32 v14, v14, v15, s27
.LBB286_1370:                           ;   in Loop: Header=BB286_1064 Depth=1
	s_or_b64 exec, exec, s[8:9]
	;;#ASMSTART
	v_pk_mul_f16 v15, v34, v22;

	;;#ASMEND
	;;#ASMSTART
	v_pk_mul_f16 v16, v35, v16;

	;;#ASMEND
	;; [unrolled: 4-line block ×4, first 2 shown]
	s_mov_b64 s[2:3], 0
	;;#ASMSTART
	v_pk_add_f16 v15, v15, v16;

	;;#ASMEND
                                        ; implicit-def: $sgpr20
	s_nop 0
	;;#ASMSTART
	v_pk_add_f16 v12, v15, v12;

	;;#ASMEND
	s_nop 0
	;;#ASMSTART
	v_pk_add_f16 v12, v12, v14;

	;;#ASMEND
	s_nop 0
	v_lshrrev_b32_e32 v14, 16, v12
	v_and_b32_e32 v12, 0xffff, v12
	;;#ASMSTART
	v_cvt_f32_f16 v62, v12;
	;;#ASMEND
	;;#ASMSTART
	v_cvt_f32_f16 v51, v14;
	;;#ASMEND
	v_accvgpr_read_b32 v14, a20
	v_accvgpr_read_b32 v15, a21
	v_lshl_add_u64 v[14:15], v[10:11], 0, v[14:15]
	flat_load_dwordx2 v[44:45], v[14:15]
	s_nop 0
	scratch_load_dwordx2 v[14:15], off, s32 offset:188 ; 8-byte Folded Reload
	s_waitcnt vmcnt(0) lgkmcnt(0)
	v_cmp_gt_i16_sdwa s[8:9], v44, s17 src0_sel:BYTE_0 src1_sel:DWORD
	flat_load_dword v42, v[14:15]
	s_and_saveexec_b64 s[18:19], s[8:9]
	s_xor_b64 s[8:9], exec, s[18:19]
	s_cbranch_execnz .LBB286_1896
; %bb.1371:                             ;   in Loop: Header=BB286_1064 Depth=1
	s_or_saveexec_b64 s[8:9], s[8:9]
	v_mov_b32_e32 v46, s20
	s_xor_b64 exec, exec, s[8:9]
	s_cbranch_execnz .LBB286_1899
.LBB286_1372:                           ;   in Loop: Header=BB286_1064 Depth=1
	s_or_b64 exec, exec, s[8:9]
	s_and_saveexec_b64 s[8:9], s[2:3]
	s_cbranch_execz .LBB286_1374
.LBB286_1373:                           ;   in Loop: Header=BB286_1064 Depth=1
	v_and_b32_e32 v12, 7, v44
	v_ffbh_u32_e32 v12, v12
	v_bfe_u32 v14, v44, 3, 4
	v_min_u32_e32 v12, 32, v12
	v_subrev_u32_e32 v15, 28, v12
	v_sub_u32_e32 v12, 29, v12
	v_cmp_eq_u32_e64 s[2:3], 0, v14
	s_nop 1
	v_cndmask_b32_e64 v12, v14, v12, s[2:3]
	v_cndmask_b32_e64 v14, 0, v15, s[2:3]
	v_lshlrev_b64 v[14:15], v14, v[44:45]
	v_lshlrev_b32_e32 v15, 8, v44
	v_lshl_add_u32 v12, v12, 10, v61
	v_lshlrev_b32_e32 v14, 7, v14
	v_and_or_b32 v12, v15, s23, v12
	v_and_or_b32 v12, v14, s24, v12
	v_cvt_f32_f16_e32 v46, v12
.LBB286_1374:                           ;   in Loop: Header=BB286_1064 Depth=1
	s_or_b64 exec, exec, s[8:9]
	v_lshrrev_b16_e32 v16, 8, v44
	v_cmp_lt_i16_e64 s[2:3], s17, v16
	s_mov_b64 s[8:9], 0
                                        ; implicit-def: $sgpr28
	s_and_saveexec_b64 s[18:19], s[2:3]
	s_xor_b64 s[18:19], exec, s[18:19]
	s_cbranch_execnz .LBB286_1900
; %bb.1375:                             ;   in Loop: Header=BB286_1064 Depth=1
	s_or_saveexec_b64 s[18:19], s[18:19]
	v_mov_b32_e32 v56, s28
	s_xor_b64 exec, exec, s[18:19]
	s_cbranch_execnz .LBB286_1903
.LBB286_1376:                           ;   in Loop: Header=BB286_1064 Depth=1
	s_or_b64 exec, exec, s[18:19]
	s_and_saveexec_b64 s[18:19], s[8:9]
	s_cbranch_execz .LBB286_1378
.LBB286_1377:                           ;   in Loop: Header=BB286_1064 Depth=1
	v_and_b32_e32 v12, 7, v16
	v_ffbh_u32_e32 v14, v12
	v_min_u32_e32 v22, 32, v14
	v_subrev_u32_e32 v14, 28, v22
	v_bfe_u32 v18, v16, 3, 4
	v_lshlrev_b64 v[14:15], v14, v[16:17]
	v_sub_u32_e32 v15, 29, v22
	v_cmp_eq_u32_e64 s[2:3], 0, v18
	v_and_b32_e32 v14, 7, v14
	s_nop 0
	v_cndmask_b32_e64 v15, v18, v15, s[2:3]
	v_cndmask_b32_e64 v12, v12, v14, s[2:3]
	v_lshlrev_b32_e32 v14, 8, v16
	v_lshl_add_u32 v15, v15, 10, v61
	v_and_or_b32 v14, v14, s23, v15
	v_lshl_or_b32 v12, v12, 7, v14
	v_cvt_f32_f16_e32 v56, v12
.LBB286_1378:                           ;   in Loop: Header=BB286_1064 Depth=1
	s_or_b64 exec, exec, s[18:19]
	v_lshrrev_b32_e32 v16, 16, v44
	v_cmp_gt_i16_sdwa s[8:9], v16, s17 src0_sel:BYTE_0 src1_sel:DWORD
	s_mov_b64 s[2:3], 0
                                        ; implicit-def: $sgpr20
	s_and_saveexec_b64 s[18:19], s[8:9]
	s_xor_b64 s[8:9], exec, s[18:19]
	s_cbranch_execnz .LBB286_1904
; %bb.1379:                             ;   in Loop: Header=BB286_1064 Depth=1
	s_or_saveexec_b64 s[8:9], s[8:9]
	v_mov_b32_e32 v47, s20
	s_xor_b64 exec, exec, s[8:9]
	s_cbranch_execnz .LBB286_1907
.LBB286_1380:                           ;   in Loop: Header=BB286_1064 Depth=1
	s_or_b64 exec, exec, s[8:9]
	s_and_saveexec_b64 s[8:9], s[2:3]
	s_cbranch_execz .LBB286_1382
.LBB286_1381:                           ;   in Loop: Header=BB286_1064 Depth=1
	v_bfe_u32 v12, v44, 16, 3
	v_ffbh_u32_e32 v14, v12
	v_min_u32_e32 v22, 32, v14
	v_subrev_u32_e32 v14, 28, v22
	v_bfe_u32 v18, v44, 19, 4
	v_lshlrev_b64 v[14:15], v14, v[16:17]
	v_sub_u32_e32 v15, 29, v22
	v_cmp_eq_u32_e64 s[2:3], 0, v18
	v_and_b32_e32 v14, 7, v14
	s_nop 0
	v_cndmask_b32_e64 v15, v18, v15, s[2:3]
	v_cndmask_b32_e64 v12, v12, v14, s[2:3]
	v_lshlrev_b32_e32 v14, 8, v16
	v_lshl_add_u32 v15, v15, 10, v61
	v_and_or_b32 v14, v14, s23, v15
	v_lshl_or_b32 v12, v12, 7, v14
	v_cvt_f32_f16_e32 v47, v12
.LBB286_1382:                           ;   in Loop: Header=BB286_1064 Depth=1
	s_or_b64 exec, exec, s[8:9]
	v_lshrrev_b32_e32 v16, 24, v44
	v_cmp_lt_i16_e64 s[2:3], s17, v16
	s_mov_b64 s[8:9], 0
                                        ; implicit-def: $sgpr28
	s_and_saveexec_b64 s[18:19], s[2:3]
	s_xor_b64 s[18:19], exec, s[18:19]
	s_cbranch_execnz .LBB286_1908
; %bb.1383:                             ;   in Loop: Header=BB286_1064 Depth=1
	s_or_saveexec_b64 s[18:19], s[18:19]
	v_mov_b32_e32 v57, s28
	s_xor_b64 exec, exec, s[18:19]
	s_cbranch_execnz .LBB286_1911
.LBB286_1384:                           ;   in Loop: Header=BB286_1064 Depth=1
	s_or_b64 exec, exec, s[18:19]
	s_and_saveexec_b64 s[18:19], s[8:9]
	s_cbranch_execz .LBB286_1386
.LBB286_1385:                           ;   in Loop: Header=BB286_1064 Depth=1
	v_bfe_u32 v12, v44, 24, 3
	v_ffbh_u32_e32 v14, v12
	v_min_u32_e32 v22, 32, v14
	v_subrev_u32_e32 v14, 28, v22
	v_bfe_u32 v18, v44, 27, 4
	v_lshlrev_b64 v[14:15], v14, v[16:17]
	v_sub_u32_e32 v15, 29, v22
	v_cmp_eq_u32_e64 s[2:3], 0, v18
	v_and_b32_e32 v14, 7, v14
	s_nop 0
	v_cndmask_b32_e64 v15, v18, v15, s[2:3]
	v_cndmask_b32_e64 v12, v12, v14, s[2:3]
	v_lshlrev_b32_e32 v14, 8, v16
	v_lshl_add_u32 v15, v15, 10, v61
	v_and_or_b32 v14, v14, s23, v15
	v_lshl_or_b32 v12, v12, 7, v14
	v_cvt_f32_f16_e32 v57, v12
.LBB286_1386:                           ;   in Loop: Header=BB286_1064 Depth=1
	s_or_b64 exec, exec, s[18:19]
	v_cmp_gt_i16_sdwa s[8:9], v45, s17 src0_sel:BYTE_0 src1_sel:DWORD
	s_mov_b64 s[2:3], 0
                                        ; implicit-def: $sgpr20
	s_and_saveexec_b64 s[18:19], s[8:9]
	s_xor_b64 s[8:9], exec, s[18:19]
	s_cbranch_execnz .LBB286_1912
; %bb.1387:                             ;   in Loop: Header=BB286_1064 Depth=1
	s_or_saveexec_b64 s[8:9], s[8:9]
	v_mov_b32_e32 v12, s20
	s_xor_b64 exec, exec, s[8:9]
	s_cbranch_execnz .LBB286_1915
.LBB286_1388:                           ;   in Loop: Header=BB286_1064 Depth=1
	s_or_b64 exec, exec, s[8:9]
	v_mov_b32_e32 v16, v45
	s_and_saveexec_b64 s[8:9], s[2:3]
	s_cbranch_execz .LBB286_1390
.LBB286_1389:                           ;   in Loop: Header=BB286_1064 Depth=1
	v_and_b32_e32 v12, 7, v45
	v_ffbh_u32_e32 v12, v12
	v_bfe_u32 v14, v45, 3, 4
	v_min_u32_e32 v12, 32, v12
	v_subrev_u32_e32 v15, 28, v12
	v_sub_u32_e32 v12, 29, v12
	v_cmp_eq_u32_e64 s[2:3], 0, v14
	s_nop 1
	v_cndmask_b32_e64 v12, v14, v12, s[2:3]
	v_cndmask_b32_e64 v14, 0, v15, s[2:3]
	v_lshlrev_b64 v[14:15], v14, v[16:17]
	v_lshlrev_b32_e32 v15, 8, v45
	v_lshl_add_u32 v12, v12, 10, v61
	v_lshlrev_b32_e32 v14, 7, v14
	v_and_or_b32 v12, v15, s23, v12
	v_and_or_b32 v12, v14, s24, v12
	v_cvt_f32_f16_e32 v12, v12
.LBB286_1390:                           ;   in Loop: Header=BB286_1064 Depth=1
	s_or_b64 exec, exec, s[8:9]
	v_lshrrev_b16_e32 v16, 8, v16
	v_cmp_lt_i16_e64 s[2:3], s17, v16
	s_mov_b64 s[8:9], 0
                                        ; implicit-def: $sgpr28
	s_and_saveexec_b64 s[18:19], s[2:3]
	s_xor_b64 s[18:19], exec, s[18:19]
	s_cbranch_execnz .LBB286_1916
; %bb.1391:                             ;   in Loop: Header=BB286_1064 Depth=1
	s_or_saveexec_b64 s[18:19], s[18:19]
	v_mov_b32_e32 v14, s28
	s_xor_b64 exec, exec, s[18:19]
	s_cbranch_execnz .LBB286_1919
.LBB286_1392:                           ;   in Loop: Header=BB286_1064 Depth=1
	s_or_b64 exec, exec, s[18:19]
	s_and_saveexec_b64 s[18:19], s[8:9]
	s_cbranch_execz .LBB286_1394
.LBB286_1393:                           ;   in Loop: Header=BB286_1064 Depth=1
	v_and_b32_e32 v18, 7, v16
	v_ffbh_u32_e32 v14, v18
	v_min_u32_e32 v23, 32, v14
	v_subrev_u32_e32 v14, 28, v23
	v_bfe_u32 v22, v16, 3, 4
	v_lshlrev_b64 v[14:15], v14, v[16:17]
	v_sub_u32_e32 v15, 29, v23
	v_cmp_eq_u32_e64 s[2:3], 0, v22
	v_and_b32_e32 v14, 7, v14
	v_lshlrev_b32_e32 v16, 8, v16
	v_cndmask_b32_e64 v15, v22, v15, s[2:3]
	v_lshl_add_u32 v15, v15, 10, v61
	v_cndmask_b32_e64 v14, v18, v14, s[2:3]
	v_and_or_b32 v15, v16, s23, v15
	v_lshl_or_b32 v14, v14, 7, v15
	v_cvt_f32_f16_e32 v14, v14
.LBB286_1394:                           ;   in Loop: Header=BB286_1064 Depth=1
	s_or_b64 exec, exec, s[18:19]
	v_lshrrev_b32_e32 v16, 16, v45
	v_cmp_gt_i16_sdwa s[8:9], v16, s17 src0_sel:BYTE_0 src1_sel:DWORD
	s_mov_b64 s[2:3], 0
                                        ; implicit-def: $sgpr20
	s_and_saveexec_b64 s[18:19], s[8:9]
	s_xor_b64 s[8:9], exec, s[18:19]
	s_cbranch_execnz .LBB286_1920
; %bb.1395:                             ;   in Loop: Header=BB286_1064 Depth=1
	s_or_saveexec_b64 s[8:9], s[8:9]
	v_mov_b32_e32 v15, s20
	s_xor_b64 exec, exec, s[8:9]
	s_cbranch_execnz .LBB286_1923
.LBB286_1396:                           ;   in Loop: Header=BB286_1064 Depth=1
	s_or_b64 exec, exec, s[8:9]
	s_and_saveexec_b64 s[8:9], s[2:3]
	s_cbranch_execz .LBB286_1398
.LBB286_1397:                           ;   in Loop: Header=BB286_1064 Depth=1
	v_bfe_u32 v15, v45, 16, 3
	v_ffbh_u32_e32 v22, v15
	v_min_u32_e32 v52, 32, v22
	v_subrev_u32_e32 v22, 28, v52
	v_bfe_u32 v18, v45, 19, 4
	v_lshlrev_b64 v[22:23], v22, v[16:17]
	v_sub_u32_e32 v23, 29, v52
	v_cmp_eq_u32_e64 s[2:3], 0, v18
	v_and_b32_e32 v22, 7, v22
	v_lshlrev_b32_e32 v16, 8, v16
	v_cndmask_b32_e64 v18, v18, v23, s[2:3]
	v_lshl_add_u32 v18, v18, 10, v61
	v_cndmask_b32_e64 v15, v15, v22, s[2:3]
	v_and_or_b32 v16, v16, s23, v18
	v_lshl_or_b32 v15, v15, 7, v16
	v_cvt_f32_f16_e32 v15, v15
.LBB286_1398:                           ;   in Loop: Header=BB286_1064 Depth=1
	s_or_b64 exec, exec, s[8:9]
	v_lshrrev_b32_e32 v16, 24, v45
	v_cmp_lt_i16_e64 s[2:3], s17, v16
	s_mov_b64 s[8:9], 0
                                        ; implicit-def: $sgpr28
	s_and_saveexec_b64 s[18:19], s[2:3]
	s_xor_b64 s[18:19], exec, s[18:19]
	s_cbranch_execnz .LBB286_1924
; %bb.1399:                             ;   in Loop: Header=BB286_1064 Depth=1
	s_or_saveexec_b64 s[18:19], s[18:19]
	v_mov_b32_e32 v23, s28
	s_xor_b64 exec, exec, s[18:19]
	s_cbranch_execnz .LBB286_1927
.LBB286_1400:                           ;   in Loop: Header=BB286_1064 Depth=1
	s_or_b64 exec, exec, s[18:19]
	s_and_saveexec_b64 s[18:19], s[8:9]
	s_cbranch_execz .LBB286_1402
.LBB286_1401:                           ;   in Loop: Header=BB286_1064 Depth=1
	v_bfe_u32 v18, v45, 24, 3
	v_ffbh_u32_e32 v22, v18
	v_min_u32_e32 v53, 32, v22
	v_subrev_u32_e32 v22, 28, v53
	v_bfe_u32 v52, v45, 27, 4
	v_lshlrev_b64 v[22:23], v22, v[16:17]
	v_sub_u32_e32 v23, 29, v53
	v_cmp_eq_u32_e64 s[2:3], 0, v52
	v_and_b32_e32 v22, 7, v22
	v_lshlrev_b32_e32 v16, 8, v16
	v_cndmask_b32_e64 v23, v52, v23, s[2:3]
	v_cndmask_b32_e64 v18, v18, v22, s[2:3]
	v_lshl_add_u32 v22, v23, 10, v61
	v_and_or_b32 v16, v16, s23, v22
	v_lshl_or_b32 v16, v18, 7, v16
	v_cvt_f32_f16_e32 v23, v16
.LBB286_1402:                           ;   in Loop: Header=BB286_1064 Depth=1
	s_or_b64 exec, exec, s[18:19]
	s_waitcnt vmcnt(0) lgkmcnt(0)
	v_pk_mul_f32 v[52:53], v[42:43], v[56:57] op_sel_hi:[0,1]
	v_pk_mul_f32 v[54:55], v[42:43], v[46:47] op_sel_hi:[0,1]
	v_cvt_f16_f32_e32 v16, v53
	v_cvt_f16_f32_e32 v18, v52
	v_cvt_f16_f32_e32 v22, v55
	v_cvt_f16_f32_e32 v52, v54
	v_fma_mixlo_f16 v14, v42, v14, 0
	v_lshlrev_b32_e32 v14, 16, v14
	v_fma_mixlo_f16 v12, v42, v12, 0
	v_or_b32_sdwa v12, v14, v12 dst_sel:DWORD dst_unused:UNUSED_PAD src0_sel:DWORD src1_sel:WORD_0
	v_fma_mixlo_f16 v14, v42, v23, 0
	v_pack_b32_f16 v18, v18, v16
	v_pack_b32_f16 v22, v52, v22
	v_fma_mixlo_f16 v15, v42, v15, 0
	v_lshlrev_b32_e32 v14, 16, v14
	v_perm_b32 v16, v22, v18, s25
	v_perm_b32 v22, v22, v18, s26
	v_or_b32_sdwa v14, v14, v15 dst_sel:DWORD dst_unused:UNUSED_PAD src0_sel:DWORD src1_sel:WORD_0
	s_and_saveexec_b64 s[8:9], vcc
	s_cbranch_execz .LBB286_1404
; %bb.1403:                             ;   in Loop: Header=BB286_1064 Depth=1
	scratch_load_dwordx2 v[52:53], off, s32 offset:196 ; 8-byte Folded Reload
	v_lshrrev_b32_e32 v18, 16, v22
	v_cmp_lt_i32_e64 s[2:3], v48, v13
	v_lshrrev_b32_e32 v14, 16, v14
	s_nop 0
	v_cndmask_b32_e64 v18, 0, v18, s[2:3]
	s_waitcnt vmcnt(0)
	v_cmp_lt_i32_e64 s[2:3], v60, v52
	s_nop 1
	v_cndmask_b32_e64 v22, 0, v22, s[2:3]
	v_perm_b32 v22, v18, v22, s27
	v_lshrrev_b32_e32 v18, 16, v16
	v_cmp_lt_i32_e64 s[2:3], v39, v13
	s_nop 1
	v_cndmask_b32_e64 v18, 0, v18, s[2:3]
	v_cmp_lt_i32_e64 s[2:3], v38, v52
	s_nop 1
	v_cndmask_b32_e64 v16, 0, v16, s[2:3]
	v_perm_b32 v16, v18, v16, s27
	v_lshrrev_b32_e32 v18, 16, v12
	v_cmp_lt_i32_e64 s[2:3], v7, v13
	s_nop 1
	v_cndmask_b32_e64 v18, 0, v18, s[2:3]
	v_cmp_lt_i32_e64 s[2:3], v6, v52
	s_nop 1
	v_cndmask_b32_e64 v12, 0, v12, s[2:3]
	v_cmp_lt_i32_e64 s[2:3], v19, v13
	v_perm_b32 v12, v18, v12, s27
	s_nop 0
	v_cndmask_b32_e64 v14, 0, v14, s[2:3]
	v_cmp_lt_i32_e64 s[2:3], v1, v52
	s_nop 1
	v_cndmask_b32_e64 v15, 0, v15, s[2:3]
	v_perm_b32 v14, v14, v15, s27
.LBB286_1404:                           ;   in Loop: Header=BB286_1064 Depth=1
	s_or_b64 exec, exec, s[8:9]
	;;#ASMSTART
	v_pk_mul_f16 v15, v34, v22;

	;;#ASMEND
	;;#ASMSTART
	v_pk_mul_f16 v16, v35, v16;

	;;#ASMEND
	;; [unrolled: 4-line block ×4, first 2 shown]
	s_mov_b64 s[2:3], 0
	;;#ASMSTART
	v_pk_add_f16 v15, v15, v16;

	;;#ASMEND
                                        ; implicit-def: $sgpr20
	s_nop 0
	;;#ASMSTART
	v_pk_add_f16 v12, v15, v12;

	;;#ASMEND
	s_nop 0
	;;#ASMSTART
	v_pk_add_f16 v12, v12, v14;

	;;#ASMEND
	s_nop 0
	v_lshrrev_b32_e32 v14, 16, v12
	v_and_b32_e32 v12, 0xffff, v12
	;;#ASMSTART
	v_cvt_f32_f16 v52, v12;
	;;#ASMEND
	;;#ASMSTART
	v_cvt_f32_f16 v53, v14;
	;;#ASMEND
	v_accvgpr_read_b32 v14, a22
	v_accvgpr_read_b32 v15, a23
	v_lshl_add_u64 v[14:15], v[10:11], 0, v[14:15]
	flat_load_dwordx2 v[44:45], v[14:15]
	s_nop 0
	scratch_load_dwordx2 v[14:15], off, s32 offset:188 ; 8-byte Folded Reload
	s_waitcnt vmcnt(0) lgkmcnt(0)
	v_cmp_gt_i16_sdwa s[8:9], v44, s17 src0_sel:BYTE_0 src1_sel:DWORD
	flat_load_dword v42, v[14:15]
	s_and_saveexec_b64 s[18:19], s[8:9]
	s_xor_b64 s[8:9], exec, s[18:19]
	s_cbranch_execnz .LBB286_1928
; %bb.1405:                             ;   in Loop: Header=BB286_1064 Depth=1
	s_or_saveexec_b64 s[8:9], s[8:9]
	v_mov_b32_e32 v46, s20
	s_xor_b64 exec, exec, s[8:9]
	s_cbranch_execnz .LBB286_1931
.LBB286_1406:                           ;   in Loop: Header=BB286_1064 Depth=1
	s_or_b64 exec, exec, s[8:9]
	s_and_saveexec_b64 s[8:9], s[2:3]
	s_cbranch_execz .LBB286_1408
.LBB286_1407:                           ;   in Loop: Header=BB286_1064 Depth=1
	v_and_b32_e32 v12, 7, v44
	v_ffbh_u32_e32 v12, v12
	v_bfe_u32 v14, v44, 3, 4
	v_min_u32_e32 v12, 32, v12
	v_subrev_u32_e32 v15, 28, v12
	v_sub_u32_e32 v12, 29, v12
	v_cmp_eq_u32_e64 s[2:3], 0, v14
	s_nop 1
	v_cndmask_b32_e64 v12, v14, v12, s[2:3]
	v_cndmask_b32_e64 v14, 0, v15, s[2:3]
	v_lshlrev_b64 v[14:15], v14, v[44:45]
	v_lshlrev_b32_e32 v15, 8, v44
	v_lshl_add_u32 v12, v12, 10, v61
	v_lshlrev_b32_e32 v14, 7, v14
	v_and_or_b32 v12, v15, s23, v12
	v_and_or_b32 v12, v14, s24, v12
	v_cvt_f32_f16_e32 v46, v12
.LBB286_1408:                           ;   in Loop: Header=BB286_1064 Depth=1
	s_or_b64 exec, exec, s[8:9]
	v_lshrrev_b16_e32 v16, 8, v44
	v_cmp_lt_i16_e64 s[2:3], s17, v16
	s_mov_b64 s[8:9], 0
                                        ; implicit-def: $sgpr28
	s_and_saveexec_b64 s[18:19], s[2:3]
	s_xor_b64 s[18:19], exec, s[18:19]
	s_cbranch_execnz .LBB286_1932
; %bb.1409:                             ;   in Loop: Header=BB286_1064 Depth=1
	s_or_saveexec_b64 s[18:19], s[18:19]
	v_mov_b32_e32 v56, s28
	s_xor_b64 exec, exec, s[18:19]
	s_cbranch_execnz .LBB286_1935
.LBB286_1410:                           ;   in Loop: Header=BB286_1064 Depth=1
	s_or_b64 exec, exec, s[18:19]
	s_and_saveexec_b64 s[18:19], s[8:9]
	s_cbranch_execz .LBB286_1412
.LBB286_1411:                           ;   in Loop: Header=BB286_1064 Depth=1
	v_and_b32_e32 v12, 7, v16
	v_ffbh_u32_e32 v14, v12
	v_min_u32_e32 v22, 32, v14
	v_subrev_u32_e32 v14, 28, v22
	v_bfe_u32 v18, v16, 3, 4
	v_lshlrev_b64 v[14:15], v14, v[16:17]
	v_sub_u32_e32 v15, 29, v22
	v_cmp_eq_u32_e64 s[2:3], 0, v18
	v_and_b32_e32 v14, 7, v14
	s_nop 0
	v_cndmask_b32_e64 v15, v18, v15, s[2:3]
	v_cndmask_b32_e64 v12, v12, v14, s[2:3]
	v_lshlrev_b32_e32 v14, 8, v16
	v_lshl_add_u32 v15, v15, 10, v61
	v_and_or_b32 v14, v14, s23, v15
	v_lshl_or_b32 v12, v12, 7, v14
	v_cvt_f32_f16_e32 v56, v12
.LBB286_1412:                           ;   in Loop: Header=BB286_1064 Depth=1
	s_or_b64 exec, exec, s[18:19]
	v_lshrrev_b32_e32 v16, 16, v44
	v_cmp_gt_i16_sdwa s[8:9], v16, s17 src0_sel:BYTE_0 src1_sel:DWORD
	s_mov_b64 s[2:3], 0
                                        ; implicit-def: $sgpr20
	s_and_saveexec_b64 s[18:19], s[8:9]
	s_xor_b64 s[8:9], exec, s[18:19]
	s_cbranch_execnz .LBB286_1936
; %bb.1413:                             ;   in Loop: Header=BB286_1064 Depth=1
	s_or_saveexec_b64 s[8:9], s[8:9]
	v_mov_b32_e32 v47, s20
	s_xor_b64 exec, exec, s[8:9]
	s_cbranch_execnz .LBB286_1939
.LBB286_1414:                           ;   in Loop: Header=BB286_1064 Depth=1
	s_or_b64 exec, exec, s[8:9]
	s_and_saveexec_b64 s[8:9], s[2:3]
	s_cbranch_execz .LBB286_1416
.LBB286_1415:                           ;   in Loop: Header=BB286_1064 Depth=1
	v_bfe_u32 v12, v44, 16, 3
	v_ffbh_u32_e32 v14, v12
	v_min_u32_e32 v22, 32, v14
	v_subrev_u32_e32 v14, 28, v22
	v_bfe_u32 v18, v44, 19, 4
	v_lshlrev_b64 v[14:15], v14, v[16:17]
	v_sub_u32_e32 v15, 29, v22
	v_cmp_eq_u32_e64 s[2:3], 0, v18
	v_and_b32_e32 v14, 7, v14
	s_nop 0
	v_cndmask_b32_e64 v15, v18, v15, s[2:3]
	v_cndmask_b32_e64 v12, v12, v14, s[2:3]
	v_lshlrev_b32_e32 v14, 8, v16
	v_lshl_add_u32 v15, v15, 10, v61
	v_and_or_b32 v14, v14, s23, v15
	v_lshl_or_b32 v12, v12, 7, v14
	v_cvt_f32_f16_e32 v47, v12
.LBB286_1416:                           ;   in Loop: Header=BB286_1064 Depth=1
	s_or_b64 exec, exec, s[8:9]
	v_lshrrev_b32_e32 v16, 24, v44
	v_cmp_lt_i16_e64 s[2:3], s17, v16
	s_mov_b64 s[8:9], 0
                                        ; implicit-def: $sgpr28
	s_and_saveexec_b64 s[18:19], s[2:3]
	s_xor_b64 s[18:19], exec, s[18:19]
	s_cbranch_execnz .LBB286_1940
; %bb.1417:                             ;   in Loop: Header=BB286_1064 Depth=1
	s_or_saveexec_b64 s[18:19], s[18:19]
	v_mov_b32_e32 v57, s28
	s_xor_b64 exec, exec, s[18:19]
	s_cbranch_execnz .LBB286_1943
.LBB286_1418:                           ;   in Loop: Header=BB286_1064 Depth=1
	s_or_b64 exec, exec, s[18:19]
	s_and_saveexec_b64 s[18:19], s[8:9]
	s_cbranch_execz .LBB286_1420
.LBB286_1419:                           ;   in Loop: Header=BB286_1064 Depth=1
	v_bfe_u32 v12, v44, 24, 3
	v_ffbh_u32_e32 v14, v12
	v_min_u32_e32 v22, 32, v14
	v_subrev_u32_e32 v14, 28, v22
	v_bfe_u32 v18, v44, 27, 4
	v_lshlrev_b64 v[14:15], v14, v[16:17]
	v_sub_u32_e32 v15, 29, v22
	v_cmp_eq_u32_e64 s[2:3], 0, v18
	v_and_b32_e32 v14, 7, v14
	s_nop 0
	v_cndmask_b32_e64 v15, v18, v15, s[2:3]
	v_cndmask_b32_e64 v12, v12, v14, s[2:3]
	v_lshlrev_b32_e32 v14, 8, v16
	v_lshl_add_u32 v15, v15, 10, v61
	v_and_or_b32 v14, v14, s23, v15
	v_lshl_or_b32 v12, v12, 7, v14
	v_cvt_f32_f16_e32 v57, v12
.LBB286_1420:                           ;   in Loop: Header=BB286_1064 Depth=1
	s_or_b64 exec, exec, s[18:19]
	v_cmp_gt_i16_sdwa s[8:9], v45, s17 src0_sel:BYTE_0 src1_sel:DWORD
	s_mov_b64 s[2:3], 0
                                        ; implicit-def: $sgpr20
	s_and_saveexec_b64 s[18:19], s[8:9]
	s_xor_b64 s[8:9], exec, s[18:19]
	s_cbranch_execnz .LBB286_1944
; %bb.1421:                             ;   in Loop: Header=BB286_1064 Depth=1
	s_or_saveexec_b64 s[8:9], s[8:9]
	v_mov_b32_e32 v12, s20
	s_xor_b64 exec, exec, s[8:9]
	s_cbranch_execnz .LBB286_1947
.LBB286_1422:                           ;   in Loop: Header=BB286_1064 Depth=1
	s_or_b64 exec, exec, s[8:9]
	v_mov_b32_e32 v16, v45
	s_and_saveexec_b64 s[8:9], s[2:3]
	s_cbranch_execz .LBB286_1424
.LBB286_1423:                           ;   in Loop: Header=BB286_1064 Depth=1
	v_and_b32_e32 v12, 7, v45
	v_ffbh_u32_e32 v12, v12
	v_bfe_u32 v14, v45, 3, 4
	v_min_u32_e32 v12, 32, v12
	v_subrev_u32_e32 v15, 28, v12
	v_sub_u32_e32 v12, 29, v12
	v_cmp_eq_u32_e64 s[2:3], 0, v14
	s_nop 1
	v_cndmask_b32_e64 v12, v14, v12, s[2:3]
	v_cndmask_b32_e64 v14, 0, v15, s[2:3]
	v_lshlrev_b64 v[14:15], v14, v[16:17]
	v_lshlrev_b32_e32 v15, 8, v45
	v_lshl_add_u32 v12, v12, 10, v61
	v_lshlrev_b32_e32 v14, 7, v14
	v_and_or_b32 v12, v15, s23, v12
	v_and_or_b32 v12, v14, s24, v12
	v_cvt_f32_f16_e32 v12, v12
.LBB286_1424:                           ;   in Loop: Header=BB286_1064 Depth=1
	s_or_b64 exec, exec, s[8:9]
	v_lshrrev_b16_e32 v16, 8, v16
	v_cmp_lt_i16_e64 s[2:3], s17, v16
	s_mov_b64 s[8:9], 0
                                        ; implicit-def: $sgpr28
	s_and_saveexec_b64 s[18:19], s[2:3]
	s_xor_b64 s[18:19], exec, s[18:19]
	s_cbranch_execnz .LBB286_1948
; %bb.1425:                             ;   in Loop: Header=BB286_1064 Depth=1
	s_or_saveexec_b64 s[18:19], s[18:19]
	v_mov_b32_e32 v14, s28
	s_xor_b64 exec, exec, s[18:19]
	s_cbranch_execnz .LBB286_1951
.LBB286_1426:                           ;   in Loop: Header=BB286_1064 Depth=1
	s_or_b64 exec, exec, s[18:19]
	s_and_saveexec_b64 s[18:19], s[8:9]
	s_cbranch_execz .LBB286_1428
.LBB286_1427:                           ;   in Loop: Header=BB286_1064 Depth=1
	v_and_b32_e32 v18, 7, v16
	v_ffbh_u32_e32 v14, v18
	v_min_u32_e32 v23, 32, v14
	v_subrev_u32_e32 v14, 28, v23
	v_bfe_u32 v22, v16, 3, 4
	v_lshlrev_b64 v[14:15], v14, v[16:17]
	v_sub_u32_e32 v15, 29, v23
	v_cmp_eq_u32_e64 s[2:3], 0, v22
	v_and_b32_e32 v14, 7, v14
	v_lshlrev_b32_e32 v16, 8, v16
	v_cndmask_b32_e64 v15, v22, v15, s[2:3]
	v_lshl_add_u32 v15, v15, 10, v61
	v_cndmask_b32_e64 v14, v18, v14, s[2:3]
	v_and_or_b32 v15, v16, s23, v15
	v_lshl_or_b32 v14, v14, 7, v15
	v_cvt_f32_f16_e32 v14, v14
.LBB286_1428:                           ;   in Loop: Header=BB286_1064 Depth=1
	s_or_b64 exec, exec, s[18:19]
	v_lshrrev_b32_e32 v16, 16, v45
	v_cmp_gt_i16_sdwa s[8:9], v16, s17 src0_sel:BYTE_0 src1_sel:DWORD
	s_mov_b64 s[2:3], 0
                                        ; implicit-def: $sgpr20
	s_and_saveexec_b64 s[18:19], s[8:9]
	s_xor_b64 s[8:9], exec, s[18:19]
	s_cbranch_execnz .LBB286_1952
; %bb.1429:                             ;   in Loop: Header=BB286_1064 Depth=1
	s_or_saveexec_b64 s[8:9], s[8:9]
	v_mov_b32_e32 v15, s20
	s_xor_b64 exec, exec, s[8:9]
	s_cbranch_execnz .LBB286_1955
.LBB286_1430:                           ;   in Loop: Header=BB286_1064 Depth=1
	s_or_b64 exec, exec, s[8:9]
	s_and_saveexec_b64 s[8:9], s[2:3]
	s_cbranch_execz .LBB286_1432
.LBB286_1431:                           ;   in Loop: Header=BB286_1064 Depth=1
	v_bfe_u32 v15, v45, 16, 3
	v_ffbh_u32_e32 v22, v15
	v_min_u32_e32 v54, 32, v22
	v_subrev_u32_e32 v22, 28, v54
	v_bfe_u32 v18, v45, 19, 4
	v_lshlrev_b64 v[22:23], v22, v[16:17]
	v_sub_u32_e32 v23, 29, v54
	v_cmp_eq_u32_e64 s[2:3], 0, v18
	v_and_b32_e32 v22, 7, v22
	v_lshlrev_b32_e32 v16, 8, v16
	v_cndmask_b32_e64 v18, v18, v23, s[2:3]
	v_lshl_add_u32 v18, v18, 10, v61
	v_cndmask_b32_e64 v15, v15, v22, s[2:3]
	v_and_or_b32 v16, v16, s23, v18
	v_lshl_or_b32 v15, v15, 7, v16
	v_cvt_f32_f16_e32 v15, v15
.LBB286_1432:                           ;   in Loop: Header=BB286_1064 Depth=1
	s_or_b64 exec, exec, s[8:9]
	v_lshrrev_b32_e32 v16, 24, v45
	v_cmp_lt_i16_e64 s[2:3], s17, v16
	s_mov_b64 s[8:9], 0
                                        ; implicit-def: $sgpr28
	s_and_saveexec_b64 s[18:19], s[2:3]
	s_xor_b64 s[18:19], exec, s[18:19]
	s_cbranch_execnz .LBB286_1956
; %bb.1433:                             ;   in Loop: Header=BB286_1064 Depth=1
	s_or_saveexec_b64 s[18:19], s[18:19]
	v_mov_b32_e32 v23, s28
	s_xor_b64 exec, exec, s[18:19]
	s_cbranch_execnz .LBB286_1959
.LBB286_1434:                           ;   in Loop: Header=BB286_1064 Depth=1
	s_or_b64 exec, exec, s[18:19]
	s_and_saveexec_b64 s[18:19], s[8:9]
	s_cbranch_execz .LBB286_1436
.LBB286_1435:                           ;   in Loop: Header=BB286_1064 Depth=1
	v_bfe_u32 v18, v45, 24, 3
	v_ffbh_u32_e32 v22, v18
	v_min_u32_e32 v55, 32, v22
	v_subrev_u32_e32 v22, 28, v55
	v_bfe_u32 v54, v45, 27, 4
	v_lshlrev_b64 v[22:23], v22, v[16:17]
	v_sub_u32_e32 v23, 29, v55
	v_cmp_eq_u32_e64 s[2:3], 0, v54
	v_and_b32_e32 v22, 7, v22
	v_lshlrev_b32_e32 v16, 8, v16
	v_cndmask_b32_e64 v23, v54, v23, s[2:3]
	v_cndmask_b32_e64 v18, v18, v22, s[2:3]
	v_lshl_add_u32 v22, v23, 10, v61
	v_and_or_b32 v16, v16, s23, v22
	v_lshl_or_b32 v16, v18, 7, v16
	v_cvt_f32_f16_e32 v23, v16
.LBB286_1436:                           ;   in Loop: Header=BB286_1064 Depth=1
	s_or_b64 exec, exec, s[18:19]
	s_waitcnt vmcnt(0) lgkmcnt(0)
	v_pk_mul_f32 v[54:55], v[42:43], v[56:57] op_sel_hi:[0,1]
	v_pk_mul_f32 v[40:41], v[42:43], v[46:47] op_sel_hi:[0,1]
	v_cvt_f16_f32_e32 v16, v55
	v_cvt_f16_f32_e32 v18, v54
	;; [unrolled: 1-line block ×4, first 2 shown]
	v_fma_mixlo_f16 v14, v42, v14, 0
	v_lshlrev_b32_e32 v14, 16, v14
	v_fma_mixlo_f16 v12, v42, v12, 0
	v_or_b32_sdwa v12, v14, v12 dst_sel:DWORD dst_unused:UNUSED_PAD src0_sel:DWORD src1_sel:WORD_0
	v_fma_mixlo_f16 v14, v42, v23, 0
	v_pack_b32_f16 v18, v18, v16
	v_pack_b32_f16 v22, v54, v22
	v_fma_mixlo_f16 v15, v42, v15, 0
	v_lshlrev_b32_e32 v14, 16, v14
	v_perm_b32 v16, v22, v18, s25
	v_perm_b32 v22, v22, v18, s26
	v_or_b32_sdwa v14, v14, v15 dst_sel:DWORD dst_unused:UNUSED_PAD src0_sel:DWORD src1_sel:WORD_0
	s_and_saveexec_b64 s[8:9], vcc
	s_cbranch_execz .LBB286_1438
; %bb.1437:                             ;   in Loop: Header=BB286_1064 Depth=1
	scratch_load_dwordx2 v[54:55], off, s32 offset:196 ; 8-byte Folded Reload
	v_lshrrev_b32_e32 v18, 16, v22
	v_cmp_lt_i32_e64 s[2:3], v48, v13
	v_lshrrev_b32_e32 v14, 16, v14
	s_nop 0
	v_cndmask_b32_e64 v18, 0, v18, s[2:3]
	s_waitcnt vmcnt(0)
	v_cmp_lt_i32_e64 s[2:3], v60, v54
	s_nop 1
	v_cndmask_b32_e64 v22, 0, v22, s[2:3]
	v_perm_b32 v22, v18, v22, s27
	v_lshrrev_b32_e32 v18, 16, v16
	v_cmp_lt_i32_e64 s[2:3], v39, v13
	s_nop 1
	v_cndmask_b32_e64 v18, 0, v18, s[2:3]
	v_cmp_lt_i32_e64 s[2:3], v38, v54
	s_nop 1
	v_cndmask_b32_e64 v16, 0, v16, s[2:3]
	v_perm_b32 v16, v18, v16, s27
	v_lshrrev_b32_e32 v18, 16, v12
	v_cmp_lt_i32_e64 s[2:3], v7, v13
	s_nop 1
	v_cndmask_b32_e64 v18, 0, v18, s[2:3]
	v_cmp_lt_i32_e64 s[2:3], v6, v54
	s_nop 1
	v_cndmask_b32_e64 v12, 0, v12, s[2:3]
	v_cmp_lt_i32_e64 s[2:3], v19, v13
	v_perm_b32 v12, v18, v12, s27
	s_nop 0
	v_cndmask_b32_e64 v14, 0, v14, s[2:3]
	v_cmp_lt_i32_e64 s[2:3], v1, v54
	s_nop 1
	v_cndmask_b32_e64 v15, 0, v15, s[2:3]
	v_perm_b32 v14, v14, v15, s27
.LBB286_1438:                           ;   in Loop: Header=BB286_1064 Depth=1
	s_or_b64 exec, exec, s[8:9]
	;;#ASMSTART
	v_pk_mul_f16 v15, v34, v22;

	;;#ASMEND
	;;#ASMSTART
	v_pk_mul_f16 v16, v35, v16;

	;;#ASMEND
	;; [unrolled: 4-line block ×4, first 2 shown]
	s_mov_b64 s[2:3], 0
	;;#ASMSTART
	v_pk_add_f16 v15, v15, v16;

	;;#ASMEND
                                        ; implicit-def: $sgpr20
	s_nop 0
	;;#ASMSTART
	v_pk_add_f16 v12, v15, v12;

	;;#ASMEND
	s_nop 0
	;;#ASMSTART
	v_pk_add_f16 v12, v12, v14;

	;;#ASMEND
	s_nop 0
	v_lshrrev_b32_e32 v14, 16, v12
	v_and_b32_e32 v12, 0xffff, v12
	;;#ASMSTART
	v_cvt_f32_f16 v54, v12;
	;;#ASMEND
	;;#ASMSTART
	v_cvt_f32_f16 v55, v14;
	;;#ASMEND
	v_accvgpr_read_b32 v14, a24
	v_accvgpr_read_b32 v15, a25
	v_lshl_add_u64 v[14:15], v[10:11], 0, v[14:15]
	flat_load_dwordx2 v[44:45], v[14:15]
	s_nop 0
	scratch_load_dwordx2 v[14:15], off, s32 offset:188 ; 8-byte Folded Reload
	s_waitcnt vmcnt(0) lgkmcnt(0)
	v_cmp_gt_i16_sdwa s[8:9], v44, s17 src0_sel:BYTE_0 src1_sel:DWORD
	flat_load_dword v42, v[14:15]
	s_and_saveexec_b64 s[18:19], s[8:9]
	s_xor_b64 s[8:9], exec, s[18:19]
	s_cbranch_execnz .LBB286_1960
; %bb.1439:                             ;   in Loop: Header=BB286_1064 Depth=1
	s_or_saveexec_b64 s[8:9], s[8:9]
	v_mov_b32_e32 v46, s20
	s_xor_b64 exec, exec, s[8:9]
	s_cbranch_execnz .LBB286_1963
.LBB286_1440:                           ;   in Loop: Header=BB286_1064 Depth=1
	s_or_b64 exec, exec, s[8:9]
	s_and_saveexec_b64 s[8:9], s[2:3]
	s_cbranch_execz .LBB286_1442
.LBB286_1441:                           ;   in Loop: Header=BB286_1064 Depth=1
	v_and_b32_e32 v12, 7, v44
	v_ffbh_u32_e32 v12, v12
	v_bfe_u32 v14, v44, 3, 4
	v_min_u32_e32 v12, 32, v12
	v_subrev_u32_e32 v15, 28, v12
	v_sub_u32_e32 v12, 29, v12
	v_cmp_eq_u32_e64 s[2:3], 0, v14
	s_nop 1
	v_cndmask_b32_e64 v12, v14, v12, s[2:3]
	v_cndmask_b32_e64 v14, 0, v15, s[2:3]
	v_lshlrev_b64 v[14:15], v14, v[44:45]
	v_lshlrev_b32_e32 v15, 8, v44
	v_lshl_add_u32 v12, v12, 10, v61
	v_lshlrev_b32_e32 v14, 7, v14
	v_and_or_b32 v12, v15, s23, v12
	v_and_or_b32 v12, v14, s24, v12
	v_cvt_f32_f16_e32 v46, v12
.LBB286_1442:                           ;   in Loop: Header=BB286_1064 Depth=1
	s_or_b64 exec, exec, s[8:9]
	v_lshrrev_b16_e32 v16, 8, v44
	v_cmp_lt_i16_e64 s[2:3], s17, v16
	s_mov_b64 s[8:9], 0
                                        ; implicit-def: $sgpr28
	s_and_saveexec_b64 s[18:19], s[2:3]
	s_xor_b64 s[18:19], exec, s[18:19]
	s_cbranch_execnz .LBB286_1964
; %bb.1443:                             ;   in Loop: Header=BB286_1064 Depth=1
	s_or_saveexec_b64 s[18:19], s[18:19]
	v_mov_b32_e32 v56, s28
	s_xor_b64 exec, exec, s[18:19]
	s_cbranch_execnz .LBB286_1967
.LBB286_1444:                           ;   in Loop: Header=BB286_1064 Depth=1
	s_or_b64 exec, exec, s[18:19]
	s_and_saveexec_b64 s[18:19], s[8:9]
	s_cbranch_execz .LBB286_1446
.LBB286_1445:                           ;   in Loop: Header=BB286_1064 Depth=1
	v_and_b32_e32 v12, 7, v16
	v_ffbh_u32_e32 v14, v12
	v_min_u32_e32 v22, 32, v14
	v_subrev_u32_e32 v14, 28, v22
	v_bfe_u32 v18, v16, 3, 4
	v_lshlrev_b64 v[14:15], v14, v[16:17]
	v_sub_u32_e32 v15, 29, v22
	v_cmp_eq_u32_e64 s[2:3], 0, v18
	v_and_b32_e32 v14, 7, v14
	s_nop 0
	v_cndmask_b32_e64 v15, v18, v15, s[2:3]
	v_cndmask_b32_e64 v12, v12, v14, s[2:3]
	v_lshlrev_b32_e32 v14, 8, v16
	v_lshl_add_u32 v15, v15, 10, v61
	v_and_or_b32 v14, v14, s23, v15
	v_lshl_or_b32 v12, v12, 7, v14
	v_cvt_f32_f16_e32 v56, v12
.LBB286_1446:                           ;   in Loop: Header=BB286_1064 Depth=1
	s_or_b64 exec, exec, s[18:19]
	v_lshrrev_b32_e32 v16, 16, v44
	v_cmp_gt_i16_sdwa s[8:9], v16, s17 src0_sel:BYTE_0 src1_sel:DWORD
	s_mov_b64 s[2:3], 0
                                        ; implicit-def: $sgpr20
	s_and_saveexec_b64 s[18:19], s[8:9]
	s_xor_b64 s[8:9], exec, s[18:19]
	s_cbranch_execnz .LBB286_1968
; %bb.1447:                             ;   in Loop: Header=BB286_1064 Depth=1
	s_or_saveexec_b64 s[8:9], s[8:9]
	v_mov_b32_e32 v47, s20
	s_xor_b64 exec, exec, s[8:9]
	s_cbranch_execnz .LBB286_1971
.LBB286_1448:                           ;   in Loop: Header=BB286_1064 Depth=1
	s_or_b64 exec, exec, s[8:9]
	s_and_saveexec_b64 s[8:9], s[2:3]
	s_cbranch_execz .LBB286_1450
.LBB286_1449:                           ;   in Loop: Header=BB286_1064 Depth=1
	v_bfe_u32 v12, v44, 16, 3
	v_ffbh_u32_e32 v14, v12
	v_min_u32_e32 v22, 32, v14
	v_subrev_u32_e32 v14, 28, v22
	v_bfe_u32 v18, v44, 19, 4
	v_lshlrev_b64 v[14:15], v14, v[16:17]
	v_sub_u32_e32 v15, 29, v22
	v_cmp_eq_u32_e64 s[2:3], 0, v18
	v_and_b32_e32 v14, 7, v14
	s_nop 0
	v_cndmask_b32_e64 v15, v18, v15, s[2:3]
	v_cndmask_b32_e64 v12, v12, v14, s[2:3]
	v_lshlrev_b32_e32 v14, 8, v16
	v_lshl_add_u32 v15, v15, 10, v61
	v_and_or_b32 v14, v14, s23, v15
	v_lshl_or_b32 v12, v12, 7, v14
	v_cvt_f32_f16_e32 v47, v12
.LBB286_1450:                           ;   in Loop: Header=BB286_1064 Depth=1
	s_or_b64 exec, exec, s[8:9]
	v_lshrrev_b32_e32 v16, 24, v44
	v_cmp_lt_i16_e64 s[2:3], s17, v16
	s_mov_b64 s[8:9], 0
                                        ; implicit-def: $sgpr28
	s_and_saveexec_b64 s[18:19], s[2:3]
	s_xor_b64 s[18:19], exec, s[18:19]
	s_cbranch_execnz .LBB286_1972
; %bb.1451:                             ;   in Loop: Header=BB286_1064 Depth=1
	s_or_saveexec_b64 s[18:19], s[18:19]
	v_mov_b32_e32 v57, s28
	s_xor_b64 exec, exec, s[18:19]
	s_cbranch_execnz .LBB286_1975
.LBB286_1452:                           ;   in Loop: Header=BB286_1064 Depth=1
	s_or_b64 exec, exec, s[18:19]
	s_and_saveexec_b64 s[18:19], s[8:9]
	s_cbranch_execz .LBB286_1454
.LBB286_1453:                           ;   in Loop: Header=BB286_1064 Depth=1
	v_bfe_u32 v12, v44, 24, 3
	v_ffbh_u32_e32 v14, v12
	v_min_u32_e32 v22, 32, v14
	v_subrev_u32_e32 v14, 28, v22
	v_bfe_u32 v18, v44, 27, 4
	v_lshlrev_b64 v[14:15], v14, v[16:17]
	v_sub_u32_e32 v15, 29, v22
	v_cmp_eq_u32_e64 s[2:3], 0, v18
	v_and_b32_e32 v14, 7, v14
	s_nop 0
	v_cndmask_b32_e64 v15, v18, v15, s[2:3]
	v_cndmask_b32_e64 v12, v12, v14, s[2:3]
	v_lshlrev_b32_e32 v14, 8, v16
	v_lshl_add_u32 v15, v15, 10, v61
	v_and_or_b32 v14, v14, s23, v15
	v_lshl_or_b32 v12, v12, 7, v14
	v_cvt_f32_f16_e32 v57, v12
.LBB286_1454:                           ;   in Loop: Header=BB286_1064 Depth=1
	s_or_b64 exec, exec, s[18:19]
	v_cmp_gt_i16_sdwa s[8:9], v45, s17 src0_sel:BYTE_0 src1_sel:DWORD
	s_mov_b64 s[2:3], 0
                                        ; implicit-def: $sgpr20
	s_and_saveexec_b64 s[18:19], s[8:9]
	s_xor_b64 s[8:9], exec, s[18:19]
	s_cbranch_execnz .LBB286_1976
; %bb.1455:                             ;   in Loop: Header=BB286_1064 Depth=1
	s_or_saveexec_b64 s[8:9], s[8:9]
	v_mov_b32_e32 v12, s20
	s_xor_b64 exec, exec, s[8:9]
	s_cbranch_execnz .LBB286_1979
.LBB286_1456:                           ;   in Loop: Header=BB286_1064 Depth=1
	s_or_b64 exec, exec, s[8:9]
	v_mov_b32_e32 v16, v45
	s_and_saveexec_b64 s[8:9], s[2:3]
	s_cbranch_execz .LBB286_1458
.LBB286_1457:                           ;   in Loop: Header=BB286_1064 Depth=1
	v_and_b32_e32 v12, 7, v45
	v_ffbh_u32_e32 v12, v12
	v_bfe_u32 v14, v45, 3, 4
	v_min_u32_e32 v12, 32, v12
	v_subrev_u32_e32 v15, 28, v12
	v_sub_u32_e32 v12, 29, v12
	v_cmp_eq_u32_e64 s[2:3], 0, v14
	s_nop 1
	v_cndmask_b32_e64 v12, v14, v12, s[2:3]
	v_cndmask_b32_e64 v14, 0, v15, s[2:3]
	v_lshlrev_b64 v[14:15], v14, v[16:17]
	v_lshlrev_b32_e32 v15, 8, v45
	v_lshl_add_u32 v12, v12, 10, v61
	v_lshlrev_b32_e32 v14, 7, v14
	v_and_or_b32 v12, v15, s23, v12
	v_and_or_b32 v12, v14, s24, v12
	v_cvt_f32_f16_e32 v12, v12
.LBB286_1458:                           ;   in Loop: Header=BB286_1064 Depth=1
	s_or_b64 exec, exec, s[8:9]
	v_lshrrev_b16_e32 v16, 8, v16
	v_cmp_lt_i16_e64 s[2:3], s17, v16
	s_mov_b64 s[8:9], 0
                                        ; implicit-def: $sgpr28
	s_and_saveexec_b64 s[18:19], s[2:3]
	s_xor_b64 s[18:19], exec, s[18:19]
	s_cbranch_execnz .LBB286_1980
; %bb.1459:                             ;   in Loop: Header=BB286_1064 Depth=1
	s_or_saveexec_b64 s[18:19], s[18:19]
	v_mov_b32_e32 v14, s28
	s_xor_b64 exec, exec, s[18:19]
	s_cbranch_execnz .LBB286_1983
.LBB286_1460:                           ;   in Loop: Header=BB286_1064 Depth=1
	s_or_b64 exec, exec, s[18:19]
	s_and_saveexec_b64 s[18:19], s[8:9]
	s_cbranch_execz .LBB286_1462
.LBB286_1461:                           ;   in Loop: Header=BB286_1064 Depth=1
	v_and_b32_e32 v18, 7, v16
	v_ffbh_u32_e32 v14, v18
	v_min_u32_e32 v23, 32, v14
	v_subrev_u32_e32 v14, 28, v23
	v_bfe_u32 v22, v16, 3, 4
	v_lshlrev_b64 v[14:15], v14, v[16:17]
	v_sub_u32_e32 v15, 29, v23
	v_cmp_eq_u32_e64 s[2:3], 0, v22
	v_and_b32_e32 v14, 7, v14
	v_lshlrev_b32_e32 v16, 8, v16
	v_cndmask_b32_e64 v15, v22, v15, s[2:3]
	v_lshl_add_u32 v15, v15, 10, v61
	v_cndmask_b32_e64 v14, v18, v14, s[2:3]
	v_and_or_b32 v15, v16, s23, v15
	v_lshl_or_b32 v14, v14, 7, v15
	v_cvt_f32_f16_e32 v14, v14
.LBB286_1462:                           ;   in Loop: Header=BB286_1064 Depth=1
	s_or_b64 exec, exec, s[18:19]
	v_lshrrev_b32_e32 v16, 16, v45
	v_cmp_gt_i16_sdwa s[8:9], v16, s17 src0_sel:BYTE_0 src1_sel:DWORD
	s_mov_b64 s[2:3], 0
                                        ; implicit-def: $sgpr20
	s_and_saveexec_b64 s[18:19], s[8:9]
	s_xor_b64 s[8:9], exec, s[18:19]
	s_cbranch_execnz .LBB286_1984
; %bb.1463:                             ;   in Loop: Header=BB286_1064 Depth=1
	s_or_saveexec_b64 s[8:9], s[8:9]
	v_mov_b32_e32 v15, s20
	s_xor_b64 exec, exec, s[8:9]
	s_cbranch_execnz .LBB286_1987
.LBB286_1464:                           ;   in Loop: Header=BB286_1064 Depth=1
	s_or_b64 exec, exec, s[8:9]
	s_and_saveexec_b64 s[8:9], s[2:3]
	s_cbranch_execz .LBB286_1466
.LBB286_1465:                           ;   in Loop: Header=BB286_1064 Depth=1
	v_bfe_u32 v15, v45, 16, 3
	v_ffbh_u32_e32 v22, v15
	v_min_u32_e32 v40, 32, v22
	v_subrev_u32_e32 v22, 28, v40
	v_bfe_u32 v18, v45, 19, 4
	v_lshlrev_b64 v[22:23], v22, v[16:17]
	v_sub_u32_e32 v23, 29, v40
	v_cmp_eq_u32_e64 s[2:3], 0, v18
	v_and_b32_e32 v22, 7, v22
	v_lshlrev_b32_e32 v16, 8, v16
	v_cndmask_b32_e64 v18, v18, v23, s[2:3]
	v_lshl_add_u32 v18, v18, 10, v61
	v_cndmask_b32_e64 v15, v15, v22, s[2:3]
	v_and_or_b32 v16, v16, s23, v18
	v_lshl_or_b32 v15, v15, 7, v16
	v_cvt_f32_f16_e32 v15, v15
.LBB286_1466:                           ;   in Loop: Header=BB286_1064 Depth=1
	s_or_b64 exec, exec, s[8:9]
	v_lshrrev_b32_e32 v16, 24, v45
	v_cmp_lt_i16_e64 s[2:3], s17, v16
	s_mov_b64 s[8:9], 0
                                        ; implicit-def: $sgpr28
	s_and_saveexec_b64 s[18:19], s[2:3]
	s_xor_b64 s[18:19], exec, s[18:19]
	s_cbranch_execnz .LBB286_1988
; %bb.1467:                             ;   in Loop: Header=BB286_1064 Depth=1
	s_or_saveexec_b64 s[18:19], s[18:19]
	v_mov_b32_e32 v23, s28
	s_xor_b64 exec, exec, s[18:19]
	s_cbranch_execnz .LBB286_1991
.LBB286_1468:                           ;   in Loop: Header=BB286_1064 Depth=1
	s_or_b64 exec, exec, s[18:19]
	s_and_saveexec_b64 s[18:19], s[8:9]
	s_cbranch_execz .LBB286_1470
.LBB286_1469:                           ;   in Loop: Header=BB286_1064 Depth=1
	v_bfe_u32 v18, v45, 24, 3
	v_ffbh_u32_e32 v22, v18
	v_min_u32_e32 v41, 32, v22
	v_subrev_u32_e32 v22, 28, v41
	v_bfe_u32 v40, v45, 27, 4
	v_lshlrev_b64 v[22:23], v22, v[16:17]
	v_sub_u32_e32 v23, 29, v41
	v_cmp_eq_u32_e64 s[2:3], 0, v40
	v_and_b32_e32 v22, 7, v22
	v_lshlrev_b32_e32 v16, 8, v16
	v_cndmask_b32_e64 v23, v40, v23, s[2:3]
	v_cndmask_b32_e64 v18, v18, v22, s[2:3]
	v_lshl_add_u32 v22, v23, 10, v61
	v_and_or_b32 v16, v16, s23, v22
	v_lshl_or_b32 v16, v18, 7, v16
	v_cvt_f32_f16_e32 v23, v16
.LBB286_1470:                           ;   in Loop: Header=BB286_1064 Depth=1
	s_or_b64 exec, exec, s[18:19]
	s_waitcnt vmcnt(0) lgkmcnt(0)
	v_pk_mul_f32 v[40:41], v[42:43], v[56:57] op_sel_hi:[0,1]
	v_pk_mul_f32 v[44:45], v[42:43], v[46:47] op_sel_hi:[0,1]
	v_cvt_f16_f32_e32 v16, v41
	v_cvt_f16_f32_e32 v18, v40
	;; [unrolled: 1-line block ×4, first 2 shown]
	v_fma_mixlo_f16 v14, v42, v14, 0
	v_lshlrev_b32_e32 v14, 16, v14
	v_fma_mixlo_f16 v12, v42, v12, 0
	v_or_b32_sdwa v12, v14, v12 dst_sel:DWORD dst_unused:UNUSED_PAD src0_sel:DWORD src1_sel:WORD_0
	v_fma_mixlo_f16 v14, v42, v23, 0
	v_pack_b32_f16 v18, v18, v16
	v_pack_b32_f16 v22, v40, v22
	v_fma_mixlo_f16 v15, v42, v15, 0
	v_lshlrev_b32_e32 v14, 16, v14
	v_perm_b32 v16, v22, v18, s25
	v_perm_b32 v22, v22, v18, s26
	v_or_b32_sdwa v14, v14, v15 dst_sel:DWORD dst_unused:UNUSED_PAD src0_sel:DWORD src1_sel:WORD_0
	s_and_saveexec_b64 s[8:9], vcc
	s_cbranch_execz .LBB286_1472
; %bb.1471:                             ;   in Loop: Header=BB286_1064 Depth=1
	scratch_load_dwordx2 v[40:41], off, s32 offset:196 ; 8-byte Folded Reload
	v_lshrrev_b32_e32 v18, 16, v22
	v_cmp_lt_i32_e64 s[2:3], v48, v13
	v_lshrrev_b32_e32 v14, 16, v14
	s_nop 0
	v_cndmask_b32_e64 v18, 0, v18, s[2:3]
	s_waitcnt vmcnt(0)
	v_cmp_lt_i32_e64 s[2:3], v60, v40
	s_nop 1
	v_cndmask_b32_e64 v22, 0, v22, s[2:3]
	v_perm_b32 v22, v18, v22, s27
	v_lshrrev_b32_e32 v18, 16, v16
	v_cmp_lt_i32_e64 s[2:3], v39, v13
	s_nop 1
	v_cndmask_b32_e64 v18, 0, v18, s[2:3]
	v_cmp_lt_i32_e64 s[2:3], v38, v40
	s_nop 1
	v_cndmask_b32_e64 v16, 0, v16, s[2:3]
	v_perm_b32 v16, v18, v16, s27
	v_lshrrev_b32_e32 v18, 16, v12
	v_cmp_lt_i32_e64 s[2:3], v7, v13
	s_nop 1
	v_cndmask_b32_e64 v18, 0, v18, s[2:3]
	v_cmp_lt_i32_e64 s[2:3], v6, v40
	s_nop 1
	v_cndmask_b32_e64 v12, 0, v12, s[2:3]
	v_cmp_lt_i32_e64 s[2:3], v19, v13
	v_perm_b32 v12, v18, v12, s27
	s_nop 0
	v_cndmask_b32_e64 v14, 0, v14, s[2:3]
	v_cmp_lt_i32_e64 s[2:3], v1, v40
	s_nop 1
	v_cndmask_b32_e64 v15, 0, v15, s[2:3]
	v_perm_b32 v14, v14, v15, s27
.LBB286_1472:                           ;   in Loop: Header=BB286_1064 Depth=1
	s_or_b64 exec, exec, s[8:9]
	;;#ASMSTART
	v_pk_mul_f16 v15, v34, v22;

	;;#ASMEND
	;;#ASMSTART
	v_pk_mul_f16 v16, v35, v16;

	;;#ASMEND
	;; [unrolled: 4-line block ×4, first 2 shown]
	s_mov_b64 s[2:3], 0
	;;#ASMSTART
	v_pk_add_f16 v15, v15, v16;

	;;#ASMEND
                                        ; implicit-def: $sgpr20
	s_nop 0
	;;#ASMSTART
	v_pk_add_f16 v12, v15, v12;

	;;#ASMEND
	s_nop 0
	;;#ASMSTART
	v_pk_add_f16 v12, v12, v14;

	;;#ASMEND
	s_nop 0
	v_lshrrev_b32_e32 v14, 16, v12
	v_and_b32_e32 v12, 0xffff, v12
	;;#ASMSTART
	v_cvt_f32_f16 v40, v12;
	;;#ASMEND
	;;#ASMSTART
	v_cvt_f32_f16 v41, v14;
	;;#ASMEND
	v_accvgpr_read_b32 v14, a26
	v_accvgpr_read_b32 v15, a27
	v_lshl_add_u64 v[14:15], v[10:11], 0, v[14:15]
	flat_load_dwordx2 v[44:45], v[14:15]
	s_nop 0
	scratch_load_dwordx2 v[14:15], off, s32 offset:188 ; 8-byte Folded Reload
	s_waitcnt vmcnt(0) lgkmcnt(0)
	v_cmp_gt_i16_sdwa s[8:9], v44, s17 src0_sel:BYTE_0 src1_sel:DWORD
	flat_load_dword v42, v[14:15]
	s_and_saveexec_b64 s[18:19], s[8:9]
	s_xor_b64 s[8:9], exec, s[18:19]
	s_cbranch_execnz .LBB286_1992
; %bb.1473:                             ;   in Loop: Header=BB286_1064 Depth=1
	s_or_saveexec_b64 s[8:9], s[8:9]
	v_mov_b32_e32 v46, s20
	s_xor_b64 exec, exec, s[8:9]
	s_cbranch_execnz .LBB286_1995
.LBB286_1474:                           ;   in Loop: Header=BB286_1064 Depth=1
	s_or_b64 exec, exec, s[8:9]
	s_and_saveexec_b64 s[8:9], s[2:3]
	s_cbranch_execz .LBB286_1476
.LBB286_1475:                           ;   in Loop: Header=BB286_1064 Depth=1
	v_and_b32_e32 v12, 7, v44
	v_ffbh_u32_e32 v12, v12
	v_bfe_u32 v14, v44, 3, 4
	v_min_u32_e32 v12, 32, v12
	v_subrev_u32_e32 v15, 28, v12
	v_sub_u32_e32 v12, 29, v12
	v_cmp_eq_u32_e64 s[2:3], 0, v14
	s_nop 1
	v_cndmask_b32_e64 v12, v14, v12, s[2:3]
	v_cndmask_b32_e64 v14, 0, v15, s[2:3]
	v_lshlrev_b64 v[14:15], v14, v[44:45]
	v_lshlrev_b32_e32 v15, 8, v44
	v_lshl_add_u32 v12, v12, 10, v61
	v_lshlrev_b32_e32 v14, 7, v14
	v_and_or_b32 v12, v15, s23, v12
	v_and_or_b32 v12, v14, s24, v12
	v_cvt_f32_f16_e32 v46, v12
.LBB286_1476:                           ;   in Loop: Header=BB286_1064 Depth=1
	s_or_b64 exec, exec, s[8:9]
	v_lshrrev_b16_e32 v16, 8, v44
	v_cmp_lt_i16_e64 s[2:3], s17, v16
	s_mov_b64 s[8:9], 0
                                        ; implicit-def: $sgpr28
	s_and_saveexec_b64 s[18:19], s[2:3]
	s_xor_b64 s[18:19], exec, s[18:19]
	s_cbranch_execnz .LBB286_1996
; %bb.1477:                             ;   in Loop: Header=BB286_1064 Depth=1
	s_or_saveexec_b64 s[18:19], s[18:19]
	v_mov_b32_e32 v56, s28
	s_xor_b64 exec, exec, s[18:19]
	s_cbranch_execnz .LBB286_1999
.LBB286_1478:                           ;   in Loop: Header=BB286_1064 Depth=1
	s_or_b64 exec, exec, s[18:19]
	s_and_saveexec_b64 s[18:19], s[8:9]
	s_cbranch_execz .LBB286_1480
.LBB286_1479:                           ;   in Loop: Header=BB286_1064 Depth=1
	v_and_b32_e32 v12, 7, v16
	v_ffbh_u32_e32 v14, v12
	v_min_u32_e32 v22, 32, v14
	v_subrev_u32_e32 v14, 28, v22
	v_bfe_u32 v18, v16, 3, 4
	v_lshlrev_b64 v[14:15], v14, v[16:17]
	v_sub_u32_e32 v15, 29, v22
	v_cmp_eq_u32_e64 s[2:3], 0, v18
	v_and_b32_e32 v14, 7, v14
	s_nop 0
	v_cndmask_b32_e64 v15, v18, v15, s[2:3]
	v_cndmask_b32_e64 v12, v12, v14, s[2:3]
	v_lshlrev_b32_e32 v14, 8, v16
	v_lshl_add_u32 v15, v15, 10, v61
	v_and_or_b32 v14, v14, s23, v15
	v_lshl_or_b32 v12, v12, 7, v14
	v_cvt_f32_f16_e32 v56, v12
.LBB286_1480:                           ;   in Loop: Header=BB286_1064 Depth=1
	s_or_b64 exec, exec, s[18:19]
	v_lshrrev_b32_e32 v16, 16, v44
	v_cmp_gt_i16_sdwa s[8:9], v16, s17 src0_sel:BYTE_0 src1_sel:DWORD
	s_mov_b64 s[2:3], 0
                                        ; implicit-def: $sgpr20
	s_and_saveexec_b64 s[18:19], s[8:9]
	s_xor_b64 s[8:9], exec, s[18:19]
	s_cbranch_execnz .LBB286_2000
; %bb.1481:                             ;   in Loop: Header=BB286_1064 Depth=1
	s_or_saveexec_b64 s[8:9], s[8:9]
	v_mov_b32_e32 v47, s20
	s_xor_b64 exec, exec, s[8:9]
	s_cbranch_execnz .LBB286_2003
.LBB286_1482:                           ;   in Loop: Header=BB286_1064 Depth=1
	s_or_b64 exec, exec, s[8:9]
	s_and_saveexec_b64 s[8:9], s[2:3]
	s_cbranch_execz .LBB286_1484
.LBB286_1483:                           ;   in Loop: Header=BB286_1064 Depth=1
	v_bfe_u32 v12, v44, 16, 3
	v_ffbh_u32_e32 v14, v12
	v_min_u32_e32 v22, 32, v14
	v_subrev_u32_e32 v14, 28, v22
	v_bfe_u32 v18, v44, 19, 4
	v_lshlrev_b64 v[14:15], v14, v[16:17]
	v_sub_u32_e32 v15, 29, v22
	v_cmp_eq_u32_e64 s[2:3], 0, v18
	v_and_b32_e32 v14, 7, v14
	s_nop 0
	v_cndmask_b32_e64 v15, v18, v15, s[2:3]
	v_cndmask_b32_e64 v12, v12, v14, s[2:3]
	v_lshlrev_b32_e32 v14, 8, v16
	v_lshl_add_u32 v15, v15, 10, v61
	v_and_or_b32 v14, v14, s23, v15
	v_lshl_or_b32 v12, v12, 7, v14
	v_cvt_f32_f16_e32 v47, v12
.LBB286_1484:                           ;   in Loop: Header=BB286_1064 Depth=1
	s_or_b64 exec, exec, s[8:9]
	v_lshrrev_b32_e32 v16, 24, v44
	v_cmp_lt_i16_e64 s[2:3], s17, v16
	s_mov_b64 s[8:9], 0
                                        ; implicit-def: $sgpr28
	s_and_saveexec_b64 s[18:19], s[2:3]
	s_xor_b64 s[18:19], exec, s[18:19]
	s_cbranch_execnz .LBB286_2004
; %bb.1485:                             ;   in Loop: Header=BB286_1064 Depth=1
	s_or_saveexec_b64 s[18:19], s[18:19]
	v_mov_b32_e32 v57, s28
	s_xor_b64 exec, exec, s[18:19]
	s_cbranch_execnz .LBB286_2007
.LBB286_1486:                           ;   in Loop: Header=BB286_1064 Depth=1
	s_or_b64 exec, exec, s[18:19]
	s_and_saveexec_b64 s[18:19], s[8:9]
	s_cbranch_execz .LBB286_1488
.LBB286_1487:                           ;   in Loop: Header=BB286_1064 Depth=1
	v_bfe_u32 v12, v44, 24, 3
	v_ffbh_u32_e32 v14, v12
	v_min_u32_e32 v22, 32, v14
	v_subrev_u32_e32 v14, 28, v22
	v_bfe_u32 v18, v44, 27, 4
	v_lshlrev_b64 v[14:15], v14, v[16:17]
	v_sub_u32_e32 v15, 29, v22
	v_cmp_eq_u32_e64 s[2:3], 0, v18
	v_and_b32_e32 v14, 7, v14
	s_nop 0
	v_cndmask_b32_e64 v15, v18, v15, s[2:3]
	v_cndmask_b32_e64 v12, v12, v14, s[2:3]
	v_lshlrev_b32_e32 v14, 8, v16
	v_lshl_add_u32 v15, v15, 10, v61
	v_and_or_b32 v14, v14, s23, v15
	v_lshl_or_b32 v12, v12, 7, v14
	v_cvt_f32_f16_e32 v57, v12
.LBB286_1488:                           ;   in Loop: Header=BB286_1064 Depth=1
	s_or_b64 exec, exec, s[18:19]
	v_cmp_gt_i16_sdwa s[8:9], v45, s17 src0_sel:BYTE_0 src1_sel:DWORD
	s_mov_b64 s[2:3], 0
                                        ; implicit-def: $sgpr20
	s_and_saveexec_b64 s[18:19], s[8:9]
	s_xor_b64 s[8:9], exec, s[18:19]
	s_cbranch_execnz .LBB286_2008
; %bb.1489:                             ;   in Loop: Header=BB286_1064 Depth=1
	s_or_saveexec_b64 s[8:9], s[8:9]
	v_mov_b32_e32 v12, s20
	s_xor_b64 exec, exec, s[8:9]
	s_cbranch_execnz .LBB286_2011
.LBB286_1490:                           ;   in Loop: Header=BB286_1064 Depth=1
	s_or_b64 exec, exec, s[8:9]
	v_mov_b32_e32 v16, v45
	s_and_saveexec_b64 s[8:9], s[2:3]
	s_cbranch_execz .LBB286_1492
.LBB286_1491:                           ;   in Loop: Header=BB286_1064 Depth=1
	v_and_b32_e32 v12, 7, v45
	v_ffbh_u32_e32 v12, v12
	v_bfe_u32 v14, v45, 3, 4
	v_min_u32_e32 v12, 32, v12
	v_subrev_u32_e32 v15, 28, v12
	v_sub_u32_e32 v12, 29, v12
	v_cmp_eq_u32_e64 s[2:3], 0, v14
	s_nop 1
	v_cndmask_b32_e64 v12, v14, v12, s[2:3]
	v_cndmask_b32_e64 v14, 0, v15, s[2:3]
	v_lshlrev_b64 v[14:15], v14, v[16:17]
	v_lshlrev_b32_e32 v15, 8, v45
	v_lshl_add_u32 v12, v12, 10, v61
	v_lshlrev_b32_e32 v14, 7, v14
	v_and_or_b32 v12, v15, s23, v12
	v_and_or_b32 v12, v14, s24, v12
	v_cvt_f32_f16_e32 v12, v12
.LBB286_1492:                           ;   in Loop: Header=BB286_1064 Depth=1
	s_or_b64 exec, exec, s[8:9]
	v_lshrrev_b16_e32 v16, 8, v16
	v_cmp_lt_i16_e64 s[2:3], s17, v16
	s_mov_b64 s[8:9], 0
                                        ; implicit-def: $sgpr28
	s_and_saveexec_b64 s[18:19], s[2:3]
	s_xor_b64 s[18:19], exec, s[18:19]
	s_cbranch_execnz .LBB286_2012
; %bb.1493:                             ;   in Loop: Header=BB286_1064 Depth=1
	s_or_saveexec_b64 s[18:19], s[18:19]
	v_mov_b32_e32 v14, s28
	s_xor_b64 exec, exec, s[18:19]
	s_cbranch_execnz .LBB286_2015
.LBB286_1494:                           ;   in Loop: Header=BB286_1064 Depth=1
	s_or_b64 exec, exec, s[18:19]
	s_and_saveexec_b64 s[18:19], s[8:9]
	s_cbranch_execz .LBB286_1496
.LBB286_1495:                           ;   in Loop: Header=BB286_1064 Depth=1
	v_and_b32_e32 v18, 7, v16
	v_ffbh_u32_e32 v14, v18
	v_min_u32_e32 v23, 32, v14
	v_subrev_u32_e32 v14, 28, v23
	v_bfe_u32 v22, v16, 3, 4
	v_lshlrev_b64 v[14:15], v14, v[16:17]
	v_sub_u32_e32 v15, 29, v23
	v_cmp_eq_u32_e64 s[2:3], 0, v22
	v_and_b32_e32 v14, 7, v14
	v_lshlrev_b32_e32 v16, 8, v16
	v_cndmask_b32_e64 v15, v22, v15, s[2:3]
	v_lshl_add_u32 v15, v15, 10, v61
	v_cndmask_b32_e64 v14, v18, v14, s[2:3]
	v_and_or_b32 v15, v16, s23, v15
	v_lshl_or_b32 v14, v14, 7, v15
	v_cvt_f32_f16_e32 v14, v14
.LBB286_1496:                           ;   in Loop: Header=BB286_1064 Depth=1
	s_or_b64 exec, exec, s[18:19]
	v_lshrrev_b32_e32 v16, 16, v45
	v_cmp_gt_i16_sdwa s[8:9], v16, s17 src0_sel:BYTE_0 src1_sel:DWORD
	s_mov_b64 s[2:3], 0
                                        ; implicit-def: $sgpr20
	s_and_saveexec_b64 s[18:19], s[8:9]
	s_xor_b64 s[8:9], exec, s[18:19]
	s_cbranch_execnz .LBB286_2016
; %bb.1497:                             ;   in Loop: Header=BB286_1064 Depth=1
	s_or_saveexec_b64 s[8:9], s[8:9]
	v_mov_b32_e32 v15, s20
	s_xor_b64 exec, exec, s[8:9]
	s_cbranch_execnz .LBB286_2019
.LBB286_1498:                           ;   in Loop: Header=BB286_1064 Depth=1
	s_or_b64 exec, exec, s[8:9]
	s_and_saveexec_b64 s[8:9], s[2:3]
	s_cbranch_execz .LBB286_1500
.LBB286_1499:                           ;   in Loop: Header=BB286_1064 Depth=1
	v_bfe_u32 v15, v45, 16, 3
	v_ffbh_u32_e32 v22, v15
	v_min_u32_e32 v43, 32, v22
	v_subrev_u32_e32 v22, 28, v43
	v_bfe_u32 v18, v45, 19, 4
	v_lshlrev_b64 v[22:23], v22, v[16:17]
	v_sub_u32_e32 v23, 29, v43
	v_cmp_eq_u32_e64 s[2:3], 0, v18
	v_and_b32_e32 v22, 7, v22
	v_lshlrev_b32_e32 v16, 8, v16
	v_cndmask_b32_e64 v18, v18, v23, s[2:3]
	v_lshl_add_u32 v18, v18, 10, v61
	v_cndmask_b32_e64 v15, v15, v22, s[2:3]
	v_and_or_b32 v16, v16, s23, v18
	v_lshl_or_b32 v15, v15, 7, v16
	v_cvt_f32_f16_e32 v15, v15
.LBB286_1500:                           ;   in Loop: Header=BB286_1064 Depth=1
	s_or_b64 exec, exec, s[8:9]
	v_lshrrev_b32_e32 v16, 24, v45
	v_cmp_lt_i16_e64 s[2:3], s17, v16
	s_mov_b64 s[8:9], 0
                                        ; implicit-def: $sgpr28
	s_and_saveexec_b64 s[18:19], s[2:3]
	s_xor_b64 s[18:19], exec, s[18:19]
	s_cbranch_execnz .LBB286_2020
; %bb.1501:                             ;   in Loop: Header=BB286_1064 Depth=1
	s_or_saveexec_b64 s[18:19], s[18:19]
	v_mov_b32_e32 v23, s28
	s_xor_b64 exec, exec, s[18:19]
	s_cbranch_execnz .LBB286_2023
.LBB286_1502:                           ;   in Loop: Header=BB286_1064 Depth=1
	s_or_b64 exec, exec, s[18:19]
	s_and_saveexec_b64 s[18:19], s[8:9]
	s_cbranch_execz .LBB286_1504
.LBB286_1503:                           ;   in Loop: Header=BB286_1064 Depth=1
	v_bfe_u32 v18, v45, 24, 3
	v_ffbh_u32_e32 v22, v18
	v_min_u32_e32 v44, 32, v22
	v_subrev_u32_e32 v22, 28, v44
	v_bfe_u32 v43, v45, 27, 4
	v_lshlrev_b64 v[22:23], v22, v[16:17]
	v_sub_u32_e32 v23, 29, v44
	v_cmp_eq_u32_e64 s[2:3], 0, v43
	v_and_b32_e32 v22, 7, v22
	v_lshlrev_b32_e32 v16, 8, v16
	v_cndmask_b32_e64 v23, v43, v23, s[2:3]
	v_cndmask_b32_e64 v18, v18, v22, s[2:3]
	v_lshl_add_u32 v22, v23, 10, v61
	v_and_or_b32 v16, v16, s23, v22
	v_lshl_or_b32 v16, v18, 7, v16
	v_cvt_f32_f16_e32 v23, v16
.LBB286_1504:                           ;   in Loop: Header=BB286_1064 Depth=1
	s_or_b64 exec, exec, s[18:19]
	s_waitcnt vmcnt(0) lgkmcnt(0)
	v_pk_mul_f32 v[44:45], v[42:43], v[56:57] op_sel_hi:[0,1]
	v_pk_mul_f32 v[46:47], v[42:43], v[46:47] op_sel_hi:[0,1]
	v_cvt_f16_f32_e32 v16, v45
	v_cvt_f16_f32_e32 v18, v44
	;; [unrolled: 1-line block ×4, first 2 shown]
	v_fma_mixlo_f16 v14, v42, v14, 0
	v_lshlrev_b32_e32 v14, 16, v14
	v_fma_mixlo_f16 v12, v42, v12, 0
	v_or_b32_sdwa v12, v14, v12 dst_sel:DWORD dst_unused:UNUSED_PAD src0_sel:DWORD src1_sel:WORD_0
	v_fma_mixlo_f16 v14, v42, v23, 0
	v_pack_b32_f16 v18, v18, v16
	v_pack_b32_f16 v22, v43, v22
	v_fma_mixlo_f16 v15, v42, v15, 0
	v_lshlrev_b32_e32 v14, 16, v14
	v_perm_b32 v16, v22, v18, s25
	v_perm_b32 v22, v22, v18, s26
	v_or_b32_sdwa v14, v14, v15 dst_sel:DWORD dst_unused:UNUSED_PAD src0_sel:DWORD src1_sel:WORD_0
	s_and_saveexec_b64 s[8:9], vcc
	s_cbranch_execz .LBB286_1506
; %bb.1505:                             ;   in Loop: Header=BB286_1064 Depth=1
	scratch_load_dwordx2 v[42:43], off, s32 offset:196 ; 8-byte Folded Reload
	v_lshrrev_b32_e32 v18, 16, v22
	v_cmp_lt_i32_e64 s[2:3], v48, v13
	v_lshrrev_b32_e32 v14, 16, v14
	s_nop 0
	v_cndmask_b32_e64 v18, 0, v18, s[2:3]
	s_waitcnt vmcnt(0)
	v_cmp_lt_i32_e64 s[2:3], v60, v42
	s_nop 1
	v_cndmask_b32_e64 v22, 0, v22, s[2:3]
	v_perm_b32 v22, v18, v22, s27
	v_lshrrev_b32_e32 v18, 16, v16
	v_cmp_lt_i32_e64 s[2:3], v39, v13
	s_nop 1
	v_cndmask_b32_e64 v18, 0, v18, s[2:3]
	v_cmp_lt_i32_e64 s[2:3], v38, v42
	s_nop 1
	v_cndmask_b32_e64 v16, 0, v16, s[2:3]
	v_perm_b32 v16, v18, v16, s27
	v_lshrrev_b32_e32 v18, 16, v12
	v_cmp_lt_i32_e64 s[2:3], v7, v13
	s_nop 1
	v_cndmask_b32_e64 v18, 0, v18, s[2:3]
	v_cmp_lt_i32_e64 s[2:3], v6, v42
	s_nop 1
	v_cndmask_b32_e64 v12, 0, v12, s[2:3]
	v_cmp_lt_i32_e64 s[2:3], v19, v13
	v_perm_b32 v12, v18, v12, s27
	s_nop 0
	v_cndmask_b32_e64 v14, 0, v14, s[2:3]
	v_cmp_lt_i32_e64 s[2:3], v1, v42
	s_nop 1
	v_cndmask_b32_e64 v15, 0, v15, s[2:3]
	v_perm_b32 v14, v14, v15, s27
.LBB286_1506:                           ;   in Loop: Header=BB286_1064 Depth=1
	s_or_b64 exec, exec, s[8:9]
	;;#ASMSTART
	v_pk_mul_f16 v15, v34, v22;

	;;#ASMEND
	;;#ASMSTART
	v_pk_mul_f16 v16, v35, v16;

	;;#ASMEND
	;; [unrolled: 4-line block ×3, first 2 shown]
	v_accvgpr_read_b32 v22, a28
	;;#ASMSTART
	v_pk_mul_f16 v14, v37, v14;

	;;#ASMEND
	;;#ASMSTART
	v_pk_add_f16 v15, v15, v16;

	;;#ASMEND
	v_accvgpr_read_b32 v23, a29
	;;#ASMSTART
	v_pk_add_f16 v12, v15, v12;

	;;#ASMEND
	v_lshl_add_u64 v[22:23], v[10:11], 0, v[22:23]
	;;#ASMSTART
	v_pk_add_f16 v12, v12, v14;

	;;#ASMEND
	s_mov_b64 s[2:3], 0
	v_lshrrev_b32_e32 v15, 16, v12
	v_and_b32_e32 v12, 0xffff, v12
	;;#ASMSTART
	v_cvt_f32_f16 v14, v12;
	;;#ASMEND
	;;#ASMSTART
	v_cvt_f32_f16 v15, v15;
	;;#ASMEND
	flat_load_dwordx2 v[44:45], v[22:23]
	s_nop 0
	scratch_load_dwordx2 v[22:23], off, s32 offset:188 ; 8-byte Folded Reload
                                        ; implicit-def: $sgpr20
	s_waitcnt vmcnt(0) lgkmcnt(0)
	v_cmp_gt_i16_sdwa s[8:9], v44, s17 src0_sel:BYTE_0 src1_sel:DWORD
	flat_load_dword v42, v[22:23]
	s_and_saveexec_b64 s[18:19], s[8:9]
	s_xor_b64 s[8:9], exec, s[18:19]
	s_cbranch_execnz .LBB286_2024
; %bb.1507:                             ;   in Loop: Header=BB286_1064 Depth=1
	s_or_saveexec_b64 s[8:9], s[8:9]
	v_mov_b32_e32 v46, s20
	s_xor_b64 exec, exec, s[8:9]
	s_cbranch_execnz .LBB286_2027
.LBB286_1508:                           ;   in Loop: Header=BB286_1064 Depth=1
	s_or_b64 exec, exec, s[8:9]
	s_and_saveexec_b64 s[8:9], s[2:3]
	s_cbranch_execz .LBB286_1510
.LBB286_1509:                           ;   in Loop: Header=BB286_1064 Depth=1
	v_and_b32_e32 v12, 7, v44
	v_ffbh_u32_e32 v12, v12
	v_bfe_u32 v16, v44, 3, 4
	v_min_u32_e32 v12, 32, v12
	v_subrev_u32_e32 v18, 28, v12
	v_sub_u32_e32 v12, 29, v12
	v_cmp_eq_u32_e64 s[2:3], 0, v16
	s_nop 1
	v_cndmask_b32_e64 v12, v16, v12, s[2:3]
	v_cndmask_b32_e64 v16, 0, v18, s[2:3]
	v_lshlrev_b64 v[22:23], v16, v[44:45]
	v_lshlrev_b32_e32 v18, 8, v44
	v_lshl_add_u32 v12, v12, 10, v61
	v_lshlrev_b32_e32 v16, 7, v22
	v_and_or_b32 v12, v18, s23, v12
	v_and_or_b32 v12, v16, s24, v12
	v_cvt_f32_f16_e32 v46, v12
.LBB286_1510:                           ;   in Loop: Header=BB286_1064 Depth=1
	s_or_b64 exec, exec, s[8:9]
	v_lshrrev_b16_e32 v16, 8, v44
	v_cmp_lt_i16_e64 s[2:3], s17, v16
	s_mov_b64 s[8:9], 0
                                        ; implicit-def: $sgpr28
	s_and_saveexec_b64 s[18:19], s[2:3]
	s_xor_b64 s[18:19], exec, s[18:19]
	s_cbranch_execnz .LBB286_2028
; %bb.1511:                             ;   in Loop: Header=BB286_1064 Depth=1
	s_or_saveexec_b64 s[18:19], s[18:19]
	v_mov_b32_e32 v56, s28
	s_xor_b64 exec, exec, s[18:19]
	s_cbranch_execnz .LBB286_2031
.LBB286_1512:                           ;   in Loop: Header=BB286_1064 Depth=1
	s_or_b64 exec, exec, s[18:19]
	s_and_saveexec_b64 s[18:19], s[8:9]
	s_cbranch_execz .LBB286_1514
.LBB286_1513:                           ;   in Loop: Header=BB286_1064 Depth=1
	v_and_b32_e32 v12, 7, v16
	v_ffbh_u32_e32 v22, v12
	v_min_u32_e32 v43, 32, v22
	v_subrev_u32_e32 v22, 28, v43
	v_bfe_u32 v18, v16, 3, 4
	v_lshlrev_b64 v[22:23], v22, v[16:17]
	v_sub_u32_e32 v23, 29, v43
	v_cmp_eq_u32_e64 s[2:3], 0, v18
	v_and_b32_e32 v22, 7, v22
	v_lshlrev_b32_e32 v16, 8, v16
	v_cndmask_b32_e64 v18, v18, v23, s[2:3]
	v_lshl_add_u32 v18, v18, 10, v61
	v_cndmask_b32_e64 v12, v12, v22, s[2:3]
	v_and_or_b32 v16, v16, s23, v18
	v_lshl_or_b32 v12, v12, 7, v16
	v_cvt_f32_f16_e32 v56, v12
.LBB286_1514:                           ;   in Loop: Header=BB286_1064 Depth=1
	s_or_b64 exec, exec, s[18:19]
	v_lshrrev_b32_e32 v16, 16, v44
	v_cmp_gt_i16_sdwa s[8:9], v16, s17 src0_sel:BYTE_0 src1_sel:DWORD
	s_mov_b64 s[2:3], 0
                                        ; implicit-def: $sgpr20
	s_and_saveexec_b64 s[18:19], s[8:9]
	s_xor_b64 s[8:9], exec, s[18:19]
	s_cbranch_execnz .LBB286_2032
; %bb.1515:                             ;   in Loop: Header=BB286_1064 Depth=1
	s_or_saveexec_b64 s[8:9], s[8:9]
	v_mov_b32_e32 v47, s20
	s_xor_b64 exec, exec, s[8:9]
	s_cbranch_execnz .LBB286_2035
.LBB286_1516:                           ;   in Loop: Header=BB286_1064 Depth=1
	s_or_b64 exec, exec, s[8:9]
	s_and_saveexec_b64 s[8:9], s[2:3]
	s_cbranch_execz .LBB286_1518
.LBB286_1517:                           ;   in Loop: Header=BB286_1064 Depth=1
	v_bfe_u32 v12, v44, 16, 3
	v_ffbh_u32_e32 v22, v12
	v_min_u32_e32 v43, 32, v22
	v_subrev_u32_e32 v22, 28, v43
	v_bfe_u32 v18, v44, 19, 4
	v_lshlrev_b64 v[22:23], v22, v[16:17]
	v_sub_u32_e32 v23, 29, v43
	v_cmp_eq_u32_e64 s[2:3], 0, v18
	v_and_b32_e32 v22, 7, v22
	v_lshlrev_b32_e32 v16, 8, v16
	v_cndmask_b32_e64 v18, v18, v23, s[2:3]
	v_lshl_add_u32 v18, v18, 10, v61
	v_cndmask_b32_e64 v12, v12, v22, s[2:3]
	v_and_or_b32 v16, v16, s23, v18
	v_lshl_or_b32 v12, v12, 7, v16
	v_cvt_f32_f16_e32 v47, v12
.LBB286_1518:                           ;   in Loop: Header=BB286_1064 Depth=1
	s_or_b64 exec, exec, s[8:9]
	v_lshrrev_b32_e32 v16, 24, v44
	v_cmp_lt_i16_e64 s[2:3], s17, v16
	s_mov_b64 s[8:9], 0
                                        ; implicit-def: $sgpr28
	s_and_saveexec_b64 s[18:19], s[2:3]
	s_xor_b64 s[18:19], exec, s[18:19]
	s_cbranch_execnz .LBB286_2036
; %bb.1519:                             ;   in Loop: Header=BB286_1064 Depth=1
	s_or_saveexec_b64 s[18:19], s[18:19]
	v_mov_b32_e32 v57, s28
	s_xor_b64 exec, exec, s[18:19]
	s_cbranch_execnz .LBB286_2039
.LBB286_1520:                           ;   in Loop: Header=BB286_1064 Depth=1
	s_or_b64 exec, exec, s[18:19]
	s_and_saveexec_b64 s[18:19], s[8:9]
	s_cbranch_execz .LBB286_1522
.LBB286_1521:                           ;   in Loop: Header=BB286_1064 Depth=1
	v_bfe_u32 v12, v44, 24, 3
	v_ffbh_u32_e32 v22, v12
	v_min_u32_e32 v43, 32, v22
	v_subrev_u32_e32 v22, 28, v43
	v_bfe_u32 v18, v44, 27, 4
	v_lshlrev_b64 v[22:23], v22, v[16:17]
	v_sub_u32_e32 v23, 29, v43
	v_cmp_eq_u32_e64 s[2:3], 0, v18
	v_and_b32_e32 v22, 7, v22
	v_lshlrev_b32_e32 v16, 8, v16
	v_cndmask_b32_e64 v18, v18, v23, s[2:3]
	v_lshl_add_u32 v18, v18, 10, v61
	v_cndmask_b32_e64 v12, v12, v22, s[2:3]
	v_and_or_b32 v16, v16, s23, v18
	v_lshl_or_b32 v12, v12, 7, v16
	v_cvt_f32_f16_e32 v57, v12
.LBB286_1522:                           ;   in Loop: Header=BB286_1064 Depth=1
	s_or_b64 exec, exec, s[18:19]
	v_cmp_gt_i16_sdwa s[8:9], v45, s17 src0_sel:BYTE_0 src1_sel:DWORD
	s_mov_b64 s[2:3], 0
                                        ; implicit-def: $sgpr20
	s_and_saveexec_b64 s[18:19], s[8:9]
	s_xor_b64 s[8:9], exec, s[18:19]
	s_cbranch_execnz .LBB286_2040
; %bb.1523:                             ;   in Loop: Header=BB286_1064 Depth=1
	s_or_saveexec_b64 s[8:9], s[8:9]
	v_mov_b32_e32 v12, s20
	s_xor_b64 exec, exec, s[8:9]
	s_cbranch_execnz .LBB286_2043
.LBB286_1524:                           ;   in Loop: Header=BB286_1064 Depth=1
	s_or_b64 exec, exec, s[8:9]
	v_mov_b32_e32 v16, v45
	s_and_saveexec_b64 s[8:9], s[2:3]
	s_cbranch_execz .LBB286_1526
.LBB286_1525:                           ;   in Loop: Header=BB286_1064 Depth=1
	v_and_b32_e32 v12, 7, v45
	v_ffbh_u32_e32 v12, v12
	v_bfe_u32 v18, v45, 3, 4
	v_min_u32_e32 v12, 32, v12
	v_subrev_u32_e32 v22, 28, v12
	v_sub_u32_e32 v12, 29, v12
	v_cmp_eq_u32_e64 s[2:3], 0, v18
	s_nop 1
	v_cndmask_b32_e64 v12, v18, v12, s[2:3]
	v_cndmask_b32_e64 v18, 0, v22, s[2:3]
	v_lshlrev_b64 v[22:23], v18, v[16:17]
	v_lshlrev_b32_e32 v18, 7, v22
	v_lshlrev_b32_e32 v22, 8, v45
	v_lshl_add_u32 v12, v12, 10, v61
	v_and_or_b32 v12, v22, s23, v12
	v_and_or_b32 v12, v18, s24, v12
	v_cvt_f32_f16_e32 v12, v12
.LBB286_1526:                           ;   in Loop: Header=BB286_1064 Depth=1
	s_or_b64 exec, exec, s[8:9]
	v_lshrrev_b16_e32 v16, 8, v16
	v_cmp_lt_i16_e64 s[2:3], s17, v16
	s_mov_b64 s[8:9], 0
                                        ; implicit-def: $sgpr28
	s_and_saveexec_b64 s[18:19], s[2:3]
	s_xor_b64 s[18:19], exec, s[18:19]
	s_cbranch_execnz .LBB286_2044
; %bb.1527:                             ;   in Loop: Header=BB286_1064 Depth=1
	s_or_saveexec_b64 s[18:19], s[18:19]
	v_mov_b32_e32 v22, s28
	s_xor_b64 exec, exec, s[18:19]
	s_cbranch_execnz .LBB286_2047
.LBB286_1528:                           ;   in Loop: Header=BB286_1064 Depth=1
	s_or_b64 exec, exec, s[18:19]
	s_and_saveexec_b64 s[18:19], s[8:9]
	s_cbranch_execz .LBB286_1530
.LBB286_1529:                           ;   in Loop: Header=BB286_1064 Depth=1
	v_and_b32_e32 v18, 7, v16
	v_ffbh_u32_e32 v22, v18
	v_min_u32_e32 v44, 32, v22
	v_subrev_u32_e32 v22, 28, v44
	v_bfe_u32 v43, v16, 3, 4
	v_lshlrev_b64 v[22:23], v22, v[16:17]
	v_sub_u32_e32 v23, 29, v44
	v_cmp_eq_u32_e64 s[2:3], 0, v43
	v_and_b32_e32 v22, 7, v22
	v_lshlrev_b32_e32 v16, 8, v16
	v_cndmask_b32_e64 v23, v43, v23, s[2:3]
	v_cndmask_b32_e64 v18, v18, v22, s[2:3]
	v_lshl_add_u32 v22, v23, 10, v61
	v_and_or_b32 v16, v16, s23, v22
	v_lshl_or_b32 v16, v18, 7, v16
	v_cvt_f32_f16_e32 v22, v16
.LBB286_1530:                           ;   in Loop: Header=BB286_1064 Depth=1
	s_or_b64 exec, exec, s[18:19]
	v_lshrrev_b32_e32 v16, 16, v45
	v_cmp_gt_i16_sdwa s[8:9], v16, s17 src0_sel:BYTE_0 src1_sel:DWORD
	s_mov_b64 s[2:3], 0
                                        ; implicit-def: $sgpr20
	s_and_saveexec_b64 s[18:19], s[8:9]
	s_xor_b64 s[8:9], exec, s[18:19]
	s_cbranch_execnz .LBB286_2048
; %bb.1531:                             ;   in Loop: Header=BB286_1064 Depth=1
	s_or_saveexec_b64 s[8:9], s[8:9]
	v_mov_b32_e32 v23, s20
	s_xor_b64 exec, exec, s[8:9]
	s_cbranch_execnz .LBB286_2051
.LBB286_1532:                           ;   in Loop: Header=BB286_1064 Depth=1
	s_or_b64 exec, exec, s[8:9]
	s_and_saveexec_b64 s[8:9], s[2:3]
	s_cbranch_execz .LBB286_1534
.LBB286_1533:                           ;   in Loop: Header=BB286_1064 Depth=1
	v_bfe_u32 v18, v45, 16, 3
	v_ffbh_u32_e32 v43, v18
	v_bfe_u32 v23, v45, 19, 4
	v_min_u32_e32 v43, 32, v43
	v_subrev_u32_e32 v44, 28, v43
	v_sub_u32_e32 v43, 29, v43
	v_cmp_eq_u32_e64 s[2:3], 0, v23
	v_lshlrev_b64 v[58:59], v44, v[16:17]
	v_and_b32_e32 v44, 7, v58
	v_cndmask_b32_e64 v23, v23, v43, s[2:3]
	v_lshlrev_b32_e32 v16, 8, v16
	v_lshl_add_u32 v23, v23, 10, v61
	v_cndmask_b32_e64 v18, v18, v44, s[2:3]
	v_and_or_b32 v16, v16, s23, v23
	v_lshl_or_b32 v16, v18, 7, v16
	v_cvt_f32_f16_e32 v23, v16
.LBB286_1534:                           ;   in Loop: Header=BB286_1064 Depth=1
	s_or_b64 exec, exec, s[8:9]
	v_lshrrev_b32_e32 v16, 24, v45
	v_cmp_lt_i16_e64 s[2:3], s17, v16
	s_mov_b64 s[8:9], 0
                                        ; implicit-def: $sgpr28
	s_and_saveexec_b64 s[18:19], s[2:3]
	s_xor_b64 s[18:19], exec, s[18:19]
	s_cbranch_execnz .LBB286_2052
; %bb.1535:                             ;   in Loop: Header=BB286_1064 Depth=1
	s_or_saveexec_b64 s[18:19], s[18:19]
	v_mov_b32_e32 v44, s28
	s_xor_b64 exec, exec, s[18:19]
	s_cbranch_execnz .LBB286_2055
.LBB286_1536:                           ;   in Loop: Header=BB286_1064 Depth=1
	s_or_b64 exec, exec, s[18:19]
	s_and_saveexec_b64 s[18:19], s[8:9]
	s_cbranch_execz .LBB286_1538
.LBB286_1537:                           ;   in Loop: Header=BB286_1064 Depth=1
	v_bfe_u32 v18, v45, 24, 3
	v_ffbh_u32_e32 v44, v18
	v_min_u32_e32 v58, 32, v44
	v_subrev_u32_e32 v44, 28, v58
	v_bfe_u32 v43, v45, 27, 4
	v_lshlrev_b64 v[44:45], v44, v[16:17]
	v_sub_u32_e32 v45, 29, v58
	v_cmp_eq_u32_e64 s[2:3], 0, v43
	v_and_b32_e32 v44, 7, v44
	v_lshlrev_b32_e32 v16, 8, v16
	v_cndmask_b32_e64 v43, v43, v45, s[2:3]
	v_lshl_add_u32 v43, v43, 10, v61
	v_cndmask_b32_e64 v18, v18, v44, s[2:3]
	v_and_or_b32 v16, v16, s23, v43
	v_lshl_or_b32 v16, v18, 7, v16
	v_cvt_f32_f16_e32 v44, v16
.LBB286_1538:                           ;   in Loop: Header=BB286_1064 Depth=1
	s_or_b64 exec, exec, s[18:19]
	s_waitcnt vmcnt(0) lgkmcnt(0)
	v_pk_mul_f32 v[56:57], v[42:43], v[56:57] op_sel_hi:[0,1]
	v_pk_mul_f32 v[46:47], v[42:43], v[46:47] op_sel_hi:[0,1]
	v_cvt_f16_f32_e32 v16, v57
	v_cvt_f16_f32_e32 v18, v56
	;; [unrolled: 1-line block ×4, first 2 shown]
	v_fma_mixlo_f16 v12, v42, v12, 0
	v_pack_b32_f16 v18, v18, v16
	v_pack_b32_f16 v43, v45, v43
	v_perm_b32 v16, v43, v18, s25
	v_perm_b32 v43, v43, v18, s26
	v_fma_mixlo_f16 v18, v42, v22, 0
	v_lshlrev_b32_e32 v18, 16, v18
	v_fma_mixlo_f16 v22, v42, v44, 0
	v_or_b32_sdwa v12, v18, v12 dst_sel:DWORD dst_unused:UNUSED_PAD src0_sel:DWORD src1_sel:WORD_0
	v_fma_mixlo_f16 v18, v42, v23, 0
	v_lshlrev_b32_e32 v22, 16, v22
	v_or_b32_sdwa v22, v22, v18 dst_sel:DWORD dst_unused:UNUSED_PAD src0_sel:DWORD src1_sel:WORD_0
	s_and_saveexec_b64 s[8:9], vcc
	s_cbranch_execz .LBB286_1540
; %bb.1539:                             ;   in Loop: Header=BB286_1064 Depth=1
	scratch_load_dwordx2 v[44:45], off, s32 offset:196 ; 8-byte Folded Reload
	v_lshrrev_b32_e32 v23, 16, v43
	v_cmp_lt_i32_e64 s[2:3], v48, v13
	v_lshrrev_b32_e32 v22, 16, v22
	s_nop 0
	v_cndmask_b32_e64 v23, 0, v23, s[2:3]
	s_waitcnt vmcnt(0)
	v_cmp_lt_i32_e64 s[2:3], v60, v44
	s_nop 1
	v_cndmask_b32_e64 v42, 0, v43, s[2:3]
	v_perm_b32 v43, v23, v42, s27
	v_lshrrev_b32_e32 v23, 16, v16
	v_cmp_lt_i32_e64 s[2:3], v39, v13
	s_nop 1
	v_cndmask_b32_e64 v23, 0, v23, s[2:3]
	v_cmp_lt_i32_e64 s[2:3], v38, v44
	s_nop 1
	v_cndmask_b32_e64 v16, 0, v16, s[2:3]
	v_perm_b32 v16, v23, v16, s27
	v_lshrrev_b32_e32 v23, 16, v12
	v_cmp_lt_i32_e64 s[2:3], v7, v13
	s_nop 1
	v_cndmask_b32_e64 v23, 0, v23, s[2:3]
	v_cmp_lt_i32_e64 s[2:3], v6, v44
	s_nop 1
	v_cndmask_b32_e64 v12, 0, v12, s[2:3]
	v_cmp_lt_i32_e64 s[2:3], v19, v13
	v_perm_b32 v12, v23, v12, s27
	s_nop 0
	v_cndmask_b32_e64 v22, 0, v22, s[2:3]
	v_cmp_lt_i32_e64 s[2:3], v1, v44
	s_nop 1
	v_cndmask_b32_e64 v18, 0, v18, s[2:3]
	v_perm_b32 v22, v22, v18, s27
.LBB286_1540:                           ;   in Loop: Header=BB286_1064 Depth=1
	s_or_b64 exec, exec, s[8:9]
	;;#ASMSTART
	v_pk_mul_f16 v18, v34, v43;

	;;#ASMEND
	;;#ASMSTART
	v_pk_mul_f16 v16, v35, v16;

	;;#ASMEND
	;; [unrolled: 4-line block ×3, first 2 shown]
	v_accvgpr_read_b32 v43, a31
	;;#ASMSTART
	v_pk_mul_f16 v22, v37, v22;

	;;#ASMEND
	;;#ASMSTART
	v_pk_add_f16 v16, v18, v16;

	;;#ASMEND
	v_accvgpr_read_b32 v42, a30
	;;#ASMSTART
	v_pk_add_f16 v12, v16, v12;

	;;#ASMEND
	v_lshl_add_u64 v[42:43], v[10:11], 0, v[42:43]
	;;#ASMSTART
	v_pk_add_f16 v12, v12, v22;

	;;#ASMEND
	s_mov_b64 s[2:3], 0
	v_lshrrev_b32_e32 v16, 16, v12
	v_and_b32_e32 v12, 0xffff, v12
	;;#ASMSTART
	v_cvt_f32_f16 v22, v12;
	;;#ASMEND
	;;#ASMSTART
	v_cvt_f32_f16 v23, v16;
	;;#ASMEND
	flat_load_dwordx2 v[44:45], v[42:43]
	s_nop 0
	scratch_load_dwordx2 v[42:43], off, s32 offset:188 ; 8-byte Folded Reload
                                        ; implicit-def: $sgpr20
	s_waitcnt vmcnt(0) lgkmcnt(0)
	v_cmp_gt_i16_sdwa s[8:9], v44, s17 src0_sel:BYTE_0 src1_sel:DWORD
	flat_load_dword v42, v[42:43]
	s_and_saveexec_b64 s[18:19], s[8:9]
	s_xor_b64 s[8:9], exec, s[18:19]
	s_cbranch_execnz .LBB286_2056
; %bb.1541:                             ;   in Loop: Header=BB286_1064 Depth=1
	s_or_saveexec_b64 s[8:9], s[8:9]
	v_mov_b32_e32 v46, s20
	s_xor_b64 exec, exec, s[8:9]
	s_cbranch_execnz .LBB286_2059
.LBB286_1542:                           ;   in Loop: Header=BB286_1064 Depth=1
	s_or_b64 exec, exec, s[8:9]
	s_and_saveexec_b64 s[8:9], s[2:3]
	s_cbranch_execz .LBB286_1544
.LBB286_1543:                           ;   in Loop: Header=BB286_1064 Depth=1
	v_and_b32_e32 v12, 7, v44
	v_ffbh_u32_e32 v12, v12
	v_bfe_u32 v16, v44, 3, 4
	v_min_u32_e32 v12, 32, v12
	v_subrev_u32_e32 v18, 28, v12
	v_sub_u32_e32 v12, 29, v12
	v_cmp_eq_u32_e64 s[2:3], 0, v16
	s_nop 1
	v_cndmask_b32_e64 v12, v16, v12, s[2:3]
	v_cndmask_b32_e64 v16, 0, v18, s[2:3]
	v_lshlrev_b64 v[46:47], v16, v[44:45]
	v_lshlrev_b32_e32 v18, 8, v44
	v_lshl_add_u32 v12, v12, 10, v61
	v_lshlrev_b32_e32 v16, 7, v46
	v_and_or_b32 v12, v18, s23, v12
	v_and_or_b32 v12, v16, s24, v12
	v_cvt_f32_f16_e32 v46, v12
.LBB286_1544:                           ;   in Loop: Header=BB286_1064 Depth=1
	s_or_b64 exec, exec, s[8:9]
	v_lshrrev_b16_e32 v16, 8, v44
	v_cmp_lt_i16_e64 s[2:3], s17, v16
	s_mov_b64 s[8:9], 0
                                        ; implicit-def: $sgpr28
	s_and_saveexec_b64 s[18:19], s[2:3]
	s_xor_b64 s[18:19], exec, s[18:19]
	s_cbranch_execnz .LBB286_2060
; %bb.1545:                             ;   in Loop: Header=BB286_1064 Depth=1
	s_or_saveexec_b64 s[18:19], s[18:19]
	v_mov_b32_e32 v56, s28
	s_xor_b64 exec, exec, s[18:19]
	s_cbranch_execnz .LBB286_2063
.LBB286_1546:                           ;   in Loop: Header=BB286_1064 Depth=1
	s_or_b64 exec, exec, s[18:19]
	s_and_saveexec_b64 s[18:19], s[8:9]
	s_cbranch_execz .LBB286_1548
.LBB286_1547:                           ;   in Loop: Header=BB286_1064 Depth=1
	v_and_b32_e32 v12, 7, v16
	v_ffbh_u32_e32 v43, v12
	v_bfe_u32 v18, v16, 3, 4
	v_min_u32_e32 v43, 32, v43
	v_subrev_u32_e32 v47, 28, v43
	v_sub_u32_e32 v43, 29, v43
	v_cmp_eq_u32_e64 s[2:3], 0, v18
	v_lshlrev_b64 v[56:57], v47, v[16:17]
	v_and_b32_e32 v47, 7, v56
	v_cndmask_b32_e64 v18, v18, v43, s[2:3]
	v_lshlrev_b32_e32 v16, 8, v16
	v_lshl_add_u32 v18, v18, 10, v61
	v_cndmask_b32_e64 v12, v12, v47, s[2:3]
	v_and_or_b32 v16, v16, s23, v18
	v_lshl_or_b32 v12, v12, 7, v16
	v_cvt_f32_f16_e32 v56, v12
.LBB286_1548:                           ;   in Loop: Header=BB286_1064 Depth=1
	s_or_b64 exec, exec, s[18:19]
	v_lshrrev_b32_e32 v16, 16, v44
	v_cmp_gt_i16_sdwa s[8:9], v16, s17 src0_sel:BYTE_0 src1_sel:DWORD
	s_mov_b64 s[2:3], 0
                                        ; implicit-def: $sgpr20
	s_and_saveexec_b64 s[18:19], s[8:9]
	s_xor_b64 s[8:9], exec, s[18:19]
	s_cbranch_execnz .LBB286_2064
; %bb.1549:                             ;   in Loop: Header=BB286_1064 Depth=1
	s_or_saveexec_b64 s[8:9], s[8:9]
	v_mov_b32_e32 v47, s20
	s_xor_b64 exec, exec, s[8:9]
	s_cbranch_execnz .LBB286_2067
.LBB286_1550:                           ;   in Loop: Header=BB286_1064 Depth=1
	s_or_b64 exec, exec, s[8:9]
	s_and_saveexec_b64 s[8:9], s[2:3]
	s_cbranch_execz .LBB286_1552
.LBB286_1551:                           ;   in Loop: Header=BB286_1064 Depth=1
	v_bfe_u32 v12, v44, 16, 3
	v_ffbh_u32_e32 v43, v12
	v_bfe_u32 v18, v44, 19, 4
	v_min_u32_e32 v43, 32, v43
	v_subrev_u32_e32 v47, 28, v43
	v_sub_u32_e32 v43, 29, v43
	v_cmp_eq_u32_e64 s[2:3], 0, v18
	v_lshlrev_b64 v[58:59], v47, v[16:17]
	v_and_b32_e32 v47, 7, v58
	v_cndmask_b32_e64 v18, v18, v43, s[2:3]
	v_lshlrev_b32_e32 v16, 8, v16
	v_lshl_add_u32 v18, v18, 10, v61
	v_cndmask_b32_e64 v12, v12, v47, s[2:3]
	v_and_or_b32 v16, v16, s23, v18
	v_lshl_or_b32 v12, v12, 7, v16
	v_cvt_f32_f16_e32 v47, v12
.LBB286_1552:                           ;   in Loop: Header=BB286_1064 Depth=1
	s_or_b64 exec, exec, s[8:9]
	v_lshrrev_b32_e32 v16, 24, v44
	v_cmp_lt_i16_e64 s[2:3], s17, v16
	s_mov_b64 s[8:9], 0
                                        ; implicit-def: $sgpr28
	s_and_saveexec_b64 s[18:19], s[2:3]
	s_xor_b64 s[18:19], exec, s[18:19]
	s_cbranch_execnz .LBB286_2068
; %bb.1553:                             ;   in Loop: Header=BB286_1064 Depth=1
	s_or_saveexec_b64 s[18:19], s[18:19]
	v_mov_b32_e32 v57, s28
	s_xor_b64 exec, exec, s[18:19]
	s_cbranch_execnz .LBB286_2071
.LBB286_1554:                           ;   in Loop: Header=BB286_1064 Depth=1
	s_or_b64 exec, exec, s[18:19]
	s_and_saveexec_b64 s[18:19], s[8:9]
	s_cbranch_execz .LBB286_1556
.LBB286_1555:                           ;   in Loop: Header=BB286_1064 Depth=1
	v_bfe_u32 v12, v44, 24, 3
	v_ffbh_u32_e32 v43, v12
	v_bfe_u32 v18, v44, 27, 4
	v_min_u32_e32 v43, 32, v43
	v_subrev_u32_e32 v44, 28, v43
	v_sub_u32_e32 v43, 29, v43
	v_cmp_eq_u32_e64 s[2:3], 0, v18
	v_lshlrev_b64 v[58:59], v44, v[16:17]
	v_and_b32_e32 v44, 7, v58
	v_cndmask_b32_e64 v18, v18, v43, s[2:3]
	v_lshlrev_b32_e32 v16, 8, v16
	v_lshl_add_u32 v18, v18, 10, v61
	v_cndmask_b32_e64 v12, v12, v44, s[2:3]
	v_and_or_b32 v16, v16, s23, v18
	v_lshl_or_b32 v12, v12, 7, v16
	v_cvt_f32_f16_e32 v57, v12
.LBB286_1556:                           ;   in Loop: Header=BB286_1064 Depth=1
	s_or_b64 exec, exec, s[18:19]
	v_cmp_gt_i16_sdwa s[8:9], v45, s17 src0_sel:BYTE_0 src1_sel:DWORD
	s_mov_b64 s[2:3], 0
                                        ; implicit-def: $sgpr20
	s_and_saveexec_b64 s[18:19], s[8:9]
	s_xor_b64 s[8:9], exec, s[18:19]
	s_cbranch_execnz .LBB286_2072
; %bb.1557:                             ;   in Loop: Header=BB286_1064 Depth=1
	s_or_saveexec_b64 s[8:9], s[8:9]
	v_mov_b32_e32 v12, s20
	s_xor_b64 exec, exec, s[8:9]
	s_cbranch_execnz .LBB286_2075
.LBB286_1558:                           ;   in Loop: Header=BB286_1064 Depth=1
	s_or_b64 exec, exec, s[8:9]
	v_mov_b32_e32 v16, v45
	s_and_saveexec_b64 s[8:9], s[2:3]
	s_cbranch_execz .LBB286_1560
.LBB286_1559:                           ;   in Loop: Header=BB286_1064 Depth=1
	v_and_b32_e32 v12, 7, v45
	v_ffbh_u32_e32 v12, v12
	v_bfe_u32 v18, v45, 3, 4
	v_min_u32_e32 v12, 32, v12
	v_subrev_u32_e32 v43, 28, v12
	v_sub_u32_e32 v12, 29, v12
	v_cmp_eq_u32_e64 s[2:3], 0, v18
	s_nop 1
	v_cndmask_b32_e64 v12, v18, v12, s[2:3]
	v_cndmask_b32_e64 v18, 0, v43, s[2:3]
	v_lshlrev_b64 v[58:59], v18, v[16:17]
	v_lshlrev_b32_e32 v43, 8, v45
	v_lshl_add_u32 v12, v12, 10, v61
	v_lshlrev_b32_e32 v18, 7, v58
	v_and_or_b32 v12, v43, s23, v12
	v_and_or_b32 v12, v18, s24, v12
	v_cvt_f32_f16_e32 v12, v12
.LBB286_1560:                           ;   in Loop: Header=BB286_1064 Depth=1
	s_or_b64 exec, exec, s[8:9]
	v_lshrrev_b16_e32 v16, 8, v16
	v_cmp_lt_i16_e64 s[2:3], s17, v16
	s_mov_b64 s[8:9], 0
                                        ; implicit-def: $sgpr28
	s_and_saveexec_b64 s[18:19], s[2:3]
	s_xor_b64 s[18:19], exec, s[18:19]
	s_cbranch_execnz .LBB286_2076
; %bb.1561:                             ;   in Loop: Header=BB286_1064 Depth=1
	s_or_saveexec_b64 s[18:19], s[18:19]
	v_mov_b32_e32 v43, s28
	s_xor_b64 exec, exec, s[18:19]
	s_cbranch_execnz .LBB286_2079
.LBB286_1562:                           ;   in Loop: Header=BB286_1064 Depth=1
	s_or_b64 exec, exec, s[18:19]
	s_and_saveexec_b64 s[18:19], s[8:9]
	s_cbranch_execz .LBB286_1564
.LBB286_1563:                           ;   in Loop: Header=BB286_1064 Depth=1
	v_and_b32_e32 v18, 7, v16
	v_ffbh_u32_e32 v44, v18
	v_bfe_u32 v43, v16, 3, 4
	v_min_u32_e32 v44, 32, v44
	v_subrev_u32_e32 v58, 28, v44
	v_sub_u32_e32 v44, 29, v44
	v_cmp_eq_u32_e64 s[2:3], 0, v43
	v_lshlrev_b64 v[58:59], v58, v[16:17]
	v_and_b32_e32 v58, 7, v58
	v_cndmask_b32_e64 v43, v43, v44, s[2:3]
	v_lshlrev_b32_e32 v16, 8, v16
	v_lshl_add_u32 v43, v43, 10, v61
	v_cndmask_b32_e64 v18, v18, v58, s[2:3]
	v_and_or_b32 v16, v16, s23, v43
	v_lshl_or_b32 v16, v18, 7, v16
	v_cvt_f32_f16_e32 v43, v16
.LBB286_1564:                           ;   in Loop: Header=BB286_1064 Depth=1
	s_or_b64 exec, exec, s[18:19]
	v_lshrrev_b32_e32 v16, 16, v45
	v_cmp_gt_i16_sdwa s[8:9], v16, s17 src0_sel:BYTE_0 src1_sel:DWORD
	s_mov_b64 s[2:3], 0
                                        ; implicit-def: $sgpr20
	s_and_saveexec_b64 s[18:19], s[8:9]
	s_xor_b64 s[8:9], exec, s[18:19]
	s_cbranch_execnz .LBB286_2080
; %bb.1565:                             ;   in Loop: Header=BB286_1064 Depth=1
	s_or_saveexec_b64 s[8:9], s[8:9]
	v_mov_b32_e32 v44, s20
	s_xor_b64 exec, exec, s[8:9]
	s_cbranch_execnz .LBB286_2083
.LBB286_1566:                           ;   in Loop: Header=BB286_1064 Depth=1
	s_or_b64 exec, exec, s[8:9]
	s_and_saveexec_b64 s[8:9], s[2:3]
	s_cbranch_execz .LBB286_1568
.LBB286_1567:                           ;   in Loop: Header=BB286_1064 Depth=1
	v_bfe_u32 v18, v45, 16, 3
	v_ffbh_u32_e32 v58, v18
	v_bfe_u32 v44, v45, 19, 4
	v_min_u32_e32 v49, 32, v58
	v_subrev_u32_e32 v58, 28, v49
	v_sub_u32_e32 v49, 29, v49
	v_cmp_eq_u32_e64 s[2:3], 0, v44
	v_lshlrev_b64 v[58:59], v58, v[16:17]
	v_and_b32_e32 v58, 7, v58
	v_cndmask_b32_e64 v49, v44, v49, s[2:3]
	v_lshlrev_b32_e32 v16, 8, v16
	v_lshl_add_u32 v49, v49, 10, v61
	v_cndmask_b32_e64 v18, v18, v58, s[2:3]
	v_and_or_b32 v16, v16, s23, v49
	v_lshl_or_b32 v16, v18, 7, v16
	v_cvt_f32_f16_e32 v44, v16
.LBB286_1568:                           ;   in Loop: Header=BB286_1064 Depth=1
	s_or_b64 exec, exec, s[8:9]
	v_lshrrev_b32_e32 v16, 24, v45
	v_cmp_lt_i16_e64 s[2:3], s17, v16
	s_mov_b64 s[8:9], 0
                                        ; implicit-def: $sgpr28
	s_and_saveexec_b64 s[18:19], s[2:3]
	s_xor_b64 s[18:19], exec, s[18:19]
	s_cbranch_execnz .LBB286_2084
; %bb.1569:                             ;   in Loop: Header=BB286_1064 Depth=1
	s_or_saveexec_b64 s[18:19], s[18:19]
	v_mov_b32_e32 v18, s28
	s_xor_b64 exec, exec, s[18:19]
	s_cbranch_execnz .LBB286_2087
.LBB286_1570:                           ;   in Loop: Header=BB286_1064 Depth=1
	s_or_b64 exec, exec, s[18:19]
	s_and_saveexec_b64 s[18:19], s[8:9]
	s_cbranch_execz .LBB286_1572
.LBB286_1571:                           ;   in Loop: Header=BB286_1064 Depth=1
	v_bfe_u32 v18, v45, 24, 3
	v_bfe_u32 v49, v45, 27, 4
	v_ffbh_u32_e32 v45, v18
	v_min_u32_e32 v45, 32, v45
	v_subrev_u32_e32 v58, 28, v45
	v_sub_u32_e32 v45, 29, v45
	v_cmp_eq_u32_e64 s[2:3], 0, v49
	v_lshlrev_b64 v[58:59], v58, v[16:17]
	v_and_b32_e32 v58, 7, v58
	v_cndmask_b32_e64 v49, v49, v45, s[2:3]
	v_lshlrev_b32_e32 v16, 8, v16
	v_lshl_add_u32 v49, v49, 10, v61
	v_cndmask_b32_e64 v18, v18, v58, s[2:3]
	v_and_or_b32 v16, v16, s23, v49
	v_lshl_or_b32 v16, v18, 7, v16
	v_cvt_f32_f16_e32 v18, v16
.LBB286_1572:                           ;   in Loop: Header=BB286_1064 Depth=1
	s_or_b64 exec, exec, s[18:19]
	s_waitcnt vmcnt(0) lgkmcnt(0)
	v_pk_mul_f32 v[56:57], v[42:43], v[56:57] op_sel_hi:[0,1]
	v_pk_mul_f32 v[46:47], v[42:43], v[46:47] op_sel_hi:[0,1]
	v_cvt_f16_f32_e32 v16, v57
	v_cvt_f16_f32_e32 v49, v56
	;; [unrolled: 1-line block ×4, first 2 shown]
	v_fma_mixlo_f16 v18, v42, v18, 0
	v_pack_b32_f16 v49, v49, v16
	v_fma_mixlo_f16 v12, v42, v12, 0
	v_pack_b32_f16 v45, v46, v45
	v_perm_b32 v16, v45, v49, s25
	v_perm_b32 v45, v45, v49, s26
	v_fma_mixlo_f16 v49, v42, v43, 0
	v_lshlrev_b32_e32 v49, 16, v49
	v_fma_mixlo_f16 v43, v42, v44, 0
	v_lshlrev_b32_e32 v18, 16, v18
	v_or_b32_sdwa v12, v49, v12 dst_sel:DWORD dst_unused:UNUSED_PAD src0_sel:DWORD src1_sel:WORD_0
	v_or_b32_sdwa v42, v18, v43 dst_sel:DWORD dst_unused:UNUSED_PAD src0_sel:DWORD src1_sel:WORD_0
	s_and_saveexec_b64 s[8:9], vcc
	s_cbranch_execz .LBB286_1574
; %bb.1573:                             ;   in Loop: Header=BB286_1064 Depth=1
	scratch_load_dwordx2 a[0:1], off, s32 offset:196 ; 8-byte Folded Reload
	v_lshrrev_b32_e32 v18, 16, v45
	v_cmp_lt_i32_e64 s[2:3], v48, v13
	s_waitcnt vmcnt(0)
	v_accvgpr_read_b32 v44, a0
	v_cndmask_b32_e64 v18, 0, v18, s[2:3]
	v_cmp_lt_i32_e64 s[2:3], v60, v44
	s_nop 1
	v_cndmask_b32_e64 v49, 0, v45, s[2:3]
	v_perm_b32 v45, v18, v49, s27
	v_lshrrev_b32_e32 v18, 16, v16
	v_cmp_lt_i32_e64 s[2:3], v39, v13
	s_nop 1
	v_cndmask_b32_e64 v18, 0, v18, s[2:3]
	v_cmp_lt_i32_e64 s[2:3], v38, v44
	s_nop 1
	v_cndmask_b32_e64 v16, 0, v16, s[2:3]
	v_perm_b32 v16, v18, v16, s27
	v_lshrrev_b32_e32 v18, 16, v12
	v_cmp_lt_i32_e64 s[2:3], v7, v13
	s_nop 1
	;; [unrolled: 8-line block ×3, first 2 shown]
	v_cndmask_b32_e64 v18, 0, v18, s[2:3]
	v_cmp_lt_i32_e64 s[2:3], v1, v44
	s_nop 1
	v_cndmask_b32_e64 v49, 0, v43, s[2:3]
	v_perm_b32 v42, v18, v49, s27
.LBB286_1574:                           ;   in Loop: Header=BB286_1064 Depth=1
	s_or_b64 exec, exec, s[8:9]
	;;#ASMSTART
	v_pk_mul_f16 v18, v34, v45;

	;;#ASMEND
	;;#ASMSTART
	v_pk_mul_f16 v16, v35, v16;

	;;#ASMEND
	;; [unrolled: 4-line block ×4, first 2 shown]
	v_accvgpr_read_b32 v43, a33
	;;#ASMSTART
	v_pk_add_f16 v16, v18, v16;

	;;#ASMEND
	v_accvgpr_read_b32 v42, a32
	;;#ASMSTART
	v_pk_add_f16 v12, v16, v12;

	;;#ASMEND
	v_lshl_add_u64 v[10:11], v[10:11], 0, v[42:43]
	;;#ASMSTART
	v_pk_add_f16 v12, v12, v49;

	;;#ASMEND
	s_mov_b64 s[2:3], 0
	v_lshrrev_b32_e32 v16, 16, v12
	v_and_b32_e32 v12, 0xffff, v12
	;;#ASMSTART
	v_cvt_f32_f16 v12, v12;
	;;#ASMEND
	;;#ASMSTART
	v_cvt_f32_f16 v56, v16;
	;;#ASMEND
	flat_load_dwordx2 v[42:43], v[10:11]
	s_nop 0
	scratch_load_dwordx2 v[10:11], off, s32 offset:188 ; 8-byte Folded Reload
                                        ; implicit-def: $sgpr20
	s_waitcnt vmcnt(0) lgkmcnt(0)
	v_cmp_gt_i16_sdwa s[8:9], v42, s17 src0_sel:BYTE_0 src1_sel:DWORD
	flat_load_dword v10, v[10:11]
	s_and_saveexec_b64 s[18:19], s[8:9]
	s_xor_b64 s[8:9], exec, s[18:19]
	s_cbranch_execnz .LBB286_2088
; %bb.1575:                             ;   in Loop: Header=BB286_1064 Depth=1
	s_or_saveexec_b64 s[8:9], s[8:9]
	v_mov_b32_e32 v44, s20
	s_xor_b64 exec, exec, s[8:9]
	s_cbranch_execnz .LBB286_2091
.LBB286_1576:                           ;   in Loop: Header=BB286_1064 Depth=1
	s_or_b64 exec, exec, s[8:9]
	s_and_saveexec_b64 s[8:9], s[2:3]
	s_cbranch_execz .LBB286_1578
.LBB286_1577:                           ;   in Loop: Header=BB286_1064 Depth=1
	v_and_b32_e32 v11, 7, v42
	v_ffbh_u32_e32 v11, v11
	v_bfe_u32 v16, v42, 3, 4
	v_min_u32_e32 v11, 32, v11
	v_subrev_u32_e32 v18, 28, v11
	v_sub_u32_e32 v11, 29, v11
	v_cmp_eq_u32_e64 s[2:3], 0, v16
	s_nop 1
	v_cndmask_b32_e64 v11, v16, v11, s[2:3]
	v_cndmask_b32_e64 v16, 0, v18, s[2:3]
	v_lshlrev_b64 v[44:45], v16, v[42:43]
	v_lshlrev_b32_e32 v18, 8, v42
	v_lshl_add_u32 v11, v11, 10, v61
	v_lshlrev_b32_e32 v16, 7, v44
	v_and_or_b32 v11, v18, s23, v11
	v_and_or_b32 v11, v16, s24, v11
	v_cvt_f32_f16_e32 v44, v11
.LBB286_1578:                           ;   in Loop: Header=BB286_1064 Depth=1
	s_or_b64 exec, exec, s[8:9]
	v_lshrrev_b16_e32 v16, 8, v42
	v_cmp_lt_i16_e64 s[2:3], s17, v16
	s_mov_b64 s[8:9], 0
                                        ; implicit-def: $sgpr28
	s_and_saveexec_b64 s[18:19], s[2:3]
	s_xor_b64 s[18:19], exec, s[18:19]
	s_cbranch_execnz .LBB286_2092
; %bb.1579:                             ;   in Loop: Header=BB286_1064 Depth=1
	s_or_saveexec_b64 s[18:19], s[18:19]
	v_mov_b32_e32 v46, s28
	s_xor_b64 exec, exec, s[18:19]
	s_cbranch_execnz .LBB286_2095
.LBB286_1580:                           ;   in Loop: Header=BB286_1064 Depth=1
	s_or_b64 exec, exec, s[18:19]
	s_and_saveexec_b64 s[18:19], s[8:9]
	s_cbranch_execz .LBB286_1582
.LBB286_1581:                           ;   in Loop: Header=BB286_1064 Depth=1
	v_and_b32_e32 v11, 7, v16
	v_ffbh_u32_e32 v49, v11
	v_bfe_u32 v18, v16, 3, 4
	v_min_u32_e32 v49, 32, v49
	v_subrev_u32_e32 v45, 28, v49
	v_sub_u32_e32 v49, 29, v49
	v_cmp_eq_u32_e64 s[2:3], 0, v18
	v_lshlrev_b64 v[46:47], v45, v[16:17]
	v_and_b32_e32 v45, 7, v46
	v_cndmask_b32_e64 v18, v18, v49, s[2:3]
	v_lshlrev_b32_e32 v16, 8, v16
	v_lshl_add_u32 v18, v18, 10, v61
	v_cndmask_b32_e64 v11, v11, v45, s[2:3]
	v_and_or_b32 v16, v16, s23, v18
	v_lshl_or_b32 v11, v11, 7, v16
	v_cvt_f32_f16_e32 v46, v11
.LBB286_1582:                           ;   in Loop: Header=BB286_1064 Depth=1
	s_or_b64 exec, exec, s[18:19]
	v_lshrrev_b32_e32 v16, 16, v42
	v_cmp_gt_i16_sdwa s[8:9], v16, s17 src0_sel:BYTE_0 src1_sel:DWORD
	s_mov_b64 s[2:3], 0
                                        ; implicit-def: $sgpr20
	s_and_saveexec_b64 s[18:19], s[8:9]
	s_xor_b64 s[8:9], exec, s[18:19]
	s_cbranch_execnz .LBB286_2096
; %bb.1583:                             ;   in Loop: Header=BB286_1064 Depth=1
	s_or_saveexec_b64 s[8:9], s[8:9]
	v_mov_b32_e32 v45, s20
	s_xor_b64 exec, exec, s[8:9]
	s_cbranch_execnz .LBB286_2099
.LBB286_1584:                           ;   in Loop: Header=BB286_1064 Depth=1
	s_or_b64 exec, exec, s[8:9]
	s_and_saveexec_b64 s[8:9], s[2:3]
	s_cbranch_execz .LBB286_1586
.LBB286_1585:                           ;   in Loop: Header=BB286_1064 Depth=1
	v_bfe_u32 v11, v42, 16, 3
	v_ffbh_u32_e32 v49, v11
	v_bfe_u32 v18, v42, 19, 4
	v_min_u32_e32 v49, 32, v49
	v_subrev_u32_e32 v45, 28, v49
	v_sub_u32_e32 v49, 29, v49
	v_cmp_eq_u32_e64 s[2:3], 0, v18
	v_lshlrev_b64 v[58:59], v45, v[16:17]
	v_and_b32_e32 v45, 7, v58
	v_cndmask_b32_e64 v18, v18, v49, s[2:3]
	v_lshlrev_b32_e32 v16, 8, v16
	v_lshl_add_u32 v18, v18, 10, v61
	v_cndmask_b32_e64 v11, v11, v45, s[2:3]
	v_and_or_b32 v16, v16, s23, v18
	v_lshl_or_b32 v11, v11, 7, v16
	v_cvt_f32_f16_e32 v45, v11
.LBB286_1586:                           ;   in Loop: Header=BB286_1064 Depth=1
	s_or_b64 exec, exec, s[8:9]
	v_lshrrev_b32_e32 v16, 24, v42
	v_cmp_lt_i16_e64 s[2:3], s17, v16
	s_mov_b64 s[8:9], 0
                                        ; implicit-def: $sgpr28
	s_and_saveexec_b64 s[18:19], s[2:3]
	s_xor_b64 s[18:19], exec, s[18:19]
	s_cbranch_execnz .LBB286_2100
; %bb.1587:                             ;   in Loop: Header=BB286_1064 Depth=1
	s_or_saveexec_b64 s[18:19], s[18:19]
	v_mov_b32_e32 v47, s28
	s_xor_b64 exec, exec, s[18:19]
	s_cbranch_execnz .LBB286_2103
.LBB286_1588:                           ;   in Loop: Header=BB286_1064 Depth=1
	s_or_b64 exec, exec, s[18:19]
	s_and_saveexec_b64 s[18:19], s[8:9]
	s_cbranch_execz .LBB286_1590
.LBB286_1589:                           ;   in Loop: Header=BB286_1064 Depth=1
	v_bfe_u32 v11, v42, 24, 3
	v_ffbh_u32_e32 v49, v11
	v_bfe_u32 v18, v42, 27, 4
	v_min_u32_e32 v49, 32, v49
	v_subrev_u32_e32 v42, 28, v49
	v_sub_u32_e32 v49, 29, v49
	v_cmp_eq_u32_e64 s[2:3], 0, v18
	v_lshlrev_b64 v[58:59], v42, v[16:17]
	v_and_b32_e32 v42, 7, v58
	v_cndmask_b32_e64 v18, v18, v49, s[2:3]
	v_lshlrev_b32_e32 v16, 8, v16
	v_lshl_add_u32 v18, v18, 10, v61
	v_cndmask_b32_e64 v11, v11, v42, s[2:3]
	v_and_or_b32 v16, v16, s23, v18
	v_lshl_or_b32 v11, v11, 7, v16
	v_cvt_f32_f16_e32 v47, v11
.LBB286_1590:                           ;   in Loop: Header=BB286_1064 Depth=1
	s_or_b64 exec, exec, s[18:19]
	v_cmp_gt_i16_sdwa s[8:9], v43, s17 src0_sel:BYTE_0 src1_sel:DWORD
	s_mov_b64 s[2:3], 0
                                        ; implicit-def: $sgpr20
	s_and_saveexec_b64 s[18:19], s[8:9]
	s_xor_b64 s[8:9], exec, s[18:19]
	s_cbranch_execnz .LBB286_2104
; %bb.1591:                             ;   in Loop: Header=BB286_1064 Depth=1
	s_or_saveexec_b64 s[8:9], s[8:9]
	v_mov_b32_e32 v11, s20
	s_xor_b64 exec, exec, s[8:9]
	s_cbranch_execnz .LBB286_2107
.LBB286_1592:                           ;   in Loop: Header=BB286_1064 Depth=1
	s_or_b64 exec, exec, s[8:9]
	v_mov_b32_e32 v16, v43
	s_and_saveexec_b64 s[8:9], s[2:3]
	s_cbranch_execz .LBB286_1594
.LBB286_1593:                           ;   in Loop: Header=BB286_1064 Depth=1
	v_and_b32_e32 v11, 7, v43
	v_ffbh_u32_e32 v11, v11
	v_bfe_u32 v18, v43, 3, 4
	v_min_u32_e32 v11, 32, v11
	v_subrev_u32_e32 v49, 28, v11
	v_sub_u32_e32 v11, 29, v11
	v_cmp_eq_u32_e64 s[2:3], 0, v18
	s_nop 1
	v_cndmask_b32_e64 v11, v18, v11, s[2:3]
	v_cndmask_b32_e64 v18, 0, v49, s[2:3]
	v_lshlrev_b64 v[58:59], v18, v[16:17]
	v_lshlrev_b32_e32 v49, 8, v43
	v_lshl_add_u32 v11, v11, 10, v61
	v_lshlrev_b32_e32 v18, 7, v58
	v_and_or_b32 v11, v49, s23, v11
	v_and_or_b32 v11, v18, s24, v11
	v_cvt_f32_f16_e32 v11, v11
.LBB286_1594:                           ;   in Loop: Header=BB286_1064 Depth=1
	s_or_b64 exec, exec, s[8:9]
	v_lshrrev_b16_e32 v16, 8, v16
	v_cmp_lt_i16_e64 s[2:3], s17, v16
	s_mov_b64 s[8:9], 0
                                        ; implicit-def: $sgpr28
	s_and_saveexec_b64 s[18:19], s[2:3]
	s_xor_b64 s[18:19], exec, s[18:19]
	s_cbranch_execnz .LBB286_2108
; %bb.1595:                             ;   in Loop: Header=BB286_1064 Depth=1
	s_or_saveexec_b64 s[18:19], s[18:19]
	v_mov_b32_e32 v42, s28
	s_xor_b64 exec, exec, s[18:19]
	s_cbranch_execnz .LBB286_2111
.LBB286_1596:                           ;   in Loop: Header=BB286_1064 Depth=1
	s_or_b64 exec, exec, s[18:19]
	s_and_saveexec_b64 s[18:19], s[8:9]
	s_cbranch_execz .LBB286_1598
.LBB286_1597:                           ;   in Loop: Header=BB286_1064 Depth=1
	v_and_b32_e32 v18, 7, v16
	v_ffbh_u32_e32 v42, v18
	v_bfe_u32 v49, v16, 3, 4
	v_min_u32_e32 v42, 32, v42
	v_subrev_u32_e32 v57, 28, v42
	v_sub_u32_e32 v42, 29, v42
	v_cmp_eq_u32_e64 s[2:3], 0, v49
	v_lshlrev_b64 v[58:59], v57, v[16:17]
	v_and_b32_e32 v57, 7, v58
	v_cndmask_b32_e64 v49, v49, v42, s[2:3]
	v_lshlrev_b32_e32 v16, 8, v16
	v_lshl_add_u32 v49, v49, 10, v61
	v_cndmask_b32_e64 v18, v18, v57, s[2:3]
	v_and_or_b32 v16, v16, s23, v49
	v_lshl_or_b32 v16, v18, 7, v16
	v_cvt_f32_f16_e32 v42, v16
.LBB286_1598:                           ;   in Loop: Header=BB286_1064 Depth=1
	s_or_b64 exec, exec, s[18:19]
	v_lshrrev_b32_e32 v16, 16, v43
	v_cmp_gt_i16_sdwa s[8:9], v16, s17 src0_sel:BYTE_0 src1_sel:DWORD
	s_mov_b64 s[2:3], 0
                                        ; implicit-def: $sgpr20
	s_and_saveexec_b64 s[18:19], s[8:9]
	s_xor_b64 s[8:9], exec, s[18:19]
	s_cbranch_execnz .LBB286_2112
; %bb.1599:                             ;   in Loop: Header=BB286_1064 Depth=1
	s_or_saveexec_b64 s[8:9], s[8:9]
	v_mov_b32_e32 v57, s20
	s_xor_b64 exec, exec, s[8:9]
	s_cbranch_execnz .LBB286_2115
.LBB286_1600:                           ;   in Loop: Header=BB286_1064 Depth=1
	s_or_b64 exec, exec, s[8:9]
	s_and_saveexec_b64 s[8:9], s[2:3]
	s_cbranch_execz .LBB286_1602
.LBB286_1601:                           ;   in Loop: Header=BB286_1064 Depth=1
	v_bfe_u32 v18, v43, 16, 3
	v_ffbh_u32_e32 v57, v18
	v_bfe_u32 v49, v43, 19, 4
	v_min_u32_e32 v57, 32, v57
	v_subrev_u32_e32 v58, 28, v57
	v_sub_u32_e32 v57, 29, v57
	v_cmp_eq_u32_e64 s[2:3], 0, v49
	v_lshlrev_b64 v[58:59], v58, v[16:17]
	v_and_b32_e32 v58, 7, v58
	v_cndmask_b32_e64 v49, v49, v57, s[2:3]
	v_lshlrev_b32_e32 v16, 8, v16
	v_lshl_add_u32 v49, v49, 10, v61
	v_cndmask_b32_e64 v18, v18, v58, s[2:3]
	v_and_or_b32 v16, v16, s23, v49
	v_lshl_or_b32 v16, v18, 7, v16
	v_cvt_f32_f16_e32 v57, v16
.LBB286_1602:                           ;   in Loop: Header=BB286_1064 Depth=1
	s_or_b64 exec, exec, s[8:9]
	v_lshrrev_b32_e32 v16, 24, v43
	v_cmp_lt_i16_e64 s[2:3], s17, v16
	s_mov_b64 s[8:9], 0
                                        ; implicit-def: $sgpr28
	s_and_saveexec_b64 s[18:19], s[2:3]
	s_xor_b64 s[18:19], exec, s[18:19]
	s_cbranch_execnz .LBB286_2116
; %bb.1603:                             ;   in Loop: Header=BB286_1064 Depth=1
	s_or_saveexec_b64 s[18:19], s[18:19]
	v_mov_b32_e32 v18, s28
	s_xor_b64 exec, exec, s[18:19]
	s_cbranch_execnz .LBB286_2119
.LBB286_1604:                           ;   in Loop: Header=BB286_1064 Depth=1
	s_or_b64 exec, exec, s[18:19]
	s_and_saveexec_b64 s[18:19], s[8:9]
	s_cbranch_execz .LBB286_1606
.LBB286_1605:                           ;   in Loop: Header=BB286_1064 Depth=1
	v_bfe_u32 v18, v43, 24, 3
	v_bfe_u32 v49, v43, 27, 4
	v_ffbh_u32_e32 v43, v18
	v_min_u32_e32 v43, 32, v43
	v_subrev_u32_e32 v58, 28, v43
	v_sub_u32_e32 v43, 29, v43
	v_cmp_eq_u32_e64 s[2:3], 0, v49
	v_lshlrev_b64 v[58:59], v58, v[16:17]
	v_and_b32_e32 v58, 7, v58
	v_cndmask_b32_e64 v49, v49, v43, s[2:3]
	v_lshlrev_b32_e32 v16, 8, v16
	v_lshl_add_u32 v49, v49, 10, v61
	v_cndmask_b32_e64 v18, v18, v58, s[2:3]
	v_and_or_b32 v16, v16, s23, v49
	v_lshl_or_b32 v16, v18, 7, v16
	v_cvt_f32_f16_e32 v18, v16
.LBB286_1606:                           ;   in Loop: Header=BB286_1064 Depth=1
	s_or_b64 exec, exec, s[18:19]
	s_waitcnt vmcnt(0) lgkmcnt(0)
	v_pk_mul_f32 v[46:47], v[10:11], v[46:47] op_sel_hi:[0,1]
	v_pk_mul_f32 v[44:45], v[10:11], v[44:45] op_sel_hi:[0,1]
	v_cvt_f16_f32_e32 v16, v47
	v_cvt_f16_f32_e32 v49, v46
	;; [unrolled: 1-line block ×4, first 2 shown]
	v_fma_mixlo_f16 v11, v10, v11, 0
	v_pack_b32_f16 v49, v49, v16
	v_pack_b32_f16 v43, v44, v43
	v_perm_b32 v16, v43, v49, s25
	v_perm_b32 v43, v43, v49, s26
	v_fma_mixlo_f16 v49, v10, v42, 0
	v_fma_mixlo_f16 v42, v10, v57, 0
	v_fma_mixlo_f16 v10, v10, v18, 0
	v_lshlrev_b32_e32 v49, 16, v49
	v_lshlrev_b32_e32 v10, 16, v10
	v_or_b32_sdwa v11, v49, v11 dst_sel:DWORD dst_unused:UNUSED_PAD src0_sel:DWORD src1_sel:WORD_0
	v_or_b32_sdwa v10, v10, v42 dst_sel:DWORD dst_unused:UNUSED_PAD src0_sel:DWORD src1_sel:WORD_0
	s_and_saveexec_b64 s[2:3], vcc
	s_cbranch_execz .LBB286_1063
; %bb.1607:                             ;   in Loop: Header=BB286_1064 Depth=1
	scratch_load_dwordx2 v[44:45], off, s32 offset:196 ; 8-byte Folded Reload
	v_lshrrev_b32_e32 v18, 16, v43
	v_cmp_lt_i32_e32 vcc, v48, v13
	s_nop 1
	v_cndmask_b32_e32 v18, 0, v18, vcc
	s_waitcnt vmcnt(0)
	v_cmp_lt_i32_e32 vcc, v60, v44
	s_nop 1
	v_cndmask_b32_e32 v48, 0, v43, vcc
	v_perm_b32 v43, v18, v48, s27
	v_lshrrev_b32_e32 v18, 16, v16
	v_cmp_lt_i32_e32 vcc, v39, v13
	s_nop 1
	v_cndmask_b32_e32 v18, 0, v18, vcc
	v_cmp_lt_i32_e32 vcc, v38, v44
	s_nop 1
	v_cndmask_b32_e32 v16, 0, v16, vcc
	v_perm_b32 v16, v18, v16, s27
	v_lshrrev_b32_e32 v18, 16, v11
	v_cmp_lt_i32_e32 vcc, v7, v13
	s_nop 1
	v_cndmask_b32_e32 v7, 0, v18, vcc
	;; [unrolled: 8-line block ×3, first 2 shown]
	v_cmp_lt_i32_e32 vcc, v1, v44
	s_nop 1
	v_cndmask_b32_e32 v1, 0, v42, vcc
	v_perm_b32 v10, v6, v1, s27
	s_branch .LBB286_1063
.LBB286_1608:                           ;   in Loop: Header=BB286_1064 Depth=1
	v_cmp_eq_u16_sdwa s[28:29], v46, s22 src0_sel:BYTE_0 src1_sel:DWORD
	s_mov_b64 s[2:3], -1
                                        ; implicit-def: $sgpr20
	s_and_saveexec_b64 s[18:19], s[28:29]
; %bb.1609:                             ;   in Loop: Header=BB286_1064 Depth=1
	s_mov_b32 s20, 0x7fc02000
	s_xor_b64 s[2:3], exec, -1
; %bb.1610:                             ;   in Loop: Header=BB286_1064 Depth=1
	s_or_b64 exec, exec, s[18:19]
	s_and_b64 s[2:3], s[2:3], exec
	s_or_saveexec_b64 s[8:9], s[8:9]
	v_mov_b32_e32 v56, s20
	s_xor_b64 exec, exec, s[8:9]
	s_cbranch_execz .LBB286_1066
.LBB286_1611:                           ;   in Loop: Header=BB286_1064 Depth=1
	v_cmp_ne_u16_sdwa s[18:19], v46, v17 src0_sel:BYTE_0 src1_sel:DWORD
	s_andn2_b64 s[2:3], s[2:3], exec
	s_and_b64 s[18:19], s[18:19], exec
	v_mov_b32_e32 v56, 0
	s_or_b64 s[2:3], s[2:3], s[18:19]
	s_or_b64 exec, exec, s[8:9]
	s_and_saveexec_b64 s[8:9], s[2:3]
	s_cbranch_execnz .LBB286_1067
	s_branch .LBB286_1068
.LBB286_1612:                           ;   in Loop: Header=BB286_1064 Depth=1
	v_cmp_eq_u16_e32 vcc, s22, v16
	s_mov_b64 s[2:3], -1
                                        ; implicit-def: $sgpr20
	s_and_saveexec_b64 s[18:19], vcc
; %bb.1613:                             ;   in Loop: Header=BB286_1064 Depth=1
	s_mov_b32 s20, 0x7fc02000
	s_xor_b64 s[2:3], exec, -1
; %bb.1614:                             ;   in Loop: Header=BB286_1064 Depth=1
	s_or_b64 exec, exec, s[18:19]
	s_and_b64 s[2:3], s[2:3], exec
	s_or_saveexec_b64 s[8:9], s[8:9]
	v_mov_b32_e32 v58, s20
	s_xor_b64 exec, exec, s[8:9]
	s_cbranch_execz .LBB286_1070
.LBB286_1615:                           ;   in Loop: Header=BB286_1064 Depth=1
	v_cmp_ne_u16_e32 vcc, 0, v16
	s_andn2_b64 s[2:3], s[2:3], exec
	s_and_b64 s[18:19], vcc, exec
	v_mov_b32_e32 v58, 0
	s_or_b64 s[2:3], s[2:3], s[18:19]
	s_or_b64 exec, exec, s[8:9]
	s_and_saveexec_b64 s[8:9], s[2:3]
	s_cbranch_execnz .LBB286_1071
	s_branch .LBB286_1072
.LBB286_1616:                           ;   in Loop: Header=BB286_1064 Depth=1
	v_cmp_eq_u16_sdwa s[28:29], v16, s22 src0_sel:BYTE_0 src1_sel:DWORD
	s_mov_b64 s[2:3], -1
                                        ; implicit-def: $sgpr20
	s_and_saveexec_b64 s[18:19], s[28:29]
; %bb.1617:                             ;   in Loop: Header=BB286_1064 Depth=1
	s_mov_b32 s20, 0x7fc02000
	s_xor_b64 s[2:3], exec, -1
; %bb.1618:                             ;   in Loop: Header=BB286_1064 Depth=1
	s_or_b64 exec, exec, s[18:19]
	s_and_b64 s[2:3], s[2:3], exec
	s_or_saveexec_b64 s[8:9], s[8:9]
	v_mov_b32_e32 v57, s20
	s_xor_b64 exec, exec, s[8:9]
	s_cbranch_execz .LBB286_1074
.LBB286_1619:                           ;   in Loop: Header=BB286_1064 Depth=1
	v_cmp_ne_u16_sdwa s[18:19], v16, v17 src0_sel:BYTE_0 src1_sel:DWORD
	s_andn2_b64 s[2:3], s[2:3], exec
	s_and_b64 s[18:19], s[18:19], exec
	v_mov_b32_e32 v57, 0
	s_or_b64 s[2:3], s[2:3], s[18:19]
	s_or_b64 exec, exec, s[8:9]
	s_and_saveexec_b64 s[8:9], s[2:3]
	s_cbranch_execnz .LBB286_1075
	s_branch .LBB286_1076
.LBB286_1620:                           ;   in Loop: Header=BB286_1064 Depth=1
	v_cmp_eq_u16_e32 vcc, s22, v16
	s_mov_b64 s[2:3], -1
                                        ; implicit-def: $sgpr20
	s_and_saveexec_b64 s[18:19], vcc
; %bb.1621:                             ;   in Loop: Header=BB286_1064 Depth=1
	s_mov_b32 s20, 0x7fc02000
	s_xor_b64 s[2:3], exec, -1
; %bb.1622:                             ;   in Loop: Header=BB286_1064 Depth=1
	s_or_b64 exec, exec, s[18:19]
	s_and_b64 s[2:3], s[2:3], exec
	s_or_saveexec_b64 s[8:9], s[8:9]
	v_mov_b32_e32 v59, s20
	s_xor_b64 exec, exec, s[8:9]
	s_cbranch_execz .LBB286_1078
.LBB286_1623:                           ;   in Loop: Header=BB286_1064 Depth=1
	v_cmp_ne_u16_e32 vcc, 0, v16
	s_andn2_b64 s[2:3], s[2:3], exec
	s_and_b64 s[18:19], vcc, exec
	v_mov_b32_e32 v59, 0
	s_or_b64 s[2:3], s[2:3], s[18:19]
	s_or_b64 exec, exec, s[8:9]
	s_and_saveexec_b64 s[8:9], s[2:3]
	s_cbranch_execnz .LBB286_1079
	s_branch .LBB286_1080
.LBB286_1624:                           ;   in Loop: Header=BB286_1064 Depth=1
	v_cmp_eq_u16_sdwa s[28:29], v47, s22 src0_sel:BYTE_0 src1_sel:DWORD
	s_mov_b64 s[2:3], -1
                                        ; implicit-def: $sgpr20
	s_and_saveexec_b64 s[18:19], s[28:29]
; %bb.1625:                             ;   in Loop: Header=BB286_1064 Depth=1
	s_mov_b32 s20, 0x7fc02000
	s_xor_b64 s[2:3], exec, -1
; %bb.1626:                             ;   in Loop: Header=BB286_1064 Depth=1
	s_or_b64 exec, exec, s[18:19]
	s_and_b64 s[2:3], s[2:3], exec
	s_or_saveexec_b64 s[8:9], s[8:9]
	v_mov_b32_e32 v1, s20
	s_xor_b64 exec, exec, s[8:9]
	s_cbranch_execz .LBB286_1082
.LBB286_1627:                           ;   in Loop: Header=BB286_1064 Depth=1
	v_cmp_ne_u16_sdwa s[18:19], v47, v17 src0_sel:BYTE_0 src1_sel:DWORD
	s_andn2_b64 s[2:3], s[2:3], exec
	s_and_b64 s[18:19], s[18:19], exec
	v_mov_b32_e32 v1, 0
	s_or_b64 s[2:3], s[2:3], s[18:19]
	s_or_b64 exec, exec, s[8:9]
	v_mov_b32_e32 v16, v47
	s_and_saveexec_b64 s[8:9], s[2:3]
	s_cbranch_execnz .LBB286_1083
	s_branch .LBB286_1084
.LBB286_1628:                           ;   in Loop: Header=BB286_1064 Depth=1
	v_cmp_eq_u16_e32 vcc, s22, v16
	s_mov_b64 s[2:3], -1
                                        ; implicit-def: $sgpr20
	s_and_saveexec_b64 s[18:19], vcc
; %bb.1629:                             ;   in Loop: Header=BB286_1064 Depth=1
	s_mov_b32 s20, 0x7fc02000
	s_xor_b64 s[2:3], exec, -1
; %bb.1630:                             ;   in Loop: Header=BB286_1064 Depth=1
	s_or_b64 exec, exec, s[18:19]
	s_and_b64 s[2:3], s[2:3], exec
	s_or_saveexec_b64 s[8:9], s[8:9]
	v_mov_b32_e32 v6, s20
	s_xor_b64 exec, exec, s[8:9]
	s_cbranch_execz .LBB286_1086
.LBB286_1631:                           ;   in Loop: Header=BB286_1064 Depth=1
	v_cmp_ne_u16_e32 vcc, 0, v16
	s_andn2_b64 s[2:3], s[2:3], exec
	s_and_b64 s[18:19], vcc, exec
	v_mov_b32_e32 v6, 0
	s_or_b64 s[2:3], s[2:3], s[18:19]
	s_or_b64 exec, exec, s[8:9]
	s_and_saveexec_b64 s[8:9], s[2:3]
	s_cbranch_execnz .LBB286_1087
	s_branch .LBB286_1088
.LBB286_1632:                           ;   in Loop: Header=BB286_1064 Depth=1
	v_cmp_eq_u16_sdwa s[28:29], v16, s22 src0_sel:BYTE_0 src1_sel:DWORD
	s_mov_b64 s[2:3], -1
                                        ; implicit-def: $sgpr20
	s_and_saveexec_b64 s[18:19], s[28:29]
; %bb.1633:                             ;   in Loop: Header=BB286_1064 Depth=1
	s_mov_b32 s20, 0x7fc02000
	s_xor_b64 s[2:3], exec, -1
; %bb.1634:                             ;   in Loop: Header=BB286_1064 Depth=1
	s_or_b64 exec, exec, s[18:19]
	s_and_b64 s[2:3], s[2:3], exec
	s_or_saveexec_b64 s[8:9], s[8:9]
	v_mov_b32_e32 v7, s20
	s_xor_b64 exec, exec, s[8:9]
	s_cbranch_execz .LBB286_1090
.LBB286_1635:                           ;   in Loop: Header=BB286_1064 Depth=1
	v_cmp_ne_u16_sdwa s[18:19], v16, v17 src0_sel:BYTE_0 src1_sel:DWORD
	s_andn2_b64 s[2:3], s[2:3], exec
	s_and_b64 s[18:19], s[18:19], exec
	v_mov_b32_e32 v7, 0
	s_or_b64 s[2:3], s[2:3], s[18:19]
	s_or_b64 exec, exec, s[8:9]
	s_and_saveexec_b64 s[8:9], s[2:3]
	s_cbranch_execnz .LBB286_1091
	s_branch .LBB286_1092
.LBB286_1636:                           ;   in Loop: Header=BB286_1064 Depth=1
	v_cmp_eq_u16_e32 vcc, s22, v16
	s_mov_b64 s[2:3], -1
                                        ; implicit-def: $sgpr20
	s_and_saveexec_b64 s[18:19], vcc
; %bb.1637:                             ;   in Loop: Header=BB286_1064 Depth=1
	s_mov_b32 s20, 0x7fc02000
	s_xor_b64 s[2:3], exec, -1
; %bb.1638:                             ;   in Loop: Header=BB286_1064 Depth=1
	s_or_b64 exec, exec, s[18:19]
	s_and_b64 s[2:3], s[2:3], exec
	s_or_saveexec_b64 s[8:9], s[8:9]
	v_mov_b32_e32 v19, s20
	s_xor_b64 exec, exec, s[8:9]
	s_cbranch_execz .LBB286_1094
.LBB286_1639:                           ;   in Loop: Header=BB286_1064 Depth=1
	v_cmp_ne_u16_e32 vcc, 0, v16
	s_andn2_b64 s[2:3], s[2:3], exec
	s_and_b64 s[18:19], vcc, exec
	v_mov_b32_e32 v19, 0
	s_or_b64 s[2:3], s[2:3], s[18:19]
	s_or_b64 exec, exec, s[8:9]
	s_and_saveexec_b64 s[8:9], s[2:3]
	s_cbranch_execnz .LBB286_1095
	s_branch .LBB286_1096
.LBB286_1640:                           ;   in Loop: Header=BB286_1064 Depth=1
	v_cmp_eq_u16_sdwa s[28:29], v46, s22 src0_sel:BYTE_0 src1_sel:DWORD
	s_mov_b64 s[2:3], -1
                                        ; implicit-def: $sgpr20
	s_and_saveexec_b64 s[18:19], s[28:29]
; %bb.1641:                             ;   in Loop: Header=BB286_1064 Depth=1
	s_mov_b32 s20, 0x7fc02000
	s_xor_b64 s[2:3], exec, -1
; %bb.1642:                             ;   in Loop: Header=BB286_1064 Depth=1
	s_or_b64 exec, exec, s[18:19]
	s_and_b64 s[2:3], s[2:3], exec
	s_or_saveexec_b64 s[8:9], s[8:9]
	v_mov_b32_e32 v56, s20
	s_xor_b64 exec, exec, s[8:9]
	s_cbranch_execz .LBB286_1100
.LBB286_1643:                           ;   in Loop: Header=BB286_1064 Depth=1
	v_cmp_ne_u16_sdwa s[18:19], v46, v17 src0_sel:BYTE_0 src1_sel:DWORD
	s_andn2_b64 s[2:3], s[2:3], exec
	s_and_b64 s[18:19], s[18:19], exec
	v_mov_b32_e32 v56, 0
	s_or_b64 s[2:3], s[2:3], s[18:19]
	s_or_b64 exec, exec, s[8:9]
	s_and_saveexec_b64 s[8:9], s[2:3]
	s_cbranch_execnz .LBB286_1101
	s_branch .LBB286_1102
.LBB286_1644:                           ;   in Loop: Header=BB286_1064 Depth=1
	v_cmp_eq_u16_e64 s[2:3], s22, v16
	s_mov_b64 s[8:9], -1
                                        ; implicit-def: $sgpr28
	s_and_saveexec_b64 s[20:21], s[2:3]
; %bb.1645:                             ;   in Loop: Header=BB286_1064 Depth=1
	s_mov_b32 s28, 0x7fc02000
	s_xor_b64 s[8:9], exec, -1
; %bb.1646:                             ;   in Loop: Header=BB286_1064 Depth=1
	s_or_b64 exec, exec, s[20:21]
	s_and_b64 s[8:9], s[8:9], exec
	s_or_saveexec_b64 s[18:19], s[18:19]
	v_mov_b32_e32 v58, s28
	s_xor_b64 exec, exec, s[18:19]
	s_cbranch_execz .LBB286_1104
.LBB286_1647:                           ;   in Loop: Header=BB286_1064 Depth=1
	v_cmp_ne_u16_e64 s[2:3], 0, v16
	s_andn2_b64 s[8:9], s[8:9], exec
	s_and_b64 s[2:3], s[2:3], exec
	v_mov_b32_e32 v58, 0
	s_or_b64 s[8:9], s[8:9], s[2:3]
	s_or_b64 exec, exec, s[18:19]
	s_and_saveexec_b64 s[18:19], s[8:9]
	s_cbranch_execnz .LBB286_1105
	s_branch .LBB286_1106
.LBB286_1648:                           ;   in Loop: Header=BB286_1064 Depth=1
	v_cmp_eq_u16_sdwa s[28:29], v16, s22 src0_sel:BYTE_0 src1_sel:DWORD
	s_mov_b64 s[2:3], -1
                                        ; implicit-def: $sgpr20
	s_and_saveexec_b64 s[18:19], s[28:29]
; %bb.1649:                             ;   in Loop: Header=BB286_1064 Depth=1
	s_mov_b32 s20, 0x7fc02000
	s_xor_b64 s[2:3], exec, -1
; %bb.1650:                             ;   in Loop: Header=BB286_1064 Depth=1
	s_or_b64 exec, exec, s[18:19]
	s_and_b64 s[2:3], s[2:3], exec
	s_or_saveexec_b64 s[8:9], s[8:9]
	v_mov_b32_e32 v57, s20
	s_xor_b64 exec, exec, s[8:9]
	s_cbranch_execz .LBB286_1108
.LBB286_1651:                           ;   in Loop: Header=BB286_1064 Depth=1
	v_cmp_ne_u16_sdwa s[18:19], v16, v17 src0_sel:BYTE_0 src1_sel:DWORD
	s_andn2_b64 s[2:3], s[2:3], exec
	s_and_b64 s[18:19], s[18:19], exec
	v_mov_b32_e32 v57, 0
	s_or_b64 s[2:3], s[2:3], s[18:19]
	s_or_b64 exec, exec, s[8:9]
	s_and_saveexec_b64 s[8:9], s[2:3]
	s_cbranch_execnz .LBB286_1109
	s_branch .LBB286_1110
.LBB286_1652:                           ;   in Loop: Header=BB286_1064 Depth=1
	v_cmp_eq_u16_e64 s[2:3], s22, v16
	s_mov_b64 s[8:9], -1
                                        ; implicit-def: $sgpr28
	s_and_saveexec_b64 s[20:21], s[2:3]
; %bb.1653:                             ;   in Loop: Header=BB286_1064 Depth=1
	s_mov_b32 s28, 0x7fc02000
	s_xor_b64 s[8:9], exec, -1
; %bb.1654:                             ;   in Loop: Header=BB286_1064 Depth=1
	s_or_b64 exec, exec, s[20:21]
	s_and_b64 s[8:9], s[8:9], exec
	s_or_saveexec_b64 s[18:19], s[18:19]
	v_mov_b32_e32 v59, s28
	s_xor_b64 exec, exec, s[18:19]
	s_cbranch_execz .LBB286_1112
.LBB286_1655:                           ;   in Loop: Header=BB286_1064 Depth=1
	v_cmp_ne_u16_e64 s[2:3], 0, v16
	s_andn2_b64 s[8:9], s[8:9], exec
	s_and_b64 s[2:3], s[2:3], exec
	v_mov_b32_e32 v59, 0
	s_or_b64 s[8:9], s[8:9], s[2:3]
	s_or_b64 exec, exec, s[18:19]
	s_and_saveexec_b64 s[18:19], s[8:9]
	s_cbranch_execnz .LBB286_1113
	s_branch .LBB286_1114
.LBB286_1656:                           ;   in Loop: Header=BB286_1064 Depth=1
	v_cmp_eq_u16_sdwa s[28:29], v47, s22 src0_sel:BYTE_0 src1_sel:DWORD
	s_mov_b64 s[2:3], -1
                                        ; implicit-def: $sgpr20
	s_and_saveexec_b64 s[18:19], s[28:29]
; %bb.1657:                             ;   in Loop: Header=BB286_1064 Depth=1
	s_mov_b32 s20, 0x7fc02000
	s_xor_b64 s[2:3], exec, -1
; %bb.1658:                             ;   in Loop: Header=BB286_1064 Depth=1
	s_or_b64 exec, exec, s[18:19]
	s_and_b64 s[2:3], s[2:3], exec
	s_or_saveexec_b64 s[8:9], s[8:9]
	v_mov_b32_e32 v12, s20
	s_xor_b64 exec, exec, s[8:9]
	s_cbranch_execz .LBB286_1116
.LBB286_1659:                           ;   in Loop: Header=BB286_1064 Depth=1
	v_cmp_ne_u16_sdwa s[18:19], v47, v17 src0_sel:BYTE_0 src1_sel:DWORD
	s_andn2_b64 s[2:3], s[2:3], exec
	s_and_b64 s[18:19], s[18:19], exec
	v_mov_b32_e32 v12, 0
	s_or_b64 s[2:3], s[2:3], s[18:19]
	s_or_b64 exec, exec, s[8:9]
	v_mov_b32_e32 v16, v47
	s_and_saveexec_b64 s[8:9], s[2:3]
	s_cbranch_execnz .LBB286_1117
	s_branch .LBB286_1118
.LBB286_1660:                           ;   in Loop: Header=BB286_1064 Depth=1
	v_cmp_eq_u16_e64 s[2:3], s22, v16
	s_mov_b64 s[8:9], -1
                                        ; implicit-def: $sgpr28
	s_and_saveexec_b64 s[20:21], s[2:3]
; %bb.1661:                             ;   in Loop: Header=BB286_1064 Depth=1
	s_mov_b32 s28, 0x7fc02000
	s_xor_b64 s[8:9], exec, -1
; %bb.1662:                             ;   in Loop: Header=BB286_1064 Depth=1
	s_or_b64 exec, exec, s[20:21]
	s_and_b64 s[8:9], s[8:9], exec
	s_or_saveexec_b64 s[18:19], s[18:19]
	v_mov_b32_e32 v14, s28
	s_xor_b64 exec, exec, s[18:19]
	s_cbranch_execz .LBB286_1120
.LBB286_1663:                           ;   in Loop: Header=BB286_1064 Depth=1
	v_cmp_ne_u16_e64 s[2:3], 0, v16
	s_andn2_b64 s[8:9], s[8:9], exec
	s_and_b64 s[2:3], s[2:3], exec
	v_mov_b32_e32 v14, 0
	s_or_b64 s[8:9], s[8:9], s[2:3]
	s_or_b64 exec, exec, s[18:19]
	s_and_saveexec_b64 s[18:19], s[8:9]
	s_cbranch_execnz .LBB286_1121
	s_branch .LBB286_1122
.LBB286_1664:                           ;   in Loop: Header=BB286_1064 Depth=1
	v_cmp_eq_u16_sdwa s[28:29], v16, s22 src0_sel:BYTE_0 src1_sel:DWORD
	s_mov_b64 s[2:3], -1
                                        ; implicit-def: $sgpr20
	s_and_saveexec_b64 s[18:19], s[28:29]
; %bb.1665:                             ;   in Loop: Header=BB286_1064 Depth=1
	s_mov_b32 s20, 0x7fc02000
	s_xor_b64 s[2:3], exec, -1
; %bb.1666:                             ;   in Loop: Header=BB286_1064 Depth=1
	s_or_b64 exec, exec, s[18:19]
	s_and_b64 s[2:3], s[2:3], exec
	s_or_saveexec_b64 s[8:9], s[8:9]
	v_mov_b32_e32 v15, s20
	s_xor_b64 exec, exec, s[8:9]
	s_cbranch_execz .LBB286_1124
.LBB286_1667:                           ;   in Loop: Header=BB286_1064 Depth=1
	v_cmp_ne_u16_sdwa s[18:19], v16, v17 src0_sel:BYTE_0 src1_sel:DWORD
	s_andn2_b64 s[2:3], s[2:3], exec
	s_and_b64 s[18:19], s[18:19], exec
	v_mov_b32_e32 v15, 0
	s_or_b64 s[2:3], s[2:3], s[18:19]
	s_or_b64 exec, exec, s[8:9]
	s_and_saveexec_b64 s[8:9], s[2:3]
	s_cbranch_execnz .LBB286_1125
	s_branch .LBB286_1126
.LBB286_1668:                           ;   in Loop: Header=BB286_1064 Depth=1
	v_cmp_eq_u16_e64 s[2:3], s22, v16
	s_mov_b64 s[8:9], -1
                                        ; implicit-def: $sgpr28
	s_and_saveexec_b64 s[20:21], s[2:3]
; %bb.1669:                             ;   in Loop: Header=BB286_1064 Depth=1
	s_mov_b32 s28, 0x7fc02000
	s_xor_b64 s[8:9], exec, -1
; %bb.1670:                             ;   in Loop: Header=BB286_1064 Depth=1
	s_or_b64 exec, exec, s[20:21]
	s_and_b64 s[8:9], s[8:9], exec
	s_or_saveexec_b64 s[18:19], s[18:19]
	v_mov_b32_e32 v22, s28
	s_xor_b64 exec, exec, s[18:19]
	s_cbranch_execz .LBB286_1128
.LBB286_1671:                           ;   in Loop: Header=BB286_1064 Depth=1
	v_cmp_ne_u16_e64 s[2:3], 0, v16
	s_andn2_b64 s[8:9], s[8:9], exec
	s_and_b64 s[2:3], s[2:3], exec
	v_mov_b32_e32 v22, 0
	s_or_b64 s[8:9], s[8:9], s[2:3]
	s_or_b64 exec, exec, s[18:19]
	s_and_saveexec_b64 s[18:19], s[8:9]
	s_cbranch_execnz .LBB286_1129
	s_branch .LBB286_1130
.LBB286_1672:                           ;   in Loop: Header=BB286_1064 Depth=1
	v_cmp_eq_u16_sdwa s[28:29], v46, s22 src0_sel:BYTE_0 src1_sel:DWORD
	s_mov_b64 s[2:3], -1
                                        ; implicit-def: $sgpr20
	s_and_saveexec_b64 s[18:19], s[28:29]
; %bb.1673:                             ;   in Loop: Header=BB286_1064 Depth=1
	s_mov_b32 s20, 0x7fc02000
	s_xor_b64 s[2:3], exec, -1
; %bb.1674:                             ;   in Loop: Header=BB286_1064 Depth=1
	s_or_b64 exec, exec, s[18:19]
	s_and_b64 s[2:3], s[2:3], exec
	s_or_saveexec_b64 s[8:9], s[8:9]
	v_mov_b32_e32 v56, s20
	s_xor_b64 exec, exec, s[8:9]
	s_cbranch_execz .LBB286_1134
.LBB286_1675:                           ;   in Loop: Header=BB286_1064 Depth=1
	v_cmp_ne_u16_sdwa s[18:19], v46, v17 src0_sel:BYTE_0 src1_sel:DWORD
	s_andn2_b64 s[2:3], s[2:3], exec
	s_and_b64 s[18:19], s[18:19], exec
	v_mov_b32_e32 v56, 0
	s_or_b64 s[2:3], s[2:3], s[18:19]
	s_or_b64 exec, exec, s[8:9]
	s_and_saveexec_b64 s[8:9], s[2:3]
	s_cbranch_execnz .LBB286_1135
	s_branch .LBB286_1136
.LBB286_1676:                           ;   in Loop: Header=BB286_1064 Depth=1
	v_cmp_eq_u16_e64 s[2:3], s22, v16
	s_mov_b64 s[8:9], -1
                                        ; implicit-def: $sgpr28
	s_and_saveexec_b64 s[20:21], s[2:3]
; %bb.1677:                             ;   in Loop: Header=BB286_1064 Depth=1
	s_mov_b32 s28, 0x7fc02000
	s_xor_b64 s[8:9], exec, -1
; %bb.1678:                             ;   in Loop: Header=BB286_1064 Depth=1
	s_or_b64 exec, exec, s[20:21]
	s_and_b64 s[8:9], s[8:9], exec
	s_or_saveexec_b64 s[18:19], s[18:19]
	v_mov_b32_e32 v58, s28
	s_xor_b64 exec, exec, s[18:19]
	s_cbranch_execz .LBB286_1138
.LBB286_1679:                           ;   in Loop: Header=BB286_1064 Depth=1
	v_cmp_ne_u16_e64 s[2:3], 0, v16
	s_andn2_b64 s[8:9], s[8:9], exec
	s_and_b64 s[2:3], s[2:3], exec
	v_mov_b32_e32 v58, 0
	s_or_b64 s[8:9], s[8:9], s[2:3]
	s_or_b64 exec, exec, s[18:19]
	s_and_saveexec_b64 s[18:19], s[8:9]
	s_cbranch_execnz .LBB286_1139
	s_branch .LBB286_1140
.LBB286_1680:                           ;   in Loop: Header=BB286_1064 Depth=1
	v_cmp_eq_u16_sdwa s[28:29], v16, s22 src0_sel:BYTE_0 src1_sel:DWORD
	s_mov_b64 s[2:3], -1
                                        ; implicit-def: $sgpr20
	s_and_saveexec_b64 s[18:19], s[28:29]
; %bb.1681:                             ;   in Loop: Header=BB286_1064 Depth=1
	s_mov_b32 s20, 0x7fc02000
	s_xor_b64 s[2:3], exec, -1
; %bb.1682:                             ;   in Loop: Header=BB286_1064 Depth=1
	s_or_b64 exec, exec, s[18:19]
	s_and_b64 s[2:3], s[2:3], exec
	s_or_saveexec_b64 s[8:9], s[8:9]
	v_mov_b32_e32 v57, s20
	s_xor_b64 exec, exec, s[8:9]
	s_cbranch_execz .LBB286_1142
.LBB286_1683:                           ;   in Loop: Header=BB286_1064 Depth=1
	v_cmp_ne_u16_sdwa s[18:19], v16, v17 src0_sel:BYTE_0 src1_sel:DWORD
	s_andn2_b64 s[2:3], s[2:3], exec
	s_and_b64 s[18:19], s[18:19], exec
	v_mov_b32_e32 v57, 0
	s_or_b64 s[2:3], s[2:3], s[18:19]
	s_or_b64 exec, exec, s[8:9]
	s_and_saveexec_b64 s[8:9], s[2:3]
	s_cbranch_execnz .LBB286_1143
	s_branch .LBB286_1144
.LBB286_1684:                           ;   in Loop: Header=BB286_1064 Depth=1
	v_cmp_eq_u16_e64 s[2:3], s22, v16
	s_mov_b64 s[8:9], -1
                                        ; implicit-def: $sgpr28
	s_and_saveexec_b64 s[20:21], s[2:3]
; %bb.1685:                             ;   in Loop: Header=BB286_1064 Depth=1
	s_mov_b32 s28, 0x7fc02000
	s_xor_b64 s[8:9], exec, -1
; %bb.1686:                             ;   in Loop: Header=BB286_1064 Depth=1
	s_or_b64 exec, exec, s[20:21]
	s_and_b64 s[8:9], s[8:9], exec
	s_or_saveexec_b64 s[18:19], s[18:19]
	v_mov_b32_e32 v59, s28
	s_xor_b64 exec, exec, s[18:19]
	s_cbranch_execz .LBB286_1146
.LBB286_1687:                           ;   in Loop: Header=BB286_1064 Depth=1
	v_cmp_ne_u16_e64 s[2:3], 0, v16
	s_andn2_b64 s[8:9], s[8:9], exec
	s_and_b64 s[2:3], s[2:3], exec
	v_mov_b32_e32 v59, 0
	s_or_b64 s[8:9], s[8:9], s[2:3]
	s_or_b64 exec, exec, s[18:19]
	s_and_saveexec_b64 s[18:19], s[8:9]
	s_cbranch_execnz .LBB286_1147
	s_branch .LBB286_1148
.LBB286_1688:                           ;   in Loop: Header=BB286_1064 Depth=1
	v_cmp_eq_u16_sdwa s[28:29], v47, s22 src0_sel:BYTE_0 src1_sel:DWORD
	s_mov_b64 s[2:3], -1
                                        ; implicit-def: $sgpr20
	s_and_saveexec_b64 s[18:19], s[28:29]
; %bb.1689:                             ;   in Loop: Header=BB286_1064 Depth=1
	s_mov_b32 s20, 0x7fc02000
	s_xor_b64 s[2:3], exec, -1
; %bb.1690:                             ;   in Loop: Header=BB286_1064 Depth=1
	s_or_b64 exec, exec, s[18:19]
	s_and_b64 s[2:3], s[2:3], exec
	s_or_saveexec_b64 s[8:9], s[8:9]
	v_mov_b32_e32 v12, s20
	s_xor_b64 exec, exec, s[8:9]
	s_cbranch_execz .LBB286_1150
.LBB286_1691:                           ;   in Loop: Header=BB286_1064 Depth=1
	v_cmp_ne_u16_sdwa s[18:19], v47, v17 src0_sel:BYTE_0 src1_sel:DWORD
	s_andn2_b64 s[2:3], s[2:3], exec
	s_and_b64 s[18:19], s[18:19], exec
	v_mov_b32_e32 v12, 0
	s_or_b64 s[2:3], s[2:3], s[18:19]
	s_or_b64 exec, exec, s[8:9]
	v_mov_b32_e32 v16, v47
	s_and_saveexec_b64 s[8:9], s[2:3]
	s_cbranch_execnz .LBB286_1151
	s_branch .LBB286_1152
.LBB286_1692:                           ;   in Loop: Header=BB286_1064 Depth=1
	v_cmp_eq_u16_e64 s[2:3], s22, v16
	s_mov_b64 s[8:9], -1
                                        ; implicit-def: $sgpr28
	s_and_saveexec_b64 s[20:21], s[2:3]
; %bb.1693:                             ;   in Loop: Header=BB286_1064 Depth=1
	s_mov_b32 s28, 0x7fc02000
	s_xor_b64 s[8:9], exec, -1
; %bb.1694:                             ;   in Loop: Header=BB286_1064 Depth=1
	s_or_b64 exec, exec, s[20:21]
	s_and_b64 s[8:9], s[8:9], exec
	s_or_saveexec_b64 s[18:19], s[18:19]
	v_mov_b32_e32 v14, s28
	s_xor_b64 exec, exec, s[18:19]
	s_cbranch_execz .LBB286_1154
.LBB286_1695:                           ;   in Loop: Header=BB286_1064 Depth=1
	v_cmp_ne_u16_e64 s[2:3], 0, v16
	s_andn2_b64 s[8:9], s[8:9], exec
	s_and_b64 s[2:3], s[2:3], exec
	v_mov_b32_e32 v14, 0
	s_or_b64 s[8:9], s[8:9], s[2:3]
	s_or_b64 exec, exec, s[18:19]
	s_and_saveexec_b64 s[18:19], s[8:9]
	s_cbranch_execnz .LBB286_1155
	s_branch .LBB286_1156
.LBB286_1696:                           ;   in Loop: Header=BB286_1064 Depth=1
	v_cmp_eq_u16_sdwa s[28:29], v16, s22 src0_sel:BYTE_0 src1_sel:DWORD
	s_mov_b64 s[2:3], -1
                                        ; implicit-def: $sgpr20
	s_and_saveexec_b64 s[18:19], s[28:29]
; %bb.1697:                             ;   in Loop: Header=BB286_1064 Depth=1
	s_mov_b32 s20, 0x7fc02000
	s_xor_b64 s[2:3], exec, -1
; %bb.1698:                             ;   in Loop: Header=BB286_1064 Depth=1
	s_or_b64 exec, exec, s[18:19]
	s_and_b64 s[2:3], s[2:3], exec
	s_or_saveexec_b64 s[8:9], s[8:9]
	v_mov_b32_e32 v15, s20
	s_xor_b64 exec, exec, s[8:9]
	s_cbranch_execz .LBB286_1158
.LBB286_1699:                           ;   in Loop: Header=BB286_1064 Depth=1
	v_cmp_ne_u16_sdwa s[18:19], v16, v17 src0_sel:BYTE_0 src1_sel:DWORD
	s_andn2_b64 s[2:3], s[2:3], exec
	s_and_b64 s[18:19], s[18:19], exec
	v_mov_b32_e32 v15, 0
	s_or_b64 s[2:3], s[2:3], s[18:19]
	s_or_b64 exec, exec, s[8:9]
	s_and_saveexec_b64 s[8:9], s[2:3]
	s_cbranch_execnz .LBB286_1159
	s_branch .LBB286_1160
.LBB286_1700:                           ;   in Loop: Header=BB286_1064 Depth=1
	v_cmp_eq_u16_e64 s[2:3], s22, v16
	s_mov_b64 s[8:9], -1
                                        ; implicit-def: $sgpr28
	s_and_saveexec_b64 s[20:21], s[2:3]
; %bb.1701:                             ;   in Loop: Header=BB286_1064 Depth=1
	s_mov_b32 s28, 0x7fc02000
	s_xor_b64 s[8:9], exec, -1
; %bb.1702:                             ;   in Loop: Header=BB286_1064 Depth=1
	s_or_b64 exec, exec, s[20:21]
	s_and_b64 s[8:9], s[8:9], exec
	s_or_saveexec_b64 s[18:19], s[18:19]
	v_mov_b32_e32 v22, s28
	s_xor_b64 exec, exec, s[18:19]
	s_cbranch_execz .LBB286_1162
.LBB286_1703:                           ;   in Loop: Header=BB286_1064 Depth=1
	v_cmp_ne_u16_e64 s[2:3], 0, v16
	s_andn2_b64 s[8:9], s[8:9], exec
	s_and_b64 s[2:3], s[2:3], exec
	v_mov_b32_e32 v22, 0
	s_or_b64 s[8:9], s[8:9], s[2:3]
	s_or_b64 exec, exec, s[18:19]
	s_and_saveexec_b64 s[18:19], s[8:9]
	s_cbranch_execnz .LBB286_1163
	s_branch .LBB286_1164
.LBB286_1704:                           ;   in Loop: Header=BB286_1064 Depth=1
	v_cmp_eq_u16_sdwa s[28:29], v46, s22 src0_sel:BYTE_0 src1_sel:DWORD
	s_mov_b64 s[2:3], -1
                                        ; implicit-def: $sgpr20
	s_and_saveexec_b64 s[18:19], s[28:29]
; %bb.1705:                             ;   in Loop: Header=BB286_1064 Depth=1
	s_mov_b32 s20, 0x7fc02000
	s_xor_b64 s[2:3], exec, -1
; %bb.1706:                             ;   in Loop: Header=BB286_1064 Depth=1
	s_or_b64 exec, exec, s[18:19]
	s_and_b64 s[2:3], s[2:3], exec
	s_or_saveexec_b64 s[8:9], s[8:9]
	v_mov_b32_e32 v56, s20
	s_xor_b64 exec, exec, s[8:9]
	s_cbranch_execz .LBB286_1168
.LBB286_1707:                           ;   in Loop: Header=BB286_1064 Depth=1
	v_cmp_ne_u16_sdwa s[18:19], v46, v17 src0_sel:BYTE_0 src1_sel:DWORD
	s_andn2_b64 s[2:3], s[2:3], exec
	s_and_b64 s[18:19], s[18:19], exec
	v_mov_b32_e32 v56, 0
	s_or_b64 s[2:3], s[2:3], s[18:19]
	s_or_b64 exec, exec, s[8:9]
	s_and_saveexec_b64 s[8:9], s[2:3]
	s_cbranch_execnz .LBB286_1169
	s_branch .LBB286_1170
.LBB286_1708:                           ;   in Loop: Header=BB286_1064 Depth=1
	v_cmp_eq_u16_e64 s[2:3], s22, v16
	s_mov_b64 s[8:9], -1
                                        ; implicit-def: $sgpr28
	s_and_saveexec_b64 s[20:21], s[2:3]
; %bb.1709:                             ;   in Loop: Header=BB286_1064 Depth=1
	s_mov_b32 s28, 0x7fc02000
	s_xor_b64 s[8:9], exec, -1
; %bb.1710:                             ;   in Loop: Header=BB286_1064 Depth=1
	s_or_b64 exec, exec, s[20:21]
	s_and_b64 s[8:9], s[8:9], exec
	s_or_saveexec_b64 s[18:19], s[18:19]
	v_mov_b32_e32 v58, s28
	s_xor_b64 exec, exec, s[18:19]
	s_cbranch_execz .LBB286_1172
.LBB286_1711:                           ;   in Loop: Header=BB286_1064 Depth=1
	v_cmp_ne_u16_e64 s[2:3], 0, v16
	s_andn2_b64 s[8:9], s[8:9], exec
	s_and_b64 s[2:3], s[2:3], exec
	v_mov_b32_e32 v58, 0
	s_or_b64 s[8:9], s[8:9], s[2:3]
	s_or_b64 exec, exec, s[18:19]
	s_and_saveexec_b64 s[18:19], s[8:9]
	s_cbranch_execnz .LBB286_1173
	s_branch .LBB286_1174
.LBB286_1712:                           ;   in Loop: Header=BB286_1064 Depth=1
	v_cmp_eq_u16_sdwa s[28:29], v16, s22 src0_sel:BYTE_0 src1_sel:DWORD
	s_mov_b64 s[2:3], -1
                                        ; implicit-def: $sgpr20
	s_and_saveexec_b64 s[18:19], s[28:29]
; %bb.1713:                             ;   in Loop: Header=BB286_1064 Depth=1
	s_mov_b32 s20, 0x7fc02000
	s_xor_b64 s[2:3], exec, -1
; %bb.1714:                             ;   in Loop: Header=BB286_1064 Depth=1
	s_or_b64 exec, exec, s[18:19]
	s_and_b64 s[2:3], s[2:3], exec
	s_or_saveexec_b64 s[8:9], s[8:9]
	v_mov_b32_e32 v57, s20
	s_xor_b64 exec, exec, s[8:9]
	s_cbranch_execz .LBB286_1176
.LBB286_1715:                           ;   in Loop: Header=BB286_1064 Depth=1
	v_cmp_ne_u16_sdwa s[18:19], v16, v17 src0_sel:BYTE_0 src1_sel:DWORD
	s_andn2_b64 s[2:3], s[2:3], exec
	s_and_b64 s[18:19], s[18:19], exec
	v_mov_b32_e32 v57, 0
	s_or_b64 s[2:3], s[2:3], s[18:19]
	s_or_b64 exec, exec, s[8:9]
	s_and_saveexec_b64 s[8:9], s[2:3]
	s_cbranch_execnz .LBB286_1177
	s_branch .LBB286_1178
.LBB286_1716:                           ;   in Loop: Header=BB286_1064 Depth=1
	v_cmp_eq_u16_e64 s[2:3], s22, v16
	s_mov_b64 s[8:9], -1
                                        ; implicit-def: $sgpr28
	s_and_saveexec_b64 s[20:21], s[2:3]
; %bb.1717:                             ;   in Loop: Header=BB286_1064 Depth=1
	s_mov_b32 s28, 0x7fc02000
	s_xor_b64 s[8:9], exec, -1
; %bb.1718:                             ;   in Loop: Header=BB286_1064 Depth=1
	s_or_b64 exec, exec, s[20:21]
	s_and_b64 s[8:9], s[8:9], exec
	s_or_saveexec_b64 s[18:19], s[18:19]
	v_mov_b32_e32 v59, s28
	s_xor_b64 exec, exec, s[18:19]
	s_cbranch_execz .LBB286_1180
.LBB286_1719:                           ;   in Loop: Header=BB286_1064 Depth=1
	v_cmp_ne_u16_e64 s[2:3], 0, v16
	s_andn2_b64 s[8:9], s[8:9], exec
	s_and_b64 s[2:3], s[2:3], exec
	v_mov_b32_e32 v59, 0
	s_or_b64 s[8:9], s[8:9], s[2:3]
	s_or_b64 exec, exec, s[18:19]
	s_and_saveexec_b64 s[18:19], s[8:9]
	s_cbranch_execnz .LBB286_1181
	s_branch .LBB286_1182
.LBB286_1720:                           ;   in Loop: Header=BB286_1064 Depth=1
	v_cmp_eq_u16_sdwa s[28:29], v47, s22 src0_sel:BYTE_0 src1_sel:DWORD
	s_mov_b64 s[2:3], -1
                                        ; implicit-def: $sgpr20
	s_and_saveexec_b64 s[18:19], s[28:29]
; %bb.1721:                             ;   in Loop: Header=BB286_1064 Depth=1
	s_mov_b32 s20, 0x7fc02000
	s_xor_b64 s[2:3], exec, -1
; %bb.1722:                             ;   in Loop: Header=BB286_1064 Depth=1
	s_or_b64 exec, exec, s[18:19]
	s_and_b64 s[2:3], s[2:3], exec
	s_or_saveexec_b64 s[8:9], s[8:9]
	v_mov_b32_e32 v12, s20
	s_xor_b64 exec, exec, s[8:9]
	s_cbranch_execz .LBB286_1184
.LBB286_1723:                           ;   in Loop: Header=BB286_1064 Depth=1
	v_cmp_ne_u16_sdwa s[18:19], v47, v17 src0_sel:BYTE_0 src1_sel:DWORD
	s_andn2_b64 s[2:3], s[2:3], exec
	s_and_b64 s[18:19], s[18:19], exec
	v_mov_b32_e32 v12, 0
	s_or_b64 s[2:3], s[2:3], s[18:19]
	s_or_b64 exec, exec, s[8:9]
	v_mov_b32_e32 v16, v47
	s_and_saveexec_b64 s[8:9], s[2:3]
	s_cbranch_execnz .LBB286_1185
	s_branch .LBB286_1186
.LBB286_1724:                           ;   in Loop: Header=BB286_1064 Depth=1
	v_cmp_eq_u16_e64 s[2:3], s22, v16
	s_mov_b64 s[8:9], -1
                                        ; implicit-def: $sgpr28
	s_and_saveexec_b64 s[20:21], s[2:3]
; %bb.1725:                             ;   in Loop: Header=BB286_1064 Depth=1
	s_mov_b32 s28, 0x7fc02000
	s_xor_b64 s[8:9], exec, -1
; %bb.1726:                             ;   in Loop: Header=BB286_1064 Depth=1
	s_or_b64 exec, exec, s[20:21]
	s_and_b64 s[8:9], s[8:9], exec
	s_or_saveexec_b64 s[18:19], s[18:19]
	v_mov_b32_e32 v14, s28
	s_xor_b64 exec, exec, s[18:19]
	s_cbranch_execz .LBB286_1188
.LBB286_1727:                           ;   in Loop: Header=BB286_1064 Depth=1
	v_cmp_ne_u16_e64 s[2:3], 0, v16
	s_andn2_b64 s[8:9], s[8:9], exec
	s_and_b64 s[2:3], s[2:3], exec
	v_mov_b32_e32 v14, 0
	s_or_b64 s[8:9], s[8:9], s[2:3]
	s_or_b64 exec, exec, s[18:19]
	s_and_saveexec_b64 s[18:19], s[8:9]
	s_cbranch_execnz .LBB286_1189
	s_branch .LBB286_1190
.LBB286_1728:                           ;   in Loop: Header=BB286_1064 Depth=1
	v_cmp_eq_u16_sdwa s[28:29], v16, s22 src0_sel:BYTE_0 src1_sel:DWORD
	s_mov_b64 s[2:3], -1
                                        ; implicit-def: $sgpr20
	s_and_saveexec_b64 s[18:19], s[28:29]
; %bb.1729:                             ;   in Loop: Header=BB286_1064 Depth=1
	s_mov_b32 s20, 0x7fc02000
	s_xor_b64 s[2:3], exec, -1
; %bb.1730:                             ;   in Loop: Header=BB286_1064 Depth=1
	s_or_b64 exec, exec, s[18:19]
	s_and_b64 s[2:3], s[2:3], exec
	s_or_saveexec_b64 s[8:9], s[8:9]
	v_mov_b32_e32 v15, s20
	s_xor_b64 exec, exec, s[8:9]
	s_cbranch_execz .LBB286_1192
.LBB286_1731:                           ;   in Loop: Header=BB286_1064 Depth=1
	v_cmp_ne_u16_sdwa s[18:19], v16, v17 src0_sel:BYTE_0 src1_sel:DWORD
	s_andn2_b64 s[2:3], s[2:3], exec
	s_and_b64 s[18:19], s[18:19], exec
	v_mov_b32_e32 v15, 0
	s_or_b64 s[2:3], s[2:3], s[18:19]
	s_or_b64 exec, exec, s[8:9]
	s_and_saveexec_b64 s[8:9], s[2:3]
	s_cbranch_execnz .LBB286_1193
	s_branch .LBB286_1194
.LBB286_1732:                           ;   in Loop: Header=BB286_1064 Depth=1
	v_cmp_eq_u16_e64 s[2:3], s22, v16
	s_mov_b64 s[8:9], -1
                                        ; implicit-def: $sgpr28
	s_and_saveexec_b64 s[20:21], s[2:3]
; %bb.1733:                             ;   in Loop: Header=BB286_1064 Depth=1
	s_mov_b32 s28, 0x7fc02000
	s_xor_b64 s[8:9], exec, -1
; %bb.1734:                             ;   in Loop: Header=BB286_1064 Depth=1
	s_or_b64 exec, exec, s[20:21]
	s_and_b64 s[8:9], s[8:9], exec
	s_or_saveexec_b64 s[18:19], s[18:19]
	v_mov_b32_e32 v22, s28
	s_xor_b64 exec, exec, s[18:19]
	s_cbranch_execz .LBB286_1196
.LBB286_1735:                           ;   in Loop: Header=BB286_1064 Depth=1
	v_cmp_ne_u16_e64 s[2:3], 0, v16
	s_andn2_b64 s[8:9], s[8:9], exec
	s_and_b64 s[2:3], s[2:3], exec
	v_mov_b32_e32 v22, 0
	s_or_b64 s[8:9], s[8:9], s[2:3]
	s_or_b64 exec, exec, s[18:19]
	s_and_saveexec_b64 s[18:19], s[8:9]
	s_cbranch_execnz .LBB286_1197
	s_branch .LBB286_1198
.LBB286_1736:                           ;   in Loop: Header=BB286_1064 Depth=1
	v_cmp_eq_u16_sdwa s[28:29], v46, s22 src0_sel:BYTE_0 src1_sel:DWORD
	s_mov_b64 s[2:3], -1
                                        ; implicit-def: $sgpr20
	s_and_saveexec_b64 s[18:19], s[28:29]
; %bb.1737:                             ;   in Loop: Header=BB286_1064 Depth=1
	s_mov_b32 s20, 0x7fc02000
	s_xor_b64 s[2:3], exec, -1
; %bb.1738:                             ;   in Loop: Header=BB286_1064 Depth=1
	s_or_b64 exec, exec, s[18:19]
	s_and_b64 s[2:3], s[2:3], exec
	s_or_saveexec_b64 s[8:9], s[8:9]
	v_mov_b32_e32 v56, s20
	s_xor_b64 exec, exec, s[8:9]
	s_cbranch_execz .LBB286_1202
.LBB286_1739:                           ;   in Loop: Header=BB286_1064 Depth=1
	v_cmp_ne_u16_sdwa s[18:19], v46, v17 src0_sel:BYTE_0 src1_sel:DWORD
	s_andn2_b64 s[2:3], s[2:3], exec
	s_and_b64 s[18:19], s[18:19], exec
	v_mov_b32_e32 v56, 0
	s_or_b64 s[2:3], s[2:3], s[18:19]
	s_or_b64 exec, exec, s[8:9]
	s_and_saveexec_b64 s[8:9], s[2:3]
	s_cbranch_execnz .LBB286_1203
	s_branch .LBB286_1204
.LBB286_1740:                           ;   in Loop: Header=BB286_1064 Depth=1
	v_cmp_eq_u16_e64 s[2:3], s22, v16
	s_mov_b64 s[8:9], -1
                                        ; implicit-def: $sgpr28
	s_and_saveexec_b64 s[20:21], s[2:3]
; %bb.1741:                             ;   in Loop: Header=BB286_1064 Depth=1
	s_mov_b32 s28, 0x7fc02000
	s_xor_b64 s[8:9], exec, -1
; %bb.1742:                             ;   in Loop: Header=BB286_1064 Depth=1
	s_or_b64 exec, exec, s[20:21]
	s_and_b64 s[8:9], s[8:9], exec
	s_or_saveexec_b64 s[18:19], s[18:19]
	v_mov_b32_e32 v58, s28
	s_xor_b64 exec, exec, s[18:19]
	s_cbranch_execz .LBB286_1206
.LBB286_1743:                           ;   in Loop: Header=BB286_1064 Depth=1
	v_cmp_ne_u16_e64 s[2:3], 0, v16
	s_andn2_b64 s[8:9], s[8:9], exec
	s_and_b64 s[2:3], s[2:3], exec
	v_mov_b32_e32 v58, 0
	s_or_b64 s[8:9], s[8:9], s[2:3]
	s_or_b64 exec, exec, s[18:19]
	s_and_saveexec_b64 s[18:19], s[8:9]
	s_cbranch_execnz .LBB286_1207
	s_branch .LBB286_1208
.LBB286_1744:                           ;   in Loop: Header=BB286_1064 Depth=1
	v_cmp_eq_u16_sdwa s[28:29], v16, s22 src0_sel:BYTE_0 src1_sel:DWORD
	s_mov_b64 s[2:3], -1
                                        ; implicit-def: $sgpr20
	s_and_saveexec_b64 s[18:19], s[28:29]
; %bb.1745:                             ;   in Loop: Header=BB286_1064 Depth=1
	s_mov_b32 s20, 0x7fc02000
	s_xor_b64 s[2:3], exec, -1
; %bb.1746:                             ;   in Loop: Header=BB286_1064 Depth=1
	s_or_b64 exec, exec, s[18:19]
	s_and_b64 s[2:3], s[2:3], exec
	s_or_saveexec_b64 s[8:9], s[8:9]
	v_mov_b32_e32 v57, s20
	s_xor_b64 exec, exec, s[8:9]
	s_cbranch_execz .LBB286_1210
.LBB286_1747:                           ;   in Loop: Header=BB286_1064 Depth=1
	v_cmp_ne_u16_sdwa s[18:19], v16, v17 src0_sel:BYTE_0 src1_sel:DWORD
	s_andn2_b64 s[2:3], s[2:3], exec
	s_and_b64 s[18:19], s[18:19], exec
	v_mov_b32_e32 v57, 0
	s_or_b64 s[2:3], s[2:3], s[18:19]
	s_or_b64 exec, exec, s[8:9]
	s_and_saveexec_b64 s[8:9], s[2:3]
	s_cbranch_execnz .LBB286_1211
	s_branch .LBB286_1212
.LBB286_1748:                           ;   in Loop: Header=BB286_1064 Depth=1
	v_cmp_eq_u16_e64 s[2:3], s22, v16
	s_mov_b64 s[8:9], -1
                                        ; implicit-def: $sgpr28
	s_and_saveexec_b64 s[20:21], s[2:3]
; %bb.1749:                             ;   in Loop: Header=BB286_1064 Depth=1
	s_mov_b32 s28, 0x7fc02000
	s_xor_b64 s[8:9], exec, -1
; %bb.1750:                             ;   in Loop: Header=BB286_1064 Depth=1
	s_or_b64 exec, exec, s[20:21]
	s_and_b64 s[8:9], s[8:9], exec
	s_or_saveexec_b64 s[18:19], s[18:19]
	v_mov_b32_e32 v59, s28
	s_xor_b64 exec, exec, s[18:19]
	s_cbranch_execz .LBB286_1214
.LBB286_1751:                           ;   in Loop: Header=BB286_1064 Depth=1
	v_cmp_ne_u16_e64 s[2:3], 0, v16
	s_andn2_b64 s[8:9], s[8:9], exec
	s_and_b64 s[2:3], s[2:3], exec
	v_mov_b32_e32 v59, 0
	s_or_b64 s[8:9], s[8:9], s[2:3]
	s_or_b64 exec, exec, s[18:19]
	s_and_saveexec_b64 s[18:19], s[8:9]
	s_cbranch_execnz .LBB286_1215
	s_branch .LBB286_1216
.LBB286_1752:                           ;   in Loop: Header=BB286_1064 Depth=1
	v_cmp_eq_u16_sdwa s[28:29], v47, s22 src0_sel:BYTE_0 src1_sel:DWORD
	s_mov_b64 s[2:3], -1
                                        ; implicit-def: $sgpr20
	s_and_saveexec_b64 s[18:19], s[28:29]
; %bb.1753:                             ;   in Loop: Header=BB286_1064 Depth=1
	s_mov_b32 s20, 0x7fc02000
	s_xor_b64 s[2:3], exec, -1
; %bb.1754:                             ;   in Loop: Header=BB286_1064 Depth=1
	s_or_b64 exec, exec, s[18:19]
	s_and_b64 s[2:3], s[2:3], exec
	s_or_saveexec_b64 s[8:9], s[8:9]
	v_mov_b32_e32 v12, s20
	s_xor_b64 exec, exec, s[8:9]
	s_cbranch_execz .LBB286_1218
.LBB286_1755:                           ;   in Loop: Header=BB286_1064 Depth=1
	v_cmp_ne_u16_sdwa s[18:19], v47, v17 src0_sel:BYTE_0 src1_sel:DWORD
	s_andn2_b64 s[2:3], s[2:3], exec
	s_and_b64 s[18:19], s[18:19], exec
	v_mov_b32_e32 v12, 0
	s_or_b64 s[2:3], s[2:3], s[18:19]
	s_or_b64 exec, exec, s[8:9]
	v_mov_b32_e32 v16, v47
	s_and_saveexec_b64 s[8:9], s[2:3]
	s_cbranch_execnz .LBB286_1219
	s_branch .LBB286_1220
.LBB286_1756:                           ;   in Loop: Header=BB286_1064 Depth=1
	v_cmp_eq_u16_e64 s[2:3], s22, v16
	s_mov_b64 s[8:9], -1
                                        ; implicit-def: $sgpr28
	s_and_saveexec_b64 s[20:21], s[2:3]
; %bb.1757:                             ;   in Loop: Header=BB286_1064 Depth=1
	s_mov_b32 s28, 0x7fc02000
	s_xor_b64 s[8:9], exec, -1
; %bb.1758:                             ;   in Loop: Header=BB286_1064 Depth=1
	s_or_b64 exec, exec, s[20:21]
	s_and_b64 s[8:9], s[8:9], exec
	s_or_saveexec_b64 s[18:19], s[18:19]
	v_mov_b32_e32 v14, s28
	s_xor_b64 exec, exec, s[18:19]
	s_cbranch_execz .LBB286_1222
.LBB286_1759:                           ;   in Loop: Header=BB286_1064 Depth=1
	v_cmp_ne_u16_e64 s[2:3], 0, v16
	s_andn2_b64 s[8:9], s[8:9], exec
	s_and_b64 s[2:3], s[2:3], exec
	v_mov_b32_e32 v14, 0
	s_or_b64 s[8:9], s[8:9], s[2:3]
	s_or_b64 exec, exec, s[18:19]
	s_and_saveexec_b64 s[18:19], s[8:9]
	s_cbranch_execnz .LBB286_1223
	s_branch .LBB286_1224
.LBB286_1760:                           ;   in Loop: Header=BB286_1064 Depth=1
	v_cmp_eq_u16_sdwa s[28:29], v16, s22 src0_sel:BYTE_0 src1_sel:DWORD
	s_mov_b64 s[2:3], -1
                                        ; implicit-def: $sgpr20
	s_and_saveexec_b64 s[18:19], s[28:29]
; %bb.1761:                             ;   in Loop: Header=BB286_1064 Depth=1
	s_mov_b32 s20, 0x7fc02000
	s_xor_b64 s[2:3], exec, -1
; %bb.1762:                             ;   in Loop: Header=BB286_1064 Depth=1
	s_or_b64 exec, exec, s[18:19]
	s_and_b64 s[2:3], s[2:3], exec
	s_or_saveexec_b64 s[8:9], s[8:9]
	v_mov_b32_e32 v15, s20
	s_xor_b64 exec, exec, s[8:9]
	s_cbranch_execz .LBB286_1226
.LBB286_1763:                           ;   in Loop: Header=BB286_1064 Depth=1
	v_cmp_ne_u16_sdwa s[18:19], v16, v17 src0_sel:BYTE_0 src1_sel:DWORD
	s_andn2_b64 s[2:3], s[2:3], exec
	s_and_b64 s[18:19], s[18:19], exec
	v_mov_b32_e32 v15, 0
	s_or_b64 s[2:3], s[2:3], s[18:19]
	s_or_b64 exec, exec, s[8:9]
	s_and_saveexec_b64 s[8:9], s[2:3]
	s_cbranch_execnz .LBB286_1227
	s_branch .LBB286_1228
.LBB286_1764:                           ;   in Loop: Header=BB286_1064 Depth=1
	v_cmp_eq_u16_e64 s[2:3], s22, v16
	s_mov_b64 s[8:9], -1
                                        ; implicit-def: $sgpr28
	s_and_saveexec_b64 s[20:21], s[2:3]
; %bb.1765:                             ;   in Loop: Header=BB286_1064 Depth=1
	s_mov_b32 s28, 0x7fc02000
	s_xor_b64 s[8:9], exec, -1
; %bb.1766:                             ;   in Loop: Header=BB286_1064 Depth=1
	s_or_b64 exec, exec, s[20:21]
	s_and_b64 s[8:9], s[8:9], exec
	s_or_saveexec_b64 s[18:19], s[18:19]
	v_mov_b32_e32 v22, s28
	s_xor_b64 exec, exec, s[18:19]
	s_cbranch_execz .LBB286_1230
.LBB286_1767:                           ;   in Loop: Header=BB286_1064 Depth=1
	v_cmp_ne_u16_e64 s[2:3], 0, v16
	s_andn2_b64 s[8:9], s[8:9], exec
	s_and_b64 s[2:3], s[2:3], exec
	v_mov_b32_e32 v22, 0
	s_or_b64 s[8:9], s[8:9], s[2:3]
	s_or_b64 exec, exec, s[18:19]
	s_and_saveexec_b64 s[18:19], s[8:9]
	s_cbranch_execnz .LBB286_1231
	s_branch .LBB286_1232
.LBB286_1768:                           ;   in Loop: Header=BB286_1064 Depth=1
	v_cmp_eq_u16_sdwa s[28:29], v46, s22 src0_sel:BYTE_0 src1_sel:DWORD
	s_mov_b64 s[2:3], -1
                                        ; implicit-def: $sgpr20
	s_and_saveexec_b64 s[18:19], s[28:29]
; %bb.1769:                             ;   in Loop: Header=BB286_1064 Depth=1
	s_mov_b32 s20, 0x7fc02000
	s_xor_b64 s[2:3], exec, -1
; %bb.1770:                             ;   in Loop: Header=BB286_1064 Depth=1
	s_or_b64 exec, exec, s[18:19]
	s_and_b64 s[2:3], s[2:3], exec
	s_or_saveexec_b64 s[8:9], s[8:9]
	v_mov_b32_e32 v56, s20
	s_xor_b64 exec, exec, s[8:9]
	s_cbranch_execz .LBB286_1236
.LBB286_1771:                           ;   in Loop: Header=BB286_1064 Depth=1
	v_cmp_ne_u16_sdwa s[18:19], v46, v17 src0_sel:BYTE_0 src1_sel:DWORD
	s_andn2_b64 s[2:3], s[2:3], exec
	s_and_b64 s[18:19], s[18:19], exec
	v_mov_b32_e32 v56, 0
	s_or_b64 s[2:3], s[2:3], s[18:19]
	s_or_b64 exec, exec, s[8:9]
	s_and_saveexec_b64 s[8:9], s[2:3]
	s_cbranch_execnz .LBB286_1237
	s_branch .LBB286_1238
.LBB286_1772:                           ;   in Loop: Header=BB286_1064 Depth=1
	v_cmp_eq_u16_e64 s[2:3], s22, v16
	s_mov_b64 s[8:9], -1
                                        ; implicit-def: $sgpr28
	s_and_saveexec_b64 s[20:21], s[2:3]
; %bb.1773:                             ;   in Loop: Header=BB286_1064 Depth=1
	s_mov_b32 s28, 0x7fc02000
	s_xor_b64 s[8:9], exec, -1
; %bb.1774:                             ;   in Loop: Header=BB286_1064 Depth=1
	s_or_b64 exec, exec, s[20:21]
	s_and_b64 s[8:9], s[8:9], exec
	s_or_saveexec_b64 s[18:19], s[18:19]
	v_mov_b32_e32 v58, s28
	s_xor_b64 exec, exec, s[18:19]
	s_cbranch_execz .LBB286_1240
.LBB286_1775:                           ;   in Loop: Header=BB286_1064 Depth=1
	v_cmp_ne_u16_e64 s[2:3], 0, v16
	s_andn2_b64 s[8:9], s[8:9], exec
	s_and_b64 s[2:3], s[2:3], exec
	v_mov_b32_e32 v58, 0
	s_or_b64 s[8:9], s[8:9], s[2:3]
	s_or_b64 exec, exec, s[18:19]
	s_and_saveexec_b64 s[18:19], s[8:9]
	s_cbranch_execnz .LBB286_1241
	s_branch .LBB286_1242
.LBB286_1776:                           ;   in Loop: Header=BB286_1064 Depth=1
	v_cmp_eq_u16_sdwa s[28:29], v16, s22 src0_sel:BYTE_0 src1_sel:DWORD
	s_mov_b64 s[2:3], -1
                                        ; implicit-def: $sgpr20
	s_and_saveexec_b64 s[18:19], s[28:29]
; %bb.1777:                             ;   in Loop: Header=BB286_1064 Depth=1
	s_mov_b32 s20, 0x7fc02000
	s_xor_b64 s[2:3], exec, -1
; %bb.1778:                             ;   in Loop: Header=BB286_1064 Depth=1
	s_or_b64 exec, exec, s[18:19]
	s_and_b64 s[2:3], s[2:3], exec
	s_or_saveexec_b64 s[8:9], s[8:9]
	v_mov_b32_e32 v57, s20
	s_xor_b64 exec, exec, s[8:9]
	s_cbranch_execz .LBB286_1244
.LBB286_1779:                           ;   in Loop: Header=BB286_1064 Depth=1
	v_cmp_ne_u16_sdwa s[18:19], v16, v17 src0_sel:BYTE_0 src1_sel:DWORD
	s_andn2_b64 s[2:3], s[2:3], exec
	s_and_b64 s[18:19], s[18:19], exec
	v_mov_b32_e32 v57, 0
	s_or_b64 s[2:3], s[2:3], s[18:19]
	s_or_b64 exec, exec, s[8:9]
	s_and_saveexec_b64 s[8:9], s[2:3]
	s_cbranch_execnz .LBB286_1245
	s_branch .LBB286_1246
.LBB286_1780:                           ;   in Loop: Header=BB286_1064 Depth=1
	v_cmp_eq_u16_e64 s[2:3], s22, v16
	s_mov_b64 s[8:9], -1
                                        ; implicit-def: $sgpr28
	s_and_saveexec_b64 s[20:21], s[2:3]
; %bb.1781:                             ;   in Loop: Header=BB286_1064 Depth=1
	s_mov_b32 s28, 0x7fc02000
	s_xor_b64 s[8:9], exec, -1
; %bb.1782:                             ;   in Loop: Header=BB286_1064 Depth=1
	s_or_b64 exec, exec, s[20:21]
	s_and_b64 s[8:9], s[8:9], exec
	s_or_saveexec_b64 s[18:19], s[18:19]
	v_mov_b32_e32 v59, s28
	s_xor_b64 exec, exec, s[18:19]
	s_cbranch_execz .LBB286_1248
.LBB286_1783:                           ;   in Loop: Header=BB286_1064 Depth=1
	v_cmp_ne_u16_e64 s[2:3], 0, v16
	s_andn2_b64 s[8:9], s[8:9], exec
	s_and_b64 s[2:3], s[2:3], exec
	v_mov_b32_e32 v59, 0
	s_or_b64 s[8:9], s[8:9], s[2:3]
	s_or_b64 exec, exec, s[18:19]
	s_and_saveexec_b64 s[18:19], s[8:9]
	s_cbranch_execnz .LBB286_1249
	s_branch .LBB286_1250
.LBB286_1784:                           ;   in Loop: Header=BB286_1064 Depth=1
	v_cmp_eq_u16_sdwa s[28:29], v47, s22 src0_sel:BYTE_0 src1_sel:DWORD
	s_mov_b64 s[2:3], -1
                                        ; implicit-def: $sgpr20
	s_and_saveexec_b64 s[18:19], s[28:29]
; %bb.1785:                             ;   in Loop: Header=BB286_1064 Depth=1
	s_mov_b32 s20, 0x7fc02000
	s_xor_b64 s[2:3], exec, -1
; %bb.1786:                             ;   in Loop: Header=BB286_1064 Depth=1
	s_or_b64 exec, exec, s[18:19]
	s_and_b64 s[2:3], s[2:3], exec
	s_or_saveexec_b64 s[8:9], s[8:9]
	v_mov_b32_e32 v12, s20
	s_xor_b64 exec, exec, s[8:9]
	s_cbranch_execz .LBB286_1252
.LBB286_1787:                           ;   in Loop: Header=BB286_1064 Depth=1
	v_cmp_ne_u16_sdwa s[18:19], v47, v17 src0_sel:BYTE_0 src1_sel:DWORD
	s_andn2_b64 s[2:3], s[2:3], exec
	s_and_b64 s[18:19], s[18:19], exec
	v_mov_b32_e32 v12, 0
	s_or_b64 s[2:3], s[2:3], s[18:19]
	s_or_b64 exec, exec, s[8:9]
	v_mov_b32_e32 v16, v47
	s_and_saveexec_b64 s[8:9], s[2:3]
	s_cbranch_execnz .LBB286_1253
	s_branch .LBB286_1254
.LBB286_1788:                           ;   in Loop: Header=BB286_1064 Depth=1
	v_cmp_eq_u16_e64 s[2:3], s22, v16
	s_mov_b64 s[8:9], -1
                                        ; implicit-def: $sgpr28
	s_and_saveexec_b64 s[20:21], s[2:3]
; %bb.1789:                             ;   in Loop: Header=BB286_1064 Depth=1
	s_mov_b32 s28, 0x7fc02000
	s_xor_b64 s[8:9], exec, -1
; %bb.1790:                             ;   in Loop: Header=BB286_1064 Depth=1
	s_or_b64 exec, exec, s[20:21]
	s_and_b64 s[8:9], s[8:9], exec
	s_or_saveexec_b64 s[18:19], s[18:19]
	v_mov_b32_e32 v14, s28
	s_xor_b64 exec, exec, s[18:19]
	s_cbranch_execz .LBB286_1256
.LBB286_1791:                           ;   in Loop: Header=BB286_1064 Depth=1
	v_cmp_ne_u16_e64 s[2:3], 0, v16
	s_andn2_b64 s[8:9], s[8:9], exec
	s_and_b64 s[2:3], s[2:3], exec
	v_mov_b32_e32 v14, 0
	s_or_b64 s[8:9], s[8:9], s[2:3]
	s_or_b64 exec, exec, s[18:19]
	s_and_saveexec_b64 s[18:19], s[8:9]
	s_cbranch_execnz .LBB286_1257
	s_branch .LBB286_1258
.LBB286_1792:                           ;   in Loop: Header=BB286_1064 Depth=1
	v_cmp_eq_u16_sdwa s[28:29], v16, s22 src0_sel:BYTE_0 src1_sel:DWORD
	s_mov_b64 s[2:3], -1
                                        ; implicit-def: $sgpr20
	s_and_saveexec_b64 s[18:19], s[28:29]
; %bb.1793:                             ;   in Loop: Header=BB286_1064 Depth=1
	s_mov_b32 s20, 0x7fc02000
	s_xor_b64 s[2:3], exec, -1
; %bb.1794:                             ;   in Loop: Header=BB286_1064 Depth=1
	s_or_b64 exec, exec, s[18:19]
	s_and_b64 s[2:3], s[2:3], exec
	s_or_saveexec_b64 s[8:9], s[8:9]
	v_mov_b32_e32 v15, s20
	s_xor_b64 exec, exec, s[8:9]
	s_cbranch_execz .LBB286_1260
.LBB286_1795:                           ;   in Loop: Header=BB286_1064 Depth=1
	v_cmp_ne_u16_sdwa s[18:19], v16, v17 src0_sel:BYTE_0 src1_sel:DWORD
	s_andn2_b64 s[2:3], s[2:3], exec
	s_and_b64 s[18:19], s[18:19], exec
	v_mov_b32_e32 v15, 0
	s_or_b64 s[2:3], s[2:3], s[18:19]
	s_or_b64 exec, exec, s[8:9]
	s_and_saveexec_b64 s[8:9], s[2:3]
	s_cbranch_execnz .LBB286_1261
	s_branch .LBB286_1262
.LBB286_1796:                           ;   in Loop: Header=BB286_1064 Depth=1
	v_cmp_eq_u16_e64 s[2:3], s22, v16
	s_mov_b64 s[8:9], -1
                                        ; implicit-def: $sgpr28
	s_and_saveexec_b64 s[20:21], s[2:3]
; %bb.1797:                             ;   in Loop: Header=BB286_1064 Depth=1
	s_mov_b32 s28, 0x7fc02000
	s_xor_b64 s[8:9], exec, -1
; %bb.1798:                             ;   in Loop: Header=BB286_1064 Depth=1
	s_or_b64 exec, exec, s[20:21]
	s_and_b64 s[8:9], s[8:9], exec
	s_or_saveexec_b64 s[18:19], s[18:19]
	v_mov_b32_e32 v22, s28
	s_xor_b64 exec, exec, s[18:19]
	s_cbranch_execz .LBB286_1264
.LBB286_1799:                           ;   in Loop: Header=BB286_1064 Depth=1
	v_cmp_ne_u16_e64 s[2:3], 0, v16
	s_andn2_b64 s[8:9], s[8:9], exec
	s_and_b64 s[2:3], s[2:3], exec
	v_mov_b32_e32 v22, 0
	s_or_b64 s[8:9], s[8:9], s[2:3]
	s_or_b64 exec, exec, s[18:19]
	s_and_saveexec_b64 s[18:19], s[8:9]
	s_cbranch_execnz .LBB286_1265
	s_branch .LBB286_1266
.LBB286_1800:                           ;   in Loop: Header=BB286_1064 Depth=1
	v_cmp_eq_u16_sdwa s[28:29], v46, s22 src0_sel:BYTE_0 src1_sel:DWORD
	s_mov_b64 s[2:3], -1
                                        ; implicit-def: $sgpr20
	s_and_saveexec_b64 s[18:19], s[28:29]
; %bb.1801:                             ;   in Loop: Header=BB286_1064 Depth=1
	s_mov_b32 s20, 0x7fc02000
	s_xor_b64 s[2:3], exec, -1
; %bb.1802:                             ;   in Loop: Header=BB286_1064 Depth=1
	s_or_b64 exec, exec, s[18:19]
	s_and_b64 s[2:3], s[2:3], exec
	s_or_saveexec_b64 s[8:9], s[8:9]
	v_mov_b32_e32 v56, s20
	s_xor_b64 exec, exec, s[8:9]
	s_cbranch_execz .LBB286_1270
.LBB286_1803:                           ;   in Loop: Header=BB286_1064 Depth=1
	v_cmp_ne_u16_sdwa s[18:19], v46, v17 src0_sel:BYTE_0 src1_sel:DWORD
	s_andn2_b64 s[2:3], s[2:3], exec
	s_and_b64 s[18:19], s[18:19], exec
	v_mov_b32_e32 v56, 0
	s_or_b64 s[2:3], s[2:3], s[18:19]
	s_or_b64 exec, exec, s[8:9]
	s_and_saveexec_b64 s[8:9], s[2:3]
	s_cbranch_execnz .LBB286_1271
	s_branch .LBB286_1272
.LBB286_1804:                           ;   in Loop: Header=BB286_1064 Depth=1
	v_cmp_eq_u16_e64 s[2:3], s22, v16
	s_mov_b64 s[8:9], -1
                                        ; implicit-def: $sgpr28
	s_and_saveexec_b64 s[20:21], s[2:3]
; %bb.1805:                             ;   in Loop: Header=BB286_1064 Depth=1
	s_mov_b32 s28, 0x7fc02000
	s_xor_b64 s[8:9], exec, -1
; %bb.1806:                             ;   in Loop: Header=BB286_1064 Depth=1
	s_or_b64 exec, exec, s[20:21]
	s_and_b64 s[8:9], s[8:9], exec
	s_or_saveexec_b64 s[18:19], s[18:19]
	v_mov_b32_e32 v58, s28
	s_xor_b64 exec, exec, s[18:19]
	s_cbranch_execz .LBB286_1274
.LBB286_1807:                           ;   in Loop: Header=BB286_1064 Depth=1
	v_cmp_ne_u16_e64 s[2:3], 0, v16
	s_andn2_b64 s[8:9], s[8:9], exec
	s_and_b64 s[2:3], s[2:3], exec
	v_mov_b32_e32 v58, 0
	s_or_b64 s[8:9], s[8:9], s[2:3]
	s_or_b64 exec, exec, s[18:19]
	s_and_saveexec_b64 s[18:19], s[8:9]
	s_cbranch_execnz .LBB286_1275
	s_branch .LBB286_1276
.LBB286_1808:                           ;   in Loop: Header=BB286_1064 Depth=1
	v_cmp_eq_u16_sdwa s[28:29], v16, s22 src0_sel:BYTE_0 src1_sel:DWORD
	s_mov_b64 s[2:3], -1
                                        ; implicit-def: $sgpr20
	s_and_saveexec_b64 s[18:19], s[28:29]
; %bb.1809:                             ;   in Loop: Header=BB286_1064 Depth=1
	s_mov_b32 s20, 0x7fc02000
	s_xor_b64 s[2:3], exec, -1
; %bb.1810:                             ;   in Loop: Header=BB286_1064 Depth=1
	s_or_b64 exec, exec, s[18:19]
	s_and_b64 s[2:3], s[2:3], exec
	s_or_saveexec_b64 s[8:9], s[8:9]
	v_mov_b32_e32 v57, s20
	s_xor_b64 exec, exec, s[8:9]
	s_cbranch_execz .LBB286_1278
.LBB286_1811:                           ;   in Loop: Header=BB286_1064 Depth=1
	v_cmp_ne_u16_sdwa s[18:19], v16, v17 src0_sel:BYTE_0 src1_sel:DWORD
	s_andn2_b64 s[2:3], s[2:3], exec
	s_and_b64 s[18:19], s[18:19], exec
	v_mov_b32_e32 v57, 0
	s_or_b64 s[2:3], s[2:3], s[18:19]
	s_or_b64 exec, exec, s[8:9]
	s_and_saveexec_b64 s[8:9], s[2:3]
	s_cbranch_execnz .LBB286_1279
	s_branch .LBB286_1280
.LBB286_1812:                           ;   in Loop: Header=BB286_1064 Depth=1
	v_cmp_eq_u16_e64 s[2:3], s22, v16
	s_mov_b64 s[8:9], -1
                                        ; implicit-def: $sgpr28
	s_and_saveexec_b64 s[20:21], s[2:3]
; %bb.1813:                             ;   in Loop: Header=BB286_1064 Depth=1
	s_mov_b32 s28, 0x7fc02000
	s_xor_b64 s[8:9], exec, -1
; %bb.1814:                             ;   in Loop: Header=BB286_1064 Depth=1
	s_or_b64 exec, exec, s[20:21]
	s_and_b64 s[8:9], s[8:9], exec
	s_or_saveexec_b64 s[18:19], s[18:19]
	v_mov_b32_e32 v59, s28
	s_xor_b64 exec, exec, s[18:19]
	s_cbranch_execz .LBB286_1282
.LBB286_1815:                           ;   in Loop: Header=BB286_1064 Depth=1
	v_cmp_ne_u16_e64 s[2:3], 0, v16
	s_andn2_b64 s[8:9], s[8:9], exec
	s_and_b64 s[2:3], s[2:3], exec
	v_mov_b32_e32 v59, 0
	s_or_b64 s[8:9], s[8:9], s[2:3]
	s_or_b64 exec, exec, s[18:19]
	s_and_saveexec_b64 s[18:19], s[8:9]
	s_cbranch_execnz .LBB286_1283
	s_branch .LBB286_1284
.LBB286_1816:                           ;   in Loop: Header=BB286_1064 Depth=1
	v_cmp_eq_u16_sdwa s[28:29], v47, s22 src0_sel:BYTE_0 src1_sel:DWORD
	s_mov_b64 s[2:3], -1
                                        ; implicit-def: $sgpr20
	s_and_saveexec_b64 s[18:19], s[28:29]
; %bb.1817:                             ;   in Loop: Header=BB286_1064 Depth=1
	s_mov_b32 s20, 0x7fc02000
	s_xor_b64 s[2:3], exec, -1
; %bb.1818:                             ;   in Loop: Header=BB286_1064 Depth=1
	s_or_b64 exec, exec, s[18:19]
	s_and_b64 s[2:3], s[2:3], exec
	s_or_saveexec_b64 s[8:9], s[8:9]
	v_mov_b32_e32 v12, s20
	s_xor_b64 exec, exec, s[8:9]
	s_cbranch_execz .LBB286_1286
.LBB286_1819:                           ;   in Loop: Header=BB286_1064 Depth=1
	v_cmp_ne_u16_sdwa s[18:19], v47, v17 src0_sel:BYTE_0 src1_sel:DWORD
	s_andn2_b64 s[2:3], s[2:3], exec
	s_and_b64 s[18:19], s[18:19], exec
	v_mov_b32_e32 v12, 0
	s_or_b64 s[2:3], s[2:3], s[18:19]
	s_or_b64 exec, exec, s[8:9]
	v_mov_b32_e32 v16, v47
	s_and_saveexec_b64 s[8:9], s[2:3]
	s_cbranch_execnz .LBB286_1287
	s_branch .LBB286_1288
.LBB286_1820:                           ;   in Loop: Header=BB286_1064 Depth=1
	v_cmp_eq_u16_e64 s[2:3], s22, v16
	s_mov_b64 s[8:9], -1
                                        ; implicit-def: $sgpr28
	s_and_saveexec_b64 s[20:21], s[2:3]
; %bb.1821:                             ;   in Loop: Header=BB286_1064 Depth=1
	s_mov_b32 s28, 0x7fc02000
	s_xor_b64 s[8:9], exec, -1
; %bb.1822:                             ;   in Loop: Header=BB286_1064 Depth=1
	s_or_b64 exec, exec, s[20:21]
	s_and_b64 s[8:9], s[8:9], exec
	s_or_saveexec_b64 s[18:19], s[18:19]
	v_mov_b32_e32 v14, s28
	s_xor_b64 exec, exec, s[18:19]
	s_cbranch_execz .LBB286_1290
.LBB286_1823:                           ;   in Loop: Header=BB286_1064 Depth=1
	v_cmp_ne_u16_e64 s[2:3], 0, v16
	s_andn2_b64 s[8:9], s[8:9], exec
	s_and_b64 s[2:3], s[2:3], exec
	v_mov_b32_e32 v14, 0
	s_or_b64 s[8:9], s[8:9], s[2:3]
	s_or_b64 exec, exec, s[18:19]
	s_and_saveexec_b64 s[18:19], s[8:9]
	s_cbranch_execnz .LBB286_1291
	s_branch .LBB286_1292
.LBB286_1824:                           ;   in Loop: Header=BB286_1064 Depth=1
	v_cmp_eq_u16_sdwa s[28:29], v16, s22 src0_sel:BYTE_0 src1_sel:DWORD
	s_mov_b64 s[2:3], -1
                                        ; implicit-def: $sgpr20
	s_and_saveexec_b64 s[18:19], s[28:29]
; %bb.1825:                             ;   in Loop: Header=BB286_1064 Depth=1
	s_mov_b32 s20, 0x7fc02000
	s_xor_b64 s[2:3], exec, -1
; %bb.1826:                             ;   in Loop: Header=BB286_1064 Depth=1
	s_or_b64 exec, exec, s[18:19]
	s_and_b64 s[2:3], s[2:3], exec
	s_or_saveexec_b64 s[8:9], s[8:9]
	v_mov_b32_e32 v15, s20
	s_xor_b64 exec, exec, s[8:9]
	s_cbranch_execz .LBB286_1294
.LBB286_1827:                           ;   in Loop: Header=BB286_1064 Depth=1
	v_cmp_ne_u16_sdwa s[18:19], v16, v17 src0_sel:BYTE_0 src1_sel:DWORD
	s_andn2_b64 s[2:3], s[2:3], exec
	s_and_b64 s[18:19], s[18:19], exec
	v_mov_b32_e32 v15, 0
	s_or_b64 s[2:3], s[2:3], s[18:19]
	s_or_b64 exec, exec, s[8:9]
	s_and_saveexec_b64 s[8:9], s[2:3]
	s_cbranch_execnz .LBB286_1295
	s_branch .LBB286_1296
.LBB286_1828:                           ;   in Loop: Header=BB286_1064 Depth=1
	v_cmp_eq_u16_e64 s[2:3], s22, v16
	s_mov_b64 s[8:9], -1
                                        ; implicit-def: $sgpr28
	s_and_saveexec_b64 s[20:21], s[2:3]
; %bb.1829:                             ;   in Loop: Header=BB286_1064 Depth=1
	s_mov_b32 s28, 0x7fc02000
	s_xor_b64 s[8:9], exec, -1
; %bb.1830:                             ;   in Loop: Header=BB286_1064 Depth=1
	s_or_b64 exec, exec, s[20:21]
	s_and_b64 s[8:9], s[8:9], exec
	s_or_saveexec_b64 s[18:19], s[18:19]
	v_mov_b32_e32 v23, s28
	s_xor_b64 exec, exec, s[18:19]
	s_cbranch_execz .LBB286_1298
.LBB286_1831:                           ;   in Loop: Header=BB286_1064 Depth=1
	v_cmp_ne_u16_e64 s[2:3], 0, v16
	s_andn2_b64 s[8:9], s[8:9], exec
	s_and_b64 s[2:3], s[2:3], exec
	v_mov_b32_e32 v23, 0
	s_or_b64 s[8:9], s[8:9], s[2:3]
	s_or_b64 exec, exec, s[18:19]
	s_and_saveexec_b64 s[18:19], s[8:9]
	s_cbranch_execnz .LBB286_1299
	s_branch .LBB286_1300
.LBB286_1832:                           ;   in Loop: Header=BB286_1064 Depth=1
	v_cmp_eq_u16_sdwa s[28:29], v44, s22 src0_sel:BYTE_0 src1_sel:DWORD
	s_mov_b64 s[2:3], -1
                                        ; implicit-def: $sgpr20
	s_and_saveexec_b64 s[18:19], s[28:29]
; %bb.1833:                             ;   in Loop: Header=BB286_1064 Depth=1
	s_mov_b32 s20, 0x7fc02000
	s_xor_b64 s[2:3], exec, -1
; %bb.1834:                             ;   in Loop: Header=BB286_1064 Depth=1
	s_or_b64 exec, exec, s[18:19]
	s_and_b64 s[2:3], s[2:3], exec
	s_or_saveexec_b64 s[8:9], s[8:9]
	v_mov_b32_e32 v46, s20
	s_xor_b64 exec, exec, s[8:9]
	s_cbranch_execz .LBB286_1304
.LBB286_1835:                           ;   in Loop: Header=BB286_1064 Depth=1
	v_cmp_ne_u16_sdwa s[18:19], v44, v17 src0_sel:BYTE_0 src1_sel:DWORD
	s_andn2_b64 s[2:3], s[2:3], exec
	s_and_b64 s[18:19], s[18:19], exec
	v_mov_b32_e32 v46, 0
	s_or_b64 s[2:3], s[2:3], s[18:19]
	s_or_b64 exec, exec, s[8:9]
	s_and_saveexec_b64 s[8:9], s[2:3]
	s_cbranch_execnz .LBB286_1305
	s_branch .LBB286_1306
.LBB286_1836:                           ;   in Loop: Header=BB286_1064 Depth=1
	v_cmp_eq_u16_e64 s[2:3], s22, v16
	s_mov_b64 s[8:9], -1
                                        ; implicit-def: $sgpr28
	s_and_saveexec_b64 s[20:21], s[2:3]
; %bb.1837:                             ;   in Loop: Header=BB286_1064 Depth=1
	s_mov_b32 s28, 0x7fc02000
	s_xor_b64 s[8:9], exec, -1
; %bb.1838:                             ;   in Loop: Header=BB286_1064 Depth=1
	s_or_b64 exec, exec, s[20:21]
	s_and_b64 s[8:9], s[8:9], exec
	s_or_saveexec_b64 s[18:19], s[18:19]
	v_mov_b32_e32 v56, s28
	s_xor_b64 exec, exec, s[18:19]
	s_cbranch_execz .LBB286_1308
.LBB286_1839:                           ;   in Loop: Header=BB286_1064 Depth=1
	v_cmp_ne_u16_e64 s[2:3], 0, v16
	s_andn2_b64 s[8:9], s[8:9], exec
	s_and_b64 s[2:3], s[2:3], exec
	v_mov_b32_e32 v56, 0
	s_or_b64 s[8:9], s[8:9], s[2:3]
	s_or_b64 exec, exec, s[18:19]
	s_and_saveexec_b64 s[18:19], s[8:9]
	s_cbranch_execnz .LBB286_1309
	s_branch .LBB286_1310
.LBB286_1840:                           ;   in Loop: Header=BB286_1064 Depth=1
	v_cmp_eq_u16_sdwa s[28:29], v16, s22 src0_sel:BYTE_0 src1_sel:DWORD
	s_mov_b64 s[2:3], -1
                                        ; implicit-def: $sgpr20
	s_and_saveexec_b64 s[18:19], s[28:29]
; %bb.1841:                             ;   in Loop: Header=BB286_1064 Depth=1
	s_mov_b32 s20, 0x7fc02000
	s_xor_b64 s[2:3], exec, -1
; %bb.1842:                             ;   in Loop: Header=BB286_1064 Depth=1
	s_or_b64 exec, exec, s[18:19]
	s_and_b64 s[2:3], s[2:3], exec
	s_or_saveexec_b64 s[8:9], s[8:9]
	v_mov_b32_e32 v47, s20
	s_xor_b64 exec, exec, s[8:9]
	s_cbranch_execz .LBB286_1312
.LBB286_1843:                           ;   in Loop: Header=BB286_1064 Depth=1
	v_cmp_ne_u16_sdwa s[18:19], v16, v17 src0_sel:BYTE_0 src1_sel:DWORD
	s_andn2_b64 s[2:3], s[2:3], exec
	s_and_b64 s[18:19], s[18:19], exec
	v_mov_b32_e32 v47, 0
	s_or_b64 s[2:3], s[2:3], s[18:19]
	s_or_b64 exec, exec, s[8:9]
	s_and_saveexec_b64 s[8:9], s[2:3]
	s_cbranch_execnz .LBB286_1313
	s_branch .LBB286_1314
.LBB286_1844:                           ;   in Loop: Header=BB286_1064 Depth=1
	v_cmp_eq_u16_e64 s[2:3], s22, v16
	s_mov_b64 s[8:9], -1
                                        ; implicit-def: $sgpr28
	s_and_saveexec_b64 s[20:21], s[2:3]
; %bb.1845:                             ;   in Loop: Header=BB286_1064 Depth=1
	s_mov_b32 s28, 0x7fc02000
	s_xor_b64 s[8:9], exec, -1
; %bb.1846:                             ;   in Loop: Header=BB286_1064 Depth=1
	s_or_b64 exec, exec, s[20:21]
	s_and_b64 s[8:9], s[8:9], exec
	s_or_saveexec_b64 s[18:19], s[18:19]
	v_mov_b32_e32 v57, s28
	s_xor_b64 exec, exec, s[18:19]
	s_cbranch_execz .LBB286_1316
.LBB286_1847:                           ;   in Loop: Header=BB286_1064 Depth=1
	v_cmp_ne_u16_e64 s[2:3], 0, v16
	s_andn2_b64 s[8:9], s[8:9], exec
	s_and_b64 s[2:3], s[2:3], exec
	v_mov_b32_e32 v57, 0
	s_or_b64 s[8:9], s[8:9], s[2:3]
	s_or_b64 exec, exec, s[18:19]
	s_and_saveexec_b64 s[18:19], s[8:9]
	s_cbranch_execnz .LBB286_1317
	s_branch .LBB286_1318
.LBB286_1848:                           ;   in Loop: Header=BB286_1064 Depth=1
	v_cmp_eq_u16_sdwa s[28:29], v45, s22 src0_sel:BYTE_0 src1_sel:DWORD
	s_mov_b64 s[2:3], -1
                                        ; implicit-def: $sgpr20
	s_and_saveexec_b64 s[18:19], s[28:29]
; %bb.1849:                             ;   in Loop: Header=BB286_1064 Depth=1
	s_mov_b32 s20, 0x7fc02000
	s_xor_b64 s[2:3], exec, -1
; %bb.1850:                             ;   in Loop: Header=BB286_1064 Depth=1
	s_or_b64 exec, exec, s[18:19]
	s_and_b64 s[2:3], s[2:3], exec
	s_or_saveexec_b64 s[8:9], s[8:9]
	v_mov_b32_e32 v12, s20
	s_xor_b64 exec, exec, s[8:9]
	s_cbranch_execz .LBB286_1320
.LBB286_1851:                           ;   in Loop: Header=BB286_1064 Depth=1
	v_cmp_ne_u16_sdwa s[18:19], v45, v17 src0_sel:BYTE_0 src1_sel:DWORD
	s_andn2_b64 s[2:3], s[2:3], exec
	s_and_b64 s[18:19], s[18:19], exec
	v_mov_b32_e32 v12, 0
	s_or_b64 s[2:3], s[2:3], s[18:19]
	s_or_b64 exec, exec, s[8:9]
	v_mov_b32_e32 v16, v45
	s_and_saveexec_b64 s[8:9], s[2:3]
	s_cbranch_execnz .LBB286_1321
	s_branch .LBB286_1322
.LBB286_1852:                           ;   in Loop: Header=BB286_1064 Depth=1
	v_cmp_eq_u16_e64 s[2:3], s22, v16
	s_mov_b64 s[8:9], -1
                                        ; implicit-def: $sgpr28
	s_and_saveexec_b64 s[20:21], s[2:3]
; %bb.1853:                             ;   in Loop: Header=BB286_1064 Depth=1
	s_mov_b32 s28, 0x7fc02000
	s_xor_b64 s[8:9], exec, -1
; %bb.1854:                             ;   in Loop: Header=BB286_1064 Depth=1
	s_or_b64 exec, exec, s[20:21]
	s_and_b64 s[8:9], s[8:9], exec
	s_or_saveexec_b64 s[18:19], s[18:19]
	v_mov_b32_e32 v14, s28
	s_xor_b64 exec, exec, s[18:19]
	s_cbranch_execz .LBB286_1324
.LBB286_1855:                           ;   in Loop: Header=BB286_1064 Depth=1
	v_cmp_ne_u16_e64 s[2:3], 0, v16
	s_andn2_b64 s[8:9], s[8:9], exec
	s_and_b64 s[2:3], s[2:3], exec
	v_mov_b32_e32 v14, 0
	s_or_b64 s[8:9], s[8:9], s[2:3]
	s_or_b64 exec, exec, s[18:19]
	s_and_saveexec_b64 s[18:19], s[8:9]
	s_cbranch_execnz .LBB286_1325
	s_branch .LBB286_1326
.LBB286_1856:                           ;   in Loop: Header=BB286_1064 Depth=1
	v_cmp_eq_u16_sdwa s[28:29], v16, s22 src0_sel:BYTE_0 src1_sel:DWORD
	s_mov_b64 s[2:3], -1
                                        ; implicit-def: $sgpr20
	s_and_saveexec_b64 s[18:19], s[28:29]
; %bb.1857:                             ;   in Loop: Header=BB286_1064 Depth=1
	s_mov_b32 s20, 0x7fc02000
	s_xor_b64 s[2:3], exec, -1
; %bb.1858:                             ;   in Loop: Header=BB286_1064 Depth=1
	s_or_b64 exec, exec, s[18:19]
	s_and_b64 s[2:3], s[2:3], exec
	s_or_saveexec_b64 s[8:9], s[8:9]
	v_mov_b32_e32 v15, s20
	s_xor_b64 exec, exec, s[8:9]
	s_cbranch_execz .LBB286_1328
.LBB286_1859:                           ;   in Loop: Header=BB286_1064 Depth=1
	v_cmp_ne_u16_sdwa s[18:19], v16, v17 src0_sel:BYTE_0 src1_sel:DWORD
	s_andn2_b64 s[2:3], s[2:3], exec
	s_and_b64 s[18:19], s[18:19], exec
	v_mov_b32_e32 v15, 0
	s_or_b64 s[2:3], s[2:3], s[18:19]
	s_or_b64 exec, exec, s[8:9]
	s_and_saveexec_b64 s[8:9], s[2:3]
	s_cbranch_execnz .LBB286_1329
	s_branch .LBB286_1330
.LBB286_1860:                           ;   in Loop: Header=BB286_1064 Depth=1
	v_cmp_eq_u16_e64 s[2:3], s22, v16
	s_mov_b64 s[8:9], -1
                                        ; implicit-def: $sgpr28
	s_and_saveexec_b64 s[20:21], s[2:3]
; %bb.1861:                             ;   in Loop: Header=BB286_1064 Depth=1
	s_mov_b32 s28, 0x7fc02000
	s_xor_b64 s[8:9], exec, -1
; %bb.1862:                             ;   in Loop: Header=BB286_1064 Depth=1
	s_or_b64 exec, exec, s[20:21]
	s_and_b64 s[8:9], s[8:9], exec
	s_or_saveexec_b64 s[18:19], s[18:19]
	v_mov_b32_e32 v23, s28
	s_xor_b64 exec, exec, s[18:19]
	s_cbranch_execz .LBB286_1332
.LBB286_1863:                           ;   in Loop: Header=BB286_1064 Depth=1
	v_cmp_ne_u16_e64 s[2:3], 0, v16
	s_andn2_b64 s[8:9], s[8:9], exec
	s_and_b64 s[2:3], s[2:3], exec
	v_mov_b32_e32 v23, 0
	s_or_b64 s[8:9], s[8:9], s[2:3]
	s_or_b64 exec, exec, s[18:19]
	s_and_saveexec_b64 s[18:19], s[8:9]
	s_cbranch_execnz .LBB286_1333
	s_branch .LBB286_1334
.LBB286_1864:                           ;   in Loop: Header=BB286_1064 Depth=1
	v_cmp_eq_u16_sdwa s[28:29], v44, s22 src0_sel:BYTE_0 src1_sel:DWORD
	s_mov_b64 s[2:3], -1
                                        ; implicit-def: $sgpr20
	s_and_saveexec_b64 s[18:19], s[28:29]
; %bb.1865:                             ;   in Loop: Header=BB286_1064 Depth=1
	s_mov_b32 s20, 0x7fc02000
	s_xor_b64 s[2:3], exec, -1
; %bb.1866:                             ;   in Loop: Header=BB286_1064 Depth=1
	s_or_b64 exec, exec, s[18:19]
	s_and_b64 s[2:3], s[2:3], exec
	s_or_saveexec_b64 s[8:9], s[8:9]
	v_mov_b32_e32 v46, s20
	s_xor_b64 exec, exec, s[8:9]
	s_cbranch_execz .LBB286_1338
.LBB286_1867:                           ;   in Loop: Header=BB286_1064 Depth=1
	v_cmp_ne_u16_sdwa s[18:19], v44, v17 src0_sel:BYTE_0 src1_sel:DWORD
	s_andn2_b64 s[2:3], s[2:3], exec
	s_and_b64 s[18:19], s[18:19], exec
	v_mov_b32_e32 v46, 0
	s_or_b64 s[2:3], s[2:3], s[18:19]
	s_or_b64 exec, exec, s[8:9]
	s_and_saveexec_b64 s[8:9], s[2:3]
	s_cbranch_execnz .LBB286_1339
	s_branch .LBB286_1340
.LBB286_1868:                           ;   in Loop: Header=BB286_1064 Depth=1
	v_cmp_eq_u16_e64 s[2:3], s22, v16
	s_mov_b64 s[8:9], -1
                                        ; implicit-def: $sgpr28
	s_and_saveexec_b64 s[20:21], s[2:3]
; %bb.1869:                             ;   in Loop: Header=BB286_1064 Depth=1
	s_mov_b32 s28, 0x7fc02000
	s_xor_b64 s[8:9], exec, -1
; %bb.1870:                             ;   in Loop: Header=BB286_1064 Depth=1
	s_or_b64 exec, exec, s[20:21]
	s_and_b64 s[8:9], s[8:9], exec
	s_or_saveexec_b64 s[18:19], s[18:19]
	v_mov_b32_e32 v56, s28
	s_xor_b64 exec, exec, s[18:19]
	s_cbranch_execz .LBB286_1342
.LBB286_1871:                           ;   in Loop: Header=BB286_1064 Depth=1
	v_cmp_ne_u16_e64 s[2:3], 0, v16
	s_andn2_b64 s[8:9], s[8:9], exec
	s_and_b64 s[2:3], s[2:3], exec
	v_mov_b32_e32 v56, 0
	s_or_b64 s[8:9], s[8:9], s[2:3]
	s_or_b64 exec, exec, s[18:19]
	s_and_saveexec_b64 s[18:19], s[8:9]
	s_cbranch_execnz .LBB286_1343
	s_branch .LBB286_1344
.LBB286_1872:                           ;   in Loop: Header=BB286_1064 Depth=1
	v_cmp_eq_u16_sdwa s[28:29], v16, s22 src0_sel:BYTE_0 src1_sel:DWORD
	s_mov_b64 s[2:3], -1
                                        ; implicit-def: $sgpr20
	s_and_saveexec_b64 s[18:19], s[28:29]
; %bb.1873:                             ;   in Loop: Header=BB286_1064 Depth=1
	s_mov_b32 s20, 0x7fc02000
	s_xor_b64 s[2:3], exec, -1
; %bb.1874:                             ;   in Loop: Header=BB286_1064 Depth=1
	s_or_b64 exec, exec, s[18:19]
	s_and_b64 s[2:3], s[2:3], exec
	s_or_saveexec_b64 s[8:9], s[8:9]
	v_mov_b32_e32 v47, s20
	s_xor_b64 exec, exec, s[8:9]
	s_cbranch_execz .LBB286_1346
.LBB286_1875:                           ;   in Loop: Header=BB286_1064 Depth=1
	v_cmp_ne_u16_sdwa s[18:19], v16, v17 src0_sel:BYTE_0 src1_sel:DWORD
	s_andn2_b64 s[2:3], s[2:3], exec
	s_and_b64 s[18:19], s[18:19], exec
	v_mov_b32_e32 v47, 0
	s_or_b64 s[2:3], s[2:3], s[18:19]
	s_or_b64 exec, exec, s[8:9]
	s_and_saveexec_b64 s[8:9], s[2:3]
	s_cbranch_execnz .LBB286_1347
	s_branch .LBB286_1348
.LBB286_1876:                           ;   in Loop: Header=BB286_1064 Depth=1
	v_cmp_eq_u16_e64 s[2:3], s22, v16
	s_mov_b64 s[8:9], -1
                                        ; implicit-def: $sgpr28
	s_and_saveexec_b64 s[20:21], s[2:3]
; %bb.1877:                             ;   in Loop: Header=BB286_1064 Depth=1
	s_mov_b32 s28, 0x7fc02000
	s_xor_b64 s[8:9], exec, -1
; %bb.1878:                             ;   in Loop: Header=BB286_1064 Depth=1
	s_or_b64 exec, exec, s[20:21]
	s_and_b64 s[8:9], s[8:9], exec
	s_or_saveexec_b64 s[18:19], s[18:19]
	v_mov_b32_e32 v57, s28
	s_xor_b64 exec, exec, s[18:19]
	s_cbranch_execz .LBB286_1350
.LBB286_1879:                           ;   in Loop: Header=BB286_1064 Depth=1
	v_cmp_ne_u16_e64 s[2:3], 0, v16
	s_andn2_b64 s[8:9], s[8:9], exec
	s_and_b64 s[2:3], s[2:3], exec
	v_mov_b32_e32 v57, 0
	s_or_b64 s[8:9], s[8:9], s[2:3]
	s_or_b64 exec, exec, s[18:19]
	s_and_saveexec_b64 s[18:19], s[8:9]
	s_cbranch_execnz .LBB286_1351
	s_branch .LBB286_1352
.LBB286_1880:                           ;   in Loop: Header=BB286_1064 Depth=1
	v_cmp_eq_u16_sdwa s[28:29], v45, s22 src0_sel:BYTE_0 src1_sel:DWORD
	s_mov_b64 s[2:3], -1
                                        ; implicit-def: $sgpr20
	s_and_saveexec_b64 s[18:19], s[28:29]
; %bb.1881:                             ;   in Loop: Header=BB286_1064 Depth=1
	s_mov_b32 s20, 0x7fc02000
	s_xor_b64 s[2:3], exec, -1
; %bb.1882:                             ;   in Loop: Header=BB286_1064 Depth=1
	s_or_b64 exec, exec, s[18:19]
	s_and_b64 s[2:3], s[2:3], exec
	s_or_saveexec_b64 s[8:9], s[8:9]
	v_mov_b32_e32 v12, s20
	s_xor_b64 exec, exec, s[8:9]
	s_cbranch_execz .LBB286_1354
.LBB286_1883:                           ;   in Loop: Header=BB286_1064 Depth=1
	v_cmp_ne_u16_sdwa s[18:19], v45, v17 src0_sel:BYTE_0 src1_sel:DWORD
	s_andn2_b64 s[2:3], s[2:3], exec
	s_and_b64 s[18:19], s[18:19], exec
	v_mov_b32_e32 v12, 0
	s_or_b64 s[2:3], s[2:3], s[18:19]
	s_or_b64 exec, exec, s[8:9]
	v_mov_b32_e32 v16, v45
	s_and_saveexec_b64 s[8:9], s[2:3]
	s_cbranch_execnz .LBB286_1355
	s_branch .LBB286_1356
.LBB286_1884:                           ;   in Loop: Header=BB286_1064 Depth=1
	v_cmp_eq_u16_e64 s[2:3], s22, v16
	s_mov_b64 s[8:9], -1
                                        ; implicit-def: $sgpr28
	s_and_saveexec_b64 s[20:21], s[2:3]
; %bb.1885:                             ;   in Loop: Header=BB286_1064 Depth=1
	s_mov_b32 s28, 0x7fc02000
	s_xor_b64 s[8:9], exec, -1
; %bb.1886:                             ;   in Loop: Header=BB286_1064 Depth=1
	s_or_b64 exec, exec, s[20:21]
	s_and_b64 s[8:9], s[8:9], exec
	s_or_saveexec_b64 s[18:19], s[18:19]
	v_mov_b32_e32 v14, s28
	s_xor_b64 exec, exec, s[18:19]
	s_cbranch_execz .LBB286_1358
.LBB286_1887:                           ;   in Loop: Header=BB286_1064 Depth=1
	v_cmp_ne_u16_e64 s[2:3], 0, v16
	s_andn2_b64 s[8:9], s[8:9], exec
	s_and_b64 s[2:3], s[2:3], exec
	v_mov_b32_e32 v14, 0
	s_or_b64 s[8:9], s[8:9], s[2:3]
	s_or_b64 exec, exec, s[18:19]
	s_and_saveexec_b64 s[18:19], s[8:9]
	s_cbranch_execnz .LBB286_1359
	s_branch .LBB286_1360
.LBB286_1888:                           ;   in Loop: Header=BB286_1064 Depth=1
	v_cmp_eq_u16_sdwa s[28:29], v16, s22 src0_sel:BYTE_0 src1_sel:DWORD
	s_mov_b64 s[2:3], -1
                                        ; implicit-def: $sgpr20
	s_and_saveexec_b64 s[18:19], s[28:29]
; %bb.1889:                             ;   in Loop: Header=BB286_1064 Depth=1
	s_mov_b32 s20, 0x7fc02000
	s_xor_b64 s[2:3], exec, -1
; %bb.1890:                             ;   in Loop: Header=BB286_1064 Depth=1
	s_or_b64 exec, exec, s[18:19]
	s_and_b64 s[2:3], s[2:3], exec
	s_or_saveexec_b64 s[8:9], s[8:9]
	v_mov_b32_e32 v15, s20
	s_xor_b64 exec, exec, s[8:9]
	s_cbranch_execz .LBB286_1362
.LBB286_1891:                           ;   in Loop: Header=BB286_1064 Depth=1
	v_cmp_ne_u16_sdwa s[18:19], v16, v17 src0_sel:BYTE_0 src1_sel:DWORD
	s_andn2_b64 s[2:3], s[2:3], exec
	s_and_b64 s[18:19], s[18:19], exec
	v_mov_b32_e32 v15, 0
	s_or_b64 s[2:3], s[2:3], s[18:19]
	s_or_b64 exec, exec, s[8:9]
	s_and_saveexec_b64 s[8:9], s[2:3]
	s_cbranch_execnz .LBB286_1363
	s_branch .LBB286_1364
.LBB286_1892:                           ;   in Loop: Header=BB286_1064 Depth=1
	v_cmp_eq_u16_e64 s[2:3], s22, v16
	s_mov_b64 s[8:9], -1
                                        ; implicit-def: $sgpr28
	s_and_saveexec_b64 s[20:21], s[2:3]
; %bb.1893:                             ;   in Loop: Header=BB286_1064 Depth=1
	s_mov_b32 s28, 0x7fc02000
	s_xor_b64 s[8:9], exec, -1
; %bb.1894:                             ;   in Loop: Header=BB286_1064 Depth=1
	s_or_b64 exec, exec, s[20:21]
	s_and_b64 s[8:9], s[8:9], exec
	s_or_saveexec_b64 s[18:19], s[18:19]
	v_mov_b32_e32 v23, s28
	s_xor_b64 exec, exec, s[18:19]
	s_cbranch_execz .LBB286_1366
.LBB286_1895:                           ;   in Loop: Header=BB286_1064 Depth=1
	v_cmp_ne_u16_e64 s[2:3], 0, v16
	s_andn2_b64 s[8:9], s[8:9], exec
	s_and_b64 s[2:3], s[2:3], exec
	v_mov_b32_e32 v23, 0
	s_or_b64 s[8:9], s[8:9], s[2:3]
	s_or_b64 exec, exec, s[18:19]
	s_and_saveexec_b64 s[18:19], s[8:9]
	s_cbranch_execnz .LBB286_1367
	s_branch .LBB286_1368
.LBB286_1896:                           ;   in Loop: Header=BB286_1064 Depth=1
	v_cmp_eq_u16_sdwa s[28:29], v44, s22 src0_sel:BYTE_0 src1_sel:DWORD
	s_mov_b64 s[2:3], -1
                                        ; implicit-def: $sgpr20
	s_and_saveexec_b64 s[18:19], s[28:29]
; %bb.1897:                             ;   in Loop: Header=BB286_1064 Depth=1
	s_mov_b32 s20, 0x7fc02000
	s_xor_b64 s[2:3], exec, -1
; %bb.1898:                             ;   in Loop: Header=BB286_1064 Depth=1
	s_or_b64 exec, exec, s[18:19]
	s_and_b64 s[2:3], s[2:3], exec
	s_or_saveexec_b64 s[8:9], s[8:9]
	v_mov_b32_e32 v46, s20
	s_xor_b64 exec, exec, s[8:9]
	s_cbranch_execz .LBB286_1372
.LBB286_1899:                           ;   in Loop: Header=BB286_1064 Depth=1
	v_cmp_ne_u16_sdwa s[18:19], v44, v17 src0_sel:BYTE_0 src1_sel:DWORD
	s_andn2_b64 s[2:3], s[2:3], exec
	s_and_b64 s[18:19], s[18:19], exec
	v_mov_b32_e32 v46, 0
	s_or_b64 s[2:3], s[2:3], s[18:19]
	s_or_b64 exec, exec, s[8:9]
	s_and_saveexec_b64 s[8:9], s[2:3]
	s_cbranch_execnz .LBB286_1373
	s_branch .LBB286_1374
.LBB286_1900:                           ;   in Loop: Header=BB286_1064 Depth=1
	v_cmp_eq_u16_e64 s[2:3], s22, v16
	s_mov_b64 s[8:9], -1
                                        ; implicit-def: $sgpr28
	s_and_saveexec_b64 s[20:21], s[2:3]
; %bb.1901:                             ;   in Loop: Header=BB286_1064 Depth=1
	s_mov_b32 s28, 0x7fc02000
	s_xor_b64 s[8:9], exec, -1
; %bb.1902:                             ;   in Loop: Header=BB286_1064 Depth=1
	s_or_b64 exec, exec, s[20:21]
	s_and_b64 s[8:9], s[8:9], exec
	s_or_saveexec_b64 s[18:19], s[18:19]
	v_mov_b32_e32 v56, s28
	s_xor_b64 exec, exec, s[18:19]
	s_cbranch_execz .LBB286_1376
.LBB286_1903:                           ;   in Loop: Header=BB286_1064 Depth=1
	v_cmp_ne_u16_e64 s[2:3], 0, v16
	s_andn2_b64 s[8:9], s[8:9], exec
	s_and_b64 s[2:3], s[2:3], exec
	v_mov_b32_e32 v56, 0
	s_or_b64 s[8:9], s[8:9], s[2:3]
	s_or_b64 exec, exec, s[18:19]
	s_and_saveexec_b64 s[18:19], s[8:9]
	s_cbranch_execnz .LBB286_1377
	s_branch .LBB286_1378
.LBB286_1904:                           ;   in Loop: Header=BB286_1064 Depth=1
	v_cmp_eq_u16_sdwa s[28:29], v16, s22 src0_sel:BYTE_0 src1_sel:DWORD
	s_mov_b64 s[2:3], -1
                                        ; implicit-def: $sgpr20
	s_and_saveexec_b64 s[18:19], s[28:29]
; %bb.1905:                             ;   in Loop: Header=BB286_1064 Depth=1
	s_mov_b32 s20, 0x7fc02000
	s_xor_b64 s[2:3], exec, -1
; %bb.1906:                             ;   in Loop: Header=BB286_1064 Depth=1
	s_or_b64 exec, exec, s[18:19]
	s_and_b64 s[2:3], s[2:3], exec
	s_or_saveexec_b64 s[8:9], s[8:9]
	v_mov_b32_e32 v47, s20
	s_xor_b64 exec, exec, s[8:9]
	s_cbranch_execz .LBB286_1380
.LBB286_1907:                           ;   in Loop: Header=BB286_1064 Depth=1
	v_cmp_ne_u16_sdwa s[18:19], v16, v17 src0_sel:BYTE_0 src1_sel:DWORD
	s_andn2_b64 s[2:3], s[2:3], exec
	s_and_b64 s[18:19], s[18:19], exec
	v_mov_b32_e32 v47, 0
	s_or_b64 s[2:3], s[2:3], s[18:19]
	s_or_b64 exec, exec, s[8:9]
	s_and_saveexec_b64 s[8:9], s[2:3]
	s_cbranch_execnz .LBB286_1381
	s_branch .LBB286_1382
.LBB286_1908:                           ;   in Loop: Header=BB286_1064 Depth=1
	v_cmp_eq_u16_e64 s[2:3], s22, v16
	s_mov_b64 s[8:9], -1
                                        ; implicit-def: $sgpr28
	s_and_saveexec_b64 s[20:21], s[2:3]
; %bb.1909:                             ;   in Loop: Header=BB286_1064 Depth=1
	s_mov_b32 s28, 0x7fc02000
	s_xor_b64 s[8:9], exec, -1
; %bb.1910:                             ;   in Loop: Header=BB286_1064 Depth=1
	s_or_b64 exec, exec, s[20:21]
	s_and_b64 s[8:9], s[8:9], exec
	s_or_saveexec_b64 s[18:19], s[18:19]
	v_mov_b32_e32 v57, s28
	s_xor_b64 exec, exec, s[18:19]
	s_cbranch_execz .LBB286_1384
.LBB286_1911:                           ;   in Loop: Header=BB286_1064 Depth=1
	v_cmp_ne_u16_e64 s[2:3], 0, v16
	s_andn2_b64 s[8:9], s[8:9], exec
	s_and_b64 s[2:3], s[2:3], exec
	v_mov_b32_e32 v57, 0
	s_or_b64 s[8:9], s[8:9], s[2:3]
	s_or_b64 exec, exec, s[18:19]
	s_and_saveexec_b64 s[18:19], s[8:9]
	s_cbranch_execnz .LBB286_1385
	s_branch .LBB286_1386
.LBB286_1912:                           ;   in Loop: Header=BB286_1064 Depth=1
	v_cmp_eq_u16_sdwa s[28:29], v45, s22 src0_sel:BYTE_0 src1_sel:DWORD
	s_mov_b64 s[2:3], -1
                                        ; implicit-def: $sgpr20
	s_and_saveexec_b64 s[18:19], s[28:29]
; %bb.1913:                             ;   in Loop: Header=BB286_1064 Depth=1
	s_mov_b32 s20, 0x7fc02000
	s_xor_b64 s[2:3], exec, -1
; %bb.1914:                             ;   in Loop: Header=BB286_1064 Depth=1
	s_or_b64 exec, exec, s[18:19]
	s_and_b64 s[2:3], s[2:3], exec
	s_or_saveexec_b64 s[8:9], s[8:9]
	v_mov_b32_e32 v12, s20
	s_xor_b64 exec, exec, s[8:9]
	s_cbranch_execz .LBB286_1388
.LBB286_1915:                           ;   in Loop: Header=BB286_1064 Depth=1
	v_cmp_ne_u16_sdwa s[18:19], v45, v17 src0_sel:BYTE_0 src1_sel:DWORD
	s_andn2_b64 s[2:3], s[2:3], exec
	s_and_b64 s[18:19], s[18:19], exec
	v_mov_b32_e32 v12, 0
	s_or_b64 s[2:3], s[2:3], s[18:19]
	s_or_b64 exec, exec, s[8:9]
	v_mov_b32_e32 v16, v45
	s_and_saveexec_b64 s[8:9], s[2:3]
	s_cbranch_execnz .LBB286_1389
	s_branch .LBB286_1390
.LBB286_1916:                           ;   in Loop: Header=BB286_1064 Depth=1
	v_cmp_eq_u16_e64 s[2:3], s22, v16
	s_mov_b64 s[8:9], -1
                                        ; implicit-def: $sgpr28
	s_and_saveexec_b64 s[20:21], s[2:3]
; %bb.1917:                             ;   in Loop: Header=BB286_1064 Depth=1
	s_mov_b32 s28, 0x7fc02000
	s_xor_b64 s[8:9], exec, -1
; %bb.1918:                             ;   in Loop: Header=BB286_1064 Depth=1
	s_or_b64 exec, exec, s[20:21]
	s_and_b64 s[8:9], s[8:9], exec
	s_or_saveexec_b64 s[18:19], s[18:19]
	v_mov_b32_e32 v14, s28
	s_xor_b64 exec, exec, s[18:19]
	s_cbranch_execz .LBB286_1392
.LBB286_1919:                           ;   in Loop: Header=BB286_1064 Depth=1
	v_cmp_ne_u16_e64 s[2:3], 0, v16
	s_andn2_b64 s[8:9], s[8:9], exec
	s_and_b64 s[2:3], s[2:3], exec
	v_mov_b32_e32 v14, 0
	s_or_b64 s[8:9], s[8:9], s[2:3]
	s_or_b64 exec, exec, s[18:19]
	s_and_saveexec_b64 s[18:19], s[8:9]
	s_cbranch_execnz .LBB286_1393
	s_branch .LBB286_1394
.LBB286_1920:                           ;   in Loop: Header=BB286_1064 Depth=1
	v_cmp_eq_u16_sdwa s[28:29], v16, s22 src0_sel:BYTE_0 src1_sel:DWORD
	s_mov_b64 s[2:3], -1
                                        ; implicit-def: $sgpr20
	s_and_saveexec_b64 s[18:19], s[28:29]
; %bb.1921:                             ;   in Loop: Header=BB286_1064 Depth=1
	s_mov_b32 s20, 0x7fc02000
	s_xor_b64 s[2:3], exec, -1
; %bb.1922:                             ;   in Loop: Header=BB286_1064 Depth=1
	s_or_b64 exec, exec, s[18:19]
	s_and_b64 s[2:3], s[2:3], exec
	s_or_saveexec_b64 s[8:9], s[8:9]
	v_mov_b32_e32 v15, s20
	s_xor_b64 exec, exec, s[8:9]
	s_cbranch_execz .LBB286_1396
.LBB286_1923:                           ;   in Loop: Header=BB286_1064 Depth=1
	v_cmp_ne_u16_sdwa s[18:19], v16, v17 src0_sel:BYTE_0 src1_sel:DWORD
	s_andn2_b64 s[2:3], s[2:3], exec
	s_and_b64 s[18:19], s[18:19], exec
	v_mov_b32_e32 v15, 0
	s_or_b64 s[2:3], s[2:3], s[18:19]
	s_or_b64 exec, exec, s[8:9]
	s_and_saveexec_b64 s[8:9], s[2:3]
	s_cbranch_execnz .LBB286_1397
	s_branch .LBB286_1398
.LBB286_1924:                           ;   in Loop: Header=BB286_1064 Depth=1
	v_cmp_eq_u16_e64 s[2:3], s22, v16
	s_mov_b64 s[8:9], -1
                                        ; implicit-def: $sgpr28
	s_and_saveexec_b64 s[20:21], s[2:3]
; %bb.1925:                             ;   in Loop: Header=BB286_1064 Depth=1
	s_mov_b32 s28, 0x7fc02000
	s_xor_b64 s[8:9], exec, -1
; %bb.1926:                             ;   in Loop: Header=BB286_1064 Depth=1
	s_or_b64 exec, exec, s[20:21]
	s_and_b64 s[8:9], s[8:9], exec
	s_or_saveexec_b64 s[18:19], s[18:19]
	v_mov_b32_e32 v23, s28
	s_xor_b64 exec, exec, s[18:19]
	s_cbranch_execz .LBB286_1400
.LBB286_1927:                           ;   in Loop: Header=BB286_1064 Depth=1
	v_cmp_ne_u16_e64 s[2:3], 0, v16
	s_andn2_b64 s[8:9], s[8:9], exec
	s_and_b64 s[2:3], s[2:3], exec
	v_mov_b32_e32 v23, 0
	s_or_b64 s[8:9], s[8:9], s[2:3]
	s_or_b64 exec, exec, s[18:19]
	s_and_saveexec_b64 s[18:19], s[8:9]
	s_cbranch_execnz .LBB286_1401
	s_branch .LBB286_1402
.LBB286_1928:                           ;   in Loop: Header=BB286_1064 Depth=1
	v_cmp_eq_u16_sdwa s[28:29], v44, s22 src0_sel:BYTE_0 src1_sel:DWORD
	s_mov_b64 s[2:3], -1
                                        ; implicit-def: $sgpr20
	s_and_saveexec_b64 s[18:19], s[28:29]
; %bb.1929:                             ;   in Loop: Header=BB286_1064 Depth=1
	s_mov_b32 s20, 0x7fc02000
	s_xor_b64 s[2:3], exec, -1
; %bb.1930:                             ;   in Loop: Header=BB286_1064 Depth=1
	s_or_b64 exec, exec, s[18:19]
	s_and_b64 s[2:3], s[2:3], exec
	s_or_saveexec_b64 s[8:9], s[8:9]
	v_mov_b32_e32 v46, s20
	s_xor_b64 exec, exec, s[8:9]
	s_cbranch_execz .LBB286_1406
.LBB286_1931:                           ;   in Loop: Header=BB286_1064 Depth=1
	v_cmp_ne_u16_sdwa s[18:19], v44, v17 src0_sel:BYTE_0 src1_sel:DWORD
	s_andn2_b64 s[2:3], s[2:3], exec
	s_and_b64 s[18:19], s[18:19], exec
	v_mov_b32_e32 v46, 0
	s_or_b64 s[2:3], s[2:3], s[18:19]
	s_or_b64 exec, exec, s[8:9]
	s_and_saveexec_b64 s[8:9], s[2:3]
	s_cbranch_execnz .LBB286_1407
	s_branch .LBB286_1408
.LBB286_1932:                           ;   in Loop: Header=BB286_1064 Depth=1
	v_cmp_eq_u16_e64 s[2:3], s22, v16
	s_mov_b64 s[8:9], -1
                                        ; implicit-def: $sgpr28
	s_and_saveexec_b64 s[20:21], s[2:3]
; %bb.1933:                             ;   in Loop: Header=BB286_1064 Depth=1
	s_mov_b32 s28, 0x7fc02000
	s_xor_b64 s[8:9], exec, -1
; %bb.1934:                             ;   in Loop: Header=BB286_1064 Depth=1
	s_or_b64 exec, exec, s[20:21]
	s_and_b64 s[8:9], s[8:9], exec
	s_or_saveexec_b64 s[18:19], s[18:19]
	v_mov_b32_e32 v56, s28
	s_xor_b64 exec, exec, s[18:19]
	s_cbranch_execz .LBB286_1410
.LBB286_1935:                           ;   in Loop: Header=BB286_1064 Depth=1
	v_cmp_ne_u16_e64 s[2:3], 0, v16
	s_andn2_b64 s[8:9], s[8:9], exec
	s_and_b64 s[2:3], s[2:3], exec
	v_mov_b32_e32 v56, 0
	s_or_b64 s[8:9], s[8:9], s[2:3]
	s_or_b64 exec, exec, s[18:19]
	s_and_saveexec_b64 s[18:19], s[8:9]
	s_cbranch_execnz .LBB286_1411
	s_branch .LBB286_1412
.LBB286_1936:                           ;   in Loop: Header=BB286_1064 Depth=1
	v_cmp_eq_u16_sdwa s[28:29], v16, s22 src0_sel:BYTE_0 src1_sel:DWORD
	s_mov_b64 s[2:3], -1
                                        ; implicit-def: $sgpr20
	s_and_saveexec_b64 s[18:19], s[28:29]
; %bb.1937:                             ;   in Loop: Header=BB286_1064 Depth=1
	s_mov_b32 s20, 0x7fc02000
	s_xor_b64 s[2:3], exec, -1
; %bb.1938:                             ;   in Loop: Header=BB286_1064 Depth=1
	s_or_b64 exec, exec, s[18:19]
	s_and_b64 s[2:3], s[2:3], exec
	s_or_saveexec_b64 s[8:9], s[8:9]
	v_mov_b32_e32 v47, s20
	s_xor_b64 exec, exec, s[8:9]
	s_cbranch_execz .LBB286_1414
.LBB286_1939:                           ;   in Loop: Header=BB286_1064 Depth=1
	v_cmp_ne_u16_sdwa s[18:19], v16, v17 src0_sel:BYTE_0 src1_sel:DWORD
	s_andn2_b64 s[2:3], s[2:3], exec
	s_and_b64 s[18:19], s[18:19], exec
	v_mov_b32_e32 v47, 0
	s_or_b64 s[2:3], s[2:3], s[18:19]
	s_or_b64 exec, exec, s[8:9]
	s_and_saveexec_b64 s[8:9], s[2:3]
	s_cbranch_execnz .LBB286_1415
	s_branch .LBB286_1416
.LBB286_1940:                           ;   in Loop: Header=BB286_1064 Depth=1
	v_cmp_eq_u16_e64 s[2:3], s22, v16
	s_mov_b64 s[8:9], -1
                                        ; implicit-def: $sgpr28
	s_and_saveexec_b64 s[20:21], s[2:3]
; %bb.1941:                             ;   in Loop: Header=BB286_1064 Depth=1
	s_mov_b32 s28, 0x7fc02000
	s_xor_b64 s[8:9], exec, -1
; %bb.1942:                             ;   in Loop: Header=BB286_1064 Depth=1
	s_or_b64 exec, exec, s[20:21]
	s_and_b64 s[8:9], s[8:9], exec
	s_or_saveexec_b64 s[18:19], s[18:19]
	v_mov_b32_e32 v57, s28
	s_xor_b64 exec, exec, s[18:19]
	s_cbranch_execz .LBB286_1418
.LBB286_1943:                           ;   in Loop: Header=BB286_1064 Depth=1
	v_cmp_ne_u16_e64 s[2:3], 0, v16
	s_andn2_b64 s[8:9], s[8:9], exec
	s_and_b64 s[2:3], s[2:3], exec
	v_mov_b32_e32 v57, 0
	s_or_b64 s[8:9], s[8:9], s[2:3]
	s_or_b64 exec, exec, s[18:19]
	s_and_saveexec_b64 s[18:19], s[8:9]
	s_cbranch_execnz .LBB286_1419
	s_branch .LBB286_1420
.LBB286_1944:                           ;   in Loop: Header=BB286_1064 Depth=1
	v_cmp_eq_u16_sdwa s[28:29], v45, s22 src0_sel:BYTE_0 src1_sel:DWORD
	s_mov_b64 s[2:3], -1
                                        ; implicit-def: $sgpr20
	s_and_saveexec_b64 s[18:19], s[28:29]
; %bb.1945:                             ;   in Loop: Header=BB286_1064 Depth=1
	s_mov_b32 s20, 0x7fc02000
	s_xor_b64 s[2:3], exec, -1
; %bb.1946:                             ;   in Loop: Header=BB286_1064 Depth=1
	s_or_b64 exec, exec, s[18:19]
	s_and_b64 s[2:3], s[2:3], exec
	s_or_saveexec_b64 s[8:9], s[8:9]
	v_mov_b32_e32 v12, s20
	s_xor_b64 exec, exec, s[8:9]
	s_cbranch_execz .LBB286_1422
.LBB286_1947:                           ;   in Loop: Header=BB286_1064 Depth=1
	v_cmp_ne_u16_sdwa s[18:19], v45, v17 src0_sel:BYTE_0 src1_sel:DWORD
	s_andn2_b64 s[2:3], s[2:3], exec
	s_and_b64 s[18:19], s[18:19], exec
	v_mov_b32_e32 v12, 0
	s_or_b64 s[2:3], s[2:3], s[18:19]
	s_or_b64 exec, exec, s[8:9]
	v_mov_b32_e32 v16, v45
	s_and_saveexec_b64 s[8:9], s[2:3]
	s_cbranch_execnz .LBB286_1423
	s_branch .LBB286_1424
.LBB286_1948:                           ;   in Loop: Header=BB286_1064 Depth=1
	v_cmp_eq_u16_e64 s[2:3], s22, v16
	s_mov_b64 s[8:9], -1
                                        ; implicit-def: $sgpr28
	s_and_saveexec_b64 s[20:21], s[2:3]
; %bb.1949:                             ;   in Loop: Header=BB286_1064 Depth=1
	s_mov_b32 s28, 0x7fc02000
	s_xor_b64 s[8:9], exec, -1
; %bb.1950:                             ;   in Loop: Header=BB286_1064 Depth=1
	s_or_b64 exec, exec, s[20:21]
	s_and_b64 s[8:9], s[8:9], exec
	s_or_saveexec_b64 s[18:19], s[18:19]
	v_mov_b32_e32 v14, s28
	s_xor_b64 exec, exec, s[18:19]
	s_cbranch_execz .LBB286_1426
.LBB286_1951:                           ;   in Loop: Header=BB286_1064 Depth=1
	v_cmp_ne_u16_e64 s[2:3], 0, v16
	s_andn2_b64 s[8:9], s[8:9], exec
	s_and_b64 s[2:3], s[2:3], exec
	v_mov_b32_e32 v14, 0
	s_or_b64 s[8:9], s[8:9], s[2:3]
	s_or_b64 exec, exec, s[18:19]
	s_and_saveexec_b64 s[18:19], s[8:9]
	s_cbranch_execnz .LBB286_1427
	s_branch .LBB286_1428
.LBB286_1952:                           ;   in Loop: Header=BB286_1064 Depth=1
	v_cmp_eq_u16_sdwa s[28:29], v16, s22 src0_sel:BYTE_0 src1_sel:DWORD
	s_mov_b64 s[2:3], -1
                                        ; implicit-def: $sgpr20
	s_and_saveexec_b64 s[18:19], s[28:29]
; %bb.1953:                             ;   in Loop: Header=BB286_1064 Depth=1
	s_mov_b32 s20, 0x7fc02000
	s_xor_b64 s[2:3], exec, -1
; %bb.1954:                             ;   in Loop: Header=BB286_1064 Depth=1
	s_or_b64 exec, exec, s[18:19]
	s_and_b64 s[2:3], s[2:3], exec
	s_or_saveexec_b64 s[8:9], s[8:9]
	v_mov_b32_e32 v15, s20
	s_xor_b64 exec, exec, s[8:9]
	s_cbranch_execz .LBB286_1430
.LBB286_1955:                           ;   in Loop: Header=BB286_1064 Depth=1
	v_cmp_ne_u16_sdwa s[18:19], v16, v17 src0_sel:BYTE_0 src1_sel:DWORD
	s_andn2_b64 s[2:3], s[2:3], exec
	s_and_b64 s[18:19], s[18:19], exec
	v_mov_b32_e32 v15, 0
	s_or_b64 s[2:3], s[2:3], s[18:19]
	s_or_b64 exec, exec, s[8:9]
	s_and_saveexec_b64 s[8:9], s[2:3]
	s_cbranch_execnz .LBB286_1431
	s_branch .LBB286_1432
.LBB286_1956:                           ;   in Loop: Header=BB286_1064 Depth=1
	v_cmp_eq_u16_e64 s[2:3], s22, v16
	s_mov_b64 s[8:9], -1
                                        ; implicit-def: $sgpr28
	s_and_saveexec_b64 s[20:21], s[2:3]
; %bb.1957:                             ;   in Loop: Header=BB286_1064 Depth=1
	s_mov_b32 s28, 0x7fc02000
	s_xor_b64 s[8:9], exec, -1
; %bb.1958:                             ;   in Loop: Header=BB286_1064 Depth=1
	s_or_b64 exec, exec, s[20:21]
	s_and_b64 s[8:9], s[8:9], exec
	s_or_saveexec_b64 s[18:19], s[18:19]
	v_mov_b32_e32 v23, s28
	s_xor_b64 exec, exec, s[18:19]
	s_cbranch_execz .LBB286_1434
.LBB286_1959:                           ;   in Loop: Header=BB286_1064 Depth=1
	v_cmp_ne_u16_e64 s[2:3], 0, v16
	s_andn2_b64 s[8:9], s[8:9], exec
	s_and_b64 s[2:3], s[2:3], exec
	v_mov_b32_e32 v23, 0
	s_or_b64 s[8:9], s[8:9], s[2:3]
	s_or_b64 exec, exec, s[18:19]
	s_and_saveexec_b64 s[18:19], s[8:9]
	s_cbranch_execnz .LBB286_1435
	s_branch .LBB286_1436
.LBB286_1960:                           ;   in Loop: Header=BB286_1064 Depth=1
	v_cmp_eq_u16_sdwa s[28:29], v44, s22 src0_sel:BYTE_0 src1_sel:DWORD
	s_mov_b64 s[2:3], -1
                                        ; implicit-def: $sgpr20
	s_and_saveexec_b64 s[18:19], s[28:29]
; %bb.1961:                             ;   in Loop: Header=BB286_1064 Depth=1
	s_mov_b32 s20, 0x7fc02000
	s_xor_b64 s[2:3], exec, -1
; %bb.1962:                             ;   in Loop: Header=BB286_1064 Depth=1
	s_or_b64 exec, exec, s[18:19]
	s_and_b64 s[2:3], s[2:3], exec
	s_or_saveexec_b64 s[8:9], s[8:9]
	v_mov_b32_e32 v46, s20
	s_xor_b64 exec, exec, s[8:9]
	s_cbranch_execz .LBB286_1440
.LBB286_1963:                           ;   in Loop: Header=BB286_1064 Depth=1
	v_cmp_ne_u16_sdwa s[18:19], v44, v17 src0_sel:BYTE_0 src1_sel:DWORD
	s_andn2_b64 s[2:3], s[2:3], exec
	s_and_b64 s[18:19], s[18:19], exec
	v_mov_b32_e32 v46, 0
	s_or_b64 s[2:3], s[2:3], s[18:19]
	s_or_b64 exec, exec, s[8:9]
	s_and_saveexec_b64 s[8:9], s[2:3]
	s_cbranch_execnz .LBB286_1441
	s_branch .LBB286_1442
.LBB286_1964:                           ;   in Loop: Header=BB286_1064 Depth=1
	v_cmp_eq_u16_e64 s[2:3], s22, v16
	s_mov_b64 s[8:9], -1
                                        ; implicit-def: $sgpr28
	s_and_saveexec_b64 s[20:21], s[2:3]
; %bb.1965:                             ;   in Loop: Header=BB286_1064 Depth=1
	s_mov_b32 s28, 0x7fc02000
	s_xor_b64 s[8:9], exec, -1
; %bb.1966:                             ;   in Loop: Header=BB286_1064 Depth=1
	s_or_b64 exec, exec, s[20:21]
	s_and_b64 s[8:9], s[8:9], exec
	s_or_saveexec_b64 s[18:19], s[18:19]
	v_mov_b32_e32 v56, s28
	s_xor_b64 exec, exec, s[18:19]
	s_cbranch_execz .LBB286_1444
.LBB286_1967:                           ;   in Loop: Header=BB286_1064 Depth=1
	v_cmp_ne_u16_e64 s[2:3], 0, v16
	s_andn2_b64 s[8:9], s[8:9], exec
	s_and_b64 s[2:3], s[2:3], exec
	v_mov_b32_e32 v56, 0
	s_or_b64 s[8:9], s[8:9], s[2:3]
	s_or_b64 exec, exec, s[18:19]
	s_and_saveexec_b64 s[18:19], s[8:9]
	s_cbranch_execnz .LBB286_1445
	s_branch .LBB286_1446
.LBB286_1968:                           ;   in Loop: Header=BB286_1064 Depth=1
	v_cmp_eq_u16_sdwa s[28:29], v16, s22 src0_sel:BYTE_0 src1_sel:DWORD
	s_mov_b64 s[2:3], -1
                                        ; implicit-def: $sgpr20
	s_and_saveexec_b64 s[18:19], s[28:29]
; %bb.1969:                             ;   in Loop: Header=BB286_1064 Depth=1
	s_mov_b32 s20, 0x7fc02000
	s_xor_b64 s[2:3], exec, -1
; %bb.1970:                             ;   in Loop: Header=BB286_1064 Depth=1
	s_or_b64 exec, exec, s[18:19]
	s_and_b64 s[2:3], s[2:3], exec
	s_or_saveexec_b64 s[8:9], s[8:9]
	v_mov_b32_e32 v47, s20
	s_xor_b64 exec, exec, s[8:9]
	s_cbranch_execz .LBB286_1448
.LBB286_1971:                           ;   in Loop: Header=BB286_1064 Depth=1
	v_cmp_ne_u16_sdwa s[18:19], v16, v17 src0_sel:BYTE_0 src1_sel:DWORD
	s_andn2_b64 s[2:3], s[2:3], exec
	s_and_b64 s[18:19], s[18:19], exec
	v_mov_b32_e32 v47, 0
	s_or_b64 s[2:3], s[2:3], s[18:19]
	s_or_b64 exec, exec, s[8:9]
	s_and_saveexec_b64 s[8:9], s[2:3]
	s_cbranch_execnz .LBB286_1449
	s_branch .LBB286_1450
.LBB286_1972:                           ;   in Loop: Header=BB286_1064 Depth=1
	v_cmp_eq_u16_e64 s[2:3], s22, v16
	s_mov_b64 s[8:9], -1
                                        ; implicit-def: $sgpr28
	s_and_saveexec_b64 s[20:21], s[2:3]
; %bb.1973:                             ;   in Loop: Header=BB286_1064 Depth=1
	s_mov_b32 s28, 0x7fc02000
	s_xor_b64 s[8:9], exec, -1
; %bb.1974:                             ;   in Loop: Header=BB286_1064 Depth=1
	s_or_b64 exec, exec, s[20:21]
	s_and_b64 s[8:9], s[8:9], exec
	s_or_saveexec_b64 s[18:19], s[18:19]
	v_mov_b32_e32 v57, s28
	s_xor_b64 exec, exec, s[18:19]
	s_cbranch_execz .LBB286_1452
.LBB286_1975:                           ;   in Loop: Header=BB286_1064 Depth=1
	v_cmp_ne_u16_e64 s[2:3], 0, v16
	s_andn2_b64 s[8:9], s[8:9], exec
	s_and_b64 s[2:3], s[2:3], exec
	v_mov_b32_e32 v57, 0
	s_or_b64 s[8:9], s[8:9], s[2:3]
	s_or_b64 exec, exec, s[18:19]
	s_and_saveexec_b64 s[18:19], s[8:9]
	s_cbranch_execnz .LBB286_1453
	s_branch .LBB286_1454
.LBB286_1976:                           ;   in Loop: Header=BB286_1064 Depth=1
	v_cmp_eq_u16_sdwa s[28:29], v45, s22 src0_sel:BYTE_0 src1_sel:DWORD
	s_mov_b64 s[2:3], -1
                                        ; implicit-def: $sgpr20
	s_and_saveexec_b64 s[18:19], s[28:29]
; %bb.1977:                             ;   in Loop: Header=BB286_1064 Depth=1
	s_mov_b32 s20, 0x7fc02000
	s_xor_b64 s[2:3], exec, -1
; %bb.1978:                             ;   in Loop: Header=BB286_1064 Depth=1
	s_or_b64 exec, exec, s[18:19]
	s_and_b64 s[2:3], s[2:3], exec
	s_or_saveexec_b64 s[8:9], s[8:9]
	v_mov_b32_e32 v12, s20
	s_xor_b64 exec, exec, s[8:9]
	s_cbranch_execz .LBB286_1456
.LBB286_1979:                           ;   in Loop: Header=BB286_1064 Depth=1
	v_cmp_ne_u16_sdwa s[18:19], v45, v17 src0_sel:BYTE_0 src1_sel:DWORD
	s_andn2_b64 s[2:3], s[2:3], exec
	s_and_b64 s[18:19], s[18:19], exec
	v_mov_b32_e32 v12, 0
	s_or_b64 s[2:3], s[2:3], s[18:19]
	s_or_b64 exec, exec, s[8:9]
	v_mov_b32_e32 v16, v45
	s_and_saveexec_b64 s[8:9], s[2:3]
	s_cbranch_execnz .LBB286_1457
	s_branch .LBB286_1458
.LBB286_1980:                           ;   in Loop: Header=BB286_1064 Depth=1
	v_cmp_eq_u16_e64 s[2:3], s22, v16
	s_mov_b64 s[8:9], -1
                                        ; implicit-def: $sgpr28
	s_and_saveexec_b64 s[20:21], s[2:3]
; %bb.1981:                             ;   in Loop: Header=BB286_1064 Depth=1
	s_mov_b32 s28, 0x7fc02000
	s_xor_b64 s[8:9], exec, -1
; %bb.1982:                             ;   in Loop: Header=BB286_1064 Depth=1
	s_or_b64 exec, exec, s[20:21]
	s_and_b64 s[8:9], s[8:9], exec
	s_or_saveexec_b64 s[18:19], s[18:19]
	v_mov_b32_e32 v14, s28
	s_xor_b64 exec, exec, s[18:19]
	s_cbranch_execz .LBB286_1460
.LBB286_1983:                           ;   in Loop: Header=BB286_1064 Depth=1
	v_cmp_ne_u16_e64 s[2:3], 0, v16
	s_andn2_b64 s[8:9], s[8:9], exec
	s_and_b64 s[2:3], s[2:3], exec
	v_mov_b32_e32 v14, 0
	s_or_b64 s[8:9], s[8:9], s[2:3]
	s_or_b64 exec, exec, s[18:19]
	s_and_saveexec_b64 s[18:19], s[8:9]
	s_cbranch_execnz .LBB286_1461
	s_branch .LBB286_1462
.LBB286_1984:                           ;   in Loop: Header=BB286_1064 Depth=1
	v_cmp_eq_u16_sdwa s[28:29], v16, s22 src0_sel:BYTE_0 src1_sel:DWORD
	s_mov_b64 s[2:3], -1
                                        ; implicit-def: $sgpr20
	s_and_saveexec_b64 s[18:19], s[28:29]
; %bb.1985:                             ;   in Loop: Header=BB286_1064 Depth=1
	s_mov_b32 s20, 0x7fc02000
	s_xor_b64 s[2:3], exec, -1
; %bb.1986:                             ;   in Loop: Header=BB286_1064 Depth=1
	s_or_b64 exec, exec, s[18:19]
	s_and_b64 s[2:3], s[2:3], exec
	s_or_saveexec_b64 s[8:9], s[8:9]
	v_mov_b32_e32 v15, s20
	s_xor_b64 exec, exec, s[8:9]
	s_cbranch_execz .LBB286_1464
.LBB286_1987:                           ;   in Loop: Header=BB286_1064 Depth=1
	v_cmp_ne_u16_sdwa s[18:19], v16, v17 src0_sel:BYTE_0 src1_sel:DWORD
	s_andn2_b64 s[2:3], s[2:3], exec
	s_and_b64 s[18:19], s[18:19], exec
	v_mov_b32_e32 v15, 0
	s_or_b64 s[2:3], s[2:3], s[18:19]
	s_or_b64 exec, exec, s[8:9]
	s_and_saveexec_b64 s[8:9], s[2:3]
	s_cbranch_execnz .LBB286_1465
	s_branch .LBB286_1466
.LBB286_1988:                           ;   in Loop: Header=BB286_1064 Depth=1
	v_cmp_eq_u16_e64 s[2:3], s22, v16
	s_mov_b64 s[8:9], -1
                                        ; implicit-def: $sgpr28
	s_and_saveexec_b64 s[20:21], s[2:3]
; %bb.1989:                             ;   in Loop: Header=BB286_1064 Depth=1
	s_mov_b32 s28, 0x7fc02000
	s_xor_b64 s[8:9], exec, -1
; %bb.1990:                             ;   in Loop: Header=BB286_1064 Depth=1
	s_or_b64 exec, exec, s[20:21]
	s_and_b64 s[8:9], s[8:9], exec
	s_or_saveexec_b64 s[18:19], s[18:19]
	v_mov_b32_e32 v23, s28
	s_xor_b64 exec, exec, s[18:19]
	s_cbranch_execz .LBB286_1468
.LBB286_1991:                           ;   in Loop: Header=BB286_1064 Depth=1
	v_cmp_ne_u16_e64 s[2:3], 0, v16
	s_andn2_b64 s[8:9], s[8:9], exec
	s_and_b64 s[2:3], s[2:3], exec
	v_mov_b32_e32 v23, 0
	s_or_b64 s[8:9], s[8:9], s[2:3]
	s_or_b64 exec, exec, s[18:19]
	s_and_saveexec_b64 s[18:19], s[8:9]
	s_cbranch_execnz .LBB286_1469
	s_branch .LBB286_1470
.LBB286_1992:                           ;   in Loop: Header=BB286_1064 Depth=1
	v_cmp_eq_u16_sdwa s[28:29], v44, s22 src0_sel:BYTE_0 src1_sel:DWORD
	s_mov_b64 s[2:3], -1
                                        ; implicit-def: $sgpr20
	s_and_saveexec_b64 s[18:19], s[28:29]
; %bb.1993:                             ;   in Loop: Header=BB286_1064 Depth=1
	s_mov_b32 s20, 0x7fc02000
	s_xor_b64 s[2:3], exec, -1
; %bb.1994:                             ;   in Loop: Header=BB286_1064 Depth=1
	s_or_b64 exec, exec, s[18:19]
	s_and_b64 s[2:3], s[2:3], exec
	s_or_saveexec_b64 s[8:9], s[8:9]
	v_mov_b32_e32 v46, s20
	s_xor_b64 exec, exec, s[8:9]
	s_cbranch_execz .LBB286_1474
.LBB286_1995:                           ;   in Loop: Header=BB286_1064 Depth=1
	v_cmp_ne_u16_sdwa s[18:19], v44, v17 src0_sel:BYTE_0 src1_sel:DWORD
	s_andn2_b64 s[2:3], s[2:3], exec
	s_and_b64 s[18:19], s[18:19], exec
	v_mov_b32_e32 v46, 0
	s_or_b64 s[2:3], s[2:3], s[18:19]
	s_or_b64 exec, exec, s[8:9]
	s_and_saveexec_b64 s[8:9], s[2:3]
	s_cbranch_execnz .LBB286_1475
	s_branch .LBB286_1476
.LBB286_1996:                           ;   in Loop: Header=BB286_1064 Depth=1
	v_cmp_eq_u16_e64 s[2:3], s22, v16
	s_mov_b64 s[8:9], -1
                                        ; implicit-def: $sgpr28
	s_and_saveexec_b64 s[20:21], s[2:3]
; %bb.1997:                             ;   in Loop: Header=BB286_1064 Depth=1
	s_mov_b32 s28, 0x7fc02000
	s_xor_b64 s[8:9], exec, -1
; %bb.1998:                             ;   in Loop: Header=BB286_1064 Depth=1
	s_or_b64 exec, exec, s[20:21]
	s_and_b64 s[8:9], s[8:9], exec
	s_or_saveexec_b64 s[18:19], s[18:19]
	v_mov_b32_e32 v56, s28
	s_xor_b64 exec, exec, s[18:19]
	s_cbranch_execz .LBB286_1478
.LBB286_1999:                           ;   in Loop: Header=BB286_1064 Depth=1
	v_cmp_ne_u16_e64 s[2:3], 0, v16
	s_andn2_b64 s[8:9], s[8:9], exec
	s_and_b64 s[2:3], s[2:3], exec
	v_mov_b32_e32 v56, 0
	s_or_b64 s[8:9], s[8:9], s[2:3]
	s_or_b64 exec, exec, s[18:19]
	s_and_saveexec_b64 s[18:19], s[8:9]
	s_cbranch_execnz .LBB286_1479
	s_branch .LBB286_1480
.LBB286_2000:                           ;   in Loop: Header=BB286_1064 Depth=1
	v_cmp_eq_u16_sdwa s[28:29], v16, s22 src0_sel:BYTE_0 src1_sel:DWORD
	s_mov_b64 s[2:3], -1
                                        ; implicit-def: $sgpr20
	s_and_saveexec_b64 s[18:19], s[28:29]
; %bb.2001:                             ;   in Loop: Header=BB286_1064 Depth=1
	s_mov_b32 s20, 0x7fc02000
	s_xor_b64 s[2:3], exec, -1
; %bb.2002:                             ;   in Loop: Header=BB286_1064 Depth=1
	s_or_b64 exec, exec, s[18:19]
	s_and_b64 s[2:3], s[2:3], exec
	s_or_saveexec_b64 s[8:9], s[8:9]
	v_mov_b32_e32 v47, s20
	s_xor_b64 exec, exec, s[8:9]
	s_cbranch_execz .LBB286_1482
.LBB286_2003:                           ;   in Loop: Header=BB286_1064 Depth=1
	v_cmp_ne_u16_sdwa s[18:19], v16, v17 src0_sel:BYTE_0 src1_sel:DWORD
	s_andn2_b64 s[2:3], s[2:3], exec
	s_and_b64 s[18:19], s[18:19], exec
	v_mov_b32_e32 v47, 0
	s_or_b64 s[2:3], s[2:3], s[18:19]
	s_or_b64 exec, exec, s[8:9]
	s_and_saveexec_b64 s[8:9], s[2:3]
	s_cbranch_execnz .LBB286_1483
	s_branch .LBB286_1484
.LBB286_2004:                           ;   in Loop: Header=BB286_1064 Depth=1
	v_cmp_eq_u16_e64 s[2:3], s22, v16
	s_mov_b64 s[8:9], -1
                                        ; implicit-def: $sgpr28
	s_and_saveexec_b64 s[20:21], s[2:3]
; %bb.2005:                             ;   in Loop: Header=BB286_1064 Depth=1
	s_mov_b32 s28, 0x7fc02000
	s_xor_b64 s[8:9], exec, -1
; %bb.2006:                             ;   in Loop: Header=BB286_1064 Depth=1
	s_or_b64 exec, exec, s[20:21]
	s_and_b64 s[8:9], s[8:9], exec
	s_or_saveexec_b64 s[18:19], s[18:19]
	v_mov_b32_e32 v57, s28
	s_xor_b64 exec, exec, s[18:19]
	s_cbranch_execz .LBB286_1486
.LBB286_2007:                           ;   in Loop: Header=BB286_1064 Depth=1
	v_cmp_ne_u16_e64 s[2:3], 0, v16
	s_andn2_b64 s[8:9], s[8:9], exec
	s_and_b64 s[2:3], s[2:3], exec
	v_mov_b32_e32 v57, 0
	s_or_b64 s[8:9], s[8:9], s[2:3]
	s_or_b64 exec, exec, s[18:19]
	s_and_saveexec_b64 s[18:19], s[8:9]
	s_cbranch_execnz .LBB286_1487
	s_branch .LBB286_1488
.LBB286_2008:                           ;   in Loop: Header=BB286_1064 Depth=1
	v_cmp_eq_u16_sdwa s[28:29], v45, s22 src0_sel:BYTE_0 src1_sel:DWORD
	s_mov_b64 s[2:3], -1
                                        ; implicit-def: $sgpr20
	s_and_saveexec_b64 s[18:19], s[28:29]
; %bb.2009:                             ;   in Loop: Header=BB286_1064 Depth=1
	s_mov_b32 s20, 0x7fc02000
	s_xor_b64 s[2:3], exec, -1
; %bb.2010:                             ;   in Loop: Header=BB286_1064 Depth=1
	s_or_b64 exec, exec, s[18:19]
	s_and_b64 s[2:3], s[2:3], exec
	s_or_saveexec_b64 s[8:9], s[8:9]
	v_mov_b32_e32 v12, s20
	s_xor_b64 exec, exec, s[8:9]
	s_cbranch_execz .LBB286_1490
.LBB286_2011:                           ;   in Loop: Header=BB286_1064 Depth=1
	v_cmp_ne_u16_sdwa s[18:19], v45, v17 src0_sel:BYTE_0 src1_sel:DWORD
	s_andn2_b64 s[2:3], s[2:3], exec
	s_and_b64 s[18:19], s[18:19], exec
	v_mov_b32_e32 v12, 0
	s_or_b64 s[2:3], s[2:3], s[18:19]
	s_or_b64 exec, exec, s[8:9]
	v_mov_b32_e32 v16, v45
	s_and_saveexec_b64 s[8:9], s[2:3]
	s_cbranch_execnz .LBB286_1491
	s_branch .LBB286_1492
.LBB286_2012:                           ;   in Loop: Header=BB286_1064 Depth=1
	v_cmp_eq_u16_e64 s[2:3], s22, v16
	s_mov_b64 s[8:9], -1
                                        ; implicit-def: $sgpr28
	s_and_saveexec_b64 s[20:21], s[2:3]
; %bb.2013:                             ;   in Loop: Header=BB286_1064 Depth=1
	s_mov_b32 s28, 0x7fc02000
	s_xor_b64 s[8:9], exec, -1
; %bb.2014:                             ;   in Loop: Header=BB286_1064 Depth=1
	s_or_b64 exec, exec, s[20:21]
	s_and_b64 s[8:9], s[8:9], exec
	s_or_saveexec_b64 s[18:19], s[18:19]
	v_mov_b32_e32 v14, s28
	s_xor_b64 exec, exec, s[18:19]
	s_cbranch_execz .LBB286_1494
.LBB286_2015:                           ;   in Loop: Header=BB286_1064 Depth=1
	v_cmp_ne_u16_e64 s[2:3], 0, v16
	s_andn2_b64 s[8:9], s[8:9], exec
	s_and_b64 s[2:3], s[2:3], exec
	v_mov_b32_e32 v14, 0
	s_or_b64 s[8:9], s[8:9], s[2:3]
	s_or_b64 exec, exec, s[18:19]
	s_and_saveexec_b64 s[18:19], s[8:9]
	s_cbranch_execnz .LBB286_1495
	s_branch .LBB286_1496
.LBB286_2016:                           ;   in Loop: Header=BB286_1064 Depth=1
	v_cmp_eq_u16_sdwa s[28:29], v16, s22 src0_sel:BYTE_0 src1_sel:DWORD
	s_mov_b64 s[2:3], -1
                                        ; implicit-def: $sgpr20
	s_and_saveexec_b64 s[18:19], s[28:29]
; %bb.2017:                             ;   in Loop: Header=BB286_1064 Depth=1
	s_mov_b32 s20, 0x7fc02000
	s_xor_b64 s[2:3], exec, -1
; %bb.2018:                             ;   in Loop: Header=BB286_1064 Depth=1
	s_or_b64 exec, exec, s[18:19]
	s_and_b64 s[2:3], s[2:3], exec
	s_or_saveexec_b64 s[8:9], s[8:9]
	v_mov_b32_e32 v15, s20
	s_xor_b64 exec, exec, s[8:9]
	s_cbranch_execz .LBB286_1498
.LBB286_2019:                           ;   in Loop: Header=BB286_1064 Depth=1
	v_cmp_ne_u16_sdwa s[18:19], v16, v17 src0_sel:BYTE_0 src1_sel:DWORD
	s_andn2_b64 s[2:3], s[2:3], exec
	s_and_b64 s[18:19], s[18:19], exec
	v_mov_b32_e32 v15, 0
	s_or_b64 s[2:3], s[2:3], s[18:19]
	s_or_b64 exec, exec, s[8:9]
	s_and_saveexec_b64 s[8:9], s[2:3]
	s_cbranch_execnz .LBB286_1499
	s_branch .LBB286_1500
.LBB286_2020:                           ;   in Loop: Header=BB286_1064 Depth=1
	v_cmp_eq_u16_e64 s[2:3], s22, v16
	s_mov_b64 s[8:9], -1
                                        ; implicit-def: $sgpr28
	s_and_saveexec_b64 s[20:21], s[2:3]
; %bb.2021:                             ;   in Loop: Header=BB286_1064 Depth=1
	s_mov_b32 s28, 0x7fc02000
	s_xor_b64 s[8:9], exec, -1
; %bb.2022:                             ;   in Loop: Header=BB286_1064 Depth=1
	s_or_b64 exec, exec, s[20:21]
	s_and_b64 s[8:9], s[8:9], exec
	s_or_saveexec_b64 s[18:19], s[18:19]
	v_mov_b32_e32 v23, s28
	s_xor_b64 exec, exec, s[18:19]
	s_cbranch_execz .LBB286_1502
.LBB286_2023:                           ;   in Loop: Header=BB286_1064 Depth=1
	v_cmp_ne_u16_e64 s[2:3], 0, v16
	s_andn2_b64 s[8:9], s[8:9], exec
	s_and_b64 s[2:3], s[2:3], exec
	v_mov_b32_e32 v23, 0
	s_or_b64 s[8:9], s[8:9], s[2:3]
	s_or_b64 exec, exec, s[18:19]
	s_and_saveexec_b64 s[18:19], s[8:9]
	s_cbranch_execnz .LBB286_1503
	s_branch .LBB286_1504
.LBB286_2024:                           ;   in Loop: Header=BB286_1064 Depth=1
	v_cmp_eq_u16_sdwa s[28:29], v44, s22 src0_sel:BYTE_0 src1_sel:DWORD
	s_mov_b64 s[2:3], -1
                                        ; implicit-def: $sgpr20
	s_and_saveexec_b64 s[18:19], s[28:29]
; %bb.2025:                             ;   in Loop: Header=BB286_1064 Depth=1
	s_mov_b32 s20, 0x7fc02000
	s_xor_b64 s[2:3], exec, -1
; %bb.2026:                             ;   in Loop: Header=BB286_1064 Depth=1
	s_or_b64 exec, exec, s[18:19]
	s_and_b64 s[2:3], s[2:3], exec
	s_or_saveexec_b64 s[8:9], s[8:9]
	v_mov_b32_e32 v46, s20
	s_xor_b64 exec, exec, s[8:9]
	s_cbranch_execz .LBB286_1508
.LBB286_2027:                           ;   in Loop: Header=BB286_1064 Depth=1
	v_cmp_ne_u16_sdwa s[18:19], v44, v17 src0_sel:BYTE_0 src1_sel:DWORD
	s_andn2_b64 s[2:3], s[2:3], exec
	s_and_b64 s[18:19], s[18:19], exec
	v_mov_b32_e32 v46, 0
	s_or_b64 s[2:3], s[2:3], s[18:19]
	s_or_b64 exec, exec, s[8:9]
	s_and_saveexec_b64 s[8:9], s[2:3]
	s_cbranch_execnz .LBB286_1509
	s_branch .LBB286_1510
.LBB286_2028:                           ;   in Loop: Header=BB286_1064 Depth=1
	v_cmp_eq_u16_e64 s[2:3], s22, v16
	s_mov_b64 s[8:9], -1
                                        ; implicit-def: $sgpr28
	s_and_saveexec_b64 s[20:21], s[2:3]
; %bb.2029:                             ;   in Loop: Header=BB286_1064 Depth=1
	s_mov_b32 s28, 0x7fc02000
	s_xor_b64 s[8:9], exec, -1
; %bb.2030:                             ;   in Loop: Header=BB286_1064 Depth=1
	s_or_b64 exec, exec, s[20:21]
	s_and_b64 s[8:9], s[8:9], exec
	s_or_saveexec_b64 s[18:19], s[18:19]
	v_mov_b32_e32 v56, s28
	s_xor_b64 exec, exec, s[18:19]
	s_cbranch_execz .LBB286_1512
.LBB286_2031:                           ;   in Loop: Header=BB286_1064 Depth=1
	v_cmp_ne_u16_e64 s[2:3], 0, v16
	s_andn2_b64 s[8:9], s[8:9], exec
	s_and_b64 s[2:3], s[2:3], exec
	v_mov_b32_e32 v56, 0
	s_or_b64 s[8:9], s[8:9], s[2:3]
	s_or_b64 exec, exec, s[18:19]
	s_and_saveexec_b64 s[18:19], s[8:9]
	s_cbranch_execnz .LBB286_1513
	s_branch .LBB286_1514
.LBB286_2032:                           ;   in Loop: Header=BB286_1064 Depth=1
	v_cmp_eq_u16_sdwa s[28:29], v16, s22 src0_sel:BYTE_0 src1_sel:DWORD
	s_mov_b64 s[2:3], -1
                                        ; implicit-def: $sgpr20
	s_and_saveexec_b64 s[18:19], s[28:29]
; %bb.2033:                             ;   in Loop: Header=BB286_1064 Depth=1
	s_mov_b32 s20, 0x7fc02000
	s_xor_b64 s[2:3], exec, -1
; %bb.2034:                             ;   in Loop: Header=BB286_1064 Depth=1
	s_or_b64 exec, exec, s[18:19]
	s_and_b64 s[2:3], s[2:3], exec
	s_or_saveexec_b64 s[8:9], s[8:9]
	v_mov_b32_e32 v47, s20
	s_xor_b64 exec, exec, s[8:9]
	s_cbranch_execz .LBB286_1516
.LBB286_2035:                           ;   in Loop: Header=BB286_1064 Depth=1
	v_cmp_ne_u16_sdwa s[18:19], v16, v17 src0_sel:BYTE_0 src1_sel:DWORD
	s_andn2_b64 s[2:3], s[2:3], exec
	s_and_b64 s[18:19], s[18:19], exec
	v_mov_b32_e32 v47, 0
	s_or_b64 s[2:3], s[2:3], s[18:19]
	s_or_b64 exec, exec, s[8:9]
	s_and_saveexec_b64 s[8:9], s[2:3]
	s_cbranch_execnz .LBB286_1517
	s_branch .LBB286_1518
.LBB286_2036:                           ;   in Loop: Header=BB286_1064 Depth=1
	v_cmp_eq_u16_e64 s[2:3], s22, v16
	s_mov_b64 s[8:9], -1
                                        ; implicit-def: $sgpr28
	s_and_saveexec_b64 s[20:21], s[2:3]
; %bb.2037:                             ;   in Loop: Header=BB286_1064 Depth=1
	s_mov_b32 s28, 0x7fc02000
	s_xor_b64 s[8:9], exec, -1
; %bb.2038:                             ;   in Loop: Header=BB286_1064 Depth=1
	s_or_b64 exec, exec, s[20:21]
	s_and_b64 s[8:9], s[8:9], exec
	s_or_saveexec_b64 s[18:19], s[18:19]
	v_mov_b32_e32 v57, s28
	s_xor_b64 exec, exec, s[18:19]
	s_cbranch_execz .LBB286_1520
.LBB286_2039:                           ;   in Loop: Header=BB286_1064 Depth=1
	v_cmp_ne_u16_e64 s[2:3], 0, v16
	s_andn2_b64 s[8:9], s[8:9], exec
	s_and_b64 s[2:3], s[2:3], exec
	v_mov_b32_e32 v57, 0
	s_or_b64 s[8:9], s[8:9], s[2:3]
	s_or_b64 exec, exec, s[18:19]
	s_and_saveexec_b64 s[18:19], s[8:9]
	s_cbranch_execnz .LBB286_1521
	s_branch .LBB286_1522
.LBB286_2040:                           ;   in Loop: Header=BB286_1064 Depth=1
	v_cmp_eq_u16_sdwa s[28:29], v45, s22 src0_sel:BYTE_0 src1_sel:DWORD
	s_mov_b64 s[2:3], -1
                                        ; implicit-def: $sgpr20
	s_and_saveexec_b64 s[18:19], s[28:29]
; %bb.2041:                             ;   in Loop: Header=BB286_1064 Depth=1
	s_mov_b32 s20, 0x7fc02000
	s_xor_b64 s[2:3], exec, -1
; %bb.2042:                             ;   in Loop: Header=BB286_1064 Depth=1
	s_or_b64 exec, exec, s[18:19]
	s_and_b64 s[2:3], s[2:3], exec
	s_or_saveexec_b64 s[8:9], s[8:9]
	v_mov_b32_e32 v12, s20
	s_xor_b64 exec, exec, s[8:9]
	s_cbranch_execz .LBB286_1524
.LBB286_2043:                           ;   in Loop: Header=BB286_1064 Depth=1
	v_cmp_ne_u16_sdwa s[18:19], v45, v17 src0_sel:BYTE_0 src1_sel:DWORD
	s_andn2_b64 s[2:3], s[2:3], exec
	s_and_b64 s[18:19], s[18:19], exec
	v_mov_b32_e32 v12, 0
	s_or_b64 s[2:3], s[2:3], s[18:19]
	s_or_b64 exec, exec, s[8:9]
	v_mov_b32_e32 v16, v45
	s_and_saveexec_b64 s[8:9], s[2:3]
	s_cbranch_execnz .LBB286_1525
	s_branch .LBB286_1526
.LBB286_2044:                           ;   in Loop: Header=BB286_1064 Depth=1
	v_cmp_eq_u16_e64 s[2:3], s22, v16
	s_mov_b64 s[8:9], -1
                                        ; implicit-def: $sgpr28
	s_and_saveexec_b64 s[20:21], s[2:3]
; %bb.2045:                             ;   in Loop: Header=BB286_1064 Depth=1
	s_mov_b32 s28, 0x7fc02000
	s_xor_b64 s[8:9], exec, -1
; %bb.2046:                             ;   in Loop: Header=BB286_1064 Depth=1
	s_or_b64 exec, exec, s[20:21]
	s_and_b64 s[8:9], s[8:9], exec
	s_or_saveexec_b64 s[18:19], s[18:19]
	v_mov_b32_e32 v22, s28
	s_xor_b64 exec, exec, s[18:19]
	s_cbranch_execz .LBB286_1528
.LBB286_2047:                           ;   in Loop: Header=BB286_1064 Depth=1
	v_cmp_ne_u16_e64 s[2:3], 0, v16
	s_andn2_b64 s[8:9], s[8:9], exec
	s_and_b64 s[2:3], s[2:3], exec
	v_mov_b32_e32 v22, 0
	s_or_b64 s[8:9], s[8:9], s[2:3]
	s_or_b64 exec, exec, s[18:19]
	s_and_saveexec_b64 s[18:19], s[8:9]
	s_cbranch_execnz .LBB286_1529
	s_branch .LBB286_1530
.LBB286_2048:                           ;   in Loop: Header=BB286_1064 Depth=1
	v_cmp_eq_u16_sdwa s[28:29], v16, s22 src0_sel:BYTE_0 src1_sel:DWORD
	s_mov_b64 s[2:3], -1
                                        ; implicit-def: $sgpr20
	s_and_saveexec_b64 s[18:19], s[28:29]
; %bb.2049:                             ;   in Loop: Header=BB286_1064 Depth=1
	s_mov_b32 s20, 0x7fc02000
	s_xor_b64 s[2:3], exec, -1
; %bb.2050:                             ;   in Loop: Header=BB286_1064 Depth=1
	s_or_b64 exec, exec, s[18:19]
	s_and_b64 s[2:3], s[2:3], exec
	s_or_saveexec_b64 s[8:9], s[8:9]
	v_mov_b32_e32 v23, s20
	s_xor_b64 exec, exec, s[8:9]
	s_cbranch_execz .LBB286_1532
.LBB286_2051:                           ;   in Loop: Header=BB286_1064 Depth=1
	v_cmp_ne_u16_sdwa s[18:19], v16, v17 src0_sel:BYTE_0 src1_sel:DWORD
	s_andn2_b64 s[2:3], s[2:3], exec
	s_and_b64 s[18:19], s[18:19], exec
	v_mov_b32_e32 v23, 0
	s_or_b64 s[2:3], s[2:3], s[18:19]
	s_or_b64 exec, exec, s[8:9]
	s_and_saveexec_b64 s[8:9], s[2:3]
	s_cbranch_execnz .LBB286_1533
	s_branch .LBB286_1534
.LBB286_2052:                           ;   in Loop: Header=BB286_1064 Depth=1
	v_cmp_eq_u16_e64 s[2:3], s22, v16
	s_mov_b64 s[8:9], -1
                                        ; implicit-def: $sgpr28
	s_and_saveexec_b64 s[20:21], s[2:3]
; %bb.2053:                             ;   in Loop: Header=BB286_1064 Depth=1
	s_mov_b32 s28, 0x7fc02000
	s_xor_b64 s[8:9], exec, -1
; %bb.2054:                             ;   in Loop: Header=BB286_1064 Depth=1
	s_or_b64 exec, exec, s[20:21]
	s_and_b64 s[8:9], s[8:9], exec
	s_or_saveexec_b64 s[18:19], s[18:19]
	v_mov_b32_e32 v44, s28
	s_xor_b64 exec, exec, s[18:19]
	s_cbranch_execz .LBB286_1536
.LBB286_2055:                           ;   in Loop: Header=BB286_1064 Depth=1
	v_cmp_ne_u16_e64 s[2:3], 0, v16
	s_andn2_b64 s[8:9], s[8:9], exec
	s_and_b64 s[2:3], s[2:3], exec
	v_mov_b32_e32 v44, 0
	s_or_b64 s[8:9], s[8:9], s[2:3]
	s_or_b64 exec, exec, s[18:19]
	s_and_saveexec_b64 s[18:19], s[8:9]
	s_cbranch_execnz .LBB286_1537
	s_branch .LBB286_1538
.LBB286_2056:                           ;   in Loop: Header=BB286_1064 Depth=1
	v_cmp_eq_u16_sdwa s[28:29], v44, s22 src0_sel:BYTE_0 src1_sel:DWORD
	s_mov_b64 s[2:3], -1
                                        ; implicit-def: $sgpr20
	s_and_saveexec_b64 s[18:19], s[28:29]
; %bb.2057:                             ;   in Loop: Header=BB286_1064 Depth=1
	s_mov_b32 s20, 0x7fc02000
	s_xor_b64 s[2:3], exec, -1
; %bb.2058:                             ;   in Loop: Header=BB286_1064 Depth=1
	s_or_b64 exec, exec, s[18:19]
	s_and_b64 s[2:3], s[2:3], exec
	s_or_saveexec_b64 s[8:9], s[8:9]
	v_mov_b32_e32 v46, s20
	s_xor_b64 exec, exec, s[8:9]
	s_cbranch_execz .LBB286_1542
.LBB286_2059:                           ;   in Loop: Header=BB286_1064 Depth=1
	v_cmp_ne_u16_sdwa s[18:19], v44, v17 src0_sel:BYTE_0 src1_sel:DWORD
	s_andn2_b64 s[2:3], s[2:3], exec
	s_and_b64 s[18:19], s[18:19], exec
	v_mov_b32_e32 v46, 0
	s_or_b64 s[2:3], s[2:3], s[18:19]
	s_or_b64 exec, exec, s[8:9]
	s_and_saveexec_b64 s[8:9], s[2:3]
	s_cbranch_execnz .LBB286_1543
	s_branch .LBB286_1544
.LBB286_2060:                           ;   in Loop: Header=BB286_1064 Depth=1
	v_cmp_eq_u16_e64 s[2:3], s22, v16
	s_mov_b64 s[8:9], -1
                                        ; implicit-def: $sgpr28
	s_and_saveexec_b64 s[20:21], s[2:3]
; %bb.2061:                             ;   in Loop: Header=BB286_1064 Depth=1
	s_mov_b32 s28, 0x7fc02000
	s_xor_b64 s[8:9], exec, -1
; %bb.2062:                             ;   in Loop: Header=BB286_1064 Depth=1
	s_or_b64 exec, exec, s[20:21]
	s_and_b64 s[8:9], s[8:9], exec
	s_or_saveexec_b64 s[18:19], s[18:19]
	v_mov_b32_e32 v56, s28
	s_xor_b64 exec, exec, s[18:19]
	s_cbranch_execz .LBB286_1546
.LBB286_2063:                           ;   in Loop: Header=BB286_1064 Depth=1
	v_cmp_ne_u16_e64 s[2:3], 0, v16
	s_andn2_b64 s[8:9], s[8:9], exec
	s_and_b64 s[2:3], s[2:3], exec
	v_mov_b32_e32 v56, 0
	s_or_b64 s[8:9], s[8:9], s[2:3]
	s_or_b64 exec, exec, s[18:19]
	s_and_saveexec_b64 s[18:19], s[8:9]
	s_cbranch_execnz .LBB286_1547
	s_branch .LBB286_1548
.LBB286_2064:                           ;   in Loop: Header=BB286_1064 Depth=1
	v_cmp_eq_u16_sdwa s[28:29], v16, s22 src0_sel:BYTE_0 src1_sel:DWORD
	s_mov_b64 s[2:3], -1
                                        ; implicit-def: $sgpr20
	s_and_saveexec_b64 s[18:19], s[28:29]
; %bb.2065:                             ;   in Loop: Header=BB286_1064 Depth=1
	s_mov_b32 s20, 0x7fc02000
	s_xor_b64 s[2:3], exec, -1
; %bb.2066:                             ;   in Loop: Header=BB286_1064 Depth=1
	s_or_b64 exec, exec, s[18:19]
	s_and_b64 s[2:3], s[2:3], exec
	s_or_saveexec_b64 s[8:9], s[8:9]
	v_mov_b32_e32 v47, s20
	s_xor_b64 exec, exec, s[8:9]
	s_cbranch_execz .LBB286_1550
.LBB286_2067:                           ;   in Loop: Header=BB286_1064 Depth=1
	v_cmp_ne_u16_sdwa s[18:19], v16, v17 src0_sel:BYTE_0 src1_sel:DWORD
	s_andn2_b64 s[2:3], s[2:3], exec
	s_and_b64 s[18:19], s[18:19], exec
	v_mov_b32_e32 v47, 0
	s_or_b64 s[2:3], s[2:3], s[18:19]
	s_or_b64 exec, exec, s[8:9]
	s_and_saveexec_b64 s[8:9], s[2:3]
	s_cbranch_execnz .LBB286_1551
	s_branch .LBB286_1552
.LBB286_2068:                           ;   in Loop: Header=BB286_1064 Depth=1
	v_cmp_eq_u16_e64 s[2:3], s22, v16
	s_mov_b64 s[8:9], -1
                                        ; implicit-def: $sgpr28
	s_and_saveexec_b64 s[20:21], s[2:3]
; %bb.2069:                             ;   in Loop: Header=BB286_1064 Depth=1
	s_mov_b32 s28, 0x7fc02000
	s_xor_b64 s[8:9], exec, -1
; %bb.2070:                             ;   in Loop: Header=BB286_1064 Depth=1
	s_or_b64 exec, exec, s[20:21]
	s_and_b64 s[8:9], s[8:9], exec
	s_or_saveexec_b64 s[18:19], s[18:19]
	v_mov_b32_e32 v57, s28
	s_xor_b64 exec, exec, s[18:19]
	s_cbranch_execz .LBB286_1554
.LBB286_2071:                           ;   in Loop: Header=BB286_1064 Depth=1
	v_cmp_ne_u16_e64 s[2:3], 0, v16
	s_andn2_b64 s[8:9], s[8:9], exec
	s_and_b64 s[2:3], s[2:3], exec
	v_mov_b32_e32 v57, 0
	s_or_b64 s[8:9], s[8:9], s[2:3]
	s_or_b64 exec, exec, s[18:19]
	s_and_saveexec_b64 s[18:19], s[8:9]
	s_cbranch_execnz .LBB286_1555
	s_branch .LBB286_1556
.LBB286_2072:                           ;   in Loop: Header=BB286_1064 Depth=1
	v_cmp_eq_u16_sdwa s[28:29], v45, s22 src0_sel:BYTE_0 src1_sel:DWORD
	s_mov_b64 s[2:3], -1
                                        ; implicit-def: $sgpr20
	s_and_saveexec_b64 s[18:19], s[28:29]
; %bb.2073:                             ;   in Loop: Header=BB286_1064 Depth=1
	s_mov_b32 s20, 0x7fc02000
	s_xor_b64 s[2:3], exec, -1
; %bb.2074:                             ;   in Loop: Header=BB286_1064 Depth=1
	s_or_b64 exec, exec, s[18:19]
	s_and_b64 s[2:3], s[2:3], exec
	s_or_saveexec_b64 s[8:9], s[8:9]
	v_mov_b32_e32 v12, s20
	s_xor_b64 exec, exec, s[8:9]
	s_cbranch_execz .LBB286_1558
.LBB286_2075:                           ;   in Loop: Header=BB286_1064 Depth=1
	v_cmp_ne_u16_sdwa s[18:19], v45, v17 src0_sel:BYTE_0 src1_sel:DWORD
	s_andn2_b64 s[2:3], s[2:3], exec
	s_and_b64 s[18:19], s[18:19], exec
	v_mov_b32_e32 v12, 0
	s_or_b64 s[2:3], s[2:3], s[18:19]
	s_or_b64 exec, exec, s[8:9]
	v_mov_b32_e32 v16, v45
	s_and_saveexec_b64 s[8:9], s[2:3]
	s_cbranch_execnz .LBB286_1559
	s_branch .LBB286_1560
.LBB286_2076:                           ;   in Loop: Header=BB286_1064 Depth=1
	v_cmp_eq_u16_e64 s[2:3], s22, v16
	s_mov_b64 s[8:9], -1
                                        ; implicit-def: $sgpr28
	s_and_saveexec_b64 s[20:21], s[2:3]
; %bb.2077:                             ;   in Loop: Header=BB286_1064 Depth=1
	s_mov_b32 s28, 0x7fc02000
	s_xor_b64 s[8:9], exec, -1
; %bb.2078:                             ;   in Loop: Header=BB286_1064 Depth=1
	s_or_b64 exec, exec, s[20:21]
	s_and_b64 s[8:9], s[8:9], exec
	s_or_saveexec_b64 s[18:19], s[18:19]
	v_mov_b32_e32 v43, s28
	s_xor_b64 exec, exec, s[18:19]
	s_cbranch_execz .LBB286_1562
.LBB286_2079:                           ;   in Loop: Header=BB286_1064 Depth=1
	v_cmp_ne_u16_e64 s[2:3], 0, v16
	s_andn2_b64 s[8:9], s[8:9], exec
	s_and_b64 s[2:3], s[2:3], exec
	v_mov_b32_e32 v43, 0
	s_or_b64 s[8:9], s[8:9], s[2:3]
	s_or_b64 exec, exec, s[18:19]
	s_and_saveexec_b64 s[18:19], s[8:9]
	s_cbranch_execnz .LBB286_1563
	s_branch .LBB286_1564
.LBB286_2080:                           ;   in Loop: Header=BB286_1064 Depth=1
	v_cmp_eq_u16_sdwa s[28:29], v16, s22 src0_sel:BYTE_0 src1_sel:DWORD
	s_mov_b64 s[2:3], -1
                                        ; implicit-def: $sgpr20
	s_and_saveexec_b64 s[18:19], s[28:29]
; %bb.2081:                             ;   in Loop: Header=BB286_1064 Depth=1
	s_mov_b32 s20, 0x7fc02000
	s_xor_b64 s[2:3], exec, -1
; %bb.2082:                             ;   in Loop: Header=BB286_1064 Depth=1
	s_or_b64 exec, exec, s[18:19]
	s_and_b64 s[2:3], s[2:3], exec
	s_or_saveexec_b64 s[8:9], s[8:9]
	v_mov_b32_e32 v44, s20
	s_xor_b64 exec, exec, s[8:9]
	s_cbranch_execz .LBB286_1566
.LBB286_2083:                           ;   in Loop: Header=BB286_1064 Depth=1
	v_cmp_ne_u16_sdwa s[18:19], v16, v17 src0_sel:BYTE_0 src1_sel:DWORD
	s_andn2_b64 s[2:3], s[2:3], exec
	s_and_b64 s[18:19], s[18:19], exec
	v_mov_b32_e32 v44, 0
	s_or_b64 s[2:3], s[2:3], s[18:19]
	s_or_b64 exec, exec, s[8:9]
	s_and_saveexec_b64 s[8:9], s[2:3]
	s_cbranch_execnz .LBB286_1567
	s_branch .LBB286_1568
.LBB286_2084:                           ;   in Loop: Header=BB286_1064 Depth=1
	v_cmp_eq_u16_e64 s[2:3], s22, v16
	s_mov_b64 s[8:9], -1
                                        ; implicit-def: $sgpr28
	s_and_saveexec_b64 s[20:21], s[2:3]
; %bb.2085:                             ;   in Loop: Header=BB286_1064 Depth=1
	s_mov_b32 s28, 0x7fc02000
	s_xor_b64 s[8:9], exec, -1
; %bb.2086:                             ;   in Loop: Header=BB286_1064 Depth=1
	s_or_b64 exec, exec, s[20:21]
	s_and_b64 s[8:9], s[8:9], exec
	s_or_saveexec_b64 s[18:19], s[18:19]
	v_mov_b32_e32 v18, s28
	s_xor_b64 exec, exec, s[18:19]
	s_cbranch_execz .LBB286_1570
.LBB286_2087:                           ;   in Loop: Header=BB286_1064 Depth=1
	v_cmp_ne_u16_e64 s[2:3], 0, v16
	s_andn2_b64 s[8:9], s[8:9], exec
	s_and_b64 s[2:3], s[2:3], exec
	v_mov_b32_e32 v18, 0
	s_or_b64 s[8:9], s[8:9], s[2:3]
	s_or_b64 exec, exec, s[18:19]
	s_and_saveexec_b64 s[18:19], s[8:9]
	s_cbranch_execnz .LBB286_1571
	s_branch .LBB286_1572
.LBB286_2088:                           ;   in Loop: Header=BB286_1064 Depth=1
	v_cmp_eq_u16_sdwa s[28:29], v42, s22 src0_sel:BYTE_0 src1_sel:DWORD
	s_mov_b64 s[2:3], -1
                                        ; implicit-def: $sgpr20
	s_and_saveexec_b64 s[18:19], s[28:29]
; %bb.2089:                             ;   in Loop: Header=BB286_1064 Depth=1
	s_mov_b32 s20, 0x7fc02000
	s_xor_b64 s[2:3], exec, -1
; %bb.2090:                             ;   in Loop: Header=BB286_1064 Depth=1
	s_or_b64 exec, exec, s[18:19]
	s_and_b64 s[2:3], s[2:3], exec
	s_or_saveexec_b64 s[8:9], s[8:9]
	v_mov_b32_e32 v44, s20
	s_xor_b64 exec, exec, s[8:9]
	s_cbranch_execz .LBB286_1576
.LBB286_2091:                           ;   in Loop: Header=BB286_1064 Depth=1
	v_cmp_ne_u16_sdwa s[18:19], v42, v17 src0_sel:BYTE_0 src1_sel:DWORD
	s_andn2_b64 s[2:3], s[2:3], exec
	s_and_b64 s[18:19], s[18:19], exec
	v_mov_b32_e32 v44, 0
	s_or_b64 s[2:3], s[2:3], s[18:19]
	s_or_b64 exec, exec, s[8:9]
	s_and_saveexec_b64 s[8:9], s[2:3]
	s_cbranch_execnz .LBB286_1577
	s_branch .LBB286_1578
.LBB286_2092:                           ;   in Loop: Header=BB286_1064 Depth=1
	v_cmp_eq_u16_e64 s[2:3], s22, v16
	s_mov_b64 s[8:9], -1
                                        ; implicit-def: $sgpr28
	s_and_saveexec_b64 s[20:21], s[2:3]
; %bb.2093:                             ;   in Loop: Header=BB286_1064 Depth=1
	s_mov_b32 s28, 0x7fc02000
	s_xor_b64 s[8:9], exec, -1
; %bb.2094:                             ;   in Loop: Header=BB286_1064 Depth=1
	s_or_b64 exec, exec, s[20:21]
	s_and_b64 s[8:9], s[8:9], exec
	s_or_saveexec_b64 s[18:19], s[18:19]
	v_mov_b32_e32 v46, s28
	s_xor_b64 exec, exec, s[18:19]
	s_cbranch_execz .LBB286_1580
.LBB286_2095:                           ;   in Loop: Header=BB286_1064 Depth=1
	v_cmp_ne_u16_e64 s[2:3], 0, v16
	s_andn2_b64 s[8:9], s[8:9], exec
	s_and_b64 s[2:3], s[2:3], exec
	v_mov_b32_e32 v46, 0
	s_or_b64 s[8:9], s[8:9], s[2:3]
	s_or_b64 exec, exec, s[18:19]
	s_and_saveexec_b64 s[18:19], s[8:9]
	s_cbranch_execnz .LBB286_1581
	s_branch .LBB286_1582
.LBB286_2096:                           ;   in Loop: Header=BB286_1064 Depth=1
	v_cmp_eq_u16_sdwa s[28:29], v16, s22 src0_sel:BYTE_0 src1_sel:DWORD
	s_mov_b64 s[2:3], -1
                                        ; implicit-def: $sgpr20
	s_and_saveexec_b64 s[18:19], s[28:29]
; %bb.2097:                             ;   in Loop: Header=BB286_1064 Depth=1
	s_mov_b32 s20, 0x7fc02000
	s_xor_b64 s[2:3], exec, -1
; %bb.2098:                             ;   in Loop: Header=BB286_1064 Depth=1
	s_or_b64 exec, exec, s[18:19]
	s_and_b64 s[2:3], s[2:3], exec
	s_or_saveexec_b64 s[8:9], s[8:9]
	v_mov_b32_e32 v45, s20
	s_xor_b64 exec, exec, s[8:9]
	s_cbranch_execz .LBB286_1584
.LBB286_2099:                           ;   in Loop: Header=BB286_1064 Depth=1
	v_cmp_ne_u16_sdwa s[18:19], v16, v17 src0_sel:BYTE_0 src1_sel:DWORD
	s_andn2_b64 s[2:3], s[2:3], exec
	s_and_b64 s[18:19], s[18:19], exec
	v_mov_b32_e32 v45, 0
	s_or_b64 s[2:3], s[2:3], s[18:19]
	s_or_b64 exec, exec, s[8:9]
	s_and_saveexec_b64 s[8:9], s[2:3]
	s_cbranch_execnz .LBB286_1585
	s_branch .LBB286_1586
.LBB286_2100:                           ;   in Loop: Header=BB286_1064 Depth=1
	v_cmp_eq_u16_e64 s[2:3], s22, v16
	s_mov_b64 s[8:9], -1
                                        ; implicit-def: $sgpr28
	s_and_saveexec_b64 s[20:21], s[2:3]
; %bb.2101:                             ;   in Loop: Header=BB286_1064 Depth=1
	s_mov_b32 s28, 0x7fc02000
	s_xor_b64 s[8:9], exec, -1
; %bb.2102:                             ;   in Loop: Header=BB286_1064 Depth=1
	s_or_b64 exec, exec, s[20:21]
	s_and_b64 s[8:9], s[8:9], exec
	s_or_saveexec_b64 s[18:19], s[18:19]
	v_mov_b32_e32 v47, s28
	s_xor_b64 exec, exec, s[18:19]
	s_cbranch_execz .LBB286_1588
.LBB286_2103:                           ;   in Loop: Header=BB286_1064 Depth=1
	v_cmp_ne_u16_e64 s[2:3], 0, v16
	s_andn2_b64 s[8:9], s[8:9], exec
	s_and_b64 s[2:3], s[2:3], exec
	v_mov_b32_e32 v47, 0
	s_or_b64 s[8:9], s[8:9], s[2:3]
	s_or_b64 exec, exec, s[18:19]
	s_and_saveexec_b64 s[18:19], s[8:9]
	s_cbranch_execnz .LBB286_1589
	s_branch .LBB286_1590
.LBB286_2104:                           ;   in Loop: Header=BB286_1064 Depth=1
	v_cmp_eq_u16_sdwa s[28:29], v43, s22 src0_sel:BYTE_0 src1_sel:DWORD
	s_mov_b64 s[2:3], -1
                                        ; implicit-def: $sgpr20
	s_and_saveexec_b64 s[18:19], s[28:29]
; %bb.2105:                             ;   in Loop: Header=BB286_1064 Depth=1
	s_mov_b32 s20, 0x7fc02000
	s_xor_b64 s[2:3], exec, -1
; %bb.2106:                             ;   in Loop: Header=BB286_1064 Depth=1
	s_or_b64 exec, exec, s[18:19]
	s_and_b64 s[2:3], s[2:3], exec
	s_or_saveexec_b64 s[8:9], s[8:9]
	v_mov_b32_e32 v11, s20
	s_xor_b64 exec, exec, s[8:9]
	s_cbranch_execz .LBB286_1592
.LBB286_2107:                           ;   in Loop: Header=BB286_1064 Depth=1
	v_cmp_ne_u16_sdwa s[18:19], v43, v17 src0_sel:BYTE_0 src1_sel:DWORD
	s_andn2_b64 s[2:3], s[2:3], exec
	s_and_b64 s[18:19], s[18:19], exec
	v_mov_b32_e32 v11, 0
	s_or_b64 s[2:3], s[2:3], s[18:19]
	s_or_b64 exec, exec, s[8:9]
	v_mov_b32_e32 v16, v43
	s_and_saveexec_b64 s[8:9], s[2:3]
	s_cbranch_execnz .LBB286_1593
	s_branch .LBB286_1594
.LBB286_2108:                           ;   in Loop: Header=BB286_1064 Depth=1
	v_cmp_eq_u16_e64 s[2:3], s22, v16
	s_mov_b64 s[8:9], -1
                                        ; implicit-def: $sgpr28
	s_and_saveexec_b64 s[20:21], s[2:3]
; %bb.2109:                             ;   in Loop: Header=BB286_1064 Depth=1
	s_mov_b32 s28, 0x7fc02000
	s_xor_b64 s[8:9], exec, -1
; %bb.2110:                             ;   in Loop: Header=BB286_1064 Depth=1
	s_or_b64 exec, exec, s[20:21]
	s_and_b64 s[8:9], s[8:9], exec
	s_or_saveexec_b64 s[18:19], s[18:19]
	v_mov_b32_e32 v42, s28
	s_xor_b64 exec, exec, s[18:19]
	s_cbranch_execz .LBB286_1596
.LBB286_2111:                           ;   in Loop: Header=BB286_1064 Depth=1
	v_cmp_ne_u16_e64 s[2:3], 0, v16
	s_andn2_b64 s[8:9], s[8:9], exec
	s_and_b64 s[2:3], s[2:3], exec
	v_mov_b32_e32 v42, 0
	s_or_b64 s[8:9], s[8:9], s[2:3]
	s_or_b64 exec, exec, s[18:19]
	s_and_saveexec_b64 s[18:19], s[8:9]
	s_cbranch_execnz .LBB286_1597
	s_branch .LBB286_1598
.LBB286_2112:                           ;   in Loop: Header=BB286_1064 Depth=1
	v_cmp_eq_u16_sdwa s[28:29], v16, s22 src0_sel:BYTE_0 src1_sel:DWORD
	s_mov_b64 s[2:3], -1
                                        ; implicit-def: $sgpr20
	s_and_saveexec_b64 s[18:19], s[28:29]
; %bb.2113:                             ;   in Loop: Header=BB286_1064 Depth=1
	s_mov_b32 s20, 0x7fc02000
	s_xor_b64 s[2:3], exec, -1
; %bb.2114:                             ;   in Loop: Header=BB286_1064 Depth=1
	s_or_b64 exec, exec, s[18:19]
	s_and_b64 s[2:3], s[2:3], exec
	s_or_saveexec_b64 s[8:9], s[8:9]
	v_mov_b32_e32 v57, s20
	s_xor_b64 exec, exec, s[8:9]
	s_cbranch_execz .LBB286_1600
.LBB286_2115:                           ;   in Loop: Header=BB286_1064 Depth=1
	v_cmp_ne_u16_sdwa s[18:19], v16, v17 src0_sel:BYTE_0 src1_sel:DWORD
	s_andn2_b64 s[2:3], s[2:3], exec
	s_and_b64 s[18:19], s[18:19], exec
	v_mov_b32_e32 v57, 0
	s_or_b64 s[2:3], s[2:3], s[18:19]
	s_or_b64 exec, exec, s[8:9]
	s_and_saveexec_b64 s[8:9], s[2:3]
	s_cbranch_execnz .LBB286_1601
	s_branch .LBB286_1602
.LBB286_2116:                           ;   in Loop: Header=BB286_1064 Depth=1
	v_cmp_eq_u16_e64 s[2:3], s22, v16
	s_mov_b64 s[8:9], -1
                                        ; implicit-def: $sgpr28
	s_and_saveexec_b64 s[20:21], s[2:3]
; %bb.2117:                             ;   in Loop: Header=BB286_1064 Depth=1
	s_mov_b32 s28, 0x7fc02000
	s_xor_b64 s[8:9], exec, -1
; %bb.2118:                             ;   in Loop: Header=BB286_1064 Depth=1
	s_or_b64 exec, exec, s[20:21]
	s_and_b64 s[8:9], s[8:9], exec
	s_or_saveexec_b64 s[18:19], s[18:19]
	v_mov_b32_e32 v18, s28
	s_xor_b64 exec, exec, s[18:19]
	s_cbranch_execz .LBB286_1604
.LBB286_2119:                           ;   in Loop: Header=BB286_1064 Depth=1
	v_cmp_ne_u16_e64 s[2:3], 0, v16
	s_andn2_b64 s[8:9], s[8:9], exec
	s_and_b64 s[2:3], s[2:3], exec
	v_mov_b32_e32 v18, 0
	s_or_b64 s[8:9], s[8:9], s[2:3]
	s_or_b64 exec, exec, s[18:19]
	s_and_saveexec_b64 s[18:19], s[8:9]
	s_cbranch_execnz .LBB286_1605
	s_branch .LBB286_1606
.LBB286_2120:
	s_or_b64 exec, exec, s[6:7]
	v_accvgpr_read_b32 v48, a9
	v_accvgpr_read_b32 v49, a10
	;; [unrolled: 1-line block ×4, first 2 shown]
.LBB286_2121:
	s_or_b64 exec, exec, s[4:5]
	ds_bpermute_b32 v0, v49, v32
	ds_bpermute_b32 v1, v49, v33
	ds_bpermute_b32 v2, v49, v30
	ds_bpermute_b32 v3, v49, v31
	ds_bpermute_b32 v10, v49, v28
	ds_bpermute_b32 v11, v49, v29
	s_waitcnt lgkmcnt(4)
	v_pk_add_f32 v[0:1], v[32:33], v[0:1]
	ds_bpermute_b32 v6, v50, v0
	ds_bpermute_b32 v7, v50, v1
	s_waitcnt lgkmcnt(4)
	v_pk_add_f32 v[12:13], v[30:31], v[2:3]
	ds_bpermute_b32 v16, v49, v26
	ds_bpermute_b32 v17, v49, v27
	;; [unrolled: 1-line block ×3, first 2 shown]
	s_waitcnt lgkmcnt(3)
	v_pk_add_f32 v[2:3], v[0:1], v[6:7]
	v_pk_add_f32 v[0:1], v[28:29], v[10:11]
	ds_bpermute_b32 v10, v50, v0
	ds_bpermute_b32 v11, v50, v1
	;; [unrolled: 1-line block ×3, first 2 shown]
	s_waitcnt lgkmcnt(0)
	s_barrier
	v_pk_add_f32 v[10:11], v[0:1], v[10:11]
	v_pk_add_f32 v[0:1], v[26:27], v[16:17]
	;; [unrolled: 1-line block ×3, first 2 shown]
	ds_bpermute_b32 v14, v50, v0
	ds_bpermute_b32 v15, v50, v1
	ds_bpermute_b32 v16, v49, v20
	ds_bpermute_b32 v17, v49, v21
	ds_bpermute_b32 v12, v49, v24
	ds_bpermute_b32 v13, v49, v25
	ds_bpermute_b32 v22, v49, v8
	ds_bpermute_b32 v23, v49, v9
	s_waitcnt lgkmcnt(4)
	v_pk_add_f32 v[20:21], v[20:21], v[16:17]
	v_pk_add_f32 v[16:17], v[0:1], v[14:15]
	scratch_load_dword v0, off, s32 offset:592 ; 4-byte Folded Reload
	s_waitcnt lgkmcnt(2)
	v_pk_add_f32 v[12:13], v[24:25], v[12:13]
	ds_bpermute_b32 v26, v49, v4
	ds_bpermute_b32 v27, v49, v5
	;; [unrolled: 1-line block ×4, first 2 shown]
	s_waitcnt lgkmcnt(4)
	v_pk_add_f32 v[8:9], v[8:9], v[22:23]
	ds_bpermute_b32 v24, v50, v20
	ds_bpermute_b32 v25, v50, v21
	;; [unrolled: 1-line block ×4, first 2 shown]
	s_waitcnt lgkmcnt(6)
	v_pk_add_f32 v[4:5], v[4:5], v[26:27]
	s_waitcnt lgkmcnt(4)
	v_pk_add_f32 v[14:15], v[12:13], v[18:19]
	ds_bpermute_b32 v18, v50, v4
	ds_bpermute_b32 v19, v50, v5
	s_waitcnt lgkmcnt(4)
	v_pk_add_f32 v[12:13], v[20:21], v[24:25]
	s_waitcnt lgkmcnt(2)
	v_pk_add_f32 v[8:9], v[8:9], v[22:23]
	s_waitcnt vmcnt(0)
	v_and_b32_e32 v0, 0x3c3, v0
	v_cmp_ne_u32_e32 vcc, 64, v0
	s_and_saveexec_b64 s[2:3], vcc
	s_xor_b64 s[2:3], exec, s[2:3]
; %bb.2122:
                                        ; implicit-def: $vgpr48
; %bb.2123:
	s_or_saveexec_b64 s[2:3], s[2:3]
	s_waitcnt lgkmcnt(0)
	v_pk_add_f32 v[4:5], v[4:5], v[18:19]
	s_xor_b64 exec, exec, s[2:3]
	s_cbranch_execz .LBB286_2125
; %bb.2124:
	s_ashr_i32 s17, s16, 31
	s_lshl_b64 s[4:5], s[16:17], 2
	s_getpc_b64 s[6:7]
	s_add_u32 s6, s6, llvm.amdgcn.dynlds.offset.table@rel32@lo+4
	s_addc_u32 s7, s7, llvm.amdgcn.dynlds.offset.table@rel32@hi+12
	s_add_u32 s4, s4, s6
	s_addc_u32 s5, s5, s7
	s_load_dword s4, s[4:5], 0x0
	s_waitcnt lgkmcnt(0)
	v_add_u32_e32 v1, s4, v48
	ds_write2_b32 v1, v2, v3 offset1:16
	ds_write2_b32 v1, v6, v7 offset0:32 offset1:48
	ds_write2_b32 v1, v10, v11 offset0:64 offset1:80
	;; [unrolled: 1-line block ×7, first 2 shown]
.LBB286_2125:
	s_or_b64 exec, exec, s[2:3]
	s_waitcnt lgkmcnt(0)
	s_barrier
	s_and_saveexec_b64 s[2:3], s[0:1]
	s_cbranch_execz .LBB286_2144
; %bb.2126:
	scratch_load_dword v1, off, s32 offset:592 ; 4-byte Folded Reload
	v_cmp_eq_u32_e32 vcc, 0, v51
	s_waitcnt vmcnt(0)
	v_lshrrev_b32_e32 v1, 2, v1
	s_and_saveexec_b64 s[0:1], vcc
	s_cbranch_execnz .LBB286_2147
; %bb.2127:
	s_or_b64 exec, exec, s[0:1]
	s_and_saveexec_b64 s[0:1], vcc
	s_cbranch_execnz .LBB286_2148
.LBB286_2128:
	s_or_b64 exec, exec, s[0:1]
	s_and_saveexec_b64 s[0:1], vcc
	s_cbranch_execnz .LBB286_2149
.LBB286_2129:
	s_or_b64 exec, exec, s[0:1]
	s_and_saveexec_b64 s[0:1], vcc
	s_cbranch_execnz .LBB286_2150
.LBB286_2130:
	s_or_b64 exec, exec, s[0:1]
	s_and_saveexec_b64 s[0:1], vcc
	s_cbranch_execnz .LBB286_2151
.LBB286_2131:
	s_or_b64 exec, exec, s[0:1]
	s_and_saveexec_b64 s[0:1], vcc
	s_cbranch_execnz .LBB286_2152
.LBB286_2132:
	s_or_b64 exec, exec, s[0:1]
	s_and_saveexec_b64 s[0:1], vcc
	s_cbranch_execnz .LBB286_2153
.LBB286_2133:
	s_or_b64 exec, exec, s[0:1]
	s_and_saveexec_b64 s[0:1], vcc
	s_cbranch_execnz .LBB286_2154
.LBB286_2134:
	s_or_b64 exec, exec, s[0:1]
	s_and_saveexec_b64 s[0:1], vcc
	s_cbranch_execnz .LBB286_2155
.LBB286_2135:
	s_or_b64 exec, exec, s[0:1]
	s_and_saveexec_b64 s[0:1], vcc
	s_cbranch_execnz .LBB286_2156
.LBB286_2136:
	s_or_b64 exec, exec, s[0:1]
	s_and_saveexec_b64 s[0:1], vcc
	s_cbranch_execnz .LBB286_2157
.LBB286_2137:
	s_or_b64 exec, exec, s[0:1]
	s_and_saveexec_b64 s[0:1], vcc
	s_cbranch_execnz .LBB286_2158
.LBB286_2138:
	s_or_b64 exec, exec, s[0:1]
	s_and_saveexec_b64 s[0:1], vcc
	s_cbranch_execnz .LBB286_2159
.LBB286_2139:
	s_or_b64 exec, exec, s[0:1]
	s_and_saveexec_b64 s[0:1], vcc
	s_cbranch_execnz .LBB286_2160
.LBB286_2140:
	s_or_b64 exec, exec, s[0:1]
	s_and_saveexec_b64 s[0:1], vcc
	s_cbranch_execnz .LBB286_2161
.LBB286_2141:
	s_or_b64 exec, exec, s[0:1]
	s_and_saveexec_b64 s[0:1], vcc
	s_cbranch_execz .LBB286_2143
.LBB286_2142:
	s_ashr_i32 s17, s16, 31
	s_lshl_b64 s[4:5], s[16:17], 2
	s_getpc_b64 s[6:7]
	s_add_u32 s6, s6, llvm.amdgcn.dynlds.offset.table@rel32@lo+4
	s_addc_u32 s7, s7, llvm.amdgcn.dynlds.offset.table@rel32@hi+12
	s_add_u32 s4, s4, s6
	s_addc_u32 s5, s5, s7
	s_load_dword s4, s[4:5], 0x0
	s_waitcnt lgkmcnt(0)
	v_lshl_add_u32 v1, v1, 2, s4
	ds_read_b32 v1, v1 offset:960
	s_waitcnt lgkmcnt(0)
	v_add_f32_e32 v5, v1, v5
.LBB286_2143:
	s_or_b64 exec, exec, s[0:1]
.LBB286_2144:
	s_or_b64 exec, exec, s[2:3]
	v_cmp_eq_u32_e32 vcc, 0, v0
	s_barrier
	s_and_saveexec_b64 s[0:1], vcc
	s_cbranch_execz .LBB286_2146
; %bb.2145:
	scratch_load_dwordx2 v[0:1], off, s32 offset:600 ; 8-byte Folded Reload
	scratch_load_dword v18, off, s32 offset:592 ; 4-byte Folded Reload
	v_cmp_ne_u16_e64 s[2:3], s15, 0
	s_cmp_lg_u64 s[2:3], 0
	s_addc_u32 s4, s13, 0
	s_mul_i32 s2, s10, s4
	s_mul_i32 s2, s2, s11
	s_lshl_b32 s2, s2, 8
	s_mul_i32 s4, s12, s4
	s_lshl_b32 s6, s14, 8
	s_ashr_i32 s3, s2, 31
	s_ashr_i32 s5, s4, 31
	s_ashr_i32 s7, s6, 31
	s_lshl_b64 s[2:3], s[2:3], 1
	s_lshl_b64 s[4:5], s[4:5], 1
	;; [unrolled: 1-line block ×3, first 2 shown]
	s_add_u32 s4, s6, s4
	s_addc_u32 s5, s7, s5
	s_add_u32 s2, s4, s2
	s_addc_u32 s3, s5, s3
	v_mov_b32_e32 v19, 0
	;;#ASMSTART
	v_cvt_f16_f32 v2, v2;

	;;#ASMEND
	s_waitcnt vmcnt(1)
	v_lshl_add_u64 v[0:1], s[2:3], 0, v[0:1]
	s_waitcnt vmcnt(0)
	v_lshrrev_b32_e32 v18, 1, v18
	v_lshl_add_u64 v[0:1], v[0:1], 0, v[18:19]
	flat_store_short v[0:1], v2
	;;#ASMSTART
	v_cvt_f16_f32 v2, v3;

	;;#ASMEND
	flat_store_short v[0:1], v2 offset:32
	;;#ASMSTART
	v_cvt_f16_f32 v2, v6;

	;;#ASMEND
	flat_store_short v[0:1], v2 offset:64
	;;#ASMSTART
	v_cvt_f16_f32 v2, v7;

	;;#ASMEND
	flat_store_short v[0:1], v2 offset:96
	;;#ASMSTART
	v_cvt_f16_f32 v2, v10;

	;;#ASMEND
	flat_store_short v[0:1], v2 offset:128
	;;#ASMSTART
	v_cvt_f16_f32 v2, v11;

	;;#ASMEND
	flat_store_short v[0:1], v2 offset:160
	;;#ASMSTART
	v_cvt_f16_f32 v2, v16;

	;;#ASMEND
	flat_store_short v[0:1], v2 offset:192
	;;#ASMSTART
	v_cvt_f16_f32 v2, v17;

	;;#ASMEND
	flat_store_short v[0:1], v2 offset:224
	;;#ASMSTART
	v_cvt_f16_f32 v2, v14;

	;;#ASMEND
	flat_store_short v[0:1], v2 offset:256
	;;#ASMSTART
	v_cvt_f16_f32 v2, v15;

	;;#ASMEND
	flat_store_short v[0:1], v2 offset:288
	;;#ASMSTART
	v_cvt_f16_f32 v2, v12;

	;;#ASMEND
	flat_store_short v[0:1], v2 offset:320
	;;#ASMSTART
	v_cvt_f16_f32 v2, v13;

	;;#ASMEND
	flat_store_short v[0:1], v2 offset:352
	;;#ASMSTART
	v_cvt_f16_f32 v2, v8;

	;;#ASMEND
	flat_store_short v[0:1], v2 offset:384
	;;#ASMSTART
	v_cvt_f16_f32 v2, v9;

	;;#ASMEND
	flat_store_short v[0:1], v2 offset:416
	;;#ASMSTART
	v_cvt_f16_f32 v2, v4;

	;;#ASMEND
	flat_store_short v[0:1], v2 offset:448
	;;#ASMSTART
	v_cvt_f16_f32 v2, v5;

	;;#ASMEND
	flat_store_short v[0:1], v2 offset:480
.LBB286_2146:
	s_or_b64 exec, exec, s[0:1]
	scratch_load_dword a63, off, s32        ; 4-byte Folded Reload
	scratch_load_dword a62, off, s32 offset:4 ; 4-byte Folded Reload
	scratch_load_dword a61, off, s32 offset:8 ; 4-byte Folded Reload
	scratch_load_dword a60, off, s32 offset:12 ; 4-byte Folded Reload
	scratch_load_dword a59, off, s32 offset:16 ; 4-byte Folded Reload
	scratch_load_dword a58, off, s32 offset:20 ; 4-byte Folded Reload
	scratch_load_dword a57, off, s32 offset:24 ; 4-byte Folded Reload
	scratch_load_dword a56, off, s32 offset:28 ; 4-byte Folded Reload
	scratch_load_dword a55, off, s32 offset:32 ; 4-byte Folded Reload
	scratch_load_dword a54, off, s32 offset:36 ; 4-byte Folded Reload
	scratch_load_dword a53, off, s32 offset:40 ; 4-byte Folded Reload
	scratch_load_dword a52, off, s32 offset:44 ; 4-byte Folded Reload
	scratch_load_dword a51, off, s32 offset:48 ; 4-byte Folded Reload
	scratch_load_dword a50, off, s32 offset:52 ; 4-byte Folded Reload
	scratch_load_dword a49, off, s32 offset:56 ; 4-byte Folded Reload
	scratch_load_dword a48, off, s32 offset:60 ; 4-byte Folded Reload
	scratch_load_dword a47, off, s32 offset:64 ; 4-byte Folded Reload
	scratch_load_dword a46, off, s32 offset:68 ; 4-byte Folded Reload
	scratch_load_dword a45, off, s32 offset:72 ; 4-byte Folded Reload
	scratch_load_dword a44, off, s32 offset:76 ; 4-byte Folded Reload
	scratch_load_dword a43, off, s32 offset:80 ; 4-byte Folded Reload
	scratch_load_dword a42, off, s32 offset:84 ; 4-byte Folded Reload
	scratch_load_dword a41, off, s32 offset:88 ; 4-byte Folded Reload
	scratch_load_dword a40, off, s32 offset:92 ; 4-byte Folded Reload
	scratch_load_dword a39, off, s32 offset:96 ; 4-byte Folded Reload
	scratch_load_dword a38, off, s32 offset:100 ; 4-byte Folded Reload
	scratch_load_dword a37, off, s32 offset:104 ; 4-byte Folded Reload
	scratch_load_dword a36, off, s32 offset:108 ; 4-byte Folded Reload
	scratch_load_dword a35, off, s32 offset:112 ; 4-byte Folded Reload
	scratch_load_dword a34, off, s32 offset:116 ; 4-byte Folded Reload
	scratch_load_dword a33, off, s32 offset:120 ; 4-byte Folded Reload
	scratch_load_dword a32, off, s32 offset:124 ; 4-byte Folded Reload
	scratch_load_dword v62, off, s32 offset:128 ; 4-byte Folded Reload
	scratch_load_dword v61, off, s32 offset:132 ; 4-byte Folded Reload
	scratch_load_dword v60, off, s32 offset:136 ; 4-byte Folded Reload
	scratch_load_dword v59, off, s32 offset:140 ; 4-byte Folded Reload
	scratch_load_dword v58, off, s32 offset:144 ; 4-byte Folded Reload
	scratch_load_dword v57, off, s32 offset:148 ; 4-byte Folded Reload
	scratch_load_dword v56, off, s32 offset:152 ; 4-byte Folded Reload
	scratch_load_dword v47, off, s32 offset:156 ; 4-byte Folded Reload
	scratch_load_dword v46, off, s32 offset:160 ; 4-byte Folded Reload
	scratch_load_dword v45, off, s32 offset:164 ; 4-byte Folded Reload
	scratch_load_dword v44, off, s32 offset:168 ; 4-byte Folded Reload
	scratch_load_dword v43, off, s32 offset:172 ; 4-byte Folded Reload
	scratch_load_dword v42, off, s32 offset:176 ; 4-byte Folded Reload
	scratch_load_dword v41, off, s32 offset:180 ; 4-byte Folded Reload
	scratch_load_dword v40, off, s32 offset:184 ; 4-byte Folded Reload
	v_readlane_b32 s30, v63, 16
	v_readlane_b32 s31, v63, 17
	;; [unrolled: 1-line block ×18, first 2 shown]
	s_or_saveexec_b64 s[0:1], -1
	scratch_load_dword v63, off, s32 offset:652 ; 4-byte Folded Reload
	s_mov_b64 exec, s[0:1]
	s_waitcnt vmcnt(0) lgkmcnt(0)
	s_setpc_b64 s[30:31]
.LBB286_2147:
	s_ashr_i32 s17, s16, 31
	s_lshl_b64 s[4:5], s[16:17], 2
	s_getpc_b64 s[6:7]
	s_add_u32 s6, s6, llvm.amdgcn.dynlds.offset.table@rel32@lo+4
	s_addc_u32 s7, s7, llvm.amdgcn.dynlds.offset.table@rel32@hi+12
	s_add_u32 s4, s4, s6
	s_addc_u32 s5, s5, s7
	s_load_dword s4, s[4:5], 0x0
	s_waitcnt lgkmcnt(0)
	v_lshl_add_u32 v18, v1, 2, s4
	ds_read_b32 v18, v18
	s_waitcnt lgkmcnt(0)
	v_add_f32_e32 v2, v18, v2
	s_or_b64 exec, exec, s[0:1]
	s_and_saveexec_b64 s[0:1], vcc
	s_cbranch_execz .LBB286_2128
.LBB286_2148:
	s_ashr_i32 s17, s16, 31
	s_lshl_b64 s[4:5], s[16:17], 2
	s_getpc_b64 s[6:7]
	s_add_u32 s6, s6, llvm.amdgcn.dynlds.offset.table@rel32@lo+4
	s_addc_u32 s7, s7, llvm.amdgcn.dynlds.offset.table@rel32@hi+12
	s_add_u32 s4, s4, s6
	s_addc_u32 s5, s5, s7
	s_load_dword s4, s[4:5], 0x0
	s_waitcnt lgkmcnt(0)
	v_lshl_add_u32 v18, v1, 2, s4
	ds_read_b32 v18, v18 offset:64
	s_waitcnt lgkmcnt(0)
	v_add_f32_e32 v3, v18, v3
	s_or_b64 exec, exec, s[0:1]
	s_and_saveexec_b64 s[0:1], vcc
	s_cbranch_execz .LBB286_2129
.LBB286_2149:
	s_ashr_i32 s17, s16, 31
	s_lshl_b64 s[4:5], s[16:17], 2
	s_getpc_b64 s[6:7]
	s_add_u32 s6, s6, llvm.amdgcn.dynlds.offset.table@rel32@lo+4
	s_addc_u32 s7, s7, llvm.amdgcn.dynlds.offset.table@rel32@hi+12
	s_add_u32 s4, s4, s6
	s_addc_u32 s5, s5, s7
	s_load_dword s4, s[4:5], 0x0
	s_waitcnt lgkmcnt(0)
	v_lshl_add_u32 v18, v1, 2, s4
	ds_read_b32 v18, v18 offset:128
	s_waitcnt lgkmcnt(0)
	v_add_f32_e32 v6, v18, v6
	s_or_b64 exec, exec, s[0:1]
	s_and_saveexec_b64 s[0:1], vcc
	s_cbranch_execz .LBB286_2130
.LBB286_2150:
	s_ashr_i32 s17, s16, 31
	s_lshl_b64 s[4:5], s[16:17], 2
	s_getpc_b64 s[6:7]
	s_add_u32 s6, s6, llvm.amdgcn.dynlds.offset.table@rel32@lo+4
	s_addc_u32 s7, s7, llvm.amdgcn.dynlds.offset.table@rel32@hi+12
	s_add_u32 s4, s4, s6
	s_addc_u32 s5, s5, s7
	s_load_dword s4, s[4:5], 0x0
	s_waitcnt lgkmcnt(0)
	v_lshl_add_u32 v18, v1, 2, s4
	ds_read_b32 v18, v18 offset:192
	s_waitcnt lgkmcnt(0)
	v_add_f32_e32 v7, v18, v7
	s_or_b64 exec, exec, s[0:1]
	s_and_saveexec_b64 s[0:1], vcc
	s_cbranch_execz .LBB286_2131
.LBB286_2151:
	s_ashr_i32 s17, s16, 31
	s_lshl_b64 s[4:5], s[16:17], 2
	s_getpc_b64 s[6:7]
	s_add_u32 s6, s6, llvm.amdgcn.dynlds.offset.table@rel32@lo+4
	s_addc_u32 s7, s7, llvm.amdgcn.dynlds.offset.table@rel32@hi+12
	s_add_u32 s4, s4, s6
	s_addc_u32 s5, s5, s7
	s_load_dword s4, s[4:5], 0x0
	s_waitcnt lgkmcnt(0)
	v_lshl_add_u32 v18, v1, 2, s4
	ds_read_b32 v18, v18 offset:256
	s_waitcnt lgkmcnt(0)
	v_add_f32_e32 v10, v18, v10
	s_or_b64 exec, exec, s[0:1]
	s_and_saveexec_b64 s[0:1], vcc
	s_cbranch_execz .LBB286_2132
.LBB286_2152:
	s_ashr_i32 s17, s16, 31
	s_lshl_b64 s[4:5], s[16:17], 2
	s_getpc_b64 s[6:7]
	s_add_u32 s6, s6, llvm.amdgcn.dynlds.offset.table@rel32@lo+4
	s_addc_u32 s7, s7, llvm.amdgcn.dynlds.offset.table@rel32@hi+12
	s_add_u32 s4, s4, s6
	s_addc_u32 s5, s5, s7
	s_load_dword s4, s[4:5], 0x0
	s_waitcnt lgkmcnt(0)
	v_lshl_add_u32 v18, v1, 2, s4
	ds_read_b32 v18, v18 offset:320
	s_waitcnt lgkmcnt(0)
	v_add_f32_e32 v11, v18, v11
	s_or_b64 exec, exec, s[0:1]
	s_and_saveexec_b64 s[0:1], vcc
	s_cbranch_execz .LBB286_2133
.LBB286_2153:
	s_ashr_i32 s17, s16, 31
	s_lshl_b64 s[4:5], s[16:17], 2
	s_getpc_b64 s[6:7]
	s_add_u32 s6, s6, llvm.amdgcn.dynlds.offset.table@rel32@lo+4
	s_addc_u32 s7, s7, llvm.amdgcn.dynlds.offset.table@rel32@hi+12
	s_add_u32 s4, s4, s6
	s_addc_u32 s5, s5, s7
	s_load_dword s4, s[4:5], 0x0
	s_waitcnt lgkmcnt(0)
	v_lshl_add_u32 v18, v1, 2, s4
	ds_read_b32 v18, v18 offset:384
	s_waitcnt lgkmcnt(0)
	v_add_f32_e32 v16, v18, v16
	s_or_b64 exec, exec, s[0:1]
	s_and_saveexec_b64 s[0:1], vcc
	s_cbranch_execz .LBB286_2134
.LBB286_2154:
	s_ashr_i32 s17, s16, 31
	s_lshl_b64 s[4:5], s[16:17], 2
	s_getpc_b64 s[6:7]
	s_add_u32 s6, s6, llvm.amdgcn.dynlds.offset.table@rel32@lo+4
	s_addc_u32 s7, s7, llvm.amdgcn.dynlds.offset.table@rel32@hi+12
	s_add_u32 s4, s4, s6
	s_addc_u32 s5, s5, s7
	s_load_dword s4, s[4:5], 0x0
	s_waitcnt lgkmcnt(0)
	v_lshl_add_u32 v18, v1, 2, s4
	ds_read_b32 v18, v18 offset:448
	s_waitcnt lgkmcnt(0)
	v_add_f32_e32 v17, v18, v17
	s_or_b64 exec, exec, s[0:1]
	s_and_saveexec_b64 s[0:1], vcc
	s_cbranch_execz .LBB286_2135
.LBB286_2155:
	s_ashr_i32 s17, s16, 31
	s_lshl_b64 s[4:5], s[16:17], 2
	s_getpc_b64 s[6:7]
	s_add_u32 s6, s6, llvm.amdgcn.dynlds.offset.table@rel32@lo+4
	s_addc_u32 s7, s7, llvm.amdgcn.dynlds.offset.table@rel32@hi+12
	s_add_u32 s4, s4, s6
	s_addc_u32 s5, s5, s7
	s_load_dword s4, s[4:5], 0x0
	s_waitcnt lgkmcnt(0)
	v_lshl_add_u32 v18, v1, 2, s4
	ds_read_b32 v18, v18 offset:512
	s_waitcnt lgkmcnt(0)
	v_add_f32_e32 v14, v18, v14
	s_or_b64 exec, exec, s[0:1]
	s_and_saveexec_b64 s[0:1], vcc
	s_cbranch_execz .LBB286_2136
.LBB286_2156:
	s_ashr_i32 s17, s16, 31
	s_lshl_b64 s[4:5], s[16:17], 2
	s_getpc_b64 s[6:7]
	s_add_u32 s6, s6, llvm.amdgcn.dynlds.offset.table@rel32@lo+4
	s_addc_u32 s7, s7, llvm.amdgcn.dynlds.offset.table@rel32@hi+12
	s_add_u32 s4, s4, s6
	s_addc_u32 s5, s5, s7
	s_load_dword s4, s[4:5], 0x0
	s_waitcnt lgkmcnt(0)
	v_lshl_add_u32 v18, v1, 2, s4
	ds_read_b32 v18, v18 offset:576
	s_waitcnt lgkmcnt(0)
	v_add_f32_e32 v15, v18, v15
	s_or_b64 exec, exec, s[0:1]
	s_and_saveexec_b64 s[0:1], vcc
	s_cbranch_execz .LBB286_2137
.LBB286_2157:
	s_ashr_i32 s17, s16, 31
	s_lshl_b64 s[4:5], s[16:17], 2
	s_getpc_b64 s[6:7]
	s_add_u32 s6, s6, llvm.amdgcn.dynlds.offset.table@rel32@lo+4
	s_addc_u32 s7, s7, llvm.amdgcn.dynlds.offset.table@rel32@hi+12
	s_add_u32 s4, s4, s6
	s_addc_u32 s5, s5, s7
	s_load_dword s4, s[4:5], 0x0
	s_waitcnt lgkmcnt(0)
	v_lshl_add_u32 v18, v1, 2, s4
	ds_read_b32 v18, v18 offset:640
	s_waitcnt lgkmcnt(0)
	v_add_f32_e32 v12, v18, v12
	s_or_b64 exec, exec, s[0:1]
	s_and_saveexec_b64 s[0:1], vcc
	s_cbranch_execz .LBB286_2138
.LBB286_2158:
	s_ashr_i32 s17, s16, 31
	s_lshl_b64 s[4:5], s[16:17], 2
	s_getpc_b64 s[6:7]
	s_add_u32 s6, s6, llvm.amdgcn.dynlds.offset.table@rel32@lo+4
	s_addc_u32 s7, s7, llvm.amdgcn.dynlds.offset.table@rel32@hi+12
	s_add_u32 s4, s4, s6
	s_addc_u32 s5, s5, s7
	s_load_dword s4, s[4:5], 0x0
	s_waitcnt lgkmcnt(0)
	v_lshl_add_u32 v18, v1, 2, s4
	ds_read_b32 v18, v18 offset:704
	s_waitcnt lgkmcnt(0)
	v_add_f32_e32 v13, v18, v13
	s_or_b64 exec, exec, s[0:1]
	s_and_saveexec_b64 s[0:1], vcc
	s_cbranch_execz .LBB286_2139
.LBB286_2159:
	s_ashr_i32 s17, s16, 31
	s_lshl_b64 s[4:5], s[16:17], 2
	s_getpc_b64 s[6:7]
	s_add_u32 s6, s6, llvm.amdgcn.dynlds.offset.table@rel32@lo+4
	s_addc_u32 s7, s7, llvm.amdgcn.dynlds.offset.table@rel32@hi+12
	s_add_u32 s4, s4, s6
	s_addc_u32 s5, s5, s7
	s_load_dword s4, s[4:5], 0x0
	s_waitcnt lgkmcnt(0)
	v_lshl_add_u32 v18, v1, 2, s4
	ds_read_b32 v18, v18 offset:768
	s_waitcnt lgkmcnt(0)
	v_add_f32_e32 v8, v18, v8
	s_or_b64 exec, exec, s[0:1]
	s_and_saveexec_b64 s[0:1], vcc
	s_cbranch_execz .LBB286_2140
.LBB286_2160:
	s_ashr_i32 s17, s16, 31
	s_lshl_b64 s[4:5], s[16:17], 2
	s_getpc_b64 s[6:7]
	s_add_u32 s6, s6, llvm.amdgcn.dynlds.offset.table@rel32@lo+4
	s_addc_u32 s7, s7, llvm.amdgcn.dynlds.offset.table@rel32@hi+12
	s_add_u32 s4, s4, s6
	s_addc_u32 s5, s5, s7
	s_load_dword s4, s[4:5], 0x0
	s_waitcnt lgkmcnt(0)
	v_lshl_add_u32 v18, v1, 2, s4
	ds_read_b32 v18, v18 offset:832
	s_waitcnt lgkmcnt(0)
	v_add_f32_e32 v9, v18, v9
	s_or_b64 exec, exec, s[0:1]
	s_and_saveexec_b64 s[0:1], vcc
	s_cbranch_execz .LBB286_2141
.LBB286_2161:
	s_ashr_i32 s17, s16, 31
	s_lshl_b64 s[4:5], s[16:17], 2
	s_getpc_b64 s[6:7]
	s_add_u32 s6, s6, llvm.amdgcn.dynlds.offset.table@rel32@lo+4
	s_addc_u32 s7, s7, llvm.amdgcn.dynlds.offset.table@rel32@hi+12
	s_add_u32 s4, s4, s6
	s_addc_u32 s5, s5, s7
	s_load_dword s4, s[4:5], 0x0
	s_waitcnt lgkmcnt(0)
	v_lshl_add_u32 v18, v1, 2, s4
	ds_read_b32 v18, v18 offset:896
	s_waitcnt lgkmcnt(0)
	v_add_f32_e32 v4, v18, v4
	s_or_b64 exec, exec, s[0:1]
	s_and_saveexec_b64 s[0:1], vcc
	s_cbranch_execnz .LBB286_2142
	s_branch .LBB286_2143
.Lfunc_end286:
	.size	_ZN4vllm22paged_attention_kernelIthLi256ELi32ELi128ELNS_18Fp8KVCacheDataTypeE1ELb0ELi0EEEvPfS2_PT_PKS3_PKT0_S9_ifPKiSB_iPKfiiiSD_SD_iiiii, .Lfunc_end286-_ZN4vllm22paged_attention_kernelIthLi256ELi32ELi128ELNS_18Fp8KVCacheDataTypeE1ELb0ELi0EEEvPfS2_PT_PKS3_PKT0_S9_ifPKiSB_iPKfiiiSD_SD_iiiii
                                        ; -- End function
	.section	.AMDGPU.csdata,"",@progbits
; Function info:
; codeLenInByte = 86652
; NumSgprs: 56
; NumVgprs: 64
; NumAgprs: 64
; TotalNumVgprs: 128
; ScratchSize: 660
; MemoryBound: 0
	.section	.text._ZN4vllm25paged_attention_v1_kernelIthLi256ELi32ELi128ELNS_18Fp8KVCacheDataTypeE1ELb0EEEvPT_PKS2_PKT0_S8_ifPKiSA_iPKfiiiSC_SC_iiiii,"axG",@progbits,_ZN4vllm25paged_attention_v1_kernelIthLi256ELi32ELi128ELNS_18Fp8KVCacheDataTypeE1ELb0EEEvPT_PKS2_PKT0_S8_ifPKiSA_iPKfiiiSC_SC_iiiii,comdat
	.protected	_ZN4vllm25paged_attention_v1_kernelIthLi256ELi32ELi128ELNS_18Fp8KVCacheDataTypeE1ELb0EEEvPT_PKS2_PKT0_S8_ifPKiSA_iPKfiiiSC_SC_iiiii ; -- Begin function _ZN4vllm25paged_attention_v1_kernelIthLi256ELi32ELi128ELNS_18Fp8KVCacheDataTypeE1ELb0EEEvPT_PKS2_PKT0_S8_ifPKiSA_iPKfiiiSC_SC_iiiii
	.globl	_ZN4vllm25paged_attention_v1_kernelIthLi256ELi32ELi128ELNS_18Fp8KVCacheDataTypeE1ELb0EEEvPT_PKS2_PKT0_S8_ifPKiSA_iPKfiiiSC_SC_iiiii
	.p2align	8
	.type	_ZN4vllm25paged_attention_v1_kernelIthLi256ELi32ELi128ELNS_18Fp8KVCacheDataTypeE1ELb0EEEvPT_PKS2_PKT0_S8_ifPKiSA_iPKfiiiSC_SC_iiiii,@function
_ZN4vllm25paged_attention_v1_kernelIthLi256ELi32ELi128ELNS_18Fp8KVCacheDataTypeE1ELb0EEEvPT_PKS2_PKT0_S8_ifPKiSA_iPKfiiiSC_SC_iiiii: ; @_ZN4vllm25paged_attention_v1_kernelIthLi256ELi32ELi128ELNS_18Fp8KVCacheDataTypeE1ELb0EEEvPT_PKS2_PKT0_S8_ifPKiSA_iPKfiiiSC_SC_iiiii
; %bb.0:
	s_load_dwordx8 s[16:23], s[0:1], 0x0
	s_load_dwordx4 s[36:39], s[0:1], 0x20
	s_load_dwordx2 s[6:7], s[0:1], 0x30
	s_load_dword s5, s[0:1], 0x38
	s_load_dwordx2 s[10:11], s[0:1], 0x40
	s_load_dwordx8 s[24:31], s[0:1], 0x48
	s_add_u32 s8, s0, 0x80
	s_addc_u32 s9, s1, 0
	s_mov_b32 s12, s2
	s_mov_b32 s13, s3
	;; [unrolled: 1-line block ×4, first 2 shown]
	v_mov_b32_e32 v31, v0
	s_waitcnt lgkmcnt(0)
	v_mov_b32_e32 v0, s16
	v_mov_b32_e32 v1, s17
	;; [unrolled: 1-line block ×24, first 2 shown]
	s_mov_b32 s32, 0
	s_getpc_b64 s[0:1]
	s_add_u32 s0, s0, _ZN4vllm22paged_attention_kernelIthLi256ELi32ELi128ELNS_18Fp8KVCacheDataTypeE1ELb0ELi0EEEvPfS2_PT_PKS3_PKT0_S9_ifPKiSB_iPKfiiiSD_SD_iiiii@rel32@lo+4
	s_addc_u32 s1, s1, _ZN4vllm22paged_attention_kernelIthLi256ELi32ELi128ELNS_18Fp8KVCacheDataTypeE1ELb0ELi0EEEvPfS2_PT_PKS3_PKT0_S9_ifPKiSB_iPKfiiiSD_SD_iiiii@rel32@hi+12
	s_swappc_b64 s[30:31], s[0:1]
	s_endpgm
	.section	.rodata,"a",@progbits
	.p2align	6, 0x0
	.amdhsa_kernel _ZN4vllm25paged_attention_v1_kernelIthLi256ELi32ELi128ELNS_18Fp8KVCacheDataTypeE1ELb0EEEvPT_PKS2_PKT0_S8_ifPKiSA_iPKfiiiSC_SC_iiiii
		.amdhsa_group_segment_fixed_size 528
		.amdhsa_private_segment_fixed_size 660
		.amdhsa_kernarg_size 384
		.amdhsa_user_sgpr_count 2
		.amdhsa_user_sgpr_dispatch_ptr 0
		.amdhsa_user_sgpr_queue_ptr 0
		.amdhsa_user_sgpr_kernarg_segment_ptr 1
		.amdhsa_user_sgpr_dispatch_id 0
		.amdhsa_user_sgpr_kernarg_preload_length 0
		.amdhsa_user_sgpr_kernarg_preload_offset 0
		.amdhsa_user_sgpr_private_segment_size 0
		.amdhsa_uses_dynamic_stack 0
		.amdhsa_enable_private_segment 1
		.amdhsa_system_sgpr_workgroup_id_x 1
		.amdhsa_system_sgpr_workgroup_id_y 1
		.amdhsa_system_sgpr_workgroup_id_z 1
		.amdhsa_system_sgpr_workgroup_info 0
		.amdhsa_system_vgpr_workitem_id 0
		.amdhsa_next_free_vgpr 128
		.amdhsa_next_free_sgpr 50
		.amdhsa_accum_offset 64
		.amdhsa_reserve_vcc 1
		.amdhsa_float_round_mode_32 0
		.amdhsa_float_round_mode_16_64 0
		.amdhsa_float_denorm_mode_32 3
		.amdhsa_float_denorm_mode_16_64 3
		.amdhsa_dx10_clamp 1
		.amdhsa_ieee_mode 1
		.amdhsa_fp16_overflow 0
		.amdhsa_tg_split 0
		.amdhsa_exception_fp_ieee_invalid_op 0
		.amdhsa_exception_fp_denorm_src 0
		.amdhsa_exception_fp_ieee_div_zero 0
		.amdhsa_exception_fp_ieee_overflow 0
		.amdhsa_exception_fp_ieee_underflow 0
		.amdhsa_exception_fp_ieee_inexact 0
		.amdhsa_exception_int_div_zero 0
	.end_amdhsa_kernel
	.section	.text._ZN4vllm25paged_attention_v1_kernelIthLi256ELi32ELi128ELNS_18Fp8KVCacheDataTypeE1ELb0EEEvPT_PKS2_PKT0_S8_ifPKiSA_iPKfiiiSC_SC_iiiii,"axG",@progbits,_ZN4vllm25paged_attention_v1_kernelIthLi256ELi32ELi128ELNS_18Fp8KVCacheDataTypeE1ELb0EEEvPT_PKS2_PKT0_S8_ifPKiSA_iPKfiiiSC_SC_iiiii,comdat
.Lfunc_end287:
	.size	_ZN4vllm25paged_attention_v1_kernelIthLi256ELi32ELi128ELNS_18Fp8KVCacheDataTypeE1ELb0EEEvPT_PKS2_PKT0_S8_ifPKiSA_iPKfiiiSC_SC_iiiii, .Lfunc_end287-_ZN4vllm25paged_attention_v1_kernelIthLi256ELi32ELi128ELNS_18Fp8KVCacheDataTypeE1ELb0EEEvPT_PKS2_PKT0_S8_ifPKiSA_iPKfiiiSC_SC_iiiii
                                        ; -- End function
	.section	.AMDGPU.csdata,"",@progbits
; Kernel info:
; codeLenInByte = 212
; NumSgprs: 56
; NumVgprs: 64
; NumAgprs: 64
; TotalNumVgprs: 128
; ScratchSize: 660
; MemoryBound: 0
; FloatMode: 240
; IeeeMode: 1
; LDSByteSize: 528 bytes/workgroup (compile time only)
; SGPRBlocks: 6
; VGPRBlocks: 15
; NumSGPRsForWavesPerEU: 56
; NumVGPRsForWavesPerEU: 128
; AccumOffset: 64
; Occupancy: 4
; WaveLimiterHint : 1
; COMPUTE_PGM_RSRC2:SCRATCH_EN: 1
; COMPUTE_PGM_RSRC2:USER_SGPR: 2
; COMPUTE_PGM_RSRC2:TRAP_HANDLER: 0
; COMPUTE_PGM_RSRC2:TGID_X_EN: 1
; COMPUTE_PGM_RSRC2:TGID_Y_EN: 1
; COMPUTE_PGM_RSRC2:TGID_Z_EN: 1
; COMPUTE_PGM_RSRC2:TIDIG_COMP_CNT: 0
; COMPUTE_PGM_RSRC3_GFX90A:ACCUM_OFFSET: 15
; COMPUTE_PGM_RSRC3_GFX90A:TG_SPLIT: 0
	.section	.text._ZN4vllm25paged_attention_v1_kernelI14__hip_bfloat16hLi32ELi8ELi128ELNS_18Fp8KVCacheDataTypeE1ELb1EEEvPT_PKS3_PKT0_S9_ifPKiSB_iPKfiiiSD_SD_iiiii,"axG",@progbits,_ZN4vllm25paged_attention_v1_kernelI14__hip_bfloat16hLi32ELi8ELi128ELNS_18Fp8KVCacheDataTypeE1ELb1EEEvPT_PKS3_PKT0_S9_ifPKiSB_iPKfiiiSD_SD_iiiii,comdat
	.protected	_ZN4vllm25paged_attention_v1_kernelI14__hip_bfloat16hLi32ELi8ELi128ELNS_18Fp8KVCacheDataTypeE1ELb1EEEvPT_PKS3_PKT0_S9_ifPKiSB_iPKfiiiSD_SD_iiiii ; -- Begin function _ZN4vllm25paged_attention_v1_kernelI14__hip_bfloat16hLi32ELi8ELi128ELNS_18Fp8KVCacheDataTypeE1ELb1EEEvPT_PKS3_PKT0_S9_ifPKiSB_iPKfiiiSD_SD_iiiii
	.globl	_ZN4vllm25paged_attention_v1_kernelI14__hip_bfloat16hLi32ELi8ELi128ELNS_18Fp8KVCacheDataTypeE1ELb1EEEvPT_PKS3_PKT0_S9_ifPKiSB_iPKfiiiSD_SD_iiiii
	.p2align	8
	.type	_ZN4vllm25paged_attention_v1_kernelI14__hip_bfloat16hLi32ELi8ELi128ELNS_18Fp8KVCacheDataTypeE1ELb1EEEvPT_PKS3_PKT0_S9_ifPKiSB_iPKfiiiSD_SD_iiiii,@function
_ZN4vllm25paged_attention_v1_kernelI14__hip_bfloat16hLi32ELi8ELi128ELNS_18Fp8KVCacheDataTypeE1ELb1EEEvPT_PKS3_PKT0_S9_ifPKiSB_iPKfiiiSD_SD_iiiii: ; @_ZN4vllm25paged_attention_v1_kernelI14__hip_bfloat16hLi32ELi8ELi128ELNS_18Fp8KVCacheDataTypeE1ELb1EEEvPT_PKS3_PKT0_S9_ifPKiSB_iPKfiiiSD_SD_iiiii
; %bb.0:
	s_load_dword s5, s[0:1], 0x80
	s_load_dwordx2 s[6:7], s[0:1], 0x30
	s_load_dwordx2 s[36:37], s[0:1], 0x20
	s_mov_b32 s10, s3
	s_ashr_i32 s11, s3, 31
	s_lshl_b64 s[8:9], s[10:11], 2
	s_waitcnt lgkmcnt(0)
	s_add_u32 s6, s6, s8
	s_addc_u32 s7, s7, s9
	s_abs_i32 s3, s36
	v_cvt_f32_u32_e32 v1, s3
	s_sub_i32 s11, 0, s3
	s_abs_i32 s9, s5
	s_xor_b32 s8, s5, s36
	v_rcp_iflag_f32_e32 v1, v1
	s_ashr_i32 s8, s8, 31
	s_mov_b32 s44, 0
	v_mul_f32_e32 v1, 0x4f7ffffe, v1
	v_cvt_u32_f32_e32 v1, v1
	s_nop 0
	v_readfirstlane_b32 s12, v1
	s_mul_i32 s11, s11, s12
	s_mul_hi_u32 s11, s12, s11
	s_add_i32 s12, s12, s11
	s_mul_hi_u32 s11, s9, s12
	s_mul_i32 s12, s11, s3
	s_sub_i32 s9, s9, s12
	s_add_i32 s12, s11, 1
	s_sub_i32 s13, s9, s3
	s_cmp_ge_u32 s9, s3
	s_cselect_b32 s11, s12, s11
	s_cselect_b32 s9, s13, s9
	s_add_i32 s12, s11, 1
	s_cmp_ge_u32 s9, s3
	s_cselect_b32 s3, s12, s11
	s_xor_b32 s3, s3, s8
	s_sub_i32 s15, s3, s8
	s_abs_i32 s12, s15
	v_cvt_f32_u32_e32 v1, s12
	s_load_dwordx2 s[8:9], s[0:1], 0x40
	s_sub_i32 s3, 0, s12
	s_abs_i32 s13, s2
	v_rcp_iflag_f32_e32 v1, v1
	s_nop 0
	v_mul_f32_e32 v1, 0x4f7ffffe, v1
	v_cvt_u32_f32_e32 v1, v1
	s_nop 0
	v_readfirstlane_b32 s11, v1
	s_mul_i32 s3, s3, s11
	s_mul_hi_u32 s3, s11, s3
	s_add_i32 s11, s11, s3
	s_waitcnt lgkmcnt(0)
	s_cmp_eq_u64 s[8:9], 0
	s_mul_hi_u32 s14, s13, s11
	s_cbranch_scc1 .LBB288_2
; %bb.1:
	s_ashr_i32 s3, s2, 31
	s_lshl_b64 s[16:17], s[2:3], 2
	s_add_u32 s8, s8, s16
	s_addc_u32 s9, s9, s17
	s_load_dword s44, s[8:9], 0x0
.LBB288_2:
	s_load_dword s11, s[6:7], 0x0
	s_load_dwordx4 s[16:19], s[0:1], 0x48
	s_ashr_i32 s8, s2, 31
	s_ashr_i32 s9, s15, 31
	v_and_b32_e32 v2, 7, v0
	s_lshl_b32 s24, s2, 5
	v_cmp_gt_u32_e32 vcc, 32, v0
	s_and_saveexec_b64 s[6:7], vcc
	s_cbranch_execz .LBB288_4
; %bb.3:
	s_load_dwordx2 s[20:21], s[0:1], 0x8
	s_waitcnt lgkmcnt(0)
	s_mul_i32 s22, s10, s16
	s_ashr_i32 s23, s22, 31
	s_lshl_b64 s[22:23], s[22:23], 1
	v_lshlrev_b32_e32 v1, 1, v0
	s_add_u32 s3, s20, s22
	s_addc_u32 s15, s21, s23
	s_ashr_i32 s25, s24, 31
	s_lshl_b64 s[20:21], s[24:25], 1
	s_add_u32 s20, s3, s20
	s_addc_u32 s21, s15, s21
	global_load_ushort v1, v1, s[20:21]
	v_lshrrev_b32_e32 v3, 2, v0
	v_and_b32_e32 v3, 0xfe, v3
	v_lshl_add_u32 v3, v2, 3, v3
	s_waitcnt vmcnt(0)
	ds_write_b16 v3, v1
.LBB288_4:
	s_or_b64 exec, exec, s[6:7]
	s_mul_i32 s7, s14, s12
	s_sub_i32 s7, s13, s7
	s_xor_b32 s6, s8, s9
	s_add_i32 s8, s14, 1
	s_sub_i32 s9, s7, s12
	s_load_dwordx4 s[20:23], s[0:1], 0x68
	s_load_dword s3, s[0:1], 0x78
	s_cmp_ge_u32 s7, s12
	s_cselect_b32 s8, s8, s14
	s_cselect_b32 s7, s9, s7
	s_add_i32 s9, s8, 1
	s_cmp_ge_u32 s7, s12
	s_cselect_b32 s7, s9, s8
	s_waitcnt lgkmcnt(0)
	s_abs_i32 s25, s23
	v_cvt_f32_u32_e32 v1, s25
	s_xor_b32 s7, s7, s6
	s_sub_i32 s43, s7, s6
	s_sub_i32 s6, 0, s25
	v_rcp_iflag_f32_e32 v1, v1
	s_add_i32 s12, s11, -1
	s_abs_i32 s8, s12
	v_mul_f32_e32 v1, 0x4f7ffffe, v1
	v_cvt_u32_f32_e32 v1, v1
	s_barrier
	v_readfirstlane_b32 s33, v1
	s_mul_i32 s6, s6, s33
	s_mul_hi_u32 s6, s33, s6
	s_add_i32 s33, s33, s6
	s_cmp_lt_i32 s3, 0
	s_mul_hi_u32 s9, s8, s33
	s_cbranch_scc0 .LBB288_6
; %bb.5:
	s_mul_i32 s6, s20, s36
	s_add_i32 s6, s43, s6
	s_mul_i32 s6, s6, s3
	s_sub_i32 s36, 1, s6
	s_mov_b64 s[6:7], 0
	s_branch .LBB288_7
.LBB288_6:
	s_mov_b64 s[6:7], -1
                                        ; implicit-def: $sgpr36
.LBB288_7:
	s_load_dwordx2 s[28:29], s[0:1], 0x28
	s_ashr_i32 s16, s12, 31
	s_andn2_b64 vcc, exec, s[6:7]
	s_ashr_i32 s23, s23, 31
	s_cbranch_vccnz .LBB288_9
; %bb.8:
	s_mul_i32 s6, s5, s20
	s_add_i32 s2, s6, s2
	s_mul_i32 s2, s2, s3
	s_add_i32 s36, s2, 1
.LBB288_9:
	s_load_dword s2, s[0:1], 0x38
	s_load_dwordx2 s[26:27], s[0:1], 0x0
	s_load_dwordx2 s[34:35], s[0:1], 0x18
	s_load_dword s20, s[0:1], 0x88
	s_load_dwordx4 s[12:15], s[0:1], 0x58
	s_mul_i32 s3, s9, s25
	s_waitcnt lgkmcnt(0)
	s_mul_i32 s30, s10, s2
	s_sub_i32 s3, s8, s3
	s_ashr_i32 s31, s30, 31
	s_xor_b32 s2, s16, s23
	s_add_i32 s6, s9, 1
	s_sub_i32 s7, s3, s25
	s_cmp_ge_u32 s3, s25
	s_cselect_b32 s6, s6, s9
	s_cselect_b32 s3, s7, s3
	s_add_i32 s7, s6, 1
	s_cmp_ge_u32 s3, s25
	s_cselect_b32 s3, s7, s6
	s_xor_b32 s3, s3, s2
	s_sub_i32 s16, s3, s2
	s_add_i32 s2, s11, 7
	s_ashr_i32 s3, s2, 31
	s_lshr_b32 s3, s3, 29
	s_add_i32 s2, s2, s3
	s_ashr_i32 s42, s2, 3
	v_lshrrev_b32_e32 v1, 6, v0
	v_cmp_gt_i32_e64 s[6:7], s42, v1
	v_mov_b32_e32 v17, 0xff7fffff
	s_mul_i32 s43, s43, s18
	v_lshrrev_b32_e32 v14, 4, v0
	v_lshlrev_b32_e32 v16, 3, v1
	v_mbcnt_lo_u32_b32 v12, -1, 0
	s_and_saveexec_b64 s[18:19], s[6:7]
	s_cbranch_execz .LBB288_35
; %bb.10:
	s_load_dwordx2 s[0:1], s[0:1], 0x10
	s_sub_i32 s45, s16, s21
	s_ashr_i32 s2, s43, 31
	v_bfe_u32 v13, v0, 3, 3
	v_mov_b32_e32 v3, 0
	s_waitcnt lgkmcnt(0)
	s_add_u32 s0, s0, s43
	s_addc_u32 s1, s1, s2
	s_abs_i32 s46, s22
	v_cvt_f32_u32_e32 v4, s46
	v_lshlrev_b32_e32 v8, 2, v13
	v_lshl_or_b32 v8, v1, 5, v8
	v_add_u32_e32 v20, 0x50, v8
	v_rcp_iflag_f32_e32 v5, v4
	v_lshlrev_b32_e32 v4, 4, v13
	v_subrev_u32_e32 v8, s11, v13
	v_mbcnt_hi_u32_b32 v23, -1, v12
	v_mul_f32_e32 v5, 0x4f7ffffe, v5
	v_cvt_u32_f32_e32 v6, v5
	v_mov_b32_e32 v5, v3
	v_lshl_add_u64 v[4:5], s[0:1], 0, v[4:5]
	s_sub_i32 s0, 0, s46
	v_mul_lo_u32 v7, s0, v6
	s_lshl_b64 s[0:1], s[30:31], 2
	v_mul_hi_u32 v7, v6, v7
	s_add_u32 s0, s28, s0
	v_add_u32_e32 v18, v6, v7
	v_and_b32_e32 v6, 60, v14
	v_mov_b32_e32 v7, v3
	s_addc_u32 s1, s29, s1
	v_add_u32_e32 v21, 1, v8
	v_and_b32_e32 v8, 64, v23
	v_cmp_eq_u32_e32 vcc, 0, v2
	s_mov_b32 s47, s17
	v_lshlrev_b32_e32 v15, 3, v2
	v_cmp_neq_f32_e64 s[2:3], s44, 0
	v_lshl_add_u64 v[6:7], s[0:1], 0, v[6:7]
	v_lshlrev_b32_e32 v19, 3, v1
	s_mov_b64 s[38:39], 0
	v_mov_b32_e32 v22, 0xff7fffff
	s_mov_b32 s48, 0x7f800000
	s_movk_i32 s49, 0x7fff
	v_add_u32_e32 v24, 64, v8
	v_xor_b32_e32 v25, 4, v23
	v_xor_b32_e32 v26, 2, v23
	v_mov_b32_e32 v17, 0xff7fffff
	v_mov_b32_e32 v27, v1
	s_branch .LBB288_13
.LBB288_11:                             ;   in Loop: Header=BB288_13 Depth=1
	s_or_b64 exec, exec, s[40:41]
.LBB288_12:                             ;   in Loop: Header=BB288_13 Depth=1
	s_or_b64 exec, exec, s[8:9]
	v_add_u32_e32 v27, 2, v27
	v_cmp_le_i32_e64 s[0:1], s42, v27
	v_lshl_add_u64 v[6:7], v[6:7], 0, 8
	v_add_u32_e32 v19, 16, v19
	s_or_b64 s[38:39], s[0:1], s[38:39]
	v_add_u32_e32 v20, 64, v20
	s_andn2_b64 exec, exec, s[38:39]
	s_cbranch_execz .LBB288_34
.LBB288_13:                             ; =>This Inner Loop Header: Depth=1
	v_mul_hi_u32 v8, v19, s33
	s_waitcnt lgkmcnt(0)
	v_mul_lo_u32 v9, v8, s25
	v_sub_u32_e32 v9, v19, v9
	v_add_u32_e32 v10, 1, v8
	v_cmp_le_u32_e64 s[0:1], s25, v9
	s_nop 1
	v_cndmask_b32_e64 v8, v8, v10, s[0:1]
	v_subrev_u32_e32 v10, s25, v9
	v_cndmask_b32_e64 v9, v9, v10, s[0:1]
	v_add_u32_e32 v10, 1, v8
	v_cmp_le_u32_e64 s[0:1], s25, v9
	s_nop 1
	v_cndmask_b32_e64 v8, v8, v10, s[0:1]
	v_xor_b32_e32 v8, s23, v8
	v_subrev_u32_e32 v8, s23, v8
	v_add_u32_e32 v9, s36, v8
	v_sub_u32_e32 v11, 0, v9
	v_ashrrev_i32_e32 v10, 31, v9
	v_max_i32_e32 v9, v9, v11
	v_mul_hi_u32 v11, v9, v18
	v_mul_lo_u32 v11, v11, s46
	v_sub_u32_e32 v9, v9, v11
	v_subrev_u32_e32 v11, s46, v9
	v_cmp_le_u32_e64 s[0:1], s46, v9
	v_cmp_ge_i32_e64 s[8:9], s45, v8
	s_nop 0
	v_cndmask_b32_e64 v9, v9, v11, s[0:1]
	v_subrev_u32_e32 v11, s46, v9
	v_cmp_le_u32_e64 s[0:1], s46, v9
	s_nop 1
	v_cndmask_b32_e64 v9, v9, v11, s[0:1]
	v_xor_b32_e32 v9, v9, v10
	v_sub_u32_e32 v9, v9, v10
	v_cmp_ne_u32_e64 s[0:1], 0, v9
	s_and_b64 s[0:1], s[0:1], s[8:9]
	s_and_b64 s[40:41], vcc, s[0:1]
	s_and_saveexec_b64 s[8:9], s[40:41]
	s_cbranch_execz .LBB288_15
; %bb.14:                               ;   in Loop: Header=BB288_13 Depth=1
	ds_write_b32 v20, v22
.LBB288_15:                             ;   in Loop: Header=BB288_13 Depth=1
	s_or_b64 exec, exec, s[8:9]
	s_xor_b64 s[0:1], s[0:1], -1
	s_and_saveexec_b64 s[8:9], s[0:1]
	s_cbranch_execz .LBB288_12
; %bb.16:                               ;   in Loop: Header=BB288_13 Depth=1
	global_load_dword v8, v[6:7], off
	s_load_dword s50, s[12:13], 0x0
	s_waitcnt vmcnt(0)
	v_mad_i64_i32 v[8:9], s[0:1], v8, s47, v[4:5]
	v_lshl_add_u64 v[10:11], v[8:9], 0, v[2:3]
	global_load_ubyte v8, v[10:11], off
	s_waitcnt vmcnt(0)
	v_cvt_f32_fp8_sdwa v28, v8 src0_sel:BYTE_0
	ds_read_b64 v[8:9], v15
	s_waitcnt lgkmcnt(0)
	v_mul_f32_e32 v29, s50, v28
	v_and_b32_e32 v28, 0x7f800000, v29
	v_cmp_ne_u32_e64 s[0:1], s48, v28
                                        ; implicit-def: $vgpr28
	s_and_saveexec_b64 s[40:41], s[0:1]
	s_xor_b64 s[0:1], exec, s[40:41]
; %bb.17:                               ;   in Loop: Header=BB288_13 Depth=1
	v_bfe_u32 v28, v29, 16, 1
	v_add3_u32 v28, v29, v28, s49
                                        ; implicit-def: $vgpr29
; %bb.18:                               ;   in Loop: Header=BB288_13 Depth=1
	s_andn2_saveexec_b64 s[40:41], s[0:1]
; %bb.19:                               ;   in Loop: Header=BB288_13 Depth=1
	v_or_b32_e32 v28, 0x10000, v29
	v_cmp_eq_u32_sdwa s[0:1], v29, v3 src0_sel:WORD_0 src1_sel:DWORD
	s_nop 1
	v_cndmask_b32_e64 v28, v28, v29, s[0:1]
; %bb.20:                               ;   in Loop: Header=BB288_13 Depth=1
	s_or_b64 exec, exec, s[40:41]
	global_load_ubyte v29, v[10:11], off offset:8
	s_waitcnt vmcnt(0)
	v_cvt_f32_fp8_sdwa v29, v29 src0_sel:BYTE_0
	s_nop 0
	v_mul_f32_e32 v30, s50, v29
	v_and_b32_e32 v29, 0x7f800000, v30
	v_cmp_ne_u32_e64 s[0:1], s48, v29
                                        ; implicit-def: $vgpr29
	s_and_saveexec_b64 s[40:41], s[0:1]
	s_xor_b64 s[0:1], exec, s[40:41]
; %bb.21:                               ;   in Loop: Header=BB288_13 Depth=1
	v_bfe_u32 v29, v30, 16, 1
	v_add3_u32 v29, v30, v29, s49
                                        ; implicit-def: $vgpr30
; %bb.22:                               ;   in Loop: Header=BB288_13 Depth=1
	s_andn2_saveexec_b64 s[40:41], s[0:1]
; %bb.23:                               ;   in Loop: Header=BB288_13 Depth=1
	v_or_b32_e32 v29, 0x10000, v30
	v_cmp_eq_u32_sdwa s[0:1], v30, v3 src0_sel:WORD_0 src1_sel:DWORD
	s_nop 1
	v_cndmask_b32_e64 v29, v29, v30, s[0:1]
; %bb.24:                               ;   in Loop: Header=BB288_13 Depth=1
	s_or_b64 exec, exec, s[40:41]
	global_load_ubyte v30, v[10:11], off offset:128
	s_waitcnt vmcnt(0)
	v_cvt_f32_fp8_sdwa v30, v30 src0_sel:BYTE_0
	s_nop 0
	v_mul_f32_e32 v31, s50, v30
	v_and_b32_e32 v30, 0x7f800000, v31
	v_cmp_ne_u32_e64 s[0:1], s48, v30
                                        ; implicit-def: $vgpr30
	s_and_saveexec_b64 s[40:41], s[0:1]
	s_xor_b64 s[0:1], exec, s[40:41]
; %bb.25:                               ;   in Loop: Header=BB288_13 Depth=1
	v_bfe_u32 v30, v31, 16, 1
	v_add3_u32 v30, v31, v30, s49
                                        ; implicit-def: $vgpr31
; %bb.26:                               ;   in Loop: Header=BB288_13 Depth=1
	s_andn2_saveexec_b64 s[40:41], s[0:1]
; %bb.27:                               ;   in Loop: Header=BB288_13 Depth=1
	v_or_b32_e32 v30, 0x10000, v31
	v_cmp_eq_u32_sdwa s[0:1], v31, v3 src0_sel:WORD_0 src1_sel:DWORD
	s_nop 1
	v_cndmask_b32_e64 v30, v30, v31, s[0:1]
; %bb.28:                               ;   in Loop: Header=BB288_13 Depth=1
	s_or_b64 exec, exec, s[40:41]
	global_load_ubyte v10, v[10:11], off offset:136
	s_waitcnt vmcnt(0)
	v_cvt_f32_fp8_sdwa v10, v10 src0_sel:BYTE_0
	s_nop 0
	v_mul_f32_e32 v11, s50, v10
	v_and_b32_e32 v10, 0x7f800000, v11
	v_cmp_ne_u32_e64 s[0:1], s48, v10
                                        ; implicit-def: $vgpr10
	s_and_saveexec_b64 s[40:41], s[0:1]
	s_xor_b64 s[0:1], exec, s[40:41]
; %bb.29:                               ;   in Loop: Header=BB288_13 Depth=1
	v_bfe_u32 v10, v11, 16, 1
	v_add3_u32 v10, v11, v10, s49
                                        ; implicit-def: $vgpr11
; %bb.30:                               ;   in Loop: Header=BB288_13 Depth=1
	s_andn2_saveexec_b64 s[40:41], s[0:1]
; %bb.31:                               ;   in Loop: Header=BB288_13 Depth=1
	v_or_b32_e32 v10, 0x10000, v11
	v_cmp_eq_u32_sdwa s[0:1], v11, v3 src0_sel:WORD_0 src1_sel:DWORD
	s_nop 1
	v_cndmask_b32_e64 v10, v10, v11, s[0:1]
; %bb.32:                               ;   in Loop: Header=BB288_13 Depth=1
	s_or_b64 exec, exec, s[40:41]
	v_and_b32_e32 v11, 0xffff0000, v30
	v_and_b32_e32 v29, 0xffff0000, v29
	v_lshlrev_b32_e32 v30, 16, v8
	v_and_b32_e32 v8, 0xffff0000, v8
	v_and_b32_e32 v28, 0xffff0000, v28
	v_mul_f32_e32 v8, v8, v29
	v_lshlrev_b32_e32 v31, 16, v9
	v_cmp_lt_i32_e64 s[0:1], v25, v24
	v_fmac_f32_e32 v8, v30, v28
	v_and_b32_e32 v9, 0xffff0000, v9
	v_cndmask_b32_e64 v32, v23, v25, s[0:1]
	v_and_b32_e32 v10, 0xffff0000, v10
	v_fmac_f32_e32 v8, v31, v11
	v_lshlrev_b32_e32 v32, 2, v32
	v_fmac_f32_e32 v8, v9, v10
	ds_bpermute_b32 v9, v32, v8
	v_cmp_lt_i32_e64 s[0:1], v26, v24
	s_waitcnt lgkmcnt(0)
	v_add_f32_e32 v8, v8, v9
	v_cndmask_b32_e64 v10, v23, v26, s[0:1]
	v_lshlrev_b32_e32 v10, 2, v10
	ds_bpermute_b32 v9, v10, v8
	v_xor_b32_e32 v10, 1, v23
	v_cmp_lt_i32_e64 s[0:1], v10, v24
	s_waitcnt lgkmcnt(0)
	v_add_f32_e32 v8, v8, v9
	v_cndmask_b32_e64 v10, v23, v10, s[0:1]
	v_lshlrev_b32_e32 v10, 2, v10
	ds_bpermute_b32 v9, v10, v8
	s_and_saveexec_b64 s[40:41], vcc
	s_cbranch_execz .LBB288_11
; %bb.33:                               ;   in Loop: Header=BB288_13 Depth=1
	v_add_u32_e32 v10, v21, v19
	v_cvt_f32_i32_e32 v10, v10
	s_waitcnt lgkmcnt(0)
	v_add_f32_e32 v8, v8, v9
	v_add_u32_e32 v11, v13, v19
	v_cmp_gt_i32_e64 s[0:1], s11, v11
	v_mul_f32_e32 v9, s44, v10
	v_cndmask_b32_e64 v9, 0, v9, s[2:3]
	v_fmac_f32_e32 v9, s37, v8
	v_cndmask_b32_e64 v8, 0, v9, s[0:1]
	ds_write_b32 v20, v8
	v_max_f32_e32 v8, v17, v17
	v_max_f32_e32 v8, v8, v9
	v_cndmask_b32_e64 v17, v17, v8, s[0:1]
	s_branch .LBB288_11
.LBB288_34:
	s_or_b64 exec, exec, s[38:39]
.LBB288_35:
	s_or_b64 exec, exec, s[18:19]
	v_mbcnt_hi_u32_b32 v2, -1, v12
	v_and_b32_e32 v3, 64, v2
	v_add_u32_e32 v3, 64, v3
	v_xor_b32_e32 v4, 32, v2
	v_cmp_lt_i32_e32 vcc, v4, v3
	v_xor_b32_e32 v7, 16, v2
	v_max_f32_e32 v6, v17, v17
	v_cndmask_b32_e32 v4, v2, v4, vcc
	v_lshlrev_b32_e32 v5, 2, v4
	ds_bpermute_b32 v4, v5, v17
	v_cmp_lt_i32_e32 vcc, v7, v3
	v_xor_b32_e32 v8, 8, v2
	v_and_b32_e32 v17, 63, v0
	s_waitcnt lgkmcnt(0)
	v_max_f32_e32 v4, v4, v4
	v_max_f32_e32 v4, v6, v4
	v_cndmask_b32_e32 v6, v2, v7, vcc
	v_lshlrev_b32_e32 v7, 2, v6
	ds_bpermute_b32 v6, v7, v4
	v_cmp_lt_i32_e32 vcc, v8, v3
	s_waitcnt lgkmcnt(0)
	v_max_f32_e32 v6, v6, v6
	v_max_f32_e32 v6, v4, v6
	v_cndmask_b32_e32 v4, v2, v8, vcc
	v_lshlrev_b32_e32 v9, 2, v4
	ds_bpermute_b32 v8, v9, v6
	v_cmp_eq_u32_e32 vcc, 0, v17
	v_lshlrev_b32_e32 v4, 2, v1
	s_and_saveexec_b64 s[0:1], vcc
	s_cbranch_execz .LBB288_37
; %bb.36:
	s_waitcnt lgkmcnt(0)
	v_max_f32_e32 v8, v8, v8
	v_max_f32_e32 v6, v6, v6
	;; [unrolled: 1-line block ×3, first 2 shown]
	ds_write_b32 v4, v6 offset:64
.LBB288_37:
	s_or_b64 exec, exec, s[0:1]
	v_cmp_gt_u32_e64 s[0:1], 2, v17
	v_mov_b32_e32 v10, 0xff7fffff
	v_lshlrev_b32_e32 v6, 2, v17
	s_waitcnt lgkmcnt(0)
	s_barrier
	s_and_saveexec_b64 s[2:3], s[0:1]
	s_cbranch_execz .LBB288_39
; %bb.38:
	ds_read_b32 v10, v6 offset:64
.LBB288_39:
	s_or_b64 exec, exec, s[2:3]
	v_xor_b32_e32 v8, 1, v2
	v_cmp_lt_i32_e64 s[2:3], v8, v3
	v_lshlrev_b32_e32 v12, 2, v2
	s_nop 0
	v_cndmask_b32_e64 v8, v2, v8, s[2:3]
	v_lshlrev_b32_e32 v8, 2, v8
	s_waitcnt lgkmcnt(0)
	ds_bpermute_b32 v11, v8, v10
	v_max_f32_e32 v10, v10, v10
	s_lshl_b32 s2, s42, 3
	s_min_i32 s37, s2, s11
	v_cmp_gt_i32_e64 s[2:3], s37, v0
	s_waitcnt lgkmcnt(0)
	v_max_f32_e32 v11, v11, v11
	v_max_f32_e32 v11, v10, v11
	v_and_b32_e32 v10, 0x100, v12
	ds_bpermute_b32 v12, v10, v11
	v_mov_b32_e32 v11, 0
	s_and_saveexec_b64 s[12:13], s[2:3]
	s_cbranch_execz .LBB288_43
; %bb.40:
	v_mov_b32_e32 v11, 0x50
	v_lshl_add_u32 v13, v0, 2, v11
	s_mov_b64 s[18:19], 0
	v_mov_b32_e32 v11, 0
	v_mov_b32_e32 v15, v0
.LBB288_41:                             ; =>This Inner Loop Header: Depth=1
	ds_read_b32 v18, v13
	v_add_u32_e32 v15, 0x80, v15
	v_cmp_le_i32_e64 s[8:9], s37, v15
	s_or_b64 s[18:19], s[8:9], s[18:19]
	s_waitcnt lgkmcnt(0)
	v_sub_f32_e32 v18, v18, v12
	v_mul_f32_e32 v18, 0x3fb8aa3b, v18
	v_exp_f32_e32 v18, v18
	ds_write_b32 v13, v18
	v_add_f32_e32 v11, v11, v18
	v_add_u32_e32 v13, 0x200, v13
	s_andn2_b64 exec, exec, s[18:19]
	s_cbranch_execnz .LBB288_41
; %bb.42:
	s_or_b64 exec, exec, s[18:19]
.LBB288_43:
	s_or_b64 exec, exec, s[12:13]
	ds_bpermute_b32 v5, v5, v11
	s_waitcnt lgkmcnt(0)
	v_add_f32_e32 v5, v11, v5
	ds_bpermute_b32 v7, v7, v5
	s_waitcnt lgkmcnt(0)
	v_add_f32_e32 v5, v5, v7
	ds_bpermute_b32 v7, v9, v5
	v_xor_b32_e32 v9, 4, v2
	v_cmp_lt_i32_e64 s[8:9], v9, v3
	s_waitcnt lgkmcnt(0)
	v_add_f32_e32 v5, v5, v7
	v_cndmask_b32_e64 v9, v2, v9, s[8:9]
	v_lshlrev_b32_e32 v9, 2, v9
	ds_bpermute_b32 v7, v9, v5
	v_xor_b32_e32 v9, 2, v2
	v_cmp_lt_i32_e64 s[8:9], v9, v3
	s_waitcnt lgkmcnt(0)
	v_add_f32_e32 v3, v5, v7
	v_cndmask_b32_e64 v2, v2, v9, s[8:9]
	v_lshlrev_b32_e32 v2, 2, v2
	ds_bpermute_b32 v2, v2, v3
	s_waitcnt lgkmcnt(0)
	v_add_f32_e32 v2, v3, v2
	ds_bpermute_b32 v3, v8, v2
	s_waitcnt lgkmcnt(0)
	v_add_f32_e32 v2, v2, v3
	s_and_saveexec_b64 s[8:9], vcc
	s_cbranch_execz .LBB288_45
; %bb.44:
	ds_write_b32 v4, v2 offset:72
.LBB288_45:
	s_or_b64 exec, exec, s[8:9]
	s_waitcnt lgkmcnt(0)
	s_barrier
	s_and_saveexec_b64 s[8:9], s[0:1]
	s_cbranch_execz .LBB288_47
; %bb.46:
	ds_read_b32 v2, v6 offset:72
.LBB288_47:
	s_or_b64 exec, exec, s[8:9]
	s_waitcnt lgkmcnt(0)
	ds_bpermute_b32 v3, v8, v2
	s_waitcnt lgkmcnt(0)
	v_add_f32_e32 v2, v2, v3
	ds_bpermute_b32 v2, v10, v2
	s_and_saveexec_b64 s[0:1], s[2:3]
	s_cbranch_execz .LBB288_60
; %bb.48:
	s_waitcnt lgkmcnt(0)
	v_add_f32_e32 v2, 0x358637bd, v2
	v_div_scale_f32 v3, s[2:3], v2, v2, 1.0
	v_rcp_f32_e32 v4, v3
	v_div_scale_f32 v5, vcc, 1.0, v2, 1.0
	s_movk_i32 s2, 0x7f
	v_fma_f32 v6, -v3, v4, 1.0
	v_fmac_f32_e32 v4, v6, v4
	v_mul_f32_e32 v6, v5, v4
	v_fma_f32 v7, -v3, v6, v5
	v_fmac_f32_e32 v6, v7, v4
	v_fma_f32 v3, -v3, v6, v5
	v_div_fmas_f32 v3, v3, v4, v6
	v_xad_u32 v4, v0, -1, s37
	v_div_fixup_f32 v2, v3, v2, 1.0
	v_cmp_lt_u32_e32 vcc, s2, v4
	s_mov_b64 s[8:9], -1
	v_mov_b32_e32 v3, v0
	s_and_saveexec_b64 s[2:3], vcc
	s_cbranch_execz .LBB288_57
; %bb.49:
	v_lshrrev_b32_e32 v4, 7, v4
	v_add_u32_e32 v6, -1, v4
	v_lshrrev_b32_e32 v5, 1, v6
	v_mov_b32_e32 v3, v2
	v_add_u32_e32 v5, 1, v5
	v_cmp_lt_u32_e32 vcc, 13, v6
	v_mov_b32_e32 v8, 0
	s_and_saveexec_b64 s[8:9], vcc
	s_cbranch_execz .LBB288_53
; %bb.50:
	v_mov_b32_e32 v7, 0x50
	v_and_b32_e32 v6, -8, v5
	v_lshl_add_u32 v7, v0, 2, v7
	s_mov_b32 s18, 0
	s_mov_b64 s[12:13], 0
.LBB288_51:                             ; =>This Inner Loop Header: Depth=1
	ds_read2st64_b32 v[8:9], v7 offset1:2
	ds_read2st64_b32 v[10:11], v7 offset0:4 offset1:6
	ds_read2st64_b32 v[12:13], v7 offset0:8 offset1:10
	;; [unrolled: 1-line block ×3, first 2 shown]
	v_add_u32_e32 v6, -8, v6
	s_waitcnt lgkmcnt(3)
	v_pk_mul_f32 v[8:9], v[2:3], v[8:9]
	s_waitcnt lgkmcnt(2)
	v_pk_mul_f32 v[10:11], v[2:3], v[10:11]
	ds_write2st64_b32 v7, v8, v9 offset1:2
	ds_write2st64_b32 v7, v10, v11 offset0:4 offset1:6
	ds_read2st64_b32 v[10:11], v7 offset0:16 offset1:18
	s_waitcnt lgkmcnt(4)
	v_pk_mul_f32 v[8:9], v[2:3], v[12:13]
	ds_write2st64_b32 v7, v8, v9 offset0:8 offset1:10
	s_waitcnt lgkmcnt(4)
	v_pk_mul_f32 v[8:9], v[2:3], v[18:19]
	ds_write2st64_b32 v7, v8, v9 offset0:12 offset1:14
	ds_read2st64_b32 v[8:9], v7 offset0:20 offset1:22
	s_waitcnt lgkmcnt(3)
	v_pk_mul_f32 v[10:11], v[2:3], v[10:11]
	ds_read2st64_b32 v[12:13], v7 offset0:24 offset1:26
	ds_write2st64_b32 v7, v10, v11 offset0:16 offset1:18
	ds_read2st64_b32 v[10:11], v7 offset0:28 offset1:30
	s_waitcnt lgkmcnt(3)
	v_pk_mul_f32 v[8:9], v[2:3], v[8:9]
	ds_write2st64_b32 v7, v8, v9 offset0:20 offset1:22
	s_waitcnt lgkmcnt(3)
	v_pk_mul_f32 v[8:9], v[2:3], v[12:13]
	ds_write2st64_b32 v7, v8, v9 offset0:24 offset1:26
	s_waitcnt lgkmcnt(2)
	v_pk_mul_f32 v[8:9], v[2:3], v[10:11]
	s_add_i32 s18, s18, 16
	v_cmp_eq_u32_e32 vcc, 0, v6
	ds_write2st64_b32 v7, v8, v9 offset0:28 offset1:30
	v_add_u32_e32 v7, 0x2000, v7
	s_or_b64 s[12:13], vcc, s[12:13]
	v_mov_b32_e32 v8, s18
	s_andn2_b64 exec, exec, s[12:13]
	s_cbranch_execnz .LBB288_51
; %bb.52:
	s_or_b64 exec, exec, s[12:13]
.LBB288_53:
	s_or_b64 exec, exec, s[8:9]
	v_and_b32_e32 v5, 7, v5
	v_cmp_ne_u32_e32 vcc, 0, v5
	s_and_saveexec_b64 s[8:9], vcc
	s_cbranch_execz .LBB288_56
; %bb.54:
	v_lshlrev_b32_e32 v6, 9, v8
	v_lshlrev_b32_e32 v7, 2, v0
	s_movk_i32 s12, 0x50
	v_add3_u32 v6, v6, v7, s12
	s_mov_b64 s[12:13], 0
.LBB288_55:                             ; =>This Inner Loop Header: Depth=1
	ds_read2st64_b32 v[8:9], v6 offset1:2
	v_add_u32_e32 v5, -1, v5
	v_cmp_eq_u32_e32 vcc, 0, v5
	s_or_b64 s[12:13], vcc, s[12:13]
	s_waitcnt lgkmcnt(0)
	v_pk_mul_f32 v[8:9], v[2:3], v[8:9]
	ds_write2st64_b32 v6, v8, v9 offset1:2
	v_add_u32_e32 v6, 0x400, v6
	s_andn2_b64 exec, exec, s[12:13]
	s_cbranch_execnz .LBB288_55
.LBB288_56:
	s_or_b64 exec, exec, s[8:9]
	v_add_u32_e32 v4, 1, v4
	v_and_b32_e32 v5, 0x3fffffe, v4
	v_cmp_ne_u32_e32 vcc, v4, v5
	v_lshl_add_u32 v3, v5, 7, v0
	s_orn2_b64 s[8:9], vcc, exec
.LBB288_57:
	s_or_b64 exec, exec, s[2:3]
	s_and_b64 exec, exec, s[8:9]
	s_cbranch_execz .LBB288_60
; %bb.58:
	v_mov_b32_e32 v4, 0x50
	v_lshl_add_u32 v4, v3, 2, v4
	s_mov_b64 s[2:3], 0
.LBB288_59:                             ; =>This Inner Loop Header: Depth=1
	ds_read_b32 v5, v4
	v_add_u32_e32 v3, 0x80, v3
	v_cmp_le_i32_e32 vcc, s37, v3
	s_or_b64 s[2:3], vcc, s[2:3]
	s_waitcnt lgkmcnt(0)
	v_mul_f32_e32 v5, v2, v5
	ds_write_b32 v4, v5
	v_add_u32_e32 v4, 0x200, v4
	s_andn2_b64 exec, exec, s[2:3]
	s_cbranch_execnz .LBB288_59
.LBB288_60:
	s_or_b64 exec, exec, s[0:1]
	v_mov_b32_e32 v10, 0
	s_waitcnt lgkmcnt(0)
	s_barrier
	s_and_saveexec_b64 s[8:9], s[6:7]
	s_cbranch_execz .LBB288_166
; %bb.61:
	s_sub_i32 s18, s16, s21
	s_ashr_i32 s1, s43, 31
	s_add_u32 s0, s34, s43
	s_addc_u32 s1, s35, s1
	s_abs_i32 s19, s22
	v_cvt_f32_u32_e32 v2, s19
	v_lshlrev_b32_e32 v10, 3, v17
	v_mov_b32_e32 v11, 0
	v_lshl_add_u64 v[12:13], s[0:1], 0, v[10:11]
	v_rcp_iflag_f32_e32 v2, v2
	s_sub_i32 s0, 0, s19
	s_add_i32 s22, s42, -1
	v_and_b32_e32 v10, 60, v14
	v_mul_f32_e32 v2, 0x4f7ffffe, v2
	v_cvt_u32_f32_e32 v2, v2
	v_cmp_gt_u32_e32 vcc, 32, v17
	s_mov_b32 s21, s17
	s_mov_b64 s[6:7], 0
	v_mul_lo_u32 v3, s0, v2
	s_lshl_b64 s[0:1], s[30:31], 2
	v_mul_hi_u32 v3, v2, v3
	s_add_u32 s0, s28, s0
	v_add_u32_e32 v18, v2, v3
	s_addc_u32 s1, s29, s1
	v_mov_b32_e32 v2, 0x50
	v_lshl_add_u64 v[14:15], s[0:1], 0, v[10:11]
	v_lshl_add_u32 v19, v1, 5, v2
	s_mov_b32 s28, 0x7f800000
	s_movk_i32 s29, 0x7fff
	v_mov_b32_e32 v10, 0
	s_branch .LBB288_65
.LBB288_62:                             ;   in Loop: Header=BB288_65 Depth=1
	s_or_b64 exec, exec, s[16:17]
	v_and_b32_e32 v7, 0xffff0000, v6
	v_and_b32_e32 v6, 0xffff0000, v8
	;; [unrolled: 1-line block ×8, first 2 shown]
	v_pk_add_f32 v[2:3], v[4:5], v[8:9]
	v_pk_add_f32 v[4:5], v[22:23], v[6:7]
	v_add_f32_e32 v2, v2, v3
	v_add_f32_e32 v2, v2, v4
	;; [unrolled: 1-line block ×4, first 2 shown]
.LBB288_63:                             ;   in Loop: Header=BB288_65 Depth=1
	s_or_b64 exec, exec, s[12:13]
.LBB288_64:                             ;   in Loop: Header=BB288_65 Depth=1
	s_or_b64 exec, exec, s[2:3]
	v_add_u32_e32 v1, 2, v1
	v_cmp_le_i32_e64 s[0:1], s42, v1
	v_lshl_add_u64 v[14:15], v[14:15], 0, 8
	v_add_u32_e32 v16, 16, v16
	s_or_b64 s[6:7], s[0:1], s[6:7]
	v_add_u32_e32 v19, 64, v19
	s_andn2_b64 exec, exec, s[6:7]
	s_cbranch_execz .LBB288_165
.LBB288_65:                             ; =>This Inner Loop Header: Depth=1
	v_mul_hi_u32 v2, v16, s33
	v_mul_lo_u32 v3, v2, s25
	v_sub_u32_e32 v3, v16, v3
	v_add_u32_e32 v4, 1, v2
	v_cmp_le_u32_e64 s[0:1], s25, v3
	s_nop 1
	v_cndmask_b32_e64 v2, v2, v4, s[0:1]
	v_subrev_u32_e32 v4, s25, v3
	v_cndmask_b32_e64 v3, v3, v4, s[0:1]
	v_add_u32_e32 v4, 1, v2
	v_cmp_le_u32_e64 s[0:1], s25, v3
	s_nop 1
	v_cndmask_b32_e64 v2, v2, v4, s[0:1]
	v_xor_b32_e32 v2, s23, v2
	v_subrev_u32_e32 v2, s23, v2
	v_add_u32_e32 v3, s36, v2
	v_sub_u32_e32 v5, 0, v3
	v_ashrrev_i32_e32 v4, 31, v3
	v_max_i32_e32 v3, v3, v5
	v_mul_hi_u32 v5, v3, v18
	v_mul_lo_u32 v5, v5, s19
	v_sub_u32_e32 v3, v3, v5
	v_subrev_u32_e32 v5, s19, v3
	v_cmp_le_u32_e64 s[0:1], s19, v3
	v_cmp_lt_i32_e64 s[2:3], s18, v2
	s_nop 0
	v_cndmask_b32_e64 v3, v3, v5, s[0:1]
	v_subrev_u32_e32 v5, s19, v3
	v_cmp_le_u32_e64 s[0:1], s19, v3
	s_nop 1
	v_cndmask_b32_e64 v3, v3, v5, s[0:1]
	v_xor_b32_e32 v3, v3, v4
	v_sub_u32_e32 v3, v3, v4
	v_cmp_eq_u32_e64 s[0:1], 0, v3
	s_or_b64 s[0:1], s[0:1], s[2:3]
	s_and_saveexec_b64 s[2:3], s[0:1]
	s_cbranch_execz .LBB288_64
; %bb.66:                               ;   in Loop: Header=BB288_65 Depth=1
	global_load_dword v24, v[14:15], off
	ds_read2_b64 v[6:9], v19 offset1:1
	ds_read2_b64 v[2:5], v19 offset0:2 offset1:3
                                        ; implicit-def: $vgpr23
	s_waitcnt lgkmcnt(1)
	v_and_b32_e32 v20, 0x7f800000, v6
	v_cmp_ne_u32_e64 s[0:1], s28, v20
	s_and_saveexec_b64 s[12:13], s[0:1]
	s_xor_b64 s[0:1], exec, s[12:13]
; %bb.67:                               ;   in Loop: Header=BB288_65 Depth=1
	v_bfe_u32 v20, v6, 16, 1
	v_add3_u32 v23, v6, v20, s29
; %bb.68:                               ;   in Loop: Header=BB288_65 Depth=1
	s_andn2_saveexec_b64 s[12:13], s[0:1]
; %bb.69:                               ;   in Loop: Header=BB288_65 Depth=1
	v_or_b32_e32 v20, 0x10000, v6
	v_cmp_eq_u32_sdwa s[0:1], v6, v11 src0_sel:WORD_0 src1_sel:DWORD
	s_nop 1
	v_cndmask_b32_e64 v23, v20, v6, s[0:1]
; %bb.70:                               ;   in Loop: Header=BB288_65 Depth=1
	s_or_b64 exec, exec, s[12:13]
	v_and_b32_e32 v6, 0x7f800000, v7
	v_cmp_ne_u32_e64 s[0:1], s28, v6
                                        ; implicit-def: $vgpr22
	s_and_saveexec_b64 s[12:13], s[0:1]
	s_xor_b64 s[0:1], exec, s[12:13]
; %bb.71:                               ;   in Loop: Header=BB288_65 Depth=1
	v_bfe_u32 v6, v7, 16, 1
	v_add3_u32 v22, v7, v6, s29
; %bb.72:                               ;   in Loop: Header=BB288_65 Depth=1
	s_andn2_saveexec_b64 s[12:13], s[0:1]
; %bb.73:                               ;   in Loop: Header=BB288_65 Depth=1
	v_or_b32_e32 v6, 0x10000, v7
	v_cmp_eq_u32_sdwa s[0:1], v7, v11 src0_sel:WORD_0 src1_sel:DWORD
	s_nop 1
	v_cndmask_b32_e64 v22, v6, v7, s[0:1]
; %bb.74:                               ;   in Loop: Header=BB288_65 Depth=1
	s_or_b64 exec, exec, s[12:13]
	v_and_b32_e32 v6, 0x7f800000, v8
	v_cmp_ne_u32_e64 s[0:1], s28, v6
                                        ; implicit-def: $vgpr21
	s_and_saveexec_b64 s[12:13], s[0:1]
	s_xor_b64 s[0:1], exec, s[12:13]
; %bb.75:                               ;   in Loop: Header=BB288_65 Depth=1
	v_bfe_u32 v6, v8, 16, 1
	v_add3_u32 v21, v8, v6, s29
; %bb.76:                               ;   in Loop: Header=BB288_65 Depth=1
	s_andn2_saveexec_b64 s[12:13], s[0:1]
; %bb.77:                               ;   in Loop: Header=BB288_65 Depth=1
	v_or_b32_e32 v6, 0x10000, v8
	v_cmp_eq_u32_sdwa s[0:1], v8, v11 src0_sel:WORD_0 src1_sel:DWORD
	s_nop 1
	v_cndmask_b32_e64 v21, v6, v8, s[0:1]
; %bb.78:                               ;   in Loop: Header=BB288_65 Depth=1
	s_or_b64 exec, exec, s[12:13]
	v_and_b32_e32 v6, 0x7f800000, v9
	v_cmp_ne_u32_e64 s[0:1], s28, v6
                                        ; implicit-def: $vgpr20
	s_and_saveexec_b64 s[12:13], s[0:1]
	s_xor_b64 s[0:1], exec, s[12:13]
; %bb.79:                               ;   in Loop: Header=BB288_65 Depth=1
	v_bfe_u32 v6, v9, 16, 1
	v_add3_u32 v20, v9, v6, s29
                                        ; implicit-def: $vgpr6_vgpr7_vgpr8_vgpr9
; %bb.80:                               ;   in Loop: Header=BB288_65 Depth=1
	s_andn2_saveexec_b64 s[12:13], s[0:1]
; %bb.81:                               ;   in Loop: Header=BB288_65 Depth=1
	v_or_b32_e32 v6, 0x10000, v9
	v_cmp_eq_u32_sdwa s[0:1], v9, v11 src0_sel:WORD_0 src1_sel:DWORD
	s_nop 1
	v_cndmask_b32_e64 v20, v6, v9, s[0:1]
; %bb.82:                               ;   in Loop: Header=BB288_65 Depth=1
	s_or_b64 exec, exec, s[12:13]
	s_waitcnt lgkmcnt(0)
	v_and_b32_e32 v6, 0x7f800000, v2
	v_cmp_ne_u32_e64 s[0:1], s28, v6
                                        ; implicit-def: $vgpr9
	s_and_saveexec_b64 s[12:13], s[0:1]
	s_xor_b64 s[0:1], exec, s[12:13]
; %bb.83:                               ;   in Loop: Header=BB288_65 Depth=1
	v_bfe_u32 v6, v2, 16, 1
	v_add3_u32 v9, v2, v6, s29
; %bb.84:                               ;   in Loop: Header=BB288_65 Depth=1
	s_andn2_saveexec_b64 s[12:13], s[0:1]
; %bb.85:                               ;   in Loop: Header=BB288_65 Depth=1
	v_or_b32_e32 v6, 0x10000, v2
	v_cmp_eq_u32_sdwa s[0:1], v2, v11 src0_sel:WORD_0 src1_sel:DWORD
	s_nop 1
	v_cndmask_b32_e64 v9, v6, v2, s[0:1]
; %bb.86:                               ;   in Loop: Header=BB288_65 Depth=1
	s_or_b64 exec, exec, s[12:13]
	v_and_b32_e32 v2, 0x7f800000, v3
	v_cmp_ne_u32_e64 s[0:1], s28, v2
                                        ; implicit-def: $vgpr8
	s_and_saveexec_b64 s[12:13], s[0:1]
	s_xor_b64 s[0:1], exec, s[12:13]
; %bb.87:                               ;   in Loop: Header=BB288_65 Depth=1
	v_bfe_u32 v2, v3, 16, 1
	v_add3_u32 v8, v3, v2, s29
; %bb.88:                               ;   in Loop: Header=BB288_65 Depth=1
	s_andn2_saveexec_b64 s[12:13], s[0:1]
; %bb.89:                               ;   in Loop: Header=BB288_65 Depth=1
	v_or_b32_e32 v2, 0x10000, v3
	v_cmp_eq_u32_sdwa s[0:1], v3, v11 src0_sel:WORD_0 src1_sel:DWORD
	s_nop 1
	v_cndmask_b32_e64 v8, v2, v3, s[0:1]
; %bb.90:                               ;   in Loop: Header=BB288_65 Depth=1
	s_or_b64 exec, exec, s[12:13]
	v_and_b32_e32 v2, 0x7f800000, v4
	v_cmp_ne_u32_e64 s[0:1], s28, v2
                                        ; implicit-def: $vgpr7
	s_and_saveexec_b64 s[12:13], s[0:1]
	s_xor_b64 s[0:1], exec, s[12:13]
; %bb.91:                               ;   in Loop: Header=BB288_65 Depth=1
	v_bfe_u32 v2, v4, 16, 1
	v_add3_u32 v7, v4, v2, s29
; %bb.92:                               ;   in Loop: Header=BB288_65 Depth=1
	s_andn2_saveexec_b64 s[12:13], s[0:1]
; %bb.93:                               ;   in Loop: Header=BB288_65 Depth=1
	v_or_b32_e32 v2, 0x10000, v4
	v_cmp_eq_u32_sdwa s[0:1], v4, v11 src0_sel:WORD_0 src1_sel:DWORD
	s_nop 1
	v_cndmask_b32_e64 v7, v2, v4, s[0:1]
; %bb.94:                               ;   in Loop: Header=BB288_65 Depth=1
	s_or_b64 exec, exec, s[12:13]
	v_and_b32_e32 v2, 0x7f800000, v5
	v_cmp_ne_u32_e64 s[0:1], s28, v2
                                        ; implicit-def: $vgpr6
	s_and_saveexec_b64 s[12:13], s[0:1]
	s_xor_b64 s[0:1], exec, s[12:13]
	s_cbranch_execnz .LBB288_97
; %bb.95:                               ;   in Loop: Header=BB288_65 Depth=1
	s_andn2_saveexec_b64 s[12:13], s[0:1]
	s_cbranch_execnz .LBB288_98
.LBB288_96:                             ;   in Loop: Header=BB288_65 Depth=1
	s_or_b64 exec, exec, s[12:13]
	s_and_saveexec_b64 s[12:13], vcc
	s_cbranch_execz .LBB288_63
	s_branch .LBB288_99
.LBB288_97:                             ;   in Loop: Header=BB288_65 Depth=1
	v_bfe_u32 v2, v5, 16, 1
	v_add3_u32 v6, v5, v2, s29
                                        ; implicit-def: $vgpr2_vgpr3_vgpr4_vgpr5
	s_andn2_saveexec_b64 s[12:13], s[0:1]
	s_cbranch_execz .LBB288_96
.LBB288_98:                             ;   in Loop: Header=BB288_65 Depth=1
	v_or_b32_e32 v2, 0x10000, v5
	v_cmp_eq_u32_sdwa s[0:1], v5, v11 src0_sel:WORD_0 src1_sel:DWORD
	s_nop 1
	v_cndmask_b32_e64 v6, v2, v5, s[0:1]
	s_or_b64 exec, exec, s[12:13]
	s_and_saveexec_b64 s[12:13], vcc
	s_cbranch_execz .LBB288_63
.LBB288_99:                             ;   in Loop: Header=BB288_65 Depth=1
	s_waitcnt vmcnt(0)
	v_mad_i64_i32 v[2:3], s[0:1], v24, s21, v[12:13]
	global_load_dwordx2 v[2:3], v[2:3], off
	s_load_dword s30, s[14:15], 0x0
	s_waitcnt vmcnt(0)
	v_and_b32_e32 v4, 0xff, v2
	v_cvt_f32_fp8_sdwa v4, v4 src0_sel:BYTE_0
	s_waitcnt lgkmcnt(0)
	v_mul_f32_e32 v5, s30, v4
	v_and_b32_e32 v4, 0x7f800000, v5
	v_cmp_ne_u32_e64 s[0:1], s28, v4
                                        ; implicit-def: $vgpr4
	s_and_saveexec_b64 s[16:17], s[0:1]
	s_xor_b64 s[0:1], exec, s[16:17]
; %bb.100:                              ;   in Loop: Header=BB288_65 Depth=1
	v_bfe_u32 v4, v5, 16, 1
	v_add3_u32 v4, v5, v4, s29
                                        ; implicit-def: $vgpr5
; %bb.101:                              ;   in Loop: Header=BB288_65 Depth=1
	s_andn2_saveexec_b64 s[16:17], s[0:1]
; %bb.102:                              ;   in Loop: Header=BB288_65 Depth=1
	v_or_b32_e32 v4, 0x10000, v5
	v_cmp_eq_u32_sdwa s[0:1], v5, v11 src0_sel:WORD_0 src1_sel:DWORD
	s_nop 1
	v_cndmask_b32_e64 v4, v4, v5, s[0:1]
; %bb.103:                              ;   in Loop: Header=BB288_65 Depth=1
	s_or_b64 exec, exec, s[16:17]
	v_bfe_u32 v5, v2, 8, 8
	v_cvt_f32_fp8_sdwa v5, v5 src0_sel:BYTE_0
	s_nop 0
	v_mul_f32_e32 v24, s30, v5
	v_and_b32_e32 v5, 0x7f800000, v24
	v_cmp_ne_u32_e64 s[0:1], s28, v5
                                        ; implicit-def: $vgpr5
	s_and_saveexec_b64 s[16:17], s[0:1]
	s_xor_b64 s[0:1], exec, s[16:17]
; %bb.104:                              ;   in Loop: Header=BB288_65 Depth=1
	v_bfe_u32 v5, v24, 16, 1
	v_add3_u32 v5, v24, v5, s29
                                        ; implicit-def: $vgpr24
; %bb.105:                              ;   in Loop: Header=BB288_65 Depth=1
	s_andn2_saveexec_b64 s[16:17], s[0:1]
; %bb.106:                              ;   in Loop: Header=BB288_65 Depth=1
	v_or_b32_e32 v5, 0x10000, v24
	v_cmp_eq_u32_sdwa s[0:1], v24, v11 src0_sel:WORD_0 src1_sel:DWORD
	s_nop 1
	v_cndmask_b32_e64 v5, v5, v24, s[0:1]
; %bb.107:                              ;   in Loop: Header=BB288_65 Depth=1
	s_or_b64 exec, exec, s[16:17]
	v_bfe_u32 v24, v2, 16, 8
	v_cvt_f32_fp8_sdwa v24, v24 src0_sel:BYTE_0
                                        ; implicit-def: $vgpr26
	s_nop 0
	v_mul_f32_e32 v24, s30, v24
	v_and_b32_e32 v25, 0x7f800000, v24
	v_cmp_ne_u32_e64 s[0:1], s28, v25
	s_and_saveexec_b64 s[16:17], s[0:1]
	s_xor_b64 s[0:1], exec, s[16:17]
; %bb.108:                              ;   in Loop: Header=BB288_65 Depth=1
	v_bfe_u32 v25, v24, 16, 1
	v_add3_u32 v26, v24, v25, s29
                                        ; implicit-def: $vgpr24
; %bb.109:                              ;   in Loop: Header=BB288_65 Depth=1
	s_andn2_saveexec_b64 s[16:17], s[0:1]
; %bb.110:                              ;   in Loop: Header=BB288_65 Depth=1
	v_or_b32_e32 v25, 0x10000, v24
	v_cmp_eq_u32_sdwa s[0:1], v24, v11 src0_sel:WORD_0 src1_sel:DWORD
	s_nop 1
	v_cndmask_b32_e64 v26, v25, v24, s[0:1]
; %bb.111:                              ;   in Loop: Header=BB288_65 Depth=1
	s_or_b64 exec, exec, s[16:17]
	v_lshrrev_b32_e32 v2, 24, v2
	v_cvt_f32_fp8_sdwa v2, v2 src0_sel:BYTE_0
	s_nop 0
	v_mul_f32_e32 v24, s30, v2
	v_and_b32_e32 v2, 0x7f800000, v24
	v_cmp_ne_u32_e64 s[0:1], s28, v2
                                        ; implicit-def: $vgpr2
	s_and_saveexec_b64 s[16:17], s[0:1]
	s_xor_b64 s[0:1], exec, s[16:17]
; %bb.112:                              ;   in Loop: Header=BB288_65 Depth=1
	v_bfe_u32 v2, v24, 16, 1
	v_add3_u32 v2, v24, v2, s29
                                        ; implicit-def: $vgpr24
; %bb.113:                              ;   in Loop: Header=BB288_65 Depth=1
	s_andn2_saveexec_b64 s[16:17], s[0:1]
; %bb.114:                              ;   in Loop: Header=BB288_65 Depth=1
	v_or_b32_e32 v2, 0x10000, v24
	v_cmp_eq_u32_sdwa s[0:1], v24, v11 src0_sel:WORD_0 src1_sel:DWORD
	s_nop 1
	v_cndmask_b32_e64 v2, v2, v24, s[0:1]
; %bb.115:                              ;   in Loop: Header=BB288_65 Depth=1
	s_or_b64 exec, exec, s[16:17]
	v_and_b32_e32 v24, 0xff, v3
	v_cvt_f32_fp8_sdwa v24, v24 src0_sel:BYTE_0
	s_nop 0
	v_mul_f32_e32 v24, s30, v24
	v_and_b32_e32 v25, 0x7f800000, v24
	v_cmp_ne_u32_e64 s[0:1], s28, v25
                                        ; implicit-def: $vgpr25
	s_and_saveexec_b64 s[16:17], s[0:1]
	s_xor_b64 s[0:1], exec, s[16:17]
; %bb.116:                              ;   in Loop: Header=BB288_65 Depth=1
	v_bfe_u32 v25, v24, 16, 1
	v_add3_u32 v25, v24, v25, s29
                                        ; implicit-def: $vgpr24
; %bb.117:                              ;   in Loop: Header=BB288_65 Depth=1
	s_andn2_saveexec_b64 s[16:17], s[0:1]
; %bb.118:                              ;   in Loop: Header=BB288_65 Depth=1
	v_or_b32_e32 v25, 0x10000, v24
	v_cmp_eq_u32_sdwa s[0:1], v24, v11 src0_sel:WORD_0 src1_sel:DWORD
	s_nop 1
	v_cndmask_b32_e64 v25, v25, v24, s[0:1]
; %bb.119:                              ;   in Loop: Header=BB288_65 Depth=1
	s_or_b64 exec, exec, s[16:17]
	v_bfe_u32 v24, v3, 8, 8
	v_cvt_f32_fp8_sdwa v24, v24 src0_sel:BYTE_0
	s_nop 0
	v_mul_f32_e32 v27, s30, v24
	v_and_b32_e32 v24, 0x7f800000, v27
	v_cmp_ne_u32_e64 s[0:1], s28, v24
                                        ; implicit-def: $vgpr24
	s_and_saveexec_b64 s[16:17], s[0:1]
	s_xor_b64 s[0:1], exec, s[16:17]
; %bb.120:                              ;   in Loop: Header=BB288_65 Depth=1
	v_bfe_u32 v24, v27, 16, 1
	v_add3_u32 v24, v27, v24, s29
                                        ; implicit-def: $vgpr27
; %bb.121:                              ;   in Loop: Header=BB288_65 Depth=1
	s_andn2_saveexec_b64 s[16:17], s[0:1]
; %bb.122:                              ;   in Loop: Header=BB288_65 Depth=1
	v_or_b32_e32 v24, 0x10000, v27
	v_cmp_eq_u32_sdwa s[0:1], v27, v11 src0_sel:WORD_0 src1_sel:DWORD
	s_nop 1
	v_cndmask_b32_e64 v24, v24, v27, s[0:1]
; %bb.123:                              ;   in Loop: Header=BB288_65 Depth=1
	s_or_b64 exec, exec, s[16:17]
	v_bfe_u32 v27, v3, 16, 8
	v_cvt_f32_fp8_sdwa v27, v27 src0_sel:BYTE_0
	s_nop 0
	v_mul_f32_e32 v27, s30, v27
	v_and_b32_e32 v28, 0x7f800000, v27
	v_cmp_ne_u32_e64 s[0:1], s28, v28
                                        ; implicit-def: $vgpr28
	s_and_saveexec_b64 s[16:17], s[0:1]
	s_xor_b64 s[0:1], exec, s[16:17]
; %bb.124:                              ;   in Loop: Header=BB288_65 Depth=1
	v_bfe_u32 v28, v27, 16, 1
	v_add3_u32 v28, v27, v28, s29
                                        ; implicit-def: $vgpr27
; %bb.125:                              ;   in Loop: Header=BB288_65 Depth=1
	s_andn2_saveexec_b64 s[16:17], s[0:1]
; %bb.126:                              ;   in Loop: Header=BB288_65 Depth=1
	v_or_b32_e32 v28, 0x10000, v27
	v_cmp_eq_u32_sdwa s[0:1], v27, v11 src0_sel:WORD_0 src1_sel:DWORD
	s_nop 1
	v_cndmask_b32_e64 v28, v28, v27, s[0:1]
; %bb.127:                              ;   in Loop: Header=BB288_65 Depth=1
	s_or_b64 exec, exec, s[16:17]
	v_lshrrev_b32_e32 v3, 24, v3
	v_cvt_f32_fp8_sdwa v3, v3 src0_sel:BYTE_0
                                        ; implicit-def: $vgpr29
	s_nop 0
	v_mul_f32_e32 v3, s30, v3
	v_and_b32_e32 v27, 0x7f800000, v3
	v_cmp_ne_u32_e64 s[0:1], s28, v27
	s_and_saveexec_b64 s[16:17], s[0:1]
	s_xor_b64 s[0:1], exec, s[16:17]
; %bb.128:                              ;   in Loop: Header=BB288_65 Depth=1
	v_bfe_u32 v27, v3, 16, 1
	v_add3_u32 v29, v3, v27, s29
                                        ; implicit-def: $vgpr3
; %bb.129:                              ;   in Loop: Header=BB288_65 Depth=1
	s_andn2_saveexec_b64 s[16:17], s[0:1]
; %bb.130:                              ;   in Loop: Header=BB288_65 Depth=1
	v_or_b32_e32 v27, 0x10000, v3
	v_cmp_eq_u32_sdwa s[0:1], v3, v11 src0_sel:WORD_0 src1_sel:DWORD
	s_nop 1
	v_cndmask_b32_e64 v29, v27, v3, s[0:1]
; %bb.131:                              ;   in Loop: Header=BB288_65 Depth=1
	s_or_b64 exec, exec, s[16:17]
	v_lshrrev_b32_e32 v24, 16, v24
	v_lshrrev_b32_e32 v25, 16, v25
	;; [unrolled: 1-line block ×8, first 2 shown]
	v_cmp_eq_u32_e64 s[0:1], s22, v1
	s_and_saveexec_b64 s[16:17], s[0:1]
	s_cbranch_execz .LBB288_133
; %bb.132:                              ;   in Loop: Header=BB288_65 Depth=1
	v_cmp_gt_i32_e64 s[0:1], s11, v16
	v_add_u32_e32 v28, 1, v16
	s_nop 0
	v_cndmask_b32_e64 v3, 0, v3, s[0:1]
	v_cmp_gt_i32_e64 s[0:1], s11, v28
	v_add_u32_e32 v28, 2, v16
	s_nop 0
	v_cndmask_b32_e64 v5, 0, v5, s[0:1]
	;; [unrolled: 4-line block ×7, first 2 shown]
	v_cmp_gt_i32_e64 s[0:1], s11, v28
	s_nop 1
	v_cndmask_b32_e64 v2, 0, v2, s[0:1]
.LBB288_133:                            ;   in Loop: Header=BB288_65 Depth=1
	s_or_b64 exec, exec, s[16:17]
	v_and_b32_e32 v23, 0xffff0000, v23
	v_lshlrev_b32_e32 v3, 16, v3
	v_mul_f32_e32 v23, v23, v3
	v_and_b32_e32 v3, 0x7f800000, v23
	v_cmp_ne_u32_e64 s[0:1], s28, v3
                                        ; implicit-def: $vgpr3
	s_and_saveexec_b64 s[16:17], s[0:1]
	s_xor_b64 s[0:1], exec, s[16:17]
; %bb.134:                              ;   in Loop: Header=BB288_65 Depth=1
	v_bfe_u32 v3, v23, 16, 1
	v_add3_u32 v3, v23, v3, s29
                                        ; implicit-def: $vgpr23
; %bb.135:                              ;   in Loop: Header=BB288_65 Depth=1
	s_andn2_saveexec_b64 s[16:17], s[0:1]
; %bb.136:                              ;   in Loop: Header=BB288_65 Depth=1
	v_or_b32_e32 v3, 0x10000, v23
	v_cmp_eq_u32_sdwa s[0:1], v23, v11 src0_sel:WORD_0 src1_sel:DWORD
	s_nop 1
	v_cndmask_b32_e64 v3, v3, v23, s[0:1]
; %bb.137:                              ;   in Loop: Header=BB288_65 Depth=1
	s_or_b64 exec, exec, s[16:17]
	v_and_b32_e32 v22, 0xffff0000, v22
	v_lshlrev_b32_e32 v5, 16, v5
	v_mul_f32_e32 v22, v22, v5
	v_and_b32_e32 v5, 0x7f800000, v22
	v_cmp_ne_u32_e64 s[0:1], s28, v5
                                        ; implicit-def: $vgpr5
	s_and_saveexec_b64 s[16:17], s[0:1]
	s_xor_b64 s[0:1], exec, s[16:17]
; %bb.138:                              ;   in Loop: Header=BB288_65 Depth=1
	v_bfe_u32 v5, v22, 16, 1
	v_add3_u32 v5, v22, v5, s29
                                        ; implicit-def: $vgpr22
; %bb.139:                              ;   in Loop: Header=BB288_65 Depth=1
	s_andn2_saveexec_b64 s[16:17], s[0:1]
; %bb.140:                              ;   in Loop: Header=BB288_65 Depth=1
	v_or_b32_e32 v5, 0x10000, v22
	v_cmp_eq_u32_sdwa s[0:1], v22, v11 src0_sel:WORD_0 src1_sel:DWORD
	s_nop 1
	v_cndmask_b32_e64 v5, v5, v22, s[0:1]
; %bb.141:                              ;   in Loop: Header=BB288_65 Depth=1
	s_or_b64 exec, exec, s[16:17]
	v_and_b32_e32 v21, 0xffff0000, v21
	v_lshlrev_b32_e32 v22, 16, v26
	v_mul_f32_e32 v22, v21, v22
	v_and_b32_e32 v21, 0x7f800000, v22
	v_cmp_ne_u32_e64 s[0:1], s28, v21
                                        ; implicit-def: $vgpr21
	s_and_saveexec_b64 s[16:17], s[0:1]
	s_xor_b64 s[0:1], exec, s[16:17]
; %bb.142:                              ;   in Loop: Header=BB288_65 Depth=1
	v_bfe_u32 v21, v22, 16, 1
	v_add3_u32 v21, v22, v21, s29
                                        ; implicit-def: $vgpr22
; %bb.143:                              ;   in Loop: Header=BB288_65 Depth=1
	s_andn2_saveexec_b64 s[16:17], s[0:1]
; %bb.144:                              ;   in Loop: Header=BB288_65 Depth=1
	v_or_b32_e32 v21, 0x10000, v22
	v_cmp_eq_u32_sdwa s[0:1], v22, v11 src0_sel:WORD_0 src1_sel:DWORD
	s_nop 1
	v_cndmask_b32_e64 v21, v21, v22, s[0:1]
; %bb.145:                              ;   in Loop: Header=BB288_65 Depth=1
	s_or_b64 exec, exec, s[16:17]
	v_and_b32_e32 v20, 0xffff0000, v20
	v_lshlrev_b32_e32 v22, 16, v27
	v_mul_f32_e32 v22, v20, v22
	v_and_b32_e32 v20, 0x7f800000, v22
	v_cmp_ne_u32_e64 s[0:1], s28, v20
                                        ; implicit-def: $vgpr20
	s_and_saveexec_b64 s[16:17], s[0:1]
	s_xor_b64 s[0:1], exec, s[16:17]
; %bb.146:                              ;   in Loop: Header=BB288_65 Depth=1
	v_bfe_u32 v20, v22, 16, 1
	v_add3_u32 v20, v22, v20, s29
                                        ; implicit-def: $vgpr22
; %bb.147:                              ;   in Loop: Header=BB288_65 Depth=1
	s_andn2_saveexec_b64 s[16:17], s[0:1]
; %bb.148:                              ;   in Loop: Header=BB288_65 Depth=1
	v_or_b32_e32 v20, 0x10000, v22
	v_cmp_eq_u32_sdwa s[0:1], v22, v11 src0_sel:WORD_0 src1_sel:DWORD
	s_nop 1
	v_cndmask_b32_e64 v20, v20, v22, s[0:1]
; %bb.149:                              ;   in Loop: Header=BB288_65 Depth=1
	s_or_b64 exec, exec, s[16:17]
	v_and_b32_e32 v9, 0xffff0000, v9
	v_lshlrev_b32_e32 v22, 16, v25
	v_mul_f32_e32 v22, v9, v22
	v_and_b32_e32 v9, 0x7f800000, v22
	v_cmp_ne_u32_e64 s[0:1], s28, v9
                                        ; implicit-def: $vgpr9
	s_and_saveexec_b64 s[16:17], s[0:1]
	s_xor_b64 s[0:1], exec, s[16:17]
; %bb.150:                              ;   in Loop: Header=BB288_65 Depth=1
	v_bfe_u32 v9, v22, 16, 1
	v_add3_u32 v9, v22, v9, s29
                                        ; implicit-def: $vgpr22
; %bb.151:                              ;   in Loop: Header=BB288_65 Depth=1
	s_andn2_saveexec_b64 s[16:17], s[0:1]
; %bb.152:                              ;   in Loop: Header=BB288_65 Depth=1
	v_or_b32_e32 v9, 0x10000, v22
	v_cmp_eq_u32_sdwa s[0:1], v22, v11 src0_sel:WORD_0 src1_sel:DWORD
	s_nop 1
	v_cndmask_b32_e64 v9, v9, v22, s[0:1]
; %bb.153:                              ;   in Loop: Header=BB288_65 Depth=1
	s_or_b64 exec, exec, s[16:17]
	v_and_b32_e32 v8, 0xffff0000, v8
	v_lshlrev_b32_e32 v22, 16, v24
	v_mul_f32_e32 v22, v8, v22
	v_and_b32_e32 v8, 0x7f800000, v22
	v_cmp_ne_u32_e64 s[0:1], s28, v8
                                        ; implicit-def: $vgpr8
	s_and_saveexec_b64 s[16:17], s[0:1]
	s_xor_b64 s[0:1], exec, s[16:17]
; %bb.154:                              ;   in Loop: Header=BB288_65 Depth=1
	v_bfe_u32 v8, v22, 16, 1
	v_add3_u32 v8, v22, v8, s29
                                        ; implicit-def: $vgpr22
; %bb.155:                              ;   in Loop: Header=BB288_65 Depth=1
	s_andn2_saveexec_b64 s[16:17], s[0:1]
; %bb.156:                              ;   in Loop: Header=BB288_65 Depth=1
	v_or_b32_e32 v8, 0x10000, v22
	v_cmp_eq_u32_sdwa s[0:1], v22, v11 src0_sel:WORD_0 src1_sel:DWORD
	s_nop 1
	v_cndmask_b32_e64 v8, v8, v22, s[0:1]
; %bb.157:                              ;   in Loop: Header=BB288_65 Depth=1
	s_or_b64 exec, exec, s[16:17]
	v_and_b32_e32 v7, 0xffff0000, v7
	v_lshlrev_b32_e32 v4, 16, v4
	v_mul_f32_e32 v7, v7, v4
	v_and_b32_e32 v4, 0x7f800000, v7
	v_cmp_ne_u32_e64 s[0:1], s28, v4
                                        ; implicit-def: $vgpr4
	s_and_saveexec_b64 s[16:17], s[0:1]
	s_xor_b64 s[0:1], exec, s[16:17]
; %bb.158:                              ;   in Loop: Header=BB288_65 Depth=1
	v_bfe_u32 v4, v7, 16, 1
	v_add3_u32 v4, v7, v4, s29
                                        ; implicit-def: $vgpr7
; %bb.159:                              ;   in Loop: Header=BB288_65 Depth=1
	s_andn2_saveexec_b64 s[16:17], s[0:1]
; %bb.160:                              ;   in Loop: Header=BB288_65 Depth=1
	v_or_b32_e32 v4, 0x10000, v7
	v_cmp_eq_u32_sdwa s[0:1], v7, v11 src0_sel:WORD_0 src1_sel:DWORD
	s_nop 1
	v_cndmask_b32_e64 v4, v4, v7, s[0:1]
; %bb.161:                              ;   in Loop: Header=BB288_65 Depth=1
	s_or_b64 exec, exec, s[16:17]
	v_and_b32_e32 v6, 0xffff0000, v6
	v_lshlrev_b32_e32 v2, 16, v2
	v_mul_f32_e32 v2, v6, v2
	v_and_b32_e32 v6, 0x7f800000, v2
	v_cmp_ne_u32_e64 s[0:1], s28, v6
                                        ; implicit-def: $vgpr6
	s_and_saveexec_b64 s[16:17], s[0:1]
	s_xor_b64 s[0:1], exec, s[16:17]
; %bb.162:                              ;   in Loop: Header=BB288_65 Depth=1
	v_bfe_u32 v6, v2, 16, 1
	v_add3_u32 v6, v2, v6, s29
                                        ; implicit-def: $vgpr2
; %bb.163:                              ;   in Loop: Header=BB288_65 Depth=1
	s_andn2_saveexec_b64 s[16:17], s[0:1]
	s_cbranch_execz .LBB288_62
; %bb.164:                              ;   in Loop: Header=BB288_65 Depth=1
	v_or_b32_e32 v6, 0x10000, v2
	v_cmp_eq_u32_sdwa s[0:1], v2, v11 src0_sel:WORD_0 src1_sel:DWORD
	s_nop 1
	v_cndmask_b32_e64 v6, v6, v2, s[0:1]
	s_branch .LBB288_62
.LBB288_165:
	s_or_b64 exec, exec, s[6:7]
.LBB288_166:
	s_or_b64 exec, exec, s[8:9]
	v_and_b32_e32 v1, 0x3c0, v0
	v_cmp_eq_u32_e64 s[0:1], 64, v1
	v_cmp_gt_u32_e32 vcc, 32, v17
	s_and_b64 s[2:3], s[0:1], vcc
	s_barrier
	s_and_saveexec_b64 s[0:1], s[2:3]
	s_cbranch_execz .LBB288_168
; %bb.167:
	v_mov_b32_e32 v1, 0x50
	v_lshl_add_u32 v1, v17, 2, v1
	ds_write_b32 v1, v10
.LBB288_168:
	s_or_b64 exec, exec, s[0:1]
	v_cmp_gt_u32_e64 s[0:1], 64, v0
	s_and_b64 s[0:1], s[0:1], vcc
	s_waitcnt lgkmcnt(0)
	s_barrier
	s_and_saveexec_b64 s[2:3], s[0:1]
	s_cbranch_execz .LBB288_170
; %bb.169:
	v_mov_b32_e32 v0, 0x50
	v_lshl_add_u32 v0, v17, 2, v0
	ds_read_b32 v0, v0
	s_waitcnt lgkmcnt(0)
	v_add_f32_e32 v10, v10, v0
.LBB288_170:
	s_or_b64 exec, exec, s[2:3]
	s_barrier
	s_and_saveexec_b64 s[2:3], s[0:1]
	s_cbranch_execz .LBB288_176
; %bb.171:
	s_mov_b32 s0, 0x7f800000
	v_and_b32_e32 v0, 0x7f800000, v10
	v_cmp_ne_u32_e32 vcc, s0, v0
                                        ; implicit-def: $vgpr0
	s_and_saveexec_b64 s[0:1], vcc
	s_xor_b64 s[0:1], exec, s[0:1]
; %bb.172:
	v_bfe_u32 v0, v10, 16, 1
	s_movk_i32 s2, 0x7fff
	v_add3_u32 v0, v10, v0, s2
                                        ; implicit-def: $vgpr10
; %bb.173:
	s_andn2_saveexec_b64 s[0:1], s[0:1]
; %bb.174:
	v_mov_b32_e32 v0, 0
	v_or_b32_e32 v1, 0x10000, v10
	v_cmp_eq_u32_sdwa vcc, v10, v0 src0_sel:WORD_0 src1_sel:DWORD
	s_nop 1
	v_cndmask_b32_e32 v0, v1, v10, vcc
; %bb.175:
	s_or_b64 exec, exec, s[0:1]
	s_mul_i32 s0, s10, s20
	s_mul_i32 s0, s0, s5
	s_lshl_b32 s0, s0, 5
	s_ashr_i32 s1, s0, 31
	s_lshl_b64 s[0:1], s[0:1], 1
	s_add_u32 s2, s26, s0
	s_mul_i32 s0, s20, s24
	s_addc_u32 s3, s27, s1
	s_ashr_i32 s1, s0, 31
	s_lshl_b64 s[0:1], s[0:1], 1
	s_add_u32 s2, s2, s0
	s_addc_u32 s3, s3, s1
	s_lshl_b32 s0, s4, 5
	s_ashr_i32 s1, s0, 31
	s_lshl_b64 s[0:1], s[0:1], 1
	s_add_u32 s0, s2, s0
	s_addc_u32 s1, s3, s1
	v_lshlrev_b32_e32 v1, 1, v17
	global_store_short_d16_hi v1, v0, s[0:1]
.LBB288_176:
	s_endpgm
	.section	.rodata,"a",@progbits
	.p2align	6, 0x0
	.amdhsa_kernel _ZN4vllm25paged_attention_v1_kernelI14__hip_bfloat16hLi32ELi8ELi128ELNS_18Fp8KVCacheDataTypeE1ELb1EEEvPT_PKS3_PKT0_S9_ifPKiSB_iPKfiiiSD_SD_iiiii
		.amdhsa_group_segment_fixed_size 80
		.amdhsa_private_segment_fixed_size 0
		.amdhsa_kernarg_size 384
		.amdhsa_user_sgpr_count 2
		.amdhsa_user_sgpr_dispatch_ptr 0
		.amdhsa_user_sgpr_queue_ptr 0
		.amdhsa_user_sgpr_kernarg_segment_ptr 1
		.amdhsa_user_sgpr_dispatch_id 0
		.amdhsa_user_sgpr_kernarg_preload_length 0
		.amdhsa_user_sgpr_kernarg_preload_offset 0
		.amdhsa_user_sgpr_private_segment_size 0
		.amdhsa_uses_dynamic_stack 0
		.amdhsa_enable_private_segment 0
		.amdhsa_system_sgpr_workgroup_id_x 1
		.amdhsa_system_sgpr_workgroup_id_y 1
		.amdhsa_system_sgpr_workgroup_id_z 1
		.amdhsa_system_sgpr_workgroup_info 0
		.amdhsa_system_vgpr_workitem_id 0
		.amdhsa_next_free_vgpr 33
		.amdhsa_next_free_sgpr 51
		.amdhsa_accum_offset 36
		.amdhsa_reserve_vcc 1
		.amdhsa_float_round_mode_32 0
		.amdhsa_float_round_mode_16_64 0
		.amdhsa_float_denorm_mode_32 3
		.amdhsa_float_denorm_mode_16_64 3
		.amdhsa_dx10_clamp 1
		.amdhsa_ieee_mode 1
		.amdhsa_fp16_overflow 0
		.amdhsa_tg_split 0
		.amdhsa_exception_fp_ieee_invalid_op 0
		.amdhsa_exception_fp_denorm_src 0
		.amdhsa_exception_fp_ieee_div_zero 0
		.amdhsa_exception_fp_ieee_overflow 0
		.amdhsa_exception_fp_ieee_underflow 0
		.amdhsa_exception_fp_ieee_inexact 0
		.amdhsa_exception_int_div_zero 0
	.end_amdhsa_kernel
	.section	.text._ZN4vllm25paged_attention_v1_kernelI14__hip_bfloat16hLi32ELi8ELi128ELNS_18Fp8KVCacheDataTypeE1ELb1EEEvPT_PKS3_PKT0_S9_ifPKiSB_iPKfiiiSD_SD_iiiii,"axG",@progbits,_ZN4vllm25paged_attention_v1_kernelI14__hip_bfloat16hLi32ELi8ELi128ELNS_18Fp8KVCacheDataTypeE1ELb1EEEvPT_PKS3_PKT0_S9_ifPKiSB_iPKfiiiSD_SD_iiiii,comdat
.Lfunc_end288:
	.size	_ZN4vllm25paged_attention_v1_kernelI14__hip_bfloat16hLi32ELi8ELi128ELNS_18Fp8KVCacheDataTypeE1ELb1EEEvPT_PKS3_PKT0_S9_ifPKiSB_iPKfiiiSD_SD_iiiii, .Lfunc_end288-_ZN4vllm25paged_attention_v1_kernelI14__hip_bfloat16hLi32ELi8ELi128ELNS_18Fp8KVCacheDataTypeE1ELb1EEEvPT_PKS3_PKT0_S9_ifPKiSB_iPKfiiiSD_SD_iiiii
                                        ; -- End function
	.section	.AMDGPU.csdata,"",@progbits
; Kernel info:
; codeLenInByte = 6712
; NumSgprs: 57
; NumVgprs: 33
; NumAgprs: 0
; TotalNumVgprs: 33
; ScratchSize: 0
; MemoryBound: 0
; FloatMode: 240
; IeeeMode: 1
; LDSByteSize: 80 bytes/workgroup (compile time only)
; SGPRBlocks: 7
; VGPRBlocks: 4
; NumSGPRsForWavesPerEU: 57
; NumVGPRsForWavesPerEU: 33
; AccumOffset: 36
; Occupancy: 8
; WaveLimiterHint : 1
; COMPUTE_PGM_RSRC2:SCRATCH_EN: 0
; COMPUTE_PGM_RSRC2:USER_SGPR: 2
; COMPUTE_PGM_RSRC2:TRAP_HANDLER: 0
; COMPUTE_PGM_RSRC2:TGID_X_EN: 1
; COMPUTE_PGM_RSRC2:TGID_Y_EN: 1
; COMPUTE_PGM_RSRC2:TGID_Z_EN: 1
; COMPUTE_PGM_RSRC2:TIDIG_COMP_CNT: 0
; COMPUTE_PGM_RSRC3_GFX90A:ACCUM_OFFSET: 8
; COMPUTE_PGM_RSRC3_GFX90A:TG_SPLIT: 0
	.section	.text._ZN4vllm25paged_attention_v1_kernelI14__hip_bfloat16hLi64ELi8ELi128ELNS_18Fp8KVCacheDataTypeE1ELb1EEEvPT_PKS3_PKT0_S9_ifPKiSB_iPKfiiiSD_SD_iiiii,"axG",@progbits,_ZN4vllm25paged_attention_v1_kernelI14__hip_bfloat16hLi64ELi8ELi128ELNS_18Fp8KVCacheDataTypeE1ELb1EEEvPT_PKS3_PKT0_S9_ifPKiSB_iPKfiiiSD_SD_iiiii,comdat
	.protected	_ZN4vllm25paged_attention_v1_kernelI14__hip_bfloat16hLi64ELi8ELi128ELNS_18Fp8KVCacheDataTypeE1ELb1EEEvPT_PKS3_PKT0_S9_ifPKiSB_iPKfiiiSD_SD_iiiii ; -- Begin function _ZN4vllm25paged_attention_v1_kernelI14__hip_bfloat16hLi64ELi8ELi128ELNS_18Fp8KVCacheDataTypeE1ELb1EEEvPT_PKS3_PKT0_S9_ifPKiSB_iPKfiiiSD_SD_iiiii
	.globl	_ZN4vllm25paged_attention_v1_kernelI14__hip_bfloat16hLi64ELi8ELi128ELNS_18Fp8KVCacheDataTypeE1ELb1EEEvPT_PKS3_PKT0_S9_ifPKiSB_iPKfiiiSD_SD_iiiii
	.p2align	8
	.type	_ZN4vllm25paged_attention_v1_kernelI14__hip_bfloat16hLi64ELi8ELi128ELNS_18Fp8KVCacheDataTypeE1ELb1EEEvPT_PKS3_PKT0_S9_ifPKiSB_iPKfiiiSD_SD_iiiii,@function
_ZN4vllm25paged_attention_v1_kernelI14__hip_bfloat16hLi64ELi8ELi128ELNS_18Fp8KVCacheDataTypeE1ELb1EEEvPT_PKS3_PKT0_S9_ifPKiSB_iPKfiiiSD_SD_iiiii: ; @_ZN4vllm25paged_attention_v1_kernelI14__hip_bfloat16hLi64ELi8ELi128ELNS_18Fp8KVCacheDataTypeE1ELb1EEEvPT_PKS3_PKT0_S9_ifPKiSB_iPKfiiiSD_SD_iiiii
; %bb.0:
	s_load_dword s5, s[0:1], 0x80
	s_load_dwordx2 s[6:7], s[0:1], 0x30
	s_load_dwordx2 s[38:39], s[0:1], 0x20
	s_mov_b32 s24, s3
	s_ashr_i32 s25, s3, 31
	s_lshl_b64 s[8:9], s[24:25], 2
	s_waitcnt lgkmcnt(0)
	s_add_u32 s6, s6, s8
	s_addc_u32 s7, s7, s9
	s_abs_i32 s3, s38
	v_cvt_f32_u32_e32 v1, s3
	s_sub_i32 s10, 0, s3
	s_abs_i32 s9, s5
	s_xor_b32 s8, s5, s38
	v_rcp_iflag_f32_e32 v1, v1
	s_ashr_i32 s8, s8, 31
	s_mov_b32 s46, 0
	v_mul_f32_e32 v1, 0x4f7ffffe, v1
	v_cvt_u32_f32_e32 v1, v1
	s_nop 0
	v_readfirstlane_b32 s11, v1
	s_mul_i32 s10, s10, s11
	s_mul_hi_u32 s10, s11, s10
	s_add_i32 s11, s11, s10
	s_mul_hi_u32 s10, s9, s11
	s_mul_i32 s11, s10, s3
	s_sub_i32 s9, s9, s11
	s_add_i32 s11, s10, 1
	s_sub_i32 s12, s9, s3
	s_cmp_ge_u32 s9, s3
	s_cselect_b32 s10, s11, s10
	s_cselect_b32 s9, s12, s9
	s_add_i32 s11, s10, 1
	s_cmp_ge_u32 s9, s3
	s_cselect_b32 s3, s11, s10
	s_xor_b32 s3, s3, s8
	s_sub_i32 s14, s3, s8
	s_abs_i32 s10, s14
	v_cvt_f32_u32_e32 v1, s10
	s_load_dwordx2 s[8:9], s[0:1], 0x40
	s_sub_i32 s3, 0, s10
	s_abs_i32 s11, s2
	v_rcp_iflag_f32_e32 v1, v1
	s_nop 0
	v_mul_f32_e32 v1, 0x4f7ffffe, v1
	v_cvt_u32_f32_e32 v1, v1
	s_nop 0
	v_readfirstlane_b32 s12, v1
	s_mul_i32 s3, s3, s12
	s_mul_hi_u32 s3, s12, s3
	s_add_i32 s12, s12, s3
	s_waitcnt lgkmcnt(0)
	s_cmp_eq_u64 s[8:9], 0
	s_mul_hi_u32 s12, s11, s12
	s_cbranch_scc1 .LBB289_2
; %bb.1:
	s_ashr_i32 s3, s2, 31
	s_lshl_b64 s[16:17], s[2:3], 2
	s_add_u32 s8, s8, s16
	s_addc_u32 s9, s9, s17
	s_load_dword s46, s[8:9], 0x0
.LBB289_2:
	s_load_dword s25, s[6:7], 0x0
	s_load_dwordx4 s[16:19], s[0:1], 0x48
	s_ashr_i32 s13, s2, 31
	s_ashr_i32 s14, s14, 31
	v_and_b32_e32 v6, 7, v0
	s_lshl_b32 s26, s2, 6
	v_cmp_gt_u32_e64 s[6:7], 64, v0
	s_and_saveexec_b64 s[8:9], s[6:7]
	s_cbranch_execz .LBB289_4
; %bb.3:
	s_load_dwordx2 s[20:21], s[0:1], 0x8
	s_waitcnt lgkmcnt(0)
	s_mul_i32 s22, s24, s16
	s_ashr_i32 s23, s22, 31
	s_lshl_b64 s[22:23], s[22:23], 1
	v_lshlrev_b32_e32 v1, 1, v0
	s_add_u32 s3, s20, s22
	s_addc_u32 s15, s21, s23
	s_ashr_i32 s27, s26, 31
	s_lshl_b64 s[20:21], s[26:27], 1
	s_add_u32 s20, s3, s20
	s_addc_u32 s21, s15, s21
	global_load_ushort v1, v1, s[20:21]
	v_lshrrev_b32_e32 v2, 2, v0
	v_and_b32_e32 v2, 0xfe, v2
	v_lshl_add_u32 v2, v6, 4, v2
	s_waitcnt vmcnt(0)
	ds_write_b16 v2, v1
.LBB289_4:
	s_or_b64 exec, exec, s[8:9]
	s_mul_i32 s9, s12, s10
	s_sub_i32 s9, s11, s9
	s_xor_b32 s8, s13, s14
	s_add_i32 s11, s12, 1
	s_sub_i32 s13, s9, s10
	s_load_dwordx4 s[20:23], s[0:1], 0x68
	s_load_dword s3, s[0:1], 0x78
	s_cmp_ge_u32 s9, s10
	s_cselect_b32 s11, s11, s12
	s_cselect_b32 s9, s13, s9
	s_add_i32 s12, s11, 1
	s_cmp_ge_u32 s9, s10
	s_cselect_b32 s9, s12, s11
	s_waitcnt lgkmcnt(0)
	s_abs_i32 s27, s23
	v_cvt_f32_u32_e32 v1, s27
	s_xor_b32 s9, s9, s8
	s_sub_i32 s45, s9, s8
	s_sub_i32 s8, 0, s27
	v_rcp_iflag_f32_e32 v1, v1
	s_add_i32 s12, s25, -1
	s_abs_i32 s10, s12
	v_mul_f32_e32 v1, 0x4f7ffffe, v1
	v_cvt_u32_f32_e32 v1, v1
	s_barrier
	v_readfirstlane_b32 s33, v1
	s_mul_i32 s8, s8, s33
	s_mul_hi_u32 s8, s33, s8
	s_add_i32 s33, s33, s8
	s_cmp_lt_i32 s3, 0
	s_mul_hi_u32 s11, s10, s33
	s_cbranch_scc0 .LBB289_6
; %bb.5:
	s_mul_i32 s8, s20, s38
	s_add_i32 s8, s45, s8
	s_mul_i32 s8, s8, s3
	s_sub_i32 s38, 1, s8
	s_mov_b64 s[8:9], 0
	s_branch .LBB289_7
.LBB289_6:
	s_mov_b64 s[8:9], -1
                                        ; implicit-def: $sgpr38
.LBB289_7:
	s_load_dwordx2 s[30:31], s[0:1], 0x28
	s_ashr_i32 s19, s12, 31
	s_andn2_b64 vcc, exec, s[8:9]
	s_ashr_i32 s23, s23, 31
	s_cbranch_vccnz .LBB289_9
; %bb.8:
	s_mul_i32 s8, s5, s20
	s_add_i32 s2, s8, s2
	s_mul_i32 s2, s2, s3
	s_add_i32 s38, s2, 1
.LBB289_9:
	s_load_dword s2, s[0:1], 0x38
	s_load_dwordx2 s[28:29], s[0:1], 0x0
	s_load_dwordx2 s[36:37], s[0:1], 0x18
	s_load_dword s16, s[0:1], 0x88
	s_load_dwordx4 s[12:15], s[0:1], 0x58
	s_mul_i32 s3, s11, s27
	s_waitcnt lgkmcnt(0)
	s_mul_i32 s34, s24, s2
	s_sub_i32 s3, s10, s3
	s_ashr_i32 s35, s34, 31
	s_xor_b32 s2, s19, s23
	s_add_i32 s8, s11, 1
	s_sub_i32 s9, s3, s27
	s_cmp_ge_u32 s3, s27
	s_cselect_b32 s8, s8, s11
	s_cselect_b32 s3, s9, s3
	s_add_i32 s9, s8, 1
	s_cmp_ge_u32 s3, s27
	s_cselect_b32 s3, s9, s8
	s_xor_b32 s3, s3, s2
	s_sub_i32 s44, s3, s2
	s_add_i32 s2, s25, 7
	s_ashr_i32 s3, s2, 31
	s_lshr_b32 s3, s3, 29
	s_add_i32 s2, s2, s3
	s_ashr_i32 s20, s2, 3
	v_lshrrev_b32_e32 v1, 6, v0
	v_cmp_gt_i32_e64 s[2:3], s20, v1
	v_mov_b32_e32 v19, 0xff7fffff
	s_mul_i32 s45, s45, s18
	v_lshrrev_b32_e32 v14, 4, v0
	v_lshlrev_b32_e32 v16, 3, v1
	v_mbcnt_lo_u32_b32 v15, -1, 0
	s_and_saveexec_b64 s[18:19], s[2:3]
	s_cbranch_execz .LBB289_51
; %bb.10:
	s_load_dwordx2 s[0:1], s[0:1], 0x10
	s_sub_i32 s47, s44, s21
	s_ashr_i32 s9, s45, 31
	v_bfe_u32 v17, v0, 3, 3
	v_mov_b32_e32 v7, 0
	s_waitcnt lgkmcnt(0)
	s_add_u32 s8, s0, s45
	s_addc_u32 s9, s1, s9
	s_abs_i32 s48, s22
	v_cvt_f32_u32_e32 v2, s48
	v_cmp_eq_u32_e32 vcc, 0, v6
	s_mov_b32 s49, s17
	v_lshlrev_b32_e32 v18, 4, v6
	v_rcp_iflag_f32_e32 v3, v2
	v_lshlrev_b32_e32 v2, 4, v17
	v_cmp_neq_f32_e64 s[0:1], s46, 0
	v_lshlrev_b32_e32 v21, 3, v1
	v_mul_f32_e32 v3, 0x4f7ffffe, v3
	v_cvt_u32_f32_e32 v4, v3
	v_mov_b32_e32 v3, v7
	v_lshl_add_u64 v[8:9], s[8:9], 0, v[2:3]
	s_sub_i32 s8, 0, s48
	v_mul_lo_u32 v2, s8, v4
	s_lshl_b64 s[8:9], s[34:35], 2
	v_mul_hi_u32 v2, v4, v2
	s_add_u32 s8, s30, s8
	v_add_u32_e32 v20, v4, v2
	v_and_b32_e32 v2, 60, v14
	s_addc_u32 s9, s31, s9
	v_lshl_add_u64 v[10:11], s[8:9], 0, v[2:3]
	v_lshlrev_b32_e32 v2, 2, v17
	v_lshl_or_b32 v2, v1, 5, v2
	v_add_u32_e32 v22, 0x90, v2
	v_subrev_u32_e32 v2, s25, v17
	v_add_u32_e32 v23, 1, v2
	s_mov_b64 s[40:41], 0
	v_mov_b32_e32 v24, 0xff7fffff
	s_mov_b32 s50, 0x7f800000
	s_movk_i32 s51, 0x7fff
	v_mbcnt_hi_u32_b32 v25, -1, v15
	v_mov_b32_e32 v19, 0xff7fffff
	v_mov_b32_e32 v26, v1
	s_branch .LBB289_13
.LBB289_11:                             ;   in Loop: Header=BB289_13 Depth=1
	s_or_b64 exec, exec, s[42:43]
.LBB289_12:                             ;   in Loop: Header=BB289_13 Depth=1
	s_or_b64 exec, exec, s[10:11]
	v_add_u32_e32 v26, 2, v26
	v_cmp_le_i32_e64 s[8:9], s20, v26
	v_lshl_add_u64 v[10:11], v[10:11], 0, 8
	v_add_u32_e32 v21, 16, v21
	s_or_b64 s[40:41], s[8:9], s[40:41]
	v_add_u32_e32 v22, 64, v22
	s_andn2_b64 exec, exec, s[40:41]
	s_cbranch_execz .LBB289_50
.LBB289_13:                             ; =>This Inner Loop Header: Depth=1
	v_mul_hi_u32 v2, v21, s33
	s_waitcnt lgkmcnt(0)
	v_mul_lo_u32 v3, v2, s27
	v_sub_u32_e32 v3, v21, v3
	v_add_u32_e32 v4, 1, v2
	v_cmp_le_u32_e64 s[8:9], s27, v3
	s_nop 1
	v_cndmask_b32_e64 v2, v2, v4, s[8:9]
	v_subrev_u32_e32 v4, s27, v3
	v_cndmask_b32_e64 v3, v3, v4, s[8:9]
	v_add_u32_e32 v4, 1, v2
	v_cmp_le_u32_e64 s[8:9], s27, v3
	s_nop 1
	v_cndmask_b32_e64 v2, v2, v4, s[8:9]
	v_xor_b32_e32 v2, s23, v2
	v_subrev_u32_e32 v2, s23, v2
	v_add_u32_e32 v3, s38, v2
	v_sub_u32_e32 v5, 0, v3
	v_ashrrev_i32_e32 v4, 31, v3
	v_max_i32_e32 v3, v3, v5
	v_mul_hi_u32 v5, v3, v20
	v_mul_lo_u32 v5, v5, s48
	v_sub_u32_e32 v3, v3, v5
	v_subrev_u32_e32 v5, s48, v3
	v_cmp_le_u32_e64 s[8:9], s48, v3
	v_cmp_ge_i32_e64 s[10:11], s47, v2
	s_nop 0
	v_cndmask_b32_e64 v3, v3, v5, s[8:9]
	v_subrev_u32_e32 v5, s48, v3
	v_cmp_le_u32_e64 s[8:9], s48, v3
	s_nop 1
	v_cndmask_b32_e64 v3, v3, v5, s[8:9]
	v_xor_b32_e32 v3, v3, v4
	v_sub_u32_e32 v3, v3, v4
	v_cmp_ne_u32_e64 s[8:9], 0, v3
	s_and_b64 s[8:9], s[8:9], s[10:11]
	s_and_b64 s[42:43], vcc, s[8:9]
	s_and_saveexec_b64 s[10:11], s[42:43]
	s_cbranch_execz .LBB289_15
; %bb.14:                               ;   in Loop: Header=BB289_13 Depth=1
	ds_write_b32 v22, v24
.LBB289_15:                             ;   in Loop: Header=BB289_13 Depth=1
	s_or_b64 exec, exec, s[10:11]
	s_xor_b64 s[8:9], s[8:9], -1
	s_and_saveexec_b64 s[10:11], s[8:9]
	s_cbranch_execz .LBB289_12
; %bb.16:                               ;   in Loop: Header=BB289_13 Depth=1
	global_load_dword v2, v[10:11], off
	s_load_dword s52, s[12:13], 0x0
	s_waitcnt vmcnt(0)
	v_mad_i64_i32 v[2:3], s[8:9], v2, s49, v[8:9]
	v_lshl_add_u64 v[12:13], v[2:3], 0, v[6:7]
	global_load_ubyte v2, v[12:13], off
	s_waitcnt vmcnt(0)
	v_cvt_f32_fp8_sdwa v27, v2 src0_sel:BYTE_0
	ds_read_b128 v[2:5], v18
	s_waitcnt lgkmcnt(0)
	v_mul_f32_e32 v28, s52, v27
	v_and_b32_e32 v27, 0x7f800000, v28
	v_cmp_ne_u32_e64 s[8:9], s50, v27
                                        ; implicit-def: $vgpr27
	s_and_saveexec_b64 s[42:43], s[8:9]
	s_xor_b64 s[8:9], exec, s[42:43]
; %bb.17:                               ;   in Loop: Header=BB289_13 Depth=1
	v_bfe_u32 v27, v28, 16, 1
	v_add3_u32 v27, v28, v27, s51
                                        ; implicit-def: $vgpr28
; %bb.18:                               ;   in Loop: Header=BB289_13 Depth=1
	s_andn2_saveexec_b64 s[42:43], s[8:9]
; %bb.19:                               ;   in Loop: Header=BB289_13 Depth=1
	v_or_b32_e32 v27, 0x10000, v28
	v_cmp_eq_u32_sdwa s[8:9], v28, v7 src0_sel:WORD_0 src1_sel:DWORD
	s_nop 1
	v_cndmask_b32_e64 v27, v27, v28, s[8:9]
; %bb.20:                               ;   in Loop: Header=BB289_13 Depth=1
	s_or_b64 exec, exec, s[42:43]
	global_load_ubyte v28, v[12:13], off offset:8
	s_waitcnt vmcnt(0)
	v_cvt_f32_fp8_sdwa v28, v28 src0_sel:BYTE_0
	s_nop 0
	v_mul_f32_e32 v29, s52, v28
	v_and_b32_e32 v28, 0x7f800000, v29
	v_cmp_ne_u32_e64 s[8:9], s50, v28
                                        ; implicit-def: $vgpr28
	s_and_saveexec_b64 s[42:43], s[8:9]
	s_xor_b64 s[8:9], exec, s[42:43]
; %bb.21:                               ;   in Loop: Header=BB289_13 Depth=1
	v_bfe_u32 v28, v29, 16, 1
	v_add3_u32 v28, v29, v28, s51
                                        ; implicit-def: $vgpr29
; %bb.22:                               ;   in Loop: Header=BB289_13 Depth=1
	s_andn2_saveexec_b64 s[42:43], s[8:9]
; %bb.23:                               ;   in Loop: Header=BB289_13 Depth=1
	v_or_b32_e32 v28, 0x10000, v29
	v_cmp_eq_u32_sdwa s[8:9], v29, v7 src0_sel:WORD_0 src1_sel:DWORD
	s_nop 1
	v_cndmask_b32_e64 v28, v28, v29, s[8:9]
; %bb.24:                               ;   in Loop: Header=BB289_13 Depth=1
	s_or_b64 exec, exec, s[42:43]
	global_load_ubyte v29, v[12:13], off offset:128
	s_waitcnt vmcnt(0)
	v_cvt_f32_fp8_sdwa v29, v29 src0_sel:BYTE_0
	s_nop 0
	v_mul_f32_e32 v30, s52, v29
	v_and_b32_e32 v29, 0x7f800000, v30
	v_cmp_ne_u32_e64 s[8:9], s50, v29
                                        ; implicit-def: $vgpr29
	s_and_saveexec_b64 s[42:43], s[8:9]
	s_xor_b64 s[8:9], exec, s[42:43]
; %bb.25:                               ;   in Loop: Header=BB289_13 Depth=1
	v_bfe_u32 v29, v30, 16, 1
	v_add3_u32 v29, v30, v29, s51
                                        ; implicit-def: $vgpr30
; %bb.26:                               ;   in Loop: Header=BB289_13 Depth=1
	s_andn2_saveexec_b64 s[42:43], s[8:9]
; %bb.27:                               ;   in Loop: Header=BB289_13 Depth=1
	v_or_b32_e32 v29, 0x10000, v30
	v_cmp_eq_u32_sdwa s[8:9], v30, v7 src0_sel:WORD_0 src1_sel:DWORD
	s_nop 1
	v_cndmask_b32_e64 v29, v29, v30, s[8:9]
; %bb.28:                               ;   in Loop: Header=BB289_13 Depth=1
	s_or_b64 exec, exec, s[42:43]
	global_load_ubyte v30, v[12:13], off offset:136
	s_waitcnt vmcnt(0)
	v_cvt_f32_fp8_sdwa v30, v30 src0_sel:BYTE_0
	s_nop 0
	v_mul_f32_e32 v31, s52, v30
	v_and_b32_e32 v30, 0x7f800000, v31
	v_cmp_ne_u32_e64 s[8:9], s50, v30
                                        ; implicit-def: $vgpr30
	s_and_saveexec_b64 s[42:43], s[8:9]
	s_xor_b64 s[8:9], exec, s[42:43]
; %bb.29:                               ;   in Loop: Header=BB289_13 Depth=1
	v_bfe_u32 v30, v31, 16, 1
	v_add3_u32 v30, v31, v30, s51
                                        ; implicit-def: $vgpr31
; %bb.30:                               ;   in Loop: Header=BB289_13 Depth=1
	s_andn2_saveexec_b64 s[42:43], s[8:9]
; %bb.31:                               ;   in Loop: Header=BB289_13 Depth=1
	v_or_b32_e32 v30, 0x10000, v31
	v_cmp_eq_u32_sdwa s[8:9], v31, v7 src0_sel:WORD_0 src1_sel:DWORD
	s_nop 1
	v_cndmask_b32_e64 v30, v30, v31, s[8:9]
; %bb.32:                               ;   in Loop: Header=BB289_13 Depth=1
	s_or_b64 exec, exec, s[42:43]
	global_load_ubyte v31, v[12:13], off offset:256
	s_waitcnt vmcnt(0)
	v_cvt_f32_fp8_sdwa v31, v31 src0_sel:BYTE_0
	s_nop 0
	v_mul_f32_e32 v32, s52, v31
	v_and_b32_e32 v31, 0x7f800000, v32
	v_cmp_ne_u32_e64 s[8:9], s50, v31
                                        ; implicit-def: $vgpr31
	s_and_saveexec_b64 s[42:43], s[8:9]
	s_xor_b64 s[8:9], exec, s[42:43]
; %bb.33:                               ;   in Loop: Header=BB289_13 Depth=1
	v_bfe_u32 v31, v32, 16, 1
	v_add3_u32 v31, v32, v31, s51
                                        ; implicit-def: $vgpr32
; %bb.34:                               ;   in Loop: Header=BB289_13 Depth=1
	s_andn2_saveexec_b64 s[42:43], s[8:9]
; %bb.35:                               ;   in Loop: Header=BB289_13 Depth=1
	v_or_b32_e32 v31, 0x10000, v32
	v_cmp_eq_u32_sdwa s[8:9], v32, v7 src0_sel:WORD_0 src1_sel:DWORD
	s_nop 1
	v_cndmask_b32_e64 v31, v31, v32, s[8:9]
; %bb.36:                               ;   in Loop: Header=BB289_13 Depth=1
	s_or_b64 exec, exec, s[42:43]
	global_load_ubyte v32, v[12:13], off offset:264
	s_waitcnt vmcnt(0)
	v_cvt_f32_fp8_sdwa v32, v32 src0_sel:BYTE_0
	s_nop 0
	v_mul_f32_e32 v33, s52, v32
	v_and_b32_e32 v32, 0x7f800000, v33
	v_cmp_ne_u32_e64 s[8:9], s50, v32
                                        ; implicit-def: $vgpr32
	s_and_saveexec_b64 s[42:43], s[8:9]
	s_xor_b64 s[8:9], exec, s[42:43]
; %bb.37:                               ;   in Loop: Header=BB289_13 Depth=1
	v_bfe_u32 v32, v33, 16, 1
	v_add3_u32 v32, v33, v32, s51
                                        ; implicit-def: $vgpr33
; %bb.38:                               ;   in Loop: Header=BB289_13 Depth=1
	s_andn2_saveexec_b64 s[42:43], s[8:9]
; %bb.39:                               ;   in Loop: Header=BB289_13 Depth=1
	v_or_b32_e32 v32, 0x10000, v33
	v_cmp_eq_u32_sdwa s[8:9], v33, v7 src0_sel:WORD_0 src1_sel:DWORD
	s_nop 1
	v_cndmask_b32_e64 v32, v32, v33, s[8:9]
; %bb.40:                               ;   in Loop: Header=BB289_13 Depth=1
	s_or_b64 exec, exec, s[42:43]
	global_load_ubyte v33, v[12:13], off offset:384
	s_waitcnt vmcnt(0)
	v_cvt_f32_fp8_sdwa v33, v33 src0_sel:BYTE_0
	s_nop 0
	v_mul_f32_e32 v34, s52, v33
	v_and_b32_e32 v33, 0x7f800000, v34
	v_cmp_ne_u32_e64 s[8:9], s50, v33
                                        ; implicit-def: $vgpr33
	s_and_saveexec_b64 s[42:43], s[8:9]
	s_xor_b64 s[8:9], exec, s[42:43]
; %bb.41:                               ;   in Loop: Header=BB289_13 Depth=1
	v_bfe_u32 v33, v34, 16, 1
	v_add3_u32 v33, v34, v33, s51
                                        ; implicit-def: $vgpr34
; %bb.42:                               ;   in Loop: Header=BB289_13 Depth=1
	s_andn2_saveexec_b64 s[42:43], s[8:9]
; %bb.43:                               ;   in Loop: Header=BB289_13 Depth=1
	v_or_b32_e32 v33, 0x10000, v34
	v_cmp_eq_u32_sdwa s[8:9], v34, v7 src0_sel:WORD_0 src1_sel:DWORD
	s_nop 1
	v_cndmask_b32_e64 v33, v33, v34, s[8:9]
; %bb.44:                               ;   in Loop: Header=BB289_13 Depth=1
	s_or_b64 exec, exec, s[42:43]
	global_load_ubyte v12, v[12:13], off offset:392
	s_waitcnt vmcnt(0)
	v_cvt_f32_fp8_sdwa v12, v12 src0_sel:BYTE_0
	s_nop 0
	v_mul_f32_e32 v13, s52, v12
	v_and_b32_e32 v12, 0x7f800000, v13
	v_cmp_ne_u32_e64 s[8:9], s50, v12
                                        ; implicit-def: $vgpr12
	s_and_saveexec_b64 s[42:43], s[8:9]
	s_xor_b64 s[8:9], exec, s[42:43]
; %bb.45:                               ;   in Loop: Header=BB289_13 Depth=1
	v_bfe_u32 v12, v13, 16, 1
	v_add3_u32 v12, v13, v12, s51
                                        ; implicit-def: $vgpr13
; %bb.46:                               ;   in Loop: Header=BB289_13 Depth=1
	s_andn2_saveexec_b64 s[42:43], s[8:9]
; %bb.47:                               ;   in Loop: Header=BB289_13 Depth=1
	v_or_b32_e32 v12, 0x10000, v13
	v_cmp_eq_u32_sdwa s[8:9], v13, v7 src0_sel:WORD_0 src1_sel:DWORD
	s_nop 1
	v_cndmask_b32_e64 v12, v12, v13, s[8:9]
; %bb.48:                               ;   in Loop: Header=BB289_13 Depth=1
	s_or_b64 exec, exec, s[42:43]
	v_and_b32_e32 v13, 0xffff0000, v33
	v_and_b32_e32 v28, 0xffff0000, v28
	v_lshlrev_b32_e32 v33, 16, v2
	v_and_b32_e32 v2, 0xffff0000, v2
	v_and_b32_e32 v27, 0xffff0000, v27
	v_mul_f32_e32 v2, v2, v28
	v_and_b32_e32 v29, 0xffff0000, v29
	v_lshlrev_b32_e32 v34, 16, v3
	v_fmac_f32_e32 v2, v33, v27
	v_and_b32_e32 v30, 0xffff0000, v30
	v_and_b32_e32 v3, 0xffff0000, v3
	v_fmac_f32_e32 v2, v34, v29
	v_and_b32_e32 v31, 0xffff0000, v31
	v_lshlrev_b32_e32 v35, 16, v4
	v_and_b32_e32 v37, 64, v25
	v_fmac_f32_e32 v2, v3, v30
	v_and_b32_e32 v32, 0xffff0000, v32
	v_and_b32_e32 v4, 0xffff0000, v4
	v_add_u32_e32 v37, 64, v37
	v_xor_b32_e32 v38, 4, v25
	v_fmac_f32_e32 v2, v35, v31
	v_lshlrev_b32_e32 v36, 16, v5
	v_cmp_lt_i32_e64 s[8:9], v38, v37
	v_fmac_f32_e32 v2, v4, v32
	v_and_b32_e32 v5, 0xffff0000, v5
	v_cndmask_b32_e64 v38, v25, v38, s[8:9]
	v_and_b32_e32 v12, 0xffff0000, v12
	v_fmac_f32_e32 v2, v36, v13
	v_lshlrev_b32_e32 v38, 2, v38
	v_fmac_f32_e32 v2, v5, v12
	ds_bpermute_b32 v3, v38, v2
	v_xor_b32_e32 v4, 2, v25
	v_cmp_lt_i32_e64 s[8:9], v4, v37
	s_waitcnt lgkmcnt(0)
	v_add_f32_e32 v2, v2, v3
	v_cndmask_b32_e64 v4, v25, v4, s[8:9]
	v_lshlrev_b32_e32 v4, 2, v4
	ds_bpermute_b32 v3, v4, v2
	v_xor_b32_e32 v4, 1, v25
	v_cmp_lt_i32_e64 s[8:9], v4, v37
	s_waitcnt lgkmcnt(0)
	v_add_f32_e32 v2, v2, v3
	v_cndmask_b32_e64 v4, v25, v4, s[8:9]
	v_lshlrev_b32_e32 v4, 2, v4
	ds_bpermute_b32 v3, v4, v2
	s_and_saveexec_b64 s[42:43], vcc
	s_cbranch_execz .LBB289_11
; %bb.49:                               ;   in Loop: Header=BB289_13 Depth=1
	v_add_u32_e32 v4, v23, v21
	v_cvt_f32_i32_e32 v4, v4
	s_waitcnt lgkmcnt(0)
	v_add_f32_e32 v2, v2, v3
	v_add_u32_e32 v5, v17, v21
	v_cmp_gt_i32_e64 s[8:9], s25, v5
	v_mul_f32_e32 v3, s46, v4
	v_cndmask_b32_e64 v3, 0, v3, s[0:1]
	v_fmac_f32_e32 v3, s39, v2
	v_cndmask_b32_e64 v2, 0, v3, s[8:9]
	ds_write_b32 v22, v2
	v_max_f32_e32 v2, v19, v19
	v_max_f32_e32 v2, v2, v3
	v_cndmask_b32_e64 v19, v19, v2, s[8:9]
	s_branch .LBB289_11
.LBB289_50:
	s_or_b64 exec, exec, s[40:41]
.LBB289_51:
	s_or_b64 exec, exec, s[18:19]
	v_mbcnt_hi_u32_b32 v2, -1, v15
	s_waitcnt lgkmcnt(0)
	v_and_b32_e32 v3, 64, v2
	v_add_u32_e32 v3, 64, v3
	v_xor_b32_e32 v4, 32, v2
	v_cmp_lt_i32_e32 vcc, v4, v3
	v_xor_b32_e32 v7, 16, v2
	v_max_f32_e32 v6, v19, v19
	v_cndmask_b32_e32 v4, v2, v4, vcc
	v_lshlrev_b32_e32 v5, 2, v4
	ds_bpermute_b32 v4, v5, v19
	v_cmp_lt_i32_e32 vcc, v7, v3
	v_xor_b32_e32 v8, 8, v2
	v_and_b32_e32 v17, 63, v0
	s_waitcnt lgkmcnt(0)
	v_max_f32_e32 v4, v4, v4
	v_max_f32_e32 v4, v6, v4
	v_cndmask_b32_e32 v6, v2, v7, vcc
	v_lshlrev_b32_e32 v7, 2, v6
	ds_bpermute_b32 v6, v7, v4
	v_cmp_lt_i32_e32 vcc, v8, v3
	s_waitcnt lgkmcnt(0)
	v_max_f32_e32 v6, v6, v6
	v_max_f32_e32 v6, v4, v6
	v_cndmask_b32_e32 v4, v2, v8, vcc
	v_lshlrev_b32_e32 v9, 2, v4
	ds_bpermute_b32 v8, v9, v6
	v_cmp_eq_u32_e32 vcc, 0, v17
	v_lshlrev_b32_e32 v4, 2, v1
	s_and_saveexec_b64 s[0:1], vcc
	s_cbranch_execz .LBB289_53
; %bb.52:
	s_waitcnt lgkmcnt(0)
	v_max_f32_e32 v8, v8, v8
	v_max_f32_e32 v6, v6, v6
	;; [unrolled: 1-line block ×3, first 2 shown]
	ds_write_b32 v4, v6 offset:128
.LBB289_53:
	s_or_b64 exec, exec, s[0:1]
	v_cmp_gt_u32_e64 s[0:1], 2, v17
	v_mov_b32_e32 v10, 0xff7fffff
	v_lshlrev_b32_e32 v6, 2, v17
	s_waitcnt lgkmcnt(0)
	s_barrier
	s_and_saveexec_b64 s[8:9], s[0:1]
	s_cbranch_execz .LBB289_55
; %bb.54:
	ds_read_b32 v10, v6 offset:128
.LBB289_55:
	s_or_b64 exec, exec, s[8:9]
	v_xor_b32_e32 v8, 1, v2
	v_cmp_lt_i32_e64 s[8:9], v8, v3
	v_lshlrev_b32_e32 v12, 2, v2
	s_nop 0
	v_cndmask_b32_e64 v8, v2, v8, s[8:9]
	v_lshlrev_b32_e32 v8, 2, v8
	s_waitcnt lgkmcnt(0)
	ds_bpermute_b32 v11, v8, v10
	v_max_f32_e32 v10, v10, v10
	s_lshl_b32 s8, s20, 3
	s_min_i32 s39, s8, s25
	v_cmp_gt_i32_e64 s[8:9], s39, v0
	s_waitcnt lgkmcnt(0)
	v_max_f32_e32 v11, v11, v11
	v_max_f32_e32 v11, v10, v11
	v_and_b32_e32 v10, 0x100, v12
	ds_bpermute_b32 v12, v10, v11
	v_mov_b32_e32 v11, 0
	s_and_saveexec_b64 s[12:13], s[8:9]
	s_cbranch_execz .LBB289_59
; %bb.56:
	v_mov_b32_e32 v11, 0x90
	v_lshl_add_u32 v13, v0, 2, v11
	s_mov_b64 s[18:19], 0
	v_mov_b32_e32 v11, 0
	v_mov_b32_e32 v15, v0
.LBB289_57:                             ; =>This Inner Loop Header: Depth=1
	ds_read_b32 v18, v13
	v_add_u32_e32 v15, 0x80, v15
	v_cmp_le_i32_e64 s[10:11], s39, v15
	s_or_b64 s[18:19], s[10:11], s[18:19]
	s_waitcnt lgkmcnt(0)
	v_sub_f32_e32 v18, v18, v12
	v_mul_f32_e32 v18, 0x3fb8aa3b, v18
	v_exp_f32_e32 v18, v18
	ds_write_b32 v13, v18
	v_add_f32_e32 v11, v11, v18
	v_add_u32_e32 v13, 0x200, v13
	s_andn2_b64 exec, exec, s[18:19]
	s_cbranch_execnz .LBB289_57
; %bb.58:
	s_or_b64 exec, exec, s[18:19]
.LBB289_59:
	s_or_b64 exec, exec, s[12:13]
	ds_bpermute_b32 v5, v5, v11
	s_waitcnt lgkmcnt(0)
	v_add_f32_e32 v5, v11, v5
	ds_bpermute_b32 v7, v7, v5
	s_waitcnt lgkmcnt(0)
	v_add_f32_e32 v5, v5, v7
	ds_bpermute_b32 v7, v9, v5
	v_xor_b32_e32 v9, 4, v2
	v_cmp_lt_i32_e64 s[10:11], v9, v3
	s_waitcnt lgkmcnt(0)
	v_add_f32_e32 v5, v5, v7
	v_cndmask_b32_e64 v9, v2, v9, s[10:11]
	v_lshlrev_b32_e32 v9, 2, v9
	ds_bpermute_b32 v7, v9, v5
	v_xor_b32_e32 v9, 2, v2
	v_cmp_lt_i32_e64 s[10:11], v9, v3
	s_waitcnt lgkmcnt(0)
	v_add_f32_e32 v3, v5, v7
	v_cndmask_b32_e64 v2, v2, v9, s[10:11]
	v_lshlrev_b32_e32 v2, 2, v2
	ds_bpermute_b32 v2, v2, v3
	s_waitcnt lgkmcnt(0)
	v_add_f32_e32 v2, v3, v2
	ds_bpermute_b32 v3, v8, v2
	s_waitcnt lgkmcnt(0)
	v_add_f32_e32 v2, v2, v3
	s_and_saveexec_b64 s[10:11], vcc
	s_cbranch_execz .LBB289_61
; %bb.60:
	ds_write_b32 v4, v2 offset:136
.LBB289_61:
	s_or_b64 exec, exec, s[10:11]
	s_waitcnt lgkmcnt(0)
	s_barrier
	s_and_saveexec_b64 s[10:11], s[0:1]
	s_cbranch_execz .LBB289_63
; %bb.62:
	ds_read_b32 v2, v6 offset:136
.LBB289_63:
	s_or_b64 exec, exec, s[10:11]
	s_waitcnt lgkmcnt(0)
	ds_bpermute_b32 v3, v8, v2
	s_waitcnt lgkmcnt(0)
	v_add_f32_e32 v2, v2, v3
	ds_bpermute_b32 v2, v10, v2
	s_and_saveexec_b64 s[0:1], s[8:9]
	s_cbranch_execz .LBB289_76
; %bb.64:
	s_waitcnt lgkmcnt(0)
	v_add_f32_e32 v2, 0x358637bd, v2
	v_div_scale_f32 v3, s[8:9], v2, v2, 1.0
	v_rcp_f32_e32 v4, v3
	v_div_scale_f32 v5, vcc, 1.0, v2, 1.0
	s_movk_i32 s8, 0x7f
	v_fma_f32 v6, -v3, v4, 1.0
	v_fmac_f32_e32 v4, v6, v4
	v_mul_f32_e32 v6, v5, v4
	v_fma_f32 v7, -v3, v6, v5
	v_fmac_f32_e32 v6, v7, v4
	v_fma_f32 v3, -v3, v6, v5
	v_div_fmas_f32 v3, v3, v4, v6
	v_xad_u32 v4, v0, -1, s39
	v_div_fixup_f32 v2, v3, v2, 1.0
	v_cmp_lt_u32_e32 vcc, s8, v4
	s_mov_b64 s[10:11], -1
	v_mov_b32_e32 v3, v0
	s_and_saveexec_b64 s[8:9], vcc
	s_cbranch_execz .LBB289_73
; %bb.65:
	v_lshrrev_b32_e32 v4, 7, v4
	v_add_u32_e32 v6, -1, v4
	v_lshrrev_b32_e32 v5, 1, v6
	v_mov_b32_e32 v3, v2
	v_add_u32_e32 v5, 1, v5
	v_cmp_lt_u32_e32 vcc, 13, v6
	v_mov_b32_e32 v8, 0
	s_and_saveexec_b64 s[10:11], vcc
	s_cbranch_execz .LBB289_69
; %bb.66:
	v_mov_b32_e32 v7, 0x90
	v_and_b32_e32 v6, -8, v5
	v_lshl_add_u32 v7, v0, 2, v7
	s_mov_b32 s18, 0
	s_mov_b64 s[12:13], 0
.LBB289_67:                             ; =>This Inner Loop Header: Depth=1
	ds_read2st64_b32 v[8:9], v7 offset1:2
	ds_read2st64_b32 v[10:11], v7 offset0:4 offset1:6
	ds_read2st64_b32 v[12:13], v7 offset0:8 offset1:10
	;; [unrolled: 1-line block ×3, first 2 shown]
	v_add_u32_e32 v6, -8, v6
	s_waitcnt lgkmcnt(3)
	v_pk_mul_f32 v[8:9], v[2:3], v[8:9]
	s_waitcnt lgkmcnt(2)
	v_pk_mul_f32 v[10:11], v[2:3], v[10:11]
	ds_write2st64_b32 v7, v8, v9 offset1:2
	ds_write2st64_b32 v7, v10, v11 offset0:4 offset1:6
	ds_read2st64_b32 v[10:11], v7 offset0:16 offset1:18
	s_waitcnt lgkmcnt(4)
	v_pk_mul_f32 v[8:9], v[2:3], v[12:13]
	ds_write2st64_b32 v7, v8, v9 offset0:8 offset1:10
	s_waitcnt lgkmcnt(4)
	v_pk_mul_f32 v[8:9], v[2:3], v[18:19]
	ds_write2st64_b32 v7, v8, v9 offset0:12 offset1:14
	ds_read2st64_b32 v[8:9], v7 offset0:20 offset1:22
	s_waitcnt lgkmcnt(3)
	v_pk_mul_f32 v[10:11], v[2:3], v[10:11]
	ds_read2st64_b32 v[12:13], v7 offset0:24 offset1:26
	ds_write2st64_b32 v7, v10, v11 offset0:16 offset1:18
	ds_read2st64_b32 v[10:11], v7 offset0:28 offset1:30
	s_waitcnt lgkmcnt(3)
	v_pk_mul_f32 v[8:9], v[2:3], v[8:9]
	ds_write2st64_b32 v7, v8, v9 offset0:20 offset1:22
	s_waitcnt lgkmcnt(3)
	v_pk_mul_f32 v[8:9], v[2:3], v[12:13]
	ds_write2st64_b32 v7, v8, v9 offset0:24 offset1:26
	s_waitcnt lgkmcnt(2)
	v_pk_mul_f32 v[8:9], v[2:3], v[10:11]
	s_add_i32 s18, s18, 16
	v_cmp_eq_u32_e32 vcc, 0, v6
	ds_write2st64_b32 v7, v8, v9 offset0:28 offset1:30
	v_add_u32_e32 v7, 0x2000, v7
	s_or_b64 s[12:13], vcc, s[12:13]
	v_mov_b32_e32 v8, s18
	s_andn2_b64 exec, exec, s[12:13]
	s_cbranch_execnz .LBB289_67
; %bb.68:
	s_or_b64 exec, exec, s[12:13]
.LBB289_69:
	s_or_b64 exec, exec, s[10:11]
	v_and_b32_e32 v5, 7, v5
	v_cmp_ne_u32_e32 vcc, 0, v5
	s_and_saveexec_b64 s[10:11], vcc
	s_cbranch_execz .LBB289_72
; %bb.70:
	v_lshlrev_b32_e32 v6, 9, v8
	v_lshlrev_b32_e32 v7, 2, v0
	s_movk_i32 s12, 0x90
	v_add3_u32 v6, v6, v7, s12
	s_mov_b64 s[12:13], 0
.LBB289_71:                             ; =>This Inner Loop Header: Depth=1
	ds_read2st64_b32 v[8:9], v6 offset1:2
	v_add_u32_e32 v5, -1, v5
	v_cmp_eq_u32_e32 vcc, 0, v5
	s_or_b64 s[12:13], vcc, s[12:13]
	s_waitcnt lgkmcnt(0)
	v_pk_mul_f32 v[8:9], v[2:3], v[8:9]
	ds_write2st64_b32 v6, v8, v9 offset1:2
	v_add_u32_e32 v6, 0x400, v6
	s_andn2_b64 exec, exec, s[12:13]
	s_cbranch_execnz .LBB289_71
.LBB289_72:
	s_or_b64 exec, exec, s[10:11]
	v_add_u32_e32 v4, 1, v4
	v_and_b32_e32 v5, 0x3fffffe, v4
	v_cmp_ne_u32_e32 vcc, v4, v5
	v_lshl_add_u32 v3, v5, 7, v0
	s_orn2_b64 s[10:11], vcc, exec
.LBB289_73:
	s_or_b64 exec, exec, s[8:9]
	s_and_b64 exec, exec, s[10:11]
	s_cbranch_execz .LBB289_76
; %bb.74:
	v_mov_b32_e32 v4, 0x90
	v_lshl_add_u32 v4, v3, 2, v4
	s_mov_b64 s[8:9], 0
.LBB289_75:                             ; =>This Inner Loop Header: Depth=1
	ds_read_b32 v5, v4
	v_add_u32_e32 v3, 0x80, v3
	v_cmp_le_i32_e32 vcc, s39, v3
	s_or_b64 s[8:9], vcc, s[8:9]
	s_waitcnt lgkmcnt(0)
	v_mul_f32_e32 v5, v2, v5
	ds_write_b32 v4, v5
	v_add_u32_e32 v4, 0x200, v4
	s_andn2_b64 exec, exec, s[8:9]
	s_cbranch_execnz .LBB289_75
.LBB289_76:
	s_or_b64 exec, exec, s[0:1]
	v_mov_b32_e32 v10, 0
	s_waitcnt lgkmcnt(0)
	s_barrier
	s_and_saveexec_b64 s[8:9], s[2:3]
	s_cbranch_execz .LBB289_180
; %bb.77:
	s_sub_i32 s12, s44, s21
	s_ashr_i32 s1, s45, 31
	s_add_u32 s0, s36, s45
	s_addc_u32 s1, s37, s1
	s_abs_i32 s13, s22
	v_cvt_f32_u32_e32 v2, s13
	v_lshlrev_b32_e32 v10, 3, v17
	v_mov_b32_e32 v11, 0
	v_lshl_add_u64 v[12:13], s[0:1], 0, v[10:11]
	v_rcp_iflag_f32_e32 v2, v2
	s_sub_i32 s0, 0, s13
	s_add_i32 s18, s20, -1
	v_and_b32_e32 v10, 60, v14
	v_mul_f32_e32 v2, 0x4f7ffffe, v2
	v_cvt_u32_f32_e32 v2, v2
	s_mov_b64 s[2:3], 0
	s_mov_b32 s19, 0x7f800000
	s_movk_i32 s21, 0x7fff
	v_mul_lo_u32 v3, s0, v2
	s_lshl_b64 s[0:1], s[34:35], 2
	v_mul_hi_u32 v3, v2, v3
	s_add_u32 s0, s30, s0
	v_add_u32_e32 v18, v2, v3
	s_addc_u32 s1, s31, s1
	v_mov_b32_e32 v2, 0x90
	v_lshl_add_u64 v[14:15], s[0:1], 0, v[10:11]
	v_lshl_add_u32 v19, v1, 5, v2
	v_mov_b32_e32 v10, 0
	s_branch .LBB289_80
.LBB289_78:                             ;   in Loop: Header=BB289_80 Depth=1
	s_or_b64 exec, exec, s[10:11]
	v_and_b32_e32 v7, 0xffff0000, v6
	v_and_b32_e32 v6, 0xffff0000, v8
	;; [unrolled: 1-line block ×8, first 2 shown]
	v_pk_add_f32 v[2:3], v[4:5], v[8:9]
	v_pk_add_f32 v[4:5], v[22:23], v[6:7]
	v_add_f32_e32 v2, v2, v3
	v_add_f32_e32 v2, v2, v4
	;; [unrolled: 1-line block ×4, first 2 shown]
.LBB289_79:                             ;   in Loop: Header=BB289_80 Depth=1
	s_or_b64 exec, exec, s[0:1]
	v_add_u32_e32 v1, 2, v1
	v_cmp_le_i32_e32 vcc, s20, v1
	v_lshl_add_u64 v[14:15], v[14:15], 0, 8
	v_add_u32_e32 v16, 16, v16
	s_or_b64 s[2:3], vcc, s[2:3]
	v_add_u32_e32 v19, 64, v19
	s_andn2_b64 exec, exec, s[2:3]
	s_cbranch_execz .LBB289_179
.LBB289_80:                             ; =>This Inner Loop Header: Depth=1
	v_mul_hi_u32 v2, v16, s33
	v_mul_lo_u32 v3, v2, s27
	v_sub_u32_e32 v3, v16, v3
	v_add_u32_e32 v4, 1, v2
	v_cmp_le_u32_e32 vcc, s27, v3
	s_nop 1
	v_cndmask_b32_e32 v2, v2, v4, vcc
	v_subrev_u32_e32 v4, s27, v3
	v_cndmask_b32_e32 v3, v3, v4, vcc
	v_add_u32_e32 v4, 1, v2
	v_cmp_le_u32_e32 vcc, s27, v3
	s_nop 1
	v_cndmask_b32_e32 v2, v2, v4, vcc
	v_xor_b32_e32 v2, s23, v2
	v_subrev_u32_e32 v2, s23, v2
	v_add_u32_e32 v3, s38, v2
	v_sub_u32_e32 v5, 0, v3
	v_ashrrev_i32_e32 v4, 31, v3
	v_max_i32_e32 v3, v3, v5
	v_mul_hi_u32 v5, v3, v18
	v_mul_lo_u32 v5, v5, s13
	v_sub_u32_e32 v3, v3, v5
	v_subrev_u32_e32 v5, s13, v3
	v_cmp_le_u32_e32 vcc, s13, v3
	v_cmp_lt_i32_e64 s[0:1], s12, v2
	s_nop 0
	v_cndmask_b32_e32 v3, v3, v5, vcc
	v_subrev_u32_e32 v5, s13, v3
	v_cmp_le_u32_e32 vcc, s13, v3
	s_nop 1
	v_cndmask_b32_e32 v3, v3, v5, vcc
	v_xor_b32_e32 v3, v3, v4
	v_sub_u32_e32 v3, v3, v4
	v_cmp_eq_u32_e32 vcc, 0, v3
	s_or_b64 s[10:11], vcc, s[0:1]
	s_and_saveexec_b64 s[0:1], s[10:11]
	s_cbranch_execz .LBB289_79
; %bb.81:                               ;   in Loop: Header=BB289_80 Depth=1
	global_load_dword v24, v[14:15], off
	ds_read2_b64 v[6:9], v19 offset1:1
	ds_read2_b64 v[2:5], v19 offset0:2 offset1:3
                                        ; implicit-def: $vgpr23
	s_waitcnt lgkmcnt(1)
	v_and_b32_e32 v20, 0x7f800000, v6
	v_cmp_ne_u32_e32 vcc, s19, v20
	s_and_saveexec_b64 s[10:11], vcc
	s_xor_b64 s[10:11], exec, s[10:11]
; %bb.82:                               ;   in Loop: Header=BB289_80 Depth=1
	v_bfe_u32 v20, v6, 16, 1
	v_add3_u32 v23, v6, v20, s21
; %bb.83:                               ;   in Loop: Header=BB289_80 Depth=1
	s_andn2_saveexec_b64 s[10:11], s[10:11]
; %bb.84:                               ;   in Loop: Header=BB289_80 Depth=1
	v_or_b32_e32 v20, 0x10000, v6
	v_cmp_eq_u32_sdwa vcc, v6, v11 src0_sel:WORD_0 src1_sel:DWORD
	s_nop 1
	v_cndmask_b32_e32 v23, v20, v6, vcc
; %bb.85:                               ;   in Loop: Header=BB289_80 Depth=1
	s_or_b64 exec, exec, s[10:11]
	v_and_b32_e32 v6, 0x7f800000, v7
	v_cmp_ne_u32_e32 vcc, s19, v6
                                        ; implicit-def: $vgpr22
	s_and_saveexec_b64 s[10:11], vcc
	s_xor_b64 s[10:11], exec, s[10:11]
; %bb.86:                               ;   in Loop: Header=BB289_80 Depth=1
	v_bfe_u32 v6, v7, 16, 1
	v_add3_u32 v22, v7, v6, s21
; %bb.87:                               ;   in Loop: Header=BB289_80 Depth=1
	s_andn2_saveexec_b64 s[10:11], s[10:11]
; %bb.88:                               ;   in Loop: Header=BB289_80 Depth=1
	v_or_b32_e32 v6, 0x10000, v7
	v_cmp_eq_u32_sdwa vcc, v7, v11 src0_sel:WORD_0 src1_sel:DWORD
	s_nop 1
	v_cndmask_b32_e32 v22, v6, v7, vcc
; %bb.89:                               ;   in Loop: Header=BB289_80 Depth=1
	s_or_b64 exec, exec, s[10:11]
	v_and_b32_e32 v6, 0x7f800000, v8
	v_cmp_ne_u32_e32 vcc, s19, v6
                                        ; implicit-def: $vgpr21
	s_and_saveexec_b64 s[10:11], vcc
	s_xor_b64 s[10:11], exec, s[10:11]
; %bb.90:                               ;   in Loop: Header=BB289_80 Depth=1
	v_bfe_u32 v6, v8, 16, 1
	v_add3_u32 v21, v8, v6, s21
; %bb.91:                               ;   in Loop: Header=BB289_80 Depth=1
	s_andn2_saveexec_b64 s[10:11], s[10:11]
; %bb.92:                               ;   in Loop: Header=BB289_80 Depth=1
	v_or_b32_e32 v6, 0x10000, v8
	v_cmp_eq_u32_sdwa vcc, v8, v11 src0_sel:WORD_0 src1_sel:DWORD
	s_nop 1
	v_cndmask_b32_e32 v21, v6, v8, vcc
; %bb.93:                               ;   in Loop: Header=BB289_80 Depth=1
	s_or_b64 exec, exec, s[10:11]
	v_and_b32_e32 v6, 0x7f800000, v9
	v_cmp_ne_u32_e32 vcc, s19, v6
                                        ; implicit-def: $vgpr20
	s_and_saveexec_b64 s[10:11], vcc
	s_xor_b64 s[10:11], exec, s[10:11]
; %bb.94:                               ;   in Loop: Header=BB289_80 Depth=1
	v_bfe_u32 v6, v9, 16, 1
	v_add3_u32 v20, v9, v6, s21
                                        ; implicit-def: $vgpr6_vgpr7_vgpr8_vgpr9
; %bb.95:                               ;   in Loop: Header=BB289_80 Depth=1
	s_andn2_saveexec_b64 s[10:11], s[10:11]
; %bb.96:                               ;   in Loop: Header=BB289_80 Depth=1
	v_or_b32_e32 v6, 0x10000, v9
	v_cmp_eq_u32_sdwa vcc, v9, v11 src0_sel:WORD_0 src1_sel:DWORD
	s_nop 1
	v_cndmask_b32_e32 v20, v6, v9, vcc
; %bb.97:                               ;   in Loop: Header=BB289_80 Depth=1
	s_or_b64 exec, exec, s[10:11]
	s_waitcnt lgkmcnt(0)
	v_and_b32_e32 v6, 0x7f800000, v2
	v_cmp_ne_u32_e32 vcc, s19, v6
                                        ; implicit-def: $vgpr9
	s_and_saveexec_b64 s[10:11], vcc
	s_xor_b64 s[10:11], exec, s[10:11]
; %bb.98:                               ;   in Loop: Header=BB289_80 Depth=1
	v_bfe_u32 v6, v2, 16, 1
	v_add3_u32 v9, v2, v6, s21
; %bb.99:                               ;   in Loop: Header=BB289_80 Depth=1
	s_andn2_saveexec_b64 s[10:11], s[10:11]
; %bb.100:                              ;   in Loop: Header=BB289_80 Depth=1
	v_or_b32_e32 v6, 0x10000, v2
	v_cmp_eq_u32_sdwa vcc, v2, v11 src0_sel:WORD_0 src1_sel:DWORD
	s_nop 1
	v_cndmask_b32_e32 v9, v6, v2, vcc
; %bb.101:                              ;   in Loop: Header=BB289_80 Depth=1
	s_or_b64 exec, exec, s[10:11]
	v_and_b32_e32 v2, 0x7f800000, v3
	v_cmp_ne_u32_e32 vcc, s19, v2
                                        ; implicit-def: $vgpr8
	s_and_saveexec_b64 s[10:11], vcc
	s_xor_b64 s[10:11], exec, s[10:11]
; %bb.102:                              ;   in Loop: Header=BB289_80 Depth=1
	v_bfe_u32 v2, v3, 16, 1
	v_add3_u32 v8, v3, v2, s21
; %bb.103:                              ;   in Loop: Header=BB289_80 Depth=1
	s_andn2_saveexec_b64 s[10:11], s[10:11]
; %bb.104:                              ;   in Loop: Header=BB289_80 Depth=1
	v_or_b32_e32 v2, 0x10000, v3
	v_cmp_eq_u32_sdwa vcc, v3, v11 src0_sel:WORD_0 src1_sel:DWORD
	s_nop 1
	v_cndmask_b32_e32 v8, v2, v3, vcc
; %bb.105:                              ;   in Loop: Header=BB289_80 Depth=1
	s_or_b64 exec, exec, s[10:11]
	v_and_b32_e32 v2, 0x7f800000, v4
	v_cmp_ne_u32_e32 vcc, s19, v2
                                        ; implicit-def: $vgpr7
	s_and_saveexec_b64 s[10:11], vcc
	s_xor_b64 s[10:11], exec, s[10:11]
; %bb.106:                              ;   in Loop: Header=BB289_80 Depth=1
	v_bfe_u32 v2, v4, 16, 1
	v_add3_u32 v7, v4, v2, s21
; %bb.107:                              ;   in Loop: Header=BB289_80 Depth=1
	s_andn2_saveexec_b64 s[10:11], s[10:11]
; %bb.108:                              ;   in Loop: Header=BB289_80 Depth=1
	v_or_b32_e32 v2, 0x10000, v4
	v_cmp_eq_u32_sdwa vcc, v4, v11 src0_sel:WORD_0 src1_sel:DWORD
	s_nop 1
	v_cndmask_b32_e32 v7, v2, v4, vcc
; %bb.109:                              ;   in Loop: Header=BB289_80 Depth=1
	s_or_b64 exec, exec, s[10:11]
	v_and_b32_e32 v2, 0x7f800000, v5
	v_cmp_ne_u32_e32 vcc, s19, v2
                                        ; implicit-def: $vgpr6
	s_and_saveexec_b64 s[10:11], vcc
	s_xor_b64 s[10:11], exec, s[10:11]
; %bb.110:                              ;   in Loop: Header=BB289_80 Depth=1
	v_bfe_u32 v2, v5, 16, 1
	v_add3_u32 v6, v5, v2, s21
                                        ; implicit-def: $vgpr2_vgpr3_vgpr4_vgpr5
; %bb.111:                              ;   in Loop: Header=BB289_80 Depth=1
	s_andn2_saveexec_b64 s[10:11], s[10:11]
; %bb.112:                              ;   in Loop: Header=BB289_80 Depth=1
	v_or_b32_e32 v2, 0x10000, v5
	v_cmp_eq_u32_sdwa vcc, v5, v11 src0_sel:WORD_0 src1_sel:DWORD
	s_nop 1
	v_cndmask_b32_e32 v6, v2, v5, vcc
; %bb.113:                              ;   in Loop: Header=BB289_80 Depth=1
	s_or_b64 exec, exec, s[10:11]
	s_waitcnt vmcnt(0)
	v_mad_i64_i32 v[2:3], s[10:11], v24, s17, v[12:13]
	global_load_dwordx2 v[2:3], v[2:3], off
	s_load_dword s22, s[14:15], 0x0
	s_waitcnt vmcnt(0)
	v_and_b32_e32 v4, 0xff, v2
	v_cvt_f32_fp8_sdwa v4, v4 src0_sel:BYTE_0
	s_waitcnt lgkmcnt(0)
	v_mul_f32_e32 v5, s22, v4
	v_and_b32_e32 v4, 0x7f800000, v5
	v_cmp_ne_u32_e32 vcc, s19, v4
                                        ; implicit-def: $vgpr4
	s_and_saveexec_b64 s[10:11], vcc
	s_xor_b64 s[10:11], exec, s[10:11]
; %bb.114:                              ;   in Loop: Header=BB289_80 Depth=1
	v_bfe_u32 v4, v5, 16, 1
	v_add3_u32 v4, v5, v4, s21
                                        ; implicit-def: $vgpr5
; %bb.115:                              ;   in Loop: Header=BB289_80 Depth=1
	s_andn2_saveexec_b64 s[10:11], s[10:11]
; %bb.116:                              ;   in Loop: Header=BB289_80 Depth=1
	v_or_b32_e32 v4, 0x10000, v5
	v_cmp_eq_u32_sdwa vcc, v5, v11 src0_sel:WORD_0 src1_sel:DWORD
	s_nop 1
	v_cndmask_b32_e32 v4, v4, v5, vcc
; %bb.117:                              ;   in Loop: Header=BB289_80 Depth=1
	s_or_b64 exec, exec, s[10:11]
	v_bfe_u32 v5, v2, 8, 8
	v_cvt_f32_fp8_sdwa v5, v5 src0_sel:BYTE_0
	s_nop 0
	v_mul_f32_e32 v24, s22, v5
	v_and_b32_e32 v5, 0x7f800000, v24
	v_cmp_ne_u32_e32 vcc, s19, v5
                                        ; implicit-def: $vgpr5
	s_and_saveexec_b64 s[10:11], vcc
	s_xor_b64 s[10:11], exec, s[10:11]
; %bb.118:                              ;   in Loop: Header=BB289_80 Depth=1
	v_bfe_u32 v5, v24, 16, 1
	v_add3_u32 v5, v24, v5, s21
                                        ; implicit-def: $vgpr24
; %bb.119:                              ;   in Loop: Header=BB289_80 Depth=1
	s_andn2_saveexec_b64 s[10:11], s[10:11]
; %bb.120:                              ;   in Loop: Header=BB289_80 Depth=1
	v_or_b32_e32 v5, 0x10000, v24
	v_cmp_eq_u32_sdwa vcc, v24, v11 src0_sel:WORD_0 src1_sel:DWORD
	s_nop 1
	v_cndmask_b32_e32 v5, v5, v24, vcc
; %bb.121:                              ;   in Loop: Header=BB289_80 Depth=1
	s_or_b64 exec, exec, s[10:11]
	v_bfe_u32 v24, v2, 16, 8
	v_cvt_f32_fp8_sdwa v24, v24 src0_sel:BYTE_0
                                        ; implicit-def: $vgpr26
	s_nop 0
	v_mul_f32_e32 v24, s22, v24
	v_and_b32_e32 v25, 0x7f800000, v24
	v_cmp_ne_u32_e32 vcc, s19, v25
	s_and_saveexec_b64 s[10:11], vcc
	s_xor_b64 s[10:11], exec, s[10:11]
; %bb.122:                              ;   in Loop: Header=BB289_80 Depth=1
	v_bfe_u32 v25, v24, 16, 1
	v_add3_u32 v26, v24, v25, s21
                                        ; implicit-def: $vgpr24
; %bb.123:                              ;   in Loop: Header=BB289_80 Depth=1
	s_andn2_saveexec_b64 s[10:11], s[10:11]
; %bb.124:                              ;   in Loop: Header=BB289_80 Depth=1
	v_or_b32_e32 v25, 0x10000, v24
	v_cmp_eq_u32_sdwa vcc, v24, v11 src0_sel:WORD_0 src1_sel:DWORD
	s_nop 1
	v_cndmask_b32_e32 v26, v25, v24, vcc
; %bb.125:                              ;   in Loop: Header=BB289_80 Depth=1
	s_or_b64 exec, exec, s[10:11]
	v_lshrrev_b32_e32 v2, 24, v2
	v_cvt_f32_fp8_sdwa v2, v2 src0_sel:BYTE_0
	s_nop 0
	v_mul_f32_e32 v24, s22, v2
	v_and_b32_e32 v2, 0x7f800000, v24
	v_cmp_ne_u32_e32 vcc, s19, v2
                                        ; implicit-def: $vgpr2
	s_and_saveexec_b64 s[10:11], vcc
	s_xor_b64 s[10:11], exec, s[10:11]
; %bb.126:                              ;   in Loop: Header=BB289_80 Depth=1
	v_bfe_u32 v2, v24, 16, 1
	v_add3_u32 v2, v24, v2, s21
                                        ; implicit-def: $vgpr24
; %bb.127:                              ;   in Loop: Header=BB289_80 Depth=1
	s_andn2_saveexec_b64 s[10:11], s[10:11]
; %bb.128:                              ;   in Loop: Header=BB289_80 Depth=1
	v_or_b32_e32 v2, 0x10000, v24
	v_cmp_eq_u32_sdwa vcc, v24, v11 src0_sel:WORD_0 src1_sel:DWORD
	s_nop 1
	v_cndmask_b32_e32 v2, v2, v24, vcc
; %bb.129:                              ;   in Loop: Header=BB289_80 Depth=1
	s_or_b64 exec, exec, s[10:11]
	v_and_b32_e32 v24, 0xff, v3
	v_cvt_f32_fp8_sdwa v24, v24 src0_sel:BYTE_0
	s_nop 0
	v_mul_f32_e32 v24, s22, v24
	v_and_b32_e32 v25, 0x7f800000, v24
	v_cmp_ne_u32_e32 vcc, s19, v25
                                        ; implicit-def: $vgpr25
	s_and_saveexec_b64 s[10:11], vcc
	s_xor_b64 s[10:11], exec, s[10:11]
; %bb.130:                              ;   in Loop: Header=BB289_80 Depth=1
	v_bfe_u32 v25, v24, 16, 1
	v_add3_u32 v25, v24, v25, s21
                                        ; implicit-def: $vgpr24
; %bb.131:                              ;   in Loop: Header=BB289_80 Depth=1
	s_andn2_saveexec_b64 s[10:11], s[10:11]
; %bb.132:                              ;   in Loop: Header=BB289_80 Depth=1
	v_or_b32_e32 v25, 0x10000, v24
	v_cmp_eq_u32_sdwa vcc, v24, v11 src0_sel:WORD_0 src1_sel:DWORD
	s_nop 1
	v_cndmask_b32_e32 v25, v25, v24, vcc
; %bb.133:                              ;   in Loop: Header=BB289_80 Depth=1
	s_or_b64 exec, exec, s[10:11]
	v_bfe_u32 v24, v3, 8, 8
	v_cvt_f32_fp8_sdwa v24, v24 src0_sel:BYTE_0
	s_nop 0
	v_mul_f32_e32 v27, s22, v24
	v_and_b32_e32 v24, 0x7f800000, v27
	v_cmp_ne_u32_e32 vcc, s19, v24
                                        ; implicit-def: $vgpr24
	s_and_saveexec_b64 s[10:11], vcc
	s_xor_b64 s[10:11], exec, s[10:11]
; %bb.134:                              ;   in Loop: Header=BB289_80 Depth=1
	v_bfe_u32 v24, v27, 16, 1
	v_add3_u32 v24, v27, v24, s21
                                        ; implicit-def: $vgpr27
; %bb.135:                              ;   in Loop: Header=BB289_80 Depth=1
	s_andn2_saveexec_b64 s[10:11], s[10:11]
; %bb.136:                              ;   in Loop: Header=BB289_80 Depth=1
	v_or_b32_e32 v24, 0x10000, v27
	v_cmp_eq_u32_sdwa vcc, v27, v11 src0_sel:WORD_0 src1_sel:DWORD
	s_nop 1
	v_cndmask_b32_e32 v24, v24, v27, vcc
; %bb.137:                              ;   in Loop: Header=BB289_80 Depth=1
	s_or_b64 exec, exec, s[10:11]
	v_bfe_u32 v27, v3, 16, 8
	v_cvt_f32_fp8_sdwa v27, v27 src0_sel:BYTE_0
	s_nop 0
	v_mul_f32_e32 v27, s22, v27
	v_and_b32_e32 v28, 0x7f800000, v27
	v_cmp_ne_u32_e32 vcc, s19, v28
                                        ; implicit-def: $vgpr28
	s_and_saveexec_b64 s[10:11], vcc
	s_xor_b64 s[10:11], exec, s[10:11]
; %bb.138:                              ;   in Loop: Header=BB289_80 Depth=1
	v_bfe_u32 v28, v27, 16, 1
	v_add3_u32 v28, v27, v28, s21
                                        ; implicit-def: $vgpr27
; %bb.139:                              ;   in Loop: Header=BB289_80 Depth=1
	s_andn2_saveexec_b64 s[10:11], s[10:11]
; %bb.140:                              ;   in Loop: Header=BB289_80 Depth=1
	v_or_b32_e32 v28, 0x10000, v27
	v_cmp_eq_u32_sdwa vcc, v27, v11 src0_sel:WORD_0 src1_sel:DWORD
	s_nop 1
	v_cndmask_b32_e32 v28, v28, v27, vcc
; %bb.141:                              ;   in Loop: Header=BB289_80 Depth=1
	s_or_b64 exec, exec, s[10:11]
	v_lshrrev_b32_e32 v3, 24, v3
	v_cvt_f32_fp8_sdwa v3, v3 src0_sel:BYTE_0
                                        ; implicit-def: $vgpr29
	s_nop 0
	v_mul_f32_e32 v3, s22, v3
	v_and_b32_e32 v27, 0x7f800000, v3
	v_cmp_ne_u32_e32 vcc, s19, v27
	s_and_saveexec_b64 s[10:11], vcc
	s_xor_b64 s[10:11], exec, s[10:11]
; %bb.142:                              ;   in Loop: Header=BB289_80 Depth=1
	v_bfe_u32 v27, v3, 16, 1
	v_add3_u32 v29, v3, v27, s21
                                        ; implicit-def: $vgpr3
; %bb.143:                              ;   in Loop: Header=BB289_80 Depth=1
	s_andn2_saveexec_b64 s[10:11], s[10:11]
; %bb.144:                              ;   in Loop: Header=BB289_80 Depth=1
	v_or_b32_e32 v27, 0x10000, v3
	v_cmp_eq_u32_sdwa vcc, v3, v11 src0_sel:WORD_0 src1_sel:DWORD
	s_nop 1
	v_cndmask_b32_e32 v29, v27, v3, vcc
; %bb.145:                              ;   in Loop: Header=BB289_80 Depth=1
	s_or_b64 exec, exec, s[10:11]
	v_lshrrev_b32_e32 v24, 16, v24
	v_lshrrev_b32_e32 v25, 16, v25
	v_lshrrev_b32_e32 v27, 16, v2
	v_lshrrev_b32_e32 v26, 16, v26
	v_lshrrev_b32_e32 v5, 16, v5
	v_lshrrev_b32_e32 v3, 16, v4
	v_lshrrev_b32_e32 v4, 16, v28
	v_lshrrev_b32_e32 v2, 16, v29
	v_cmp_eq_u32_e32 vcc, s18, v1
	s_and_saveexec_b64 s[10:11], vcc
	s_cbranch_execz .LBB289_147
; %bb.146:                              ;   in Loop: Header=BB289_80 Depth=1
	v_cmp_gt_i32_e32 vcc, s25, v16
	v_add_u32_e32 v28, 1, v16
	s_nop 0
	v_cndmask_b32_e32 v3, 0, v3, vcc
	v_cmp_gt_i32_e32 vcc, s25, v28
	v_add_u32_e32 v28, 2, v16
	s_nop 0
	v_cndmask_b32_e32 v5, 0, v5, vcc
	;; [unrolled: 4-line block ×7, first 2 shown]
	v_cmp_gt_i32_e32 vcc, s25, v28
	s_nop 1
	v_cndmask_b32_e32 v2, 0, v2, vcc
.LBB289_147:                            ;   in Loop: Header=BB289_80 Depth=1
	s_or_b64 exec, exec, s[10:11]
	v_and_b32_e32 v23, 0xffff0000, v23
	v_lshlrev_b32_e32 v3, 16, v3
	v_mul_f32_e32 v23, v23, v3
	v_and_b32_e32 v3, 0x7f800000, v23
	v_cmp_ne_u32_e32 vcc, s19, v3
                                        ; implicit-def: $vgpr3
	s_and_saveexec_b64 s[10:11], vcc
	s_xor_b64 s[10:11], exec, s[10:11]
; %bb.148:                              ;   in Loop: Header=BB289_80 Depth=1
	v_bfe_u32 v3, v23, 16, 1
	v_add3_u32 v3, v23, v3, s21
                                        ; implicit-def: $vgpr23
; %bb.149:                              ;   in Loop: Header=BB289_80 Depth=1
	s_andn2_saveexec_b64 s[10:11], s[10:11]
; %bb.150:                              ;   in Loop: Header=BB289_80 Depth=1
	v_or_b32_e32 v3, 0x10000, v23
	v_cmp_eq_u32_sdwa vcc, v23, v11 src0_sel:WORD_0 src1_sel:DWORD
	s_nop 1
	v_cndmask_b32_e32 v3, v3, v23, vcc
; %bb.151:                              ;   in Loop: Header=BB289_80 Depth=1
	s_or_b64 exec, exec, s[10:11]
	v_and_b32_e32 v22, 0xffff0000, v22
	v_lshlrev_b32_e32 v5, 16, v5
	v_mul_f32_e32 v22, v22, v5
	v_and_b32_e32 v5, 0x7f800000, v22
	v_cmp_ne_u32_e32 vcc, s19, v5
                                        ; implicit-def: $vgpr5
	s_and_saveexec_b64 s[10:11], vcc
	s_xor_b64 s[10:11], exec, s[10:11]
; %bb.152:                              ;   in Loop: Header=BB289_80 Depth=1
	v_bfe_u32 v5, v22, 16, 1
	v_add3_u32 v5, v22, v5, s21
                                        ; implicit-def: $vgpr22
; %bb.153:                              ;   in Loop: Header=BB289_80 Depth=1
	s_andn2_saveexec_b64 s[10:11], s[10:11]
; %bb.154:                              ;   in Loop: Header=BB289_80 Depth=1
	v_or_b32_e32 v5, 0x10000, v22
	v_cmp_eq_u32_sdwa vcc, v22, v11 src0_sel:WORD_0 src1_sel:DWORD
	s_nop 1
	v_cndmask_b32_e32 v5, v5, v22, vcc
; %bb.155:                              ;   in Loop: Header=BB289_80 Depth=1
	s_or_b64 exec, exec, s[10:11]
	v_and_b32_e32 v21, 0xffff0000, v21
	v_lshlrev_b32_e32 v22, 16, v26
	v_mul_f32_e32 v22, v21, v22
	v_and_b32_e32 v21, 0x7f800000, v22
	v_cmp_ne_u32_e32 vcc, s19, v21
                                        ; implicit-def: $vgpr21
	s_and_saveexec_b64 s[10:11], vcc
	s_xor_b64 s[10:11], exec, s[10:11]
; %bb.156:                              ;   in Loop: Header=BB289_80 Depth=1
	v_bfe_u32 v21, v22, 16, 1
	v_add3_u32 v21, v22, v21, s21
                                        ; implicit-def: $vgpr22
; %bb.157:                              ;   in Loop: Header=BB289_80 Depth=1
	s_andn2_saveexec_b64 s[10:11], s[10:11]
; %bb.158:                              ;   in Loop: Header=BB289_80 Depth=1
	v_or_b32_e32 v21, 0x10000, v22
	v_cmp_eq_u32_sdwa vcc, v22, v11 src0_sel:WORD_0 src1_sel:DWORD
	s_nop 1
	v_cndmask_b32_e32 v21, v21, v22, vcc
; %bb.159:                              ;   in Loop: Header=BB289_80 Depth=1
	s_or_b64 exec, exec, s[10:11]
	v_and_b32_e32 v20, 0xffff0000, v20
	v_lshlrev_b32_e32 v22, 16, v27
	v_mul_f32_e32 v22, v20, v22
	v_and_b32_e32 v20, 0x7f800000, v22
	v_cmp_ne_u32_e32 vcc, s19, v20
                                        ; implicit-def: $vgpr20
	s_and_saveexec_b64 s[10:11], vcc
	s_xor_b64 s[10:11], exec, s[10:11]
; %bb.160:                              ;   in Loop: Header=BB289_80 Depth=1
	v_bfe_u32 v20, v22, 16, 1
	v_add3_u32 v20, v22, v20, s21
                                        ; implicit-def: $vgpr22
; %bb.161:                              ;   in Loop: Header=BB289_80 Depth=1
	s_andn2_saveexec_b64 s[10:11], s[10:11]
; %bb.162:                              ;   in Loop: Header=BB289_80 Depth=1
	v_or_b32_e32 v20, 0x10000, v22
	v_cmp_eq_u32_sdwa vcc, v22, v11 src0_sel:WORD_0 src1_sel:DWORD
	s_nop 1
	v_cndmask_b32_e32 v20, v20, v22, vcc
; %bb.163:                              ;   in Loop: Header=BB289_80 Depth=1
	s_or_b64 exec, exec, s[10:11]
	v_and_b32_e32 v9, 0xffff0000, v9
	v_lshlrev_b32_e32 v22, 16, v25
	v_mul_f32_e32 v22, v9, v22
	v_and_b32_e32 v9, 0x7f800000, v22
	v_cmp_ne_u32_e32 vcc, s19, v9
                                        ; implicit-def: $vgpr9
	s_and_saveexec_b64 s[10:11], vcc
	s_xor_b64 s[10:11], exec, s[10:11]
; %bb.164:                              ;   in Loop: Header=BB289_80 Depth=1
	v_bfe_u32 v9, v22, 16, 1
	v_add3_u32 v9, v22, v9, s21
                                        ; implicit-def: $vgpr22
; %bb.165:                              ;   in Loop: Header=BB289_80 Depth=1
	s_andn2_saveexec_b64 s[10:11], s[10:11]
; %bb.166:                              ;   in Loop: Header=BB289_80 Depth=1
	v_or_b32_e32 v9, 0x10000, v22
	v_cmp_eq_u32_sdwa vcc, v22, v11 src0_sel:WORD_0 src1_sel:DWORD
	s_nop 1
	v_cndmask_b32_e32 v9, v9, v22, vcc
; %bb.167:                              ;   in Loop: Header=BB289_80 Depth=1
	s_or_b64 exec, exec, s[10:11]
	v_and_b32_e32 v8, 0xffff0000, v8
	v_lshlrev_b32_e32 v22, 16, v24
	v_mul_f32_e32 v22, v8, v22
	v_and_b32_e32 v8, 0x7f800000, v22
	v_cmp_ne_u32_e32 vcc, s19, v8
                                        ; implicit-def: $vgpr8
	s_and_saveexec_b64 s[10:11], vcc
	s_xor_b64 s[10:11], exec, s[10:11]
; %bb.168:                              ;   in Loop: Header=BB289_80 Depth=1
	v_bfe_u32 v8, v22, 16, 1
	v_add3_u32 v8, v22, v8, s21
                                        ; implicit-def: $vgpr22
; %bb.169:                              ;   in Loop: Header=BB289_80 Depth=1
	s_andn2_saveexec_b64 s[10:11], s[10:11]
; %bb.170:                              ;   in Loop: Header=BB289_80 Depth=1
	v_or_b32_e32 v8, 0x10000, v22
	v_cmp_eq_u32_sdwa vcc, v22, v11 src0_sel:WORD_0 src1_sel:DWORD
	s_nop 1
	v_cndmask_b32_e32 v8, v8, v22, vcc
; %bb.171:                              ;   in Loop: Header=BB289_80 Depth=1
	s_or_b64 exec, exec, s[10:11]
	v_and_b32_e32 v7, 0xffff0000, v7
	v_lshlrev_b32_e32 v4, 16, v4
	v_mul_f32_e32 v7, v7, v4
	v_and_b32_e32 v4, 0x7f800000, v7
	v_cmp_ne_u32_e32 vcc, s19, v4
                                        ; implicit-def: $vgpr4
	s_and_saveexec_b64 s[10:11], vcc
	s_xor_b64 s[10:11], exec, s[10:11]
; %bb.172:                              ;   in Loop: Header=BB289_80 Depth=1
	v_bfe_u32 v4, v7, 16, 1
	v_add3_u32 v4, v7, v4, s21
                                        ; implicit-def: $vgpr7
; %bb.173:                              ;   in Loop: Header=BB289_80 Depth=1
	s_andn2_saveexec_b64 s[10:11], s[10:11]
; %bb.174:                              ;   in Loop: Header=BB289_80 Depth=1
	v_or_b32_e32 v4, 0x10000, v7
	v_cmp_eq_u32_sdwa vcc, v7, v11 src0_sel:WORD_0 src1_sel:DWORD
	s_nop 1
	v_cndmask_b32_e32 v4, v4, v7, vcc
; %bb.175:                              ;   in Loop: Header=BB289_80 Depth=1
	s_or_b64 exec, exec, s[10:11]
	v_and_b32_e32 v6, 0xffff0000, v6
	v_lshlrev_b32_e32 v2, 16, v2
	v_mul_f32_e32 v2, v6, v2
	v_and_b32_e32 v6, 0x7f800000, v2
	v_cmp_ne_u32_e32 vcc, s19, v6
                                        ; implicit-def: $vgpr6
	s_and_saveexec_b64 s[10:11], vcc
	s_xor_b64 s[10:11], exec, s[10:11]
; %bb.176:                              ;   in Loop: Header=BB289_80 Depth=1
	v_bfe_u32 v6, v2, 16, 1
	v_add3_u32 v6, v2, v6, s21
                                        ; implicit-def: $vgpr2
; %bb.177:                              ;   in Loop: Header=BB289_80 Depth=1
	s_andn2_saveexec_b64 s[10:11], s[10:11]
	s_cbranch_execz .LBB289_78
; %bb.178:                              ;   in Loop: Header=BB289_80 Depth=1
	v_or_b32_e32 v6, 0x10000, v2
	v_cmp_eq_u32_sdwa vcc, v2, v11 src0_sel:WORD_0 src1_sel:DWORD
	s_nop 1
	v_cndmask_b32_e32 v6, v6, v2, vcc
	s_branch .LBB289_78
.LBB289_179:
	s_or_b64 exec, exec, s[2:3]
.LBB289_180:
	s_or_b64 exec, exec, s[8:9]
	v_and_b32_e32 v0, 0x3c0, v0
	v_cmp_eq_u32_e32 vcc, 64, v0
	s_barrier
	s_and_saveexec_b64 s[0:1], vcc
	s_cbranch_execz .LBB289_182
; %bb.181:
	v_mov_b32_e32 v0, 0x90
	v_lshl_add_u32 v0, v17, 2, v0
	ds_write_b32 v0, v10
.LBB289_182:
	s_or_b64 exec, exec, s[0:1]
	s_waitcnt lgkmcnt(0)
	s_barrier
	s_and_saveexec_b64 s[0:1], s[6:7]
	s_cbranch_execz .LBB289_184
; %bb.183:
	v_mov_b32_e32 v0, 0x90
	v_lshl_add_u32 v0, v17, 2, v0
	ds_read_b32 v0, v0
	s_waitcnt lgkmcnt(0)
	v_add_f32_e32 v10, v10, v0
.LBB289_184:
	s_or_b64 exec, exec, s[0:1]
	s_barrier
	s_and_saveexec_b64 s[0:1], s[6:7]
	s_cbranch_execz .LBB289_190
; %bb.185:
	s_mov_b32 s0, 0x7f800000
	v_and_b32_e32 v0, 0x7f800000, v10
	v_cmp_ne_u32_e32 vcc, s0, v0
                                        ; implicit-def: $vgpr0
	s_and_saveexec_b64 s[0:1], vcc
	s_xor_b64 s[0:1], exec, s[0:1]
; %bb.186:
	v_bfe_u32 v0, v10, 16, 1
	s_movk_i32 s2, 0x7fff
	v_add3_u32 v0, v10, v0, s2
                                        ; implicit-def: $vgpr10
; %bb.187:
	s_andn2_saveexec_b64 s[0:1], s[0:1]
; %bb.188:
	v_mov_b32_e32 v0, 0
	v_or_b32_e32 v1, 0x10000, v10
	v_cmp_eq_u32_sdwa vcc, v10, v0 src0_sel:WORD_0 src1_sel:DWORD
	s_nop 1
	v_cndmask_b32_e32 v0, v1, v10, vcc
; %bb.189:
	s_or_b64 exec, exec, s[0:1]
	s_mul_i32 s0, s24, s16
	s_mul_i32 s0, s0, s5
	s_lshl_b32 s0, s0, 6
	s_ashr_i32 s1, s0, 31
	s_lshl_b64 s[0:1], s[0:1], 1
	s_add_u32 s2, s28, s0
	s_mul_i32 s0, s16, s26
	s_addc_u32 s3, s29, s1
	s_ashr_i32 s1, s0, 31
	s_lshl_b64 s[0:1], s[0:1], 1
	s_add_u32 s2, s2, s0
	s_addc_u32 s3, s3, s1
	s_lshl_b32 s0, s4, 6
	s_ashr_i32 s1, s0, 31
	s_lshl_b64 s[0:1], s[0:1], 1
	s_add_u32 s0, s2, s0
	s_addc_u32 s1, s3, s1
	v_lshlrev_b32_e32 v1, 1, v17
	global_store_short_d16_hi v1, v0, s[0:1]
.LBB289_190:
	s_endpgm
	.section	.rodata,"a",@progbits
	.p2align	6, 0x0
	.amdhsa_kernel _ZN4vllm25paged_attention_v1_kernelI14__hip_bfloat16hLi64ELi8ELi128ELNS_18Fp8KVCacheDataTypeE1ELb1EEEvPT_PKS3_PKT0_S9_ifPKiSB_iPKfiiiSD_SD_iiiii
		.amdhsa_group_segment_fixed_size 144
		.amdhsa_private_segment_fixed_size 0
		.amdhsa_kernarg_size 384
		.amdhsa_user_sgpr_count 2
		.amdhsa_user_sgpr_dispatch_ptr 0
		.amdhsa_user_sgpr_queue_ptr 0
		.amdhsa_user_sgpr_kernarg_segment_ptr 1
		.amdhsa_user_sgpr_dispatch_id 0
		.amdhsa_user_sgpr_kernarg_preload_length 0
		.amdhsa_user_sgpr_kernarg_preload_offset 0
		.amdhsa_user_sgpr_private_segment_size 0
		.amdhsa_uses_dynamic_stack 0
		.amdhsa_enable_private_segment 0
		.amdhsa_system_sgpr_workgroup_id_x 1
		.amdhsa_system_sgpr_workgroup_id_y 1
		.amdhsa_system_sgpr_workgroup_id_z 1
		.amdhsa_system_sgpr_workgroup_info 0
		.amdhsa_system_vgpr_workitem_id 0
		.amdhsa_next_free_vgpr 39
		.amdhsa_next_free_sgpr 53
		.amdhsa_accum_offset 40
		.amdhsa_reserve_vcc 1
		.amdhsa_float_round_mode_32 0
		.amdhsa_float_round_mode_16_64 0
		.amdhsa_float_denorm_mode_32 3
		.amdhsa_float_denorm_mode_16_64 3
		.amdhsa_dx10_clamp 1
		.amdhsa_ieee_mode 1
		.amdhsa_fp16_overflow 0
		.amdhsa_tg_split 0
		.amdhsa_exception_fp_ieee_invalid_op 0
		.amdhsa_exception_fp_denorm_src 0
		.amdhsa_exception_fp_ieee_div_zero 0
		.amdhsa_exception_fp_ieee_overflow 0
		.amdhsa_exception_fp_ieee_underflow 0
		.amdhsa_exception_fp_ieee_inexact 0
		.amdhsa_exception_int_div_zero 0
	.end_amdhsa_kernel
	.section	.text._ZN4vllm25paged_attention_v1_kernelI14__hip_bfloat16hLi64ELi8ELi128ELNS_18Fp8KVCacheDataTypeE1ELb1EEEvPT_PKS3_PKT0_S9_ifPKiSB_iPKfiiiSD_SD_iiiii,"axG",@progbits,_ZN4vllm25paged_attention_v1_kernelI14__hip_bfloat16hLi64ELi8ELi128ELNS_18Fp8KVCacheDataTypeE1ELb1EEEvPT_PKS3_PKT0_S9_ifPKiSB_iPKfiiiSD_SD_iiiii,comdat
.Lfunc_end289:
	.size	_ZN4vllm25paged_attention_v1_kernelI14__hip_bfloat16hLi64ELi8ELi128ELNS_18Fp8KVCacheDataTypeE1ELb1EEEvPT_PKS3_PKT0_S9_ifPKiSB_iPKfiiiSD_SD_iiiii, .Lfunc_end289-_ZN4vllm25paged_attention_v1_kernelI14__hip_bfloat16hLi64ELi8ELi128ELNS_18Fp8KVCacheDataTypeE1ELb1EEEvPT_PKS3_PKT0_S9_ifPKiSB_iPKfiiiSD_SD_iiiii
                                        ; -- End function
	.section	.AMDGPU.csdata,"",@progbits
; Kernel info:
; codeLenInByte = 6824
; NumSgprs: 59
; NumVgprs: 39
; NumAgprs: 0
; TotalNumVgprs: 39
; ScratchSize: 0
; MemoryBound: 0
; FloatMode: 240
; IeeeMode: 1
; LDSByteSize: 144 bytes/workgroup (compile time only)
; SGPRBlocks: 7
; VGPRBlocks: 4
; NumSGPRsForWavesPerEU: 59
; NumVGPRsForWavesPerEU: 39
; AccumOffset: 40
; Occupancy: 8
; WaveLimiterHint : 1
; COMPUTE_PGM_RSRC2:SCRATCH_EN: 0
; COMPUTE_PGM_RSRC2:USER_SGPR: 2
; COMPUTE_PGM_RSRC2:TRAP_HANDLER: 0
; COMPUTE_PGM_RSRC2:TGID_X_EN: 1
; COMPUTE_PGM_RSRC2:TGID_Y_EN: 1
; COMPUTE_PGM_RSRC2:TGID_Z_EN: 1
; COMPUTE_PGM_RSRC2:TIDIG_COMP_CNT: 0
; COMPUTE_PGM_RSRC3_GFX90A:ACCUM_OFFSET: 9
; COMPUTE_PGM_RSRC3_GFX90A:TG_SPLIT: 0
	.section	.text._ZN4vllm25paged_attention_v1_kernelI14__hip_bfloat16hLi80ELi8ELi128ELNS_18Fp8KVCacheDataTypeE1ELb1EEEvPT_PKS3_PKT0_S9_ifPKiSB_iPKfiiiSD_SD_iiiii,"axG",@progbits,_ZN4vllm25paged_attention_v1_kernelI14__hip_bfloat16hLi80ELi8ELi128ELNS_18Fp8KVCacheDataTypeE1ELb1EEEvPT_PKS3_PKT0_S9_ifPKiSB_iPKfiiiSD_SD_iiiii,comdat
	.protected	_ZN4vllm25paged_attention_v1_kernelI14__hip_bfloat16hLi80ELi8ELi128ELNS_18Fp8KVCacheDataTypeE1ELb1EEEvPT_PKS3_PKT0_S9_ifPKiSB_iPKfiiiSD_SD_iiiii ; -- Begin function _ZN4vllm25paged_attention_v1_kernelI14__hip_bfloat16hLi80ELi8ELi128ELNS_18Fp8KVCacheDataTypeE1ELb1EEEvPT_PKS3_PKT0_S9_ifPKiSB_iPKfiiiSD_SD_iiiii
	.globl	_ZN4vllm25paged_attention_v1_kernelI14__hip_bfloat16hLi80ELi8ELi128ELNS_18Fp8KVCacheDataTypeE1ELb1EEEvPT_PKS3_PKT0_S9_ifPKiSB_iPKfiiiSD_SD_iiiii
	.p2align	8
	.type	_ZN4vllm25paged_attention_v1_kernelI14__hip_bfloat16hLi80ELi8ELi128ELNS_18Fp8KVCacheDataTypeE1ELb1EEEvPT_PKS3_PKT0_S9_ifPKiSB_iPKfiiiSD_SD_iiiii,@function
_ZN4vllm25paged_attention_v1_kernelI14__hip_bfloat16hLi80ELi8ELi128ELNS_18Fp8KVCacheDataTypeE1ELb1EEEvPT_PKS3_PKT0_S9_ifPKiSB_iPKfiiiSD_SD_iiiii: ; @_ZN4vllm25paged_attention_v1_kernelI14__hip_bfloat16hLi80ELi8ELi128ELNS_18Fp8KVCacheDataTypeE1ELb1EEEvPT_PKS3_PKT0_S9_ifPKiSB_iPKfiiiSD_SD_iiiii
; %bb.0:
	s_load_dword s5, s[0:1], 0x80
	s_load_dwordx2 s[6:7], s[0:1], 0x30
	s_load_dwordx2 s[38:39], s[0:1], 0x20
	s_mov_b32 s24, s3
	s_ashr_i32 s25, s3, 31
	s_lshl_b64 s[8:9], s[24:25], 2
	s_waitcnt lgkmcnt(0)
	s_add_u32 s6, s6, s8
	s_addc_u32 s7, s7, s9
	s_abs_i32 s3, s38
	v_cvt_f32_u32_e32 v1, s3
	s_sub_i32 s10, 0, s3
	s_abs_i32 s9, s5
	s_xor_b32 s8, s5, s38
	v_rcp_iflag_f32_e32 v1, v1
	s_ashr_i32 s8, s8, 31
	s_mov_b32 s46, 0
	v_mul_f32_e32 v1, 0x4f7ffffe, v1
	v_cvt_u32_f32_e32 v1, v1
	s_nop 0
	v_readfirstlane_b32 s11, v1
	s_mul_i32 s10, s10, s11
	s_mul_hi_u32 s10, s11, s10
	s_add_i32 s11, s11, s10
	s_mul_hi_u32 s10, s9, s11
	s_mul_i32 s11, s10, s3
	s_sub_i32 s9, s9, s11
	s_add_i32 s11, s10, 1
	s_sub_i32 s12, s9, s3
	s_cmp_ge_u32 s9, s3
	s_cselect_b32 s10, s11, s10
	s_cselect_b32 s9, s12, s9
	s_add_i32 s11, s10, 1
	s_cmp_ge_u32 s9, s3
	s_cselect_b32 s3, s11, s10
	s_xor_b32 s3, s3, s8
	s_sub_i32 s14, s3, s8
	s_abs_i32 s10, s14
	v_cvt_f32_u32_e32 v1, s10
	s_load_dwordx2 s[8:9], s[0:1], 0x40
	s_sub_i32 s3, 0, s10
	s_abs_i32 s11, s2
	v_rcp_iflag_f32_e32 v1, v1
	s_nop 0
	v_mul_f32_e32 v1, 0x4f7ffffe, v1
	v_cvt_u32_f32_e32 v1, v1
	s_nop 0
	v_readfirstlane_b32 s12, v1
	s_mul_i32 s3, s3, s12
	s_mul_hi_u32 s3, s12, s3
	s_add_i32 s12, s12, s3
	s_waitcnt lgkmcnt(0)
	s_cmp_eq_u64 s[8:9], 0
	s_mul_hi_u32 s12, s11, s12
	s_cbranch_scc1 .LBB290_2
; %bb.1:
	s_ashr_i32 s3, s2, 31
	s_lshl_b64 s[16:17], s[2:3], 2
	s_add_u32 s8, s8, s16
	s_addc_u32 s9, s9, s17
	s_load_dword s46, s[8:9], 0x0
.LBB290_2:
	s_load_dword s25, s[6:7], 0x0
	s_load_dwordx4 s[16:19], s[0:1], 0x48
	s_movk_i32 s3, 0x50
	s_ashr_i32 s13, s2, 31
	s_ashr_i32 s14, s14, 31
	v_and_b32_e32 v2, 7, v0
	s_mul_i32 s26, s2, 0x50
	v_cmp_gt_u32_e64 s[6:7], s3, v0
	v_lshlrev_b32_e32 v10, 1, v0
	s_and_saveexec_b64 s[8:9], s[6:7]
	s_cbranch_execz .LBB290_4
; %bb.3:
	s_load_dwordx2 s[20:21], s[0:1], 0x8
	s_waitcnt lgkmcnt(0)
	s_mul_i32 s22, s24, s16
	s_ashr_i32 s23, s22, 31
	s_lshl_b64 s[22:23], s[22:23], 1
	v_lshrrev_b32_e32 v3, 2, v0
	s_add_u32 s3, s20, s22
	s_addc_u32 s15, s21, s23
	s_ashr_i32 s27, s26, 31
	s_lshl_b64 s[20:21], s[26:27], 1
	s_add_u32 s20, s3, s20
	s_addc_u32 s21, s15, s21
	global_load_ushort v1, v10, s[20:21]
	v_and_b32_e32 v3, 0xfe, v3
	v_mad_u32_u24 v3, v2, 20, v3
	s_waitcnt vmcnt(0)
	ds_write_b16 v3, v1
.LBB290_4:
	s_or_b64 exec, exec, s[8:9]
	s_mul_i32 s9, s12, s10
	s_sub_i32 s9, s11, s9
	s_xor_b32 s8, s13, s14
	s_add_i32 s11, s12, 1
	s_sub_i32 s13, s9, s10
	s_load_dwordx4 s[20:23], s[0:1], 0x68
	s_load_dword s3, s[0:1], 0x78
	s_cmp_ge_u32 s9, s10
	s_cselect_b32 s11, s11, s12
	s_cselect_b32 s9, s13, s9
	s_add_i32 s12, s11, 1
	s_cmp_ge_u32 s9, s10
	s_cselect_b32 s9, s12, s11
	s_waitcnt lgkmcnt(0)
	s_abs_i32 s27, s23
	v_cvt_f32_u32_e32 v1, s27
	s_xor_b32 s9, s9, s8
	s_sub_i32 s10, s9, s8
	s_sub_i32 s8, 0, s27
	v_rcp_iflag_f32_e32 v1, v1
	s_add_i32 s12, s25, -1
	s_abs_i32 s11, s12
	v_mul_f32_e32 v1, 0x4f7ffffe, v1
	v_cvt_u32_f32_e32 v1, v1
	s_barrier
	v_readfirstlane_b32 s33, v1
	s_mul_i32 s8, s8, s33
	s_mul_hi_u32 s8, s33, s8
	s_add_i32 s33, s33, s8
	s_cmp_lt_i32 s3, 0
	s_mul_hi_u32 s16, s11, s33
	s_cbranch_scc0 .LBB290_6
; %bb.5:
	s_mul_i32 s8, s20, s38
	s_add_i32 s8, s10, s8
	s_mul_i32 s8, s8, s3
	s_sub_i32 s38, 1, s8
	s_mov_b64 s[8:9], 0
	s_branch .LBB290_7
.LBB290_6:
	s_mov_b64 s[8:9], -1
                                        ; implicit-def: $sgpr38
.LBB290_7:
	s_load_dwordx2 s[30:31], s[0:1], 0x28
	s_ashr_i32 s19, s12, 31
	s_andn2_b64 vcc, exec, s[8:9]
	s_ashr_i32 s44, s23, 31
	s_cbranch_vccnz .LBB290_9
; %bb.8:
	s_mul_i32 s8, s5, s20
	s_add_i32 s2, s8, s2
	s_mul_i32 s2, s2, s3
	s_add_i32 s38, s2, 1
.LBB290_9:
	s_load_dword s2, s[0:1], 0x38
	s_load_dwordx2 s[28:29], s[0:1], 0x0
	s_load_dwordx2 s[36:37], s[0:1], 0x18
	s_load_dword s23, s[0:1], 0x88
	s_load_dwordx4 s[12:15], s[0:1], 0x58
	s_mul_i32 s3, s16, s27
	s_waitcnt lgkmcnt(0)
	s_mul_i32 s34, s24, s2
	s_sub_i32 s3, s11, s3
	s_ashr_i32 s35, s34, 31
	s_xor_b32 s2, s19, s44
	s_add_i32 s8, s16, 1
	s_sub_i32 s9, s3, s27
	s_cmp_ge_u32 s3, s27
	s_cselect_b32 s8, s8, s16
	s_cselect_b32 s3, s9, s3
	s_add_i32 s9, s8, 1
	s_cmp_ge_u32 s3, s27
	s_cselect_b32 s3, s9, s8
	s_xor_b32 s3, s3, s2
	s_sub_i32 s16, s3, s2
	s_add_i32 s2, s25, 7
	s_ashr_i32 s3, s2, 31
	s_lshr_b32 s3, s3, 29
	s_add_i32 s2, s2, s3
	s_ashr_i32 s45, s2, 3
	v_lshrrev_b32_e32 v1, 6, v0
	v_cmp_gt_i32_e64 s[2:3], s45, v1
	v_mov_b32_e32 v20, 0xff7fffff
	s_mul_i32 s20, s10, s18
	v_lshrrev_b32_e32 v18, 4, v0
	v_lshlrev_b32_e32 v11, 3, v1
	v_mbcnt_lo_u32_b32 v16, -1, 0
	s_and_saveexec_b64 s[18:19], s[2:3]
	s_cbranch_execz .LBB290_59
; %bb.10:
	s_load_dwordx2 s[0:1], s[0:1], 0x10
	s_sub_i32 s47, s16, s21
	s_ashr_i32 s9, s20, 31
	v_bfe_u32 v17, v0, 3, 3
	v_mov_b32_e32 v3, 0
	s_waitcnt lgkmcnt(0)
	s_add_u32 s8, s0, s20
	s_addc_u32 s9, s1, s9
	s_abs_i32 s48, s22
	v_cvt_f32_u32_e32 v4, s48
	v_lshlrev_b32_e32 v8, 2, v17
	v_lshl_or_b32 v8, v1, 5, v8
	v_add_u32_e32 v23, 0xb0, v8
	v_rcp_iflag_f32_e32 v5, v4
	v_lshlrev_b32_e32 v4, 4, v17
	v_subrev_u32_e32 v8, s25, v17
	v_cmp_eq_u32_e32 vcc, 0, v2
	v_mul_f32_e32 v5, 0x4f7ffffe, v5
	v_cvt_u32_f32_e32 v6, v5
	v_mov_b32_e32 v5, v3
	v_lshl_add_u64 v[4:5], s[8:9], 0, v[4:5]
	s_sub_i32 s8, 0, s48
	v_mul_lo_u32 v7, s8, v6
	s_lshl_b64 s[8:9], s[34:35], 2
	v_mul_hi_u32 v7, v6, v7
	s_add_u32 s8, s30, s8
	v_add_u32_e32 v21, v6, v7
	v_and_b32_e32 v6, 60, v18
	v_mov_b32_e32 v7, v3
	s_addc_u32 s9, s31, s9
	s_mov_b32 s49, s17
	v_mul_u32_u24_e32 v19, 20, v2
	v_cmp_neq_f32_e64 s[0:1], s46, 0
	v_lshl_add_u64 v[6:7], s[8:9], 0, v[6:7]
	v_lshlrev_b32_e32 v22, 3, v1
	v_add_u32_e32 v24, 1, v8
	s_mov_b64 s[40:41], 0
	v_mov_b32_e32 v25, 0xff7fffff
	s_mov_b32 s50, 0x7f800000
	s_movk_i32 s51, 0x7fff
	v_mbcnt_hi_u32_b32 v26, -1, v16
	v_mov_b32_e32 v20, 0xff7fffff
	v_mov_b32_e32 v27, v1
	s_branch .LBB290_13
.LBB290_11:                             ;   in Loop: Header=BB290_13 Depth=1
	s_or_b64 exec, exec, s[42:43]
.LBB290_12:                             ;   in Loop: Header=BB290_13 Depth=1
	s_or_b64 exec, exec, s[10:11]
	v_add_u32_e32 v27, 2, v27
	v_cmp_le_i32_e64 s[8:9], s45, v27
	v_lshl_add_u64 v[6:7], v[6:7], 0, 8
	v_add_u32_e32 v22, 16, v22
	s_or_b64 s[40:41], s[8:9], s[40:41]
	v_add_u32_e32 v23, 64, v23
	s_andn2_b64 exec, exec, s[40:41]
	s_cbranch_execz .LBB290_58
.LBB290_13:                             ; =>This Inner Loop Header: Depth=1
	v_mul_hi_u32 v8, v22, s33
	s_waitcnt lgkmcnt(0)
	v_mul_lo_u32 v9, v8, s27
	v_sub_u32_e32 v9, v22, v9
	v_add_u32_e32 v12, 1, v8
	v_cmp_le_u32_e64 s[8:9], s27, v9
	s_nop 1
	v_cndmask_b32_e64 v8, v8, v12, s[8:9]
	v_subrev_u32_e32 v12, s27, v9
	v_cndmask_b32_e64 v9, v9, v12, s[8:9]
	v_add_u32_e32 v12, 1, v8
	v_cmp_le_u32_e64 s[8:9], s27, v9
	s_nop 1
	v_cndmask_b32_e64 v8, v8, v12, s[8:9]
	v_xor_b32_e32 v8, s44, v8
	v_subrev_u32_e32 v8, s44, v8
	v_add_u32_e32 v9, s38, v8
	v_sub_u32_e32 v13, 0, v9
	v_ashrrev_i32_e32 v12, 31, v9
	v_max_i32_e32 v9, v9, v13
	v_mul_hi_u32 v13, v9, v21
	v_mul_lo_u32 v13, v13, s48
	v_sub_u32_e32 v9, v9, v13
	v_subrev_u32_e32 v13, s48, v9
	v_cmp_le_u32_e64 s[8:9], s48, v9
	v_cmp_ge_i32_e64 s[10:11], s47, v8
	s_nop 0
	v_cndmask_b32_e64 v9, v9, v13, s[8:9]
	v_subrev_u32_e32 v13, s48, v9
	v_cmp_le_u32_e64 s[8:9], s48, v9
	s_nop 1
	v_cndmask_b32_e64 v9, v9, v13, s[8:9]
	v_xor_b32_e32 v9, v9, v12
	v_sub_u32_e32 v9, v9, v12
	v_cmp_ne_u32_e64 s[8:9], 0, v9
	s_and_b64 s[8:9], s[8:9], s[10:11]
	s_and_b64 s[42:43], vcc, s[8:9]
	s_and_saveexec_b64 s[10:11], s[42:43]
	s_cbranch_execz .LBB290_15
; %bb.14:                               ;   in Loop: Header=BB290_13 Depth=1
	ds_write_b32 v23, v25
.LBB290_15:                             ;   in Loop: Header=BB290_13 Depth=1
	s_or_b64 exec, exec, s[10:11]
	s_xor_b64 s[8:9], s[8:9], -1
	s_and_saveexec_b64 s[10:11], s[8:9]
	s_cbranch_execz .LBB290_12
; %bb.16:                               ;   in Loop: Header=BB290_13 Depth=1
	global_load_dword v8, v[6:7], off
	s_load_dword s52, s[12:13], 0x0
	s_waitcnt vmcnt(0)
	v_mad_i64_i32 v[8:9], s[8:9], v8, s49, v[4:5]
	v_lshl_add_u64 v[14:15], v[8:9], 0, v[2:3]
	global_load_ubyte v8, v[14:15], off
	s_waitcnt vmcnt(0)
	v_cvt_f32_fp8_sdwa v29, v8 src0_sel:BYTE_0
	ds_read2_b32 v[12:13], v19 offset1:1
	ds_read2_b32 v[8:9], v19 offset0:2 offset1:3
	ds_read_b32 v28, v19 offset:16
	s_waitcnt lgkmcnt(0)
	v_mul_f32_e32 v30, s52, v29
	v_and_b32_e32 v29, 0x7f800000, v30
	v_cmp_ne_u32_e64 s[8:9], s50, v29
                                        ; implicit-def: $vgpr29
	s_and_saveexec_b64 s[42:43], s[8:9]
	s_xor_b64 s[8:9], exec, s[42:43]
; %bb.17:                               ;   in Loop: Header=BB290_13 Depth=1
	v_bfe_u32 v29, v30, 16, 1
	v_add3_u32 v29, v30, v29, s51
                                        ; implicit-def: $vgpr30
; %bb.18:                               ;   in Loop: Header=BB290_13 Depth=1
	s_andn2_saveexec_b64 s[42:43], s[8:9]
; %bb.19:                               ;   in Loop: Header=BB290_13 Depth=1
	v_or_b32_e32 v29, 0x10000, v30
	v_cmp_eq_u32_sdwa s[8:9], v30, v3 src0_sel:WORD_0 src1_sel:DWORD
	s_nop 1
	v_cndmask_b32_e64 v29, v29, v30, s[8:9]
; %bb.20:                               ;   in Loop: Header=BB290_13 Depth=1
	s_or_b64 exec, exec, s[42:43]
	global_load_ubyte v30, v[14:15], off offset:8
	s_waitcnt vmcnt(0)
	v_cvt_f32_fp8_sdwa v30, v30 src0_sel:BYTE_0
	s_nop 0
	v_mul_f32_e32 v31, s52, v30
	v_and_b32_e32 v30, 0x7f800000, v31
	v_cmp_ne_u32_e64 s[8:9], s50, v30
                                        ; implicit-def: $vgpr30
	s_and_saveexec_b64 s[42:43], s[8:9]
	s_xor_b64 s[8:9], exec, s[42:43]
; %bb.21:                               ;   in Loop: Header=BB290_13 Depth=1
	v_bfe_u32 v30, v31, 16, 1
	v_add3_u32 v30, v31, v30, s51
                                        ; implicit-def: $vgpr31
; %bb.22:                               ;   in Loop: Header=BB290_13 Depth=1
	s_andn2_saveexec_b64 s[42:43], s[8:9]
; %bb.23:                               ;   in Loop: Header=BB290_13 Depth=1
	v_or_b32_e32 v30, 0x10000, v31
	v_cmp_eq_u32_sdwa s[8:9], v31, v3 src0_sel:WORD_0 src1_sel:DWORD
	s_nop 1
	v_cndmask_b32_e64 v30, v30, v31, s[8:9]
; %bb.24:                               ;   in Loop: Header=BB290_13 Depth=1
	s_or_b64 exec, exec, s[42:43]
	global_load_ubyte v31, v[14:15], off offset:128
	s_waitcnt vmcnt(0)
	v_cvt_f32_fp8_sdwa v31, v31 src0_sel:BYTE_0
	s_nop 0
	v_mul_f32_e32 v32, s52, v31
	v_and_b32_e32 v31, 0x7f800000, v32
	v_cmp_ne_u32_e64 s[8:9], s50, v31
                                        ; implicit-def: $vgpr31
	s_and_saveexec_b64 s[42:43], s[8:9]
	s_xor_b64 s[8:9], exec, s[42:43]
; %bb.25:                               ;   in Loop: Header=BB290_13 Depth=1
	v_bfe_u32 v31, v32, 16, 1
	v_add3_u32 v31, v32, v31, s51
                                        ; implicit-def: $vgpr32
; %bb.26:                               ;   in Loop: Header=BB290_13 Depth=1
	s_andn2_saveexec_b64 s[42:43], s[8:9]
; %bb.27:                               ;   in Loop: Header=BB290_13 Depth=1
	v_or_b32_e32 v31, 0x10000, v32
	v_cmp_eq_u32_sdwa s[8:9], v32, v3 src0_sel:WORD_0 src1_sel:DWORD
	s_nop 1
	v_cndmask_b32_e64 v31, v31, v32, s[8:9]
; %bb.28:                               ;   in Loop: Header=BB290_13 Depth=1
	s_or_b64 exec, exec, s[42:43]
	global_load_ubyte v32, v[14:15], off offset:136
	s_waitcnt vmcnt(0)
	v_cvt_f32_fp8_sdwa v32, v32 src0_sel:BYTE_0
	s_nop 0
	v_mul_f32_e32 v33, s52, v32
	v_and_b32_e32 v32, 0x7f800000, v33
	v_cmp_ne_u32_e64 s[8:9], s50, v32
                                        ; implicit-def: $vgpr32
	s_and_saveexec_b64 s[42:43], s[8:9]
	s_xor_b64 s[8:9], exec, s[42:43]
; %bb.29:                               ;   in Loop: Header=BB290_13 Depth=1
	v_bfe_u32 v32, v33, 16, 1
	v_add3_u32 v32, v33, v32, s51
                                        ; implicit-def: $vgpr33
; %bb.30:                               ;   in Loop: Header=BB290_13 Depth=1
	s_andn2_saveexec_b64 s[42:43], s[8:9]
; %bb.31:                               ;   in Loop: Header=BB290_13 Depth=1
	v_or_b32_e32 v32, 0x10000, v33
	v_cmp_eq_u32_sdwa s[8:9], v33, v3 src0_sel:WORD_0 src1_sel:DWORD
	s_nop 1
	v_cndmask_b32_e64 v32, v32, v33, s[8:9]
; %bb.32:                               ;   in Loop: Header=BB290_13 Depth=1
	s_or_b64 exec, exec, s[42:43]
	global_load_ubyte v33, v[14:15], off offset:256
	s_waitcnt vmcnt(0)
	v_cvt_f32_fp8_sdwa v33, v33 src0_sel:BYTE_0
	s_nop 0
	v_mul_f32_e32 v34, s52, v33
	v_and_b32_e32 v33, 0x7f800000, v34
	v_cmp_ne_u32_e64 s[8:9], s50, v33
                                        ; implicit-def: $vgpr33
	s_and_saveexec_b64 s[42:43], s[8:9]
	s_xor_b64 s[8:9], exec, s[42:43]
; %bb.33:                               ;   in Loop: Header=BB290_13 Depth=1
	v_bfe_u32 v33, v34, 16, 1
	v_add3_u32 v33, v34, v33, s51
                                        ; implicit-def: $vgpr34
; %bb.34:                               ;   in Loop: Header=BB290_13 Depth=1
	s_andn2_saveexec_b64 s[42:43], s[8:9]
; %bb.35:                               ;   in Loop: Header=BB290_13 Depth=1
	v_or_b32_e32 v33, 0x10000, v34
	v_cmp_eq_u32_sdwa s[8:9], v34, v3 src0_sel:WORD_0 src1_sel:DWORD
	s_nop 1
	v_cndmask_b32_e64 v33, v33, v34, s[8:9]
; %bb.36:                               ;   in Loop: Header=BB290_13 Depth=1
	s_or_b64 exec, exec, s[42:43]
	global_load_ubyte v34, v[14:15], off offset:264
	s_waitcnt vmcnt(0)
	v_cvt_f32_fp8_sdwa v34, v34 src0_sel:BYTE_0
	s_nop 0
	v_mul_f32_e32 v35, s52, v34
	v_and_b32_e32 v34, 0x7f800000, v35
	v_cmp_ne_u32_e64 s[8:9], s50, v34
                                        ; implicit-def: $vgpr34
	s_and_saveexec_b64 s[42:43], s[8:9]
	s_xor_b64 s[8:9], exec, s[42:43]
; %bb.37:                               ;   in Loop: Header=BB290_13 Depth=1
	v_bfe_u32 v34, v35, 16, 1
	v_add3_u32 v34, v35, v34, s51
                                        ; implicit-def: $vgpr35
; %bb.38:                               ;   in Loop: Header=BB290_13 Depth=1
	s_andn2_saveexec_b64 s[42:43], s[8:9]
; %bb.39:                               ;   in Loop: Header=BB290_13 Depth=1
	v_or_b32_e32 v34, 0x10000, v35
	v_cmp_eq_u32_sdwa s[8:9], v35, v3 src0_sel:WORD_0 src1_sel:DWORD
	s_nop 1
	v_cndmask_b32_e64 v34, v34, v35, s[8:9]
; %bb.40:                               ;   in Loop: Header=BB290_13 Depth=1
	s_or_b64 exec, exec, s[42:43]
	global_load_ubyte v35, v[14:15], off offset:384
	s_waitcnt vmcnt(0)
	v_cvt_f32_fp8_sdwa v35, v35 src0_sel:BYTE_0
	s_nop 0
	v_mul_f32_e32 v36, s52, v35
	v_and_b32_e32 v35, 0x7f800000, v36
	v_cmp_ne_u32_e64 s[8:9], s50, v35
                                        ; implicit-def: $vgpr35
	s_and_saveexec_b64 s[42:43], s[8:9]
	s_xor_b64 s[8:9], exec, s[42:43]
; %bb.41:                               ;   in Loop: Header=BB290_13 Depth=1
	v_bfe_u32 v35, v36, 16, 1
	v_add3_u32 v35, v36, v35, s51
                                        ; implicit-def: $vgpr36
; %bb.42:                               ;   in Loop: Header=BB290_13 Depth=1
	s_andn2_saveexec_b64 s[42:43], s[8:9]
; %bb.43:                               ;   in Loop: Header=BB290_13 Depth=1
	v_or_b32_e32 v35, 0x10000, v36
	v_cmp_eq_u32_sdwa s[8:9], v36, v3 src0_sel:WORD_0 src1_sel:DWORD
	s_nop 1
	v_cndmask_b32_e64 v35, v35, v36, s[8:9]
; %bb.44:                               ;   in Loop: Header=BB290_13 Depth=1
	s_or_b64 exec, exec, s[42:43]
	global_load_ubyte v36, v[14:15], off offset:392
	s_waitcnt vmcnt(0)
	v_cvt_f32_fp8_sdwa v36, v36 src0_sel:BYTE_0
	s_nop 0
	v_mul_f32_e32 v37, s52, v36
	v_and_b32_e32 v36, 0x7f800000, v37
	v_cmp_ne_u32_e64 s[8:9], s50, v36
                                        ; implicit-def: $vgpr36
	s_and_saveexec_b64 s[42:43], s[8:9]
	s_xor_b64 s[8:9], exec, s[42:43]
; %bb.45:                               ;   in Loop: Header=BB290_13 Depth=1
	v_bfe_u32 v36, v37, 16, 1
	v_add3_u32 v36, v37, v36, s51
                                        ; implicit-def: $vgpr37
; %bb.46:                               ;   in Loop: Header=BB290_13 Depth=1
	s_andn2_saveexec_b64 s[42:43], s[8:9]
; %bb.47:                               ;   in Loop: Header=BB290_13 Depth=1
	v_or_b32_e32 v36, 0x10000, v37
	v_cmp_eq_u32_sdwa s[8:9], v37, v3 src0_sel:WORD_0 src1_sel:DWORD
	s_nop 1
	v_cndmask_b32_e64 v36, v36, v37, s[8:9]
; %bb.48:                               ;   in Loop: Header=BB290_13 Depth=1
	s_or_b64 exec, exec, s[42:43]
	global_load_ubyte v37, v[14:15], off offset:512
	s_waitcnt vmcnt(0)
	v_cvt_f32_fp8_sdwa v37, v37 src0_sel:BYTE_0
	s_nop 0
	v_mul_f32_e32 v38, s52, v37
	v_and_b32_e32 v37, 0x7f800000, v38
	v_cmp_ne_u32_e64 s[8:9], s50, v37
                                        ; implicit-def: $vgpr37
	s_and_saveexec_b64 s[42:43], s[8:9]
	s_xor_b64 s[8:9], exec, s[42:43]
; %bb.49:                               ;   in Loop: Header=BB290_13 Depth=1
	v_bfe_u32 v37, v38, 16, 1
	v_add3_u32 v37, v38, v37, s51
                                        ; implicit-def: $vgpr38
; %bb.50:                               ;   in Loop: Header=BB290_13 Depth=1
	s_andn2_saveexec_b64 s[42:43], s[8:9]
; %bb.51:                               ;   in Loop: Header=BB290_13 Depth=1
	v_or_b32_e32 v37, 0x10000, v38
	v_cmp_eq_u32_sdwa s[8:9], v38, v3 src0_sel:WORD_0 src1_sel:DWORD
	s_nop 1
	v_cndmask_b32_e64 v37, v37, v38, s[8:9]
; %bb.52:                               ;   in Loop: Header=BB290_13 Depth=1
	s_or_b64 exec, exec, s[42:43]
	global_load_ubyte v14, v[14:15], off offset:520
	s_waitcnt vmcnt(0)
	v_cvt_f32_fp8_sdwa v14, v14 src0_sel:BYTE_0
	s_nop 0
	v_mul_f32_e32 v15, s52, v14
	v_and_b32_e32 v14, 0x7f800000, v15
	v_cmp_ne_u32_e64 s[8:9], s50, v14
                                        ; implicit-def: $vgpr14
	s_and_saveexec_b64 s[42:43], s[8:9]
	s_xor_b64 s[8:9], exec, s[42:43]
; %bb.53:                               ;   in Loop: Header=BB290_13 Depth=1
	v_bfe_u32 v14, v15, 16, 1
	v_add3_u32 v14, v15, v14, s51
                                        ; implicit-def: $vgpr15
; %bb.54:                               ;   in Loop: Header=BB290_13 Depth=1
	s_andn2_saveexec_b64 s[42:43], s[8:9]
; %bb.55:                               ;   in Loop: Header=BB290_13 Depth=1
	v_or_b32_e32 v14, 0x10000, v15
	v_cmp_eq_u32_sdwa s[8:9], v15, v3 src0_sel:WORD_0 src1_sel:DWORD
	s_nop 1
	v_cndmask_b32_e64 v14, v14, v15, s[8:9]
; %bb.56:                               ;   in Loop: Header=BB290_13 Depth=1
	s_or_b64 exec, exec, s[42:43]
	v_and_b32_e32 v15, 0xffff0000, v37
	v_and_b32_e32 v30, 0xffff0000, v30
	v_lshlrev_b32_e32 v37, 16, v12
	v_and_b32_e32 v12, 0xffff0000, v12
	v_and_b32_e32 v29, 0xffff0000, v29
	v_mul_f32_e32 v12, v12, v30
	v_and_b32_e32 v31, 0xffff0000, v31
	v_lshlrev_b32_e32 v38, 16, v13
	v_fmac_f32_e32 v12, v37, v29
	v_and_b32_e32 v32, 0xffff0000, v32
	v_and_b32_e32 v13, 0xffff0000, v13
	v_fmac_f32_e32 v12, v38, v31
	v_and_b32_e32 v33, 0xffff0000, v33
	v_lshlrev_b32_e32 v39, 16, v8
	v_fmac_f32_e32 v12, v13, v32
	v_and_b32_e32 v34, 0xffff0000, v34
	v_and_b32_e32 v8, 0xffff0000, v8
	v_fmac_f32_e32 v12, v39, v33
	v_and_b32_e32 v35, 0xffff0000, v35
	v_lshlrev_b32_e32 v40, 16, v9
	v_and_b32_e32 v42, 64, v26
	v_fmac_f32_e32 v12, v8, v34
	v_and_b32_e32 v36, 0xffff0000, v36
	v_and_b32_e32 v9, 0xffff0000, v9
	v_add_u32_e32 v42, 64, v42
	v_xor_b32_e32 v43, 4, v26
	v_fmac_f32_e32 v12, v40, v35
	v_lshlrev_b32_e32 v41, 16, v28
	v_cmp_lt_i32_e64 s[8:9], v43, v42
	v_fmac_f32_e32 v12, v9, v36
	v_and_b32_e32 v28, 0xffff0000, v28
	v_cndmask_b32_e64 v43, v26, v43, s[8:9]
	v_and_b32_e32 v14, 0xffff0000, v14
	v_fmac_f32_e32 v12, v41, v15
	v_lshlrev_b32_e32 v43, 2, v43
	v_fmac_f32_e32 v12, v28, v14
	ds_bpermute_b32 v8, v43, v12
	v_xor_b32_e32 v9, 2, v26
	v_cmp_lt_i32_e64 s[8:9], v9, v42
	s_waitcnt lgkmcnt(0)
	v_add_f32_e32 v8, v12, v8
	v_cndmask_b32_e64 v9, v26, v9, s[8:9]
	v_lshlrev_b32_e32 v9, 2, v9
	ds_bpermute_b32 v9, v9, v8
	v_xor_b32_e32 v12, 1, v26
	v_cmp_lt_i32_e64 s[8:9], v12, v42
	s_waitcnt lgkmcnt(0)
	v_add_f32_e32 v8, v8, v9
	v_cndmask_b32_e64 v12, v26, v12, s[8:9]
	v_lshlrev_b32_e32 v12, 2, v12
	ds_bpermute_b32 v9, v12, v8
	s_and_saveexec_b64 s[42:43], vcc
	s_cbranch_execz .LBB290_11
; %bb.57:                               ;   in Loop: Header=BB290_13 Depth=1
	v_add_u32_e32 v12, v24, v22
	v_cvt_f32_i32_e32 v12, v12
	s_waitcnt lgkmcnt(0)
	v_add_f32_e32 v8, v8, v9
	v_add_u32_e32 v13, v17, v22
	v_cmp_gt_i32_e64 s[8:9], s25, v13
	v_mul_f32_e32 v9, s46, v12
	v_cndmask_b32_e64 v9, 0, v9, s[0:1]
	v_fmac_f32_e32 v9, s39, v8
	v_cndmask_b32_e64 v8, 0, v9, s[8:9]
	ds_write_b32 v23, v8
	v_max_f32_e32 v8, v20, v20
	v_max_f32_e32 v8, v8, v9
	v_cndmask_b32_e64 v20, v20, v8, s[8:9]
	s_branch .LBB290_11
.LBB290_58:
	s_or_b64 exec, exec, s[40:41]
.LBB290_59:
	s_or_b64 exec, exec, s[18:19]
	v_mbcnt_hi_u32_b32 v2, -1, v16
	v_and_b32_e32 v3, 64, v2
	v_add_u32_e32 v3, 64, v3
	v_xor_b32_e32 v4, 32, v2
	v_cmp_lt_i32_e32 vcc, v4, v3
	v_xor_b32_e32 v7, 16, v2
	v_max_f32_e32 v6, v20, v20
	v_cndmask_b32_e32 v4, v2, v4, vcc
	v_lshlrev_b32_e32 v5, 2, v4
	ds_bpermute_b32 v4, v5, v20
	v_cmp_lt_i32_e32 vcc, v7, v3
	v_xor_b32_e32 v8, 8, v2
	v_and_b32_e32 v20, 63, v0
	s_waitcnt lgkmcnt(0)
	v_max_f32_e32 v4, v4, v4
	v_max_f32_e32 v4, v6, v4
	v_cndmask_b32_e32 v6, v2, v7, vcc
	v_lshlrev_b32_e32 v7, 2, v6
	ds_bpermute_b32 v6, v7, v4
	v_cmp_lt_i32_e32 vcc, v8, v3
	s_waitcnt lgkmcnt(0)
	v_max_f32_e32 v6, v6, v6
	v_max_f32_e32 v6, v4, v6
	v_cndmask_b32_e32 v4, v2, v8, vcc
	v_lshlrev_b32_e32 v9, 2, v4
	ds_bpermute_b32 v8, v9, v6
	v_cmp_eq_u32_e32 vcc, 0, v20
	v_lshlrev_b32_e32 v4, 2, v1
	s_and_saveexec_b64 s[0:1], vcc
	s_cbranch_execz .LBB290_61
; %bb.60:
	s_waitcnt lgkmcnt(0)
	v_max_f32_e32 v8, v8, v8
	v_max_f32_e32 v6, v6, v6
	;; [unrolled: 1-line block ×3, first 2 shown]
	ds_write_b32 v4, v6 offset:160
.LBB290_61:
	s_or_b64 exec, exec, s[0:1]
	v_cmp_gt_u32_e64 s[0:1], 2, v20
	v_mov_b32_e32 v12, 0xff7fffff
	v_lshlrev_b32_e32 v6, 2, v20
	s_waitcnt lgkmcnt(0)
	s_barrier
	s_and_saveexec_b64 s[8:9], s[0:1]
	s_cbranch_execz .LBB290_63
; %bb.62:
	ds_read_b32 v12, v6 offset:160
.LBB290_63:
	s_or_b64 exec, exec, s[8:9]
	v_xor_b32_e32 v8, 1, v2
	v_cmp_lt_i32_e64 s[8:9], v8, v3
	v_lshlrev_b32_e32 v14, 2, v2
	s_nop 0
	v_cndmask_b32_e64 v8, v2, v8, s[8:9]
	v_lshlrev_b32_e32 v8, 2, v8
	s_waitcnt lgkmcnt(0)
	ds_bpermute_b32 v13, v8, v12
	v_max_f32_e32 v12, v12, v12
	s_lshl_b32 s8, s45, 3
	s_min_i32 s39, s8, s25
	v_cmp_gt_i32_e64 s[8:9], s39, v0
	s_waitcnt lgkmcnt(0)
	v_max_f32_e32 v13, v13, v13
	v_max_f32_e32 v13, v12, v13
	v_and_b32_e32 v12, 0x100, v14
	ds_bpermute_b32 v14, v12, v13
	v_mov_b32_e32 v13, 0
	s_and_saveexec_b64 s[12:13], s[8:9]
	s_cbranch_execz .LBB290_67
; %bb.64:
	v_mov_b32_e32 v13, 0xb0
	v_lshl_add_u32 v15, v0, 2, v13
	s_mov_b64 s[18:19], 0
	v_mov_b32_e32 v13, 0
	v_mov_b32_e32 v16, v0
.LBB290_65:                             ; =>This Inner Loop Header: Depth=1
	ds_read_b32 v17, v15
	v_add_u32_e32 v16, 0x80, v16
	v_cmp_le_i32_e64 s[10:11], s39, v16
	s_or_b64 s[18:19], s[10:11], s[18:19]
	s_waitcnt lgkmcnt(0)
	v_sub_f32_e32 v17, v17, v14
	v_mul_f32_e32 v17, 0x3fb8aa3b, v17
	v_exp_f32_e32 v17, v17
	ds_write_b32 v15, v17
	v_add_f32_e32 v13, v13, v17
	v_add_u32_e32 v15, 0x200, v15
	s_andn2_b64 exec, exec, s[18:19]
	s_cbranch_execnz .LBB290_65
; %bb.66:
	s_or_b64 exec, exec, s[18:19]
.LBB290_67:
	s_or_b64 exec, exec, s[12:13]
	ds_bpermute_b32 v5, v5, v13
	s_waitcnt lgkmcnt(0)
	v_add_f32_e32 v5, v13, v5
	ds_bpermute_b32 v7, v7, v5
	s_waitcnt lgkmcnt(0)
	v_add_f32_e32 v5, v5, v7
	ds_bpermute_b32 v7, v9, v5
	v_xor_b32_e32 v9, 4, v2
	v_cmp_lt_i32_e64 s[10:11], v9, v3
	s_waitcnt lgkmcnt(0)
	v_add_f32_e32 v5, v5, v7
	v_cndmask_b32_e64 v9, v2, v9, s[10:11]
	v_lshlrev_b32_e32 v9, 2, v9
	ds_bpermute_b32 v7, v9, v5
	v_xor_b32_e32 v9, 2, v2
	v_cmp_lt_i32_e64 s[10:11], v9, v3
	s_waitcnt lgkmcnt(0)
	v_add_f32_e32 v3, v5, v7
	v_cndmask_b32_e64 v2, v2, v9, s[10:11]
	v_lshlrev_b32_e32 v2, 2, v2
	ds_bpermute_b32 v2, v2, v3
	s_waitcnt lgkmcnt(0)
	v_add_f32_e32 v2, v3, v2
	ds_bpermute_b32 v3, v8, v2
	s_waitcnt lgkmcnt(0)
	v_add_f32_e32 v2, v2, v3
	s_and_saveexec_b64 s[10:11], vcc
	s_cbranch_execz .LBB290_69
; %bb.68:
	ds_write_b32 v4, v2 offset:168
.LBB290_69:
	s_or_b64 exec, exec, s[10:11]
	s_waitcnt lgkmcnt(0)
	s_barrier
	s_and_saveexec_b64 s[10:11], s[0:1]
	s_cbranch_execz .LBB290_71
; %bb.70:
	ds_read_b32 v2, v6 offset:168
.LBB290_71:
	s_or_b64 exec, exec, s[10:11]
	s_waitcnt lgkmcnt(0)
	ds_bpermute_b32 v3, v8, v2
	s_waitcnt lgkmcnt(0)
	v_add_f32_e32 v2, v2, v3
	ds_bpermute_b32 v2, v12, v2
	s_and_saveexec_b64 s[0:1], s[8:9]
	s_cbranch_execz .LBB290_84
; %bb.72:
	s_waitcnt lgkmcnt(0)
	v_add_f32_e32 v2, 0x358637bd, v2
	v_div_scale_f32 v3, s[8:9], v2, v2, 1.0
	v_rcp_f32_e32 v4, v3
	v_div_scale_f32 v5, vcc, 1.0, v2, 1.0
	s_movk_i32 s8, 0x7f
	v_fma_f32 v6, -v3, v4, 1.0
	v_fmac_f32_e32 v4, v6, v4
	v_mul_f32_e32 v6, v5, v4
	v_fma_f32 v7, -v3, v6, v5
	v_fmac_f32_e32 v6, v7, v4
	v_fma_f32 v3, -v3, v6, v5
	v_div_fmas_f32 v3, v3, v4, v6
	v_xad_u32 v4, v0, -1, s39
	v_div_fixup_f32 v2, v3, v2, 1.0
	v_cmp_lt_u32_e32 vcc, s8, v4
	s_mov_b64 s[10:11], -1
	v_mov_b32_e32 v3, v0
	s_and_saveexec_b64 s[8:9], vcc
	s_cbranch_execz .LBB290_81
; %bb.73:
	v_lshrrev_b32_e32 v4, 7, v4
	v_add_u32_e32 v6, -1, v4
	v_lshrrev_b32_e32 v5, 1, v6
	v_mov_b32_e32 v3, v2
	v_add_u32_e32 v5, 1, v5
	v_cmp_lt_u32_e32 vcc, 13, v6
	v_mov_b32_e32 v8, 0
	s_and_saveexec_b64 s[10:11], vcc
	s_cbranch_execz .LBB290_77
; %bb.74:
	v_mov_b32_e32 v7, 0xb0
	v_and_b32_e32 v6, -8, v5
	v_lshl_add_u32 v7, v0, 2, v7
	s_mov_b32 s18, 0
	s_mov_b64 s[12:13], 0
.LBB290_75:                             ; =>This Inner Loop Header: Depth=1
	ds_read2st64_b32 v[8:9], v7 offset1:2
	ds_read2st64_b32 v[12:13], v7 offset0:4 offset1:6
	ds_read2st64_b32 v[14:15], v7 offset0:8 offset1:10
	;; [unrolled: 1-line block ×3, first 2 shown]
	v_add_u32_e32 v6, -8, v6
	s_waitcnt lgkmcnt(3)
	v_pk_mul_f32 v[8:9], v[2:3], v[8:9]
	s_waitcnt lgkmcnt(2)
	v_pk_mul_f32 v[12:13], v[2:3], v[12:13]
	ds_write2st64_b32 v7, v8, v9 offset1:2
	ds_write2st64_b32 v7, v12, v13 offset0:4 offset1:6
	ds_read2st64_b32 v[12:13], v7 offset0:16 offset1:18
	s_waitcnt lgkmcnt(4)
	v_pk_mul_f32 v[8:9], v[2:3], v[14:15]
	ds_write2st64_b32 v7, v8, v9 offset0:8 offset1:10
	s_waitcnt lgkmcnt(4)
	v_pk_mul_f32 v[8:9], v[2:3], v[16:17]
	ds_write2st64_b32 v7, v8, v9 offset0:12 offset1:14
	ds_read2st64_b32 v[8:9], v7 offset0:20 offset1:22
	s_waitcnt lgkmcnt(3)
	v_pk_mul_f32 v[12:13], v[2:3], v[12:13]
	ds_read2st64_b32 v[14:15], v7 offset0:24 offset1:26
	ds_write2st64_b32 v7, v12, v13 offset0:16 offset1:18
	ds_read2st64_b32 v[12:13], v7 offset0:28 offset1:30
	s_waitcnt lgkmcnt(3)
	v_pk_mul_f32 v[8:9], v[2:3], v[8:9]
	ds_write2st64_b32 v7, v8, v9 offset0:20 offset1:22
	s_waitcnt lgkmcnt(3)
	v_pk_mul_f32 v[8:9], v[2:3], v[14:15]
	ds_write2st64_b32 v7, v8, v9 offset0:24 offset1:26
	s_waitcnt lgkmcnt(2)
	v_pk_mul_f32 v[8:9], v[2:3], v[12:13]
	s_add_i32 s18, s18, 16
	v_cmp_eq_u32_e32 vcc, 0, v6
	ds_write2st64_b32 v7, v8, v9 offset0:28 offset1:30
	v_add_u32_e32 v7, 0x2000, v7
	s_or_b64 s[12:13], vcc, s[12:13]
	v_mov_b32_e32 v8, s18
	s_andn2_b64 exec, exec, s[12:13]
	s_cbranch_execnz .LBB290_75
; %bb.76:
	s_or_b64 exec, exec, s[12:13]
.LBB290_77:
	s_or_b64 exec, exec, s[10:11]
	v_and_b32_e32 v5, 7, v5
	v_cmp_ne_u32_e32 vcc, 0, v5
	s_and_saveexec_b64 s[10:11], vcc
	s_cbranch_execz .LBB290_80
; %bb.78:
	v_lshlrev_b32_e32 v6, 9, v8
	v_lshlrev_b32_e32 v7, 2, v0
	s_movk_i32 s12, 0xb0
	v_add3_u32 v6, v6, v7, s12
	s_mov_b64 s[12:13], 0
.LBB290_79:                             ; =>This Inner Loop Header: Depth=1
	ds_read2st64_b32 v[8:9], v6 offset1:2
	v_add_u32_e32 v5, -1, v5
	v_cmp_eq_u32_e32 vcc, 0, v5
	s_or_b64 s[12:13], vcc, s[12:13]
	s_waitcnt lgkmcnt(0)
	v_pk_mul_f32 v[8:9], v[2:3], v[8:9]
	ds_write2st64_b32 v6, v8, v9 offset1:2
	v_add_u32_e32 v6, 0x400, v6
	s_andn2_b64 exec, exec, s[12:13]
	s_cbranch_execnz .LBB290_79
.LBB290_80:
	s_or_b64 exec, exec, s[10:11]
	v_add_u32_e32 v4, 1, v4
	v_and_b32_e32 v5, 0x3fffffe, v4
	v_cmp_ne_u32_e32 vcc, v4, v5
	v_lshl_add_u32 v3, v5, 7, v0
	s_orn2_b64 s[10:11], vcc, exec
.LBB290_81:
	s_or_b64 exec, exec, s[8:9]
	s_and_b64 exec, exec, s[10:11]
	s_cbranch_execz .LBB290_84
; %bb.82:
	v_mov_b32_e32 v4, 0xb0
	v_lshl_add_u32 v4, v3, 2, v4
	s_mov_b64 s[8:9], 0
.LBB290_83:                             ; =>This Inner Loop Header: Depth=1
	ds_read_b32 v5, v4
	v_add_u32_e32 v3, 0x80, v3
	v_cmp_le_i32_e32 vcc, s39, v3
	s_or_b64 s[8:9], vcc, s[8:9]
	s_waitcnt lgkmcnt(0)
	v_mul_f32_e32 v5, v2, v5
	ds_write_b32 v4, v5
	v_add_u32_e32 v4, 0x200, v4
	s_andn2_b64 exec, exec, s[8:9]
	s_cbranch_execnz .LBB290_83
.LBB290_84:
	s_or_b64 exec, exec, s[0:1]
	v_mov_b32_e32 v13, 0
	v_mov_b32_e32 v12, v13
	s_waitcnt lgkmcnt(0)
	s_barrier
	s_and_saveexec_b64 s[8:9], s[2:3]
	s_cbranch_execz .LBB290_256
; %bb.85:
	s_sub_i32 s39, s16, s21
	s_ashr_i32 s0, s20, 31
	s_add_u32 s10, s36, s20
	s_addc_u32 s11, s37, s0
	s_abs_i32 s22, s22
	v_cvt_f32_u32_e32 v2, s22
	v_or_b32_e32 v3, 64, v20
	s_movk_i32 s0, 0x50
	v_cmp_gt_u32_e32 vcc, s0, v3
	v_rcp_iflag_f32_e32 v2, v2
	s_sub_i32 s0, 0, s22
	s_add_i32 s36, s45, -1
	v_lshlrev_b32_e32 v16, 3, v3
	v_mul_f32_e32 v2, 0x4f7ffffe, v2
	v_cvt_u32_f32_e32 v2, v2
	v_mov_b32_e32 v15, 0
	s_mov_b32 s40, s17
	v_lshlrev_b32_e32 v14, 3, v20
	v_mul_lo_u32 v3, s0, v2
	s_lshl_b64 s[0:1], s[34:35], 2
	v_mul_hi_u32 v3, v2, v3
	s_add_u32 s0, s30, s0
	v_add_u32_e32 v21, v2, v3
	v_and_b32_e32 v2, 60, v18
	v_mov_b32_e32 v3, v15
	s_addc_u32 s1, s31, s1
	v_lshl_add_u64 v[18:19], s[0:1], 0, v[2:3]
	v_mov_b32_e32 v2, 0xb0
	v_mov_b32_e32 v17, v15
	v_lshl_add_u32 v22, v1, 5, v2
	s_mov_b64 s[12:13], 0
	s_mov_b32 s30, 0x7f800000
	s_movk_i32 s31, 0x7fff
	v_mov_b32_e32 v12, v15
	v_mov_b32_e32 v13, v15
	s_branch .LBB290_89
.LBB290_86:                             ;   in Loop: Header=BB290_89 Depth=1
	s_or_b64 exec, exec, s[2:3]
	v_and_b32_e32 v27, 0xffff0000, v5
	v_and_b32_e32 v26, 0xffff0000, v9
	;; [unrolled: 1-line block ×6, first 2 shown]
	v_pk_add_f32 v[4:5], v[4:5], v[8:9]
	v_and_b32_e32 v25, 0xffff0000, v24
	v_and_b32_e32 v24, 0xffff0000, v23
	v_mov_b32_e32 v6, v5
	v_pk_add_f32 v[4:5], v[4:5], v[6:7]
	v_pk_add_f32 v[6:7], v[26:27], v[24:25]
	s_nop 0
	v_pk_add_f32 v[4:5], v[4:5], v[6:7]
	v_mov_b32_e32 v6, v7
	v_pk_add_f32 v[4:5], v[4:5], v[6:7]
	s_nop 0
	v_mov_b32_e32 v3, v4
	v_pk_add_f32 v[12:13], v[12:13], v[2:3]
.LBB290_87:                             ;   in Loop: Header=BB290_89 Depth=1
	s_or_b64 exec, exec, s[18:19]
	v_mov_b32_e32 v12, v2
.LBB290_88:                             ;   in Loop: Header=BB290_89 Depth=1
	s_or_b64 exec, exec, s[16:17]
	v_add_u32_e32 v1, 2, v1
	v_cmp_le_i32_e64 s[0:1], s45, v1
	v_lshl_add_u64 v[18:19], v[18:19], 0, 8
	v_add_u32_e32 v11, 16, v11
	s_or_b64 s[12:13], s[0:1], s[12:13]
	v_add_u32_e32 v22, 64, v22
	s_andn2_b64 exec, exec, s[12:13]
	s_cbranch_execz .LBB290_255
.LBB290_89:                             ; =>This Inner Loop Header: Depth=1
	v_mul_hi_u32 v2, v11, s33
	v_mul_lo_u32 v3, v2, s27
	v_sub_u32_e32 v3, v11, v3
	v_add_u32_e32 v4, 1, v2
	v_cmp_le_u32_e64 s[0:1], s27, v3
	s_nop 1
	v_cndmask_b32_e64 v2, v2, v4, s[0:1]
	v_subrev_u32_e32 v4, s27, v3
	v_cndmask_b32_e64 v3, v3, v4, s[0:1]
	v_add_u32_e32 v4, 1, v2
	v_cmp_le_u32_e64 s[0:1], s27, v3
	s_nop 1
	v_cndmask_b32_e64 v2, v2, v4, s[0:1]
	v_xor_b32_e32 v2, s44, v2
	v_subrev_u32_e32 v2, s44, v2
	v_add_u32_e32 v3, s38, v2
	v_sub_u32_e32 v5, 0, v3
	v_ashrrev_i32_e32 v4, 31, v3
	v_max_i32_e32 v3, v3, v5
	v_mul_hi_u32 v5, v3, v21
	v_mul_lo_u32 v5, v5, s22
	v_sub_u32_e32 v3, v3, v5
	v_subrev_u32_e32 v5, s22, v3
	v_cmp_le_u32_e64 s[0:1], s22, v3
	v_cmp_lt_i32_e64 s[2:3], s39, v2
	s_nop 0
	v_cndmask_b32_e64 v3, v3, v5, s[0:1]
	v_subrev_u32_e32 v5, s22, v3
	v_cmp_le_u32_e64 s[0:1], s22, v3
	s_nop 1
	v_cndmask_b32_e64 v3, v3, v5, s[0:1]
	v_xor_b32_e32 v3, v3, v4
	v_sub_u32_e32 v3, v3, v4
	v_cmp_eq_u32_e64 s[0:1], 0, v3
	s_or_b64 s[0:1], s[0:1], s[2:3]
	s_and_saveexec_b64 s[16:17], s[0:1]
	s_cbranch_execz .LBB290_88
; %bb.90:                               ;   in Loop: Header=BB290_89 Depth=1
	global_load_dword v31, v[18:19], off
	ds_read2_b64 v[6:9], v22 offset1:1
	ds_read2_b64 v[2:5], v22 offset0:2 offset1:3
                                        ; implicit-def: $vgpr30
	s_waitcnt lgkmcnt(1)
	v_and_b32_e32 v23, 0x7f800000, v6
	v_cmp_ne_u32_e64 s[0:1], s30, v23
	s_and_saveexec_b64 s[2:3], s[0:1]
	s_xor_b64 s[0:1], exec, s[2:3]
; %bb.91:                               ;   in Loop: Header=BB290_89 Depth=1
	v_bfe_u32 v23, v6, 16, 1
	v_add3_u32 v30, v6, v23, s31
; %bb.92:                               ;   in Loop: Header=BB290_89 Depth=1
	s_andn2_saveexec_b64 s[2:3], s[0:1]
; %bb.93:                               ;   in Loop: Header=BB290_89 Depth=1
	v_or_b32_e32 v23, 0x10000, v6
	v_cmp_eq_u32_sdwa s[0:1], v6, v15 src0_sel:WORD_0 src1_sel:DWORD
	s_nop 1
	v_cndmask_b32_e64 v30, v23, v6, s[0:1]
; %bb.94:                               ;   in Loop: Header=BB290_89 Depth=1
	s_or_b64 exec, exec, s[2:3]
	v_and_b32_e32 v6, 0x7f800000, v7
	v_cmp_ne_u32_e64 s[0:1], s30, v6
                                        ; implicit-def: $vgpr29
	s_and_saveexec_b64 s[2:3], s[0:1]
	s_xor_b64 s[0:1], exec, s[2:3]
; %bb.95:                               ;   in Loop: Header=BB290_89 Depth=1
	v_bfe_u32 v6, v7, 16, 1
	v_add3_u32 v29, v7, v6, s31
; %bb.96:                               ;   in Loop: Header=BB290_89 Depth=1
	s_andn2_saveexec_b64 s[2:3], s[0:1]
; %bb.97:                               ;   in Loop: Header=BB290_89 Depth=1
	v_or_b32_e32 v6, 0x10000, v7
	v_cmp_eq_u32_sdwa s[0:1], v7, v15 src0_sel:WORD_0 src1_sel:DWORD
	s_nop 1
	v_cndmask_b32_e64 v29, v6, v7, s[0:1]
; %bb.98:                               ;   in Loop: Header=BB290_89 Depth=1
	s_or_b64 exec, exec, s[2:3]
	v_and_b32_e32 v6, 0x7f800000, v8
	v_cmp_ne_u32_e64 s[0:1], s30, v6
                                        ; implicit-def: $vgpr28
	s_and_saveexec_b64 s[2:3], s[0:1]
	s_xor_b64 s[0:1], exec, s[2:3]
; %bb.99:                               ;   in Loop: Header=BB290_89 Depth=1
	v_bfe_u32 v6, v8, 16, 1
	v_add3_u32 v28, v8, v6, s31
; %bb.100:                              ;   in Loop: Header=BB290_89 Depth=1
	s_andn2_saveexec_b64 s[2:3], s[0:1]
; %bb.101:                              ;   in Loop: Header=BB290_89 Depth=1
	v_or_b32_e32 v6, 0x10000, v8
	v_cmp_eq_u32_sdwa s[0:1], v8, v15 src0_sel:WORD_0 src1_sel:DWORD
	s_nop 1
	v_cndmask_b32_e64 v28, v6, v8, s[0:1]
; %bb.102:                              ;   in Loop: Header=BB290_89 Depth=1
	s_or_b64 exec, exec, s[2:3]
	v_and_b32_e32 v6, 0x7f800000, v9
	v_cmp_ne_u32_e64 s[0:1], s30, v6
                                        ; implicit-def: $vgpr27
	s_and_saveexec_b64 s[2:3], s[0:1]
	s_xor_b64 s[0:1], exec, s[2:3]
; %bb.103:                              ;   in Loop: Header=BB290_89 Depth=1
	v_bfe_u32 v6, v9, 16, 1
	v_add3_u32 v27, v9, v6, s31
                                        ; implicit-def: $vgpr6_vgpr7_vgpr8_vgpr9
; %bb.104:                              ;   in Loop: Header=BB290_89 Depth=1
	s_andn2_saveexec_b64 s[2:3], s[0:1]
; %bb.105:                              ;   in Loop: Header=BB290_89 Depth=1
	v_or_b32_e32 v6, 0x10000, v9
	v_cmp_eq_u32_sdwa s[0:1], v9, v15 src0_sel:WORD_0 src1_sel:DWORD
	s_nop 1
	v_cndmask_b32_e64 v27, v6, v9, s[0:1]
; %bb.106:                              ;   in Loop: Header=BB290_89 Depth=1
	s_or_b64 exec, exec, s[2:3]
	s_waitcnt lgkmcnt(0)
	v_and_b32_e32 v6, 0x7f800000, v2
	v_cmp_ne_u32_e64 s[0:1], s30, v6
                                        ; implicit-def: $vgpr23
	s_and_saveexec_b64 s[2:3], s[0:1]
	s_xor_b64 s[0:1], exec, s[2:3]
; %bb.107:                              ;   in Loop: Header=BB290_89 Depth=1
	v_bfe_u32 v6, v2, 16, 1
	v_add3_u32 v23, v2, v6, s31
; %bb.108:                              ;   in Loop: Header=BB290_89 Depth=1
	s_andn2_saveexec_b64 s[2:3], s[0:1]
; %bb.109:                              ;   in Loop: Header=BB290_89 Depth=1
	v_or_b32_e32 v6, 0x10000, v2
	v_cmp_eq_u32_sdwa s[0:1], v2, v15 src0_sel:WORD_0 src1_sel:DWORD
	s_nop 1
	v_cndmask_b32_e64 v23, v6, v2, s[0:1]
; %bb.110:                              ;   in Loop: Header=BB290_89 Depth=1
	s_or_b64 exec, exec, s[2:3]
	v_and_b32_e32 v2, 0x7f800000, v3
	v_cmp_ne_u32_e64 s[0:1], s30, v2
                                        ; implicit-def: $vgpr24
	s_and_saveexec_b64 s[2:3], s[0:1]
	s_xor_b64 s[0:1], exec, s[2:3]
; %bb.111:                              ;   in Loop: Header=BB290_89 Depth=1
	v_bfe_u32 v2, v3, 16, 1
	v_add3_u32 v24, v3, v2, s31
; %bb.112:                              ;   in Loop: Header=BB290_89 Depth=1
	s_andn2_saveexec_b64 s[2:3], s[0:1]
; %bb.113:                              ;   in Loop: Header=BB290_89 Depth=1
	v_or_b32_e32 v2, 0x10000, v3
	v_cmp_eq_u32_sdwa s[0:1], v3, v15 src0_sel:WORD_0 src1_sel:DWORD
	s_nop 1
	v_cndmask_b32_e64 v24, v2, v3, s[0:1]
; %bb.114:                              ;   in Loop: Header=BB290_89 Depth=1
	s_or_b64 exec, exec, s[2:3]
	v_and_b32_e32 v2, 0x7f800000, v4
	v_cmp_ne_u32_e64 s[0:1], s30, v2
                                        ; implicit-def: $vgpr25
	s_and_saveexec_b64 s[2:3], s[0:1]
	s_xor_b64 s[0:1], exec, s[2:3]
; %bb.115:                              ;   in Loop: Header=BB290_89 Depth=1
	v_bfe_u32 v2, v4, 16, 1
	v_add3_u32 v25, v4, v2, s31
; %bb.116:                              ;   in Loop: Header=BB290_89 Depth=1
	s_andn2_saveexec_b64 s[2:3], s[0:1]
; %bb.117:                              ;   in Loop: Header=BB290_89 Depth=1
	v_or_b32_e32 v2, 0x10000, v4
	v_cmp_eq_u32_sdwa s[0:1], v4, v15 src0_sel:WORD_0 src1_sel:DWORD
	s_nop 1
	v_cndmask_b32_e64 v25, v2, v4, s[0:1]
; %bb.118:                              ;   in Loop: Header=BB290_89 Depth=1
	s_or_b64 exec, exec, s[2:3]
	v_and_b32_e32 v2, 0x7f800000, v5
	v_cmp_ne_u32_e64 s[0:1], s30, v2
                                        ; implicit-def: $vgpr26
	s_and_saveexec_b64 s[2:3], s[0:1]
	s_xor_b64 s[0:1], exec, s[2:3]
; %bb.119:                              ;   in Loop: Header=BB290_89 Depth=1
	v_bfe_u32 v2, v5, 16, 1
	v_add3_u32 v26, v5, v2, s31
                                        ; implicit-def: $vgpr2_vgpr3_vgpr4_vgpr5
; %bb.120:                              ;   in Loop: Header=BB290_89 Depth=1
	s_andn2_saveexec_b64 s[2:3], s[0:1]
; %bb.121:                              ;   in Loop: Header=BB290_89 Depth=1
	v_or_b32_e32 v2, 0x10000, v5
	v_cmp_eq_u32_sdwa s[0:1], v5, v15 src0_sel:WORD_0 src1_sel:DWORD
	s_nop 1
	v_cndmask_b32_e64 v26, v2, v5, s[0:1]
; %bb.122:                              ;   in Loop: Header=BB290_89 Depth=1
	s_or_b64 exec, exec, s[2:3]
	v_mov_b64_e32 v[2:3], s[10:11]
	s_waitcnt vmcnt(0)
	v_mad_i64_i32 v[4:5], s[0:1], v31, s40, v[2:3]
	v_lshl_add_u64 v[2:3], v[4:5], 0, v[14:15]
	global_load_dwordx2 v[2:3], v[2:3], off
	s_load_dword s34, s[14:15], 0x0
	s_waitcnt vmcnt(0)
	v_and_b32_e32 v6, 0xff, v2
	v_cvt_f32_fp8_sdwa v6, v6 src0_sel:BYTE_0
	s_waitcnt lgkmcnt(0)
	v_mul_f32_e32 v7, s34, v6
	v_and_b32_e32 v6, 0x7f800000, v7
	v_cmp_ne_u32_e64 s[0:1], s30, v6
                                        ; implicit-def: $vgpr6
	s_and_saveexec_b64 s[2:3], s[0:1]
	s_xor_b64 s[0:1], exec, s[2:3]
; %bb.123:                              ;   in Loop: Header=BB290_89 Depth=1
	v_bfe_u32 v6, v7, 16, 1
	v_add3_u32 v6, v7, v6, s31
                                        ; implicit-def: $vgpr7
; %bb.124:                              ;   in Loop: Header=BB290_89 Depth=1
	s_andn2_saveexec_b64 s[2:3], s[0:1]
; %bb.125:                              ;   in Loop: Header=BB290_89 Depth=1
	v_or_b32_e32 v6, 0x10000, v7
	v_cmp_eq_u32_sdwa s[0:1], v7, v15 src0_sel:WORD_0 src1_sel:DWORD
	s_nop 1
	v_cndmask_b32_e64 v6, v6, v7, s[0:1]
; %bb.126:                              ;   in Loop: Header=BB290_89 Depth=1
	s_or_b64 exec, exec, s[2:3]
	v_bfe_u32 v7, v2, 8, 8
	v_cvt_f32_fp8_sdwa v7, v7 src0_sel:BYTE_0
	s_nop 0
	v_mul_f32_e32 v8, s34, v7
	v_and_b32_e32 v7, 0x7f800000, v8
	v_cmp_ne_u32_e64 s[0:1], s30, v7
                                        ; implicit-def: $vgpr7
	s_and_saveexec_b64 s[2:3], s[0:1]
	s_xor_b64 s[0:1], exec, s[2:3]
; %bb.127:                              ;   in Loop: Header=BB290_89 Depth=1
	v_bfe_u32 v7, v8, 16, 1
	v_add3_u32 v7, v8, v7, s31
                                        ; implicit-def: $vgpr8
; %bb.128:                              ;   in Loop: Header=BB290_89 Depth=1
	s_andn2_saveexec_b64 s[2:3], s[0:1]
; %bb.129:                              ;   in Loop: Header=BB290_89 Depth=1
	v_or_b32_e32 v7, 0x10000, v8
	v_cmp_eq_u32_sdwa s[0:1], v8, v15 src0_sel:WORD_0 src1_sel:DWORD
	s_nop 1
	v_cndmask_b32_e64 v7, v7, v8, s[0:1]
; %bb.130:                              ;   in Loop: Header=BB290_89 Depth=1
	s_or_b64 exec, exec, s[2:3]
	v_bfe_u32 v8, v2, 16, 8
	v_cvt_f32_fp8_sdwa v8, v8 src0_sel:BYTE_0
	s_nop 0
	v_mul_f32_e32 v9, s34, v8
	v_and_b32_e32 v8, 0x7f800000, v9
	v_cmp_ne_u32_e64 s[0:1], s30, v8
                                        ; implicit-def: $vgpr8
	s_and_saveexec_b64 s[2:3], s[0:1]
	s_xor_b64 s[0:1], exec, s[2:3]
; %bb.131:                              ;   in Loop: Header=BB290_89 Depth=1
	v_bfe_u32 v8, v9, 16, 1
	v_add3_u32 v8, v9, v8, s31
                                        ; implicit-def: $vgpr9
; %bb.132:                              ;   in Loop: Header=BB290_89 Depth=1
	s_andn2_saveexec_b64 s[2:3], s[0:1]
; %bb.133:                              ;   in Loop: Header=BB290_89 Depth=1
	v_or_b32_e32 v8, 0x10000, v9
	v_cmp_eq_u32_sdwa s[0:1], v9, v15 src0_sel:WORD_0 src1_sel:DWORD
	s_nop 1
	v_cndmask_b32_e64 v8, v8, v9, s[0:1]
; %bb.134:                              ;   in Loop: Header=BB290_89 Depth=1
	s_or_b64 exec, exec, s[2:3]
	v_lshrrev_b32_e32 v2, 24, v2
	v_cvt_f32_fp8_sdwa v2, v2 src0_sel:BYTE_0
	s_nop 0
	v_mul_f32_e32 v9, s34, v2
	v_and_b32_e32 v2, 0x7f800000, v9
	v_cmp_ne_u32_e64 s[0:1], s30, v2
                                        ; implicit-def: $vgpr2
	s_and_saveexec_b64 s[2:3], s[0:1]
	s_xor_b64 s[0:1], exec, s[2:3]
; %bb.135:                              ;   in Loop: Header=BB290_89 Depth=1
	v_bfe_u32 v2, v9, 16, 1
	v_add3_u32 v2, v9, v2, s31
                                        ; implicit-def: $vgpr9
; %bb.136:                              ;   in Loop: Header=BB290_89 Depth=1
	s_andn2_saveexec_b64 s[2:3], s[0:1]
; %bb.137:                              ;   in Loop: Header=BB290_89 Depth=1
	v_or_b32_e32 v2, 0x10000, v9
	v_cmp_eq_u32_sdwa s[0:1], v9, v15 src0_sel:WORD_0 src1_sel:DWORD
	s_nop 1
	v_cndmask_b32_e64 v2, v2, v9, s[0:1]
; %bb.138:                              ;   in Loop: Header=BB290_89 Depth=1
	s_or_b64 exec, exec, s[2:3]
	v_and_b32_e32 v9, 0xff, v3
	v_cvt_f32_fp8_sdwa v9, v9 src0_sel:BYTE_0
	s_nop 0
	v_mul_f32_e32 v31, s34, v9
	v_and_b32_e32 v9, 0x7f800000, v31
	v_cmp_ne_u32_e64 s[0:1], s30, v9
                                        ; implicit-def: $vgpr9
	s_and_saveexec_b64 s[2:3], s[0:1]
	s_xor_b64 s[0:1], exec, s[2:3]
; %bb.139:                              ;   in Loop: Header=BB290_89 Depth=1
	v_bfe_u32 v9, v31, 16, 1
	v_add3_u32 v9, v31, v9, s31
                                        ; implicit-def: $vgpr31
; %bb.140:                              ;   in Loop: Header=BB290_89 Depth=1
	s_andn2_saveexec_b64 s[2:3], s[0:1]
; %bb.141:                              ;   in Loop: Header=BB290_89 Depth=1
	v_or_b32_e32 v9, 0x10000, v31
	v_cmp_eq_u32_sdwa s[0:1], v31, v15 src0_sel:WORD_0 src1_sel:DWORD
	s_nop 1
	v_cndmask_b32_e64 v9, v9, v31, s[0:1]
; %bb.142:                              ;   in Loop: Header=BB290_89 Depth=1
	s_or_b64 exec, exec, s[2:3]
	v_bfe_u32 v31, v3, 8, 8
	v_cvt_f32_fp8_sdwa v31, v31 src0_sel:BYTE_0
	s_nop 0
	v_mul_f32_e32 v32, s34, v31
	v_and_b32_e32 v31, 0x7f800000, v32
	v_cmp_ne_u32_e64 s[0:1], s30, v31
                                        ; implicit-def: $vgpr31
	s_and_saveexec_b64 s[2:3], s[0:1]
	s_xor_b64 s[0:1], exec, s[2:3]
; %bb.143:                              ;   in Loop: Header=BB290_89 Depth=1
	v_bfe_u32 v31, v32, 16, 1
	v_add3_u32 v31, v32, v31, s31
                                        ; implicit-def: $vgpr32
; %bb.144:                              ;   in Loop: Header=BB290_89 Depth=1
	s_andn2_saveexec_b64 s[2:3], s[0:1]
; %bb.145:                              ;   in Loop: Header=BB290_89 Depth=1
	v_or_b32_e32 v31, 0x10000, v32
	v_cmp_eq_u32_sdwa s[0:1], v32, v15 src0_sel:WORD_0 src1_sel:DWORD
	s_nop 1
	v_cndmask_b32_e64 v31, v31, v32, s[0:1]
; %bb.146:                              ;   in Loop: Header=BB290_89 Depth=1
	s_or_b64 exec, exec, s[2:3]
	v_bfe_u32 v32, v3, 16, 8
	v_cvt_f32_fp8_sdwa v32, v32 src0_sel:BYTE_0
                                        ; implicit-def: $vgpr35
	s_nop 0
	v_mul_f32_e32 v32, s34, v32
	v_and_b32_e32 v33, 0x7f800000, v32
	v_cmp_ne_u32_e64 s[0:1], s30, v33
	s_and_saveexec_b64 s[2:3], s[0:1]
	s_xor_b64 s[0:1], exec, s[2:3]
; %bb.147:                              ;   in Loop: Header=BB290_89 Depth=1
	v_bfe_u32 v33, v32, 16, 1
	v_add3_u32 v35, v32, v33, s31
                                        ; implicit-def: $vgpr32
; %bb.148:                              ;   in Loop: Header=BB290_89 Depth=1
	s_andn2_saveexec_b64 s[2:3], s[0:1]
; %bb.149:                              ;   in Loop: Header=BB290_89 Depth=1
	v_or_b32_e32 v33, 0x10000, v32
	v_cmp_eq_u32_sdwa s[0:1], v32, v15 src0_sel:WORD_0 src1_sel:DWORD
	s_nop 1
	v_cndmask_b32_e64 v35, v33, v32, s[0:1]
; %bb.150:                              ;   in Loop: Header=BB290_89 Depth=1
	s_or_b64 exec, exec, s[2:3]
	v_lshrrev_b32_e32 v3, 24, v3
	v_cvt_f32_fp8_sdwa v3, v3 src0_sel:BYTE_0
                                        ; implicit-def: $vgpr36
	s_nop 0
	v_mul_f32_e32 v3, s34, v3
	v_and_b32_e32 v32, 0x7f800000, v3
	v_cmp_ne_u32_e64 s[0:1], s30, v32
	s_and_saveexec_b64 s[2:3], s[0:1]
	s_xor_b64 s[0:1], exec, s[2:3]
; %bb.151:                              ;   in Loop: Header=BB290_89 Depth=1
	v_bfe_u32 v32, v3, 16, 1
	v_add3_u32 v36, v3, v32, s31
                                        ; implicit-def: $vgpr3
; %bb.152:                              ;   in Loop: Header=BB290_89 Depth=1
	s_andn2_saveexec_b64 s[2:3], s[0:1]
; %bb.153:                              ;   in Loop: Header=BB290_89 Depth=1
	v_or_b32_e32 v32, 0x10000, v3
	v_cmp_eq_u32_sdwa s[0:1], v3, v15 src0_sel:WORD_0 src1_sel:DWORD
	s_nop 1
	v_cndmask_b32_e64 v36, v32, v3, s[0:1]
; %bb.154:                              ;   in Loop: Header=BB290_89 Depth=1
	s_or_b64 exec, exec, s[2:3]
	v_cmp_eq_u32_e64 s[2:3], s36, v1
	v_lshrrev_b32_e32 v32, 16, v31
	v_lshrrev_b32_e32 v33, 16, v9
	;; [unrolled: 1-line block ×8, first 2 shown]
	s_and_saveexec_b64 s[18:19], s[2:3]
	s_cbranch_execz .LBB290_156
; %bb.155:                              ;   in Loop: Header=BB290_89 Depth=1
	v_cmp_gt_i32_e64 s[0:1], s25, v11
	v_add_u32_e32 v6, 1, v11
	s_nop 0
	v_cndmask_b32_e64 v3, 0, v3, s[0:1]
	v_cmp_gt_i32_e64 s[0:1], s25, v6
	v_add_u32_e32 v6, 2, v11
	s_nop 0
	v_cndmask_b32_e64 v8, 0, v8, s[0:1]
	;; [unrolled: 4-line block ×7, first 2 shown]
	v_cmp_gt_i32_e64 s[0:1], s25, v6
	s_nop 1
	v_cndmask_b32_e64 v2, 0, v2, s[0:1]
.LBB290_156:                            ;   in Loop: Header=BB290_89 Depth=1
	s_or_b64 exec, exec, s[18:19]
	v_and_b32_e32 v6, 0xffff0000, v30
	v_lshlrev_b32_e32 v3, 16, v3
	v_mul_f32_e32 v7, v6, v3
	v_and_b32_e32 v3, 0x7f800000, v7
	v_cmp_ne_u32_e64 s[0:1], s30, v3
                                        ; implicit-def: $vgpr3
	s_and_saveexec_b64 s[18:19], s[0:1]
	s_xor_b64 s[0:1], exec, s[18:19]
; %bb.157:                              ;   in Loop: Header=BB290_89 Depth=1
	v_bfe_u32 v3, v7, 16, 1
	v_add3_u32 v3, v7, v3, s31
                                        ; implicit-def: $vgpr7
; %bb.158:                              ;   in Loop: Header=BB290_89 Depth=1
	s_andn2_saveexec_b64 s[18:19], s[0:1]
; %bb.159:                              ;   in Loop: Header=BB290_89 Depth=1
	v_or_b32_e32 v3, 0x10000, v7
	v_cmp_eq_u32_sdwa s[0:1], v7, v15 src0_sel:WORD_0 src1_sel:DWORD
	s_nop 1
	v_cndmask_b32_e64 v3, v3, v7, s[0:1]
; %bb.160:                              ;   in Loop: Header=BB290_89 Depth=1
	s_or_b64 exec, exec, s[18:19]
	v_and_b32_e32 v7, 0xffff0000, v29
	v_lshlrev_b32_e32 v8, 16, v8
	v_mul_f32_e32 v8, v7, v8
	v_and_b32_e32 v29, 0x7f800000, v8
	v_cmp_ne_u32_e64 s[0:1], s30, v29
                                        ; implicit-def: $vgpr29
	s_and_saveexec_b64 s[18:19], s[0:1]
	s_xor_b64 s[0:1], exec, s[18:19]
; %bb.161:                              ;   in Loop: Header=BB290_89 Depth=1
	v_bfe_u32 v29, v8, 16, 1
	v_add3_u32 v29, v8, v29, s31
                                        ; implicit-def: $vgpr8
; %bb.162:                              ;   in Loop: Header=BB290_89 Depth=1
	s_andn2_saveexec_b64 s[18:19], s[0:1]
; %bb.163:                              ;   in Loop: Header=BB290_89 Depth=1
	v_or_b32_e32 v29, 0x10000, v8
	v_cmp_eq_u32_sdwa s[0:1], v8, v15 src0_sel:WORD_0 src1_sel:DWORD
	s_nop 1
	v_cndmask_b32_e64 v29, v29, v8, s[0:1]
; %bb.164:                              ;   in Loop: Header=BB290_89 Depth=1
	s_or_b64 exec, exec, s[18:19]
	v_and_b32_e32 v8, 0xffff0000, v28
	v_lshlrev_b32_e32 v9, 16, v9
	v_mul_f32_e32 v9, v8, v9
	v_and_b32_e32 v28, 0x7f800000, v9
	v_cmp_ne_u32_e64 s[0:1], s30, v28
                                        ; implicit-def: $vgpr28
	s_and_saveexec_b64 s[18:19], s[0:1]
	s_xor_b64 s[0:1], exec, s[18:19]
; %bb.165:                              ;   in Loop: Header=BB290_89 Depth=1
	v_bfe_u32 v28, v9, 16, 1
	v_add3_u32 v28, v9, v28, s31
                                        ; implicit-def: $vgpr9
; %bb.166:                              ;   in Loop: Header=BB290_89 Depth=1
	s_andn2_saveexec_b64 s[18:19], s[0:1]
; %bb.167:                              ;   in Loop: Header=BB290_89 Depth=1
	v_or_b32_e32 v28, 0x10000, v9
	v_cmp_eq_u32_sdwa s[0:1], v9, v15 src0_sel:WORD_0 src1_sel:DWORD
	s_nop 1
	v_cndmask_b32_e64 v28, v28, v9, s[0:1]
; %bb.168:                              ;   in Loop: Header=BB290_89 Depth=1
	s_or_b64 exec, exec, s[18:19]
	v_and_b32_e32 v9, 0xffff0000, v27
	v_lshlrev_b32_e32 v27, 16, v34
	v_mul_f32_e32 v30, v9, v27
	v_and_b32_e32 v27, 0x7f800000, v30
	v_cmp_ne_u32_e64 s[0:1], s30, v27
                                        ; implicit-def: $vgpr27
	s_and_saveexec_b64 s[18:19], s[0:1]
	s_xor_b64 s[0:1], exec, s[18:19]
; %bb.169:                              ;   in Loop: Header=BB290_89 Depth=1
	v_bfe_u32 v27, v30, 16, 1
	v_add3_u32 v27, v30, v27, s31
                                        ; implicit-def: $vgpr30
; %bb.170:                              ;   in Loop: Header=BB290_89 Depth=1
	s_andn2_saveexec_b64 s[18:19], s[0:1]
; %bb.171:                              ;   in Loop: Header=BB290_89 Depth=1
	v_or_b32_e32 v27, 0x10000, v30
	v_cmp_eq_u32_sdwa s[0:1], v30, v15 src0_sel:WORD_0 src1_sel:DWORD
	s_nop 1
	v_cndmask_b32_e64 v27, v27, v30, s[0:1]
; %bb.172:                              ;   in Loop: Header=BB290_89 Depth=1
	s_or_b64 exec, exec, s[18:19]
	v_and_b32_e32 v23, 0xffff0000, v23
	v_lshlrev_b32_e32 v30, 16, v33
	v_mul_f32_e32 v33, v23, v30
	v_and_b32_e32 v30, 0x7f800000, v33
	v_cmp_ne_u32_e64 s[0:1], s30, v30
                                        ; implicit-def: $vgpr30
	s_and_saveexec_b64 s[18:19], s[0:1]
	s_xor_b64 s[0:1], exec, s[18:19]
; %bb.173:                              ;   in Loop: Header=BB290_89 Depth=1
	v_bfe_u32 v30, v33, 16, 1
	v_add3_u32 v30, v33, v30, s31
                                        ; implicit-def: $vgpr33
; %bb.174:                              ;   in Loop: Header=BB290_89 Depth=1
	s_andn2_saveexec_b64 s[18:19], s[0:1]
; %bb.175:                              ;   in Loop: Header=BB290_89 Depth=1
	v_or_b32_e32 v30, 0x10000, v33
	v_cmp_eq_u32_sdwa s[0:1], v33, v15 src0_sel:WORD_0 src1_sel:DWORD
	s_nop 1
	v_cndmask_b32_e64 v30, v30, v33, s[0:1]
; %bb.176:                              ;   in Loop: Header=BB290_89 Depth=1
	s_or_b64 exec, exec, s[18:19]
	v_and_b32_e32 v24, 0xffff0000, v24
	v_lshlrev_b32_e32 v32, 16, v32
	v_mul_f32_e32 v33, v24, v32
	v_and_b32_e32 v32, 0x7f800000, v33
	v_cmp_ne_u32_e64 s[0:1], s30, v32
                                        ; implicit-def: $vgpr32
	s_and_saveexec_b64 s[18:19], s[0:1]
	s_xor_b64 s[0:1], exec, s[18:19]
; %bb.177:                              ;   in Loop: Header=BB290_89 Depth=1
	v_bfe_u32 v32, v33, 16, 1
	v_add3_u32 v32, v33, v32, s31
                                        ; implicit-def: $vgpr33
; %bb.178:                              ;   in Loop: Header=BB290_89 Depth=1
	s_andn2_saveexec_b64 s[18:19], s[0:1]
; %bb.179:                              ;   in Loop: Header=BB290_89 Depth=1
	v_or_b32_e32 v32, 0x10000, v33
	v_cmp_eq_u32_sdwa s[0:1], v33, v15 src0_sel:WORD_0 src1_sel:DWORD
	s_nop 1
	v_cndmask_b32_e64 v32, v32, v33, s[0:1]
; %bb.180:                              ;   in Loop: Header=BB290_89 Depth=1
	s_or_b64 exec, exec, s[18:19]
	v_and_b32_e32 v25, 0xffff0000, v25
	v_lshlrev_b32_e32 v31, 16, v31
	v_mul_f32_e32 v33, v25, v31
	v_and_b32_e32 v31, 0x7f800000, v33
	v_cmp_ne_u32_e64 s[0:1], s30, v31
                                        ; implicit-def: $vgpr31
	s_and_saveexec_b64 s[18:19], s[0:1]
	s_xor_b64 s[0:1], exec, s[18:19]
; %bb.181:                              ;   in Loop: Header=BB290_89 Depth=1
	v_bfe_u32 v31, v33, 16, 1
	v_add3_u32 v31, v33, v31, s31
                                        ; implicit-def: $vgpr33
; %bb.182:                              ;   in Loop: Header=BB290_89 Depth=1
	s_andn2_saveexec_b64 s[18:19], s[0:1]
; %bb.183:                              ;   in Loop: Header=BB290_89 Depth=1
	v_or_b32_e32 v31, 0x10000, v33
	v_cmp_eq_u32_sdwa s[0:1], v33, v15 src0_sel:WORD_0 src1_sel:DWORD
	s_nop 1
	v_cndmask_b32_e64 v31, v31, v33, s[0:1]
; %bb.184:                              ;   in Loop: Header=BB290_89 Depth=1
	s_or_b64 exec, exec, s[18:19]
	v_and_b32_e32 v26, 0xffff0000, v26
	v_lshlrev_b32_e32 v2, 16, v2
	v_mul_f32_e32 v2, v26, v2
	v_and_b32_e32 v33, 0x7f800000, v2
	v_cmp_ne_u32_e64 s[0:1], s30, v33
                                        ; implicit-def: $vgpr33
	s_and_saveexec_b64 s[18:19], s[0:1]
	s_xor_b64 s[0:1], exec, s[18:19]
; %bb.185:                              ;   in Loop: Header=BB290_89 Depth=1
	v_bfe_u32 v33, v2, 16, 1
	v_add3_u32 v33, v2, v33, s31
                                        ; implicit-def: $vgpr2
; %bb.186:                              ;   in Loop: Header=BB290_89 Depth=1
	s_andn2_saveexec_b64 s[18:19], s[0:1]
; %bb.187:                              ;   in Loop: Header=BB290_89 Depth=1
	v_or_b32_e32 v33, 0x10000, v2
	v_cmp_eq_u32_sdwa s[0:1], v2, v15 src0_sel:WORD_0 src1_sel:DWORD
	s_nop 1
	v_cndmask_b32_e64 v33, v33, v2, s[0:1]
; %bb.188:                              ;   in Loop: Header=BB290_89 Depth=1
	s_or_b64 exec, exec, s[18:19]
	v_and_b32_e32 v35, 0xffff0000, v27
	v_and_b32_e32 v34, 0xffff0000, v29
	;; [unrolled: 1-line block ×4, first 2 shown]
	v_pk_add_f32 v[2:3], v[28:29], v[34:35]
	v_and_b32_e32 v33, 0xffff0000, v33
	v_and_b32_e32 v32, 0xffff0000, v32
	v_and_b32_e32 v31, 0xffff0000, v31
	v_and_b32_e32 v30, 0xffff0000, v30
	v_mov_b32_e32 v28, v3
	v_pk_add_f32 v[2:3], v[2:3], v[28:29]
	v_pk_add_f32 v[28:29], v[30:31], v[32:33]
	s_nop 0
	v_pk_add_f32 v[2:3], v[2:3], v[28:29]
	v_mov_b32_e32 v28, v29
	v_pk_add_f32 v[2:3], v[2:3], v[28:29]
	s_nop 0
	v_pk_add_f32 v[2:3], v[12:13], v[2:3]
	s_and_saveexec_b64 s[18:19], vcc
	s_cbranch_execz .LBB290_87
; %bb.189:                              ;   in Loop: Header=BB290_89 Depth=1
	v_lshl_add_u64 v[4:5], v[4:5], 0, v[16:17]
	global_load_dwordx2 v[4:5], v[4:5], off
	s_waitcnt vmcnt(0)
	v_and_b32_e32 v3, 0xff, v4
	v_cvt_f32_fp8_sdwa v3, v3 src0_sel:BYTE_0
	s_nop 0
	v_mul_f32_e32 v27, s34, v3
	v_and_b32_e32 v3, 0x7f800000, v27
	v_cmp_ne_u32_e64 s[0:1], s30, v3
                                        ; implicit-def: $vgpr3
	s_and_saveexec_b64 s[20:21], s[0:1]
	s_xor_b64 s[0:1], exec, s[20:21]
; %bb.190:                              ;   in Loop: Header=BB290_89 Depth=1
	v_bfe_u32 v3, v27, 16, 1
	v_add3_u32 v3, v27, v3, s31
                                        ; implicit-def: $vgpr27
; %bb.191:                              ;   in Loop: Header=BB290_89 Depth=1
	s_andn2_saveexec_b64 s[20:21], s[0:1]
; %bb.192:                              ;   in Loop: Header=BB290_89 Depth=1
	v_or_b32_e32 v3, 0x10000, v27
	v_cmp_eq_u32_sdwa s[0:1], v27, v15 src0_sel:WORD_0 src1_sel:DWORD
	s_nop 1
	v_cndmask_b32_e64 v3, v3, v27, s[0:1]
; %bb.193:                              ;   in Loop: Header=BB290_89 Depth=1
	s_or_b64 exec, exec, s[20:21]
	v_bfe_u32 v27, v4, 8, 8
	v_cvt_f32_fp8_sdwa v27, v27 src0_sel:BYTE_0
	s_nop 0
	v_mul_f32_e32 v28, s34, v27
	v_and_b32_e32 v27, 0x7f800000, v28
	v_cmp_ne_u32_e64 s[0:1], s30, v27
                                        ; implicit-def: $vgpr27
	s_and_saveexec_b64 s[20:21], s[0:1]
	s_xor_b64 s[0:1], exec, s[20:21]
; %bb.194:                              ;   in Loop: Header=BB290_89 Depth=1
	v_bfe_u32 v27, v28, 16, 1
	v_add3_u32 v27, v28, v27, s31
                                        ; implicit-def: $vgpr28
; %bb.195:                              ;   in Loop: Header=BB290_89 Depth=1
	s_andn2_saveexec_b64 s[20:21], s[0:1]
; %bb.196:                              ;   in Loop: Header=BB290_89 Depth=1
	v_or_b32_e32 v27, 0x10000, v28
	v_cmp_eq_u32_sdwa s[0:1], v28, v15 src0_sel:WORD_0 src1_sel:DWORD
	s_nop 1
	v_cndmask_b32_e64 v27, v27, v28, s[0:1]
; %bb.197:                              ;   in Loop: Header=BB290_89 Depth=1
	s_or_b64 exec, exec, s[20:21]
	v_bfe_u32 v28, v4, 16, 8
	v_cvt_f32_fp8_sdwa v28, v28 src0_sel:BYTE_0
	s_nop 0
	v_mul_f32_e32 v28, s34, v28
	v_and_b32_e32 v29, 0x7f800000, v28
	v_cmp_ne_u32_e64 s[0:1], s30, v29
                                        ; implicit-def: $vgpr29
	s_and_saveexec_b64 s[20:21], s[0:1]
	s_xor_b64 s[0:1], exec, s[20:21]
; %bb.198:                              ;   in Loop: Header=BB290_89 Depth=1
	v_bfe_u32 v29, v28, 16, 1
	v_add3_u32 v29, v28, v29, s31
                                        ; implicit-def: $vgpr28
; %bb.199:                              ;   in Loop: Header=BB290_89 Depth=1
	s_andn2_saveexec_b64 s[20:21], s[0:1]
; %bb.200:                              ;   in Loop: Header=BB290_89 Depth=1
	v_or_b32_e32 v29, 0x10000, v28
	v_cmp_eq_u32_sdwa s[0:1], v28, v15 src0_sel:WORD_0 src1_sel:DWORD
	s_nop 1
	v_cndmask_b32_e64 v29, v29, v28, s[0:1]
; %bb.201:                              ;   in Loop: Header=BB290_89 Depth=1
	s_or_b64 exec, exec, s[20:21]
	v_lshrrev_b32_e32 v4, 24, v4
	v_cvt_f32_fp8_sdwa v4, v4 src0_sel:BYTE_0
	s_nop 0
	v_mul_f32_e32 v28, s34, v4
	v_and_b32_e32 v4, 0x7f800000, v28
	v_cmp_ne_u32_e64 s[0:1], s30, v4
                                        ; implicit-def: $vgpr4
	s_and_saveexec_b64 s[20:21], s[0:1]
	s_xor_b64 s[0:1], exec, s[20:21]
; %bb.202:                              ;   in Loop: Header=BB290_89 Depth=1
	v_bfe_u32 v4, v28, 16, 1
	v_add3_u32 v4, v28, v4, s31
                                        ; implicit-def: $vgpr28
; %bb.203:                              ;   in Loop: Header=BB290_89 Depth=1
	s_andn2_saveexec_b64 s[20:21], s[0:1]
; %bb.204:                              ;   in Loop: Header=BB290_89 Depth=1
	v_or_b32_e32 v4, 0x10000, v28
	v_cmp_eq_u32_sdwa s[0:1], v28, v15 src0_sel:WORD_0 src1_sel:DWORD
	s_nop 1
	v_cndmask_b32_e64 v4, v4, v28, s[0:1]
; %bb.205:                              ;   in Loop: Header=BB290_89 Depth=1
	s_or_b64 exec, exec, s[20:21]
	v_and_b32_e32 v28, 0xff, v5
	v_cvt_f32_fp8_sdwa v28, v28 src0_sel:BYTE_0
	s_nop 0
	v_mul_f32_e32 v28, s34, v28
	v_and_b32_e32 v30, 0x7f800000, v28
	v_cmp_ne_u32_e64 s[0:1], s30, v30
                                        ; implicit-def: $vgpr30
	s_and_saveexec_b64 s[20:21], s[0:1]
	s_xor_b64 s[0:1], exec, s[20:21]
; %bb.206:                              ;   in Loop: Header=BB290_89 Depth=1
	v_bfe_u32 v30, v28, 16, 1
	v_add3_u32 v30, v28, v30, s31
                                        ; implicit-def: $vgpr28
; %bb.207:                              ;   in Loop: Header=BB290_89 Depth=1
	s_andn2_saveexec_b64 s[20:21], s[0:1]
; %bb.208:                              ;   in Loop: Header=BB290_89 Depth=1
	v_or_b32_e32 v30, 0x10000, v28
	v_cmp_eq_u32_sdwa s[0:1], v28, v15 src0_sel:WORD_0 src1_sel:DWORD
	s_nop 1
	v_cndmask_b32_e64 v30, v30, v28, s[0:1]
; %bb.209:                              ;   in Loop: Header=BB290_89 Depth=1
	s_or_b64 exec, exec, s[20:21]
	v_bfe_u32 v28, v5, 8, 8
	v_cvt_f32_fp8_sdwa v28, v28 src0_sel:BYTE_0
	s_nop 0
	v_mul_f32_e32 v31, s34, v28
	v_and_b32_e32 v28, 0x7f800000, v31
	v_cmp_ne_u32_e64 s[0:1], s30, v28
                                        ; implicit-def: $vgpr28
	s_and_saveexec_b64 s[20:21], s[0:1]
	s_xor_b64 s[0:1], exec, s[20:21]
; %bb.210:                              ;   in Loop: Header=BB290_89 Depth=1
	v_bfe_u32 v28, v31, 16, 1
	v_add3_u32 v28, v31, v28, s31
                                        ; implicit-def: $vgpr31
; %bb.211:                              ;   in Loop: Header=BB290_89 Depth=1
	s_andn2_saveexec_b64 s[20:21], s[0:1]
; %bb.212:                              ;   in Loop: Header=BB290_89 Depth=1
	v_or_b32_e32 v28, 0x10000, v31
	v_cmp_eq_u32_sdwa s[0:1], v31, v15 src0_sel:WORD_0 src1_sel:DWORD
	s_nop 1
	v_cndmask_b32_e64 v28, v28, v31, s[0:1]
; %bb.213:                              ;   in Loop: Header=BB290_89 Depth=1
	s_or_b64 exec, exec, s[20:21]
	v_bfe_u32 v31, v5, 16, 8
	v_cvt_f32_fp8_sdwa v31, v31 src0_sel:BYTE_0
	s_nop 0
	v_mul_f32_e32 v31, s34, v31
	v_and_b32_e32 v32, 0x7f800000, v31
	v_cmp_ne_u32_e64 s[0:1], s30, v32
                                        ; implicit-def: $vgpr32
	s_and_saveexec_b64 s[20:21], s[0:1]
	s_xor_b64 s[0:1], exec, s[20:21]
; %bb.214:                              ;   in Loop: Header=BB290_89 Depth=1
	v_bfe_u32 v32, v31, 16, 1
	v_add3_u32 v32, v31, v32, s31
                                        ; implicit-def: $vgpr31
; %bb.215:                              ;   in Loop: Header=BB290_89 Depth=1
	s_andn2_saveexec_b64 s[20:21], s[0:1]
; %bb.216:                              ;   in Loop: Header=BB290_89 Depth=1
	v_or_b32_e32 v32, 0x10000, v31
	v_cmp_eq_u32_sdwa s[0:1], v31, v15 src0_sel:WORD_0 src1_sel:DWORD
	s_nop 1
	v_cndmask_b32_e64 v32, v32, v31, s[0:1]
; %bb.217:                              ;   in Loop: Header=BB290_89 Depth=1
	s_or_b64 exec, exec, s[20:21]
	v_lshrrev_b32_e32 v5, 24, v5
	v_cvt_f32_fp8_sdwa v5, v5 src0_sel:BYTE_0
                                        ; implicit-def: $vgpr33
	s_nop 0
	v_mul_f32_e32 v5, s34, v5
	v_and_b32_e32 v31, 0x7f800000, v5
	v_cmp_ne_u32_e64 s[0:1], s30, v31
	s_and_saveexec_b64 s[20:21], s[0:1]
	s_xor_b64 s[0:1], exec, s[20:21]
; %bb.218:                              ;   in Loop: Header=BB290_89 Depth=1
	v_bfe_u32 v31, v5, 16, 1
	v_add3_u32 v33, v5, v31, s31
                                        ; implicit-def: $vgpr5
; %bb.219:                              ;   in Loop: Header=BB290_89 Depth=1
	s_andn2_saveexec_b64 s[20:21], s[0:1]
; %bb.220:                              ;   in Loop: Header=BB290_89 Depth=1
	v_or_b32_e32 v31, 0x10000, v5
	v_cmp_eq_u32_sdwa s[0:1], v5, v15 src0_sel:WORD_0 src1_sel:DWORD
	s_nop 1
	v_cndmask_b32_e64 v33, v31, v5, s[0:1]
; %bb.221:                              ;   in Loop: Header=BB290_89 Depth=1
	s_or_b64 exec, exec, s[20:21]
	v_lshrrev_b32_e32 v28, 16, v28
	v_lshrrev_b32_e32 v30, 16, v30
	;; [unrolled: 1-line block ×8, first 2 shown]
	s_and_saveexec_b64 s[20:21], s[2:3]
	s_cbranch_execz .LBB290_223
; %bb.222:                              ;   in Loop: Header=BB290_89 Depth=1
	v_cmp_gt_i32_e64 s[0:1], s25, v11
	v_add_u32_e32 v32, 1, v11
	s_nop 0
	v_cndmask_b32_e64 v4, 0, v4, s[0:1]
	v_cmp_gt_i32_e64 s[0:1], s25, v32
	v_add_u32_e32 v32, 2, v11
	s_nop 0
	v_cndmask_b32_e64 v27, 0, v27, s[0:1]
	v_cmp_gt_i32_e64 s[0:1], s25, v32
	v_add_u32_e32 v32, 3, v11
	s_nop 0
	v_cndmask_b32_e64 v29, 0, v29, s[0:1]
	v_cmp_gt_i32_e64 s[0:1], s25, v32
	v_add_u32_e32 v32, 4, v11
	s_nop 0
	v_cndmask_b32_e64 v31, 0, v31, s[0:1]
	v_cmp_gt_i32_e64 s[0:1], s25, v32
	v_add_u32_e32 v32, 5, v11
	s_nop 0
	v_cndmask_b32_e64 v30, 0, v30, s[0:1]
	v_cmp_gt_i32_e64 s[0:1], s25, v32
	v_add_u32_e32 v32, 6, v11
	s_nop 0
	v_cndmask_b32_e64 v28, 0, v28, s[0:1]
	v_cmp_gt_i32_e64 s[0:1], s25, v32
	v_add_u32_e32 v32, 7, v11
	s_nop 0
	v_cndmask_b32_e64 v5, 0, v5, s[0:1]
	v_cmp_gt_i32_e64 s[0:1], s25, v32
	s_nop 1
	v_cndmask_b32_e64 v3, 0, v3, s[0:1]
.LBB290_223:                            ;   in Loop: Header=BB290_89 Depth=1
	s_or_b64 exec, exec, s[20:21]
	v_lshlrev_b32_e32 v4, 16, v4
	v_mul_f32_e32 v6, v6, v4
	v_and_b32_e32 v4, 0x7f800000, v6
	v_cmp_ne_u32_e64 s[0:1], s30, v4
                                        ; implicit-def: $vgpr4
	s_and_saveexec_b64 s[2:3], s[0:1]
	s_xor_b64 s[0:1], exec, s[2:3]
; %bb.224:                              ;   in Loop: Header=BB290_89 Depth=1
	v_bfe_u32 v4, v6, 16, 1
	v_add3_u32 v4, v6, v4, s31
                                        ; implicit-def: $vgpr6
; %bb.225:                              ;   in Loop: Header=BB290_89 Depth=1
	s_andn2_saveexec_b64 s[2:3], s[0:1]
; %bb.226:                              ;   in Loop: Header=BB290_89 Depth=1
	v_or_b32_e32 v4, 0x10000, v6
	v_cmp_eq_u32_sdwa s[0:1], v6, v15 src0_sel:WORD_0 src1_sel:DWORD
	s_nop 1
	v_cndmask_b32_e64 v4, v4, v6, s[0:1]
; %bb.227:                              ;   in Loop: Header=BB290_89 Depth=1
	s_or_b64 exec, exec, s[2:3]
	v_lshlrev_b32_e32 v6, 16, v27
	v_mul_f32_e32 v7, v7, v6
	v_and_b32_e32 v6, 0x7f800000, v7
	v_cmp_ne_u32_e64 s[0:1], s30, v6
                                        ; implicit-def: $vgpr6
	s_and_saveexec_b64 s[2:3], s[0:1]
	s_xor_b64 s[0:1], exec, s[2:3]
; %bb.228:                              ;   in Loop: Header=BB290_89 Depth=1
	v_bfe_u32 v6, v7, 16, 1
	v_add3_u32 v6, v7, v6, s31
                                        ; implicit-def: $vgpr7
; %bb.229:                              ;   in Loop: Header=BB290_89 Depth=1
	s_andn2_saveexec_b64 s[2:3], s[0:1]
; %bb.230:                              ;   in Loop: Header=BB290_89 Depth=1
	v_or_b32_e32 v6, 0x10000, v7
	v_cmp_eq_u32_sdwa s[0:1], v7, v15 src0_sel:WORD_0 src1_sel:DWORD
	s_nop 1
	v_cndmask_b32_e64 v6, v6, v7, s[0:1]
; %bb.231:                              ;   in Loop: Header=BB290_89 Depth=1
	s_or_b64 exec, exec, s[2:3]
	v_lshlrev_b32_e32 v7, 16, v29
	v_mul_f32_e32 v8, v8, v7
	v_and_b32_e32 v7, 0x7f800000, v8
	v_cmp_ne_u32_e64 s[0:1], s30, v7
                                        ; implicit-def: $vgpr7
	s_and_saveexec_b64 s[2:3], s[0:1]
	s_xor_b64 s[0:1], exec, s[2:3]
; %bb.232:                              ;   in Loop: Header=BB290_89 Depth=1
	v_bfe_u32 v7, v8, 16, 1
	v_add3_u32 v7, v8, v7, s31
                                        ; implicit-def: $vgpr8
; %bb.233:                              ;   in Loop: Header=BB290_89 Depth=1
	s_andn2_saveexec_b64 s[2:3], s[0:1]
; %bb.234:                              ;   in Loop: Header=BB290_89 Depth=1
	v_or_b32_e32 v7, 0x10000, v8
	v_cmp_eq_u32_sdwa s[0:1], v8, v15 src0_sel:WORD_0 src1_sel:DWORD
	s_nop 1
	v_cndmask_b32_e64 v7, v7, v8, s[0:1]
; %bb.235:                              ;   in Loop: Header=BB290_89 Depth=1
	s_or_b64 exec, exec, s[2:3]
	v_lshlrev_b32_e32 v8, 16, v31
	v_mul_f32_e32 v9, v9, v8
	v_and_b32_e32 v8, 0x7f800000, v9
	v_cmp_ne_u32_e64 s[0:1], s30, v8
                                        ; implicit-def: $vgpr8
	s_and_saveexec_b64 s[2:3], s[0:1]
	s_xor_b64 s[0:1], exec, s[2:3]
; %bb.236:                              ;   in Loop: Header=BB290_89 Depth=1
	v_bfe_u32 v8, v9, 16, 1
	v_add3_u32 v8, v9, v8, s31
                                        ; implicit-def: $vgpr9
; %bb.237:                              ;   in Loop: Header=BB290_89 Depth=1
	s_andn2_saveexec_b64 s[2:3], s[0:1]
; %bb.238:                              ;   in Loop: Header=BB290_89 Depth=1
	v_or_b32_e32 v8, 0x10000, v9
	v_cmp_eq_u32_sdwa s[0:1], v9, v15 src0_sel:WORD_0 src1_sel:DWORD
	s_nop 1
	v_cndmask_b32_e64 v8, v8, v9, s[0:1]
; %bb.239:                              ;   in Loop: Header=BB290_89 Depth=1
	s_or_b64 exec, exec, s[2:3]
	v_lshlrev_b32_e32 v9, 16, v30
	v_mul_f32_e32 v23, v23, v9
	v_and_b32_e32 v9, 0x7f800000, v23
	v_cmp_ne_u32_e64 s[0:1], s30, v9
                                        ; implicit-def: $vgpr9
	s_and_saveexec_b64 s[2:3], s[0:1]
	s_xor_b64 s[0:1], exec, s[2:3]
; %bb.240:                              ;   in Loop: Header=BB290_89 Depth=1
	v_bfe_u32 v9, v23, 16, 1
	v_add3_u32 v9, v23, v9, s31
                                        ; implicit-def: $vgpr23
; %bb.241:                              ;   in Loop: Header=BB290_89 Depth=1
	s_andn2_saveexec_b64 s[2:3], s[0:1]
; %bb.242:                              ;   in Loop: Header=BB290_89 Depth=1
	v_or_b32_e32 v9, 0x10000, v23
	v_cmp_eq_u32_sdwa s[0:1], v23, v15 src0_sel:WORD_0 src1_sel:DWORD
	s_nop 1
	v_cndmask_b32_e64 v9, v9, v23, s[0:1]
; %bb.243:                              ;   in Loop: Header=BB290_89 Depth=1
	s_or_b64 exec, exec, s[2:3]
	v_lshlrev_b32_e32 v23, 16, v28
	v_mul_f32_e32 v24, v24, v23
	v_and_b32_e32 v23, 0x7f800000, v24
	v_cmp_ne_u32_e64 s[0:1], s30, v23
                                        ; implicit-def: $vgpr23
	s_and_saveexec_b64 s[2:3], s[0:1]
	s_xor_b64 s[0:1], exec, s[2:3]
; %bb.244:                              ;   in Loop: Header=BB290_89 Depth=1
	v_bfe_u32 v23, v24, 16, 1
	v_add3_u32 v23, v24, v23, s31
                                        ; implicit-def: $vgpr24
; %bb.245:                              ;   in Loop: Header=BB290_89 Depth=1
	s_andn2_saveexec_b64 s[2:3], s[0:1]
; %bb.246:                              ;   in Loop: Header=BB290_89 Depth=1
	v_or_b32_e32 v23, 0x10000, v24
	v_cmp_eq_u32_sdwa s[0:1], v24, v15 src0_sel:WORD_0 src1_sel:DWORD
	s_nop 1
	v_cndmask_b32_e64 v23, v23, v24, s[0:1]
; %bb.247:                              ;   in Loop: Header=BB290_89 Depth=1
	s_or_b64 exec, exec, s[2:3]
	v_lshlrev_b32_e32 v5, 16, v5
	v_mul_f32_e32 v24, v25, v5
	v_and_b32_e32 v5, 0x7f800000, v24
	v_cmp_ne_u32_e64 s[0:1], s30, v5
                                        ; implicit-def: $vgpr5
	s_and_saveexec_b64 s[2:3], s[0:1]
	s_xor_b64 s[0:1], exec, s[2:3]
; %bb.248:                              ;   in Loop: Header=BB290_89 Depth=1
	v_bfe_u32 v5, v24, 16, 1
	v_add3_u32 v5, v24, v5, s31
                                        ; implicit-def: $vgpr24
; %bb.249:                              ;   in Loop: Header=BB290_89 Depth=1
	s_andn2_saveexec_b64 s[2:3], s[0:1]
; %bb.250:                              ;   in Loop: Header=BB290_89 Depth=1
	v_or_b32_e32 v5, 0x10000, v24
	v_cmp_eq_u32_sdwa s[0:1], v24, v15 src0_sel:WORD_0 src1_sel:DWORD
	s_nop 1
	v_cndmask_b32_e64 v5, v5, v24, s[0:1]
; %bb.251:                              ;   in Loop: Header=BB290_89 Depth=1
	s_or_b64 exec, exec, s[2:3]
	v_lshlrev_b32_e32 v3, 16, v3
	v_mul_f32_e32 v3, v26, v3
	v_and_b32_e32 v24, 0x7f800000, v3
	v_cmp_ne_u32_e64 s[0:1], s30, v24
                                        ; implicit-def: $vgpr24
	s_and_saveexec_b64 s[2:3], s[0:1]
	s_xor_b64 s[0:1], exec, s[2:3]
; %bb.252:                              ;   in Loop: Header=BB290_89 Depth=1
	v_bfe_u32 v24, v3, 16, 1
	v_add3_u32 v24, v3, v24, s31
                                        ; implicit-def: $vgpr3
; %bb.253:                              ;   in Loop: Header=BB290_89 Depth=1
	s_andn2_saveexec_b64 s[2:3], s[0:1]
	s_cbranch_execz .LBB290_86
; %bb.254:                              ;   in Loop: Header=BB290_89 Depth=1
	v_or_b32_e32 v24, 0x10000, v3
	v_cmp_eq_u32_sdwa s[0:1], v3, v15 src0_sel:WORD_0 src1_sel:DWORD
	s_nop 1
	v_cndmask_b32_e64 v24, v24, v3, s[0:1]
	s_branch .LBB290_86
.LBB290_255:
	s_or_b64 exec, exec, s[12:13]
.LBB290_256:
	s_or_b64 exec, exec, s[8:9]
	v_and_b32_e32 v1, 0x3c0, v0
	v_cmp_eq_u32_e32 vcc, 64, v1
	s_barrier
	s_and_saveexec_b64 s[0:1], vcc
	s_cbranch_execz .LBB290_259
; %bb.257:
	v_mov_b32_e32 v1, 0xb0
	v_lshl_add_u32 v2, v20, 2, v1
	ds_write_b32 v2, v12
	s_and_b64 exec, exec, s[6:7]
	s_cbranch_execz .LBB290_259
; %bb.258:
	v_lshl_add_u32 v1, v0, 2, v1
	ds_write_b32 v1, v13
.LBB290_259:
	s_or_b64 exec, exec, s[0:1]
	v_cmp_gt_u32_e32 vcc, 64, v0
	v_or_b32_e32 v1, 64, v0
	s_waitcnt lgkmcnt(0)
	s_barrier
	s_and_saveexec_b64 s[2:3], vcc
	s_cbranch_execz .LBB290_263
; %bb.260:
	v_mov_b32_e32 v2, 0xb0
	v_lshl_add_u32 v2, v0, 2, v2
	ds_read_b32 v0, v2
	s_movk_i32 s0, 0x50
	v_cmp_gt_u32_e64 s[0:1], s0, v1
	s_and_saveexec_b64 s[6:7], s[0:1]
	s_cbranch_execz .LBB290_262
; %bb.261:
	ds_read_b32 v2, v2 offset:256
	s_waitcnt lgkmcnt(0)
	v_add_f32_e32 v13, v13, v2
.LBB290_262:
	s_or_b64 exec, exec, s[6:7]
	s_waitcnt lgkmcnt(0)
	v_add_f32_e32 v12, v12, v0
.LBB290_263:
	s_or_b64 exec, exec, s[2:3]
	s_barrier
	s_and_saveexec_b64 s[0:1], vcc
	s_cbranch_execz .LBB290_274
; %bb.264:
	s_mov_b32 s0, 0x7f800000
	v_and_b32_e32 v0, 0x7f800000, v12
	v_cmp_ne_u32_e32 vcc, s0, v0
                                        ; implicit-def: $vgpr0
	s_and_saveexec_b64 s[0:1], vcc
	s_xor_b64 s[0:1], exec, s[0:1]
; %bb.265:
	v_bfe_u32 v0, v12, 16, 1
	s_movk_i32 s2, 0x7fff
	v_add3_u32 v0, v12, v0, s2
; %bb.266:
	s_andn2_saveexec_b64 s[0:1], s[0:1]
; %bb.267:
	v_mov_b32_e32 v0, 0
	v_or_b32_e32 v2, 0x10000, v12
	v_cmp_eq_u32_sdwa vcc, v12, v0 src0_sel:WORD_0 src1_sel:DWORD
	s_nop 1
	v_cndmask_b32_e32 v0, v2, v12, vcc
; %bb.268:
	s_or_b64 exec, exec, s[0:1]
	s_mul_i32 s0, s24, s23
	s_mul_i32 s0, s0, s5
	s_mulk_i32 s0, 0x50
	s_ashr_i32 s1, s0, 31
	s_lshl_b64 s[0:1], s[0:1], 1
	s_add_u32 s3, s28, s0
	s_mul_i32 s0, s23, s26
	s_addc_u32 s5, s29, s1
	s_ashr_i32 s1, s0, 31
	s_lshl_b64 s[0:1], s[0:1], 1
	s_add_u32 s3, s3, s0
	s_mul_i32 s0, s4, 0x50
	s_addc_u32 s5, s5, s1
	s_ashr_i32 s1, s0, 31
	s_lshl_b64 s[0:1], s[0:1], 1
	s_movk_i32 s2, 0x50
	s_add_u32 s0, s3, s0
	s_addc_u32 s1, s5, s1
	v_cmp_gt_u32_e32 vcc, s2, v1
	global_store_short_d16_hi v10, v0, s[0:1]
	s_and_b64 exec, exec, vcc
	s_cbranch_execz .LBB290_274
; %bb.269:
	s_mov_b32 s2, 0x7f800000
	v_and_b32_e32 v0, 0x7f800000, v13
	v_mov_b32_e32 v11, 0
	v_cmp_ne_u32_e32 vcc, s2, v0
                                        ; implicit-def: $vgpr2
	s_and_saveexec_b64 s[2:3], vcc
	s_xor_b64 s[2:3], exec, s[2:3]
; %bb.270:
	v_bfe_u32 v0, v13, 16, 1
	s_movk_i32 s4, 0x7fff
	v_add3_u32 v2, v13, v0, s4
                                        ; implicit-def: $vgpr13
; %bb.271:
	s_or_saveexec_b64 s[2:3], s[2:3]
	v_lshl_add_u64 v[0:1], s[0:1], 0, v[10:11]
	s_xor_b64 exec, exec, s[2:3]
; %bb.272:
	v_mov_b32_e32 v2, 0
	v_or_b32_e32 v3, 0x10000, v13
	v_cmp_eq_u32_sdwa vcc, v13, v2 src0_sel:WORD_0 src1_sel:DWORD
	s_nop 1
	v_cndmask_b32_e32 v2, v3, v13, vcc
; %bb.273:
	s_or_b64 exec, exec, s[2:3]
	global_store_short_d16_hi v[0:1], v2, off offset:128
.LBB290_274:
	s_endpgm
	.section	.rodata,"a",@progbits
	.p2align	6, 0x0
	.amdhsa_kernel _ZN4vllm25paged_attention_v1_kernelI14__hip_bfloat16hLi80ELi8ELi128ELNS_18Fp8KVCacheDataTypeE1ELb1EEEvPT_PKS3_PKT0_S9_ifPKiSB_iPKfiiiSD_SD_iiiii
		.amdhsa_group_segment_fixed_size 176
		.amdhsa_private_segment_fixed_size 0
		.amdhsa_kernarg_size 384
		.amdhsa_user_sgpr_count 2
		.amdhsa_user_sgpr_dispatch_ptr 0
		.amdhsa_user_sgpr_queue_ptr 0
		.amdhsa_user_sgpr_kernarg_segment_ptr 1
		.amdhsa_user_sgpr_dispatch_id 0
		.amdhsa_user_sgpr_kernarg_preload_length 0
		.amdhsa_user_sgpr_kernarg_preload_offset 0
		.amdhsa_user_sgpr_private_segment_size 0
		.amdhsa_uses_dynamic_stack 0
		.amdhsa_enable_private_segment 0
		.amdhsa_system_sgpr_workgroup_id_x 1
		.amdhsa_system_sgpr_workgroup_id_y 1
		.amdhsa_system_sgpr_workgroup_id_z 1
		.amdhsa_system_sgpr_workgroup_info 0
		.amdhsa_system_vgpr_workitem_id 0
		.amdhsa_next_free_vgpr 44
		.amdhsa_next_free_sgpr 53
		.amdhsa_accum_offset 44
		.amdhsa_reserve_vcc 1
		.amdhsa_float_round_mode_32 0
		.amdhsa_float_round_mode_16_64 0
		.amdhsa_float_denorm_mode_32 3
		.amdhsa_float_denorm_mode_16_64 3
		.amdhsa_dx10_clamp 1
		.amdhsa_ieee_mode 1
		.amdhsa_fp16_overflow 0
		.amdhsa_tg_split 0
		.amdhsa_exception_fp_ieee_invalid_op 0
		.amdhsa_exception_fp_denorm_src 0
		.amdhsa_exception_fp_ieee_div_zero 0
		.amdhsa_exception_fp_ieee_overflow 0
		.amdhsa_exception_fp_ieee_underflow 0
		.amdhsa_exception_fp_ieee_inexact 0
		.amdhsa_exception_int_div_zero 0
	.end_amdhsa_kernel
	.section	.text._ZN4vllm25paged_attention_v1_kernelI14__hip_bfloat16hLi80ELi8ELi128ELNS_18Fp8KVCacheDataTypeE1ELb1EEEvPT_PKS3_PKT0_S9_ifPKiSB_iPKfiiiSD_SD_iiiii,"axG",@progbits,_ZN4vllm25paged_attention_v1_kernelI14__hip_bfloat16hLi80ELi8ELi128ELNS_18Fp8KVCacheDataTypeE1ELb1EEEvPT_PKS3_PKT0_S9_ifPKiSB_iPKfiiiSD_SD_iiiii,comdat
.Lfunc_end290:
	.size	_ZN4vllm25paged_attention_v1_kernelI14__hip_bfloat16hLi80ELi8ELi128ELNS_18Fp8KVCacheDataTypeE1ELb1EEEvPT_PKS3_PKT0_S9_ifPKiSB_iPKfiiiSD_SD_iiiii, .Lfunc_end290-_ZN4vllm25paged_attention_v1_kernelI14__hip_bfloat16hLi80ELi8ELi128ELNS_18Fp8KVCacheDataTypeE1ELb1EEEvPT_PKS3_PKT0_S9_ifPKiSB_iPKfiiiSD_SD_iiiii
                                        ; -- End function
	.section	.AMDGPU.csdata,"",@progbits
; Kernel info:
; codeLenInByte = 9528
; NumSgprs: 59
; NumVgprs: 44
; NumAgprs: 0
; TotalNumVgprs: 44
; ScratchSize: 0
; MemoryBound: 0
; FloatMode: 240
; IeeeMode: 1
; LDSByteSize: 176 bytes/workgroup (compile time only)
; SGPRBlocks: 7
; VGPRBlocks: 5
; NumSGPRsForWavesPerEU: 59
; NumVGPRsForWavesPerEU: 44
; AccumOffset: 44
; Occupancy: 8
; WaveLimiterHint : 1
; COMPUTE_PGM_RSRC2:SCRATCH_EN: 0
; COMPUTE_PGM_RSRC2:USER_SGPR: 2
; COMPUTE_PGM_RSRC2:TRAP_HANDLER: 0
; COMPUTE_PGM_RSRC2:TGID_X_EN: 1
; COMPUTE_PGM_RSRC2:TGID_Y_EN: 1
; COMPUTE_PGM_RSRC2:TGID_Z_EN: 1
; COMPUTE_PGM_RSRC2:TIDIG_COMP_CNT: 0
; COMPUTE_PGM_RSRC3_GFX90A:ACCUM_OFFSET: 10
; COMPUTE_PGM_RSRC3_GFX90A:TG_SPLIT: 0
	.section	.text._ZN4vllm25paged_attention_v1_kernelI14__hip_bfloat16hLi96ELi8ELi128ELNS_18Fp8KVCacheDataTypeE1ELb1EEEvPT_PKS3_PKT0_S9_ifPKiSB_iPKfiiiSD_SD_iiiii,"axG",@progbits,_ZN4vllm25paged_attention_v1_kernelI14__hip_bfloat16hLi96ELi8ELi128ELNS_18Fp8KVCacheDataTypeE1ELb1EEEvPT_PKS3_PKT0_S9_ifPKiSB_iPKfiiiSD_SD_iiiii,comdat
	.protected	_ZN4vllm25paged_attention_v1_kernelI14__hip_bfloat16hLi96ELi8ELi128ELNS_18Fp8KVCacheDataTypeE1ELb1EEEvPT_PKS3_PKT0_S9_ifPKiSB_iPKfiiiSD_SD_iiiii ; -- Begin function _ZN4vllm25paged_attention_v1_kernelI14__hip_bfloat16hLi96ELi8ELi128ELNS_18Fp8KVCacheDataTypeE1ELb1EEEvPT_PKS3_PKT0_S9_ifPKiSB_iPKfiiiSD_SD_iiiii
	.globl	_ZN4vllm25paged_attention_v1_kernelI14__hip_bfloat16hLi96ELi8ELi128ELNS_18Fp8KVCacheDataTypeE1ELb1EEEvPT_PKS3_PKT0_S9_ifPKiSB_iPKfiiiSD_SD_iiiii
	.p2align	8
	.type	_ZN4vllm25paged_attention_v1_kernelI14__hip_bfloat16hLi96ELi8ELi128ELNS_18Fp8KVCacheDataTypeE1ELb1EEEvPT_PKS3_PKT0_S9_ifPKiSB_iPKfiiiSD_SD_iiiii,@function
_ZN4vllm25paged_attention_v1_kernelI14__hip_bfloat16hLi96ELi8ELi128ELNS_18Fp8KVCacheDataTypeE1ELb1EEEvPT_PKS3_PKT0_S9_ifPKiSB_iPKfiiiSD_SD_iiiii: ; @_ZN4vllm25paged_attention_v1_kernelI14__hip_bfloat16hLi96ELi8ELi128ELNS_18Fp8KVCacheDataTypeE1ELb1EEEvPT_PKS3_PKT0_S9_ifPKiSB_iPKfiiiSD_SD_iiiii
; %bb.0:
	s_load_dword s5, s[0:1], 0x80
	s_load_dwordx2 s[6:7], s[0:1], 0x30
	s_load_dwordx2 s[38:39], s[0:1], 0x20
	s_mov_b32 s24, s3
	s_ashr_i32 s25, s3, 31
	s_lshl_b64 s[8:9], s[24:25], 2
	s_waitcnt lgkmcnt(0)
	s_add_u32 s6, s6, s8
	s_addc_u32 s7, s7, s9
	s_abs_i32 s3, s38
	v_cvt_f32_u32_e32 v1, s3
	s_sub_i32 s10, 0, s3
	s_abs_i32 s9, s5
	s_xor_b32 s8, s5, s38
	v_rcp_iflag_f32_e32 v1, v1
	s_ashr_i32 s8, s8, 31
	s_mov_b32 s46, 0
	v_mul_f32_e32 v1, 0x4f7ffffe, v1
	v_cvt_u32_f32_e32 v1, v1
	s_nop 0
	v_readfirstlane_b32 s11, v1
	s_mul_i32 s10, s10, s11
	s_mul_hi_u32 s10, s11, s10
	s_add_i32 s11, s11, s10
	s_mul_hi_u32 s10, s9, s11
	s_mul_i32 s11, s10, s3
	s_sub_i32 s9, s9, s11
	s_add_i32 s11, s10, 1
	s_sub_i32 s12, s9, s3
	s_cmp_ge_u32 s9, s3
	s_cselect_b32 s10, s11, s10
	s_cselect_b32 s9, s12, s9
	s_add_i32 s11, s10, 1
	s_cmp_ge_u32 s9, s3
	s_cselect_b32 s3, s11, s10
	s_xor_b32 s3, s3, s8
	s_sub_i32 s14, s3, s8
	s_abs_i32 s10, s14
	v_cvt_f32_u32_e32 v1, s10
	s_load_dwordx2 s[8:9], s[0:1], 0x40
	s_sub_i32 s3, 0, s10
	s_abs_i32 s11, s2
	v_rcp_iflag_f32_e32 v1, v1
	s_nop 0
	v_mul_f32_e32 v1, 0x4f7ffffe, v1
	v_cvt_u32_f32_e32 v1, v1
	s_nop 0
	v_readfirstlane_b32 s12, v1
	s_mul_i32 s3, s3, s12
	s_mul_hi_u32 s3, s12, s3
	s_add_i32 s12, s12, s3
	s_waitcnt lgkmcnt(0)
	s_cmp_eq_u64 s[8:9], 0
	s_mul_hi_u32 s12, s11, s12
	s_cbranch_scc1 .LBB291_2
; %bb.1:
	s_ashr_i32 s3, s2, 31
	s_lshl_b64 s[16:17], s[2:3], 2
	s_add_u32 s8, s8, s16
	s_addc_u32 s9, s9, s17
	s_load_dword s46, s[8:9], 0x0
.LBB291_2:
	s_load_dword s25, s[6:7], 0x0
	s_load_dwordx4 s[16:19], s[0:1], 0x48
	s_movk_i32 s3, 0x60
	s_ashr_i32 s13, s2, 31
	s_ashr_i32 s14, s14, 31
	v_and_b32_e32 v6, 7, v0
	s_mul_i32 s26, s2, 0x60
	v_cmp_gt_u32_e64 s[6:7], s3, v0
	v_lshlrev_b32_e32 v10, 1, v0
	s_and_saveexec_b64 s[8:9], s[6:7]
	s_cbranch_execz .LBB291_4
; %bb.3:
	s_load_dwordx2 s[20:21], s[0:1], 0x8
	s_waitcnt lgkmcnt(0)
	s_mul_i32 s22, s24, s16
	s_ashr_i32 s23, s22, 31
	s_lshl_b64 s[22:23], s[22:23], 1
	v_lshrrev_b32_e32 v2, 2, v0
	s_add_u32 s3, s20, s22
	s_addc_u32 s15, s21, s23
	s_ashr_i32 s27, s26, 31
	s_lshl_b64 s[20:21], s[26:27], 1
	s_add_u32 s20, s3, s20
	s_addc_u32 s21, s15, s21
	global_load_ushort v1, v10, s[20:21]
	v_and_b32_e32 v2, 0xfe, v2
	v_mad_u32_u24 v2, v6, 24, v2
	s_waitcnt vmcnt(0)
	ds_write_b16 v2, v1
.LBB291_4:
	s_or_b64 exec, exec, s[8:9]
	s_mul_i32 s9, s12, s10
	s_sub_i32 s9, s11, s9
	s_xor_b32 s8, s13, s14
	s_add_i32 s11, s12, 1
	s_sub_i32 s13, s9, s10
	s_load_dwordx4 s[20:23], s[0:1], 0x68
	s_load_dword s3, s[0:1], 0x78
	s_cmp_ge_u32 s9, s10
	s_cselect_b32 s11, s11, s12
	s_cselect_b32 s9, s13, s9
	s_add_i32 s12, s11, 1
	s_cmp_ge_u32 s9, s10
	s_cselect_b32 s9, s12, s11
	s_waitcnt lgkmcnt(0)
	s_abs_i32 s27, s23
	v_cvt_f32_u32_e32 v1, s27
	s_xor_b32 s9, s9, s8
	s_sub_i32 s10, s9, s8
	s_sub_i32 s8, 0, s27
	v_rcp_iflag_f32_e32 v1, v1
	s_add_i32 s12, s25, -1
	s_abs_i32 s11, s12
	v_mul_f32_e32 v1, 0x4f7ffffe, v1
	v_cvt_u32_f32_e32 v1, v1
	s_barrier
	v_readfirstlane_b32 s33, v1
	s_mul_i32 s8, s8, s33
	s_mul_hi_u32 s8, s33, s8
	s_add_i32 s33, s33, s8
	s_cmp_lt_i32 s3, 0
	s_mul_hi_u32 s16, s11, s33
	s_cbranch_scc0 .LBB291_6
; %bb.5:
	s_mul_i32 s8, s20, s38
	s_add_i32 s8, s10, s8
	s_mul_i32 s8, s8, s3
	s_sub_i32 s38, 1, s8
	s_mov_b64 s[8:9], 0
	s_branch .LBB291_7
.LBB291_6:
	s_mov_b64 s[8:9], -1
                                        ; implicit-def: $sgpr38
.LBB291_7:
	s_load_dwordx2 s[30:31], s[0:1], 0x28
	s_ashr_i32 s19, s12, 31
	s_andn2_b64 vcc, exec, s[8:9]
	s_ashr_i32 s44, s23, 31
	s_cbranch_vccnz .LBB291_9
; %bb.8:
	s_mul_i32 s8, s5, s20
	s_add_i32 s2, s8, s2
	s_mul_i32 s2, s2, s3
	s_add_i32 s38, s2, 1
.LBB291_9:
	s_load_dword s2, s[0:1], 0x38
	s_load_dwordx2 s[28:29], s[0:1], 0x0
	s_load_dwordx2 s[36:37], s[0:1], 0x18
	s_load_dword s23, s[0:1], 0x88
	s_load_dwordx4 s[12:15], s[0:1], 0x58
	s_mul_i32 s3, s16, s27
	s_waitcnt lgkmcnt(0)
	s_mul_i32 s34, s24, s2
	s_sub_i32 s3, s11, s3
	s_ashr_i32 s35, s34, 31
	s_xor_b32 s2, s19, s44
	s_add_i32 s8, s16, 1
	s_sub_i32 s9, s3, s27
	s_cmp_ge_u32 s3, s27
	s_cselect_b32 s8, s8, s16
	s_cselect_b32 s3, s9, s3
	s_add_i32 s9, s8, 1
	s_cmp_ge_u32 s3, s27
	s_cselect_b32 s3, s9, s8
	s_xor_b32 s3, s3, s2
	s_sub_i32 s16, s3, s2
	s_add_i32 s2, s25, 7
	s_ashr_i32 s3, s2, 31
	s_lshr_b32 s3, s3, 29
	s_add_i32 s2, s2, s3
	s_ashr_i32 s45, s2, 3
	v_lshrrev_b32_e32 v1, 6, v0
	v_cmp_gt_i32_e64 s[2:3], s45, v1
	v_mov_b32_e32 v22, 0xff7fffff
	s_mul_i32 s20, s10, s18
	v_lshrrev_b32_e32 v18, 4, v0
	v_lshlrev_b32_e32 v11, 3, v1
	v_mbcnt_lo_u32_b32 v19, -1, 0
	s_and_saveexec_b64 s[18:19], s[2:3]
	s_cbranch_execz .LBB291_67
; %bb.10:
	s_load_dwordx2 s[0:1], s[0:1], 0x10
	s_sub_i32 s47, s16, s21
	s_ashr_i32 s9, s20, 31
	v_bfe_u32 v20, v0, 3, 3
	v_mov_b32_e32 v7, 0
	s_waitcnt lgkmcnt(0)
	s_add_u32 s8, s0, s20
	s_addc_u32 s9, s1, s9
	s_abs_i32 s48, s22
	v_cvt_f32_u32_e32 v2, s48
	v_cmp_eq_u32_e32 vcc, 0, v6
	s_mov_b32 s49, s17
	v_mul_u32_u24_e32 v21, 24, v6
	v_rcp_iflag_f32_e32 v3, v2
	v_lshlrev_b32_e32 v2, 4, v20
	v_cmp_neq_f32_e64 s[0:1], s46, 0
	v_lshlrev_b32_e32 v24, 3, v1
	v_mul_f32_e32 v3, 0x4f7ffffe, v3
	v_cvt_u32_f32_e32 v4, v3
	v_mov_b32_e32 v3, v7
	v_lshl_add_u64 v[8:9], s[8:9], 0, v[2:3]
	s_sub_i32 s8, 0, s48
	v_mul_lo_u32 v2, s8, v4
	s_lshl_b64 s[8:9], s[34:35], 2
	v_mul_hi_u32 v2, v4, v2
	s_add_u32 s8, s30, s8
	v_add_u32_e32 v23, v4, v2
	v_and_b32_e32 v2, 60, v18
	s_addc_u32 s9, s31, s9
	v_lshl_add_u64 v[12:13], s[8:9], 0, v[2:3]
	v_lshlrev_b32_e32 v2, 2, v20
	v_lshl_or_b32 v2, v1, 5, v2
	v_add_u32_e32 v25, 0xd0, v2
	v_subrev_u32_e32 v2, s25, v20
	v_add_u32_e32 v26, 1, v2
	s_mov_b64 s[40:41], 0
	v_mov_b32_e32 v27, 0xff7fffff
	s_mov_b32 s50, 0x7f800000
	s_movk_i32 s51, 0x7fff
	v_mbcnt_hi_u32_b32 v28, -1, v19
	v_mov_b32_e32 v22, 0xff7fffff
	v_mov_b32_e32 v29, v1
	s_branch .LBB291_13
.LBB291_11:                             ;   in Loop: Header=BB291_13 Depth=1
	s_or_b64 exec, exec, s[42:43]
.LBB291_12:                             ;   in Loop: Header=BB291_13 Depth=1
	s_or_b64 exec, exec, s[10:11]
	v_add_u32_e32 v29, 2, v29
	v_cmp_le_i32_e64 s[8:9], s45, v29
	v_lshl_add_u64 v[12:13], v[12:13], 0, 8
	v_add_u32_e32 v24, 16, v24
	s_or_b64 s[40:41], s[8:9], s[40:41]
	v_add_u32_e32 v25, 64, v25
	s_andn2_b64 exec, exec, s[40:41]
	s_cbranch_execz .LBB291_66
.LBB291_13:                             ; =>This Inner Loop Header: Depth=1
	v_mul_hi_u32 v2, v24, s33
	s_waitcnt lgkmcnt(0)
	v_mul_lo_u32 v3, v2, s27
	v_sub_u32_e32 v3, v24, v3
	v_add_u32_e32 v4, 1, v2
	v_cmp_le_u32_e64 s[8:9], s27, v3
	s_nop 1
	v_cndmask_b32_e64 v2, v2, v4, s[8:9]
	v_subrev_u32_e32 v4, s27, v3
	v_cndmask_b32_e64 v3, v3, v4, s[8:9]
	v_add_u32_e32 v4, 1, v2
	v_cmp_le_u32_e64 s[8:9], s27, v3
	s_nop 1
	v_cndmask_b32_e64 v2, v2, v4, s[8:9]
	v_xor_b32_e32 v2, s44, v2
	v_subrev_u32_e32 v2, s44, v2
	v_add_u32_e32 v3, s38, v2
	v_sub_u32_e32 v5, 0, v3
	v_ashrrev_i32_e32 v4, 31, v3
	v_max_i32_e32 v3, v3, v5
	v_mul_hi_u32 v5, v3, v23
	v_mul_lo_u32 v5, v5, s48
	v_sub_u32_e32 v3, v3, v5
	v_subrev_u32_e32 v5, s48, v3
	v_cmp_le_u32_e64 s[8:9], s48, v3
	v_cmp_ge_i32_e64 s[10:11], s47, v2
	s_nop 0
	v_cndmask_b32_e64 v3, v3, v5, s[8:9]
	v_subrev_u32_e32 v5, s48, v3
	v_cmp_le_u32_e64 s[8:9], s48, v3
	s_nop 1
	v_cndmask_b32_e64 v3, v3, v5, s[8:9]
	v_xor_b32_e32 v3, v3, v4
	v_sub_u32_e32 v3, v3, v4
	v_cmp_ne_u32_e64 s[8:9], 0, v3
	s_and_b64 s[8:9], s[8:9], s[10:11]
	s_and_b64 s[42:43], vcc, s[8:9]
	s_and_saveexec_b64 s[10:11], s[42:43]
	s_cbranch_execz .LBB291_15
; %bb.14:                               ;   in Loop: Header=BB291_13 Depth=1
	ds_write_b32 v25, v27
.LBB291_15:                             ;   in Loop: Header=BB291_13 Depth=1
	s_or_b64 exec, exec, s[10:11]
	s_xor_b64 s[8:9], s[8:9], -1
	s_and_saveexec_b64 s[10:11], s[8:9]
	s_cbranch_execz .LBB291_12
; %bb.16:                               ;   in Loop: Header=BB291_13 Depth=1
	global_load_dword v2, v[12:13], off
	s_load_dword s52, s[12:13], 0x0
	s_waitcnt vmcnt(0)
	v_mad_i64_i32 v[2:3], s[8:9], v2, s49, v[8:9]
	v_lshl_add_u64 v[16:17], v[2:3], 0, v[6:7]
	global_load_ubyte v2, v[16:17], off
	s_waitcnt vmcnt(0)
	v_cvt_f32_fp8_sdwa v30, v2 src0_sel:BYTE_0
	ds_read2_b64 v[2:5], v21 offset1:1
	ds_read_b64 v[14:15], v21 offset:16
	s_waitcnt lgkmcnt(0)
	v_mul_f32_e32 v31, s52, v30
	v_and_b32_e32 v30, 0x7f800000, v31
	v_cmp_ne_u32_e64 s[8:9], s50, v30
                                        ; implicit-def: $vgpr30
	s_and_saveexec_b64 s[42:43], s[8:9]
	s_xor_b64 s[8:9], exec, s[42:43]
; %bb.17:                               ;   in Loop: Header=BB291_13 Depth=1
	v_bfe_u32 v30, v31, 16, 1
	v_add3_u32 v30, v31, v30, s51
                                        ; implicit-def: $vgpr31
; %bb.18:                               ;   in Loop: Header=BB291_13 Depth=1
	s_andn2_saveexec_b64 s[42:43], s[8:9]
; %bb.19:                               ;   in Loop: Header=BB291_13 Depth=1
	v_or_b32_e32 v30, 0x10000, v31
	v_cmp_eq_u32_sdwa s[8:9], v31, v7 src0_sel:WORD_0 src1_sel:DWORD
	s_nop 1
	v_cndmask_b32_e64 v30, v30, v31, s[8:9]
; %bb.20:                               ;   in Loop: Header=BB291_13 Depth=1
	s_or_b64 exec, exec, s[42:43]
	global_load_ubyte v31, v[16:17], off offset:8
	s_waitcnt vmcnt(0)
	v_cvt_f32_fp8_sdwa v31, v31 src0_sel:BYTE_0
	s_nop 0
	v_mul_f32_e32 v32, s52, v31
	v_and_b32_e32 v31, 0x7f800000, v32
	v_cmp_ne_u32_e64 s[8:9], s50, v31
                                        ; implicit-def: $vgpr31
	s_and_saveexec_b64 s[42:43], s[8:9]
	s_xor_b64 s[8:9], exec, s[42:43]
; %bb.21:                               ;   in Loop: Header=BB291_13 Depth=1
	v_bfe_u32 v31, v32, 16, 1
	v_add3_u32 v31, v32, v31, s51
                                        ; implicit-def: $vgpr32
; %bb.22:                               ;   in Loop: Header=BB291_13 Depth=1
	s_andn2_saveexec_b64 s[42:43], s[8:9]
; %bb.23:                               ;   in Loop: Header=BB291_13 Depth=1
	v_or_b32_e32 v31, 0x10000, v32
	v_cmp_eq_u32_sdwa s[8:9], v32, v7 src0_sel:WORD_0 src1_sel:DWORD
	s_nop 1
	v_cndmask_b32_e64 v31, v31, v32, s[8:9]
; %bb.24:                               ;   in Loop: Header=BB291_13 Depth=1
	s_or_b64 exec, exec, s[42:43]
	global_load_ubyte v32, v[16:17], off offset:128
	s_waitcnt vmcnt(0)
	v_cvt_f32_fp8_sdwa v32, v32 src0_sel:BYTE_0
	s_nop 0
	v_mul_f32_e32 v33, s52, v32
	v_and_b32_e32 v32, 0x7f800000, v33
	v_cmp_ne_u32_e64 s[8:9], s50, v32
                                        ; implicit-def: $vgpr32
	s_and_saveexec_b64 s[42:43], s[8:9]
	s_xor_b64 s[8:9], exec, s[42:43]
; %bb.25:                               ;   in Loop: Header=BB291_13 Depth=1
	v_bfe_u32 v32, v33, 16, 1
	v_add3_u32 v32, v33, v32, s51
                                        ; implicit-def: $vgpr33
; %bb.26:                               ;   in Loop: Header=BB291_13 Depth=1
	s_andn2_saveexec_b64 s[42:43], s[8:9]
; %bb.27:                               ;   in Loop: Header=BB291_13 Depth=1
	v_or_b32_e32 v32, 0x10000, v33
	v_cmp_eq_u32_sdwa s[8:9], v33, v7 src0_sel:WORD_0 src1_sel:DWORD
	s_nop 1
	v_cndmask_b32_e64 v32, v32, v33, s[8:9]
; %bb.28:                               ;   in Loop: Header=BB291_13 Depth=1
	s_or_b64 exec, exec, s[42:43]
	global_load_ubyte v33, v[16:17], off offset:136
	s_waitcnt vmcnt(0)
	v_cvt_f32_fp8_sdwa v33, v33 src0_sel:BYTE_0
	s_nop 0
	v_mul_f32_e32 v34, s52, v33
	v_and_b32_e32 v33, 0x7f800000, v34
	v_cmp_ne_u32_e64 s[8:9], s50, v33
                                        ; implicit-def: $vgpr33
	s_and_saveexec_b64 s[42:43], s[8:9]
	s_xor_b64 s[8:9], exec, s[42:43]
; %bb.29:                               ;   in Loop: Header=BB291_13 Depth=1
	v_bfe_u32 v33, v34, 16, 1
	v_add3_u32 v33, v34, v33, s51
                                        ; implicit-def: $vgpr34
; %bb.30:                               ;   in Loop: Header=BB291_13 Depth=1
	s_andn2_saveexec_b64 s[42:43], s[8:9]
; %bb.31:                               ;   in Loop: Header=BB291_13 Depth=1
	v_or_b32_e32 v33, 0x10000, v34
	v_cmp_eq_u32_sdwa s[8:9], v34, v7 src0_sel:WORD_0 src1_sel:DWORD
	s_nop 1
	v_cndmask_b32_e64 v33, v33, v34, s[8:9]
; %bb.32:                               ;   in Loop: Header=BB291_13 Depth=1
	s_or_b64 exec, exec, s[42:43]
	global_load_ubyte v34, v[16:17], off offset:256
	s_waitcnt vmcnt(0)
	v_cvt_f32_fp8_sdwa v34, v34 src0_sel:BYTE_0
	s_nop 0
	v_mul_f32_e32 v35, s52, v34
	v_and_b32_e32 v34, 0x7f800000, v35
	v_cmp_ne_u32_e64 s[8:9], s50, v34
                                        ; implicit-def: $vgpr34
	s_and_saveexec_b64 s[42:43], s[8:9]
	s_xor_b64 s[8:9], exec, s[42:43]
; %bb.33:                               ;   in Loop: Header=BB291_13 Depth=1
	v_bfe_u32 v34, v35, 16, 1
	v_add3_u32 v34, v35, v34, s51
                                        ; implicit-def: $vgpr35
; %bb.34:                               ;   in Loop: Header=BB291_13 Depth=1
	s_andn2_saveexec_b64 s[42:43], s[8:9]
; %bb.35:                               ;   in Loop: Header=BB291_13 Depth=1
	v_or_b32_e32 v34, 0x10000, v35
	v_cmp_eq_u32_sdwa s[8:9], v35, v7 src0_sel:WORD_0 src1_sel:DWORD
	s_nop 1
	v_cndmask_b32_e64 v34, v34, v35, s[8:9]
; %bb.36:                               ;   in Loop: Header=BB291_13 Depth=1
	s_or_b64 exec, exec, s[42:43]
	global_load_ubyte v35, v[16:17], off offset:264
	s_waitcnt vmcnt(0)
	v_cvt_f32_fp8_sdwa v35, v35 src0_sel:BYTE_0
	s_nop 0
	v_mul_f32_e32 v36, s52, v35
	v_and_b32_e32 v35, 0x7f800000, v36
	v_cmp_ne_u32_e64 s[8:9], s50, v35
                                        ; implicit-def: $vgpr35
	s_and_saveexec_b64 s[42:43], s[8:9]
	s_xor_b64 s[8:9], exec, s[42:43]
; %bb.37:                               ;   in Loop: Header=BB291_13 Depth=1
	v_bfe_u32 v35, v36, 16, 1
	v_add3_u32 v35, v36, v35, s51
                                        ; implicit-def: $vgpr36
; %bb.38:                               ;   in Loop: Header=BB291_13 Depth=1
	s_andn2_saveexec_b64 s[42:43], s[8:9]
; %bb.39:                               ;   in Loop: Header=BB291_13 Depth=1
	v_or_b32_e32 v35, 0x10000, v36
	v_cmp_eq_u32_sdwa s[8:9], v36, v7 src0_sel:WORD_0 src1_sel:DWORD
	s_nop 1
	v_cndmask_b32_e64 v35, v35, v36, s[8:9]
; %bb.40:                               ;   in Loop: Header=BB291_13 Depth=1
	s_or_b64 exec, exec, s[42:43]
	global_load_ubyte v36, v[16:17], off offset:384
	s_waitcnt vmcnt(0)
	v_cvt_f32_fp8_sdwa v36, v36 src0_sel:BYTE_0
	s_nop 0
	v_mul_f32_e32 v37, s52, v36
	v_and_b32_e32 v36, 0x7f800000, v37
	v_cmp_ne_u32_e64 s[8:9], s50, v36
                                        ; implicit-def: $vgpr36
	s_and_saveexec_b64 s[42:43], s[8:9]
	s_xor_b64 s[8:9], exec, s[42:43]
; %bb.41:                               ;   in Loop: Header=BB291_13 Depth=1
	v_bfe_u32 v36, v37, 16, 1
	v_add3_u32 v36, v37, v36, s51
                                        ; implicit-def: $vgpr37
; %bb.42:                               ;   in Loop: Header=BB291_13 Depth=1
	s_andn2_saveexec_b64 s[42:43], s[8:9]
; %bb.43:                               ;   in Loop: Header=BB291_13 Depth=1
	v_or_b32_e32 v36, 0x10000, v37
	v_cmp_eq_u32_sdwa s[8:9], v37, v7 src0_sel:WORD_0 src1_sel:DWORD
	s_nop 1
	v_cndmask_b32_e64 v36, v36, v37, s[8:9]
; %bb.44:                               ;   in Loop: Header=BB291_13 Depth=1
	s_or_b64 exec, exec, s[42:43]
	global_load_ubyte v37, v[16:17], off offset:392
	s_waitcnt vmcnt(0)
	v_cvt_f32_fp8_sdwa v37, v37 src0_sel:BYTE_0
	s_nop 0
	v_mul_f32_e32 v38, s52, v37
	v_and_b32_e32 v37, 0x7f800000, v38
	v_cmp_ne_u32_e64 s[8:9], s50, v37
                                        ; implicit-def: $vgpr37
	s_and_saveexec_b64 s[42:43], s[8:9]
	s_xor_b64 s[8:9], exec, s[42:43]
; %bb.45:                               ;   in Loop: Header=BB291_13 Depth=1
	v_bfe_u32 v37, v38, 16, 1
	v_add3_u32 v37, v38, v37, s51
                                        ; implicit-def: $vgpr38
; %bb.46:                               ;   in Loop: Header=BB291_13 Depth=1
	s_andn2_saveexec_b64 s[42:43], s[8:9]
; %bb.47:                               ;   in Loop: Header=BB291_13 Depth=1
	v_or_b32_e32 v37, 0x10000, v38
	v_cmp_eq_u32_sdwa s[8:9], v38, v7 src0_sel:WORD_0 src1_sel:DWORD
	s_nop 1
	v_cndmask_b32_e64 v37, v37, v38, s[8:9]
; %bb.48:                               ;   in Loop: Header=BB291_13 Depth=1
	s_or_b64 exec, exec, s[42:43]
	global_load_ubyte v38, v[16:17], off offset:512
	s_waitcnt vmcnt(0)
	v_cvt_f32_fp8_sdwa v38, v38 src0_sel:BYTE_0
	s_nop 0
	v_mul_f32_e32 v39, s52, v38
	v_and_b32_e32 v38, 0x7f800000, v39
	v_cmp_ne_u32_e64 s[8:9], s50, v38
                                        ; implicit-def: $vgpr38
	s_and_saveexec_b64 s[42:43], s[8:9]
	s_xor_b64 s[8:9], exec, s[42:43]
; %bb.49:                               ;   in Loop: Header=BB291_13 Depth=1
	v_bfe_u32 v38, v39, 16, 1
	v_add3_u32 v38, v39, v38, s51
                                        ; implicit-def: $vgpr39
; %bb.50:                               ;   in Loop: Header=BB291_13 Depth=1
	s_andn2_saveexec_b64 s[42:43], s[8:9]
; %bb.51:                               ;   in Loop: Header=BB291_13 Depth=1
	v_or_b32_e32 v38, 0x10000, v39
	v_cmp_eq_u32_sdwa s[8:9], v39, v7 src0_sel:WORD_0 src1_sel:DWORD
	s_nop 1
	v_cndmask_b32_e64 v38, v38, v39, s[8:9]
; %bb.52:                               ;   in Loop: Header=BB291_13 Depth=1
	s_or_b64 exec, exec, s[42:43]
	global_load_ubyte v39, v[16:17], off offset:520
	s_waitcnt vmcnt(0)
	v_cvt_f32_fp8_sdwa v39, v39 src0_sel:BYTE_0
	s_nop 0
	v_mul_f32_e32 v40, s52, v39
	v_and_b32_e32 v39, 0x7f800000, v40
	v_cmp_ne_u32_e64 s[8:9], s50, v39
                                        ; implicit-def: $vgpr39
	s_and_saveexec_b64 s[42:43], s[8:9]
	s_xor_b64 s[8:9], exec, s[42:43]
; %bb.53:                               ;   in Loop: Header=BB291_13 Depth=1
	v_bfe_u32 v39, v40, 16, 1
	v_add3_u32 v39, v40, v39, s51
                                        ; implicit-def: $vgpr40
; %bb.54:                               ;   in Loop: Header=BB291_13 Depth=1
	s_andn2_saveexec_b64 s[42:43], s[8:9]
; %bb.55:                               ;   in Loop: Header=BB291_13 Depth=1
	v_or_b32_e32 v39, 0x10000, v40
	v_cmp_eq_u32_sdwa s[8:9], v40, v7 src0_sel:WORD_0 src1_sel:DWORD
	s_nop 1
	v_cndmask_b32_e64 v39, v39, v40, s[8:9]
; %bb.56:                               ;   in Loop: Header=BB291_13 Depth=1
	s_or_b64 exec, exec, s[42:43]
	global_load_ubyte v40, v[16:17], off offset:640
	s_waitcnt vmcnt(0)
	v_cvt_f32_fp8_sdwa v40, v40 src0_sel:BYTE_0
	s_nop 0
	v_mul_f32_e32 v41, s52, v40
	v_and_b32_e32 v40, 0x7f800000, v41
	v_cmp_ne_u32_e64 s[8:9], s50, v40
                                        ; implicit-def: $vgpr40
	s_and_saveexec_b64 s[42:43], s[8:9]
	s_xor_b64 s[8:9], exec, s[42:43]
; %bb.57:                               ;   in Loop: Header=BB291_13 Depth=1
	v_bfe_u32 v40, v41, 16, 1
	v_add3_u32 v40, v41, v40, s51
                                        ; implicit-def: $vgpr41
; %bb.58:                               ;   in Loop: Header=BB291_13 Depth=1
	s_andn2_saveexec_b64 s[42:43], s[8:9]
; %bb.59:                               ;   in Loop: Header=BB291_13 Depth=1
	v_or_b32_e32 v40, 0x10000, v41
	v_cmp_eq_u32_sdwa s[8:9], v41, v7 src0_sel:WORD_0 src1_sel:DWORD
	s_nop 1
	v_cndmask_b32_e64 v40, v40, v41, s[8:9]
; %bb.60:                               ;   in Loop: Header=BB291_13 Depth=1
	s_or_b64 exec, exec, s[42:43]
	global_load_ubyte v16, v[16:17], off offset:648
	s_waitcnt vmcnt(0)
	v_cvt_f32_fp8_sdwa v16, v16 src0_sel:BYTE_0
	s_nop 0
	v_mul_f32_e32 v17, s52, v16
	v_and_b32_e32 v16, 0x7f800000, v17
	v_cmp_ne_u32_e64 s[8:9], s50, v16
                                        ; implicit-def: $vgpr16
	s_and_saveexec_b64 s[42:43], s[8:9]
	s_xor_b64 s[8:9], exec, s[42:43]
; %bb.61:                               ;   in Loop: Header=BB291_13 Depth=1
	v_bfe_u32 v16, v17, 16, 1
	v_add3_u32 v16, v17, v16, s51
                                        ; implicit-def: $vgpr17
; %bb.62:                               ;   in Loop: Header=BB291_13 Depth=1
	s_andn2_saveexec_b64 s[42:43], s[8:9]
; %bb.63:                               ;   in Loop: Header=BB291_13 Depth=1
	v_or_b32_e32 v16, 0x10000, v17
	v_cmp_eq_u32_sdwa s[8:9], v17, v7 src0_sel:WORD_0 src1_sel:DWORD
	s_nop 1
	v_cndmask_b32_e64 v16, v16, v17, s[8:9]
; %bb.64:                               ;   in Loop: Header=BB291_13 Depth=1
	s_or_b64 exec, exec, s[42:43]
	v_and_b32_e32 v17, 0xffff0000, v40
	v_and_b32_e32 v31, 0xffff0000, v31
	v_lshlrev_b32_e32 v40, 16, v2
	v_and_b32_e32 v2, 0xffff0000, v2
	v_and_b32_e32 v30, 0xffff0000, v30
	v_mul_f32_e32 v2, v2, v31
	v_and_b32_e32 v32, 0xffff0000, v32
	v_lshlrev_b32_e32 v41, 16, v3
	v_fmac_f32_e32 v2, v40, v30
	v_and_b32_e32 v33, 0xffff0000, v33
	v_and_b32_e32 v3, 0xffff0000, v3
	v_fmac_f32_e32 v2, v41, v32
	v_and_b32_e32 v34, 0xffff0000, v34
	v_lshlrev_b32_e32 v42, 16, v4
	v_fmac_f32_e32 v2, v3, v33
	v_and_b32_e32 v35, 0xffff0000, v35
	v_and_b32_e32 v4, 0xffff0000, v4
	v_fmac_f32_e32 v2, v42, v34
	;; [unrolled: 6-line block ×3, first 2 shown]
	v_and_b32_e32 v38, 0xffff0000, v38
	v_lshlrev_b32_e32 v44, 16, v14
	v_and_b32_e32 v46, 64, v28
	v_fmac_f32_e32 v2, v5, v37
	v_and_b32_e32 v39, 0xffff0000, v39
	v_and_b32_e32 v14, 0xffff0000, v14
	v_add_u32_e32 v46, 64, v46
	v_xor_b32_e32 v47, 4, v28
	v_fmac_f32_e32 v2, v44, v38
	v_lshlrev_b32_e32 v45, 16, v15
	v_cmp_lt_i32_e64 s[8:9], v47, v46
	v_fmac_f32_e32 v2, v14, v39
	v_and_b32_e32 v15, 0xffff0000, v15
	v_cndmask_b32_e64 v47, v28, v47, s[8:9]
	v_and_b32_e32 v16, 0xffff0000, v16
	v_fmac_f32_e32 v2, v45, v17
	v_lshlrev_b32_e32 v47, 2, v47
	v_fmac_f32_e32 v2, v15, v16
	ds_bpermute_b32 v3, v47, v2
	v_xor_b32_e32 v4, 2, v28
	v_cmp_lt_i32_e64 s[8:9], v4, v46
	s_waitcnt lgkmcnt(0)
	v_add_f32_e32 v2, v2, v3
	v_cndmask_b32_e64 v4, v28, v4, s[8:9]
	v_lshlrev_b32_e32 v4, 2, v4
	ds_bpermute_b32 v3, v4, v2
	v_xor_b32_e32 v4, 1, v28
	v_cmp_lt_i32_e64 s[8:9], v4, v46
	s_waitcnt lgkmcnt(0)
	v_add_f32_e32 v2, v2, v3
	v_cndmask_b32_e64 v4, v28, v4, s[8:9]
	v_lshlrev_b32_e32 v4, 2, v4
	ds_bpermute_b32 v3, v4, v2
	s_and_saveexec_b64 s[42:43], vcc
	s_cbranch_execz .LBB291_11
; %bb.65:                               ;   in Loop: Header=BB291_13 Depth=1
	v_add_u32_e32 v4, v26, v24
	v_cvt_f32_i32_e32 v4, v4
	s_waitcnt lgkmcnt(0)
	v_add_f32_e32 v2, v2, v3
	v_add_u32_e32 v5, v20, v24
	v_cmp_gt_i32_e64 s[8:9], s25, v5
	v_mul_f32_e32 v3, s46, v4
	v_cndmask_b32_e64 v3, 0, v3, s[0:1]
	v_fmac_f32_e32 v3, s39, v2
	v_cndmask_b32_e64 v2, 0, v3, s[8:9]
	ds_write_b32 v25, v2
	v_max_f32_e32 v2, v22, v22
	v_max_f32_e32 v2, v2, v3
	v_cndmask_b32_e64 v22, v22, v2, s[8:9]
	s_branch .LBB291_11
.LBB291_66:
	s_or_b64 exec, exec, s[40:41]
.LBB291_67:
	s_or_b64 exec, exec, s[18:19]
	v_mbcnt_hi_u32_b32 v2, -1, v19
	s_waitcnt lgkmcnt(0)
	v_and_b32_e32 v3, 64, v2
	v_add_u32_e32 v3, 64, v3
	v_xor_b32_e32 v4, 32, v2
	v_cmp_lt_i32_e32 vcc, v4, v3
	v_xor_b32_e32 v7, 16, v2
	v_max_f32_e32 v6, v22, v22
	v_cndmask_b32_e32 v4, v2, v4, vcc
	v_lshlrev_b32_e32 v5, 2, v4
	ds_bpermute_b32 v4, v5, v22
	v_cmp_lt_i32_e32 vcc, v7, v3
	v_xor_b32_e32 v8, 8, v2
	v_and_b32_e32 v20, 63, v0
	s_waitcnt lgkmcnt(0)
	v_max_f32_e32 v4, v4, v4
	v_max_f32_e32 v4, v6, v4
	v_cndmask_b32_e32 v6, v2, v7, vcc
	v_lshlrev_b32_e32 v7, 2, v6
	ds_bpermute_b32 v6, v7, v4
	v_cmp_lt_i32_e32 vcc, v8, v3
	s_waitcnt lgkmcnt(0)
	v_max_f32_e32 v6, v6, v6
	v_max_f32_e32 v6, v4, v6
	v_cndmask_b32_e32 v4, v2, v8, vcc
	v_lshlrev_b32_e32 v9, 2, v4
	ds_bpermute_b32 v8, v9, v6
	v_cmp_eq_u32_e32 vcc, 0, v20
	v_lshlrev_b32_e32 v4, 2, v1
	s_and_saveexec_b64 s[0:1], vcc
	s_cbranch_execz .LBB291_69
; %bb.68:
	s_waitcnt lgkmcnt(0)
	v_max_f32_e32 v8, v8, v8
	v_max_f32_e32 v6, v6, v6
	;; [unrolled: 1-line block ×3, first 2 shown]
	ds_write_b32 v4, v6 offset:192
.LBB291_69:
	s_or_b64 exec, exec, s[0:1]
	v_cmp_gt_u32_e64 s[0:1], 2, v20
	v_mov_b32_e32 v12, 0xff7fffff
	v_lshlrev_b32_e32 v6, 2, v20
	s_waitcnt lgkmcnt(0)
	s_barrier
	s_and_saveexec_b64 s[8:9], s[0:1]
	s_cbranch_execz .LBB291_71
; %bb.70:
	ds_read_b32 v12, v6 offset:192
.LBB291_71:
	s_or_b64 exec, exec, s[8:9]
	v_xor_b32_e32 v8, 1, v2
	v_cmp_lt_i32_e64 s[8:9], v8, v3
	v_lshlrev_b32_e32 v14, 2, v2
	s_nop 0
	v_cndmask_b32_e64 v8, v2, v8, s[8:9]
	v_lshlrev_b32_e32 v8, 2, v8
	s_waitcnt lgkmcnt(0)
	ds_bpermute_b32 v13, v8, v12
	v_max_f32_e32 v12, v12, v12
	s_lshl_b32 s8, s45, 3
	s_min_i32 s39, s8, s25
	v_cmp_gt_i32_e64 s[8:9], s39, v0
	s_waitcnt lgkmcnt(0)
	v_max_f32_e32 v13, v13, v13
	v_max_f32_e32 v13, v12, v13
	v_and_b32_e32 v12, 0x100, v14
	ds_bpermute_b32 v14, v12, v13
	v_mov_b32_e32 v13, 0
	s_and_saveexec_b64 s[12:13], s[8:9]
	s_cbranch_execz .LBB291_75
; %bb.72:
	v_mov_b32_e32 v13, 0xd0
	v_lshl_add_u32 v15, v0, 2, v13
	s_mov_b64 s[18:19], 0
	v_mov_b32_e32 v13, 0
	v_mov_b32_e32 v16, v0
.LBB291_73:                             ; =>This Inner Loop Header: Depth=1
	ds_read_b32 v17, v15
	v_add_u32_e32 v16, 0x80, v16
	v_cmp_le_i32_e64 s[10:11], s39, v16
	s_or_b64 s[18:19], s[10:11], s[18:19]
	s_waitcnt lgkmcnt(0)
	v_sub_f32_e32 v17, v17, v14
	v_mul_f32_e32 v17, 0x3fb8aa3b, v17
	v_exp_f32_e32 v17, v17
	ds_write_b32 v15, v17
	v_add_f32_e32 v13, v13, v17
	v_add_u32_e32 v15, 0x200, v15
	s_andn2_b64 exec, exec, s[18:19]
	s_cbranch_execnz .LBB291_73
; %bb.74:
	s_or_b64 exec, exec, s[18:19]
.LBB291_75:
	s_or_b64 exec, exec, s[12:13]
	ds_bpermute_b32 v5, v5, v13
	s_waitcnt lgkmcnt(0)
	v_add_f32_e32 v5, v13, v5
	ds_bpermute_b32 v7, v7, v5
	s_waitcnt lgkmcnt(0)
	v_add_f32_e32 v5, v5, v7
	ds_bpermute_b32 v7, v9, v5
	v_xor_b32_e32 v9, 4, v2
	v_cmp_lt_i32_e64 s[10:11], v9, v3
	s_waitcnt lgkmcnt(0)
	v_add_f32_e32 v5, v5, v7
	v_cndmask_b32_e64 v9, v2, v9, s[10:11]
	v_lshlrev_b32_e32 v9, 2, v9
	ds_bpermute_b32 v7, v9, v5
	v_xor_b32_e32 v9, 2, v2
	v_cmp_lt_i32_e64 s[10:11], v9, v3
	s_waitcnt lgkmcnt(0)
	v_add_f32_e32 v3, v5, v7
	v_cndmask_b32_e64 v2, v2, v9, s[10:11]
	v_lshlrev_b32_e32 v2, 2, v2
	ds_bpermute_b32 v2, v2, v3
	s_waitcnt lgkmcnt(0)
	v_add_f32_e32 v2, v3, v2
	ds_bpermute_b32 v3, v8, v2
	s_waitcnt lgkmcnt(0)
	v_add_f32_e32 v2, v2, v3
	s_and_saveexec_b64 s[10:11], vcc
	s_cbranch_execz .LBB291_77
; %bb.76:
	ds_write_b32 v4, v2 offset:200
.LBB291_77:
	s_or_b64 exec, exec, s[10:11]
	s_waitcnt lgkmcnt(0)
	s_barrier
	s_and_saveexec_b64 s[10:11], s[0:1]
	s_cbranch_execz .LBB291_79
; %bb.78:
	ds_read_b32 v2, v6 offset:200
.LBB291_79:
	s_or_b64 exec, exec, s[10:11]
	s_waitcnt lgkmcnt(0)
	ds_bpermute_b32 v3, v8, v2
	s_waitcnt lgkmcnt(0)
	v_add_f32_e32 v2, v2, v3
	ds_bpermute_b32 v2, v12, v2
	s_and_saveexec_b64 s[0:1], s[8:9]
	s_cbranch_execz .LBB291_92
; %bb.80:
	s_waitcnt lgkmcnt(0)
	v_add_f32_e32 v2, 0x358637bd, v2
	v_div_scale_f32 v3, s[8:9], v2, v2, 1.0
	v_rcp_f32_e32 v4, v3
	v_div_scale_f32 v5, vcc, 1.0, v2, 1.0
	s_movk_i32 s8, 0x7f
	v_fma_f32 v6, -v3, v4, 1.0
	v_fmac_f32_e32 v4, v6, v4
	v_mul_f32_e32 v6, v5, v4
	v_fma_f32 v7, -v3, v6, v5
	v_fmac_f32_e32 v6, v7, v4
	v_fma_f32 v3, -v3, v6, v5
	v_div_fmas_f32 v3, v3, v4, v6
	v_xad_u32 v4, v0, -1, s39
	v_div_fixup_f32 v2, v3, v2, 1.0
	v_cmp_lt_u32_e32 vcc, s8, v4
	s_mov_b64 s[10:11], -1
	v_mov_b32_e32 v3, v0
	s_and_saveexec_b64 s[8:9], vcc
	s_cbranch_execz .LBB291_89
; %bb.81:
	v_lshrrev_b32_e32 v4, 7, v4
	v_add_u32_e32 v6, -1, v4
	v_lshrrev_b32_e32 v5, 1, v6
	v_mov_b32_e32 v3, v2
	v_add_u32_e32 v5, 1, v5
	v_cmp_lt_u32_e32 vcc, 13, v6
	v_mov_b32_e32 v8, 0
	s_and_saveexec_b64 s[10:11], vcc
	s_cbranch_execz .LBB291_85
; %bb.82:
	v_mov_b32_e32 v7, 0xd0
	v_and_b32_e32 v6, -8, v5
	v_lshl_add_u32 v7, v0, 2, v7
	s_mov_b32 s18, 0
	s_mov_b64 s[12:13], 0
.LBB291_83:                             ; =>This Inner Loop Header: Depth=1
	ds_read2st64_b32 v[8:9], v7 offset1:2
	ds_read2st64_b32 v[12:13], v7 offset0:4 offset1:6
	ds_read2st64_b32 v[14:15], v7 offset0:8 offset1:10
	ds_read2st64_b32 v[16:17], v7 offset0:12 offset1:14
	v_add_u32_e32 v6, -8, v6
	s_waitcnt lgkmcnt(3)
	v_pk_mul_f32 v[8:9], v[2:3], v[8:9]
	s_waitcnt lgkmcnt(2)
	v_pk_mul_f32 v[12:13], v[2:3], v[12:13]
	ds_write2st64_b32 v7, v8, v9 offset1:2
	ds_write2st64_b32 v7, v12, v13 offset0:4 offset1:6
	ds_read2st64_b32 v[12:13], v7 offset0:16 offset1:18
	s_waitcnt lgkmcnt(4)
	v_pk_mul_f32 v[8:9], v[2:3], v[14:15]
	ds_write2st64_b32 v7, v8, v9 offset0:8 offset1:10
	s_waitcnt lgkmcnt(4)
	v_pk_mul_f32 v[8:9], v[2:3], v[16:17]
	ds_write2st64_b32 v7, v8, v9 offset0:12 offset1:14
	ds_read2st64_b32 v[8:9], v7 offset0:20 offset1:22
	s_waitcnt lgkmcnt(3)
	v_pk_mul_f32 v[12:13], v[2:3], v[12:13]
	ds_read2st64_b32 v[14:15], v7 offset0:24 offset1:26
	ds_write2st64_b32 v7, v12, v13 offset0:16 offset1:18
	ds_read2st64_b32 v[12:13], v7 offset0:28 offset1:30
	s_waitcnt lgkmcnt(3)
	v_pk_mul_f32 v[8:9], v[2:3], v[8:9]
	ds_write2st64_b32 v7, v8, v9 offset0:20 offset1:22
	s_waitcnt lgkmcnt(3)
	v_pk_mul_f32 v[8:9], v[2:3], v[14:15]
	ds_write2st64_b32 v7, v8, v9 offset0:24 offset1:26
	s_waitcnt lgkmcnt(2)
	v_pk_mul_f32 v[8:9], v[2:3], v[12:13]
	s_add_i32 s18, s18, 16
	v_cmp_eq_u32_e32 vcc, 0, v6
	ds_write2st64_b32 v7, v8, v9 offset0:28 offset1:30
	v_add_u32_e32 v7, 0x2000, v7
	s_or_b64 s[12:13], vcc, s[12:13]
	v_mov_b32_e32 v8, s18
	s_andn2_b64 exec, exec, s[12:13]
	s_cbranch_execnz .LBB291_83
; %bb.84:
	s_or_b64 exec, exec, s[12:13]
.LBB291_85:
	s_or_b64 exec, exec, s[10:11]
	v_and_b32_e32 v5, 7, v5
	v_cmp_ne_u32_e32 vcc, 0, v5
	s_and_saveexec_b64 s[10:11], vcc
	s_cbranch_execz .LBB291_88
; %bb.86:
	v_lshlrev_b32_e32 v6, 9, v8
	v_lshlrev_b32_e32 v7, 2, v0
	s_movk_i32 s12, 0xd0
	v_add3_u32 v6, v6, v7, s12
	s_mov_b64 s[12:13], 0
.LBB291_87:                             ; =>This Inner Loop Header: Depth=1
	ds_read2st64_b32 v[8:9], v6 offset1:2
	v_add_u32_e32 v5, -1, v5
	v_cmp_eq_u32_e32 vcc, 0, v5
	s_or_b64 s[12:13], vcc, s[12:13]
	s_waitcnt lgkmcnt(0)
	v_pk_mul_f32 v[8:9], v[2:3], v[8:9]
	ds_write2st64_b32 v6, v8, v9 offset1:2
	v_add_u32_e32 v6, 0x400, v6
	s_andn2_b64 exec, exec, s[12:13]
	s_cbranch_execnz .LBB291_87
.LBB291_88:
	s_or_b64 exec, exec, s[10:11]
	v_add_u32_e32 v4, 1, v4
	v_and_b32_e32 v5, 0x3fffffe, v4
	v_cmp_ne_u32_e32 vcc, v4, v5
	v_lshl_add_u32 v3, v5, 7, v0
	s_orn2_b64 s[10:11], vcc, exec
.LBB291_89:
	s_or_b64 exec, exec, s[8:9]
	s_and_b64 exec, exec, s[10:11]
	s_cbranch_execz .LBB291_92
; %bb.90:
	v_mov_b32_e32 v4, 0xd0
	v_lshl_add_u32 v4, v3, 2, v4
	s_mov_b64 s[8:9], 0
.LBB291_91:                             ; =>This Inner Loop Header: Depth=1
	ds_read_b32 v5, v4
	v_add_u32_e32 v3, 0x80, v3
	v_cmp_le_i32_e32 vcc, s39, v3
	s_or_b64 s[8:9], vcc, s[8:9]
	s_waitcnt lgkmcnt(0)
	v_mul_f32_e32 v5, v2, v5
	ds_write_b32 v4, v5
	v_add_u32_e32 v4, 0x200, v4
	s_andn2_b64 exec, exec, s[8:9]
	s_cbranch_execnz .LBB291_91
.LBB291_92:
	s_or_b64 exec, exec, s[0:1]
	v_mov_b32_e32 v13, 0
	v_mov_b32_e32 v12, v13
	s_waitcnt lgkmcnt(0)
	s_barrier
	s_and_saveexec_b64 s[8:9], s[2:3]
	s_cbranch_execz .LBB291_264
; %bb.93:
	s_sub_i32 s39, s16, s21
	s_ashr_i32 s0, s20, 31
	s_add_u32 s10, s36, s20
	s_addc_u32 s11, s37, s0
	s_abs_i32 s22, s22
	v_cvt_f32_u32_e32 v2, s22
	v_or_b32_e32 v3, 64, v20
	s_movk_i32 s0, 0x60
	v_cmp_gt_u32_e32 vcc, s0, v3
	v_rcp_iflag_f32_e32 v2, v2
	s_sub_i32 s0, 0, s22
	s_add_i32 s36, s45, -1
	v_lshlrev_b32_e32 v16, 3, v3
	v_mul_f32_e32 v2, 0x4f7ffffe, v2
	v_cvt_u32_f32_e32 v2, v2
	v_mov_b32_e32 v15, 0
	s_mov_b32 s40, s17
	v_lshlrev_b32_e32 v14, 3, v20
	v_mul_lo_u32 v3, s0, v2
	s_lshl_b64 s[0:1], s[34:35], 2
	v_mul_hi_u32 v3, v2, v3
	s_add_u32 s0, s30, s0
	v_add_u32_e32 v21, v2, v3
	v_and_b32_e32 v2, 60, v18
	v_mov_b32_e32 v3, v15
	s_addc_u32 s1, s31, s1
	v_lshl_add_u64 v[18:19], s[0:1], 0, v[2:3]
	v_mov_b32_e32 v2, 0xd0
	v_mov_b32_e32 v17, v15
	v_lshl_add_u32 v22, v1, 5, v2
	s_mov_b64 s[12:13], 0
	s_mov_b32 s30, 0x7f800000
	s_movk_i32 s31, 0x7fff
	v_mov_b32_e32 v12, v15
	v_mov_b32_e32 v13, v15
	s_branch .LBB291_97
.LBB291_94:                             ;   in Loop: Header=BB291_97 Depth=1
	s_or_b64 exec, exec, s[2:3]
	v_and_b32_e32 v27, 0xffff0000, v5
	v_and_b32_e32 v26, 0xffff0000, v9
	;; [unrolled: 1-line block ×6, first 2 shown]
	v_pk_add_f32 v[4:5], v[4:5], v[8:9]
	v_and_b32_e32 v25, 0xffff0000, v24
	v_and_b32_e32 v24, 0xffff0000, v23
	v_mov_b32_e32 v6, v5
	v_pk_add_f32 v[4:5], v[4:5], v[6:7]
	v_pk_add_f32 v[6:7], v[26:27], v[24:25]
	s_nop 0
	v_pk_add_f32 v[4:5], v[4:5], v[6:7]
	v_mov_b32_e32 v6, v7
	v_pk_add_f32 v[4:5], v[4:5], v[6:7]
	s_nop 0
	v_mov_b32_e32 v3, v4
	v_pk_add_f32 v[12:13], v[12:13], v[2:3]
.LBB291_95:                             ;   in Loop: Header=BB291_97 Depth=1
	s_or_b64 exec, exec, s[18:19]
	v_mov_b32_e32 v12, v2
.LBB291_96:                             ;   in Loop: Header=BB291_97 Depth=1
	s_or_b64 exec, exec, s[16:17]
	v_add_u32_e32 v1, 2, v1
	v_cmp_le_i32_e64 s[0:1], s45, v1
	v_lshl_add_u64 v[18:19], v[18:19], 0, 8
	v_add_u32_e32 v11, 16, v11
	s_or_b64 s[12:13], s[0:1], s[12:13]
	v_add_u32_e32 v22, 64, v22
	s_andn2_b64 exec, exec, s[12:13]
	s_cbranch_execz .LBB291_263
.LBB291_97:                             ; =>This Inner Loop Header: Depth=1
	v_mul_hi_u32 v2, v11, s33
	v_mul_lo_u32 v3, v2, s27
	v_sub_u32_e32 v3, v11, v3
	v_add_u32_e32 v4, 1, v2
	v_cmp_le_u32_e64 s[0:1], s27, v3
	s_nop 1
	v_cndmask_b32_e64 v2, v2, v4, s[0:1]
	v_subrev_u32_e32 v4, s27, v3
	v_cndmask_b32_e64 v3, v3, v4, s[0:1]
	v_add_u32_e32 v4, 1, v2
	v_cmp_le_u32_e64 s[0:1], s27, v3
	s_nop 1
	v_cndmask_b32_e64 v2, v2, v4, s[0:1]
	v_xor_b32_e32 v2, s44, v2
	v_subrev_u32_e32 v2, s44, v2
	v_add_u32_e32 v3, s38, v2
	v_sub_u32_e32 v5, 0, v3
	v_ashrrev_i32_e32 v4, 31, v3
	v_max_i32_e32 v3, v3, v5
	v_mul_hi_u32 v5, v3, v21
	v_mul_lo_u32 v5, v5, s22
	v_sub_u32_e32 v3, v3, v5
	v_subrev_u32_e32 v5, s22, v3
	v_cmp_le_u32_e64 s[0:1], s22, v3
	v_cmp_lt_i32_e64 s[2:3], s39, v2
	s_nop 0
	v_cndmask_b32_e64 v3, v3, v5, s[0:1]
	v_subrev_u32_e32 v5, s22, v3
	v_cmp_le_u32_e64 s[0:1], s22, v3
	s_nop 1
	v_cndmask_b32_e64 v3, v3, v5, s[0:1]
	v_xor_b32_e32 v3, v3, v4
	v_sub_u32_e32 v3, v3, v4
	v_cmp_eq_u32_e64 s[0:1], 0, v3
	s_or_b64 s[0:1], s[0:1], s[2:3]
	s_and_saveexec_b64 s[16:17], s[0:1]
	s_cbranch_execz .LBB291_96
; %bb.98:                               ;   in Loop: Header=BB291_97 Depth=1
	global_load_dword v31, v[18:19], off
	ds_read2_b64 v[6:9], v22 offset1:1
	ds_read2_b64 v[2:5], v22 offset0:2 offset1:3
                                        ; implicit-def: $vgpr30
	s_waitcnt lgkmcnt(1)
	v_and_b32_e32 v23, 0x7f800000, v6
	v_cmp_ne_u32_e64 s[0:1], s30, v23
	s_and_saveexec_b64 s[2:3], s[0:1]
	s_xor_b64 s[0:1], exec, s[2:3]
; %bb.99:                               ;   in Loop: Header=BB291_97 Depth=1
	v_bfe_u32 v23, v6, 16, 1
	v_add3_u32 v30, v6, v23, s31
; %bb.100:                              ;   in Loop: Header=BB291_97 Depth=1
	s_andn2_saveexec_b64 s[2:3], s[0:1]
; %bb.101:                              ;   in Loop: Header=BB291_97 Depth=1
	v_or_b32_e32 v23, 0x10000, v6
	v_cmp_eq_u32_sdwa s[0:1], v6, v15 src0_sel:WORD_0 src1_sel:DWORD
	s_nop 1
	v_cndmask_b32_e64 v30, v23, v6, s[0:1]
; %bb.102:                              ;   in Loop: Header=BB291_97 Depth=1
	s_or_b64 exec, exec, s[2:3]
	v_and_b32_e32 v6, 0x7f800000, v7
	v_cmp_ne_u32_e64 s[0:1], s30, v6
                                        ; implicit-def: $vgpr29
	s_and_saveexec_b64 s[2:3], s[0:1]
	s_xor_b64 s[0:1], exec, s[2:3]
; %bb.103:                              ;   in Loop: Header=BB291_97 Depth=1
	v_bfe_u32 v6, v7, 16, 1
	v_add3_u32 v29, v7, v6, s31
; %bb.104:                              ;   in Loop: Header=BB291_97 Depth=1
	s_andn2_saveexec_b64 s[2:3], s[0:1]
; %bb.105:                              ;   in Loop: Header=BB291_97 Depth=1
	v_or_b32_e32 v6, 0x10000, v7
	v_cmp_eq_u32_sdwa s[0:1], v7, v15 src0_sel:WORD_0 src1_sel:DWORD
	s_nop 1
	v_cndmask_b32_e64 v29, v6, v7, s[0:1]
; %bb.106:                              ;   in Loop: Header=BB291_97 Depth=1
	s_or_b64 exec, exec, s[2:3]
	v_and_b32_e32 v6, 0x7f800000, v8
	v_cmp_ne_u32_e64 s[0:1], s30, v6
                                        ; implicit-def: $vgpr28
	s_and_saveexec_b64 s[2:3], s[0:1]
	s_xor_b64 s[0:1], exec, s[2:3]
; %bb.107:                              ;   in Loop: Header=BB291_97 Depth=1
	v_bfe_u32 v6, v8, 16, 1
	v_add3_u32 v28, v8, v6, s31
; %bb.108:                              ;   in Loop: Header=BB291_97 Depth=1
	s_andn2_saveexec_b64 s[2:3], s[0:1]
; %bb.109:                              ;   in Loop: Header=BB291_97 Depth=1
	v_or_b32_e32 v6, 0x10000, v8
	v_cmp_eq_u32_sdwa s[0:1], v8, v15 src0_sel:WORD_0 src1_sel:DWORD
	s_nop 1
	v_cndmask_b32_e64 v28, v6, v8, s[0:1]
; %bb.110:                              ;   in Loop: Header=BB291_97 Depth=1
	s_or_b64 exec, exec, s[2:3]
	v_and_b32_e32 v6, 0x7f800000, v9
	v_cmp_ne_u32_e64 s[0:1], s30, v6
                                        ; implicit-def: $vgpr27
	s_and_saveexec_b64 s[2:3], s[0:1]
	s_xor_b64 s[0:1], exec, s[2:3]
; %bb.111:                              ;   in Loop: Header=BB291_97 Depth=1
	v_bfe_u32 v6, v9, 16, 1
	v_add3_u32 v27, v9, v6, s31
                                        ; implicit-def: $vgpr6_vgpr7_vgpr8_vgpr9
; %bb.112:                              ;   in Loop: Header=BB291_97 Depth=1
	s_andn2_saveexec_b64 s[2:3], s[0:1]
; %bb.113:                              ;   in Loop: Header=BB291_97 Depth=1
	v_or_b32_e32 v6, 0x10000, v9
	v_cmp_eq_u32_sdwa s[0:1], v9, v15 src0_sel:WORD_0 src1_sel:DWORD
	s_nop 1
	v_cndmask_b32_e64 v27, v6, v9, s[0:1]
; %bb.114:                              ;   in Loop: Header=BB291_97 Depth=1
	s_or_b64 exec, exec, s[2:3]
	s_waitcnt lgkmcnt(0)
	v_and_b32_e32 v6, 0x7f800000, v2
	v_cmp_ne_u32_e64 s[0:1], s30, v6
                                        ; implicit-def: $vgpr23
	s_and_saveexec_b64 s[2:3], s[0:1]
	s_xor_b64 s[0:1], exec, s[2:3]
; %bb.115:                              ;   in Loop: Header=BB291_97 Depth=1
	v_bfe_u32 v6, v2, 16, 1
	v_add3_u32 v23, v2, v6, s31
; %bb.116:                              ;   in Loop: Header=BB291_97 Depth=1
	s_andn2_saveexec_b64 s[2:3], s[0:1]
; %bb.117:                              ;   in Loop: Header=BB291_97 Depth=1
	v_or_b32_e32 v6, 0x10000, v2
	v_cmp_eq_u32_sdwa s[0:1], v2, v15 src0_sel:WORD_0 src1_sel:DWORD
	s_nop 1
	v_cndmask_b32_e64 v23, v6, v2, s[0:1]
; %bb.118:                              ;   in Loop: Header=BB291_97 Depth=1
	s_or_b64 exec, exec, s[2:3]
	v_and_b32_e32 v2, 0x7f800000, v3
	v_cmp_ne_u32_e64 s[0:1], s30, v2
                                        ; implicit-def: $vgpr24
	s_and_saveexec_b64 s[2:3], s[0:1]
	s_xor_b64 s[0:1], exec, s[2:3]
; %bb.119:                              ;   in Loop: Header=BB291_97 Depth=1
	v_bfe_u32 v2, v3, 16, 1
	v_add3_u32 v24, v3, v2, s31
; %bb.120:                              ;   in Loop: Header=BB291_97 Depth=1
	s_andn2_saveexec_b64 s[2:3], s[0:1]
; %bb.121:                              ;   in Loop: Header=BB291_97 Depth=1
	v_or_b32_e32 v2, 0x10000, v3
	v_cmp_eq_u32_sdwa s[0:1], v3, v15 src0_sel:WORD_0 src1_sel:DWORD
	s_nop 1
	v_cndmask_b32_e64 v24, v2, v3, s[0:1]
; %bb.122:                              ;   in Loop: Header=BB291_97 Depth=1
	s_or_b64 exec, exec, s[2:3]
	v_and_b32_e32 v2, 0x7f800000, v4
	v_cmp_ne_u32_e64 s[0:1], s30, v2
                                        ; implicit-def: $vgpr25
	s_and_saveexec_b64 s[2:3], s[0:1]
	s_xor_b64 s[0:1], exec, s[2:3]
; %bb.123:                              ;   in Loop: Header=BB291_97 Depth=1
	v_bfe_u32 v2, v4, 16, 1
	v_add3_u32 v25, v4, v2, s31
; %bb.124:                              ;   in Loop: Header=BB291_97 Depth=1
	s_andn2_saveexec_b64 s[2:3], s[0:1]
; %bb.125:                              ;   in Loop: Header=BB291_97 Depth=1
	v_or_b32_e32 v2, 0x10000, v4
	v_cmp_eq_u32_sdwa s[0:1], v4, v15 src0_sel:WORD_0 src1_sel:DWORD
	s_nop 1
	v_cndmask_b32_e64 v25, v2, v4, s[0:1]
; %bb.126:                              ;   in Loop: Header=BB291_97 Depth=1
	s_or_b64 exec, exec, s[2:3]
	v_and_b32_e32 v2, 0x7f800000, v5
	v_cmp_ne_u32_e64 s[0:1], s30, v2
                                        ; implicit-def: $vgpr26
	s_and_saveexec_b64 s[2:3], s[0:1]
	s_xor_b64 s[0:1], exec, s[2:3]
; %bb.127:                              ;   in Loop: Header=BB291_97 Depth=1
	v_bfe_u32 v2, v5, 16, 1
	v_add3_u32 v26, v5, v2, s31
                                        ; implicit-def: $vgpr2_vgpr3_vgpr4_vgpr5
; %bb.128:                              ;   in Loop: Header=BB291_97 Depth=1
	s_andn2_saveexec_b64 s[2:3], s[0:1]
; %bb.129:                              ;   in Loop: Header=BB291_97 Depth=1
	v_or_b32_e32 v2, 0x10000, v5
	v_cmp_eq_u32_sdwa s[0:1], v5, v15 src0_sel:WORD_0 src1_sel:DWORD
	s_nop 1
	v_cndmask_b32_e64 v26, v2, v5, s[0:1]
; %bb.130:                              ;   in Loop: Header=BB291_97 Depth=1
	s_or_b64 exec, exec, s[2:3]
	v_mov_b64_e32 v[2:3], s[10:11]
	s_waitcnt vmcnt(0)
	v_mad_i64_i32 v[4:5], s[0:1], v31, s40, v[2:3]
	v_lshl_add_u64 v[2:3], v[4:5], 0, v[14:15]
	global_load_dwordx2 v[2:3], v[2:3], off
	s_load_dword s34, s[14:15], 0x0
	s_waitcnt vmcnt(0)
	v_and_b32_e32 v6, 0xff, v2
	v_cvt_f32_fp8_sdwa v6, v6 src0_sel:BYTE_0
	s_waitcnt lgkmcnt(0)
	v_mul_f32_e32 v7, s34, v6
	v_and_b32_e32 v6, 0x7f800000, v7
	v_cmp_ne_u32_e64 s[0:1], s30, v6
                                        ; implicit-def: $vgpr6
	s_and_saveexec_b64 s[2:3], s[0:1]
	s_xor_b64 s[0:1], exec, s[2:3]
; %bb.131:                              ;   in Loop: Header=BB291_97 Depth=1
	v_bfe_u32 v6, v7, 16, 1
	v_add3_u32 v6, v7, v6, s31
                                        ; implicit-def: $vgpr7
; %bb.132:                              ;   in Loop: Header=BB291_97 Depth=1
	s_andn2_saveexec_b64 s[2:3], s[0:1]
; %bb.133:                              ;   in Loop: Header=BB291_97 Depth=1
	v_or_b32_e32 v6, 0x10000, v7
	v_cmp_eq_u32_sdwa s[0:1], v7, v15 src0_sel:WORD_0 src1_sel:DWORD
	s_nop 1
	v_cndmask_b32_e64 v6, v6, v7, s[0:1]
; %bb.134:                              ;   in Loop: Header=BB291_97 Depth=1
	s_or_b64 exec, exec, s[2:3]
	v_bfe_u32 v7, v2, 8, 8
	v_cvt_f32_fp8_sdwa v7, v7 src0_sel:BYTE_0
	s_nop 0
	v_mul_f32_e32 v8, s34, v7
	v_and_b32_e32 v7, 0x7f800000, v8
	v_cmp_ne_u32_e64 s[0:1], s30, v7
                                        ; implicit-def: $vgpr7
	s_and_saveexec_b64 s[2:3], s[0:1]
	s_xor_b64 s[0:1], exec, s[2:3]
; %bb.135:                              ;   in Loop: Header=BB291_97 Depth=1
	v_bfe_u32 v7, v8, 16, 1
	v_add3_u32 v7, v8, v7, s31
                                        ; implicit-def: $vgpr8
; %bb.136:                              ;   in Loop: Header=BB291_97 Depth=1
	s_andn2_saveexec_b64 s[2:3], s[0:1]
; %bb.137:                              ;   in Loop: Header=BB291_97 Depth=1
	v_or_b32_e32 v7, 0x10000, v8
	v_cmp_eq_u32_sdwa s[0:1], v8, v15 src0_sel:WORD_0 src1_sel:DWORD
	s_nop 1
	v_cndmask_b32_e64 v7, v7, v8, s[0:1]
; %bb.138:                              ;   in Loop: Header=BB291_97 Depth=1
	s_or_b64 exec, exec, s[2:3]
	v_bfe_u32 v8, v2, 16, 8
	v_cvt_f32_fp8_sdwa v8, v8 src0_sel:BYTE_0
	s_nop 0
	v_mul_f32_e32 v9, s34, v8
	v_and_b32_e32 v8, 0x7f800000, v9
	v_cmp_ne_u32_e64 s[0:1], s30, v8
                                        ; implicit-def: $vgpr8
	s_and_saveexec_b64 s[2:3], s[0:1]
	s_xor_b64 s[0:1], exec, s[2:3]
; %bb.139:                              ;   in Loop: Header=BB291_97 Depth=1
	v_bfe_u32 v8, v9, 16, 1
	v_add3_u32 v8, v9, v8, s31
                                        ; implicit-def: $vgpr9
; %bb.140:                              ;   in Loop: Header=BB291_97 Depth=1
	s_andn2_saveexec_b64 s[2:3], s[0:1]
; %bb.141:                              ;   in Loop: Header=BB291_97 Depth=1
	v_or_b32_e32 v8, 0x10000, v9
	v_cmp_eq_u32_sdwa s[0:1], v9, v15 src0_sel:WORD_0 src1_sel:DWORD
	s_nop 1
	v_cndmask_b32_e64 v8, v8, v9, s[0:1]
; %bb.142:                              ;   in Loop: Header=BB291_97 Depth=1
	s_or_b64 exec, exec, s[2:3]
	v_lshrrev_b32_e32 v2, 24, v2
	v_cvt_f32_fp8_sdwa v2, v2 src0_sel:BYTE_0
	s_nop 0
	v_mul_f32_e32 v9, s34, v2
	v_and_b32_e32 v2, 0x7f800000, v9
	v_cmp_ne_u32_e64 s[0:1], s30, v2
                                        ; implicit-def: $vgpr2
	s_and_saveexec_b64 s[2:3], s[0:1]
	s_xor_b64 s[0:1], exec, s[2:3]
; %bb.143:                              ;   in Loop: Header=BB291_97 Depth=1
	v_bfe_u32 v2, v9, 16, 1
	v_add3_u32 v2, v9, v2, s31
                                        ; implicit-def: $vgpr9
; %bb.144:                              ;   in Loop: Header=BB291_97 Depth=1
	s_andn2_saveexec_b64 s[2:3], s[0:1]
; %bb.145:                              ;   in Loop: Header=BB291_97 Depth=1
	v_or_b32_e32 v2, 0x10000, v9
	v_cmp_eq_u32_sdwa s[0:1], v9, v15 src0_sel:WORD_0 src1_sel:DWORD
	s_nop 1
	v_cndmask_b32_e64 v2, v2, v9, s[0:1]
; %bb.146:                              ;   in Loop: Header=BB291_97 Depth=1
	s_or_b64 exec, exec, s[2:3]
	v_and_b32_e32 v9, 0xff, v3
	v_cvt_f32_fp8_sdwa v9, v9 src0_sel:BYTE_0
	s_nop 0
	v_mul_f32_e32 v31, s34, v9
	v_and_b32_e32 v9, 0x7f800000, v31
	v_cmp_ne_u32_e64 s[0:1], s30, v9
                                        ; implicit-def: $vgpr9
	s_and_saveexec_b64 s[2:3], s[0:1]
	s_xor_b64 s[0:1], exec, s[2:3]
; %bb.147:                              ;   in Loop: Header=BB291_97 Depth=1
	v_bfe_u32 v9, v31, 16, 1
	v_add3_u32 v9, v31, v9, s31
                                        ; implicit-def: $vgpr31
; %bb.148:                              ;   in Loop: Header=BB291_97 Depth=1
	s_andn2_saveexec_b64 s[2:3], s[0:1]
; %bb.149:                              ;   in Loop: Header=BB291_97 Depth=1
	v_or_b32_e32 v9, 0x10000, v31
	v_cmp_eq_u32_sdwa s[0:1], v31, v15 src0_sel:WORD_0 src1_sel:DWORD
	s_nop 1
	v_cndmask_b32_e64 v9, v9, v31, s[0:1]
; %bb.150:                              ;   in Loop: Header=BB291_97 Depth=1
	s_or_b64 exec, exec, s[2:3]
	v_bfe_u32 v31, v3, 8, 8
	v_cvt_f32_fp8_sdwa v31, v31 src0_sel:BYTE_0
	s_nop 0
	v_mul_f32_e32 v32, s34, v31
	v_and_b32_e32 v31, 0x7f800000, v32
	v_cmp_ne_u32_e64 s[0:1], s30, v31
                                        ; implicit-def: $vgpr31
	s_and_saveexec_b64 s[2:3], s[0:1]
	s_xor_b64 s[0:1], exec, s[2:3]
; %bb.151:                              ;   in Loop: Header=BB291_97 Depth=1
	v_bfe_u32 v31, v32, 16, 1
	v_add3_u32 v31, v32, v31, s31
                                        ; implicit-def: $vgpr32
; %bb.152:                              ;   in Loop: Header=BB291_97 Depth=1
	s_andn2_saveexec_b64 s[2:3], s[0:1]
; %bb.153:                              ;   in Loop: Header=BB291_97 Depth=1
	v_or_b32_e32 v31, 0x10000, v32
	v_cmp_eq_u32_sdwa s[0:1], v32, v15 src0_sel:WORD_0 src1_sel:DWORD
	s_nop 1
	v_cndmask_b32_e64 v31, v31, v32, s[0:1]
; %bb.154:                              ;   in Loop: Header=BB291_97 Depth=1
	s_or_b64 exec, exec, s[2:3]
	v_bfe_u32 v32, v3, 16, 8
	v_cvt_f32_fp8_sdwa v32, v32 src0_sel:BYTE_0
                                        ; implicit-def: $vgpr35
	s_nop 0
	v_mul_f32_e32 v32, s34, v32
	v_and_b32_e32 v33, 0x7f800000, v32
	v_cmp_ne_u32_e64 s[0:1], s30, v33
	s_and_saveexec_b64 s[2:3], s[0:1]
	s_xor_b64 s[0:1], exec, s[2:3]
; %bb.155:                              ;   in Loop: Header=BB291_97 Depth=1
	v_bfe_u32 v33, v32, 16, 1
	v_add3_u32 v35, v32, v33, s31
                                        ; implicit-def: $vgpr32
; %bb.156:                              ;   in Loop: Header=BB291_97 Depth=1
	s_andn2_saveexec_b64 s[2:3], s[0:1]
; %bb.157:                              ;   in Loop: Header=BB291_97 Depth=1
	v_or_b32_e32 v33, 0x10000, v32
	v_cmp_eq_u32_sdwa s[0:1], v32, v15 src0_sel:WORD_0 src1_sel:DWORD
	s_nop 1
	v_cndmask_b32_e64 v35, v33, v32, s[0:1]
; %bb.158:                              ;   in Loop: Header=BB291_97 Depth=1
	s_or_b64 exec, exec, s[2:3]
	v_lshrrev_b32_e32 v3, 24, v3
	v_cvt_f32_fp8_sdwa v3, v3 src0_sel:BYTE_0
                                        ; implicit-def: $vgpr36
	s_nop 0
	v_mul_f32_e32 v3, s34, v3
	v_and_b32_e32 v32, 0x7f800000, v3
	v_cmp_ne_u32_e64 s[0:1], s30, v32
	s_and_saveexec_b64 s[2:3], s[0:1]
	s_xor_b64 s[0:1], exec, s[2:3]
; %bb.159:                              ;   in Loop: Header=BB291_97 Depth=1
	v_bfe_u32 v32, v3, 16, 1
	v_add3_u32 v36, v3, v32, s31
                                        ; implicit-def: $vgpr3
; %bb.160:                              ;   in Loop: Header=BB291_97 Depth=1
	s_andn2_saveexec_b64 s[2:3], s[0:1]
; %bb.161:                              ;   in Loop: Header=BB291_97 Depth=1
	v_or_b32_e32 v32, 0x10000, v3
	v_cmp_eq_u32_sdwa s[0:1], v3, v15 src0_sel:WORD_0 src1_sel:DWORD
	s_nop 1
	v_cndmask_b32_e64 v36, v32, v3, s[0:1]
; %bb.162:                              ;   in Loop: Header=BB291_97 Depth=1
	s_or_b64 exec, exec, s[2:3]
	v_cmp_eq_u32_e64 s[2:3], s36, v1
	v_lshrrev_b32_e32 v32, 16, v31
	v_lshrrev_b32_e32 v33, 16, v9
	;; [unrolled: 1-line block ×8, first 2 shown]
	s_and_saveexec_b64 s[18:19], s[2:3]
	s_cbranch_execz .LBB291_164
; %bb.163:                              ;   in Loop: Header=BB291_97 Depth=1
	v_cmp_gt_i32_e64 s[0:1], s25, v11
	v_add_u32_e32 v6, 1, v11
	s_nop 0
	v_cndmask_b32_e64 v3, 0, v3, s[0:1]
	v_cmp_gt_i32_e64 s[0:1], s25, v6
	v_add_u32_e32 v6, 2, v11
	s_nop 0
	v_cndmask_b32_e64 v8, 0, v8, s[0:1]
	;; [unrolled: 4-line block ×7, first 2 shown]
	v_cmp_gt_i32_e64 s[0:1], s25, v6
	s_nop 1
	v_cndmask_b32_e64 v2, 0, v2, s[0:1]
.LBB291_164:                            ;   in Loop: Header=BB291_97 Depth=1
	s_or_b64 exec, exec, s[18:19]
	v_and_b32_e32 v6, 0xffff0000, v30
	v_lshlrev_b32_e32 v3, 16, v3
	v_mul_f32_e32 v7, v6, v3
	v_and_b32_e32 v3, 0x7f800000, v7
	v_cmp_ne_u32_e64 s[0:1], s30, v3
                                        ; implicit-def: $vgpr3
	s_and_saveexec_b64 s[18:19], s[0:1]
	s_xor_b64 s[0:1], exec, s[18:19]
; %bb.165:                              ;   in Loop: Header=BB291_97 Depth=1
	v_bfe_u32 v3, v7, 16, 1
	v_add3_u32 v3, v7, v3, s31
                                        ; implicit-def: $vgpr7
; %bb.166:                              ;   in Loop: Header=BB291_97 Depth=1
	s_andn2_saveexec_b64 s[18:19], s[0:1]
; %bb.167:                              ;   in Loop: Header=BB291_97 Depth=1
	v_or_b32_e32 v3, 0x10000, v7
	v_cmp_eq_u32_sdwa s[0:1], v7, v15 src0_sel:WORD_0 src1_sel:DWORD
	s_nop 1
	v_cndmask_b32_e64 v3, v3, v7, s[0:1]
; %bb.168:                              ;   in Loop: Header=BB291_97 Depth=1
	s_or_b64 exec, exec, s[18:19]
	v_and_b32_e32 v7, 0xffff0000, v29
	v_lshlrev_b32_e32 v8, 16, v8
	v_mul_f32_e32 v8, v7, v8
	v_and_b32_e32 v29, 0x7f800000, v8
	v_cmp_ne_u32_e64 s[0:1], s30, v29
                                        ; implicit-def: $vgpr29
	s_and_saveexec_b64 s[18:19], s[0:1]
	s_xor_b64 s[0:1], exec, s[18:19]
; %bb.169:                              ;   in Loop: Header=BB291_97 Depth=1
	v_bfe_u32 v29, v8, 16, 1
	v_add3_u32 v29, v8, v29, s31
                                        ; implicit-def: $vgpr8
; %bb.170:                              ;   in Loop: Header=BB291_97 Depth=1
	s_andn2_saveexec_b64 s[18:19], s[0:1]
; %bb.171:                              ;   in Loop: Header=BB291_97 Depth=1
	v_or_b32_e32 v29, 0x10000, v8
	v_cmp_eq_u32_sdwa s[0:1], v8, v15 src0_sel:WORD_0 src1_sel:DWORD
	s_nop 1
	v_cndmask_b32_e64 v29, v29, v8, s[0:1]
; %bb.172:                              ;   in Loop: Header=BB291_97 Depth=1
	s_or_b64 exec, exec, s[18:19]
	v_and_b32_e32 v8, 0xffff0000, v28
	v_lshlrev_b32_e32 v9, 16, v9
	v_mul_f32_e32 v9, v8, v9
	v_and_b32_e32 v28, 0x7f800000, v9
	v_cmp_ne_u32_e64 s[0:1], s30, v28
                                        ; implicit-def: $vgpr28
	s_and_saveexec_b64 s[18:19], s[0:1]
	s_xor_b64 s[0:1], exec, s[18:19]
; %bb.173:                              ;   in Loop: Header=BB291_97 Depth=1
	v_bfe_u32 v28, v9, 16, 1
	v_add3_u32 v28, v9, v28, s31
                                        ; implicit-def: $vgpr9
; %bb.174:                              ;   in Loop: Header=BB291_97 Depth=1
	s_andn2_saveexec_b64 s[18:19], s[0:1]
; %bb.175:                              ;   in Loop: Header=BB291_97 Depth=1
	v_or_b32_e32 v28, 0x10000, v9
	v_cmp_eq_u32_sdwa s[0:1], v9, v15 src0_sel:WORD_0 src1_sel:DWORD
	s_nop 1
	v_cndmask_b32_e64 v28, v28, v9, s[0:1]
; %bb.176:                              ;   in Loop: Header=BB291_97 Depth=1
	s_or_b64 exec, exec, s[18:19]
	v_and_b32_e32 v9, 0xffff0000, v27
	v_lshlrev_b32_e32 v27, 16, v34
	v_mul_f32_e32 v30, v9, v27
	v_and_b32_e32 v27, 0x7f800000, v30
	v_cmp_ne_u32_e64 s[0:1], s30, v27
                                        ; implicit-def: $vgpr27
	s_and_saveexec_b64 s[18:19], s[0:1]
	s_xor_b64 s[0:1], exec, s[18:19]
; %bb.177:                              ;   in Loop: Header=BB291_97 Depth=1
	v_bfe_u32 v27, v30, 16, 1
	v_add3_u32 v27, v30, v27, s31
                                        ; implicit-def: $vgpr30
; %bb.178:                              ;   in Loop: Header=BB291_97 Depth=1
	s_andn2_saveexec_b64 s[18:19], s[0:1]
; %bb.179:                              ;   in Loop: Header=BB291_97 Depth=1
	v_or_b32_e32 v27, 0x10000, v30
	v_cmp_eq_u32_sdwa s[0:1], v30, v15 src0_sel:WORD_0 src1_sel:DWORD
	s_nop 1
	v_cndmask_b32_e64 v27, v27, v30, s[0:1]
; %bb.180:                              ;   in Loop: Header=BB291_97 Depth=1
	s_or_b64 exec, exec, s[18:19]
	v_and_b32_e32 v23, 0xffff0000, v23
	v_lshlrev_b32_e32 v30, 16, v33
	v_mul_f32_e32 v33, v23, v30
	v_and_b32_e32 v30, 0x7f800000, v33
	v_cmp_ne_u32_e64 s[0:1], s30, v30
                                        ; implicit-def: $vgpr30
	s_and_saveexec_b64 s[18:19], s[0:1]
	s_xor_b64 s[0:1], exec, s[18:19]
; %bb.181:                              ;   in Loop: Header=BB291_97 Depth=1
	v_bfe_u32 v30, v33, 16, 1
	v_add3_u32 v30, v33, v30, s31
                                        ; implicit-def: $vgpr33
; %bb.182:                              ;   in Loop: Header=BB291_97 Depth=1
	s_andn2_saveexec_b64 s[18:19], s[0:1]
; %bb.183:                              ;   in Loop: Header=BB291_97 Depth=1
	v_or_b32_e32 v30, 0x10000, v33
	v_cmp_eq_u32_sdwa s[0:1], v33, v15 src0_sel:WORD_0 src1_sel:DWORD
	s_nop 1
	v_cndmask_b32_e64 v30, v30, v33, s[0:1]
; %bb.184:                              ;   in Loop: Header=BB291_97 Depth=1
	s_or_b64 exec, exec, s[18:19]
	v_and_b32_e32 v24, 0xffff0000, v24
	v_lshlrev_b32_e32 v32, 16, v32
	v_mul_f32_e32 v33, v24, v32
	v_and_b32_e32 v32, 0x7f800000, v33
	v_cmp_ne_u32_e64 s[0:1], s30, v32
                                        ; implicit-def: $vgpr32
	s_and_saveexec_b64 s[18:19], s[0:1]
	s_xor_b64 s[0:1], exec, s[18:19]
; %bb.185:                              ;   in Loop: Header=BB291_97 Depth=1
	v_bfe_u32 v32, v33, 16, 1
	v_add3_u32 v32, v33, v32, s31
                                        ; implicit-def: $vgpr33
; %bb.186:                              ;   in Loop: Header=BB291_97 Depth=1
	s_andn2_saveexec_b64 s[18:19], s[0:1]
; %bb.187:                              ;   in Loop: Header=BB291_97 Depth=1
	v_or_b32_e32 v32, 0x10000, v33
	v_cmp_eq_u32_sdwa s[0:1], v33, v15 src0_sel:WORD_0 src1_sel:DWORD
	s_nop 1
	v_cndmask_b32_e64 v32, v32, v33, s[0:1]
; %bb.188:                              ;   in Loop: Header=BB291_97 Depth=1
	s_or_b64 exec, exec, s[18:19]
	v_and_b32_e32 v25, 0xffff0000, v25
	v_lshlrev_b32_e32 v31, 16, v31
	v_mul_f32_e32 v33, v25, v31
	v_and_b32_e32 v31, 0x7f800000, v33
	v_cmp_ne_u32_e64 s[0:1], s30, v31
                                        ; implicit-def: $vgpr31
	s_and_saveexec_b64 s[18:19], s[0:1]
	s_xor_b64 s[0:1], exec, s[18:19]
; %bb.189:                              ;   in Loop: Header=BB291_97 Depth=1
	v_bfe_u32 v31, v33, 16, 1
	v_add3_u32 v31, v33, v31, s31
                                        ; implicit-def: $vgpr33
; %bb.190:                              ;   in Loop: Header=BB291_97 Depth=1
	s_andn2_saveexec_b64 s[18:19], s[0:1]
; %bb.191:                              ;   in Loop: Header=BB291_97 Depth=1
	v_or_b32_e32 v31, 0x10000, v33
	v_cmp_eq_u32_sdwa s[0:1], v33, v15 src0_sel:WORD_0 src1_sel:DWORD
	s_nop 1
	v_cndmask_b32_e64 v31, v31, v33, s[0:1]
; %bb.192:                              ;   in Loop: Header=BB291_97 Depth=1
	s_or_b64 exec, exec, s[18:19]
	v_and_b32_e32 v26, 0xffff0000, v26
	v_lshlrev_b32_e32 v2, 16, v2
	v_mul_f32_e32 v2, v26, v2
	v_and_b32_e32 v33, 0x7f800000, v2
	v_cmp_ne_u32_e64 s[0:1], s30, v33
                                        ; implicit-def: $vgpr33
	s_and_saveexec_b64 s[18:19], s[0:1]
	s_xor_b64 s[0:1], exec, s[18:19]
; %bb.193:                              ;   in Loop: Header=BB291_97 Depth=1
	v_bfe_u32 v33, v2, 16, 1
	v_add3_u32 v33, v2, v33, s31
                                        ; implicit-def: $vgpr2
; %bb.194:                              ;   in Loop: Header=BB291_97 Depth=1
	s_andn2_saveexec_b64 s[18:19], s[0:1]
; %bb.195:                              ;   in Loop: Header=BB291_97 Depth=1
	v_or_b32_e32 v33, 0x10000, v2
	v_cmp_eq_u32_sdwa s[0:1], v2, v15 src0_sel:WORD_0 src1_sel:DWORD
	s_nop 1
	v_cndmask_b32_e64 v33, v33, v2, s[0:1]
; %bb.196:                              ;   in Loop: Header=BB291_97 Depth=1
	s_or_b64 exec, exec, s[18:19]
	v_and_b32_e32 v35, 0xffff0000, v27
	v_and_b32_e32 v34, 0xffff0000, v29
	;; [unrolled: 1-line block ×4, first 2 shown]
	v_pk_add_f32 v[2:3], v[28:29], v[34:35]
	v_and_b32_e32 v33, 0xffff0000, v33
	v_and_b32_e32 v32, 0xffff0000, v32
	;; [unrolled: 1-line block ×4, first 2 shown]
	v_mov_b32_e32 v28, v3
	v_pk_add_f32 v[2:3], v[2:3], v[28:29]
	v_pk_add_f32 v[28:29], v[30:31], v[32:33]
	s_nop 0
	v_pk_add_f32 v[2:3], v[2:3], v[28:29]
	v_mov_b32_e32 v28, v29
	v_pk_add_f32 v[2:3], v[2:3], v[28:29]
	s_nop 0
	v_pk_add_f32 v[2:3], v[12:13], v[2:3]
	s_and_saveexec_b64 s[18:19], vcc
	s_cbranch_execz .LBB291_95
; %bb.197:                              ;   in Loop: Header=BB291_97 Depth=1
	v_lshl_add_u64 v[4:5], v[4:5], 0, v[16:17]
	global_load_dwordx2 v[4:5], v[4:5], off
	s_waitcnt vmcnt(0)
	v_and_b32_e32 v3, 0xff, v4
	v_cvt_f32_fp8_sdwa v3, v3 src0_sel:BYTE_0
	s_nop 0
	v_mul_f32_e32 v27, s34, v3
	v_and_b32_e32 v3, 0x7f800000, v27
	v_cmp_ne_u32_e64 s[0:1], s30, v3
                                        ; implicit-def: $vgpr3
	s_and_saveexec_b64 s[20:21], s[0:1]
	s_xor_b64 s[0:1], exec, s[20:21]
; %bb.198:                              ;   in Loop: Header=BB291_97 Depth=1
	v_bfe_u32 v3, v27, 16, 1
	v_add3_u32 v3, v27, v3, s31
                                        ; implicit-def: $vgpr27
; %bb.199:                              ;   in Loop: Header=BB291_97 Depth=1
	s_andn2_saveexec_b64 s[20:21], s[0:1]
; %bb.200:                              ;   in Loop: Header=BB291_97 Depth=1
	v_or_b32_e32 v3, 0x10000, v27
	v_cmp_eq_u32_sdwa s[0:1], v27, v15 src0_sel:WORD_0 src1_sel:DWORD
	s_nop 1
	v_cndmask_b32_e64 v3, v3, v27, s[0:1]
; %bb.201:                              ;   in Loop: Header=BB291_97 Depth=1
	s_or_b64 exec, exec, s[20:21]
	v_bfe_u32 v27, v4, 8, 8
	v_cvt_f32_fp8_sdwa v27, v27 src0_sel:BYTE_0
	s_nop 0
	v_mul_f32_e32 v28, s34, v27
	v_and_b32_e32 v27, 0x7f800000, v28
	v_cmp_ne_u32_e64 s[0:1], s30, v27
                                        ; implicit-def: $vgpr27
	s_and_saveexec_b64 s[20:21], s[0:1]
	s_xor_b64 s[0:1], exec, s[20:21]
; %bb.202:                              ;   in Loop: Header=BB291_97 Depth=1
	v_bfe_u32 v27, v28, 16, 1
	v_add3_u32 v27, v28, v27, s31
                                        ; implicit-def: $vgpr28
; %bb.203:                              ;   in Loop: Header=BB291_97 Depth=1
	s_andn2_saveexec_b64 s[20:21], s[0:1]
; %bb.204:                              ;   in Loop: Header=BB291_97 Depth=1
	v_or_b32_e32 v27, 0x10000, v28
	v_cmp_eq_u32_sdwa s[0:1], v28, v15 src0_sel:WORD_0 src1_sel:DWORD
	s_nop 1
	v_cndmask_b32_e64 v27, v27, v28, s[0:1]
; %bb.205:                              ;   in Loop: Header=BB291_97 Depth=1
	s_or_b64 exec, exec, s[20:21]
	v_bfe_u32 v28, v4, 16, 8
	v_cvt_f32_fp8_sdwa v28, v28 src0_sel:BYTE_0
	s_nop 0
	v_mul_f32_e32 v28, s34, v28
	v_and_b32_e32 v29, 0x7f800000, v28
	v_cmp_ne_u32_e64 s[0:1], s30, v29
                                        ; implicit-def: $vgpr29
	s_and_saveexec_b64 s[20:21], s[0:1]
	s_xor_b64 s[0:1], exec, s[20:21]
; %bb.206:                              ;   in Loop: Header=BB291_97 Depth=1
	v_bfe_u32 v29, v28, 16, 1
	v_add3_u32 v29, v28, v29, s31
                                        ; implicit-def: $vgpr28
; %bb.207:                              ;   in Loop: Header=BB291_97 Depth=1
	s_andn2_saveexec_b64 s[20:21], s[0:1]
; %bb.208:                              ;   in Loop: Header=BB291_97 Depth=1
	v_or_b32_e32 v29, 0x10000, v28
	v_cmp_eq_u32_sdwa s[0:1], v28, v15 src0_sel:WORD_0 src1_sel:DWORD
	s_nop 1
	v_cndmask_b32_e64 v29, v29, v28, s[0:1]
; %bb.209:                              ;   in Loop: Header=BB291_97 Depth=1
	s_or_b64 exec, exec, s[20:21]
	v_lshrrev_b32_e32 v4, 24, v4
	v_cvt_f32_fp8_sdwa v4, v4 src0_sel:BYTE_0
	s_nop 0
	v_mul_f32_e32 v28, s34, v4
	v_and_b32_e32 v4, 0x7f800000, v28
	v_cmp_ne_u32_e64 s[0:1], s30, v4
                                        ; implicit-def: $vgpr4
	s_and_saveexec_b64 s[20:21], s[0:1]
	s_xor_b64 s[0:1], exec, s[20:21]
; %bb.210:                              ;   in Loop: Header=BB291_97 Depth=1
	v_bfe_u32 v4, v28, 16, 1
	v_add3_u32 v4, v28, v4, s31
                                        ; implicit-def: $vgpr28
; %bb.211:                              ;   in Loop: Header=BB291_97 Depth=1
	s_andn2_saveexec_b64 s[20:21], s[0:1]
; %bb.212:                              ;   in Loop: Header=BB291_97 Depth=1
	v_or_b32_e32 v4, 0x10000, v28
	v_cmp_eq_u32_sdwa s[0:1], v28, v15 src0_sel:WORD_0 src1_sel:DWORD
	s_nop 1
	v_cndmask_b32_e64 v4, v4, v28, s[0:1]
; %bb.213:                              ;   in Loop: Header=BB291_97 Depth=1
	s_or_b64 exec, exec, s[20:21]
	v_and_b32_e32 v28, 0xff, v5
	v_cvt_f32_fp8_sdwa v28, v28 src0_sel:BYTE_0
	s_nop 0
	v_mul_f32_e32 v28, s34, v28
	v_and_b32_e32 v30, 0x7f800000, v28
	v_cmp_ne_u32_e64 s[0:1], s30, v30
                                        ; implicit-def: $vgpr30
	s_and_saveexec_b64 s[20:21], s[0:1]
	s_xor_b64 s[0:1], exec, s[20:21]
; %bb.214:                              ;   in Loop: Header=BB291_97 Depth=1
	v_bfe_u32 v30, v28, 16, 1
	v_add3_u32 v30, v28, v30, s31
                                        ; implicit-def: $vgpr28
; %bb.215:                              ;   in Loop: Header=BB291_97 Depth=1
	s_andn2_saveexec_b64 s[20:21], s[0:1]
; %bb.216:                              ;   in Loop: Header=BB291_97 Depth=1
	v_or_b32_e32 v30, 0x10000, v28
	v_cmp_eq_u32_sdwa s[0:1], v28, v15 src0_sel:WORD_0 src1_sel:DWORD
	s_nop 1
	v_cndmask_b32_e64 v30, v30, v28, s[0:1]
; %bb.217:                              ;   in Loop: Header=BB291_97 Depth=1
	s_or_b64 exec, exec, s[20:21]
	v_bfe_u32 v28, v5, 8, 8
	v_cvt_f32_fp8_sdwa v28, v28 src0_sel:BYTE_0
	s_nop 0
	v_mul_f32_e32 v31, s34, v28
	v_and_b32_e32 v28, 0x7f800000, v31
	v_cmp_ne_u32_e64 s[0:1], s30, v28
                                        ; implicit-def: $vgpr28
	s_and_saveexec_b64 s[20:21], s[0:1]
	s_xor_b64 s[0:1], exec, s[20:21]
; %bb.218:                              ;   in Loop: Header=BB291_97 Depth=1
	v_bfe_u32 v28, v31, 16, 1
	v_add3_u32 v28, v31, v28, s31
                                        ; implicit-def: $vgpr31
; %bb.219:                              ;   in Loop: Header=BB291_97 Depth=1
	s_andn2_saveexec_b64 s[20:21], s[0:1]
; %bb.220:                              ;   in Loop: Header=BB291_97 Depth=1
	v_or_b32_e32 v28, 0x10000, v31
	v_cmp_eq_u32_sdwa s[0:1], v31, v15 src0_sel:WORD_0 src1_sel:DWORD
	s_nop 1
	v_cndmask_b32_e64 v28, v28, v31, s[0:1]
; %bb.221:                              ;   in Loop: Header=BB291_97 Depth=1
	s_or_b64 exec, exec, s[20:21]
	v_bfe_u32 v31, v5, 16, 8
	v_cvt_f32_fp8_sdwa v31, v31 src0_sel:BYTE_0
	s_nop 0
	v_mul_f32_e32 v31, s34, v31
	v_and_b32_e32 v32, 0x7f800000, v31
	v_cmp_ne_u32_e64 s[0:1], s30, v32
                                        ; implicit-def: $vgpr32
	s_and_saveexec_b64 s[20:21], s[0:1]
	s_xor_b64 s[0:1], exec, s[20:21]
; %bb.222:                              ;   in Loop: Header=BB291_97 Depth=1
	v_bfe_u32 v32, v31, 16, 1
	v_add3_u32 v32, v31, v32, s31
                                        ; implicit-def: $vgpr31
; %bb.223:                              ;   in Loop: Header=BB291_97 Depth=1
	s_andn2_saveexec_b64 s[20:21], s[0:1]
; %bb.224:                              ;   in Loop: Header=BB291_97 Depth=1
	v_or_b32_e32 v32, 0x10000, v31
	v_cmp_eq_u32_sdwa s[0:1], v31, v15 src0_sel:WORD_0 src1_sel:DWORD
	s_nop 1
	v_cndmask_b32_e64 v32, v32, v31, s[0:1]
; %bb.225:                              ;   in Loop: Header=BB291_97 Depth=1
	s_or_b64 exec, exec, s[20:21]
	v_lshrrev_b32_e32 v5, 24, v5
	v_cvt_f32_fp8_sdwa v5, v5 src0_sel:BYTE_0
                                        ; implicit-def: $vgpr33
	s_nop 0
	v_mul_f32_e32 v5, s34, v5
	v_and_b32_e32 v31, 0x7f800000, v5
	v_cmp_ne_u32_e64 s[0:1], s30, v31
	s_and_saveexec_b64 s[20:21], s[0:1]
	s_xor_b64 s[0:1], exec, s[20:21]
; %bb.226:                              ;   in Loop: Header=BB291_97 Depth=1
	v_bfe_u32 v31, v5, 16, 1
	v_add3_u32 v33, v5, v31, s31
                                        ; implicit-def: $vgpr5
; %bb.227:                              ;   in Loop: Header=BB291_97 Depth=1
	s_andn2_saveexec_b64 s[20:21], s[0:1]
; %bb.228:                              ;   in Loop: Header=BB291_97 Depth=1
	v_or_b32_e32 v31, 0x10000, v5
	v_cmp_eq_u32_sdwa s[0:1], v5, v15 src0_sel:WORD_0 src1_sel:DWORD
	s_nop 1
	v_cndmask_b32_e64 v33, v31, v5, s[0:1]
; %bb.229:                              ;   in Loop: Header=BB291_97 Depth=1
	s_or_b64 exec, exec, s[20:21]
	v_lshrrev_b32_e32 v28, 16, v28
	v_lshrrev_b32_e32 v30, 16, v30
	;; [unrolled: 1-line block ×8, first 2 shown]
	s_and_saveexec_b64 s[20:21], s[2:3]
	s_cbranch_execz .LBB291_231
; %bb.230:                              ;   in Loop: Header=BB291_97 Depth=1
	v_cmp_gt_i32_e64 s[0:1], s25, v11
	v_add_u32_e32 v32, 1, v11
	s_nop 0
	v_cndmask_b32_e64 v4, 0, v4, s[0:1]
	v_cmp_gt_i32_e64 s[0:1], s25, v32
	v_add_u32_e32 v32, 2, v11
	s_nop 0
	v_cndmask_b32_e64 v27, 0, v27, s[0:1]
	;; [unrolled: 4-line block ×7, first 2 shown]
	v_cmp_gt_i32_e64 s[0:1], s25, v32
	s_nop 1
	v_cndmask_b32_e64 v3, 0, v3, s[0:1]
.LBB291_231:                            ;   in Loop: Header=BB291_97 Depth=1
	s_or_b64 exec, exec, s[20:21]
	v_lshlrev_b32_e32 v4, 16, v4
	v_mul_f32_e32 v6, v6, v4
	v_and_b32_e32 v4, 0x7f800000, v6
	v_cmp_ne_u32_e64 s[0:1], s30, v4
                                        ; implicit-def: $vgpr4
	s_and_saveexec_b64 s[2:3], s[0:1]
	s_xor_b64 s[0:1], exec, s[2:3]
; %bb.232:                              ;   in Loop: Header=BB291_97 Depth=1
	v_bfe_u32 v4, v6, 16, 1
	v_add3_u32 v4, v6, v4, s31
                                        ; implicit-def: $vgpr6
; %bb.233:                              ;   in Loop: Header=BB291_97 Depth=1
	s_andn2_saveexec_b64 s[2:3], s[0:1]
; %bb.234:                              ;   in Loop: Header=BB291_97 Depth=1
	v_or_b32_e32 v4, 0x10000, v6
	v_cmp_eq_u32_sdwa s[0:1], v6, v15 src0_sel:WORD_0 src1_sel:DWORD
	s_nop 1
	v_cndmask_b32_e64 v4, v4, v6, s[0:1]
; %bb.235:                              ;   in Loop: Header=BB291_97 Depth=1
	s_or_b64 exec, exec, s[2:3]
	v_lshlrev_b32_e32 v6, 16, v27
	v_mul_f32_e32 v7, v7, v6
	v_and_b32_e32 v6, 0x7f800000, v7
	v_cmp_ne_u32_e64 s[0:1], s30, v6
                                        ; implicit-def: $vgpr6
	s_and_saveexec_b64 s[2:3], s[0:1]
	s_xor_b64 s[0:1], exec, s[2:3]
; %bb.236:                              ;   in Loop: Header=BB291_97 Depth=1
	v_bfe_u32 v6, v7, 16, 1
	v_add3_u32 v6, v7, v6, s31
                                        ; implicit-def: $vgpr7
; %bb.237:                              ;   in Loop: Header=BB291_97 Depth=1
	s_andn2_saveexec_b64 s[2:3], s[0:1]
; %bb.238:                              ;   in Loop: Header=BB291_97 Depth=1
	v_or_b32_e32 v6, 0x10000, v7
	v_cmp_eq_u32_sdwa s[0:1], v7, v15 src0_sel:WORD_0 src1_sel:DWORD
	s_nop 1
	v_cndmask_b32_e64 v6, v6, v7, s[0:1]
; %bb.239:                              ;   in Loop: Header=BB291_97 Depth=1
	s_or_b64 exec, exec, s[2:3]
	v_lshlrev_b32_e32 v7, 16, v29
	v_mul_f32_e32 v8, v8, v7
	v_and_b32_e32 v7, 0x7f800000, v8
	v_cmp_ne_u32_e64 s[0:1], s30, v7
                                        ; implicit-def: $vgpr7
	s_and_saveexec_b64 s[2:3], s[0:1]
	s_xor_b64 s[0:1], exec, s[2:3]
; %bb.240:                              ;   in Loop: Header=BB291_97 Depth=1
	v_bfe_u32 v7, v8, 16, 1
	v_add3_u32 v7, v8, v7, s31
                                        ; implicit-def: $vgpr8
; %bb.241:                              ;   in Loop: Header=BB291_97 Depth=1
	s_andn2_saveexec_b64 s[2:3], s[0:1]
; %bb.242:                              ;   in Loop: Header=BB291_97 Depth=1
	v_or_b32_e32 v7, 0x10000, v8
	v_cmp_eq_u32_sdwa s[0:1], v8, v15 src0_sel:WORD_0 src1_sel:DWORD
	s_nop 1
	v_cndmask_b32_e64 v7, v7, v8, s[0:1]
; %bb.243:                              ;   in Loop: Header=BB291_97 Depth=1
	s_or_b64 exec, exec, s[2:3]
	v_lshlrev_b32_e32 v8, 16, v31
	v_mul_f32_e32 v9, v9, v8
	v_and_b32_e32 v8, 0x7f800000, v9
	v_cmp_ne_u32_e64 s[0:1], s30, v8
                                        ; implicit-def: $vgpr8
	s_and_saveexec_b64 s[2:3], s[0:1]
	s_xor_b64 s[0:1], exec, s[2:3]
; %bb.244:                              ;   in Loop: Header=BB291_97 Depth=1
	v_bfe_u32 v8, v9, 16, 1
	v_add3_u32 v8, v9, v8, s31
                                        ; implicit-def: $vgpr9
; %bb.245:                              ;   in Loop: Header=BB291_97 Depth=1
	s_andn2_saveexec_b64 s[2:3], s[0:1]
; %bb.246:                              ;   in Loop: Header=BB291_97 Depth=1
	v_or_b32_e32 v8, 0x10000, v9
	v_cmp_eq_u32_sdwa s[0:1], v9, v15 src0_sel:WORD_0 src1_sel:DWORD
	s_nop 1
	v_cndmask_b32_e64 v8, v8, v9, s[0:1]
; %bb.247:                              ;   in Loop: Header=BB291_97 Depth=1
	s_or_b64 exec, exec, s[2:3]
	v_lshlrev_b32_e32 v9, 16, v30
	v_mul_f32_e32 v23, v23, v9
	v_and_b32_e32 v9, 0x7f800000, v23
	v_cmp_ne_u32_e64 s[0:1], s30, v9
                                        ; implicit-def: $vgpr9
	s_and_saveexec_b64 s[2:3], s[0:1]
	s_xor_b64 s[0:1], exec, s[2:3]
; %bb.248:                              ;   in Loop: Header=BB291_97 Depth=1
	v_bfe_u32 v9, v23, 16, 1
	v_add3_u32 v9, v23, v9, s31
                                        ; implicit-def: $vgpr23
; %bb.249:                              ;   in Loop: Header=BB291_97 Depth=1
	s_andn2_saveexec_b64 s[2:3], s[0:1]
; %bb.250:                              ;   in Loop: Header=BB291_97 Depth=1
	v_or_b32_e32 v9, 0x10000, v23
	v_cmp_eq_u32_sdwa s[0:1], v23, v15 src0_sel:WORD_0 src1_sel:DWORD
	s_nop 1
	v_cndmask_b32_e64 v9, v9, v23, s[0:1]
; %bb.251:                              ;   in Loop: Header=BB291_97 Depth=1
	s_or_b64 exec, exec, s[2:3]
	v_lshlrev_b32_e32 v23, 16, v28
	v_mul_f32_e32 v24, v24, v23
	v_and_b32_e32 v23, 0x7f800000, v24
	v_cmp_ne_u32_e64 s[0:1], s30, v23
                                        ; implicit-def: $vgpr23
	s_and_saveexec_b64 s[2:3], s[0:1]
	s_xor_b64 s[0:1], exec, s[2:3]
; %bb.252:                              ;   in Loop: Header=BB291_97 Depth=1
	v_bfe_u32 v23, v24, 16, 1
	v_add3_u32 v23, v24, v23, s31
                                        ; implicit-def: $vgpr24
; %bb.253:                              ;   in Loop: Header=BB291_97 Depth=1
	s_andn2_saveexec_b64 s[2:3], s[0:1]
; %bb.254:                              ;   in Loop: Header=BB291_97 Depth=1
	v_or_b32_e32 v23, 0x10000, v24
	v_cmp_eq_u32_sdwa s[0:1], v24, v15 src0_sel:WORD_0 src1_sel:DWORD
	s_nop 1
	v_cndmask_b32_e64 v23, v23, v24, s[0:1]
; %bb.255:                              ;   in Loop: Header=BB291_97 Depth=1
	s_or_b64 exec, exec, s[2:3]
	v_lshlrev_b32_e32 v5, 16, v5
	v_mul_f32_e32 v24, v25, v5
	v_and_b32_e32 v5, 0x7f800000, v24
	v_cmp_ne_u32_e64 s[0:1], s30, v5
                                        ; implicit-def: $vgpr5
	s_and_saveexec_b64 s[2:3], s[0:1]
	s_xor_b64 s[0:1], exec, s[2:3]
; %bb.256:                              ;   in Loop: Header=BB291_97 Depth=1
	v_bfe_u32 v5, v24, 16, 1
	v_add3_u32 v5, v24, v5, s31
                                        ; implicit-def: $vgpr24
; %bb.257:                              ;   in Loop: Header=BB291_97 Depth=1
	s_andn2_saveexec_b64 s[2:3], s[0:1]
; %bb.258:                              ;   in Loop: Header=BB291_97 Depth=1
	v_or_b32_e32 v5, 0x10000, v24
	v_cmp_eq_u32_sdwa s[0:1], v24, v15 src0_sel:WORD_0 src1_sel:DWORD
	s_nop 1
	v_cndmask_b32_e64 v5, v5, v24, s[0:1]
; %bb.259:                              ;   in Loop: Header=BB291_97 Depth=1
	s_or_b64 exec, exec, s[2:3]
	v_lshlrev_b32_e32 v3, 16, v3
	v_mul_f32_e32 v3, v26, v3
	v_and_b32_e32 v24, 0x7f800000, v3
	v_cmp_ne_u32_e64 s[0:1], s30, v24
                                        ; implicit-def: $vgpr24
	s_and_saveexec_b64 s[2:3], s[0:1]
	s_xor_b64 s[0:1], exec, s[2:3]
; %bb.260:                              ;   in Loop: Header=BB291_97 Depth=1
	v_bfe_u32 v24, v3, 16, 1
	v_add3_u32 v24, v3, v24, s31
                                        ; implicit-def: $vgpr3
; %bb.261:                              ;   in Loop: Header=BB291_97 Depth=1
	s_andn2_saveexec_b64 s[2:3], s[0:1]
	s_cbranch_execz .LBB291_94
; %bb.262:                              ;   in Loop: Header=BB291_97 Depth=1
	v_or_b32_e32 v24, 0x10000, v3
	v_cmp_eq_u32_sdwa s[0:1], v3, v15 src0_sel:WORD_0 src1_sel:DWORD
	s_nop 1
	v_cndmask_b32_e64 v24, v24, v3, s[0:1]
	s_branch .LBB291_94
.LBB291_263:
	s_or_b64 exec, exec, s[12:13]
.LBB291_264:
	s_or_b64 exec, exec, s[8:9]
	v_and_b32_e32 v1, 0x3c0, v0
	v_cmp_eq_u32_e32 vcc, 64, v1
	s_barrier
	s_and_saveexec_b64 s[0:1], vcc
	s_cbranch_execz .LBB291_267
; %bb.265:
	v_mov_b32_e32 v1, 0xd0
	v_lshl_add_u32 v2, v20, 2, v1
	ds_write_b32 v2, v12
	s_and_b64 exec, exec, s[6:7]
	s_cbranch_execz .LBB291_267
; %bb.266:
	v_lshl_add_u32 v1, v0, 2, v1
	ds_write_b32 v1, v13
.LBB291_267:
	s_or_b64 exec, exec, s[0:1]
	v_cmp_gt_u32_e32 vcc, 64, v0
	v_or_b32_e32 v1, 64, v0
	s_waitcnt lgkmcnt(0)
	s_barrier
	s_and_saveexec_b64 s[2:3], vcc
	s_cbranch_execz .LBB291_271
; %bb.268:
	v_mov_b32_e32 v2, 0xd0
	v_lshl_add_u32 v2, v0, 2, v2
	ds_read_b32 v0, v2
	s_movk_i32 s0, 0x60
	v_cmp_gt_u32_e64 s[0:1], s0, v1
	s_and_saveexec_b64 s[6:7], s[0:1]
	s_cbranch_execz .LBB291_270
; %bb.269:
	ds_read_b32 v2, v2 offset:256
	s_waitcnt lgkmcnt(0)
	v_add_f32_e32 v13, v13, v2
.LBB291_270:
	s_or_b64 exec, exec, s[6:7]
	s_waitcnt lgkmcnt(0)
	v_add_f32_e32 v12, v12, v0
.LBB291_271:
	s_or_b64 exec, exec, s[2:3]
	s_barrier
	s_and_saveexec_b64 s[0:1], vcc
	s_cbranch_execz .LBB291_282
; %bb.272:
	s_mov_b32 s0, 0x7f800000
	v_and_b32_e32 v0, 0x7f800000, v12
	v_cmp_ne_u32_e32 vcc, s0, v0
                                        ; implicit-def: $vgpr0
	s_and_saveexec_b64 s[0:1], vcc
	s_xor_b64 s[0:1], exec, s[0:1]
; %bb.273:
	v_bfe_u32 v0, v12, 16, 1
	s_movk_i32 s2, 0x7fff
	v_add3_u32 v0, v12, v0, s2
; %bb.274:
	s_andn2_saveexec_b64 s[0:1], s[0:1]
; %bb.275:
	v_mov_b32_e32 v0, 0
	v_or_b32_e32 v2, 0x10000, v12
	v_cmp_eq_u32_sdwa vcc, v12, v0 src0_sel:WORD_0 src1_sel:DWORD
	s_nop 1
	v_cndmask_b32_e32 v0, v2, v12, vcc
; %bb.276:
	s_or_b64 exec, exec, s[0:1]
	s_mul_i32 s0, s24, s23
	s_mul_i32 s0, s0, s5
	s_mulk_i32 s0, 0x60
	s_ashr_i32 s1, s0, 31
	s_lshl_b64 s[0:1], s[0:1], 1
	s_add_u32 s3, s28, s0
	s_mul_i32 s0, s23, s26
	s_addc_u32 s5, s29, s1
	s_ashr_i32 s1, s0, 31
	s_lshl_b64 s[0:1], s[0:1], 1
	s_add_u32 s3, s3, s0
	s_mul_i32 s0, s4, 0x60
	s_addc_u32 s5, s5, s1
	s_ashr_i32 s1, s0, 31
	s_lshl_b64 s[0:1], s[0:1], 1
	s_movk_i32 s2, 0x60
	s_add_u32 s0, s3, s0
	s_addc_u32 s1, s5, s1
	v_cmp_gt_u32_e32 vcc, s2, v1
	global_store_short_d16_hi v10, v0, s[0:1]
	s_and_b64 exec, exec, vcc
	s_cbranch_execz .LBB291_282
; %bb.277:
	s_mov_b32 s2, 0x7f800000
	v_and_b32_e32 v0, 0x7f800000, v13
	v_mov_b32_e32 v11, 0
	v_cmp_ne_u32_e32 vcc, s2, v0
                                        ; implicit-def: $vgpr2
	s_and_saveexec_b64 s[2:3], vcc
	s_xor_b64 s[2:3], exec, s[2:3]
; %bb.278:
	v_bfe_u32 v0, v13, 16, 1
	s_movk_i32 s4, 0x7fff
	v_add3_u32 v2, v13, v0, s4
                                        ; implicit-def: $vgpr13
; %bb.279:
	s_or_saveexec_b64 s[2:3], s[2:3]
	v_lshl_add_u64 v[0:1], s[0:1], 0, v[10:11]
	s_xor_b64 exec, exec, s[2:3]
; %bb.280:
	v_mov_b32_e32 v2, 0
	v_or_b32_e32 v3, 0x10000, v13
	v_cmp_eq_u32_sdwa vcc, v13, v2 src0_sel:WORD_0 src1_sel:DWORD
	s_nop 1
	v_cndmask_b32_e32 v2, v3, v13, vcc
; %bb.281:
	s_or_b64 exec, exec, s[2:3]
	global_store_short_d16_hi v[0:1], v2, off offset:128
.LBB291_282:
	s_endpgm
	.section	.rodata,"a",@progbits
	.p2align	6, 0x0
	.amdhsa_kernel _ZN4vllm25paged_attention_v1_kernelI14__hip_bfloat16hLi96ELi8ELi128ELNS_18Fp8KVCacheDataTypeE1ELb1EEEvPT_PKS3_PKT0_S9_ifPKiSB_iPKfiiiSD_SD_iiiii
		.amdhsa_group_segment_fixed_size 208
		.amdhsa_private_segment_fixed_size 0
		.amdhsa_kernarg_size 384
		.amdhsa_user_sgpr_count 2
		.amdhsa_user_sgpr_dispatch_ptr 0
		.amdhsa_user_sgpr_queue_ptr 0
		.amdhsa_user_sgpr_kernarg_segment_ptr 1
		.amdhsa_user_sgpr_dispatch_id 0
		.amdhsa_user_sgpr_kernarg_preload_length 0
		.amdhsa_user_sgpr_kernarg_preload_offset 0
		.amdhsa_user_sgpr_private_segment_size 0
		.amdhsa_uses_dynamic_stack 0
		.amdhsa_enable_private_segment 0
		.amdhsa_system_sgpr_workgroup_id_x 1
		.amdhsa_system_sgpr_workgroup_id_y 1
		.amdhsa_system_sgpr_workgroup_id_z 1
		.amdhsa_system_sgpr_workgroup_info 0
		.amdhsa_system_vgpr_workitem_id 0
		.amdhsa_next_free_vgpr 48
		.amdhsa_next_free_sgpr 53
		.amdhsa_accum_offset 48
		.amdhsa_reserve_vcc 1
		.amdhsa_float_round_mode_32 0
		.amdhsa_float_round_mode_16_64 0
		.amdhsa_float_denorm_mode_32 3
		.amdhsa_float_denorm_mode_16_64 3
		.amdhsa_dx10_clamp 1
		.amdhsa_ieee_mode 1
		.amdhsa_fp16_overflow 0
		.amdhsa_tg_split 0
		.amdhsa_exception_fp_ieee_invalid_op 0
		.amdhsa_exception_fp_denorm_src 0
		.amdhsa_exception_fp_ieee_div_zero 0
		.amdhsa_exception_fp_ieee_overflow 0
		.amdhsa_exception_fp_ieee_underflow 0
		.amdhsa_exception_fp_ieee_inexact 0
		.amdhsa_exception_int_div_zero 0
	.end_amdhsa_kernel
	.section	.text._ZN4vllm25paged_attention_v1_kernelI14__hip_bfloat16hLi96ELi8ELi128ELNS_18Fp8KVCacheDataTypeE1ELb1EEEvPT_PKS3_PKT0_S9_ifPKiSB_iPKfiiiSD_SD_iiiii,"axG",@progbits,_ZN4vllm25paged_attention_v1_kernelI14__hip_bfloat16hLi96ELi8ELi128ELNS_18Fp8KVCacheDataTypeE1ELb1EEEvPT_PKS3_PKT0_S9_ifPKiSB_iPKfiiiSD_SD_iiiii,comdat
.Lfunc_end291:
	.size	_ZN4vllm25paged_attention_v1_kernelI14__hip_bfloat16hLi96ELi8ELi128ELNS_18Fp8KVCacheDataTypeE1ELb1EEEvPT_PKS3_PKT0_S9_ifPKiSB_iPKfiiiSD_SD_iiiii, .Lfunc_end291-_ZN4vllm25paged_attention_v1_kernelI14__hip_bfloat16hLi96ELi8ELi128ELNS_18Fp8KVCacheDataTypeE1ELb1EEEvPT_PKS3_PKT0_S9_ifPKiSB_iPKfiiiSD_SD_iiiii
                                        ; -- End function
	.section	.AMDGPU.csdata,"",@progbits
; Kernel info:
; codeLenInByte = 9764
; NumSgprs: 59
; NumVgprs: 48
; NumAgprs: 0
; TotalNumVgprs: 48
; ScratchSize: 0
; MemoryBound: 0
; FloatMode: 240
; IeeeMode: 1
; LDSByteSize: 208 bytes/workgroup (compile time only)
; SGPRBlocks: 7
; VGPRBlocks: 5
; NumSGPRsForWavesPerEU: 59
; NumVGPRsForWavesPerEU: 48
; AccumOffset: 48
; Occupancy: 8
; WaveLimiterHint : 1
; COMPUTE_PGM_RSRC2:SCRATCH_EN: 0
; COMPUTE_PGM_RSRC2:USER_SGPR: 2
; COMPUTE_PGM_RSRC2:TRAP_HANDLER: 0
; COMPUTE_PGM_RSRC2:TGID_X_EN: 1
; COMPUTE_PGM_RSRC2:TGID_Y_EN: 1
; COMPUTE_PGM_RSRC2:TGID_Z_EN: 1
; COMPUTE_PGM_RSRC2:TIDIG_COMP_CNT: 0
; COMPUTE_PGM_RSRC3_GFX90A:ACCUM_OFFSET: 11
; COMPUTE_PGM_RSRC3_GFX90A:TG_SPLIT: 0
	.section	.text._ZN4vllm25paged_attention_v1_kernelI14__hip_bfloat16hLi112ELi8ELi128ELNS_18Fp8KVCacheDataTypeE1ELb1EEEvPT_PKS3_PKT0_S9_ifPKiSB_iPKfiiiSD_SD_iiiii,"axG",@progbits,_ZN4vllm25paged_attention_v1_kernelI14__hip_bfloat16hLi112ELi8ELi128ELNS_18Fp8KVCacheDataTypeE1ELb1EEEvPT_PKS3_PKT0_S9_ifPKiSB_iPKfiiiSD_SD_iiiii,comdat
	.protected	_ZN4vllm25paged_attention_v1_kernelI14__hip_bfloat16hLi112ELi8ELi128ELNS_18Fp8KVCacheDataTypeE1ELb1EEEvPT_PKS3_PKT0_S9_ifPKiSB_iPKfiiiSD_SD_iiiii ; -- Begin function _ZN4vllm25paged_attention_v1_kernelI14__hip_bfloat16hLi112ELi8ELi128ELNS_18Fp8KVCacheDataTypeE1ELb1EEEvPT_PKS3_PKT0_S9_ifPKiSB_iPKfiiiSD_SD_iiiii
	.globl	_ZN4vllm25paged_attention_v1_kernelI14__hip_bfloat16hLi112ELi8ELi128ELNS_18Fp8KVCacheDataTypeE1ELb1EEEvPT_PKS3_PKT0_S9_ifPKiSB_iPKfiiiSD_SD_iiiii
	.p2align	8
	.type	_ZN4vllm25paged_attention_v1_kernelI14__hip_bfloat16hLi112ELi8ELi128ELNS_18Fp8KVCacheDataTypeE1ELb1EEEvPT_PKS3_PKT0_S9_ifPKiSB_iPKfiiiSD_SD_iiiii,@function
_ZN4vllm25paged_attention_v1_kernelI14__hip_bfloat16hLi112ELi8ELi128ELNS_18Fp8KVCacheDataTypeE1ELb1EEEvPT_PKS3_PKT0_S9_ifPKiSB_iPKfiiiSD_SD_iiiii: ; @_ZN4vllm25paged_attention_v1_kernelI14__hip_bfloat16hLi112ELi8ELi128ELNS_18Fp8KVCacheDataTypeE1ELb1EEEvPT_PKS3_PKT0_S9_ifPKiSB_iPKfiiiSD_SD_iiiii
; %bb.0:
	s_load_dword s5, s[0:1], 0x80
	s_load_dwordx2 s[6:7], s[0:1], 0x30
	s_load_dwordx2 s[38:39], s[0:1], 0x20
	s_mov_b32 s24, s3
	s_ashr_i32 s25, s3, 31
	s_lshl_b64 s[8:9], s[24:25], 2
	s_waitcnt lgkmcnt(0)
	s_add_u32 s6, s6, s8
	s_addc_u32 s7, s7, s9
	s_abs_i32 s3, s38
	v_cvt_f32_u32_e32 v1, s3
	s_sub_i32 s10, 0, s3
	s_abs_i32 s9, s5
	s_xor_b32 s8, s5, s38
	v_rcp_iflag_f32_e32 v1, v1
	s_ashr_i32 s8, s8, 31
	s_mov_b32 s46, 0
	v_mul_f32_e32 v1, 0x4f7ffffe, v1
	v_cvt_u32_f32_e32 v1, v1
	s_nop 0
	v_readfirstlane_b32 s11, v1
	s_mul_i32 s10, s10, s11
	s_mul_hi_u32 s10, s11, s10
	s_add_i32 s11, s11, s10
	s_mul_hi_u32 s10, s9, s11
	s_mul_i32 s11, s10, s3
	s_sub_i32 s9, s9, s11
	s_add_i32 s11, s10, 1
	s_sub_i32 s12, s9, s3
	s_cmp_ge_u32 s9, s3
	s_cselect_b32 s10, s11, s10
	s_cselect_b32 s9, s12, s9
	s_add_i32 s11, s10, 1
	s_cmp_ge_u32 s9, s3
	s_cselect_b32 s3, s11, s10
	s_xor_b32 s3, s3, s8
	s_sub_i32 s14, s3, s8
	s_abs_i32 s10, s14
	v_cvt_f32_u32_e32 v1, s10
	s_load_dwordx2 s[8:9], s[0:1], 0x40
	s_sub_i32 s3, 0, s10
	s_abs_i32 s11, s2
	v_rcp_iflag_f32_e32 v1, v1
	s_nop 0
	v_mul_f32_e32 v1, 0x4f7ffffe, v1
	v_cvt_u32_f32_e32 v1, v1
	s_nop 0
	v_readfirstlane_b32 s12, v1
	s_mul_i32 s3, s3, s12
	s_mul_hi_u32 s3, s12, s3
	s_add_i32 s12, s12, s3
	s_waitcnt lgkmcnt(0)
	s_cmp_eq_u64 s[8:9], 0
	s_mul_hi_u32 s12, s11, s12
	s_cbranch_scc1 .LBB292_2
; %bb.1:
	s_ashr_i32 s3, s2, 31
	s_lshl_b64 s[16:17], s[2:3], 2
	s_add_u32 s8, s8, s16
	s_addc_u32 s9, s9, s17
	s_load_dword s46, s[8:9], 0x0
.LBB292_2:
	s_load_dword s25, s[6:7], 0x0
	s_load_dwordx4 s[16:19], s[0:1], 0x48
	s_movk_i32 s3, 0x70
	s_ashr_i32 s13, s2, 31
	s_ashr_i32 s14, s14, 31
	v_and_b32_e32 v2, 7, v0
	s_mul_i32 s26, s2, 0x70
	v_cmp_gt_u32_e64 s[6:7], s3, v0
	v_lshlrev_b32_e32 v10, 1, v0
	s_and_saveexec_b64 s[8:9], s[6:7]
	s_cbranch_execz .LBB292_4
; %bb.3:
	s_load_dwordx2 s[20:21], s[0:1], 0x8
	s_waitcnt lgkmcnt(0)
	s_mul_i32 s22, s24, s16
	s_ashr_i32 s23, s22, 31
	s_lshl_b64 s[22:23], s[22:23], 1
	v_lshrrev_b32_e32 v3, 2, v0
	s_add_u32 s3, s20, s22
	s_addc_u32 s15, s21, s23
	s_ashr_i32 s27, s26, 31
	s_lshl_b64 s[20:21], s[26:27], 1
	s_add_u32 s20, s3, s20
	s_addc_u32 s21, s15, s21
	global_load_ushort v1, v10, s[20:21]
	v_and_b32_e32 v3, 0xfe, v3
	v_mad_u32_u24 v3, v2, 28, v3
	s_waitcnt vmcnt(0)
	ds_write_b16 v3, v1
.LBB292_4:
	s_or_b64 exec, exec, s[8:9]
	s_mul_i32 s9, s12, s10
	s_sub_i32 s9, s11, s9
	s_xor_b32 s8, s13, s14
	s_add_i32 s11, s12, 1
	s_sub_i32 s13, s9, s10
	s_load_dwordx4 s[20:23], s[0:1], 0x68
	s_load_dword s3, s[0:1], 0x78
	s_cmp_ge_u32 s9, s10
	s_cselect_b32 s11, s11, s12
	s_cselect_b32 s9, s13, s9
	s_add_i32 s12, s11, 1
	s_cmp_ge_u32 s9, s10
	s_cselect_b32 s9, s12, s11
	s_waitcnt lgkmcnt(0)
	s_abs_i32 s27, s23
	v_cvt_f32_u32_e32 v1, s27
	s_xor_b32 s9, s9, s8
	s_sub_i32 s10, s9, s8
	s_sub_i32 s8, 0, s27
	v_rcp_iflag_f32_e32 v1, v1
	s_add_i32 s12, s25, -1
	s_abs_i32 s11, s12
	v_mul_f32_e32 v1, 0x4f7ffffe, v1
	v_cvt_u32_f32_e32 v1, v1
	s_barrier
	v_readfirstlane_b32 s33, v1
	s_mul_i32 s8, s8, s33
	s_mul_hi_u32 s8, s33, s8
	s_add_i32 s33, s33, s8
	s_cmp_lt_i32 s3, 0
	s_mul_hi_u32 s16, s11, s33
	s_cbranch_scc0 .LBB292_6
; %bb.5:
	s_mul_i32 s8, s20, s38
	s_add_i32 s8, s10, s8
	s_mul_i32 s8, s8, s3
	s_sub_i32 s38, 1, s8
	s_mov_b64 s[8:9], 0
	s_branch .LBB292_7
.LBB292_6:
	s_mov_b64 s[8:9], -1
                                        ; implicit-def: $sgpr38
.LBB292_7:
	s_load_dwordx2 s[30:31], s[0:1], 0x28
	s_ashr_i32 s19, s12, 31
	s_andn2_b64 vcc, exec, s[8:9]
	s_ashr_i32 s44, s23, 31
	s_cbranch_vccnz .LBB292_9
; %bb.8:
	s_mul_i32 s8, s5, s20
	s_add_i32 s2, s8, s2
	s_mul_i32 s2, s2, s3
	s_add_i32 s38, s2, 1
.LBB292_9:
	s_load_dword s2, s[0:1], 0x38
	s_load_dwordx2 s[28:29], s[0:1], 0x0
	s_load_dwordx2 s[36:37], s[0:1], 0x18
	s_load_dword s23, s[0:1], 0x88
	s_load_dwordx4 s[12:15], s[0:1], 0x58
	s_mul_i32 s3, s16, s27
	s_waitcnt lgkmcnt(0)
	s_mul_i32 s34, s24, s2
	s_sub_i32 s3, s11, s3
	s_ashr_i32 s35, s34, 31
	s_xor_b32 s2, s19, s44
	s_add_i32 s8, s16, 1
	s_sub_i32 s9, s3, s27
	s_cmp_ge_u32 s3, s27
	s_cselect_b32 s8, s8, s16
	s_cselect_b32 s3, s9, s3
	s_add_i32 s9, s8, 1
	s_cmp_ge_u32 s3, s27
	s_cselect_b32 s3, s9, s8
	s_xor_b32 s3, s3, s2
	s_sub_i32 s16, s3, s2
	s_add_i32 s2, s25, 7
	s_ashr_i32 s3, s2, 31
	s_lshr_b32 s3, s3, 29
	s_add_i32 s2, s2, s3
	s_ashr_i32 s45, s2, 3
	v_lshrrev_b32_e32 v1, 6, v0
	v_cmp_gt_i32_e64 s[2:3], s45, v1
	v_mov_b32_e32 v22, 0xff7fffff
	s_mul_i32 s20, s10, s18
	v_lshrrev_b32_e32 v18, 4, v0
	v_lshlrev_b32_e32 v11, 3, v1
	v_mbcnt_lo_u32_b32 v19, -1, 0
	s_and_saveexec_b64 s[18:19], s[2:3]
	s_cbranch_execz .LBB292_75
; %bb.10:
	s_load_dwordx2 s[0:1], s[0:1], 0x10
	s_sub_i32 s47, s16, s21
	s_ashr_i32 s9, s20, 31
	v_bfe_u32 v20, v0, 3, 3
	v_mov_b32_e32 v3, 0
	s_waitcnt lgkmcnt(0)
	s_add_u32 s8, s0, s20
	s_addc_u32 s9, s1, s9
	s_abs_i32 s48, s22
	v_cvt_f32_u32_e32 v4, s48
	v_lshlrev_b32_e32 v8, 2, v20
	v_lshl_or_b32 v8, v1, 5, v8
	v_add_u32_e32 v25, 0xf0, v8
	v_rcp_iflag_f32_e32 v5, v4
	v_lshlrev_b32_e32 v4, 4, v20
	v_subrev_u32_e32 v8, s25, v20
	v_cmp_eq_u32_e32 vcc, 0, v2
	v_mul_f32_e32 v5, 0x4f7ffffe, v5
	v_cvt_u32_f32_e32 v6, v5
	v_mov_b32_e32 v5, v3
	v_lshl_add_u64 v[4:5], s[8:9], 0, v[4:5]
	s_sub_i32 s8, 0, s48
	v_mul_lo_u32 v7, s8, v6
	s_lshl_b64 s[8:9], s[34:35], 2
	v_mul_hi_u32 v7, v6, v7
	s_add_u32 s8, s30, s8
	v_add_u32_e32 v23, v6, v7
	v_and_b32_e32 v6, 60, v18
	v_mov_b32_e32 v7, v3
	s_addc_u32 s9, s31, s9
	s_mov_b32 s49, s17
	v_mul_u32_u24_e32 v21, 28, v2
	v_cmp_neq_f32_e64 s[0:1], s46, 0
	v_lshl_add_u64 v[6:7], s[8:9], 0, v[6:7]
	v_lshlrev_b32_e32 v24, 3, v1
	v_add_u32_e32 v26, 1, v8
	s_mov_b64 s[40:41], 0
	v_mov_b32_e32 v27, 0xff7fffff
	s_mov_b32 s50, 0x7f800000
	s_movk_i32 s51, 0x7fff
	v_mbcnt_hi_u32_b32 v28, -1, v19
	v_mov_b32_e32 v22, 0xff7fffff
	v_mov_b32_e32 v29, v1
	s_branch .LBB292_13
.LBB292_11:                             ;   in Loop: Header=BB292_13 Depth=1
	s_or_b64 exec, exec, s[42:43]
.LBB292_12:                             ;   in Loop: Header=BB292_13 Depth=1
	s_or_b64 exec, exec, s[10:11]
	v_add_u32_e32 v29, 2, v29
	v_cmp_le_i32_e64 s[8:9], s45, v29
	v_lshl_add_u64 v[6:7], v[6:7], 0, 8
	v_add_u32_e32 v24, 16, v24
	s_or_b64 s[40:41], s[8:9], s[40:41]
	v_add_u32_e32 v25, 64, v25
	s_andn2_b64 exec, exec, s[40:41]
	s_cbranch_execz .LBB292_74
.LBB292_13:                             ; =>This Inner Loop Header: Depth=1
	v_mul_hi_u32 v8, v24, s33
	s_waitcnt lgkmcnt(0)
	v_mul_lo_u32 v9, v8, s27
	v_sub_u32_e32 v9, v24, v9
	v_add_u32_e32 v12, 1, v8
	v_cmp_le_u32_e64 s[8:9], s27, v9
	s_nop 1
	v_cndmask_b32_e64 v8, v8, v12, s[8:9]
	v_subrev_u32_e32 v12, s27, v9
	v_cndmask_b32_e64 v9, v9, v12, s[8:9]
	v_add_u32_e32 v12, 1, v8
	v_cmp_le_u32_e64 s[8:9], s27, v9
	s_nop 1
	v_cndmask_b32_e64 v8, v8, v12, s[8:9]
	v_xor_b32_e32 v8, s44, v8
	v_subrev_u32_e32 v8, s44, v8
	v_add_u32_e32 v9, s38, v8
	v_sub_u32_e32 v13, 0, v9
	v_ashrrev_i32_e32 v12, 31, v9
	v_max_i32_e32 v9, v9, v13
	v_mul_hi_u32 v13, v9, v23
	v_mul_lo_u32 v13, v13, s48
	v_sub_u32_e32 v9, v9, v13
	v_subrev_u32_e32 v13, s48, v9
	v_cmp_le_u32_e64 s[8:9], s48, v9
	v_cmp_ge_i32_e64 s[10:11], s47, v8
	s_nop 0
	v_cndmask_b32_e64 v9, v9, v13, s[8:9]
	v_subrev_u32_e32 v13, s48, v9
	v_cmp_le_u32_e64 s[8:9], s48, v9
	s_nop 1
	v_cndmask_b32_e64 v9, v9, v13, s[8:9]
	v_xor_b32_e32 v9, v9, v12
	v_sub_u32_e32 v9, v9, v12
	v_cmp_ne_u32_e64 s[8:9], 0, v9
	s_and_b64 s[8:9], s[8:9], s[10:11]
	s_and_b64 s[42:43], vcc, s[8:9]
	s_and_saveexec_b64 s[10:11], s[42:43]
	s_cbranch_execz .LBB292_15
; %bb.14:                               ;   in Loop: Header=BB292_13 Depth=1
	ds_write_b32 v25, v27
.LBB292_15:                             ;   in Loop: Header=BB292_13 Depth=1
	s_or_b64 exec, exec, s[10:11]
	s_xor_b64 s[8:9], s[8:9], -1
	s_and_saveexec_b64 s[10:11], s[8:9]
	s_cbranch_execz .LBB292_12
; %bb.16:                               ;   in Loop: Header=BB292_13 Depth=1
	global_load_dword v8, v[6:7], off
	s_load_dword s52, s[12:13], 0x0
	s_waitcnt vmcnt(0)
	v_mad_i64_i32 v[8:9], s[8:9], v8, s49, v[4:5]
	v_lshl_add_u64 v[16:17], v[8:9], 0, v[2:3]
	global_load_ubyte v8, v[16:17], off
	s_waitcnt vmcnt(0)
	v_cvt_f32_fp8_sdwa v31, v8 src0_sel:BYTE_0
	ds_read2_b32 v[14:15], v21 offset1:1
	ds_read2_b32 v[12:13], v21 offset0:2 offset1:3
	ds_read2_b32 v[8:9], v21 offset0:4 offset1:5
	ds_read_b32 v30, v21 offset:24
	s_waitcnt lgkmcnt(0)
	v_mul_f32_e32 v32, s52, v31
	v_and_b32_e32 v31, 0x7f800000, v32
	v_cmp_ne_u32_e64 s[8:9], s50, v31
                                        ; implicit-def: $vgpr31
	s_and_saveexec_b64 s[42:43], s[8:9]
	s_xor_b64 s[8:9], exec, s[42:43]
; %bb.17:                               ;   in Loop: Header=BB292_13 Depth=1
	v_bfe_u32 v31, v32, 16, 1
	v_add3_u32 v31, v32, v31, s51
                                        ; implicit-def: $vgpr32
; %bb.18:                               ;   in Loop: Header=BB292_13 Depth=1
	s_andn2_saveexec_b64 s[42:43], s[8:9]
; %bb.19:                               ;   in Loop: Header=BB292_13 Depth=1
	v_or_b32_e32 v31, 0x10000, v32
	v_cmp_eq_u32_sdwa s[8:9], v32, v3 src0_sel:WORD_0 src1_sel:DWORD
	s_nop 1
	v_cndmask_b32_e64 v31, v31, v32, s[8:9]
; %bb.20:                               ;   in Loop: Header=BB292_13 Depth=1
	s_or_b64 exec, exec, s[42:43]
	global_load_ubyte v32, v[16:17], off offset:8
	s_waitcnt vmcnt(0)
	v_cvt_f32_fp8_sdwa v32, v32 src0_sel:BYTE_0
	s_nop 0
	v_mul_f32_e32 v33, s52, v32
	v_and_b32_e32 v32, 0x7f800000, v33
	v_cmp_ne_u32_e64 s[8:9], s50, v32
                                        ; implicit-def: $vgpr32
	s_and_saveexec_b64 s[42:43], s[8:9]
	s_xor_b64 s[8:9], exec, s[42:43]
; %bb.21:                               ;   in Loop: Header=BB292_13 Depth=1
	v_bfe_u32 v32, v33, 16, 1
	v_add3_u32 v32, v33, v32, s51
                                        ; implicit-def: $vgpr33
; %bb.22:                               ;   in Loop: Header=BB292_13 Depth=1
	s_andn2_saveexec_b64 s[42:43], s[8:9]
; %bb.23:                               ;   in Loop: Header=BB292_13 Depth=1
	v_or_b32_e32 v32, 0x10000, v33
	v_cmp_eq_u32_sdwa s[8:9], v33, v3 src0_sel:WORD_0 src1_sel:DWORD
	s_nop 1
	v_cndmask_b32_e64 v32, v32, v33, s[8:9]
; %bb.24:                               ;   in Loop: Header=BB292_13 Depth=1
	s_or_b64 exec, exec, s[42:43]
	global_load_ubyte v33, v[16:17], off offset:128
	s_waitcnt vmcnt(0)
	v_cvt_f32_fp8_sdwa v33, v33 src0_sel:BYTE_0
	s_nop 0
	v_mul_f32_e32 v34, s52, v33
	v_and_b32_e32 v33, 0x7f800000, v34
	v_cmp_ne_u32_e64 s[8:9], s50, v33
                                        ; implicit-def: $vgpr33
	s_and_saveexec_b64 s[42:43], s[8:9]
	s_xor_b64 s[8:9], exec, s[42:43]
; %bb.25:                               ;   in Loop: Header=BB292_13 Depth=1
	v_bfe_u32 v33, v34, 16, 1
	v_add3_u32 v33, v34, v33, s51
                                        ; implicit-def: $vgpr34
; %bb.26:                               ;   in Loop: Header=BB292_13 Depth=1
	s_andn2_saveexec_b64 s[42:43], s[8:9]
; %bb.27:                               ;   in Loop: Header=BB292_13 Depth=1
	v_or_b32_e32 v33, 0x10000, v34
	v_cmp_eq_u32_sdwa s[8:9], v34, v3 src0_sel:WORD_0 src1_sel:DWORD
	s_nop 1
	v_cndmask_b32_e64 v33, v33, v34, s[8:9]
; %bb.28:                               ;   in Loop: Header=BB292_13 Depth=1
	s_or_b64 exec, exec, s[42:43]
	global_load_ubyte v34, v[16:17], off offset:136
	s_waitcnt vmcnt(0)
	v_cvt_f32_fp8_sdwa v34, v34 src0_sel:BYTE_0
	s_nop 0
	v_mul_f32_e32 v35, s52, v34
	v_and_b32_e32 v34, 0x7f800000, v35
	v_cmp_ne_u32_e64 s[8:9], s50, v34
                                        ; implicit-def: $vgpr34
	s_and_saveexec_b64 s[42:43], s[8:9]
	s_xor_b64 s[8:9], exec, s[42:43]
; %bb.29:                               ;   in Loop: Header=BB292_13 Depth=1
	v_bfe_u32 v34, v35, 16, 1
	v_add3_u32 v34, v35, v34, s51
                                        ; implicit-def: $vgpr35
; %bb.30:                               ;   in Loop: Header=BB292_13 Depth=1
	s_andn2_saveexec_b64 s[42:43], s[8:9]
; %bb.31:                               ;   in Loop: Header=BB292_13 Depth=1
	v_or_b32_e32 v34, 0x10000, v35
	v_cmp_eq_u32_sdwa s[8:9], v35, v3 src0_sel:WORD_0 src1_sel:DWORD
	s_nop 1
	v_cndmask_b32_e64 v34, v34, v35, s[8:9]
; %bb.32:                               ;   in Loop: Header=BB292_13 Depth=1
	s_or_b64 exec, exec, s[42:43]
	global_load_ubyte v35, v[16:17], off offset:256
	s_waitcnt vmcnt(0)
	v_cvt_f32_fp8_sdwa v35, v35 src0_sel:BYTE_0
	s_nop 0
	v_mul_f32_e32 v36, s52, v35
	v_and_b32_e32 v35, 0x7f800000, v36
	v_cmp_ne_u32_e64 s[8:9], s50, v35
                                        ; implicit-def: $vgpr35
	s_and_saveexec_b64 s[42:43], s[8:9]
	s_xor_b64 s[8:9], exec, s[42:43]
; %bb.33:                               ;   in Loop: Header=BB292_13 Depth=1
	v_bfe_u32 v35, v36, 16, 1
	v_add3_u32 v35, v36, v35, s51
                                        ; implicit-def: $vgpr36
; %bb.34:                               ;   in Loop: Header=BB292_13 Depth=1
	s_andn2_saveexec_b64 s[42:43], s[8:9]
; %bb.35:                               ;   in Loop: Header=BB292_13 Depth=1
	v_or_b32_e32 v35, 0x10000, v36
	v_cmp_eq_u32_sdwa s[8:9], v36, v3 src0_sel:WORD_0 src1_sel:DWORD
	s_nop 1
	v_cndmask_b32_e64 v35, v35, v36, s[8:9]
; %bb.36:                               ;   in Loop: Header=BB292_13 Depth=1
	s_or_b64 exec, exec, s[42:43]
	global_load_ubyte v36, v[16:17], off offset:264
	s_waitcnt vmcnt(0)
	v_cvt_f32_fp8_sdwa v36, v36 src0_sel:BYTE_0
	s_nop 0
	v_mul_f32_e32 v37, s52, v36
	v_and_b32_e32 v36, 0x7f800000, v37
	v_cmp_ne_u32_e64 s[8:9], s50, v36
                                        ; implicit-def: $vgpr36
	s_and_saveexec_b64 s[42:43], s[8:9]
	s_xor_b64 s[8:9], exec, s[42:43]
; %bb.37:                               ;   in Loop: Header=BB292_13 Depth=1
	v_bfe_u32 v36, v37, 16, 1
	v_add3_u32 v36, v37, v36, s51
                                        ; implicit-def: $vgpr37
; %bb.38:                               ;   in Loop: Header=BB292_13 Depth=1
	s_andn2_saveexec_b64 s[42:43], s[8:9]
; %bb.39:                               ;   in Loop: Header=BB292_13 Depth=1
	v_or_b32_e32 v36, 0x10000, v37
	v_cmp_eq_u32_sdwa s[8:9], v37, v3 src0_sel:WORD_0 src1_sel:DWORD
	s_nop 1
	v_cndmask_b32_e64 v36, v36, v37, s[8:9]
; %bb.40:                               ;   in Loop: Header=BB292_13 Depth=1
	s_or_b64 exec, exec, s[42:43]
	global_load_ubyte v37, v[16:17], off offset:384
	s_waitcnt vmcnt(0)
	v_cvt_f32_fp8_sdwa v37, v37 src0_sel:BYTE_0
	s_nop 0
	v_mul_f32_e32 v38, s52, v37
	v_and_b32_e32 v37, 0x7f800000, v38
	v_cmp_ne_u32_e64 s[8:9], s50, v37
                                        ; implicit-def: $vgpr37
	s_and_saveexec_b64 s[42:43], s[8:9]
	s_xor_b64 s[8:9], exec, s[42:43]
; %bb.41:                               ;   in Loop: Header=BB292_13 Depth=1
	v_bfe_u32 v37, v38, 16, 1
	v_add3_u32 v37, v38, v37, s51
                                        ; implicit-def: $vgpr38
; %bb.42:                               ;   in Loop: Header=BB292_13 Depth=1
	s_andn2_saveexec_b64 s[42:43], s[8:9]
; %bb.43:                               ;   in Loop: Header=BB292_13 Depth=1
	v_or_b32_e32 v37, 0x10000, v38
	v_cmp_eq_u32_sdwa s[8:9], v38, v3 src0_sel:WORD_0 src1_sel:DWORD
	s_nop 1
	v_cndmask_b32_e64 v37, v37, v38, s[8:9]
; %bb.44:                               ;   in Loop: Header=BB292_13 Depth=1
	s_or_b64 exec, exec, s[42:43]
	global_load_ubyte v38, v[16:17], off offset:392
	s_waitcnt vmcnt(0)
	v_cvt_f32_fp8_sdwa v38, v38 src0_sel:BYTE_0
	s_nop 0
	v_mul_f32_e32 v39, s52, v38
	v_and_b32_e32 v38, 0x7f800000, v39
	v_cmp_ne_u32_e64 s[8:9], s50, v38
                                        ; implicit-def: $vgpr38
	s_and_saveexec_b64 s[42:43], s[8:9]
	s_xor_b64 s[8:9], exec, s[42:43]
; %bb.45:                               ;   in Loop: Header=BB292_13 Depth=1
	v_bfe_u32 v38, v39, 16, 1
	v_add3_u32 v38, v39, v38, s51
                                        ; implicit-def: $vgpr39
; %bb.46:                               ;   in Loop: Header=BB292_13 Depth=1
	s_andn2_saveexec_b64 s[42:43], s[8:9]
; %bb.47:                               ;   in Loop: Header=BB292_13 Depth=1
	v_or_b32_e32 v38, 0x10000, v39
	v_cmp_eq_u32_sdwa s[8:9], v39, v3 src0_sel:WORD_0 src1_sel:DWORD
	s_nop 1
	v_cndmask_b32_e64 v38, v38, v39, s[8:9]
; %bb.48:                               ;   in Loop: Header=BB292_13 Depth=1
	s_or_b64 exec, exec, s[42:43]
	global_load_ubyte v39, v[16:17], off offset:512
	s_waitcnt vmcnt(0)
	v_cvt_f32_fp8_sdwa v39, v39 src0_sel:BYTE_0
	s_nop 0
	v_mul_f32_e32 v40, s52, v39
	v_and_b32_e32 v39, 0x7f800000, v40
	v_cmp_ne_u32_e64 s[8:9], s50, v39
                                        ; implicit-def: $vgpr39
	s_and_saveexec_b64 s[42:43], s[8:9]
	s_xor_b64 s[8:9], exec, s[42:43]
; %bb.49:                               ;   in Loop: Header=BB292_13 Depth=1
	v_bfe_u32 v39, v40, 16, 1
	v_add3_u32 v39, v40, v39, s51
                                        ; implicit-def: $vgpr40
; %bb.50:                               ;   in Loop: Header=BB292_13 Depth=1
	s_andn2_saveexec_b64 s[42:43], s[8:9]
; %bb.51:                               ;   in Loop: Header=BB292_13 Depth=1
	v_or_b32_e32 v39, 0x10000, v40
	v_cmp_eq_u32_sdwa s[8:9], v40, v3 src0_sel:WORD_0 src1_sel:DWORD
	s_nop 1
	v_cndmask_b32_e64 v39, v39, v40, s[8:9]
; %bb.52:                               ;   in Loop: Header=BB292_13 Depth=1
	s_or_b64 exec, exec, s[42:43]
	global_load_ubyte v40, v[16:17], off offset:520
	s_waitcnt vmcnt(0)
	v_cvt_f32_fp8_sdwa v40, v40 src0_sel:BYTE_0
	s_nop 0
	v_mul_f32_e32 v41, s52, v40
	v_and_b32_e32 v40, 0x7f800000, v41
	v_cmp_ne_u32_e64 s[8:9], s50, v40
                                        ; implicit-def: $vgpr40
	s_and_saveexec_b64 s[42:43], s[8:9]
	s_xor_b64 s[8:9], exec, s[42:43]
; %bb.53:                               ;   in Loop: Header=BB292_13 Depth=1
	v_bfe_u32 v40, v41, 16, 1
	v_add3_u32 v40, v41, v40, s51
                                        ; implicit-def: $vgpr41
; %bb.54:                               ;   in Loop: Header=BB292_13 Depth=1
	s_andn2_saveexec_b64 s[42:43], s[8:9]
; %bb.55:                               ;   in Loop: Header=BB292_13 Depth=1
	v_or_b32_e32 v40, 0x10000, v41
	v_cmp_eq_u32_sdwa s[8:9], v41, v3 src0_sel:WORD_0 src1_sel:DWORD
	s_nop 1
	v_cndmask_b32_e64 v40, v40, v41, s[8:9]
; %bb.56:                               ;   in Loop: Header=BB292_13 Depth=1
	s_or_b64 exec, exec, s[42:43]
	global_load_ubyte v41, v[16:17], off offset:640
	s_waitcnt vmcnt(0)
	v_cvt_f32_fp8_sdwa v41, v41 src0_sel:BYTE_0
	s_nop 0
	v_mul_f32_e32 v42, s52, v41
	v_and_b32_e32 v41, 0x7f800000, v42
	v_cmp_ne_u32_e64 s[8:9], s50, v41
                                        ; implicit-def: $vgpr41
	s_and_saveexec_b64 s[42:43], s[8:9]
	s_xor_b64 s[8:9], exec, s[42:43]
; %bb.57:                               ;   in Loop: Header=BB292_13 Depth=1
	v_bfe_u32 v41, v42, 16, 1
	v_add3_u32 v41, v42, v41, s51
                                        ; implicit-def: $vgpr42
; %bb.58:                               ;   in Loop: Header=BB292_13 Depth=1
	s_andn2_saveexec_b64 s[42:43], s[8:9]
; %bb.59:                               ;   in Loop: Header=BB292_13 Depth=1
	v_or_b32_e32 v41, 0x10000, v42
	v_cmp_eq_u32_sdwa s[8:9], v42, v3 src0_sel:WORD_0 src1_sel:DWORD
	s_nop 1
	v_cndmask_b32_e64 v41, v41, v42, s[8:9]
; %bb.60:                               ;   in Loop: Header=BB292_13 Depth=1
	s_or_b64 exec, exec, s[42:43]
	global_load_ubyte v42, v[16:17], off offset:648
	s_waitcnt vmcnt(0)
	v_cvt_f32_fp8_sdwa v42, v42 src0_sel:BYTE_0
	s_nop 0
	v_mul_f32_e32 v43, s52, v42
	v_and_b32_e32 v42, 0x7f800000, v43
	v_cmp_ne_u32_e64 s[8:9], s50, v42
                                        ; implicit-def: $vgpr42
	s_and_saveexec_b64 s[42:43], s[8:9]
	s_xor_b64 s[8:9], exec, s[42:43]
; %bb.61:                               ;   in Loop: Header=BB292_13 Depth=1
	v_bfe_u32 v42, v43, 16, 1
	v_add3_u32 v42, v43, v42, s51
                                        ; implicit-def: $vgpr43
; %bb.62:                               ;   in Loop: Header=BB292_13 Depth=1
	s_andn2_saveexec_b64 s[42:43], s[8:9]
; %bb.63:                               ;   in Loop: Header=BB292_13 Depth=1
	v_or_b32_e32 v42, 0x10000, v43
	v_cmp_eq_u32_sdwa s[8:9], v43, v3 src0_sel:WORD_0 src1_sel:DWORD
	s_nop 1
	v_cndmask_b32_e64 v42, v42, v43, s[8:9]
; %bb.64:                               ;   in Loop: Header=BB292_13 Depth=1
	s_or_b64 exec, exec, s[42:43]
	global_load_ubyte v43, v[16:17], off offset:768
	s_waitcnt vmcnt(0)
	v_cvt_f32_fp8_sdwa v43, v43 src0_sel:BYTE_0
	s_nop 0
	v_mul_f32_e32 v44, s52, v43
	v_and_b32_e32 v43, 0x7f800000, v44
	v_cmp_ne_u32_e64 s[8:9], s50, v43
                                        ; implicit-def: $vgpr43
	s_and_saveexec_b64 s[42:43], s[8:9]
	s_xor_b64 s[8:9], exec, s[42:43]
; %bb.65:                               ;   in Loop: Header=BB292_13 Depth=1
	v_bfe_u32 v43, v44, 16, 1
	v_add3_u32 v43, v44, v43, s51
                                        ; implicit-def: $vgpr44
; %bb.66:                               ;   in Loop: Header=BB292_13 Depth=1
	s_andn2_saveexec_b64 s[42:43], s[8:9]
; %bb.67:                               ;   in Loop: Header=BB292_13 Depth=1
	v_or_b32_e32 v43, 0x10000, v44
	v_cmp_eq_u32_sdwa s[8:9], v44, v3 src0_sel:WORD_0 src1_sel:DWORD
	s_nop 1
	v_cndmask_b32_e64 v43, v43, v44, s[8:9]
; %bb.68:                               ;   in Loop: Header=BB292_13 Depth=1
	s_or_b64 exec, exec, s[42:43]
	global_load_ubyte v16, v[16:17], off offset:776
	s_waitcnt vmcnt(0)
	v_cvt_f32_fp8_sdwa v16, v16 src0_sel:BYTE_0
	s_nop 0
	v_mul_f32_e32 v17, s52, v16
	v_and_b32_e32 v16, 0x7f800000, v17
	v_cmp_ne_u32_e64 s[8:9], s50, v16
                                        ; implicit-def: $vgpr16
	s_and_saveexec_b64 s[42:43], s[8:9]
	s_xor_b64 s[8:9], exec, s[42:43]
; %bb.69:                               ;   in Loop: Header=BB292_13 Depth=1
	v_bfe_u32 v16, v17, 16, 1
	v_add3_u32 v16, v17, v16, s51
                                        ; implicit-def: $vgpr17
; %bb.70:                               ;   in Loop: Header=BB292_13 Depth=1
	s_andn2_saveexec_b64 s[42:43], s[8:9]
; %bb.71:                               ;   in Loop: Header=BB292_13 Depth=1
	v_or_b32_e32 v16, 0x10000, v17
	v_cmp_eq_u32_sdwa s[8:9], v17, v3 src0_sel:WORD_0 src1_sel:DWORD
	s_nop 1
	v_cndmask_b32_e64 v16, v16, v17, s[8:9]
; %bb.72:                               ;   in Loop: Header=BB292_13 Depth=1
	s_or_b64 exec, exec, s[42:43]
	v_and_b32_e32 v17, 0xffff0000, v43
	v_and_b32_e32 v32, 0xffff0000, v32
	v_lshlrev_b32_e32 v43, 16, v14
	v_and_b32_e32 v14, 0xffff0000, v14
	v_and_b32_e32 v31, 0xffff0000, v31
	v_mul_f32_e32 v14, v14, v32
	v_and_b32_e32 v33, 0xffff0000, v33
	v_lshlrev_b32_e32 v44, 16, v15
	v_fmac_f32_e32 v14, v43, v31
	v_and_b32_e32 v34, 0xffff0000, v34
	v_and_b32_e32 v15, 0xffff0000, v15
	v_fmac_f32_e32 v14, v44, v33
	v_and_b32_e32 v35, 0xffff0000, v35
	v_lshlrev_b32_e32 v45, 16, v12
	v_fmac_f32_e32 v14, v15, v34
	v_and_b32_e32 v36, 0xffff0000, v36
	v_and_b32_e32 v12, 0xffff0000, v12
	v_fmac_f32_e32 v14, v45, v35
	v_and_b32_e32 v37, 0xffff0000, v37
	v_lshlrev_b32_e32 v46, 16, v13
	v_fmac_f32_e32 v14, v12, v36
	v_and_b32_e32 v38, 0xffff0000, v38
	v_and_b32_e32 v13, 0xffff0000, v13
	v_fmac_f32_e32 v14, v46, v37
	v_and_b32_e32 v39, 0xffff0000, v39
	v_lshlrev_b32_e32 v47, 16, v8
	v_fmac_f32_e32 v14, v13, v38
	v_and_b32_e32 v40, 0xffff0000, v40
	v_and_b32_e32 v8, 0xffff0000, v8
	v_fmac_f32_e32 v14, v47, v39
	v_and_b32_e32 v41, 0xffff0000, v41
	v_lshlrev_b32_e32 v48, 16, v9
	v_and_b32_e32 v50, 64, v28
	v_fmac_f32_e32 v14, v8, v40
	v_and_b32_e32 v42, 0xffff0000, v42
	v_and_b32_e32 v9, 0xffff0000, v9
	v_add_u32_e32 v50, 64, v50
	v_xor_b32_e32 v51, 4, v28
	v_fmac_f32_e32 v14, v48, v41
	v_lshlrev_b32_e32 v49, 16, v30
	v_cmp_lt_i32_e64 s[8:9], v51, v50
	v_fmac_f32_e32 v14, v9, v42
	v_and_b32_e32 v30, 0xffff0000, v30
	v_cndmask_b32_e64 v51, v28, v51, s[8:9]
	v_and_b32_e32 v16, 0xffff0000, v16
	v_fmac_f32_e32 v14, v49, v17
	v_lshlrev_b32_e32 v51, 2, v51
	v_fmac_f32_e32 v14, v30, v16
	ds_bpermute_b32 v8, v51, v14
	v_xor_b32_e32 v9, 2, v28
	v_cmp_lt_i32_e64 s[8:9], v9, v50
	v_xor_b32_e32 v12, 1, v28
	s_waitcnt lgkmcnt(0)
	v_add_f32_e32 v8, v14, v8
	v_cndmask_b32_e64 v9, v28, v9, s[8:9]
	v_lshlrev_b32_e32 v9, 2, v9
	ds_bpermute_b32 v9, v9, v8
	v_cmp_lt_i32_e64 s[8:9], v12, v50
	s_waitcnt lgkmcnt(0)
	v_add_f32_e32 v8, v8, v9
	v_cndmask_b32_e64 v12, v28, v12, s[8:9]
	v_lshlrev_b32_e32 v12, 2, v12
	ds_bpermute_b32 v9, v12, v8
	s_and_saveexec_b64 s[42:43], vcc
	s_cbranch_execz .LBB292_11
; %bb.73:                               ;   in Loop: Header=BB292_13 Depth=1
	v_add_u32_e32 v12, v26, v24
	v_cvt_f32_i32_e32 v12, v12
	s_waitcnt lgkmcnt(0)
	v_add_f32_e32 v8, v8, v9
	v_add_u32_e32 v13, v20, v24
	v_cmp_gt_i32_e64 s[8:9], s25, v13
	v_mul_f32_e32 v9, s46, v12
	v_cndmask_b32_e64 v9, 0, v9, s[0:1]
	v_fmac_f32_e32 v9, s39, v8
	v_cndmask_b32_e64 v8, 0, v9, s[8:9]
	ds_write_b32 v25, v8
	v_max_f32_e32 v8, v22, v22
	v_max_f32_e32 v8, v8, v9
	v_cndmask_b32_e64 v22, v22, v8, s[8:9]
	s_branch .LBB292_11
.LBB292_74:
	s_or_b64 exec, exec, s[40:41]
.LBB292_75:
	s_or_b64 exec, exec, s[18:19]
	v_mbcnt_hi_u32_b32 v2, -1, v19
	v_and_b32_e32 v3, 64, v2
	v_add_u32_e32 v3, 64, v3
	v_xor_b32_e32 v4, 32, v2
	v_cmp_lt_i32_e32 vcc, v4, v3
	v_xor_b32_e32 v7, 16, v2
	v_max_f32_e32 v6, v22, v22
	v_cndmask_b32_e32 v4, v2, v4, vcc
	v_lshlrev_b32_e32 v5, 2, v4
	ds_bpermute_b32 v4, v5, v22
	v_cmp_lt_i32_e32 vcc, v7, v3
	v_xor_b32_e32 v8, 8, v2
	v_and_b32_e32 v20, 63, v0
	s_waitcnt lgkmcnt(0)
	v_max_f32_e32 v4, v4, v4
	v_max_f32_e32 v4, v6, v4
	v_cndmask_b32_e32 v6, v2, v7, vcc
	v_lshlrev_b32_e32 v7, 2, v6
	ds_bpermute_b32 v6, v7, v4
	v_cmp_lt_i32_e32 vcc, v8, v3
	s_waitcnt lgkmcnt(0)
	v_max_f32_e32 v6, v6, v6
	v_max_f32_e32 v6, v4, v6
	v_cndmask_b32_e32 v4, v2, v8, vcc
	v_lshlrev_b32_e32 v9, 2, v4
	ds_bpermute_b32 v8, v9, v6
	v_cmp_eq_u32_e32 vcc, 0, v20
	v_lshlrev_b32_e32 v4, 2, v1
	s_and_saveexec_b64 s[0:1], vcc
	s_cbranch_execz .LBB292_77
; %bb.76:
	s_waitcnt lgkmcnt(0)
	v_max_f32_e32 v8, v8, v8
	v_max_f32_e32 v6, v6, v6
	;; [unrolled: 1-line block ×3, first 2 shown]
	ds_write_b32 v4, v6 offset:224
.LBB292_77:
	s_or_b64 exec, exec, s[0:1]
	v_cmp_gt_u32_e64 s[0:1], 2, v20
	v_mov_b32_e32 v12, 0xff7fffff
	v_lshlrev_b32_e32 v6, 2, v20
	s_waitcnt lgkmcnt(0)
	s_barrier
	s_and_saveexec_b64 s[8:9], s[0:1]
	s_cbranch_execz .LBB292_79
; %bb.78:
	ds_read_b32 v12, v6 offset:224
.LBB292_79:
	s_or_b64 exec, exec, s[8:9]
	v_xor_b32_e32 v8, 1, v2
	v_cmp_lt_i32_e64 s[8:9], v8, v3
	v_lshlrev_b32_e32 v14, 2, v2
	s_nop 0
	v_cndmask_b32_e64 v8, v2, v8, s[8:9]
	v_lshlrev_b32_e32 v8, 2, v8
	s_waitcnt lgkmcnt(0)
	ds_bpermute_b32 v13, v8, v12
	v_max_f32_e32 v12, v12, v12
	s_lshl_b32 s8, s45, 3
	s_min_i32 s39, s8, s25
	v_cmp_gt_i32_e64 s[8:9], s39, v0
	s_waitcnt lgkmcnt(0)
	v_max_f32_e32 v13, v13, v13
	v_max_f32_e32 v13, v12, v13
	v_and_b32_e32 v12, 0x100, v14
	ds_bpermute_b32 v14, v12, v13
	v_mov_b32_e32 v13, 0
	s_and_saveexec_b64 s[12:13], s[8:9]
	s_cbranch_execz .LBB292_83
; %bb.80:
	v_mov_b32_e32 v13, 0xf0
	v_lshl_add_u32 v15, v0, 2, v13
	s_mov_b64 s[18:19], 0
	v_mov_b32_e32 v13, 0
	v_mov_b32_e32 v16, v0
.LBB292_81:                             ; =>This Inner Loop Header: Depth=1
	ds_read_b32 v17, v15
	v_add_u32_e32 v16, 0x80, v16
	v_cmp_le_i32_e64 s[10:11], s39, v16
	s_or_b64 s[18:19], s[10:11], s[18:19]
	s_waitcnt lgkmcnt(0)
	v_sub_f32_e32 v17, v17, v14
	v_mul_f32_e32 v17, 0x3fb8aa3b, v17
	v_exp_f32_e32 v17, v17
	ds_write_b32 v15, v17
	v_add_f32_e32 v13, v13, v17
	v_add_u32_e32 v15, 0x200, v15
	s_andn2_b64 exec, exec, s[18:19]
	s_cbranch_execnz .LBB292_81
; %bb.82:
	s_or_b64 exec, exec, s[18:19]
.LBB292_83:
	s_or_b64 exec, exec, s[12:13]
	ds_bpermute_b32 v5, v5, v13
	s_waitcnt lgkmcnt(0)
	v_add_f32_e32 v5, v13, v5
	ds_bpermute_b32 v7, v7, v5
	s_waitcnt lgkmcnt(0)
	v_add_f32_e32 v5, v5, v7
	ds_bpermute_b32 v7, v9, v5
	v_xor_b32_e32 v9, 4, v2
	v_cmp_lt_i32_e64 s[10:11], v9, v3
	s_waitcnt lgkmcnt(0)
	v_add_f32_e32 v5, v5, v7
	v_cndmask_b32_e64 v9, v2, v9, s[10:11]
	v_lshlrev_b32_e32 v9, 2, v9
	ds_bpermute_b32 v7, v9, v5
	v_xor_b32_e32 v9, 2, v2
	v_cmp_lt_i32_e64 s[10:11], v9, v3
	s_waitcnt lgkmcnt(0)
	v_add_f32_e32 v3, v5, v7
	v_cndmask_b32_e64 v2, v2, v9, s[10:11]
	v_lshlrev_b32_e32 v2, 2, v2
	ds_bpermute_b32 v2, v2, v3
	s_waitcnt lgkmcnt(0)
	v_add_f32_e32 v2, v3, v2
	ds_bpermute_b32 v3, v8, v2
	s_waitcnt lgkmcnt(0)
	v_add_f32_e32 v2, v2, v3
	s_and_saveexec_b64 s[10:11], vcc
	s_cbranch_execz .LBB292_85
; %bb.84:
	ds_write_b32 v4, v2 offset:232
.LBB292_85:
	s_or_b64 exec, exec, s[10:11]
	s_waitcnt lgkmcnt(0)
	s_barrier
	s_and_saveexec_b64 s[10:11], s[0:1]
	s_cbranch_execz .LBB292_87
; %bb.86:
	ds_read_b32 v2, v6 offset:232
.LBB292_87:
	s_or_b64 exec, exec, s[10:11]
	s_waitcnt lgkmcnt(0)
	ds_bpermute_b32 v3, v8, v2
	s_waitcnt lgkmcnt(0)
	v_add_f32_e32 v2, v2, v3
	ds_bpermute_b32 v2, v12, v2
	s_and_saveexec_b64 s[0:1], s[8:9]
	s_cbranch_execz .LBB292_100
; %bb.88:
	s_waitcnt lgkmcnt(0)
	v_add_f32_e32 v2, 0x358637bd, v2
	v_div_scale_f32 v3, s[8:9], v2, v2, 1.0
	v_rcp_f32_e32 v4, v3
	v_div_scale_f32 v5, vcc, 1.0, v2, 1.0
	s_movk_i32 s8, 0x7f
	v_fma_f32 v6, -v3, v4, 1.0
	v_fmac_f32_e32 v4, v6, v4
	v_mul_f32_e32 v6, v5, v4
	v_fma_f32 v7, -v3, v6, v5
	v_fmac_f32_e32 v6, v7, v4
	v_fma_f32 v3, -v3, v6, v5
	v_div_fmas_f32 v3, v3, v4, v6
	v_xad_u32 v4, v0, -1, s39
	v_div_fixup_f32 v2, v3, v2, 1.0
	v_cmp_lt_u32_e32 vcc, s8, v4
	s_mov_b64 s[10:11], -1
	v_mov_b32_e32 v3, v0
	s_and_saveexec_b64 s[8:9], vcc
	s_cbranch_execz .LBB292_97
; %bb.89:
	v_lshrrev_b32_e32 v4, 7, v4
	v_add_u32_e32 v6, -1, v4
	v_lshrrev_b32_e32 v5, 1, v6
	v_mov_b32_e32 v3, v2
	v_add_u32_e32 v5, 1, v5
	v_cmp_lt_u32_e32 vcc, 13, v6
	v_mov_b32_e32 v8, 0
	s_and_saveexec_b64 s[10:11], vcc
	s_cbranch_execz .LBB292_93
; %bb.90:
	v_mov_b32_e32 v7, 0xf0
	v_and_b32_e32 v6, -8, v5
	v_lshl_add_u32 v7, v0, 2, v7
	s_mov_b32 s18, 0
	s_mov_b64 s[12:13], 0
.LBB292_91:                             ; =>This Inner Loop Header: Depth=1
	ds_read2st64_b32 v[8:9], v7 offset1:2
	ds_read2st64_b32 v[12:13], v7 offset0:4 offset1:6
	ds_read2st64_b32 v[14:15], v7 offset0:8 offset1:10
	;; [unrolled: 1-line block ×3, first 2 shown]
	v_add_u32_e32 v6, -8, v6
	s_waitcnt lgkmcnt(3)
	v_pk_mul_f32 v[8:9], v[2:3], v[8:9]
	s_waitcnt lgkmcnt(2)
	v_pk_mul_f32 v[12:13], v[2:3], v[12:13]
	ds_write2st64_b32 v7, v8, v9 offset1:2
	ds_write2st64_b32 v7, v12, v13 offset0:4 offset1:6
	ds_read2st64_b32 v[12:13], v7 offset0:16 offset1:18
	s_waitcnt lgkmcnt(4)
	v_pk_mul_f32 v[8:9], v[2:3], v[14:15]
	ds_write2st64_b32 v7, v8, v9 offset0:8 offset1:10
	s_waitcnt lgkmcnt(4)
	v_pk_mul_f32 v[8:9], v[2:3], v[16:17]
	ds_write2st64_b32 v7, v8, v9 offset0:12 offset1:14
	ds_read2st64_b32 v[8:9], v7 offset0:20 offset1:22
	s_waitcnt lgkmcnt(3)
	v_pk_mul_f32 v[12:13], v[2:3], v[12:13]
	ds_read2st64_b32 v[14:15], v7 offset0:24 offset1:26
	ds_write2st64_b32 v7, v12, v13 offset0:16 offset1:18
	ds_read2st64_b32 v[12:13], v7 offset0:28 offset1:30
	s_waitcnt lgkmcnt(3)
	v_pk_mul_f32 v[8:9], v[2:3], v[8:9]
	ds_write2st64_b32 v7, v8, v9 offset0:20 offset1:22
	s_waitcnt lgkmcnt(3)
	v_pk_mul_f32 v[8:9], v[2:3], v[14:15]
	ds_write2st64_b32 v7, v8, v9 offset0:24 offset1:26
	s_waitcnt lgkmcnt(2)
	v_pk_mul_f32 v[8:9], v[2:3], v[12:13]
	s_add_i32 s18, s18, 16
	v_cmp_eq_u32_e32 vcc, 0, v6
	ds_write2st64_b32 v7, v8, v9 offset0:28 offset1:30
	v_add_u32_e32 v7, 0x2000, v7
	s_or_b64 s[12:13], vcc, s[12:13]
	v_mov_b32_e32 v8, s18
	s_andn2_b64 exec, exec, s[12:13]
	s_cbranch_execnz .LBB292_91
; %bb.92:
	s_or_b64 exec, exec, s[12:13]
.LBB292_93:
	s_or_b64 exec, exec, s[10:11]
	v_and_b32_e32 v5, 7, v5
	v_cmp_ne_u32_e32 vcc, 0, v5
	s_and_saveexec_b64 s[10:11], vcc
	s_cbranch_execz .LBB292_96
; %bb.94:
	v_lshlrev_b32_e32 v6, 9, v8
	v_lshlrev_b32_e32 v7, 2, v0
	s_movk_i32 s12, 0xf0
	v_add3_u32 v6, v6, v7, s12
	s_mov_b64 s[12:13], 0
.LBB292_95:                             ; =>This Inner Loop Header: Depth=1
	ds_read2st64_b32 v[8:9], v6 offset1:2
	v_add_u32_e32 v5, -1, v5
	v_cmp_eq_u32_e32 vcc, 0, v5
	s_or_b64 s[12:13], vcc, s[12:13]
	s_waitcnt lgkmcnt(0)
	v_pk_mul_f32 v[8:9], v[2:3], v[8:9]
	ds_write2st64_b32 v6, v8, v9 offset1:2
	v_add_u32_e32 v6, 0x400, v6
	s_andn2_b64 exec, exec, s[12:13]
	s_cbranch_execnz .LBB292_95
.LBB292_96:
	s_or_b64 exec, exec, s[10:11]
	v_add_u32_e32 v4, 1, v4
	v_and_b32_e32 v5, 0x3fffffe, v4
	v_cmp_ne_u32_e32 vcc, v4, v5
	v_lshl_add_u32 v3, v5, 7, v0
	s_orn2_b64 s[10:11], vcc, exec
.LBB292_97:
	s_or_b64 exec, exec, s[8:9]
	s_and_b64 exec, exec, s[10:11]
	s_cbranch_execz .LBB292_100
; %bb.98:
	v_mov_b32_e32 v4, 0xf0
	v_lshl_add_u32 v4, v3, 2, v4
	s_mov_b64 s[8:9], 0
.LBB292_99:                             ; =>This Inner Loop Header: Depth=1
	ds_read_b32 v5, v4
	v_add_u32_e32 v3, 0x80, v3
	v_cmp_le_i32_e32 vcc, s39, v3
	s_or_b64 s[8:9], vcc, s[8:9]
	s_waitcnt lgkmcnt(0)
	v_mul_f32_e32 v5, v2, v5
	ds_write_b32 v4, v5
	v_add_u32_e32 v4, 0x200, v4
	s_andn2_b64 exec, exec, s[8:9]
	s_cbranch_execnz .LBB292_99
.LBB292_100:
	s_or_b64 exec, exec, s[0:1]
	v_mov_b32_e32 v13, 0
	v_mov_b32_e32 v12, v13
	s_waitcnt lgkmcnt(0)
	s_barrier
	s_and_saveexec_b64 s[8:9], s[2:3]
	s_cbranch_execz .LBB292_272
; %bb.101:
	s_sub_i32 s39, s16, s21
	s_ashr_i32 s0, s20, 31
	s_add_u32 s10, s36, s20
	s_addc_u32 s11, s37, s0
	s_abs_i32 s22, s22
	v_cvt_f32_u32_e32 v2, s22
	v_or_b32_e32 v3, 64, v20
	s_movk_i32 s0, 0x70
	v_cmp_gt_u32_e32 vcc, s0, v3
	v_rcp_iflag_f32_e32 v2, v2
	s_sub_i32 s0, 0, s22
	s_add_i32 s36, s45, -1
	v_lshlrev_b32_e32 v16, 3, v3
	v_mul_f32_e32 v2, 0x4f7ffffe, v2
	v_cvt_u32_f32_e32 v2, v2
	v_mov_b32_e32 v15, 0
	s_mov_b32 s40, s17
	v_lshlrev_b32_e32 v14, 3, v20
	v_mul_lo_u32 v3, s0, v2
	s_lshl_b64 s[0:1], s[34:35], 2
	v_mul_hi_u32 v3, v2, v3
	s_add_u32 s0, s30, s0
	v_add_u32_e32 v21, v2, v3
	v_and_b32_e32 v2, 60, v18
	v_mov_b32_e32 v3, v15
	s_addc_u32 s1, s31, s1
	v_lshl_add_u64 v[18:19], s[0:1], 0, v[2:3]
	v_mov_b32_e32 v2, 0xf0
	v_mov_b32_e32 v17, v15
	v_lshl_add_u32 v22, v1, 5, v2
	s_mov_b64 s[12:13], 0
	s_mov_b32 s30, 0x7f800000
	s_movk_i32 s31, 0x7fff
	v_mov_b32_e32 v12, v15
	v_mov_b32_e32 v13, v15
	s_branch .LBB292_105
.LBB292_102:                            ;   in Loop: Header=BB292_105 Depth=1
	s_or_b64 exec, exec, s[2:3]
	v_and_b32_e32 v27, 0xffff0000, v5
	v_and_b32_e32 v26, 0xffff0000, v9
	;; [unrolled: 1-line block ×6, first 2 shown]
	v_pk_add_f32 v[4:5], v[4:5], v[8:9]
	v_and_b32_e32 v25, 0xffff0000, v24
	v_and_b32_e32 v24, 0xffff0000, v23
	v_mov_b32_e32 v6, v5
	v_pk_add_f32 v[4:5], v[4:5], v[6:7]
	v_pk_add_f32 v[6:7], v[26:27], v[24:25]
	s_nop 0
	v_pk_add_f32 v[4:5], v[4:5], v[6:7]
	v_mov_b32_e32 v6, v7
	v_pk_add_f32 v[4:5], v[4:5], v[6:7]
	s_nop 0
	v_mov_b32_e32 v3, v4
	v_pk_add_f32 v[12:13], v[12:13], v[2:3]
.LBB292_103:                            ;   in Loop: Header=BB292_105 Depth=1
	s_or_b64 exec, exec, s[18:19]
	v_mov_b32_e32 v12, v2
.LBB292_104:                            ;   in Loop: Header=BB292_105 Depth=1
	s_or_b64 exec, exec, s[16:17]
	v_add_u32_e32 v1, 2, v1
	v_cmp_le_i32_e64 s[0:1], s45, v1
	v_lshl_add_u64 v[18:19], v[18:19], 0, 8
	v_add_u32_e32 v11, 16, v11
	s_or_b64 s[12:13], s[0:1], s[12:13]
	v_add_u32_e32 v22, 64, v22
	s_andn2_b64 exec, exec, s[12:13]
	s_cbranch_execz .LBB292_271
.LBB292_105:                            ; =>This Inner Loop Header: Depth=1
	v_mul_hi_u32 v2, v11, s33
	v_mul_lo_u32 v3, v2, s27
	v_sub_u32_e32 v3, v11, v3
	v_add_u32_e32 v4, 1, v2
	v_cmp_le_u32_e64 s[0:1], s27, v3
	s_nop 1
	v_cndmask_b32_e64 v2, v2, v4, s[0:1]
	v_subrev_u32_e32 v4, s27, v3
	v_cndmask_b32_e64 v3, v3, v4, s[0:1]
	v_add_u32_e32 v4, 1, v2
	v_cmp_le_u32_e64 s[0:1], s27, v3
	s_nop 1
	v_cndmask_b32_e64 v2, v2, v4, s[0:1]
	v_xor_b32_e32 v2, s44, v2
	v_subrev_u32_e32 v2, s44, v2
	v_add_u32_e32 v3, s38, v2
	v_sub_u32_e32 v5, 0, v3
	v_ashrrev_i32_e32 v4, 31, v3
	v_max_i32_e32 v3, v3, v5
	v_mul_hi_u32 v5, v3, v21
	v_mul_lo_u32 v5, v5, s22
	v_sub_u32_e32 v3, v3, v5
	v_subrev_u32_e32 v5, s22, v3
	v_cmp_le_u32_e64 s[0:1], s22, v3
	v_cmp_lt_i32_e64 s[2:3], s39, v2
	s_nop 0
	v_cndmask_b32_e64 v3, v3, v5, s[0:1]
	v_subrev_u32_e32 v5, s22, v3
	v_cmp_le_u32_e64 s[0:1], s22, v3
	s_nop 1
	v_cndmask_b32_e64 v3, v3, v5, s[0:1]
	v_xor_b32_e32 v3, v3, v4
	v_sub_u32_e32 v3, v3, v4
	v_cmp_eq_u32_e64 s[0:1], 0, v3
	s_or_b64 s[0:1], s[0:1], s[2:3]
	s_and_saveexec_b64 s[16:17], s[0:1]
	s_cbranch_execz .LBB292_104
; %bb.106:                              ;   in Loop: Header=BB292_105 Depth=1
	global_load_dword v31, v[18:19], off
	ds_read2_b64 v[6:9], v22 offset1:1
	ds_read2_b64 v[2:5], v22 offset0:2 offset1:3
                                        ; implicit-def: $vgpr30
	s_waitcnt lgkmcnt(1)
	v_and_b32_e32 v23, 0x7f800000, v6
	v_cmp_ne_u32_e64 s[0:1], s30, v23
	s_and_saveexec_b64 s[2:3], s[0:1]
	s_xor_b64 s[0:1], exec, s[2:3]
; %bb.107:                              ;   in Loop: Header=BB292_105 Depth=1
	v_bfe_u32 v23, v6, 16, 1
	v_add3_u32 v30, v6, v23, s31
; %bb.108:                              ;   in Loop: Header=BB292_105 Depth=1
	s_andn2_saveexec_b64 s[2:3], s[0:1]
; %bb.109:                              ;   in Loop: Header=BB292_105 Depth=1
	v_or_b32_e32 v23, 0x10000, v6
	v_cmp_eq_u32_sdwa s[0:1], v6, v15 src0_sel:WORD_0 src1_sel:DWORD
	s_nop 1
	v_cndmask_b32_e64 v30, v23, v6, s[0:1]
; %bb.110:                              ;   in Loop: Header=BB292_105 Depth=1
	s_or_b64 exec, exec, s[2:3]
	v_and_b32_e32 v6, 0x7f800000, v7
	v_cmp_ne_u32_e64 s[0:1], s30, v6
                                        ; implicit-def: $vgpr29
	s_and_saveexec_b64 s[2:3], s[0:1]
	s_xor_b64 s[0:1], exec, s[2:3]
; %bb.111:                              ;   in Loop: Header=BB292_105 Depth=1
	v_bfe_u32 v6, v7, 16, 1
	v_add3_u32 v29, v7, v6, s31
; %bb.112:                              ;   in Loop: Header=BB292_105 Depth=1
	s_andn2_saveexec_b64 s[2:3], s[0:1]
; %bb.113:                              ;   in Loop: Header=BB292_105 Depth=1
	v_or_b32_e32 v6, 0x10000, v7
	v_cmp_eq_u32_sdwa s[0:1], v7, v15 src0_sel:WORD_0 src1_sel:DWORD
	s_nop 1
	v_cndmask_b32_e64 v29, v6, v7, s[0:1]
; %bb.114:                              ;   in Loop: Header=BB292_105 Depth=1
	s_or_b64 exec, exec, s[2:3]
	v_and_b32_e32 v6, 0x7f800000, v8
	v_cmp_ne_u32_e64 s[0:1], s30, v6
                                        ; implicit-def: $vgpr28
	s_and_saveexec_b64 s[2:3], s[0:1]
	s_xor_b64 s[0:1], exec, s[2:3]
; %bb.115:                              ;   in Loop: Header=BB292_105 Depth=1
	v_bfe_u32 v6, v8, 16, 1
	v_add3_u32 v28, v8, v6, s31
; %bb.116:                              ;   in Loop: Header=BB292_105 Depth=1
	s_andn2_saveexec_b64 s[2:3], s[0:1]
; %bb.117:                              ;   in Loop: Header=BB292_105 Depth=1
	v_or_b32_e32 v6, 0x10000, v8
	v_cmp_eq_u32_sdwa s[0:1], v8, v15 src0_sel:WORD_0 src1_sel:DWORD
	s_nop 1
	v_cndmask_b32_e64 v28, v6, v8, s[0:1]
; %bb.118:                              ;   in Loop: Header=BB292_105 Depth=1
	s_or_b64 exec, exec, s[2:3]
	v_and_b32_e32 v6, 0x7f800000, v9
	v_cmp_ne_u32_e64 s[0:1], s30, v6
                                        ; implicit-def: $vgpr27
	s_and_saveexec_b64 s[2:3], s[0:1]
	s_xor_b64 s[0:1], exec, s[2:3]
; %bb.119:                              ;   in Loop: Header=BB292_105 Depth=1
	v_bfe_u32 v6, v9, 16, 1
	v_add3_u32 v27, v9, v6, s31
                                        ; implicit-def: $vgpr6_vgpr7_vgpr8_vgpr9
; %bb.120:                              ;   in Loop: Header=BB292_105 Depth=1
	s_andn2_saveexec_b64 s[2:3], s[0:1]
; %bb.121:                              ;   in Loop: Header=BB292_105 Depth=1
	v_or_b32_e32 v6, 0x10000, v9
	v_cmp_eq_u32_sdwa s[0:1], v9, v15 src0_sel:WORD_0 src1_sel:DWORD
	s_nop 1
	v_cndmask_b32_e64 v27, v6, v9, s[0:1]
; %bb.122:                              ;   in Loop: Header=BB292_105 Depth=1
	s_or_b64 exec, exec, s[2:3]
	s_waitcnt lgkmcnt(0)
	v_and_b32_e32 v6, 0x7f800000, v2
	v_cmp_ne_u32_e64 s[0:1], s30, v6
                                        ; implicit-def: $vgpr23
	s_and_saveexec_b64 s[2:3], s[0:1]
	s_xor_b64 s[0:1], exec, s[2:3]
; %bb.123:                              ;   in Loop: Header=BB292_105 Depth=1
	v_bfe_u32 v6, v2, 16, 1
	v_add3_u32 v23, v2, v6, s31
; %bb.124:                              ;   in Loop: Header=BB292_105 Depth=1
	s_andn2_saveexec_b64 s[2:3], s[0:1]
; %bb.125:                              ;   in Loop: Header=BB292_105 Depth=1
	v_or_b32_e32 v6, 0x10000, v2
	v_cmp_eq_u32_sdwa s[0:1], v2, v15 src0_sel:WORD_0 src1_sel:DWORD
	s_nop 1
	v_cndmask_b32_e64 v23, v6, v2, s[0:1]
; %bb.126:                              ;   in Loop: Header=BB292_105 Depth=1
	s_or_b64 exec, exec, s[2:3]
	v_and_b32_e32 v2, 0x7f800000, v3
	v_cmp_ne_u32_e64 s[0:1], s30, v2
                                        ; implicit-def: $vgpr24
	s_and_saveexec_b64 s[2:3], s[0:1]
	s_xor_b64 s[0:1], exec, s[2:3]
; %bb.127:                              ;   in Loop: Header=BB292_105 Depth=1
	v_bfe_u32 v2, v3, 16, 1
	v_add3_u32 v24, v3, v2, s31
; %bb.128:                              ;   in Loop: Header=BB292_105 Depth=1
	s_andn2_saveexec_b64 s[2:3], s[0:1]
; %bb.129:                              ;   in Loop: Header=BB292_105 Depth=1
	v_or_b32_e32 v2, 0x10000, v3
	v_cmp_eq_u32_sdwa s[0:1], v3, v15 src0_sel:WORD_0 src1_sel:DWORD
	s_nop 1
	v_cndmask_b32_e64 v24, v2, v3, s[0:1]
; %bb.130:                              ;   in Loop: Header=BB292_105 Depth=1
	s_or_b64 exec, exec, s[2:3]
	v_and_b32_e32 v2, 0x7f800000, v4
	v_cmp_ne_u32_e64 s[0:1], s30, v2
                                        ; implicit-def: $vgpr25
	s_and_saveexec_b64 s[2:3], s[0:1]
	s_xor_b64 s[0:1], exec, s[2:3]
; %bb.131:                              ;   in Loop: Header=BB292_105 Depth=1
	v_bfe_u32 v2, v4, 16, 1
	v_add3_u32 v25, v4, v2, s31
; %bb.132:                              ;   in Loop: Header=BB292_105 Depth=1
	s_andn2_saveexec_b64 s[2:3], s[0:1]
; %bb.133:                              ;   in Loop: Header=BB292_105 Depth=1
	v_or_b32_e32 v2, 0x10000, v4
	v_cmp_eq_u32_sdwa s[0:1], v4, v15 src0_sel:WORD_0 src1_sel:DWORD
	s_nop 1
	v_cndmask_b32_e64 v25, v2, v4, s[0:1]
; %bb.134:                              ;   in Loop: Header=BB292_105 Depth=1
	s_or_b64 exec, exec, s[2:3]
	v_and_b32_e32 v2, 0x7f800000, v5
	v_cmp_ne_u32_e64 s[0:1], s30, v2
                                        ; implicit-def: $vgpr26
	s_and_saveexec_b64 s[2:3], s[0:1]
	s_xor_b64 s[0:1], exec, s[2:3]
; %bb.135:                              ;   in Loop: Header=BB292_105 Depth=1
	v_bfe_u32 v2, v5, 16, 1
	v_add3_u32 v26, v5, v2, s31
                                        ; implicit-def: $vgpr2_vgpr3_vgpr4_vgpr5
; %bb.136:                              ;   in Loop: Header=BB292_105 Depth=1
	s_andn2_saveexec_b64 s[2:3], s[0:1]
; %bb.137:                              ;   in Loop: Header=BB292_105 Depth=1
	v_or_b32_e32 v2, 0x10000, v5
	v_cmp_eq_u32_sdwa s[0:1], v5, v15 src0_sel:WORD_0 src1_sel:DWORD
	s_nop 1
	v_cndmask_b32_e64 v26, v2, v5, s[0:1]
; %bb.138:                              ;   in Loop: Header=BB292_105 Depth=1
	s_or_b64 exec, exec, s[2:3]
	v_mov_b64_e32 v[2:3], s[10:11]
	s_waitcnt vmcnt(0)
	v_mad_i64_i32 v[4:5], s[0:1], v31, s40, v[2:3]
	v_lshl_add_u64 v[2:3], v[4:5], 0, v[14:15]
	global_load_dwordx2 v[2:3], v[2:3], off
	s_load_dword s34, s[14:15], 0x0
	s_waitcnt vmcnt(0)
	v_and_b32_e32 v6, 0xff, v2
	v_cvt_f32_fp8_sdwa v6, v6 src0_sel:BYTE_0
	s_waitcnt lgkmcnt(0)
	v_mul_f32_e32 v7, s34, v6
	v_and_b32_e32 v6, 0x7f800000, v7
	v_cmp_ne_u32_e64 s[0:1], s30, v6
                                        ; implicit-def: $vgpr6
	s_and_saveexec_b64 s[2:3], s[0:1]
	s_xor_b64 s[0:1], exec, s[2:3]
; %bb.139:                              ;   in Loop: Header=BB292_105 Depth=1
	v_bfe_u32 v6, v7, 16, 1
	v_add3_u32 v6, v7, v6, s31
                                        ; implicit-def: $vgpr7
; %bb.140:                              ;   in Loop: Header=BB292_105 Depth=1
	s_andn2_saveexec_b64 s[2:3], s[0:1]
; %bb.141:                              ;   in Loop: Header=BB292_105 Depth=1
	v_or_b32_e32 v6, 0x10000, v7
	v_cmp_eq_u32_sdwa s[0:1], v7, v15 src0_sel:WORD_0 src1_sel:DWORD
	s_nop 1
	v_cndmask_b32_e64 v6, v6, v7, s[0:1]
; %bb.142:                              ;   in Loop: Header=BB292_105 Depth=1
	s_or_b64 exec, exec, s[2:3]
	v_bfe_u32 v7, v2, 8, 8
	v_cvt_f32_fp8_sdwa v7, v7 src0_sel:BYTE_0
	s_nop 0
	v_mul_f32_e32 v8, s34, v7
	v_and_b32_e32 v7, 0x7f800000, v8
	v_cmp_ne_u32_e64 s[0:1], s30, v7
                                        ; implicit-def: $vgpr7
	s_and_saveexec_b64 s[2:3], s[0:1]
	s_xor_b64 s[0:1], exec, s[2:3]
; %bb.143:                              ;   in Loop: Header=BB292_105 Depth=1
	v_bfe_u32 v7, v8, 16, 1
	v_add3_u32 v7, v8, v7, s31
                                        ; implicit-def: $vgpr8
; %bb.144:                              ;   in Loop: Header=BB292_105 Depth=1
	s_andn2_saveexec_b64 s[2:3], s[0:1]
; %bb.145:                              ;   in Loop: Header=BB292_105 Depth=1
	v_or_b32_e32 v7, 0x10000, v8
	v_cmp_eq_u32_sdwa s[0:1], v8, v15 src0_sel:WORD_0 src1_sel:DWORD
	s_nop 1
	v_cndmask_b32_e64 v7, v7, v8, s[0:1]
; %bb.146:                              ;   in Loop: Header=BB292_105 Depth=1
	s_or_b64 exec, exec, s[2:3]
	v_bfe_u32 v8, v2, 16, 8
	v_cvt_f32_fp8_sdwa v8, v8 src0_sel:BYTE_0
	s_nop 0
	v_mul_f32_e32 v9, s34, v8
	v_and_b32_e32 v8, 0x7f800000, v9
	v_cmp_ne_u32_e64 s[0:1], s30, v8
                                        ; implicit-def: $vgpr8
	s_and_saveexec_b64 s[2:3], s[0:1]
	s_xor_b64 s[0:1], exec, s[2:3]
; %bb.147:                              ;   in Loop: Header=BB292_105 Depth=1
	v_bfe_u32 v8, v9, 16, 1
	v_add3_u32 v8, v9, v8, s31
                                        ; implicit-def: $vgpr9
; %bb.148:                              ;   in Loop: Header=BB292_105 Depth=1
	s_andn2_saveexec_b64 s[2:3], s[0:1]
; %bb.149:                              ;   in Loop: Header=BB292_105 Depth=1
	v_or_b32_e32 v8, 0x10000, v9
	v_cmp_eq_u32_sdwa s[0:1], v9, v15 src0_sel:WORD_0 src1_sel:DWORD
	s_nop 1
	v_cndmask_b32_e64 v8, v8, v9, s[0:1]
; %bb.150:                              ;   in Loop: Header=BB292_105 Depth=1
	s_or_b64 exec, exec, s[2:3]
	v_lshrrev_b32_e32 v2, 24, v2
	v_cvt_f32_fp8_sdwa v2, v2 src0_sel:BYTE_0
	s_nop 0
	v_mul_f32_e32 v9, s34, v2
	v_and_b32_e32 v2, 0x7f800000, v9
	v_cmp_ne_u32_e64 s[0:1], s30, v2
                                        ; implicit-def: $vgpr2
	s_and_saveexec_b64 s[2:3], s[0:1]
	s_xor_b64 s[0:1], exec, s[2:3]
; %bb.151:                              ;   in Loop: Header=BB292_105 Depth=1
	v_bfe_u32 v2, v9, 16, 1
	v_add3_u32 v2, v9, v2, s31
                                        ; implicit-def: $vgpr9
; %bb.152:                              ;   in Loop: Header=BB292_105 Depth=1
	s_andn2_saveexec_b64 s[2:3], s[0:1]
; %bb.153:                              ;   in Loop: Header=BB292_105 Depth=1
	v_or_b32_e32 v2, 0x10000, v9
	v_cmp_eq_u32_sdwa s[0:1], v9, v15 src0_sel:WORD_0 src1_sel:DWORD
	s_nop 1
	v_cndmask_b32_e64 v2, v2, v9, s[0:1]
; %bb.154:                              ;   in Loop: Header=BB292_105 Depth=1
	s_or_b64 exec, exec, s[2:3]
	v_and_b32_e32 v9, 0xff, v3
	v_cvt_f32_fp8_sdwa v9, v9 src0_sel:BYTE_0
	s_nop 0
	v_mul_f32_e32 v31, s34, v9
	v_and_b32_e32 v9, 0x7f800000, v31
	v_cmp_ne_u32_e64 s[0:1], s30, v9
                                        ; implicit-def: $vgpr9
	s_and_saveexec_b64 s[2:3], s[0:1]
	s_xor_b64 s[0:1], exec, s[2:3]
; %bb.155:                              ;   in Loop: Header=BB292_105 Depth=1
	v_bfe_u32 v9, v31, 16, 1
	v_add3_u32 v9, v31, v9, s31
                                        ; implicit-def: $vgpr31
; %bb.156:                              ;   in Loop: Header=BB292_105 Depth=1
	s_andn2_saveexec_b64 s[2:3], s[0:1]
; %bb.157:                              ;   in Loop: Header=BB292_105 Depth=1
	v_or_b32_e32 v9, 0x10000, v31
	v_cmp_eq_u32_sdwa s[0:1], v31, v15 src0_sel:WORD_0 src1_sel:DWORD
	s_nop 1
	v_cndmask_b32_e64 v9, v9, v31, s[0:1]
; %bb.158:                              ;   in Loop: Header=BB292_105 Depth=1
	s_or_b64 exec, exec, s[2:3]
	v_bfe_u32 v31, v3, 8, 8
	v_cvt_f32_fp8_sdwa v31, v31 src0_sel:BYTE_0
	s_nop 0
	v_mul_f32_e32 v32, s34, v31
	v_and_b32_e32 v31, 0x7f800000, v32
	v_cmp_ne_u32_e64 s[0:1], s30, v31
                                        ; implicit-def: $vgpr31
	s_and_saveexec_b64 s[2:3], s[0:1]
	s_xor_b64 s[0:1], exec, s[2:3]
; %bb.159:                              ;   in Loop: Header=BB292_105 Depth=1
	v_bfe_u32 v31, v32, 16, 1
	v_add3_u32 v31, v32, v31, s31
                                        ; implicit-def: $vgpr32
; %bb.160:                              ;   in Loop: Header=BB292_105 Depth=1
	s_andn2_saveexec_b64 s[2:3], s[0:1]
; %bb.161:                              ;   in Loop: Header=BB292_105 Depth=1
	v_or_b32_e32 v31, 0x10000, v32
	v_cmp_eq_u32_sdwa s[0:1], v32, v15 src0_sel:WORD_0 src1_sel:DWORD
	s_nop 1
	v_cndmask_b32_e64 v31, v31, v32, s[0:1]
; %bb.162:                              ;   in Loop: Header=BB292_105 Depth=1
	s_or_b64 exec, exec, s[2:3]
	v_bfe_u32 v32, v3, 16, 8
	v_cvt_f32_fp8_sdwa v32, v32 src0_sel:BYTE_0
                                        ; implicit-def: $vgpr35
	s_nop 0
	v_mul_f32_e32 v32, s34, v32
	v_and_b32_e32 v33, 0x7f800000, v32
	v_cmp_ne_u32_e64 s[0:1], s30, v33
	s_and_saveexec_b64 s[2:3], s[0:1]
	s_xor_b64 s[0:1], exec, s[2:3]
; %bb.163:                              ;   in Loop: Header=BB292_105 Depth=1
	v_bfe_u32 v33, v32, 16, 1
	v_add3_u32 v35, v32, v33, s31
                                        ; implicit-def: $vgpr32
; %bb.164:                              ;   in Loop: Header=BB292_105 Depth=1
	s_andn2_saveexec_b64 s[2:3], s[0:1]
; %bb.165:                              ;   in Loop: Header=BB292_105 Depth=1
	v_or_b32_e32 v33, 0x10000, v32
	v_cmp_eq_u32_sdwa s[0:1], v32, v15 src0_sel:WORD_0 src1_sel:DWORD
	s_nop 1
	v_cndmask_b32_e64 v35, v33, v32, s[0:1]
; %bb.166:                              ;   in Loop: Header=BB292_105 Depth=1
	s_or_b64 exec, exec, s[2:3]
	v_lshrrev_b32_e32 v3, 24, v3
	v_cvt_f32_fp8_sdwa v3, v3 src0_sel:BYTE_0
                                        ; implicit-def: $vgpr36
	s_nop 0
	v_mul_f32_e32 v3, s34, v3
	v_and_b32_e32 v32, 0x7f800000, v3
	v_cmp_ne_u32_e64 s[0:1], s30, v32
	s_and_saveexec_b64 s[2:3], s[0:1]
	s_xor_b64 s[0:1], exec, s[2:3]
; %bb.167:                              ;   in Loop: Header=BB292_105 Depth=1
	v_bfe_u32 v32, v3, 16, 1
	v_add3_u32 v36, v3, v32, s31
                                        ; implicit-def: $vgpr3
; %bb.168:                              ;   in Loop: Header=BB292_105 Depth=1
	s_andn2_saveexec_b64 s[2:3], s[0:1]
; %bb.169:                              ;   in Loop: Header=BB292_105 Depth=1
	v_or_b32_e32 v32, 0x10000, v3
	v_cmp_eq_u32_sdwa s[0:1], v3, v15 src0_sel:WORD_0 src1_sel:DWORD
	s_nop 1
	v_cndmask_b32_e64 v36, v32, v3, s[0:1]
; %bb.170:                              ;   in Loop: Header=BB292_105 Depth=1
	s_or_b64 exec, exec, s[2:3]
	v_cmp_eq_u32_e64 s[2:3], s36, v1
	v_lshrrev_b32_e32 v32, 16, v31
	v_lshrrev_b32_e32 v33, 16, v9
	;; [unrolled: 1-line block ×8, first 2 shown]
	s_and_saveexec_b64 s[18:19], s[2:3]
	s_cbranch_execz .LBB292_172
; %bb.171:                              ;   in Loop: Header=BB292_105 Depth=1
	v_cmp_gt_i32_e64 s[0:1], s25, v11
	v_add_u32_e32 v6, 1, v11
	s_nop 0
	v_cndmask_b32_e64 v3, 0, v3, s[0:1]
	v_cmp_gt_i32_e64 s[0:1], s25, v6
	v_add_u32_e32 v6, 2, v11
	s_nop 0
	v_cndmask_b32_e64 v8, 0, v8, s[0:1]
	;; [unrolled: 4-line block ×7, first 2 shown]
	v_cmp_gt_i32_e64 s[0:1], s25, v6
	s_nop 1
	v_cndmask_b32_e64 v2, 0, v2, s[0:1]
.LBB292_172:                            ;   in Loop: Header=BB292_105 Depth=1
	s_or_b64 exec, exec, s[18:19]
	v_and_b32_e32 v6, 0xffff0000, v30
	v_lshlrev_b32_e32 v3, 16, v3
	v_mul_f32_e32 v7, v6, v3
	v_and_b32_e32 v3, 0x7f800000, v7
	v_cmp_ne_u32_e64 s[0:1], s30, v3
                                        ; implicit-def: $vgpr3
	s_and_saveexec_b64 s[18:19], s[0:1]
	s_xor_b64 s[0:1], exec, s[18:19]
; %bb.173:                              ;   in Loop: Header=BB292_105 Depth=1
	v_bfe_u32 v3, v7, 16, 1
	v_add3_u32 v3, v7, v3, s31
                                        ; implicit-def: $vgpr7
; %bb.174:                              ;   in Loop: Header=BB292_105 Depth=1
	s_andn2_saveexec_b64 s[18:19], s[0:1]
; %bb.175:                              ;   in Loop: Header=BB292_105 Depth=1
	v_or_b32_e32 v3, 0x10000, v7
	v_cmp_eq_u32_sdwa s[0:1], v7, v15 src0_sel:WORD_0 src1_sel:DWORD
	s_nop 1
	v_cndmask_b32_e64 v3, v3, v7, s[0:1]
; %bb.176:                              ;   in Loop: Header=BB292_105 Depth=1
	s_or_b64 exec, exec, s[18:19]
	v_and_b32_e32 v7, 0xffff0000, v29
	v_lshlrev_b32_e32 v8, 16, v8
	v_mul_f32_e32 v8, v7, v8
	v_and_b32_e32 v29, 0x7f800000, v8
	v_cmp_ne_u32_e64 s[0:1], s30, v29
                                        ; implicit-def: $vgpr29
	s_and_saveexec_b64 s[18:19], s[0:1]
	s_xor_b64 s[0:1], exec, s[18:19]
; %bb.177:                              ;   in Loop: Header=BB292_105 Depth=1
	v_bfe_u32 v29, v8, 16, 1
	v_add3_u32 v29, v8, v29, s31
                                        ; implicit-def: $vgpr8
; %bb.178:                              ;   in Loop: Header=BB292_105 Depth=1
	s_andn2_saveexec_b64 s[18:19], s[0:1]
; %bb.179:                              ;   in Loop: Header=BB292_105 Depth=1
	v_or_b32_e32 v29, 0x10000, v8
	v_cmp_eq_u32_sdwa s[0:1], v8, v15 src0_sel:WORD_0 src1_sel:DWORD
	s_nop 1
	v_cndmask_b32_e64 v29, v29, v8, s[0:1]
; %bb.180:                              ;   in Loop: Header=BB292_105 Depth=1
	s_or_b64 exec, exec, s[18:19]
	v_and_b32_e32 v8, 0xffff0000, v28
	v_lshlrev_b32_e32 v9, 16, v9
	v_mul_f32_e32 v9, v8, v9
	v_and_b32_e32 v28, 0x7f800000, v9
	v_cmp_ne_u32_e64 s[0:1], s30, v28
                                        ; implicit-def: $vgpr28
	s_and_saveexec_b64 s[18:19], s[0:1]
	s_xor_b64 s[0:1], exec, s[18:19]
; %bb.181:                              ;   in Loop: Header=BB292_105 Depth=1
	v_bfe_u32 v28, v9, 16, 1
	v_add3_u32 v28, v9, v28, s31
                                        ; implicit-def: $vgpr9
; %bb.182:                              ;   in Loop: Header=BB292_105 Depth=1
	s_andn2_saveexec_b64 s[18:19], s[0:1]
; %bb.183:                              ;   in Loop: Header=BB292_105 Depth=1
	v_or_b32_e32 v28, 0x10000, v9
	v_cmp_eq_u32_sdwa s[0:1], v9, v15 src0_sel:WORD_0 src1_sel:DWORD
	s_nop 1
	v_cndmask_b32_e64 v28, v28, v9, s[0:1]
; %bb.184:                              ;   in Loop: Header=BB292_105 Depth=1
	s_or_b64 exec, exec, s[18:19]
	v_and_b32_e32 v9, 0xffff0000, v27
	v_lshlrev_b32_e32 v27, 16, v34
	v_mul_f32_e32 v30, v9, v27
	v_and_b32_e32 v27, 0x7f800000, v30
	v_cmp_ne_u32_e64 s[0:1], s30, v27
                                        ; implicit-def: $vgpr27
	s_and_saveexec_b64 s[18:19], s[0:1]
	s_xor_b64 s[0:1], exec, s[18:19]
; %bb.185:                              ;   in Loop: Header=BB292_105 Depth=1
	v_bfe_u32 v27, v30, 16, 1
	v_add3_u32 v27, v30, v27, s31
                                        ; implicit-def: $vgpr30
; %bb.186:                              ;   in Loop: Header=BB292_105 Depth=1
	s_andn2_saveexec_b64 s[18:19], s[0:1]
; %bb.187:                              ;   in Loop: Header=BB292_105 Depth=1
	v_or_b32_e32 v27, 0x10000, v30
	v_cmp_eq_u32_sdwa s[0:1], v30, v15 src0_sel:WORD_0 src1_sel:DWORD
	s_nop 1
	v_cndmask_b32_e64 v27, v27, v30, s[0:1]
; %bb.188:                              ;   in Loop: Header=BB292_105 Depth=1
	s_or_b64 exec, exec, s[18:19]
	v_and_b32_e32 v23, 0xffff0000, v23
	v_lshlrev_b32_e32 v30, 16, v33
	v_mul_f32_e32 v33, v23, v30
	v_and_b32_e32 v30, 0x7f800000, v33
	v_cmp_ne_u32_e64 s[0:1], s30, v30
                                        ; implicit-def: $vgpr30
	s_and_saveexec_b64 s[18:19], s[0:1]
	s_xor_b64 s[0:1], exec, s[18:19]
; %bb.189:                              ;   in Loop: Header=BB292_105 Depth=1
	v_bfe_u32 v30, v33, 16, 1
	v_add3_u32 v30, v33, v30, s31
                                        ; implicit-def: $vgpr33
; %bb.190:                              ;   in Loop: Header=BB292_105 Depth=1
	s_andn2_saveexec_b64 s[18:19], s[0:1]
; %bb.191:                              ;   in Loop: Header=BB292_105 Depth=1
	v_or_b32_e32 v30, 0x10000, v33
	v_cmp_eq_u32_sdwa s[0:1], v33, v15 src0_sel:WORD_0 src1_sel:DWORD
	s_nop 1
	v_cndmask_b32_e64 v30, v30, v33, s[0:1]
; %bb.192:                              ;   in Loop: Header=BB292_105 Depth=1
	s_or_b64 exec, exec, s[18:19]
	v_and_b32_e32 v24, 0xffff0000, v24
	v_lshlrev_b32_e32 v32, 16, v32
	v_mul_f32_e32 v33, v24, v32
	v_and_b32_e32 v32, 0x7f800000, v33
	v_cmp_ne_u32_e64 s[0:1], s30, v32
                                        ; implicit-def: $vgpr32
	s_and_saveexec_b64 s[18:19], s[0:1]
	s_xor_b64 s[0:1], exec, s[18:19]
; %bb.193:                              ;   in Loop: Header=BB292_105 Depth=1
	v_bfe_u32 v32, v33, 16, 1
	v_add3_u32 v32, v33, v32, s31
                                        ; implicit-def: $vgpr33
; %bb.194:                              ;   in Loop: Header=BB292_105 Depth=1
	s_andn2_saveexec_b64 s[18:19], s[0:1]
; %bb.195:                              ;   in Loop: Header=BB292_105 Depth=1
	v_or_b32_e32 v32, 0x10000, v33
	v_cmp_eq_u32_sdwa s[0:1], v33, v15 src0_sel:WORD_0 src1_sel:DWORD
	s_nop 1
	v_cndmask_b32_e64 v32, v32, v33, s[0:1]
; %bb.196:                              ;   in Loop: Header=BB292_105 Depth=1
	s_or_b64 exec, exec, s[18:19]
	v_and_b32_e32 v25, 0xffff0000, v25
	v_lshlrev_b32_e32 v31, 16, v31
	v_mul_f32_e32 v33, v25, v31
	v_and_b32_e32 v31, 0x7f800000, v33
	v_cmp_ne_u32_e64 s[0:1], s30, v31
                                        ; implicit-def: $vgpr31
	s_and_saveexec_b64 s[18:19], s[0:1]
	s_xor_b64 s[0:1], exec, s[18:19]
; %bb.197:                              ;   in Loop: Header=BB292_105 Depth=1
	v_bfe_u32 v31, v33, 16, 1
	v_add3_u32 v31, v33, v31, s31
                                        ; implicit-def: $vgpr33
; %bb.198:                              ;   in Loop: Header=BB292_105 Depth=1
	s_andn2_saveexec_b64 s[18:19], s[0:1]
; %bb.199:                              ;   in Loop: Header=BB292_105 Depth=1
	v_or_b32_e32 v31, 0x10000, v33
	v_cmp_eq_u32_sdwa s[0:1], v33, v15 src0_sel:WORD_0 src1_sel:DWORD
	s_nop 1
	v_cndmask_b32_e64 v31, v31, v33, s[0:1]
; %bb.200:                              ;   in Loop: Header=BB292_105 Depth=1
	s_or_b64 exec, exec, s[18:19]
	v_and_b32_e32 v26, 0xffff0000, v26
	v_lshlrev_b32_e32 v2, 16, v2
	v_mul_f32_e32 v2, v26, v2
	v_and_b32_e32 v33, 0x7f800000, v2
	v_cmp_ne_u32_e64 s[0:1], s30, v33
                                        ; implicit-def: $vgpr33
	s_and_saveexec_b64 s[18:19], s[0:1]
	s_xor_b64 s[0:1], exec, s[18:19]
; %bb.201:                              ;   in Loop: Header=BB292_105 Depth=1
	v_bfe_u32 v33, v2, 16, 1
	v_add3_u32 v33, v2, v33, s31
                                        ; implicit-def: $vgpr2
; %bb.202:                              ;   in Loop: Header=BB292_105 Depth=1
	s_andn2_saveexec_b64 s[18:19], s[0:1]
; %bb.203:                              ;   in Loop: Header=BB292_105 Depth=1
	v_or_b32_e32 v33, 0x10000, v2
	v_cmp_eq_u32_sdwa s[0:1], v2, v15 src0_sel:WORD_0 src1_sel:DWORD
	s_nop 1
	v_cndmask_b32_e64 v33, v33, v2, s[0:1]
; %bb.204:                              ;   in Loop: Header=BB292_105 Depth=1
	s_or_b64 exec, exec, s[18:19]
	v_and_b32_e32 v35, 0xffff0000, v27
	v_and_b32_e32 v34, 0xffff0000, v29
	;; [unrolled: 1-line block ×4, first 2 shown]
	v_pk_add_f32 v[2:3], v[28:29], v[34:35]
	v_and_b32_e32 v33, 0xffff0000, v33
	v_and_b32_e32 v32, 0xffff0000, v32
	v_and_b32_e32 v31, 0xffff0000, v31
	v_and_b32_e32 v30, 0xffff0000, v30
	v_mov_b32_e32 v28, v3
	v_pk_add_f32 v[2:3], v[2:3], v[28:29]
	v_pk_add_f32 v[28:29], v[30:31], v[32:33]
	s_nop 0
	v_pk_add_f32 v[2:3], v[2:3], v[28:29]
	v_mov_b32_e32 v28, v29
	v_pk_add_f32 v[2:3], v[2:3], v[28:29]
	s_nop 0
	v_pk_add_f32 v[2:3], v[12:13], v[2:3]
	s_and_saveexec_b64 s[18:19], vcc
	s_cbranch_execz .LBB292_103
; %bb.205:                              ;   in Loop: Header=BB292_105 Depth=1
	v_lshl_add_u64 v[4:5], v[4:5], 0, v[16:17]
	global_load_dwordx2 v[4:5], v[4:5], off
	s_waitcnt vmcnt(0)
	v_and_b32_e32 v3, 0xff, v4
	v_cvt_f32_fp8_sdwa v3, v3 src0_sel:BYTE_0
	s_nop 0
	v_mul_f32_e32 v27, s34, v3
	v_and_b32_e32 v3, 0x7f800000, v27
	v_cmp_ne_u32_e64 s[0:1], s30, v3
                                        ; implicit-def: $vgpr3
	s_and_saveexec_b64 s[20:21], s[0:1]
	s_xor_b64 s[0:1], exec, s[20:21]
; %bb.206:                              ;   in Loop: Header=BB292_105 Depth=1
	v_bfe_u32 v3, v27, 16, 1
	v_add3_u32 v3, v27, v3, s31
                                        ; implicit-def: $vgpr27
; %bb.207:                              ;   in Loop: Header=BB292_105 Depth=1
	s_andn2_saveexec_b64 s[20:21], s[0:1]
; %bb.208:                              ;   in Loop: Header=BB292_105 Depth=1
	v_or_b32_e32 v3, 0x10000, v27
	v_cmp_eq_u32_sdwa s[0:1], v27, v15 src0_sel:WORD_0 src1_sel:DWORD
	s_nop 1
	v_cndmask_b32_e64 v3, v3, v27, s[0:1]
; %bb.209:                              ;   in Loop: Header=BB292_105 Depth=1
	s_or_b64 exec, exec, s[20:21]
	v_bfe_u32 v27, v4, 8, 8
	v_cvt_f32_fp8_sdwa v27, v27 src0_sel:BYTE_0
	s_nop 0
	v_mul_f32_e32 v28, s34, v27
	v_and_b32_e32 v27, 0x7f800000, v28
	v_cmp_ne_u32_e64 s[0:1], s30, v27
                                        ; implicit-def: $vgpr27
	s_and_saveexec_b64 s[20:21], s[0:1]
	s_xor_b64 s[0:1], exec, s[20:21]
; %bb.210:                              ;   in Loop: Header=BB292_105 Depth=1
	v_bfe_u32 v27, v28, 16, 1
	v_add3_u32 v27, v28, v27, s31
                                        ; implicit-def: $vgpr28
; %bb.211:                              ;   in Loop: Header=BB292_105 Depth=1
	s_andn2_saveexec_b64 s[20:21], s[0:1]
; %bb.212:                              ;   in Loop: Header=BB292_105 Depth=1
	v_or_b32_e32 v27, 0x10000, v28
	v_cmp_eq_u32_sdwa s[0:1], v28, v15 src0_sel:WORD_0 src1_sel:DWORD
	s_nop 1
	v_cndmask_b32_e64 v27, v27, v28, s[0:1]
; %bb.213:                              ;   in Loop: Header=BB292_105 Depth=1
	s_or_b64 exec, exec, s[20:21]
	v_bfe_u32 v28, v4, 16, 8
	v_cvt_f32_fp8_sdwa v28, v28 src0_sel:BYTE_0
	s_nop 0
	v_mul_f32_e32 v28, s34, v28
	v_and_b32_e32 v29, 0x7f800000, v28
	v_cmp_ne_u32_e64 s[0:1], s30, v29
                                        ; implicit-def: $vgpr29
	s_and_saveexec_b64 s[20:21], s[0:1]
	s_xor_b64 s[0:1], exec, s[20:21]
; %bb.214:                              ;   in Loop: Header=BB292_105 Depth=1
	v_bfe_u32 v29, v28, 16, 1
	v_add3_u32 v29, v28, v29, s31
                                        ; implicit-def: $vgpr28
; %bb.215:                              ;   in Loop: Header=BB292_105 Depth=1
	s_andn2_saveexec_b64 s[20:21], s[0:1]
; %bb.216:                              ;   in Loop: Header=BB292_105 Depth=1
	v_or_b32_e32 v29, 0x10000, v28
	v_cmp_eq_u32_sdwa s[0:1], v28, v15 src0_sel:WORD_0 src1_sel:DWORD
	s_nop 1
	v_cndmask_b32_e64 v29, v29, v28, s[0:1]
; %bb.217:                              ;   in Loop: Header=BB292_105 Depth=1
	s_or_b64 exec, exec, s[20:21]
	v_lshrrev_b32_e32 v4, 24, v4
	v_cvt_f32_fp8_sdwa v4, v4 src0_sel:BYTE_0
	s_nop 0
	v_mul_f32_e32 v28, s34, v4
	v_and_b32_e32 v4, 0x7f800000, v28
	v_cmp_ne_u32_e64 s[0:1], s30, v4
                                        ; implicit-def: $vgpr4
	s_and_saveexec_b64 s[20:21], s[0:1]
	s_xor_b64 s[0:1], exec, s[20:21]
; %bb.218:                              ;   in Loop: Header=BB292_105 Depth=1
	v_bfe_u32 v4, v28, 16, 1
	v_add3_u32 v4, v28, v4, s31
                                        ; implicit-def: $vgpr28
; %bb.219:                              ;   in Loop: Header=BB292_105 Depth=1
	s_andn2_saveexec_b64 s[20:21], s[0:1]
; %bb.220:                              ;   in Loop: Header=BB292_105 Depth=1
	v_or_b32_e32 v4, 0x10000, v28
	v_cmp_eq_u32_sdwa s[0:1], v28, v15 src0_sel:WORD_0 src1_sel:DWORD
	s_nop 1
	v_cndmask_b32_e64 v4, v4, v28, s[0:1]
; %bb.221:                              ;   in Loop: Header=BB292_105 Depth=1
	s_or_b64 exec, exec, s[20:21]
	v_and_b32_e32 v28, 0xff, v5
	v_cvt_f32_fp8_sdwa v28, v28 src0_sel:BYTE_0
	s_nop 0
	v_mul_f32_e32 v28, s34, v28
	v_and_b32_e32 v30, 0x7f800000, v28
	v_cmp_ne_u32_e64 s[0:1], s30, v30
                                        ; implicit-def: $vgpr30
	s_and_saveexec_b64 s[20:21], s[0:1]
	s_xor_b64 s[0:1], exec, s[20:21]
; %bb.222:                              ;   in Loop: Header=BB292_105 Depth=1
	v_bfe_u32 v30, v28, 16, 1
	v_add3_u32 v30, v28, v30, s31
                                        ; implicit-def: $vgpr28
; %bb.223:                              ;   in Loop: Header=BB292_105 Depth=1
	s_andn2_saveexec_b64 s[20:21], s[0:1]
; %bb.224:                              ;   in Loop: Header=BB292_105 Depth=1
	v_or_b32_e32 v30, 0x10000, v28
	v_cmp_eq_u32_sdwa s[0:1], v28, v15 src0_sel:WORD_0 src1_sel:DWORD
	s_nop 1
	v_cndmask_b32_e64 v30, v30, v28, s[0:1]
; %bb.225:                              ;   in Loop: Header=BB292_105 Depth=1
	s_or_b64 exec, exec, s[20:21]
	v_bfe_u32 v28, v5, 8, 8
	v_cvt_f32_fp8_sdwa v28, v28 src0_sel:BYTE_0
	s_nop 0
	v_mul_f32_e32 v31, s34, v28
	v_and_b32_e32 v28, 0x7f800000, v31
	v_cmp_ne_u32_e64 s[0:1], s30, v28
                                        ; implicit-def: $vgpr28
	s_and_saveexec_b64 s[20:21], s[0:1]
	s_xor_b64 s[0:1], exec, s[20:21]
; %bb.226:                              ;   in Loop: Header=BB292_105 Depth=1
	v_bfe_u32 v28, v31, 16, 1
	v_add3_u32 v28, v31, v28, s31
                                        ; implicit-def: $vgpr31
; %bb.227:                              ;   in Loop: Header=BB292_105 Depth=1
	s_andn2_saveexec_b64 s[20:21], s[0:1]
; %bb.228:                              ;   in Loop: Header=BB292_105 Depth=1
	v_or_b32_e32 v28, 0x10000, v31
	v_cmp_eq_u32_sdwa s[0:1], v31, v15 src0_sel:WORD_0 src1_sel:DWORD
	s_nop 1
	v_cndmask_b32_e64 v28, v28, v31, s[0:1]
; %bb.229:                              ;   in Loop: Header=BB292_105 Depth=1
	s_or_b64 exec, exec, s[20:21]
	v_bfe_u32 v31, v5, 16, 8
	v_cvt_f32_fp8_sdwa v31, v31 src0_sel:BYTE_0
	s_nop 0
	v_mul_f32_e32 v31, s34, v31
	v_and_b32_e32 v32, 0x7f800000, v31
	v_cmp_ne_u32_e64 s[0:1], s30, v32
                                        ; implicit-def: $vgpr32
	s_and_saveexec_b64 s[20:21], s[0:1]
	s_xor_b64 s[0:1], exec, s[20:21]
; %bb.230:                              ;   in Loop: Header=BB292_105 Depth=1
	v_bfe_u32 v32, v31, 16, 1
	v_add3_u32 v32, v31, v32, s31
                                        ; implicit-def: $vgpr31
; %bb.231:                              ;   in Loop: Header=BB292_105 Depth=1
	s_andn2_saveexec_b64 s[20:21], s[0:1]
; %bb.232:                              ;   in Loop: Header=BB292_105 Depth=1
	v_or_b32_e32 v32, 0x10000, v31
	v_cmp_eq_u32_sdwa s[0:1], v31, v15 src0_sel:WORD_0 src1_sel:DWORD
	s_nop 1
	v_cndmask_b32_e64 v32, v32, v31, s[0:1]
; %bb.233:                              ;   in Loop: Header=BB292_105 Depth=1
	s_or_b64 exec, exec, s[20:21]
	v_lshrrev_b32_e32 v5, 24, v5
	v_cvt_f32_fp8_sdwa v5, v5 src0_sel:BYTE_0
                                        ; implicit-def: $vgpr33
	s_nop 0
	v_mul_f32_e32 v5, s34, v5
	v_and_b32_e32 v31, 0x7f800000, v5
	v_cmp_ne_u32_e64 s[0:1], s30, v31
	s_and_saveexec_b64 s[20:21], s[0:1]
	s_xor_b64 s[0:1], exec, s[20:21]
; %bb.234:                              ;   in Loop: Header=BB292_105 Depth=1
	v_bfe_u32 v31, v5, 16, 1
	v_add3_u32 v33, v5, v31, s31
                                        ; implicit-def: $vgpr5
; %bb.235:                              ;   in Loop: Header=BB292_105 Depth=1
	s_andn2_saveexec_b64 s[20:21], s[0:1]
; %bb.236:                              ;   in Loop: Header=BB292_105 Depth=1
	v_or_b32_e32 v31, 0x10000, v5
	v_cmp_eq_u32_sdwa s[0:1], v5, v15 src0_sel:WORD_0 src1_sel:DWORD
	s_nop 1
	v_cndmask_b32_e64 v33, v31, v5, s[0:1]
; %bb.237:                              ;   in Loop: Header=BB292_105 Depth=1
	s_or_b64 exec, exec, s[20:21]
	v_lshrrev_b32_e32 v28, 16, v28
	v_lshrrev_b32_e32 v30, 16, v30
	;; [unrolled: 1-line block ×8, first 2 shown]
	s_and_saveexec_b64 s[20:21], s[2:3]
	s_cbranch_execz .LBB292_239
; %bb.238:                              ;   in Loop: Header=BB292_105 Depth=1
	v_cmp_gt_i32_e64 s[0:1], s25, v11
	v_add_u32_e32 v32, 1, v11
	s_nop 0
	v_cndmask_b32_e64 v4, 0, v4, s[0:1]
	v_cmp_gt_i32_e64 s[0:1], s25, v32
	v_add_u32_e32 v32, 2, v11
	s_nop 0
	v_cndmask_b32_e64 v27, 0, v27, s[0:1]
	;; [unrolled: 4-line block ×7, first 2 shown]
	v_cmp_gt_i32_e64 s[0:1], s25, v32
	s_nop 1
	v_cndmask_b32_e64 v3, 0, v3, s[0:1]
.LBB292_239:                            ;   in Loop: Header=BB292_105 Depth=1
	s_or_b64 exec, exec, s[20:21]
	v_lshlrev_b32_e32 v4, 16, v4
	v_mul_f32_e32 v6, v6, v4
	v_and_b32_e32 v4, 0x7f800000, v6
	v_cmp_ne_u32_e64 s[0:1], s30, v4
                                        ; implicit-def: $vgpr4
	s_and_saveexec_b64 s[2:3], s[0:1]
	s_xor_b64 s[0:1], exec, s[2:3]
; %bb.240:                              ;   in Loop: Header=BB292_105 Depth=1
	v_bfe_u32 v4, v6, 16, 1
	v_add3_u32 v4, v6, v4, s31
                                        ; implicit-def: $vgpr6
; %bb.241:                              ;   in Loop: Header=BB292_105 Depth=1
	s_andn2_saveexec_b64 s[2:3], s[0:1]
; %bb.242:                              ;   in Loop: Header=BB292_105 Depth=1
	v_or_b32_e32 v4, 0x10000, v6
	v_cmp_eq_u32_sdwa s[0:1], v6, v15 src0_sel:WORD_0 src1_sel:DWORD
	s_nop 1
	v_cndmask_b32_e64 v4, v4, v6, s[0:1]
; %bb.243:                              ;   in Loop: Header=BB292_105 Depth=1
	s_or_b64 exec, exec, s[2:3]
	v_lshlrev_b32_e32 v6, 16, v27
	v_mul_f32_e32 v7, v7, v6
	v_and_b32_e32 v6, 0x7f800000, v7
	v_cmp_ne_u32_e64 s[0:1], s30, v6
                                        ; implicit-def: $vgpr6
	s_and_saveexec_b64 s[2:3], s[0:1]
	s_xor_b64 s[0:1], exec, s[2:3]
; %bb.244:                              ;   in Loop: Header=BB292_105 Depth=1
	v_bfe_u32 v6, v7, 16, 1
	v_add3_u32 v6, v7, v6, s31
                                        ; implicit-def: $vgpr7
; %bb.245:                              ;   in Loop: Header=BB292_105 Depth=1
	s_andn2_saveexec_b64 s[2:3], s[0:1]
; %bb.246:                              ;   in Loop: Header=BB292_105 Depth=1
	v_or_b32_e32 v6, 0x10000, v7
	v_cmp_eq_u32_sdwa s[0:1], v7, v15 src0_sel:WORD_0 src1_sel:DWORD
	s_nop 1
	v_cndmask_b32_e64 v6, v6, v7, s[0:1]
; %bb.247:                              ;   in Loop: Header=BB292_105 Depth=1
	s_or_b64 exec, exec, s[2:3]
	v_lshlrev_b32_e32 v7, 16, v29
	v_mul_f32_e32 v8, v8, v7
	v_and_b32_e32 v7, 0x7f800000, v8
	v_cmp_ne_u32_e64 s[0:1], s30, v7
                                        ; implicit-def: $vgpr7
	s_and_saveexec_b64 s[2:3], s[0:1]
	s_xor_b64 s[0:1], exec, s[2:3]
; %bb.248:                              ;   in Loop: Header=BB292_105 Depth=1
	v_bfe_u32 v7, v8, 16, 1
	v_add3_u32 v7, v8, v7, s31
                                        ; implicit-def: $vgpr8
; %bb.249:                              ;   in Loop: Header=BB292_105 Depth=1
	s_andn2_saveexec_b64 s[2:3], s[0:1]
; %bb.250:                              ;   in Loop: Header=BB292_105 Depth=1
	v_or_b32_e32 v7, 0x10000, v8
	v_cmp_eq_u32_sdwa s[0:1], v8, v15 src0_sel:WORD_0 src1_sel:DWORD
	s_nop 1
	v_cndmask_b32_e64 v7, v7, v8, s[0:1]
; %bb.251:                              ;   in Loop: Header=BB292_105 Depth=1
	s_or_b64 exec, exec, s[2:3]
	v_lshlrev_b32_e32 v8, 16, v31
	v_mul_f32_e32 v9, v9, v8
	v_and_b32_e32 v8, 0x7f800000, v9
	v_cmp_ne_u32_e64 s[0:1], s30, v8
                                        ; implicit-def: $vgpr8
	s_and_saveexec_b64 s[2:3], s[0:1]
	s_xor_b64 s[0:1], exec, s[2:3]
; %bb.252:                              ;   in Loop: Header=BB292_105 Depth=1
	v_bfe_u32 v8, v9, 16, 1
	v_add3_u32 v8, v9, v8, s31
                                        ; implicit-def: $vgpr9
; %bb.253:                              ;   in Loop: Header=BB292_105 Depth=1
	s_andn2_saveexec_b64 s[2:3], s[0:1]
; %bb.254:                              ;   in Loop: Header=BB292_105 Depth=1
	v_or_b32_e32 v8, 0x10000, v9
	v_cmp_eq_u32_sdwa s[0:1], v9, v15 src0_sel:WORD_0 src1_sel:DWORD
	s_nop 1
	v_cndmask_b32_e64 v8, v8, v9, s[0:1]
; %bb.255:                              ;   in Loop: Header=BB292_105 Depth=1
	s_or_b64 exec, exec, s[2:3]
	v_lshlrev_b32_e32 v9, 16, v30
	v_mul_f32_e32 v23, v23, v9
	v_and_b32_e32 v9, 0x7f800000, v23
	v_cmp_ne_u32_e64 s[0:1], s30, v9
                                        ; implicit-def: $vgpr9
	s_and_saveexec_b64 s[2:3], s[0:1]
	s_xor_b64 s[0:1], exec, s[2:3]
; %bb.256:                              ;   in Loop: Header=BB292_105 Depth=1
	v_bfe_u32 v9, v23, 16, 1
	v_add3_u32 v9, v23, v9, s31
                                        ; implicit-def: $vgpr23
; %bb.257:                              ;   in Loop: Header=BB292_105 Depth=1
	s_andn2_saveexec_b64 s[2:3], s[0:1]
; %bb.258:                              ;   in Loop: Header=BB292_105 Depth=1
	v_or_b32_e32 v9, 0x10000, v23
	v_cmp_eq_u32_sdwa s[0:1], v23, v15 src0_sel:WORD_0 src1_sel:DWORD
	s_nop 1
	v_cndmask_b32_e64 v9, v9, v23, s[0:1]
; %bb.259:                              ;   in Loop: Header=BB292_105 Depth=1
	s_or_b64 exec, exec, s[2:3]
	v_lshlrev_b32_e32 v23, 16, v28
	v_mul_f32_e32 v24, v24, v23
	v_and_b32_e32 v23, 0x7f800000, v24
	v_cmp_ne_u32_e64 s[0:1], s30, v23
                                        ; implicit-def: $vgpr23
	s_and_saveexec_b64 s[2:3], s[0:1]
	s_xor_b64 s[0:1], exec, s[2:3]
; %bb.260:                              ;   in Loop: Header=BB292_105 Depth=1
	v_bfe_u32 v23, v24, 16, 1
	v_add3_u32 v23, v24, v23, s31
                                        ; implicit-def: $vgpr24
; %bb.261:                              ;   in Loop: Header=BB292_105 Depth=1
	s_andn2_saveexec_b64 s[2:3], s[0:1]
; %bb.262:                              ;   in Loop: Header=BB292_105 Depth=1
	v_or_b32_e32 v23, 0x10000, v24
	v_cmp_eq_u32_sdwa s[0:1], v24, v15 src0_sel:WORD_0 src1_sel:DWORD
	s_nop 1
	v_cndmask_b32_e64 v23, v23, v24, s[0:1]
; %bb.263:                              ;   in Loop: Header=BB292_105 Depth=1
	s_or_b64 exec, exec, s[2:3]
	v_lshlrev_b32_e32 v5, 16, v5
	v_mul_f32_e32 v24, v25, v5
	v_and_b32_e32 v5, 0x7f800000, v24
	v_cmp_ne_u32_e64 s[0:1], s30, v5
                                        ; implicit-def: $vgpr5
	s_and_saveexec_b64 s[2:3], s[0:1]
	s_xor_b64 s[0:1], exec, s[2:3]
; %bb.264:                              ;   in Loop: Header=BB292_105 Depth=1
	v_bfe_u32 v5, v24, 16, 1
	v_add3_u32 v5, v24, v5, s31
                                        ; implicit-def: $vgpr24
; %bb.265:                              ;   in Loop: Header=BB292_105 Depth=1
	s_andn2_saveexec_b64 s[2:3], s[0:1]
; %bb.266:                              ;   in Loop: Header=BB292_105 Depth=1
	v_or_b32_e32 v5, 0x10000, v24
	v_cmp_eq_u32_sdwa s[0:1], v24, v15 src0_sel:WORD_0 src1_sel:DWORD
	s_nop 1
	v_cndmask_b32_e64 v5, v5, v24, s[0:1]
; %bb.267:                              ;   in Loop: Header=BB292_105 Depth=1
	s_or_b64 exec, exec, s[2:3]
	v_lshlrev_b32_e32 v3, 16, v3
	v_mul_f32_e32 v3, v26, v3
	v_and_b32_e32 v24, 0x7f800000, v3
	v_cmp_ne_u32_e64 s[0:1], s30, v24
                                        ; implicit-def: $vgpr24
	s_and_saveexec_b64 s[2:3], s[0:1]
	s_xor_b64 s[0:1], exec, s[2:3]
; %bb.268:                              ;   in Loop: Header=BB292_105 Depth=1
	v_bfe_u32 v24, v3, 16, 1
	v_add3_u32 v24, v3, v24, s31
                                        ; implicit-def: $vgpr3
; %bb.269:                              ;   in Loop: Header=BB292_105 Depth=1
	s_andn2_saveexec_b64 s[2:3], s[0:1]
	s_cbranch_execz .LBB292_102
; %bb.270:                              ;   in Loop: Header=BB292_105 Depth=1
	v_or_b32_e32 v24, 0x10000, v3
	v_cmp_eq_u32_sdwa s[0:1], v3, v15 src0_sel:WORD_0 src1_sel:DWORD
	s_nop 1
	v_cndmask_b32_e64 v24, v24, v3, s[0:1]
	s_branch .LBB292_102
.LBB292_271:
	s_or_b64 exec, exec, s[12:13]
.LBB292_272:
	s_or_b64 exec, exec, s[8:9]
	v_and_b32_e32 v1, 0x3c0, v0
	v_cmp_eq_u32_e32 vcc, 64, v1
	s_barrier
	s_and_saveexec_b64 s[0:1], vcc
	s_cbranch_execz .LBB292_275
; %bb.273:
	v_mov_b32_e32 v1, 0xf0
	v_lshl_add_u32 v2, v20, 2, v1
	ds_write_b32 v2, v12
	s_and_b64 exec, exec, s[6:7]
	s_cbranch_execz .LBB292_275
; %bb.274:
	v_lshl_add_u32 v1, v0, 2, v1
	ds_write_b32 v1, v13
.LBB292_275:
	s_or_b64 exec, exec, s[0:1]
	v_cmp_gt_u32_e32 vcc, 64, v0
	v_or_b32_e32 v1, 64, v0
	s_waitcnt lgkmcnt(0)
	s_barrier
	s_and_saveexec_b64 s[2:3], vcc
	s_cbranch_execz .LBB292_279
; %bb.276:
	v_mov_b32_e32 v2, 0xf0
	v_lshl_add_u32 v2, v0, 2, v2
	ds_read_b32 v0, v2
	s_movk_i32 s0, 0x70
	v_cmp_gt_u32_e64 s[0:1], s0, v1
	s_and_saveexec_b64 s[6:7], s[0:1]
	s_cbranch_execz .LBB292_278
; %bb.277:
	ds_read_b32 v2, v2 offset:256
	s_waitcnt lgkmcnt(0)
	v_add_f32_e32 v13, v13, v2
.LBB292_278:
	s_or_b64 exec, exec, s[6:7]
	s_waitcnt lgkmcnt(0)
	v_add_f32_e32 v12, v12, v0
.LBB292_279:
	s_or_b64 exec, exec, s[2:3]
	s_barrier
	s_and_saveexec_b64 s[0:1], vcc
	s_cbranch_execz .LBB292_290
; %bb.280:
	s_mov_b32 s0, 0x7f800000
	v_and_b32_e32 v0, 0x7f800000, v12
	v_cmp_ne_u32_e32 vcc, s0, v0
                                        ; implicit-def: $vgpr0
	s_and_saveexec_b64 s[0:1], vcc
	s_xor_b64 s[0:1], exec, s[0:1]
; %bb.281:
	v_bfe_u32 v0, v12, 16, 1
	s_movk_i32 s2, 0x7fff
	v_add3_u32 v0, v12, v0, s2
; %bb.282:
	s_andn2_saveexec_b64 s[0:1], s[0:1]
; %bb.283:
	v_mov_b32_e32 v0, 0
	v_or_b32_e32 v2, 0x10000, v12
	v_cmp_eq_u32_sdwa vcc, v12, v0 src0_sel:WORD_0 src1_sel:DWORD
	s_nop 1
	v_cndmask_b32_e32 v0, v2, v12, vcc
; %bb.284:
	s_or_b64 exec, exec, s[0:1]
	s_mul_i32 s0, s24, s23
	s_mul_i32 s0, s0, s5
	s_mulk_i32 s0, 0x70
	s_ashr_i32 s1, s0, 31
	s_lshl_b64 s[0:1], s[0:1], 1
	s_add_u32 s3, s28, s0
	s_mul_i32 s0, s23, s26
	s_addc_u32 s5, s29, s1
	s_ashr_i32 s1, s0, 31
	s_lshl_b64 s[0:1], s[0:1], 1
	s_add_u32 s3, s3, s0
	s_mul_i32 s0, s4, 0x70
	s_addc_u32 s5, s5, s1
	s_ashr_i32 s1, s0, 31
	s_lshl_b64 s[0:1], s[0:1], 1
	s_movk_i32 s2, 0x70
	s_add_u32 s0, s3, s0
	s_addc_u32 s1, s5, s1
	v_cmp_gt_u32_e32 vcc, s2, v1
	global_store_short_d16_hi v10, v0, s[0:1]
	s_and_b64 exec, exec, vcc
	s_cbranch_execz .LBB292_290
; %bb.285:
	s_mov_b32 s2, 0x7f800000
	v_and_b32_e32 v0, 0x7f800000, v13
	v_mov_b32_e32 v11, 0
	v_cmp_ne_u32_e32 vcc, s2, v0
                                        ; implicit-def: $vgpr2
	s_and_saveexec_b64 s[2:3], vcc
	s_xor_b64 s[2:3], exec, s[2:3]
; %bb.286:
	v_bfe_u32 v0, v13, 16, 1
	s_movk_i32 s4, 0x7fff
	v_add3_u32 v2, v13, v0, s4
                                        ; implicit-def: $vgpr13
; %bb.287:
	s_or_saveexec_b64 s[2:3], s[2:3]
	v_lshl_add_u64 v[0:1], s[0:1], 0, v[10:11]
	s_xor_b64 exec, exec, s[2:3]
; %bb.288:
	v_mov_b32_e32 v2, 0
	v_or_b32_e32 v3, 0x10000, v13
	v_cmp_eq_u32_sdwa vcc, v13, v2 src0_sel:WORD_0 src1_sel:DWORD
	s_nop 1
	v_cndmask_b32_e32 v2, v3, v13, vcc
; %bb.289:
	s_or_b64 exec, exec, s[2:3]
	global_store_short_d16_hi v[0:1], v2, off offset:128
.LBB292_290:
	s_endpgm
	.section	.rodata,"a",@progbits
	.p2align	6, 0x0
	.amdhsa_kernel _ZN4vllm25paged_attention_v1_kernelI14__hip_bfloat16hLi112ELi8ELi128ELNS_18Fp8KVCacheDataTypeE1ELb1EEEvPT_PKS3_PKT0_S9_ifPKiSB_iPKfiiiSD_SD_iiiii
		.amdhsa_group_segment_fixed_size 240
		.amdhsa_private_segment_fixed_size 0
		.amdhsa_kernarg_size 384
		.amdhsa_user_sgpr_count 2
		.amdhsa_user_sgpr_dispatch_ptr 0
		.amdhsa_user_sgpr_queue_ptr 0
		.amdhsa_user_sgpr_kernarg_segment_ptr 1
		.amdhsa_user_sgpr_dispatch_id 0
		.amdhsa_user_sgpr_kernarg_preload_length 0
		.amdhsa_user_sgpr_kernarg_preload_offset 0
		.amdhsa_user_sgpr_private_segment_size 0
		.amdhsa_uses_dynamic_stack 0
		.amdhsa_enable_private_segment 0
		.amdhsa_system_sgpr_workgroup_id_x 1
		.amdhsa_system_sgpr_workgroup_id_y 1
		.amdhsa_system_sgpr_workgroup_id_z 1
		.amdhsa_system_sgpr_workgroup_info 0
		.amdhsa_system_vgpr_workitem_id 0
		.amdhsa_next_free_vgpr 52
		.amdhsa_next_free_sgpr 53
		.amdhsa_accum_offset 52
		.amdhsa_reserve_vcc 1
		.amdhsa_float_round_mode_32 0
		.amdhsa_float_round_mode_16_64 0
		.amdhsa_float_denorm_mode_32 3
		.amdhsa_float_denorm_mode_16_64 3
		.amdhsa_dx10_clamp 1
		.amdhsa_ieee_mode 1
		.amdhsa_fp16_overflow 0
		.amdhsa_tg_split 0
		.amdhsa_exception_fp_ieee_invalid_op 0
		.amdhsa_exception_fp_denorm_src 0
		.amdhsa_exception_fp_ieee_div_zero 0
		.amdhsa_exception_fp_ieee_overflow 0
		.amdhsa_exception_fp_ieee_underflow 0
		.amdhsa_exception_fp_ieee_inexact 0
		.amdhsa_exception_int_div_zero 0
	.end_amdhsa_kernel
	.section	.text._ZN4vllm25paged_attention_v1_kernelI14__hip_bfloat16hLi112ELi8ELi128ELNS_18Fp8KVCacheDataTypeE1ELb1EEEvPT_PKS3_PKT0_S9_ifPKiSB_iPKfiiiSD_SD_iiiii,"axG",@progbits,_ZN4vllm25paged_attention_v1_kernelI14__hip_bfloat16hLi112ELi8ELi128ELNS_18Fp8KVCacheDataTypeE1ELb1EEEvPT_PKS3_PKT0_S9_ifPKiSB_iPKfiiiSD_SD_iiiii,comdat
.Lfunc_end292:
	.size	_ZN4vllm25paged_attention_v1_kernelI14__hip_bfloat16hLi112ELi8ELi128ELNS_18Fp8KVCacheDataTypeE1ELb1EEEvPT_PKS3_PKT0_S9_ifPKiSB_iPKfiiiSD_SD_iiiii, .Lfunc_end292-_ZN4vllm25paged_attention_v1_kernelI14__hip_bfloat16hLi112ELi8ELi128ELNS_18Fp8KVCacheDataTypeE1ELb1EEEvPT_PKS3_PKT0_S9_ifPKiSB_iPKfiiiSD_SD_iiiii
                                        ; -- End function
	.section	.AMDGPU.csdata,"",@progbits
; Kernel info:
; codeLenInByte = 10024
; NumSgprs: 59
; NumVgprs: 52
; NumAgprs: 0
; TotalNumVgprs: 52
; ScratchSize: 0
; MemoryBound: 0
; FloatMode: 240
; IeeeMode: 1
; LDSByteSize: 240 bytes/workgroup (compile time only)
; SGPRBlocks: 7
; VGPRBlocks: 6
; NumSGPRsForWavesPerEU: 59
; NumVGPRsForWavesPerEU: 52
; AccumOffset: 52
; Occupancy: 8
; WaveLimiterHint : 1
; COMPUTE_PGM_RSRC2:SCRATCH_EN: 0
; COMPUTE_PGM_RSRC2:USER_SGPR: 2
; COMPUTE_PGM_RSRC2:TRAP_HANDLER: 0
; COMPUTE_PGM_RSRC2:TGID_X_EN: 1
; COMPUTE_PGM_RSRC2:TGID_Y_EN: 1
; COMPUTE_PGM_RSRC2:TGID_Z_EN: 1
; COMPUTE_PGM_RSRC2:TIDIG_COMP_CNT: 0
; COMPUTE_PGM_RSRC3_GFX90A:ACCUM_OFFSET: 12
; COMPUTE_PGM_RSRC3_GFX90A:TG_SPLIT: 0
	.section	.text._ZN4vllm25paged_attention_v1_kernelI14__hip_bfloat16hLi120ELi8ELi128ELNS_18Fp8KVCacheDataTypeE1ELb1EEEvPT_PKS3_PKT0_S9_ifPKiSB_iPKfiiiSD_SD_iiiii,"axG",@progbits,_ZN4vllm25paged_attention_v1_kernelI14__hip_bfloat16hLi120ELi8ELi128ELNS_18Fp8KVCacheDataTypeE1ELb1EEEvPT_PKS3_PKT0_S9_ifPKiSB_iPKfiiiSD_SD_iiiii,comdat
	.protected	_ZN4vllm25paged_attention_v1_kernelI14__hip_bfloat16hLi120ELi8ELi128ELNS_18Fp8KVCacheDataTypeE1ELb1EEEvPT_PKS3_PKT0_S9_ifPKiSB_iPKfiiiSD_SD_iiiii ; -- Begin function _ZN4vllm25paged_attention_v1_kernelI14__hip_bfloat16hLi120ELi8ELi128ELNS_18Fp8KVCacheDataTypeE1ELb1EEEvPT_PKS3_PKT0_S9_ifPKiSB_iPKfiiiSD_SD_iiiii
	.globl	_ZN4vllm25paged_attention_v1_kernelI14__hip_bfloat16hLi120ELi8ELi128ELNS_18Fp8KVCacheDataTypeE1ELb1EEEvPT_PKS3_PKT0_S9_ifPKiSB_iPKfiiiSD_SD_iiiii
	.p2align	8
	.type	_ZN4vllm25paged_attention_v1_kernelI14__hip_bfloat16hLi120ELi8ELi128ELNS_18Fp8KVCacheDataTypeE1ELb1EEEvPT_PKS3_PKT0_S9_ifPKiSB_iPKfiiiSD_SD_iiiii,@function
_ZN4vllm25paged_attention_v1_kernelI14__hip_bfloat16hLi120ELi8ELi128ELNS_18Fp8KVCacheDataTypeE1ELb1EEEvPT_PKS3_PKT0_S9_ifPKiSB_iPKfiiiSD_SD_iiiii: ; @_ZN4vllm25paged_attention_v1_kernelI14__hip_bfloat16hLi120ELi8ELi128ELNS_18Fp8KVCacheDataTypeE1ELb1EEEvPT_PKS3_PKT0_S9_ifPKiSB_iPKfiiiSD_SD_iiiii
; %bb.0:
	s_load_dword s5, s[0:1], 0x80
	s_load_dwordx2 s[6:7], s[0:1], 0x30
	s_load_dwordx2 s[38:39], s[0:1], 0x20
	s_mov_b32 s24, s3
	s_ashr_i32 s25, s3, 31
	s_lshl_b64 s[8:9], s[24:25], 2
	s_waitcnt lgkmcnt(0)
	s_add_u32 s6, s6, s8
	s_addc_u32 s7, s7, s9
	s_abs_i32 s3, s38
	v_cvt_f32_u32_e32 v1, s3
	s_sub_i32 s10, 0, s3
	s_abs_i32 s9, s5
	s_xor_b32 s8, s5, s38
	v_rcp_iflag_f32_e32 v1, v1
	s_ashr_i32 s8, s8, 31
	s_mov_b32 s46, 0
	v_mul_f32_e32 v1, 0x4f7ffffe, v1
	v_cvt_u32_f32_e32 v1, v1
	s_nop 0
	v_readfirstlane_b32 s11, v1
	s_mul_i32 s10, s10, s11
	s_mul_hi_u32 s10, s11, s10
	s_add_i32 s11, s11, s10
	s_mul_hi_u32 s10, s9, s11
	s_mul_i32 s11, s10, s3
	s_sub_i32 s9, s9, s11
	s_add_i32 s11, s10, 1
	s_sub_i32 s12, s9, s3
	s_cmp_ge_u32 s9, s3
	s_cselect_b32 s10, s11, s10
	s_cselect_b32 s9, s12, s9
	s_add_i32 s11, s10, 1
	s_cmp_ge_u32 s9, s3
	s_cselect_b32 s3, s11, s10
	s_xor_b32 s3, s3, s8
	s_sub_i32 s14, s3, s8
	s_abs_i32 s10, s14
	v_cvt_f32_u32_e32 v1, s10
	s_load_dwordx2 s[8:9], s[0:1], 0x40
	s_sub_i32 s3, 0, s10
	s_abs_i32 s11, s2
	v_rcp_iflag_f32_e32 v1, v1
	s_nop 0
	v_mul_f32_e32 v1, 0x4f7ffffe, v1
	v_cvt_u32_f32_e32 v1, v1
	s_nop 0
	v_readfirstlane_b32 s12, v1
	s_mul_i32 s3, s3, s12
	s_mul_hi_u32 s3, s12, s3
	s_add_i32 s12, s12, s3
	s_waitcnt lgkmcnt(0)
	s_cmp_eq_u64 s[8:9], 0
	s_mul_hi_u32 s12, s11, s12
	s_cbranch_scc1 .LBB293_2
; %bb.1:
	s_ashr_i32 s3, s2, 31
	s_lshl_b64 s[16:17], s[2:3], 2
	s_add_u32 s8, s8, s16
	s_addc_u32 s9, s9, s17
	s_load_dword s46, s[8:9], 0x0
.LBB293_2:
	s_load_dword s25, s[6:7], 0x0
	s_load_dwordx4 s[16:19], s[0:1], 0x48
	s_movk_i32 s3, 0x78
	s_ashr_i32 s13, s2, 31
	s_ashr_i32 s14, s14, 31
	v_and_b32_e32 v12, 7, v0
	s_mul_i32 s26, s2, 0x78
	v_cmp_gt_u32_e64 s[6:7], s3, v0
	v_lshlrev_b32_e32 v10, 1, v0
	s_and_saveexec_b64 s[8:9], s[6:7]
	s_cbranch_execz .LBB293_4
; %bb.3:
	s_load_dwordx2 s[20:21], s[0:1], 0x8
	s_waitcnt lgkmcnt(0)
	s_mul_i32 s22, s24, s16
	s_ashr_i32 s23, s22, 31
	s_lshl_b64 s[22:23], s[22:23], 1
	v_lshrrev_b32_e32 v2, 2, v0
	s_add_u32 s3, s20, s22
	s_addc_u32 s15, s21, s23
	s_ashr_i32 s27, s26, 31
	s_lshl_b64 s[20:21], s[26:27], 1
	s_add_u32 s20, s3, s20
	s_addc_u32 s21, s15, s21
	global_load_ushort v1, v10, s[20:21]
	v_and_b32_e32 v2, 0xfe, v2
	v_mad_u32_u24 v2, v12, 30, v2
	s_waitcnt vmcnt(0)
	ds_write_b16 v2, v1
.LBB293_4:
	s_or_b64 exec, exec, s[8:9]
	s_mul_i32 s9, s12, s10
	s_sub_i32 s9, s11, s9
	s_xor_b32 s8, s13, s14
	s_add_i32 s11, s12, 1
	s_sub_i32 s13, s9, s10
	s_load_dwordx4 s[20:23], s[0:1], 0x68
	s_load_dword s3, s[0:1], 0x78
	s_cmp_ge_u32 s9, s10
	s_cselect_b32 s11, s11, s12
	s_cselect_b32 s9, s13, s9
	s_add_i32 s12, s11, 1
	s_cmp_ge_u32 s9, s10
	s_cselect_b32 s9, s12, s11
	s_waitcnt lgkmcnt(0)
	s_abs_i32 s27, s23
	v_cvt_f32_u32_e32 v1, s27
	s_xor_b32 s9, s9, s8
	s_sub_i32 s10, s9, s8
	s_sub_i32 s8, 0, s27
	v_rcp_iflag_f32_e32 v1, v1
	s_add_i32 s12, s25, -1
	s_abs_i32 s11, s12
	v_mul_f32_e32 v1, 0x4f7ffffe, v1
	v_cvt_u32_f32_e32 v1, v1
	s_barrier
	v_readfirstlane_b32 s33, v1
	s_mul_i32 s8, s8, s33
	s_mul_hi_u32 s8, s33, s8
	s_add_i32 s33, s33, s8
	s_cmp_lt_i32 s3, 0
	s_mul_hi_u32 s16, s11, s33
	s_cbranch_scc0 .LBB293_6
; %bb.5:
	s_mul_i32 s8, s20, s38
	s_add_i32 s8, s10, s8
	s_mul_i32 s8, s8, s3
	s_sub_i32 s38, 1, s8
	s_mov_b64 s[8:9], 0
	s_branch .LBB293_7
.LBB293_6:
	s_mov_b64 s[8:9], -1
                                        ; implicit-def: $sgpr38
.LBB293_7:
	s_load_dwordx2 s[30:31], s[0:1], 0x28
	s_ashr_i32 s19, s12, 31
	s_andn2_b64 vcc, exec, s[8:9]
	s_ashr_i32 s44, s23, 31
	s_cbranch_vccnz .LBB293_9
; %bb.8:
	s_mul_i32 s8, s5, s20
	s_add_i32 s2, s8, s2
	s_mul_i32 s2, s2, s3
	s_add_i32 s38, s2, 1
.LBB293_9:
	s_load_dword s2, s[0:1], 0x38
	s_load_dwordx2 s[28:29], s[0:1], 0x0
	s_load_dwordx2 s[36:37], s[0:1], 0x18
	s_load_dword s23, s[0:1], 0x88
	s_load_dwordx4 s[12:15], s[0:1], 0x58
	s_mul_i32 s3, s16, s27
	s_waitcnt lgkmcnt(0)
	s_mul_i32 s34, s24, s2
	s_sub_i32 s3, s11, s3
	s_ashr_i32 s35, s34, 31
	s_xor_b32 s2, s19, s44
	s_add_i32 s8, s16, 1
	s_sub_i32 s9, s3, s27
	s_cmp_ge_u32 s3, s27
	s_cselect_b32 s8, s8, s16
	s_cselect_b32 s3, s9, s3
	s_add_i32 s9, s8, 1
	s_cmp_ge_u32 s3, s27
	s_cselect_b32 s3, s9, s8
	s_xor_b32 s3, s3, s2
	s_sub_i32 s16, s3, s2
	s_add_i32 s2, s25, 7
	s_ashr_i32 s3, s2, 31
	s_lshr_b32 s3, s3, 29
	s_add_i32 s2, s2, s3
	s_ashr_i32 s45, s2, 3
	v_lshrrev_b32_e32 v1, 6, v0
	v_cmp_gt_i32_e64 s[2:3], s45, v1
	v_mov_b32_e32 v23, 0xff7fffff
	s_mul_i32 s20, s10, s18
	v_lshrrev_b32_e32 v9, 4, v0
	v_lshlrev_b32_e32 v11, 3, v1
	v_mbcnt_lo_u32_b32 v20, -1, 0
	s_and_saveexec_b64 s[18:19], s[2:3]
	s_cbranch_execz .LBB293_79
; %bb.10:
	s_load_dwordx2 s[0:1], s[0:1], 0x10
	s_sub_i32 s47, s16, s21
	s_ashr_i32 s9, s20, 31
	v_bfe_u32 v21, v0, 3, 3
	v_mov_b32_e32 v13, 0
	s_waitcnt lgkmcnt(0)
	s_add_u32 s8, s0, s20
	s_addc_u32 s9, s1, s9
	s_abs_i32 s48, s22
	v_cvt_f32_u32_e32 v2, s48
	v_cmp_eq_u32_e32 vcc, 0, v12
	s_mov_b32 s49, s17
	v_mul_u32_u24_e32 v22, 30, v12
	v_rcp_iflag_f32_e32 v3, v2
	v_lshlrev_b32_e32 v2, 4, v21
	v_cmp_neq_f32_e64 s[0:1], s46, 0
	v_lshlrev_b32_e32 v25, 3, v1
	v_mul_f32_e32 v3, 0x4f7ffffe, v3
	v_cvt_u32_f32_e32 v4, v3
	v_mov_b32_e32 v3, v13
	v_lshl_add_u64 v[14:15], s[8:9], 0, v[2:3]
	s_sub_i32 s8, 0, s48
	v_mul_lo_u32 v2, s8, v4
	s_lshl_b64 s[8:9], s[34:35], 2
	v_mul_hi_u32 v2, v4, v2
	s_add_u32 s8, s30, s8
	v_add_u32_e32 v24, v4, v2
	v_and_b32_e32 v2, 60, v9
	s_addc_u32 s9, s31, s9
	v_lshl_add_u64 v[16:17], s[8:9], 0, v[2:3]
	v_lshlrev_b32_e32 v2, 2, v21
	v_lshl_or_b32 v2, v1, 5, v2
	v_add_u32_e32 v26, 0x100, v2
	v_subrev_u32_e32 v2, s25, v21
	v_add_u32_e32 v27, 1, v2
	s_mov_b64 s[40:41], 0
	v_mov_b32_e32 v28, 0xff7fffff
	s_mov_b32 s50, 0x7f800000
	s_movk_i32 s51, 0x7fff
	v_mbcnt_hi_u32_b32 v29, -1, v20
	v_mov_b32_e32 v23, 0xff7fffff
	v_mov_b32_e32 v30, v1
	s_branch .LBB293_13
.LBB293_11:                             ;   in Loop: Header=BB293_13 Depth=1
	s_or_b64 exec, exec, s[42:43]
.LBB293_12:                             ;   in Loop: Header=BB293_13 Depth=1
	s_or_b64 exec, exec, s[10:11]
	v_add_u32_e32 v30, 2, v30
	v_cmp_le_i32_e64 s[8:9], s45, v30
	v_lshl_add_u64 v[16:17], v[16:17], 0, 8
	v_add_u32_e32 v25, 16, v25
	s_or_b64 s[40:41], s[8:9], s[40:41]
	v_add_u32_e32 v26, 64, v26
	s_andn2_b64 exec, exec, s[40:41]
	s_cbranch_execz .LBB293_78
.LBB293_13:                             ; =>This Inner Loop Header: Depth=1
	v_mul_hi_u32 v2, v25, s33
	s_waitcnt lgkmcnt(0)
	v_mul_lo_u32 v3, v2, s27
	v_sub_u32_e32 v3, v25, v3
	v_add_u32_e32 v4, 1, v2
	v_cmp_le_u32_e64 s[8:9], s27, v3
	s_nop 1
	v_cndmask_b32_e64 v2, v2, v4, s[8:9]
	v_subrev_u32_e32 v4, s27, v3
	v_cndmask_b32_e64 v3, v3, v4, s[8:9]
	v_add_u32_e32 v4, 1, v2
	v_cmp_le_u32_e64 s[8:9], s27, v3
	s_nop 1
	v_cndmask_b32_e64 v2, v2, v4, s[8:9]
	v_xor_b32_e32 v2, s44, v2
	v_subrev_u32_e32 v2, s44, v2
	v_add_u32_e32 v3, s38, v2
	v_sub_u32_e32 v5, 0, v3
	v_ashrrev_i32_e32 v4, 31, v3
	v_max_i32_e32 v3, v3, v5
	v_mul_hi_u32 v5, v3, v24
	v_mul_lo_u32 v5, v5, s48
	v_sub_u32_e32 v3, v3, v5
	v_subrev_u32_e32 v5, s48, v3
	v_cmp_le_u32_e64 s[8:9], s48, v3
	v_cmp_ge_i32_e64 s[10:11], s47, v2
	s_nop 0
	v_cndmask_b32_e64 v3, v3, v5, s[8:9]
	v_subrev_u32_e32 v5, s48, v3
	v_cmp_le_u32_e64 s[8:9], s48, v3
	s_nop 1
	v_cndmask_b32_e64 v3, v3, v5, s[8:9]
	v_xor_b32_e32 v3, v3, v4
	v_sub_u32_e32 v3, v3, v4
	v_cmp_ne_u32_e64 s[8:9], 0, v3
	s_and_b64 s[8:9], s[8:9], s[10:11]
	s_and_b64 s[42:43], vcc, s[8:9]
	s_and_saveexec_b64 s[10:11], s[42:43]
	s_cbranch_execz .LBB293_15
; %bb.14:                               ;   in Loop: Header=BB293_13 Depth=1
	ds_write_b32 v26, v28
.LBB293_15:                             ;   in Loop: Header=BB293_13 Depth=1
	s_or_b64 exec, exec, s[10:11]
	s_xor_b64 s[8:9], s[8:9], -1
	s_and_saveexec_b64 s[10:11], s[8:9]
	s_cbranch_execz .LBB293_12
; %bb.16:                               ;   in Loop: Header=BB293_13 Depth=1
	global_load_dword v2, v[16:17], off
	s_load_dword s52, s[12:13], 0x0
	s_waitcnt vmcnt(0)
	v_mad_i64_i32 v[2:3], s[8:9], v2, s49, v[14:15]
	v_lshl_add_u64 v[18:19], v[2:3], 0, v[12:13]
	global_load_ubyte v2, v[18:19], off
	s_waitcnt vmcnt(0)
	v_cvt_f32_fp8_sdwa v32, v2 src0_sel:BYTE_0
	ds_read_b128 v[2:5], v22
	ds_read_b96 v[6:8], v22 offset:16
	ds_read_u16 v31, v22 offset:28
	s_waitcnt lgkmcnt(0)
	v_mul_f32_e32 v33, s52, v32
	v_and_b32_e32 v32, 0x7f800000, v33
	v_cmp_ne_u32_e64 s[8:9], s50, v32
                                        ; implicit-def: $vgpr32
	s_and_saveexec_b64 s[42:43], s[8:9]
	s_xor_b64 s[8:9], exec, s[42:43]
; %bb.17:                               ;   in Loop: Header=BB293_13 Depth=1
	v_bfe_u32 v32, v33, 16, 1
	v_add3_u32 v32, v33, v32, s51
                                        ; implicit-def: $vgpr33
; %bb.18:                               ;   in Loop: Header=BB293_13 Depth=1
	s_andn2_saveexec_b64 s[42:43], s[8:9]
; %bb.19:                               ;   in Loop: Header=BB293_13 Depth=1
	v_or_b32_e32 v32, 0x10000, v33
	v_cmp_eq_u32_sdwa s[8:9], v33, v13 src0_sel:WORD_0 src1_sel:DWORD
	s_nop 1
	v_cndmask_b32_e64 v32, v32, v33, s[8:9]
; %bb.20:                               ;   in Loop: Header=BB293_13 Depth=1
	s_or_b64 exec, exec, s[42:43]
	global_load_ubyte v33, v[18:19], off offset:8
	s_waitcnt vmcnt(0)
	v_cvt_f32_fp8_sdwa v33, v33 src0_sel:BYTE_0
	s_nop 0
	v_mul_f32_e32 v34, s52, v33
	v_and_b32_e32 v33, 0x7f800000, v34
	v_cmp_ne_u32_e64 s[8:9], s50, v33
                                        ; implicit-def: $vgpr33
	s_and_saveexec_b64 s[42:43], s[8:9]
	s_xor_b64 s[8:9], exec, s[42:43]
; %bb.21:                               ;   in Loop: Header=BB293_13 Depth=1
	v_bfe_u32 v33, v34, 16, 1
	v_add3_u32 v33, v34, v33, s51
                                        ; implicit-def: $vgpr34
; %bb.22:                               ;   in Loop: Header=BB293_13 Depth=1
	s_andn2_saveexec_b64 s[42:43], s[8:9]
; %bb.23:                               ;   in Loop: Header=BB293_13 Depth=1
	v_or_b32_e32 v33, 0x10000, v34
	v_cmp_eq_u32_sdwa s[8:9], v34, v13 src0_sel:WORD_0 src1_sel:DWORD
	s_nop 1
	v_cndmask_b32_e64 v33, v33, v34, s[8:9]
; %bb.24:                               ;   in Loop: Header=BB293_13 Depth=1
	s_or_b64 exec, exec, s[42:43]
	global_load_ubyte v34, v[18:19], off offset:128
	s_waitcnt vmcnt(0)
	v_cvt_f32_fp8_sdwa v34, v34 src0_sel:BYTE_0
	s_nop 0
	v_mul_f32_e32 v35, s52, v34
	v_and_b32_e32 v34, 0x7f800000, v35
	v_cmp_ne_u32_e64 s[8:9], s50, v34
                                        ; implicit-def: $vgpr34
	s_and_saveexec_b64 s[42:43], s[8:9]
	s_xor_b64 s[8:9], exec, s[42:43]
; %bb.25:                               ;   in Loop: Header=BB293_13 Depth=1
	v_bfe_u32 v34, v35, 16, 1
	v_add3_u32 v34, v35, v34, s51
                                        ; implicit-def: $vgpr35
; %bb.26:                               ;   in Loop: Header=BB293_13 Depth=1
	s_andn2_saveexec_b64 s[42:43], s[8:9]
; %bb.27:                               ;   in Loop: Header=BB293_13 Depth=1
	v_or_b32_e32 v34, 0x10000, v35
	v_cmp_eq_u32_sdwa s[8:9], v35, v13 src0_sel:WORD_0 src1_sel:DWORD
	s_nop 1
	v_cndmask_b32_e64 v34, v34, v35, s[8:9]
; %bb.28:                               ;   in Loop: Header=BB293_13 Depth=1
	s_or_b64 exec, exec, s[42:43]
	global_load_ubyte v35, v[18:19], off offset:136
	s_waitcnt vmcnt(0)
	v_cvt_f32_fp8_sdwa v35, v35 src0_sel:BYTE_0
	s_nop 0
	v_mul_f32_e32 v36, s52, v35
	v_and_b32_e32 v35, 0x7f800000, v36
	v_cmp_ne_u32_e64 s[8:9], s50, v35
                                        ; implicit-def: $vgpr35
	s_and_saveexec_b64 s[42:43], s[8:9]
	s_xor_b64 s[8:9], exec, s[42:43]
; %bb.29:                               ;   in Loop: Header=BB293_13 Depth=1
	v_bfe_u32 v35, v36, 16, 1
	v_add3_u32 v35, v36, v35, s51
                                        ; implicit-def: $vgpr36
; %bb.30:                               ;   in Loop: Header=BB293_13 Depth=1
	s_andn2_saveexec_b64 s[42:43], s[8:9]
; %bb.31:                               ;   in Loop: Header=BB293_13 Depth=1
	v_or_b32_e32 v35, 0x10000, v36
	v_cmp_eq_u32_sdwa s[8:9], v36, v13 src0_sel:WORD_0 src1_sel:DWORD
	s_nop 1
	v_cndmask_b32_e64 v35, v35, v36, s[8:9]
; %bb.32:                               ;   in Loop: Header=BB293_13 Depth=1
	s_or_b64 exec, exec, s[42:43]
	global_load_ubyte v36, v[18:19], off offset:256
	s_waitcnt vmcnt(0)
	v_cvt_f32_fp8_sdwa v36, v36 src0_sel:BYTE_0
	s_nop 0
	v_mul_f32_e32 v37, s52, v36
	v_and_b32_e32 v36, 0x7f800000, v37
	v_cmp_ne_u32_e64 s[8:9], s50, v36
                                        ; implicit-def: $vgpr36
	s_and_saveexec_b64 s[42:43], s[8:9]
	s_xor_b64 s[8:9], exec, s[42:43]
; %bb.33:                               ;   in Loop: Header=BB293_13 Depth=1
	v_bfe_u32 v36, v37, 16, 1
	v_add3_u32 v36, v37, v36, s51
                                        ; implicit-def: $vgpr37
; %bb.34:                               ;   in Loop: Header=BB293_13 Depth=1
	s_andn2_saveexec_b64 s[42:43], s[8:9]
; %bb.35:                               ;   in Loop: Header=BB293_13 Depth=1
	v_or_b32_e32 v36, 0x10000, v37
	v_cmp_eq_u32_sdwa s[8:9], v37, v13 src0_sel:WORD_0 src1_sel:DWORD
	s_nop 1
	v_cndmask_b32_e64 v36, v36, v37, s[8:9]
; %bb.36:                               ;   in Loop: Header=BB293_13 Depth=1
	s_or_b64 exec, exec, s[42:43]
	global_load_ubyte v37, v[18:19], off offset:264
	s_waitcnt vmcnt(0)
	v_cvt_f32_fp8_sdwa v37, v37 src0_sel:BYTE_0
	s_nop 0
	v_mul_f32_e32 v38, s52, v37
	v_and_b32_e32 v37, 0x7f800000, v38
	v_cmp_ne_u32_e64 s[8:9], s50, v37
                                        ; implicit-def: $vgpr37
	s_and_saveexec_b64 s[42:43], s[8:9]
	s_xor_b64 s[8:9], exec, s[42:43]
; %bb.37:                               ;   in Loop: Header=BB293_13 Depth=1
	v_bfe_u32 v37, v38, 16, 1
	v_add3_u32 v37, v38, v37, s51
                                        ; implicit-def: $vgpr38
; %bb.38:                               ;   in Loop: Header=BB293_13 Depth=1
	s_andn2_saveexec_b64 s[42:43], s[8:9]
; %bb.39:                               ;   in Loop: Header=BB293_13 Depth=1
	v_or_b32_e32 v37, 0x10000, v38
	v_cmp_eq_u32_sdwa s[8:9], v38, v13 src0_sel:WORD_0 src1_sel:DWORD
	s_nop 1
	v_cndmask_b32_e64 v37, v37, v38, s[8:9]
; %bb.40:                               ;   in Loop: Header=BB293_13 Depth=1
	s_or_b64 exec, exec, s[42:43]
	global_load_ubyte v38, v[18:19], off offset:384
	s_waitcnt vmcnt(0)
	v_cvt_f32_fp8_sdwa v38, v38 src0_sel:BYTE_0
	s_nop 0
	v_mul_f32_e32 v39, s52, v38
	v_and_b32_e32 v38, 0x7f800000, v39
	v_cmp_ne_u32_e64 s[8:9], s50, v38
                                        ; implicit-def: $vgpr38
	s_and_saveexec_b64 s[42:43], s[8:9]
	s_xor_b64 s[8:9], exec, s[42:43]
; %bb.41:                               ;   in Loop: Header=BB293_13 Depth=1
	v_bfe_u32 v38, v39, 16, 1
	v_add3_u32 v38, v39, v38, s51
                                        ; implicit-def: $vgpr39
; %bb.42:                               ;   in Loop: Header=BB293_13 Depth=1
	s_andn2_saveexec_b64 s[42:43], s[8:9]
; %bb.43:                               ;   in Loop: Header=BB293_13 Depth=1
	v_or_b32_e32 v38, 0x10000, v39
	v_cmp_eq_u32_sdwa s[8:9], v39, v13 src0_sel:WORD_0 src1_sel:DWORD
	s_nop 1
	v_cndmask_b32_e64 v38, v38, v39, s[8:9]
; %bb.44:                               ;   in Loop: Header=BB293_13 Depth=1
	s_or_b64 exec, exec, s[42:43]
	global_load_ubyte v39, v[18:19], off offset:392
	s_waitcnt vmcnt(0)
	v_cvt_f32_fp8_sdwa v39, v39 src0_sel:BYTE_0
	s_nop 0
	v_mul_f32_e32 v40, s52, v39
	v_and_b32_e32 v39, 0x7f800000, v40
	v_cmp_ne_u32_e64 s[8:9], s50, v39
                                        ; implicit-def: $vgpr39
	s_and_saveexec_b64 s[42:43], s[8:9]
	s_xor_b64 s[8:9], exec, s[42:43]
; %bb.45:                               ;   in Loop: Header=BB293_13 Depth=1
	v_bfe_u32 v39, v40, 16, 1
	v_add3_u32 v39, v40, v39, s51
                                        ; implicit-def: $vgpr40
; %bb.46:                               ;   in Loop: Header=BB293_13 Depth=1
	s_andn2_saveexec_b64 s[42:43], s[8:9]
; %bb.47:                               ;   in Loop: Header=BB293_13 Depth=1
	v_or_b32_e32 v39, 0x10000, v40
	v_cmp_eq_u32_sdwa s[8:9], v40, v13 src0_sel:WORD_0 src1_sel:DWORD
	s_nop 1
	v_cndmask_b32_e64 v39, v39, v40, s[8:9]
; %bb.48:                               ;   in Loop: Header=BB293_13 Depth=1
	s_or_b64 exec, exec, s[42:43]
	global_load_ubyte v40, v[18:19], off offset:512
	s_waitcnt vmcnt(0)
	v_cvt_f32_fp8_sdwa v40, v40 src0_sel:BYTE_0
	s_nop 0
	v_mul_f32_e32 v41, s52, v40
	v_and_b32_e32 v40, 0x7f800000, v41
	v_cmp_ne_u32_e64 s[8:9], s50, v40
                                        ; implicit-def: $vgpr40
	s_and_saveexec_b64 s[42:43], s[8:9]
	s_xor_b64 s[8:9], exec, s[42:43]
; %bb.49:                               ;   in Loop: Header=BB293_13 Depth=1
	v_bfe_u32 v40, v41, 16, 1
	v_add3_u32 v40, v41, v40, s51
                                        ; implicit-def: $vgpr41
; %bb.50:                               ;   in Loop: Header=BB293_13 Depth=1
	s_andn2_saveexec_b64 s[42:43], s[8:9]
; %bb.51:                               ;   in Loop: Header=BB293_13 Depth=1
	v_or_b32_e32 v40, 0x10000, v41
	v_cmp_eq_u32_sdwa s[8:9], v41, v13 src0_sel:WORD_0 src1_sel:DWORD
	s_nop 1
	v_cndmask_b32_e64 v40, v40, v41, s[8:9]
; %bb.52:                               ;   in Loop: Header=BB293_13 Depth=1
	s_or_b64 exec, exec, s[42:43]
	global_load_ubyte v41, v[18:19], off offset:520
	s_waitcnt vmcnt(0)
	v_cvt_f32_fp8_sdwa v41, v41 src0_sel:BYTE_0
	s_nop 0
	v_mul_f32_e32 v42, s52, v41
	v_and_b32_e32 v41, 0x7f800000, v42
	v_cmp_ne_u32_e64 s[8:9], s50, v41
                                        ; implicit-def: $vgpr41
	s_and_saveexec_b64 s[42:43], s[8:9]
	s_xor_b64 s[8:9], exec, s[42:43]
; %bb.53:                               ;   in Loop: Header=BB293_13 Depth=1
	v_bfe_u32 v41, v42, 16, 1
	v_add3_u32 v41, v42, v41, s51
                                        ; implicit-def: $vgpr42
; %bb.54:                               ;   in Loop: Header=BB293_13 Depth=1
	s_andn2_saveexec_b64 s[42:43], s[8:9]
; %bb.55:                               ;   in Loop: Header=BB293_13 Depth=1
	v_or_b32_e32 v41, 0x10000, v42
	v_cmp_eq_u32_sdwa s[8:9], v42, v13 src0_sel:WORD_0 src1_sel:DWORD
	s_nop 1
	v_cndmask_b32_e64 v41, v41, v42, s[8:9]
; %bb.56:                               ;   in Loop: Header=BB293_13 Depth=1
	s_or_b64 exec, exec, s[42:43]
	global_load_ubyte v42, v[18:19], off offset:640
	s_waitcnt vmcnt(0)
	v_cvt_f32_fp8_sdwa v42, v42 src0_sel:BYTE_0
	s_nop 0
	v_mul_f32_e32 v43, s52, v42
	v_and_b32_e32 v42, 0x7f800000, v43
	v_cmp_ne_u32_e64 s[8:9], s50, v42
                                        ; implicit-def: $vgpr42
	s_and_saveexec_b64 s[42:43], s[8:9]
	s_xor_b64 s[8:9], exec, s[42:43]
; %bb.57:                               ;   in Loop: Header=BB293_13 Depth=1
	v_bfe_u32 v42, v43, 16, 1
	v_add3_u32 v42, v43, v42, s51
                                        ; implicit-def: $vgpr43
; %bb.58:                               ;   in Loop: Header=BB293_13 Depth=1
	s_andn2_saveexec_b64 s[42:43], s[8:9]
; %bb.59:                               ;   in Loop: Header=BB293_13 Depth=1
	v_or_b32_e32 v42, 0x10000, v43
	v_cmp_eq_u32_sdwa s[8:9], v43, v13 src0_sel:WORD_0 src1_sel:DWORD
	s_nop 1
	v_cndmask_b32_e64 v42, v42, v43, s[8:9]
; %bb.60:                               ;   in Loop: Header=BB293_13 Depth=1
	s_or_b64 exec, exec, s[42:43]
	global_load_ubyte v43, v[18:19], off offset:648
	s_waitcnt vmcnt(0)
	v_cvt_f32_fp8_sdwa v43, v43 src0_sel:BYTE_0
	s_nop 0
	v_mul_f32_e32 v44, s52, v43
	v_and_b32_e32 v43, 0x7f800000, v44
	v_cmp_ne_u32_e64 s[8:9], s50, v43
                                        ; implicit-def: $vgpr43
	s_and_saveexec_b64 s[42:43], s[8:9]
	s_xor_b64 s[8:9], exec, s[42:43]
; %bb.61:                               ;   in Loop: Header=BB293_13 Depth=1
	v_bfe_u32 v43, v44, 16, 1
	v_add3_u32 v43, v44, v43, s51
                                        ; implicit-def: $vgpr44
; %bb.62:                               ;   in Loop: Header=BB293_13 Depth=1
	s_andn2_saveexec_b64 s[42:43], s[8:9]
; %bb.63:                               ;   in Loop: Header=BB293_13 Depth=1
	v_or_b32_e32 v43, 0x10000, v44
	v_cmp_eq_u32_sdwa s[8:9], v44, v13 src0_sel:WORD_0 src1_sel:DWORD
	s_nop 1
	v_cndmask_b32_e64 v43, v43, v44, s[8:9]
; %bb.64:                               ;   in Loop: Header=BB293_13 Depth=1
	s_or_b64 exec, exec, s[42:43]
	global_load_ubyte v44, v[18:19], off offset:768
	s_waitcnt vmcnt(0)
	v_cvt_f32_fp8_sdwa v44, v44 src0_sel:BYTE_0
	s_nop 0
	v_mul_f32_e32 v45, s52, v44
	v_and_b32_e32 v44, 0x7f800000, v45
	v_cmp_ne_u32_e64 s[8:9], s50, v44
                                        ; implicit-def: $vgpr44
	s_and_saveexec_b64 s[42:43], s[8:9]
	s_xor_b64 s[8:9], exec, s[42:43]
; %bb.65:                               ;   in Loop: Header=BB293_13 Depth=1
	v_bfe_u32 v44, v45, 16, 1
	v_add3_u32 v44, v45, v44, s51
                                        ; implicit-def: $vgpr45
; %bb.66:                               ;   in Loop: Header=BB293_13 Depth=1
	s_andn2_saveexec_b64 s[42:43], s[8:9]
; %bb.67:                               ;   in Loop: Header=BB293_13 Depth=1
	v_or_b32_e32 v44, 0x10000, v45
	v_cmp_eq_u32_sdwa s[8:9], v45, v13 src0_sel:WORD_0 src1_sel:DWORD
	s_nop 1
	v_cndmask_b32_e64 v44, v44, v45, s[8:9]
; %bb.68:                               ;   in Loop: Header=BB293_13 Depth=1
	s_or_b64 exec, exec, s[42:43]
	global_load_ubyte v45, v[18:19], off offset:776
	s_waitcnt vmcnt(0)
	v_cvt_f32_fp8_sdwa v45, v45 src0_sel:BYTE_0
	s_nop 0
	v_mul_f32_e32 v46, s52, v45
	v_and_b32_e32 v45, 0x7f800000, v46
	v_cmp_ne_u32_e64 s[8:9], s50, v45
                                        ; implicit-def: $vgpr45
	s_and_saveexec_b64 s[42:43], s[8:9]
	s_xor_b64 s[8:9], exec, s[42:43]
; %bb.69:                               ;   in Loop: Header=BB293_13 Depth=1
	v_bfe_u32 v45, v46, 16, 1
	v_add3_u32 v45, v46, v45, s51
                                        ; implicit-def: $vgpr46
; %bb.70:                               ;   in Loop: Header=BB293_13 Depth=1
	s_andn2_saveexec_b64 s[42:43], s[8:9]
; %bb.71:                               ;   in Loop: Header=BB293_13 Depth=1
	v_or_b32_e32 v45, 0x10000, v46
	v_cmp_eq_u32_sdwa s[8:9], v46, v13 src0_sel:WORD_0 src1_sel:DWORD
	s_nop 1
	v_cndmask_b32_e64 v45, v45, v46, s[8:9]
; %bb.72:                               ;   in Loop: Header=BB293_13 Depth=1
	s_or_b64 exec, exec, s[42:43]
	global_load_ubyte v18, v[18:19], off offset:896
	s_waitcnt vmcnt(0)
	v_cvt_f32_fp8_sdwa v18, v18 src0_sel:BYTE_0
	s_nop 0
	v_mul_f32_e32 v19, s52, v18
	v_and_b32_e32 v18, 0x7f800000, v19
	v_cmp_ne_u32_e64 s[8:9], s50, v18
                                        ; implicit-def: $vgpr18
	s_and_saveexec_b64 s[42:43], s[8:9]
	s_xor_b64 s[8:9], exec, s[42:43]
; %bb.73:                               ;   in Loop: Header=BB293_13 Depth=1
	v_bfe_u32 v18, v19, 16, 1
	v_add3_u32 v18, v19, v18, s51
                                        ; implicit-def: $vgpr19
; %bb.74:                               ;   in Loop: Header=BB293_13 Depth=1
	s_andn2_saveexec_b64 s[42:43], s[8:9]
; %bb.75:                               ;   in Loop: Header=BB293_13 Depth=1
	v_or_b32_e32 v18, 0x10000, v19
	v_cmp_eq_u32_sdwa s[8:9], v19, v13 src0_sel:WORD_0 src1_sel:DWORD
	s_nop 1
	v_cndmask_b32_e64 v18, v18, v19, s[8:9]
; %bb.76:                               ;   in Loop: Header=BB293_13 Depth=1
	s_or_b64 exec, exec, s[42:43]
	v_and_b32_e32 v19, 0xffff0000, v45
	v_and_b32_e32 v33, 0xffff0000, v33
	v_lshlrev_b32_e32 v45, 16, v2
	v_and_b32_e32 v2, 0xffff0000, v2
	v_and_b32_e32 v32, 0xffff0000, v32
	v_mul_f32_e32 v2, v2, v33
	v_and_b32_e32 v34, 0xffff0000, v34
	v_lshlrev_b32_e32 v46, 16, v3
	v_fmac_f32_e32 v2, v45, v32
	v_and_b32_e32 v35, 0xffff0000, v35
	v_and_b32_e32 v3, 0xffff0000, v3
	v_fmac_f32_e32 v2, v46, v34
	v_and_b32_e32 v36, 0xffff0000, v36
	v_lshlrev_b32_e32 v47, 16, v4
	v_fmac_f32_e32 v2, v3, v35
	v_and_b32_e32 v37, 0xffff0000, v37
	v_and_b32_e32 v4, 0xffff0000, v4
	v_fmac_f32_e32 v2, v47, v36
	v_and_b32_e32 v38, 0xffff0000, v38
	v_lshlrev_b32_e32 v48, 16, v5
	v_fmac_f32_e32 v2, v4, v37
	v_and_b32_e32 v39, 0xffff0000, v39
	v_and_b32_e32 v5, 0xffff0000, v5
	v_fmac_f32_e32 v2, v48, v38
	v_and_b32_e32 v40, 0xffff0000, v40
	v_lshlrev_b32_e32 v49, 16, v6
	v_fmac_f32_e32 v2, v5, v39
	v_and_b32_e32 v41, 0xffff0000, v41
	v_and_b32_e32 v6, 0xffff0000, v6
	v_fmac_f32_e32 v2, v49, v40
	v_and_b32_e32 v42, 0xffff0000, v42
	v_lshlrev_b32_e32 v50, 16, v7
	v_fmac_f32_e32 v2, v6, v41
	v_and_b32_e32 v43, 0xffff0000, v43
	v_and_b32_e32 v7, 0xffff0000, v7
	;; [unrolled: 1-line block ×3, first 2 shown]
	v_fmac_f32_e32 v2, v50, v42
	v_and_b32_e32 v44, 0xffff0000, v44
	v_lshlrev_b32_e32 v51, 16, v8
	v_add_u32_e32 v52, 64, v52
	v_xor_b32_e32 v53, 4, v29
	v_fmac_f32_e32 v2, v7, v43
	v_and_b32_e32 v8, 0xffff0000, v8
	v_cmp_lt_i32_e64 s[8:9], v53, v52
	v_fmac_f32_e32 v2, v51, v44
	v_lshlrev_b32_e32 v31, 16, v31
	v_cndmask_b32_e64 v53, v29, v53, s[8:9]
	v_and_b32_e32 v18, 0xffff0000, v18
	v_fmac_f32_e32 v2, v8, v19
	v_lshlrev_b32_e32 v53, 2, v53
	v_fmac_f32_e32 v2, v31, v18
	ds_bpermute_b32 v3, v53, v2
	v_xor_b32_e32 v4, 2, v29
	v_cmp_lt_i32_e64 s[8:9], v4, v52
	s_waitcnt lgkmcnt(0)
	v_add_f32_e32 v2, v2, v3
	v_cndmask_b32_e64 v4, v29, v4, s[8:9]
	v_lshlrev_b32_e32 v4, 2, v4
	ds_bpermute_b32 v3, v4, v2
	v_xor_b32_e32 v4, 1, v29
	v_cmp_lt_i32_e64 s[8:9], v4, v52
	s_waitcnt lgkmcnt(0)
	v_add_f32_e32 v2, v2, v3
	v_cndmask_b32_e64 v4, v29, v4, s[8:9]
	v_lshlrev_b32_e32 v4, 2, v4
	ds_bpermute_b32 v3, v4, v2
	s_and_saveexec_b64 s[42:43], vcc
	s_cbranch_execz .LBB293_11
; %bb.77:                               ;   in Loop: Header=BB293_13 Depth=1
	v_add_u32_e32 v4, v27, v25
	v_cvt_f32_i32_e32 v4, v4
	s_waitcnt lgkmcnt(0)
	v_add_f32_e32 v2, v2, v3
	v_add_u32_e32 v5, v21, v25
	v_cmp_gt_i32_e64 s[8:9], s25, v5
	v_mul_f32_e32 v3, s46, v4
	v_cndmask_b32_e64 v3, 0, v3, s[0:1]
	v_fmac_f32_e32 v3, s39, v2
	v_cndmask_b32_e64 v2, 0, v3, s[8:9]
	ds_write_b32 v26, v2
	v_max_f32_e32 v2, v23, v23
	v_max_f32_e32 v2, v2, v3
	v_cndmask_b32_e64 v23, v23, v2, s[8:9]
	s_branch .LBB293_11
.LBB293_78:
	s_or_b64 exec, exec, s[40:41]
.LBB293_79:
	s_or_b64 exec, exec, s[18:19]
	v_mbcnt_hi_u32_b32 v2, -1, v20
	s_waitcnt lgkmcnt(0)
	v_and_b32_e32 v3, 64, v2
	v_add_u32_e32 v3, 64, v3
	v_xor_b32_e32 v4, 32, v2
	v_cmp_lt_i32_e32 vcc, v4, v3
	v_xor_b32_e32 v7, 16, v2
	v_max_f32_e32 v6, v23, v23
	v_cndmask_b32_e32 v4, v2, v4, vcc
	v_lshlrev_b32_e32 v5, 2, v4
	ds_bpermute_b32 v4, v5, v23
	v_cmp_lt_i32_e32 vcc, v7, v3
	v_xor_b32_e32 v8, 8, v2
	v_and_b32_e32 v20, 63, v0
	s_waitcnt lgkmcnt(0)
	v_max_f32_e32 v4, v4, v4
	v_max_f32_e32 v4, v6, v4
	v_cndmask_b32_e32 v6, v2, v7, vcc
	v_lshlrev_b32_e32 v7, 2, v6
	ds_bpermute_b32 v6, v7, v4
	v_cmp_lt_i32_e32 vcc, v8, v3
	s_waitcnt lgkmcnt(0)
	v_max_f32_e32 v6, v6, v6
	v_max_f32_e32 v6, v4, v6
	v_cndmask_b32_e32 v4, v2, v8, vcc
	v_lshlrev_b32_e32 v12, 2, v4
	ds_bpermute_b32 v8, v12, v6
	v_cmp_eq_u32_e32 vcc, 0, v20
	v_lshlrev_b32_e32 v4, 2, v1
	s_and_saveexec_b64 s[0:1], vcc
	s_cbranch_execz .LBB293_81
; %bb.80:
	s_waitcnt lgkmcnt(0)
	v_max_f32_e32 v8, v8, v8
	v_max_f32_e32 v6, v6, v6
	;; [unrolled: 1-line block ×3, first 2 shown]
	ds_write_b32 v4, v6 offset:240
.LBB293_81:
	s_or_b64 exec, exec, s[0:1]
	v_cmp_gt_u32_e64 s[0:1], 2, v20
	v_mov_b32_e32 v13, 0xff7fffff
	v_lshlrev_b32_e32 v6, 2, v20
	s_waitcnt lgkmcnt(0)
	s_barrier
	s_and_saveexec_b64 s[8:9], s[0:1]
	s_cbranch_execz .LBB293_83
; %bb.82:
	ds_read_b32 v13, v6 offset:240
.LBB293_83:
	s_or_b64 exec, exec, s[8:9]
	v_xor_b32_e32 v8, 1, v2
	v_cmp_lt_i32_e64 s[8:9], v8, v3
	v_lshlrev_b32_e32 v15, 2, v2
	s_nop 0
	v_cndmask_b32_e64 v8, v2, v8, s[8:9]
	v_lshlrev_b32_e32 v8, 2, v8
	s_waitcnt lgkmcnt(0)
	ds_bpermute_b32 v14, v8, v13
	v_max_f32_e32 v13, v13, v13
	s_lshl_b32 s8, s45, 3
	s_min_i32 s39, s8, s25
	v_cmp_gt_i32_e64 s[8:9], s39, v0
	s_waitcnt lgkmcnt(0)
	v_max_f32_e32 v14, v14, v14
	v_max_f32_e32 v14, v13, v14
	v_and_b32_e32 v13, 0x100, v15
	ds_bpermute_b32 v15, v13, v14
	v_mov_b32_e32 v14, 0
	s_and_saveexec_b64 s[12:13], s[8:9]
	s_cbranch_execz .LBB293_87
; %bb.84:
	v_mov_b32_e32 v14, 0x100
	v_lshl_add_u32 v16, v0, 2, v14
	s_mov_b64 s[18:19], 0
	v_mov_b32_e32 v14, 0
	v_mov_b32_e32 v17, v0
.LBB293_85:                             ; =>This Inner Loop Header: Depth=1
	ds_read_b32 v18, v16
	v_add_u32_e32 v17, 0x80, v17
	v_cmp_le_i32_e64 s[10:11], s39, v17
	s_or_b64 s[18:19], s[10:11], s[18:19]
	s_waitcnt lgkmcnt(0)
	v_sub_f32_e32 v18, v18, v15
	v_mul_f32_e32 v18, 0x3fb8aa3b, v18
	v_exp_f32_e32 v18, v18
	ds_write_b32 v16, v18
	v_add_f32_e32 v14, v14, v18
	v_add_u32_e32 v16, 0x200, v16
	s_andn2_b64 exec, exec, s[18:19]
	s_cbranch_execnz .LBB293_85
; %bb.86:
	s_or_b64 exec, exec, s[18:19]
.LBB293_87:
	s_or_b64 exec, exec, s[12:13]
	ds_bpermute_b32 v5, v5, v14
	s_waitcnt lgkmcnt(0)
	v_add_f32_e32 v5, v14, v5
	ds_bpermute_b32 v7, v7, v5
	s_waitcnt lgkmcnt(0)
	v_add_f32_e32 v5, v5, v7
	ds_bpermute_b32 v7, v12, v5
	v_xor_b32_e32 v12, 4, v2
	v_cmp_lt_i32_e64 s[10:11], v12, v3
	s_waitcnt lgkmcnt(0)
	v_add_f32_e32 v5, v5, v7
	v_cndmask_b32_e64 v12, v2, v12, s[10:11]
	v_lshlrev_b32_e32 v12, 2, v12
	ds_bpermute_b32 v7, v12, v5
	v_xor_b32_e32 v12, 2, v2
	v_cmp_lt_i32_e64 s[10:11], v12, v3
	s_waitcnt lgkmcnt(0)
	v_add_f32_e32 v3, v5, v7
	v_cndmask_b32_e64 v2, v2, v12, s[10:11]
	v_lshlrev_b32_e32 v2, 2, v2
	ds_bpermute_b32 v2, v2, v3
	s_waitcnt lgkmcnt(0)
	v_add_f32_e32 v2, v3, v2
	ds_bpermute_b32 v3, v8, v2
	s_waitcnt lgkmcnt(0)
	v_add_f32_e32 v2, v2, v3
	s_and_saveexec_b64 s[10:11], vcc
	s_cbranch_execz .LBB293_89
; %bb.88:
	ds_write_b32 v4, v2 offset:248
.LBB293_89:
	s_or_b64 exec, exec, s[10:11]
	s_waitcnt lgkmcnt(0)
	s_barrier
	s_and_saveexec_b64 s[10:11], s[0:1]
	s_cbranch_execz .LBB293_91
; %bb.90:
	ds_read_b32 v2, v6 offset:248
.LBB293_91:
	s_or_b64 exec, exec, s[10:11]
	s_waitcnt lgkmcnt(0)
	ds_bpermute_b32 v3, v8, v2
	s_waitcnt lgkmcnt(0)
	v_add_f32_e32 v2, v2, v3
	ds_bpermute_b32 v2, v13, v2
	s_and_saveexec_b64 s[0:1], s[8:9]
	s_cbranch_execz .LBB293_104
; %bb.92:
	s_waitcnt lgkmcnt(0)
	v_add_f32_e32 v2, 0x358637bd, v2
	v_div_scale_f32 v3, s[8:9], v2, v2, 1.0
	v_rcp_f32_e32 v4, v3
	v_div_scale_f32 v5, vcc, 1.0, v2, 1.0
	s_movk_i32 s8, 0x7f
	v_fma_f32 v6, -v3, v4, 1.0
	v_fmac_f32_e32 v4, v6, v4
	v_mul_f32_e32 v6, v5, v4
	v_fma_f32 v7, -v3, v6, v5
	v_fmac_f32_e32 v6, v7, v4
	v_fma_f32 v3, -v3, v6, v5
	v_div_fmas_f32 v3, v3, v4, v6
	v_xad_u32 v4, v0, -1, s39
	v_div_fixup_f32 v2, v3, v2, 1.0
	v_cmp_lt_u32_e32 vcc, s8, v4
	s_mov_b64 s[10:11], -1
	v_mov_b32_e32 v3, v0
	s_and_saveexec_b64 s[8:9], vcc
	s_cbranch_execz .LBB293_101
; %bb.93:
	v_lshrrev_b32_e32 v4, 7, v4
	v_add_u32_e32 v6, -1, v4
	v_lshrrev_b32_e32 v5, 1, v6
	v_mov_b32_e32 v3, v2
	v_add_u32_e32 v5, 1, v5
	v_cmp_lt_u32_e32 vcc, 13, v6
	v_mov_b32_e32 v8, 0
	s_and_saveexec_b64 s[10:11], vcc
	s_cbranch_execz .LBB293_97
; %bb.94:
	v_mov_b32_e32 v7, 0x100
	v_and_b32_e32 v6, -8, v5
	v_lshl_add_u32 v7, v0, 2, v7
	s_mov_b32 s18, 0
	s_mov_b64 s[12:13], 0
.LBB293_95:                             ; =>This Inner Loop Header: Depth=1
	ds_read2st64_b32 v[12:13], v7 offset1:2
	ds_read2st64_b32 v[14:15], v7 offset0:4 offset1:6
	ds_read2st64_b32 v[16:17], v7 offset0:8 offset1:10
	;; [unrolled: 1-line block ×3, first 2 shown]
	v_add_u32_e32 v6, -8, v6
	s_waitcnt lgkmcnt(3)
	v_pk_mul_f32 v[12:13], v[2:3], v[12:13]
	s_waitcnt lgkmcnt(2)
	v_pk_mul_f32 v[14:15], v[2:3], v[14:15]
	ds_write2st64_b32 v7, v12, v13 offset1:2
	ds_write2st64_b32 v7, v14, v15 offset0:4 offset1:6
	ds_read2st64_b32 v[14:15], v7 offset0:16 offset1:18
	s_waitcnt lgkmcnt(4)
	v_pk_mul_f32 v[12:13], v[2:3], v[16:17]
	ds_write2st64_b32 v7, v12, v13 offset0:8 offset1:10
	s_waitcnt lgkmcnt(4)
	v_pk_mul_f32 v[12:13], v[2:3], v[18:19]
	ds_write2st64_b32 v7, v12, v13 offset0:12 offset1:14
	ds_read2st64_b32 v[12:13], v7 offset0:20 offset1:22
	s_waitcnt lgkmcnt(3)
	v_pk_mul_f32 v[14:15], v[2:3], v[14:15]
	ds_read2st64_b32 v[16:17], v7 offset0:24 offset1:26
	ds_write2st64_b32 v7, v14, v15 offset0:16 offset1:18
	ds_read2st64_b32 v[14:15], v7 offset0:28 offset1:30
	s_waitcnt lgkmcnt(3)
	v_pk_mul_f32 v[12:13], v[2:3], v[12:13]
	ds_write2st64_b32 v7, v12, v13 offset0:20 offset1:22
	s_waitcnt lgkmcnt(3)
	v_pk_mul_f32 v[12:13], v[2:3], v[16:17]
	ds_write2st64_b32 v7, v12, v13 offset0:24 offset1:26
	s_waitcnt lgkmcnt(2)
	v_pk_mul_f32 v[12:13], v[2:3], v[14:15]
	s_add_i32 s18, s18, 16
	v_cmp_eq_u32_e32 vcc, 0, v6
	ds_write2st64_b32 v7, v12, v13 offset0:28 offset1:30
	v_add_u32_e32 v7, 0x2000, v7
	s_or_b64 s[12:13], vcc, s[12:13]
	v_mov_b32_e32 v8, s18
	s_andn2_b64 exec, exec, s[12:13]
	s_cbranch_execnz .LBB293_95
; %bb.96:
	s_or_b64 exec, exec, s[12:13]
.LBB293_97:
	s_or_b64 exec, exec, s[10:11]
	v_and_b32_e32 v5, 7, v5
	v_cmp_ne_u32_e32 vcc, 0, v5
	s_and_saveexec_b64 s[10:11], vcc
	s_cbranch_execz .LBB293_100
; %bb.98:
	v_lshlrev_b32_e32 v6, 9, v8
	v_lshlrev_b32_e32 v7, 2, v0
	s_movk_i32 s12, 0x100
	v_add3_u32 v6, v6, v7, s12
	s_mov_b64 s[12:13], 0
.LBB293_99:                             ; =>This Inner Loop Header: Depth=1
	ds_read2st64_b32 v[12:13], v6 offset1:2
	v_add_u32_e32 v5, -1, v5
	v_cmp_eq_u32_e32 vcc, 0, v5
	s_or_b64 s[12:13], vcc, s[12:13]
	s_waitcnt lgkmcnt(0)
	v_pk_mul_f32 v[12:13], v[2:3], v[12:13]
	ds_write2st64_b32 v6, v12, v13 offset1:2
	v_add_u32_e32 v6, 0x400, v6
	s_andn2_b64 exec, exec, s[12:13]
	s_cbranch_execnz .LBB293_99
.LBB293_100:
	s_or_b64 exec, exec, s[10:11]
	v_add_u32_e32 v4, 1, v4
	v_and_b32_e32 v5, 0x3fffffe, v4
	v_cmp_ne_u32_e32 vcc, v4, v5
	v_lshl_add_u32 v3, v5, 7, v0
	s_orn2_b64 s[10:11], vcc, exec
.LBB293_101:
	s_or_b64 exec, exec, s[8:9]
	s_and_b64 exec, exec, s[10:11]
	s_cbranch_execz .LBB293_104
; %bb.102:
	v_mov_b32_e32 v4, 0x100
	v_lshl_add_u32 v4, v3, 2, v4
	s_mov_b64 s[8:9], 0
.LBB293_103:                            ; =>This Inner Loop Header: Depth=1
	ds_read_b32 v5, v4
	v_add_u32_e32 v3, 0x80, v3
	v_cmp_le_i32_e32 vcc, s39, v3
	s_or_b64 s[8:9], vcc, s[8:9]
	s_waitcnt lgkmcnt(0)
	v_mul_f32_e32 v5, v2, v5
	ds_write_b32 v4, v5
	v_add_u32_e32 v4, 0x200, v4
	s_andn2_b64 exec, exec, s[8:9]
	s_cbranch_execnz .LBB293_103
.LBB293_104:
	s_or_b64 exec, exec, s[0:1]
	v_mov_b32_e32 v13, 0
	v_mov_b32_e32 v12, v13
	s_waitcnt lgkmcnt(0)
	s_barrier
	s_and_saveexec_b64 s[8:9], s[2:3]
	s_cbranch_execz .LBB293_276
; %bb.105:
	s_sub_i32 s39, s16, s21
	s_ashr_i32 s0, s20, 31
	s_add_u32 s10, s36, s20
	s_addc_u32 s11, s37, s0
	s_abs_i32 s22, s22
	v_cvt_f32_u32_e32 v2, s22
	v_or_b32_e32 v3, 64, v20
	s_movk_i32 s0, 0x78
	v_cmp_gt_u32_e32 vcc, s0, v3
	v_rcp_iflag_f32_e32 v2, v2
	s_sub_i32 s0, 0, s22
	s_add_i32 s36, s45, -1
	v_lshlrev_b32_e32 v16, 3, v3
	v_mul_f32_e32 v2, 0x4f7ffffe, v2
	v_cvt_u32_f32_e32 v2, v2
	v_mov_b32_e32 v15, 0
	s_mov_b32 s40, s17
	v_lshlrev_b32_e32 v14, 3, v20
	v_mul_lo_u32 v3, s0, v2
	s_lshl_b64 s[0:1], s[34:35], 2
	v_mul_hi_u32 v3, v2, v3
	s_add_u32 s0, s30, s0
	v_add_u32_e32 v21, v2, v3
	v_and_b32_e32 v2, 60, v9
	v_mov_b32_e32 v3, v15
	s_addc_u32 s1, s31, s1
	v_lshl_add_u64 v[18:19], s[0:1], 0, v[2:3]
	v_mov_b32_e32 v2, 0x100
	v_mov_b32_e32 v17, v15
	v_lshl_add_u32 v22, v1, 5, v2
	s_mov_b64 s[12:13], 0
	s_mov_b32 s30, 0x7f800000
	s_movk_i32 s31, 0x7fff
	v_mov_b32_e32 v12, v15
	v_mov_b32_e32 v13, v15
	s_branch .LBB293_109
.LBB293_106:                            ;   in Loop: Header=BB293_109 Depth=1
	s_or_b64 exec, exec, s[2:3]
	v_and_b32_e32 v27, 0xffff0000, v5
	v_and_b32_e32 v26, 0xffff0000, v9
	;; [unrolled: 1-line block ×6, first 2 shown]
	v_pk_add_f32 v[4:5], v[4:5], v[8:9]
	v_and_b32_e32 v25, 0xffff0000, v24
	v_and_b32_e32 v24, 0xffff0000, v23
	v_mov_b32_e32 v6, v5
	v_pk_add_f32 v[4:5], v[4:5], v[6:7]
	v_pk_add_f32 v[6:7], v[26:27], v[24:25]
	s_nop 0
	v_pk_add_f32 v[4:5], v[4:5], v[6:7]
	v_mov_b32_e32 v6, v7
	v_pk_add_f32 v[4:5], v[4:5], v[6:7]
	s_nop 0
	v_mov_b32_e32 v3, v4
	v_pk_add_f32 v[12:13], v[12:13], v[2:3]
.LBB293_107:                            ;   in Loop: Header=BB293_109 Depth=1
	s_or_b64 exec, exec, s[18:19]
	v_mov_b32_e32 v12, v2
.LBB293_108:                            ;   in Loop: Header=BB293_109 Depth=1
	s_or_b64 exec, exec, s[16:17]
	v_add_u32_e32 v1, 2, v1
	v_cmp_le_i32_e64 s[0:1], s45, v1
	v_lshl_add_u64 v[18:19], v[18:19], 0, 8
	v_add_u32_e32 v11, 16, v11
	s_or_b64 s[12:13], s[0:1], s[12:13]
	v_add_u32_e32 v22, 64, v22
	s_andn2_b64 exec, exec, s[12:13]
	s_cbranch_execz .LBB293_275
.LBB293_109:                            ; =>This Inner Loop Header: Depth=1
	v_mul_hi_u32 v2, v11, s33
	v_mul_lo_u32 v3, v2, s27
	v_sub_u32_e32 v3, v11, v3
	v_add_u32_e32 v4, 1, v2
	v_cmp_le_u32_e64 s[0:1], s27, v3
	s_nop 1
	v_cndmask_b32_e64 v2, v2, v4, s[0:1]
	v_subrev_u32_e32 v4, s27, v3
	v_cndmask_b32_e64 v3, v3, v4, s[0:1]
	v_add_u32_e32 v4, 1, v2
	v_cmp_le_u32_e64 s[0:1], s27, v3
	s_nop 1
	v_cndmask_b32_e64 v2, v2, v4, s[0:1]
	v_xor_b32_e32 v2, s44, v2
	v_subrev_u32_e32 v2, s44, v2
	v_add_u32_e32 v3, s38, v2
	v_sub_u32_e32 v5, 0, v3
	v_ashrrev_i32_e32 v4, 31, v3
	v_max_i32_e32 v3, v3, v5
	v_mul_hi_u32 v5, v3, v21
	v_mul_lo_u32 v5, v5, s22
	v_sub_u32_e32 v3, v3, v5
	v_subrev_u32_e32 v5, s22, v3
	v_cmp_le_u32_e64 s[0:1], s22, v3
	v_cmp_lt_i32_e64 s[2:3], s39, v2
	s_nop 0
	v_cndmask_b32_e64 v3, v3, v5, s[0:1]
	v_subrev_u32_e32 v5, s22, v3
	v_cmp_le_u32_e64 s[0:1], s22, v3
	s_nop 1
	v_cndmask_b32_e64 v3, v3, v5, s[0:1]
	v_xor_b32_e32 v3, v3, v4
	v_sub_u32_e32 v3, v3, v4
	v_cmp_eq_u32_e64 s[0:1], 0, v3
	s_or_b64 s[0:1], s[0:1], s[2:3]
	s_and_saveexec_b64 s[16:17], s[0:1]
	s_cbranch_execz .LBB293_108
; %bb.110:                              ;   in Loop: Header=BB293_109 Depth=1
	global_load_dword v31, v[18:19], off
	ds_read2_b64 v[6:9], v22 offset1:1
	ds_read2_b64 v[2:5], v22 offset0:2 offset1:3
                                        ; implicit-def: $vgpr30
	s_waitcnt lgkmcnt(1)
	v_and_b32_e32 v23, 0x7f800000, v6
	v_cmp_ne_u32_e64 s[0:1], s30, v23
	s_and_saveexec_b64 s[2:3], s[0:1]
	s_xor_b64 s[0:1], exec, s[2:3]
; %bb.111:                              ;   in Loop: Header=BB293_109 Depth=1
	v_bfe_u32 v23, v6, 16, 1
	v_add3_u32 v30, v6, v23, s31
; %bb.112:                              ;   in Loop: Header=BB293_109 Depth=1
	s_andn2_saveexec_b64 s[2:3], s[0:1]
; %bb.113:                              ;   in Loop: Header=BB293_109 Depth=1
	v_or_b32_e32 v23, 0x10000, v6
	v_cmp_eq_u32_sdwa s[0:1], v6, v15 src0_sel:WORD_0 src1_sel:DWORD
	s_nop 1
	v_cndmask_b32_e64 v30, v23, v6, s[0:1]
; %bb.114:                              ;   in Loop: Header=BB293_109 Depth=1
	s_or_b64 exec, exec, s[2:3]
	v_and_b32_e32 v6, 0x7f800000, v7
	v_cmp_ne_u32_e64 s[0:1], s30, v6
                                        ; implicit-def: $vgpr29
	s_and_saveexec_b64 s[2:3], s[0:1]
	s_xor_b64 s[0:1], exec, s[2:3]
; %bb.115:                              ;   in Loop: Header=BB293_109 Depth=1
	v_bfe_u32 v6, v7, 16, 1
	v_add3_u32 v29, v7, v6, s31
; %bb.116:                              ;   in Loop: Header=BB293_109 Depth=1
	s_andn2_saveexec_b64 s[2:3], s[0:1]
; %bb.117:                              ;   in Loop: Header=BB293_109 Depth=1
	v_or_b32_e32 v6, 0x10000, v7
	v_cmp_eq_u32_sdwa s[0:1], v7, v15 src0_sel:WORD_0 src1_sel:DWORD
	s_nop 1
	v_cndmask_b32_e64 v29, v6, v7, s[0:1]
; %bb.118:                              ;   in Loop: Header=BB293_109 Depth=1
	s_or_b64 exec, exec, s[2:3]
	v_and_b32_e32 v6, 0x7f800000, v8
	v_cmp_ne_u32_e64 s[0:1], s30, v6
                                        ; implicit-def: $vgpr28
	s_and_saveexec_b64 s[2:3], s[0:1]
	s_xor_b64 s[0:1], exec, s[2:3]
; %bb.119:                              ;   in Loop: Header=BB293_109 Depth=1
	v_bfe_u32 v6, v8, 16, 1
	v_add3_u32 v28, v8, v6, s31
; %bb.120:                              ;   in Loop: Header=BB293_109 Depth=1
	s_andn2_saveexec_b64 s[2:3], s[0:1]
; %bb.121:                              ;   in Loop: Header=BB293_109 Depth=1
	v_or_b32_e32 v6, 0x10000, v8
	v_cmp_eq_u32_sdwa s[0:1], v8, v15 src0_sel:WORD_0 src1_sel:DWORD
	s_nop 1
	v_cndmask_b32_e64 v28, v6, v8, s[0:1]
; %bb.122:                              ;   in Loop: Header=BB293_109 Depth=1
	s_or_b64 exec, exec, s[2:3]
	v_and_b32_e32 v6, 0x7f800000, v9
	v_cmp_ne_u32_e64 s[0:1], s30, v6
                                        ; implicit-def: $vgpr27
	s_and_saveexec_b64 s[2:3], s[0:1]
	s_xor_b64 s[0:1], exec, s[2:3]
; %bb.123:                              ;   in Loop: Header=BB293_109 Depth=1
	v_bfe_u32 v6, v9, 16, 1
	v_add3_u32 v27, v9, v6, s31
                                        ; implicit-def: $vgpr6_vgpr7_vgpr8_vgpr9
; %bb.124:                              ;   in Loop: Header=BB293_109 Depth=1
	s_andn2_saveexec_b64 s[2:3], s[0:1]
; %bb.125:                              ;   in Loop: Header=BB293_109 Depth=1
	v_or_b32_e32 v6, 0x10000, v9
	v_cmp_eq_u32_sdwa s[0:1], v9, v15 src0_sel:WORD_0 src1_sel:DWORD
	s_nop 1
	v_cndmask_b32_e64 v27, v6, v9, s[0:1]
; %bb.126:                              ;   in Loop: Header=BB293_109 Depth=1
	s_or_b64 exec, exec, s[2:3]
	s_waitcnt lgkmcnt(0)
	v_and_b32_e32 v6, 0x7f800000, v2
	v_cmp_ne_u32_e64 s[0:1], s30, v6
                                        ; implicit-def: $vgpr23
	s_and_saveexec_b64 s[2:3], s[0:1]
	s_xor_b64 s[0:1], exec, s[2:3]
; %bb.127:                              ;   in Loop: Header=BB293_109 Depth=1
	v_bfe_u32 v6, v2, 16, 1
	v_add3_u32 v23, v2, v6, s31
; %bb.128:                              ;   in Loop: Header=BB293_109 Depth=1
	s_andn2_saveexec_b64 s[2:3], s[0:1]
; %bb.129:                              ;   in Loop: Header=BB293_109 Depth=1
	v_or_b32_e32 v6, 0x10000, v2
	v_cmp_eq_u32_sdwa s[0:1], v2, v15 src0_sel:WORD_0 src1_sel:DWORD
	s_nop 1
	v_cndmask_b32_e64 v23, v6, v2, s[0:1]
; %bb.130:                              ;   in Loop: Header=BB293_109 Depth=1
	s_or_b64 exec, exec, s[2:3]
	v_and_b32_e32 v2, 0x7f800000, v3
	v_cmp_ne_u32_e64 s[0:1], s30, v2
                                        ; implicit-def: $vgpr24
	s_and_saveexec_b64 s[2:3], s[0:1]
	s_xor_b64 s[0:1], exec, s[2:3]
; %bb.131:                              ;   in Loop: Header=BB293_109 Depth=1
	v_bfe_u32 v2, v3, 16, 1
	v_add3_u32 v24, v3, v2, s31
; %bb.132:                              ;   in Loop: Header=BB293_109 Depth=1
	s_andn2_saveexec_b64 s[2:3], s[0:1]
; %bb.133:                              ;   in Loop: Header=BB293_109 Depth=1
	v_or_b32_e32 v2, 0x10000, v3
	v_cmp_eq_u32_sdwa s[0:1], v3, v15 src0_sel:WORD_0 src1_sel:DWORD
	s_nop 1
	v_cndmask_b32_e64 v24, v2, v3, s[0:1]
; %bb.134:                              ;   in Loop: Header=BB293_109 Depth=1
	s_or_b64 exec, exec, s[2:3]
	v_and_b32_e32 v2, 0x7f800000, v4
	v_cmp_ne_u32_e64 s[0:1], s30, v2
                                        ; implicit-def: $vgpr25
	s_and_saveexec_b64 s[2:3], s[0:1]
	s_xor_b64 s[0:1], exec, s[2:3]
; %bb.135:                              ;   in Loop: Header=BB293_109 Depth=1
	v_bfe_u32 v2, v4, 16, 1
	v_add3_u32 v25, v4, v2, s31
; %bb.136:                              ;   in Loop: Header=BB293_109 Depth=1
	s_andn2_saveexec_b64 s[2:3], s[0:1]
; %bb.137:                              ;   in Loop: Header=BB293_109 Depth=1
	v_or_b32_e32 v2, 0x10000, v4
	v_cmp_eq_u32_sdwa s[0:1], v4, v15 src0_sel:WORD_0 src1_sel:DWORD
	s_nop 1
	v_cndmask_b32_e64 v25, v2, v4, s[0:1]
; %bb.138:                              ;   in Loop: Header=BB293_109 Depth=1
	s_or_b64 exec, exec, s[2:3]
	v_and_b32_e32 v2, 0x7f800000, v5
	v_cmp_ne_u32_e64 s[0:1], s30, v2
                                        ; implicit-def: $vgpr26
	s_and_saveexec_b64 s[2:3], s[0:1]
	s_xor_b64 s[0:1], exec, s[2:3]
; %bb.139:                              ;   in Loop: Header=BB293_109 Depth=1
	v_bfe_u32 v2, v5, 16, 1
	v_add3_u32 v26, v5, v2, s31
                                        ; implicit-def: $vgpr2_vgpr3_vgpr4_vgpr5
; %bb.140:                              ;   in Loop: Header=BB293_109 Depth=1
	s_andn2_saveexec_b64 s[2:3], s[0:1]
; %bb.141:                              ;   in Loop: Header=BB293_109 Depth=1
	v_or_b32_e32 v2, 0x10000, v5
	v_cmp_eq_u32_sdwa s[0:1], v5, v15 src0_sel:WORD_0 src1_sel:DWORD
	s_nop 1
	v_cndmask_b32_e64 v26, v2, v5, s[0:1]
; %bb.142:                              ;   in Loop: Header=BB293_109 Depth=1
	s_or_b64 exec, exec, s[2:3]
	v_mov_b64_e32 v[2:3], s[10:11]
	s_waitcnt vmcnt(0)
	v_mad_i64_i32 v[4:5], s[0:1], v31, s40, v[2:3]
	v_lshl_add_u64 v[2:3], v[4:5], 0, v[14:15]
	global_load_dwordx2 v[2:3], v[2:3], off
	s_load_dword s34, s[14:15], 0x0
	s_waitcnt vmcnt(0)
	v_and_b32_e32 v6, 0xff, v2
	v_cvt_f32_fp8_sdwa v6, v6 src0_sel:BYTE_0
	s_waitcnt lgkmcnt(0)
	v_mul_f32_e32 v7, s34, v6
	v_and_b32_e32 v6, 0x7f800000, v7
	v_cmp_ne_u32_e64 s[0:1], s30, v6
                                        ; implicit-def: $vgpr6
	s_and_saveexec_b64 s[2:3], s[0:1]
	s_xor_b64 s[0:1], exec, s[2:3]
; %bb.143:                              ;   in Loop: Header=BB293_109 Depth=1
	v_bfe_u32 v6, v7, 16, 1
	v_add3_u32 v6, v7, v6, s31
                                        ; implicit-def: $vgpr7
; %bb.144:                              ;   in Loop: Header=BB293_109 Depth=1
	s_andn2_saveexec_b64 s[2:3], s[0:1]
; %bb.145:                              ;   in Loop: Header=BB293_109 Depth=1
	v_or_b32_e32 v6, 0x10000, v7
	v_cmp_eq_u32_sdwa s[0:1], v7, v15 src0_sel:WORD_0 src1_sel:DWORD
	s_nop 1
	v_cndmask_b32_e64 v6, v6, v7, s[0:1]
; %bb.146:                              ;   in Loop: Header=BB293_109 Depth=1
	s_or_b64 exec, exec, s[2:3]
	v_bfe_u32 v7, v2, 8, 8
	v_cvt_f32_fp8_sdwa v7, v7 src0_sel:BYTE_0
	s_nop 0
	v_mul_f32_e32 v8, s34, v7
	v_and_b32_e32 v7, 0x7f800000, v8
	v_cmp_ne_u32_e64 s[0:1], s30, v7
                                        ; implicit-def: $vgpr7
	s_and_saveexec_b64 s[2:3], s[0:1]
	s_xor_b64 s[0:1], exec, s[2:3]
; %bb.147:                              ;   in Loop: Header=BB293_109 Depth=1
	v_bfe_u32 v7, v8, 16, 1
	v_add3_u32 v7, v8, v7, s31
                                        ; implicit-def: $vgpr8
; %bb.148:                              ;   in Loop: Header=BB293_109 Depth=1
	s_andn2_saveexec_b64 s[2:3], s[0:1]
; %bb.149:                              ;   in Loop: Header=BB293_109 Depth=1
	v_or_b32_e32 v7, 0x10000, v8
	v_cmp_eq_u32_sdwa s[0:1], v8, v15 src0_sel:WORD_0 src1_sel:DWORD
	s_nop 1
	v_cndmask_b32_e64 v7, v7, v8, s[0:1]
; %bb.150:                              ;   in Loop: Header=BB293_109 Depth=1
	s_or_b64 exec, exec, s[2:3]
	v_bfe_u32 v8, v2, 16, 8
	v_cvt_f32_fp8_sdwa v8, v8 src0_sel:BYTE_0
	s_nop 0
	v_mul_f32_e32 v9, s34, v8
	v_and_b32_e32 v8, 0x7f800000, v9
	v_cmp_ne_u32_e64 s[0:1], s30, v8
                                        ; implicit-def: $vgpr8
	s_and_saveexec_b64 s[2:3], s[0:1]
	s_xor_b64 s[0:1], exec, s[2:3]
; %bb.151:                              ;   in Loop: Header=BB293_109 Depth=1
	v_bfe_u32 v8, v9, 16, 1
	v_add3_u32 v8, v9, v8, s31
                                        ; implicit-def: $vgpr9
; %bb.152:                              ;   in Loop: Header=BB293_109 Depth=1
	s_andn2_saveexec_b64 s[2:3], s[0:1]
; %bb.153:                              ;   in Loop: Header=BB293_109 Depth=1
	v_or_b32_e32 v8, 0x10000, v9
	v_cmp_eq_u32_sdwa s[0:1], v9, v15 src0_sel:WORD_0 src1_sel:DWORD
	s_nop 1
	v_cndmask_b32_e64 v8, v8, v9, s[0:1]
; %bb.154:                              ;   in Loop: Header=BB293_109 Depth=1
	s_or_b64 exec, exec, s[2:3]
	v_lshrrev_b32_e32 v2, 24, v2
	v_cvt_f32_fp8_sdwa v2, v2 src0_sel:BYTE_0
	s_nop 0
	v_mul_f32_e32 v9, s34, v2
	v_and_b32_e32 v2, 0x7f800000, v9
	v_cmp_ne_u32_e64 s[0:1], s30, v2
                                        ; implicit-def: $vgpr2
	s_and_saveexec_b64 s[2:3], s[0:1]
	s_xor_b64 s[0:1], exec, s[2:3]
; %bb.155:                              ;   in Loop: Header=BB293_109 Depth=1
	v_bfe_u32 v2, v9, 16, 1
	v_add3_u32 v2, v9, v2, s31
                                        ; implicit-def: $vgpr9
; %bb.156:                              ;   in Loop: Header=BB293_109 Depth=1
	s_andn2_saveexec_b64 s[2:3], s[0:1]
; %bb.157:                              ;   in Loop: Header=BB293_109 Depth=1
	v_or_b32_e32 v2, 0x10000, v9
	v_cmp_eq_u32_sdwa s[0:1], v9, v15 src0_sel:WORD_0 src1_sel:DWORD
	s_nop 1
	v_cndmask_b32_e64 v2, v2, v9, s[0:1]
; %bb.158:                              ;   in Loop: Header=BB293_109 Depth=1
	s_or_b64 exec, exec, s[2:3]
	v_and_b32_e32 v9, 0xff, v3
	v_cvt_f32_fp8_sdwa v9, v9 src0_sel:BYTE_0
	s_nop 0
	v_mul_f32_e32 v31, s34, v9
	v_and_b32_e32 v9, 0x7f800000, v31
	v_cmp_ne_u32_e64 s[0:1], s30, v9
                                        ; implicit-def: $vgpr9
	s_and_saveexec_b64 s[2:3], s[0:1]
	s_xor_b64 s[0:1], exec, s[2:3]
; %bb.159:                              ;   in Loop: Header=BB293_109 Depth=1
	v_bfe_u32 v9, v31, 16, 1
	v_add3_u32 v9, v31, v9, s31
                                        ; implicit-def: $vgpr31
; %bb.160:                              ;   in Loop: Header=BB293_109 Depth=1
	s_andn2_saveexec_b64 s[2:3], s[0:1]
; %bb.161:                              ;   in Loop: Header=BB293_109 Depth=1
	v_or_b32_e32 v9, 0x10000, v31
	v_cmp_eq_u32_sdwa s[0:1], v31, v15 src0_sel:WORD_0 src1_sel:DWORD
	s_nop 1
	v_cndmask_b32_e64 v9, v9, v31, s[0:1]
; %bb.162:                              ;   in Loop: Header=BB293_109 Depth=1
	s_or_b64 exec, exec, s[2:3]
	v_bfe_u32 v31, v3, 8, 8
	v_cvt_f32_fp8_sdwa v31, v31 src0_sel:BYTE_0
	s_nop 0
	v_mul_f32_e32 v32, s34, v31
	v_and_b32_e32 v31, 0x7f800000, v32
	v_cmp_ne_u32_e64 s[0:1], s30, v31
                                        ; implicit-def: $vgpr31
	s_and_saveexec_b64 s[2:3], s[0:1]
	s_xor_b64 s[0:1], exec, s[2:3]
; %bb.163:                              ;   in Loop: Header=BB293_109 Depth=1
	v_bfe_u32 v31, v32, 16, 1
	v_add3_u32 v31, v32, v31, s31
                                        ; implicit-def: $vgpr32
; %bb.164:                              ;   in Loop: Header=BB293_109 Depth=1
	s_andn2_saveexec_b64 s[2:3], s[0:1]
; %bb.165:                              ;   in Loop: Header=BB293_109 Depth=1
	v_or_b32_e32 v31, 0x10000, v32
	v_cmp_eq_u32_sdwa s[0:1], v32, v15 src0_sel:WORD_0 src1_sel:DWORD
	s_nop 1
	v_cndmask_b32_e64 v31, v31, v32, s[0:1]
; %bb.166:                              ;   in Loop: Header=BB293_109 Depth=1
	s_or_b64 exec, exec, s[2:3]
	v_bfe_u32 v32, v3, 16, 8
	v_cvt_f32_fp8_sdwa v32, v32 src0_sel:BYTE_0
                                        ; implicit-def: $vgpr35
	s_nop 0
	v_mul_f32_e32 v32, s34, v32
	v_and_b32_e32 v33, 0x7f800000, v32
	v_cmp_ne_u32_e64 s[0:1], s30, v33
	s_and_saveexec_b64 s[2:3], s[0:1]
	s_xor_b64 s[0:1], exec, s[2:3]
; %bb.167:                              ;   in Loop: Header=BB293_109 Depth=1
	v_bfe_u32 v33, v32, 16, 1
	v_add3_u32 v35, v32, v33, s31
                                        ; implicit-def: $vgpr32
; %bb.168:                              ;   in Loop: Header=BB293_109 Depth=1
	s_andn2_saveexec_b64 s[2:3], s[0:1]
; %bb.169:                              ;   in Loop: Header=BB293_109 Depth=1
	v_or_b32_e32 v33, 0x10000, v32
	v_cmp_eq_u32_sdwa s[0:1], v32, v15 src0_sel:WORD_0 src1_sel:DWORD
	s_nop 1
	v_cndmask_b32_e64 v35, v33, v32, s[0:1]
; %bb.170:                              ;   in Loop: Header=BB293_109 Depth=1
	s_or_b64 exec, exec, s[2:3]
	v_lshrrev_b32_e32 v3, 24, v3
	v_cvt_f32_fp8_sdwa v3, v3 src0_sel:BYTE_0
                                        ; implicit-def: $vgpr36
	s_nop 0
	v_mul_f32_e32 v3, s34, v3
	v_and_b32_e32 v32, 0x7f800000, v3
	v_cmp_ne_u32_e64 s[0:1], s30, v32
	s_and_saveexec_b64 s[2:3], s[0:1]
	s_xor_b64 s[0:1], exec, s[2:3]
; %bb.171:                              ;   in Loop: Header=BB293_109 Depth=1
	v_bfe_u32 v32, v3, 16, 1
	v_add3_u32 v36, v3, v32, s31
                                        ; implicit-def: $vgpr3
; %bb.172:                              ;   in Loop: Header=BB293_109 Depth=1
	s_andn2_saveexec_b64 s[2:3], s[0:1]
; %bb.173:                              ;   in Loop: Header=BB293_109 Depth=1
	v_or_b32_e32 v32, 0x10000, v3
	v_cmp_eq_u32_sdwa s[0:1], v3, v15 src0_sel:WORD_0 src1_sel:DWORD
	s_nop 1
	v_cndmask_b32_e64 v36, v32, v3, s[0:1]
; %bb.174:                              ;   in Loop: Header=BB293_109 Depth=1
	s_or_b64 exec, exec, s[2:3]
	v_cmp_eq_u32_e64 s[2:3], s36, v1
	v_lshrrev_b32_e32 v32, 16, v31
	v_lshrrev_b32_e32 v33, 16, v9
	;; [unrolled: 1-line block ×8, first 2 shown]
	s_and_saveexec_b64 s[18:19], s[2:3]
	s_cbranch_execz .LBB293_176
; %bb.175:                              ;   in Loop: Header=BB293_109 Depth=1
	v_cmp_gt_i32_e64 s[0:1], s25, v11
	v_add_u32_e32 v6, 1, v11
	s_nop 0
	v_cndmask_b32_e64 v3, 0, v3, s[0:1]
	v_cmp_gt_i32_e64 s[0:1], s25, v6
	v_add_u32_e32 v6, 2, v11
	s_nop 0
	v_cndmask_b32_e64 v8, 0, v8, s[0:1]
	;; [unrolled: 4-line block ×7, first 2 shown]
	v_cmp_gt_i32_e64 s[0:1], s25, v6
	s_nop 1
	v_cndmask_b32_e64 v2, 0, v2, s[0:1]
.LBB293_176:                            ;   in Loop: Header=BB293_109 Depth=1
	s_or_b64 exec, exec, s[18:19]
	v_and_b32_e32 v6, 0xffff0000, v30
	v_lshlrev_b32_e32 v3, 16, v3
	v_mul_f32_e32 v7, v6, v3
	v_and_b32_e32 v3, 0x7f800000, v7
	v_cmp_ne_u32_e64 s[0:1], s30, v3
                                        ; implicit-def: $vgpr3
	s_and_saveexec_b64 s[18:19], s[0:1]
	s_xor_b64 s[0:1], exec, s[18:19]
; %bb.177:                              ;   in Loop: Header=BB293_109 Depth=1
	v_bfe_u32 v3, v7, 16, 1
	v_add3_u32 v3, v7, v3, s31
                                        ; implicit-def: $vgpr7
; %bb.178:                              ;   in Loop: Header=BB293_109 Depth=1
	s_andn2_saveexec_b64 s[18:19], s[0:1]
; %bb.179:                              ;   in Loop: Header=BB293_109 Depth=1
	v_or_b32_e32 v3, 0x10000, v7
	v_cmp_eq_u32_sdwa s[0:1], v7, v15 src0_sel:WORD_0 src1_sel:DWORD
	s_nop 1
	v_cndmask_b32_e64 v3, v3, v7, s[0:1]
; %bb.180:                              ;   in Loop: Header=BB293_109 Depth=1
	s_or_b64 exec, exec, s[18:19]
	v_and_b32_e32 v7, 0xffff0000, v29
	v_lshlrev_b32_e32 v8, 16, v8
	v_mul_f32_e32 v8, v7, v8
	v_and_b32_e32 v29, 0x7f800000, v8
	v_cmp_ne_u32_e64 s[0:1], s30, v29
                                        ; implicit-def: $vgpr29
	s_and_saveexec_b64 s[18:19], s[0:1]
	s_xor_b64 s[0:1], exec, s[18:19]
; %bb.181:                              ;   in Loop: Header=BB293_109 Depth=1
	v_bfe_u32 v29, v8, 16, 1
	v_add3_u32 v29, v8, v29, s31
                                        ; implicit-def: $vgpr8
; %bb.182:                              ;   in Loop: Header=BB293_109 Depth=1
	s_andn2_saveexec_b64 s[18:19], s[0:1]
; %bb.183:                              ;   in Loop: Header=BB293_109 Depth=1
	v_or_b32_e32 v29, 0x10000, v8
	v_cmp_eq_u32_sdwa s[0:1], v8, v15 src0_sel:WORD_0 src1_sel:DWORD
	s_nop 1
	v_cndmask_b32_e64 v29, v29, v8, s[0:1]
; %bb.184:                              ;   in Loop: Header=BB293_109 Depth=1
	s_or_b64 exec, exec, s[18:19]
	v_and_b32_e32 v8, 0xffff0000, v28
	v_lshlrev_b32_e32 v9, 16, v9
	v_mul_f32_e32 v9, v8, v9
	v_and_b32_e32 v28, 0x7f800000, v9
	v_cmp_ne_u32_e64 s[0:1], s30, v28
                                        ; implicit-def: $vgpr28
	s_and_saveexec_b64 s[18:19], s[0:1]
	s_xor_b64 s[0:1], exec, s[18:19]
; %bb.185:                              ;   in Loop: Header=BB293_109 Depth=1
	v_bfe_u32 v28, v9, 16, 1
	v_add3_u32 v28, v9, v28, s31
                                        ; implicit-def: $vgpr9
; %bb.186:                              ;   in Loop: Header=BB293_109 Depth=1
	s_andn2_saveexec_b64 s[18:19], s[0:1]
; %bb.187:                              ;   in Loop: Header=BB293_109 Depth=1
	v_or_b32_e32 v28, 0x10000, v9
	v_cmp_eq_u32_sdwa s[0:1], v9, v15 src0_sel:WORD_0 src1_sel:DWORD
	s_nop 1
	v_cndmask_b32_e64 v28, v28, v9, s[0:1]
; %bb.188:                              ;   in Loop: Header=BB293_109 Depth=1
	s_or_b64 exec, exec, s[18:19]
	v_and_b32_e32 v9, 0xffff0000, v27
	v_lshlrev_b32_e32 v27, 16, v34
	v_mul_f32_e32 v30, v9, v27
	v_and_b32_e32 v27, 0x7f800000, v30
	v_cmp_ne_u32_e64 s[0:1], s30, v27
                                        ; implicit-def: $vgpr27
	s_and_saveexec_b64 s[18:19], s[0:1]
	s_xor_b64 s[0:1], exec, s[18:19]
; %bb.189:                              ;   in Loop: Header=BB293_109 Depth=1
	v_bfe_u32 v27, v30, 16, 1
	v_add3_u32 v27, v30, v27, s31
                                        ; implicit-def: $vgpr30
; %bb.190:                              ;   in Loop: Header=BB293_109 Depth=1
	s_andn2_saveexec_b64 s[18:19], s[0:1]
; %bb.191:                              ;   in Loop: Header=BB293_109 Depth=1
	v_or_b32_e32 v27, 0x10000, v30
	v_cmp_eq_u32_sdwa s[0:1], v30, v15 src0_sel:WORD_0 src1_sel:DWORD
	s_nop 1
	v_cndmask_b32_e64 v27, v27, v30, s[0:1]
; %bb.192:                              ;   in Loop: Header=BB293_109 Depth=1
	s_or_b64 exec, exec, s[18:19]
	v_and_b32_e32 v23, 0xffff0000, v23
	v_lshlrev_b32_e32 v30, 16, v33
	v_mul_f32_e32 v33, v23, v30
	v_and_b32_e32 v30, 0x7f800000, v33
	v_cmp_ne_u32_e64 s[0:1], s30, v30
                                        ; implicit-def: $vgpr30
	s_and_saveexec_b64 s[18:19], s[0:1]
	s_xor_b64 s[0:1], exec, s[18:19]
; %bb.193:                              ;   in Loop: Header=BB293_109 Depth=1
	v_bfe_u32 v30, v33, 16, 1
	v_add3_u32 v30, v33, v30, s31
                                        ; implicit-def: $vgpr33
; %bb.194:                              ;   in Loop: Header=BB293_109 Depth=1
	s_andn2_saveexec_b64 s[18:19], s[0:1]
; %bb.195:                              ;   in Loop: Header=BB293_109 Depth=1
	v_or_b32_e32 v30, 0x10000, v33
	v_cmp_eq_u32_sdwa s[0:1], v33, v15 src0_sel:WORD_0 src1_sel:DWORD
	s_nop 1
	v_cndmask_b32_e64 v30, v30, v33, s[0:1]
; %bb.196:                              ;   in Loop: Header=BB293_109 Depth=1
	s_or_b64 exec, exec, s[18:19]
	v_and_b32_e32 v24, 0xffff0000, v24
	v_lshlrev_b32_e32 v32, 16, v32
	v_mul_f32_e32 v33, v24, v32
	v_and_b32_e32 v32, 0x7f800000, v33
	v_cmp_ne_u32_e64 s[0:1], s30, v32
                                        ; implicit-def: $vgpr32
	s_and_saveexec_b64 s[18:19], s[0:1]
	s_xor_b64 s[0:1], exec, s[18:19]
; %bb.197:                              ;   in Loop: Header=BB293_109 Depth=1
	v_bfe_u32 v32, v33, 16, 1
	v_add3_u32 v32, v33, v32, s31
                                        ; implicit-def: $vgpr33
; %bb.198:                              ;   in Loop: Header=BB293_109 Depth=1
	s_andn2_saveexec_b64 s[18:19], s[0:1]
; %bb.199:                              ;   in Loop: Header=BB293_109 Depth=1
	v_or_b32_e32 v32, 0x10000, v33
	v_cmp_eq_u32_sdwa s[0:1], v33, v15 src0_sel:WORD_0 src1_sel:DWORD
	s_nop 1
	v_cndmask_b32_e64 v32, v32, v33, s[0:1]
; %bb.200:                              ;   in Loop: Header=BB293_109 Depth=1
	s_or_b64 exec, exec, s[18:19]
	v_and_b32_e32 v25, 0xffff0000, v25
	v_lshlrev_b32_e32 v31, 16, v31
	v_mul_f32_e32 v33, v25, v31
	v_and_b32_e32 v31, 0x7f800000, v33
	v_cmp_ne_u32_e64 s[0:1], s30, v31
                                        ; implicit-def: $vgpr31
	s_and_saveexec_b64 s[18:19], s[0:1]
	s_xor_b64 s[0:1], exec, s[18:19]
; %bb.201:                              ;   in Loop: Header=BB293_109 Depth=1
	v_bfe_u32 v31, v33, 16, 1
	v_add3_u32 v31, v33, v31, s31
                                        ; implicit-def: $vgpr33
; %bb.202:                              ;   in Loop: Header=BB293_109 Depth=1
	s_andn2_saveexec_b64 s[18:19], s[0:1]
; %bb.203:                              ;   in Loop: Header=BB293_109 Depth=1
	v_or_b32_e32 v31, 0x10000, v33
	v_cmp_eq_u32_sdwa s[0:1], v33, v15 src0_sel:WORD_0 src1_sel:DWORD
	s_nop 1
	v_cndmask_b32_e64 v31, v31, v33, s[0:1]
; %bb.204:                              ;   in Loop: Header=BB293_109 Depth=1
	s_or_b64 exec, exec, s[18:19]
	v_and_b32_e32 v26, 0xffff0000, v26
	v_lshlrev_b32_e32 v2, 16, v2
	v_mul_f32_e32 v2, v26, v2
	v_and_b32_e32 v33, 0x7f800000, v2
	v_cmp_ne_u32_e64 s[0:1], s30, v33
                                        ; implicit-def: $vgpr33
	s_and_saveexec_b64 s[18:19], s[0:1]
	s_xor_b64 s[0:1], exec, s[18:19]
; %bb.205:                              ;   in Loop: Header=BB293_109 Depth=1
	v_bfe_u32 v33, v2, 16, 1
	v_add3_u32 v33, v2, v33, s31
                                        ; implicit-def: $vgpr2
; %bb.206:                              ;   in Loop: Header=BB293_109 Depth=1
	s_andn2_saveexec_b64 s[18:19], s[0:1]
; %bb.207:                              ;   in Loop: Header=BB293_109 Depth=1
	v_or_b32_e32 v33, 0x10000, v2
	v_cmp_eq_u32_sdwa s[0:1], v2, v15 src0_sel:WORD_0 src1_sel:DWORD
	s_nop 1
	v_cndmask_b32_e64 v33, v33, v2, s[0:1]
; %bb.208:                              ;   in Loop: Header=BB293_109 Depth=1
	s_or_b64 exec, exec, s[18:19]
	v_and_b32_e32 v35, 0xffff0000, v27
	v_and_b32_e32 v34, 0xffff0000, v29
	;; [unrolled: 1-line block ×4, first 2 shown]
	v_pk_add_f32 v[2:3], v[28:29], v[34:35]
	v_and_b32_e32 v33, 0xffff0000, v33
	v_and_b32_e32 v32, 0xffff0000, v32
	v_and_b32_e32 v31, 0xffff0000, v31
	v_and_b32_e32 v30, 0xffff0000, v30
	v_mov_b32_e32 v28, v3
	v_pk_add_f32 v[2:3], v[2:3], v[28:29]
	v_pk_add_f32 v[28:29], v[30:31], v[32:33]
	s_nop 0
	v_pk_add_f32 v[2:3], v[2:3], v[28:29]
	v_mov_b32_e32 v28, v29
	v_pk_add_f32 v[2:3], v[2:3], v[28:29]
	s_nop 0
	v_pk_add_f32 v[2:3], v[12:13], v[2:3]
	s_and_saveexec_b64 s[18:19], vcc
	s_cbranch_execz .LBB293_107
; %bb.209:                              ;   in Loop: Header=BB293_109 Depth=1
	v_lshl_add_u64 v[4:5], v[4:5], 0, v[16:17]
	global_load_dwordx2 v[4:5], v[4:5], off
	s_waitcnt vmcnt(0)
	v_and_b32_e32 v3, 0xff, v4
	v_cvt_f32_fp8_sdwa v3, v3 src0_sel:BYTE_0
	s_nop 0
	v_mul_f32_e32 v27, s34, v3
	v_and_b32_e32 v3, 0x7f800000, v27
	v_cmp_ne_u32_e64 s[0:1], s30, v3
                                        ; implicit-def: $vgpr3
	s_and_saveexec_b64 s[20:21], s[0:1]
	s_xor_b64 s[0:1], exec, s[20:21]
; %bb.210:                              ;   in Loop: Header=BB293_109 Depth=1
	v_bfe_u32 v3, v27, 16, 1
	v_add3_u32 v3, v27, v3, s31
                                        ; implicit-def: $vgpr27
; %bb.211:                              ;   in Loop: Header=BB293_109 Depth=1
	s_andn2_saveexec_b64 s[20:21], s[0:1]
; %bb.212:                              ;   in Loop: Header=BB293_109 Depth=1
	v_or_b32_e32 v3, 0x10000, v27
	v_cmp_eq_u32_sdwa s[0:1], v27, v15 src0_sel:WORD_0 src1_sel:DWORD
	s_nop 1
	v_cndmask_b32_e64 v3, v3, v27, s[0:1]
; %bb.213:                              ;   in Loop: Header=BB293_109 Depth=1
	s_or_b64 exec, exec, s[20:21]
	v_bfe_u32 v27, v4, 8, 8
	v_cvt_f32_fp8_sdwa v27, v27 src0_sel:BYTE_0
	s_nop 0
	v_mul_f32_e32 v28, s34, v27
	v_and_b32_e32 v27, 0x7f800000, v28
	v_cmp_ne_u32_e64 s[0:1], s30, v27
                                        ; implicit-def: $vgpr27
	s_and_saveexec_b64 s[20:21], s[0:1]
	s_xor_b64 s[0:1], exec, s[20:21]
; %bb.214:                              ;   in Loop: Header=BB293_109 Depth=1
	v_bfe_u32 v27, v28, 16, 1
	v_add3_u32 v27, v28, v27, s31
                                        ; implicit-def: $vgpr28
; %bb.215:                              ;   in Loop: Header=BB293_109 Depth=1
	s_andn2_saveexec_b64 s[20:21], s[0:1]
; %bb.216:                              ;   in Loop: Header=BB293_109 Depth=1
	v_or_b32_e32 v27, 0x10000, v28
	v_cmp_eq_u32_sdwa s[0:1], v28, v15 src0_sel:WORD_0 src1_sel:DWORD
	s_nop 1
	v_cndmask_b32_e64 v27, v27, v28, s[0:1]
; %bb.217:                              ;   in Loop: Header=BB293_109 Depth=1
	s_or_b64 exec, exec, s[20:21]
	v_bfe_u32 v28, v4, 16, 8
	v_cvt_f32_fp8_sdwa v28, v28 src0_sel:BYTE_0
	s_nop 0
	v_mul_f32_e32 v28, s34, v28
	v_and_b32_e32 v29, 0x7f800000, v28
	v_cmp_ne_u32_e64 s[0:1], s30, v29
                                        ; implicit-def: $vgpr29
	s_and_saveexec_b64 s[20:21], s[0:1]
	s_xor_b64 s[0:1], exec, s[20:21]
; %bb.218:                              ;   in Loop: Header=BB293_109 Depth=1
	v_bfe_u32 v29, v28, 16, 1
	v_add3_u32 v29, v28, v29, s31
                                        ; implicit-def: $vgpr28
; %bb.219:                              ;   in Loop: Header=BB293_109 Depth=1
	s_andn2_saveexec_b64 s[20:21], s[0:1]
; %bb.220:                              ;   in Loop: Header=BB293_109 Depth=1
	v_or_b32_e32 v29, 0x10000, v28
	v_cmp_eq_u32_sdwa s[0:1], v28, v15 src0_sel:WORD_0 src1_sel:DWORD
	s_nop 1
	v_cndmask_b32_e64 v29, v29, v28, s[0:1]
; %bb.221:                              ;   in Loop: Header=BB293_109 Depth=1
	s_or_b64 exec, exec, s[20:21]
	v_lshrrev_b32_e32 v4, 24, v4
	v_cvt_f32_fp8_sdwa v4, v4 src0_sel:BYTE_0
	s_nop 0
	v_mul_f32_e32 v28, s34, v4
	v_and_b32_e32 v4, 0x7f800000, v28
	v_cmp_ne_u32_e64 s[0:1], s30, v4
                                        ; implicit-def: $vgpr4
	s_and_saveexec_b64 s[20:21], s[0:1]
	s_xor_b64 s[0:1], exec, s[20:21]
; %bb.222:                              ;   in Loop: Header=BB293_109 Depth=1
	v_bfe_u32 v4, v28, 16, 1
	v_add3_u32 v4, v28, v4, s31
                                        ; implicit-def: $vgpr28
; %bb.223:                              ;   in Loop: Header=BB293_109 Depth=1
	s_andn2_saveexec_b64 s[20:21], s[0:1]
; %bb.224:                              ;   in Loop: Header=BB293_109 Depth=1
	v_or_b32_e32 v4, 0x10000, v28
	v_cmp_eq_u32_sdwa s[0:1], v28, v15 src0_sel:WORD_0 src1_sel:DWORD
	s_nop 1
	v_cndmask_b32_e64 v4, v4, v28, s[0:1]
; %bb.225:                              ;   in Loop: Header=BB293_109 Depth=1
	s_or_b64 exec, exec, s[20:21]
	v_and_b32_e32 v28, 0xff, v5
	v_cvt_f32_fp8_sdwa v28, v28 src0_sel:BYTE_0
	s_nop 0
	v_mul_f32_e32 v28, s34, v28
	v_and_b32_e32 v30, 0x7f800000, v28
	v_cmp_ne_u32_e64 s[0:1], s30, v30
                                        ; implicit-def: $vgpr30
	s_and_saveexec_b64 s[20:21], s[0:1]
	s_xor_b64 s[0:1], exec, s[20:21]
; %bb.226:                              ;   in Loop: Header=BB293_109 Depth=1
	v_bfe_u32 v30, v28, 16, 1
	v_add3_u32 v30, v28, v30, s31
                                        ; implicit-def: $vgpr28
; %bb.227:                              ;   in Loop: Header=BB293_109 Depth=1
	s_andn2_saveexec_b64 s[20:21], s[0:1]
; %bb.228:                              ;   in Loop: Header=BB293_109 Depth=1
	v_or_b32_e32 v30, 0x10000, v28
	v_cmp_eq_u32_sdwa s[0:1], v28, v15 src0_sel:WORD_0 src1_sel:DWORD
	s_nop 1
	v_cndmask_b32_e64 v30, v30, v28, s[0:1]
; %bb.229:                              ;   in Loop: Header=BB293_109 Depth=1
	s_or_b64 exec, exec, s[20:21]
	v_bfe_u32 v28, v5, 8, 8
	v_cvt_f32_fp8_sdwa v28, v28 src0_sel:BYTE_0
	s_nop 0
	v_mul_f32_e32 v31, s34, v28
	v_and_b32_e32 v28, 0x7f800000, v31
	v_cmp_ne_u32_e64 s[0:1], s30, v28
                                        ; implicit-def: $vgpr28
	s_and_saveexec_b64 s[20:21], s[0:1]
	s_xor_b64 s[0:1], exec, s[20:21]
; %bb.230:                              ;   in Loop: Header=BB293_109 Depth=1
	v_bfe_u32 v28, v31, 16, 1
	v_add3_u32 v28, v31, v28, s31
                                        ; implicit-def: $vgpr31
; %bb.231:                              ;   in Loop: Header=BB293_109 Depth=1
	s_andn2_saveexec_b64 s[20:21], s[0:1]
; %bb.232:                              ;   in Loop: Header=BB293_109 Depth=1
	v_or_b32_e32 v28, 0x10000, v31
	v_cmp_eq_u32_sdwa s[0:1], v31, v15 src0_sel:WORD_0 src1_sel:DWORD
	s_nop 1
	v_cndmask_b32_e64 v28, v28, v31, s[0:1]
; %bb.233:                              ;   in Loop: Header=BB293_109 Depth=1
	s_or_b64 exec, exec, s[20:21]
	v_bfe_u32 v31, v5, 16, 8
	v_cvt_f32_fp8_sdwa v31, v31 src0_sel:BYTE_0
	s_nop 0
	v_mul_f32_e32 v31, s34, v31
	v_and_b32_e32 v32, 0x7f800000, v31
	v_cmp_ne_u32_e64 s[0:1], s30, v32
                                        ; implicit-def: $vgpr32
	s_and_saveexec_b64 s[20:21], s[0:1]
	s_xor_b64 s[0:1], exec, s[20:21]
; %bb.234:                              ;   in Loop: Header=BB293_109 Depth=1
	v_bfe_u32 v32, v31, 16, 1
	v_add3_u32 v32, v31, v32, s31
                                        ; implicit-def: $vgpr31
; %bb.235:                              ;   in Loop: Header=BB293_109 Depth=1
	s_andn2_saveexec_b64 s[20:21], s[0:1]
; %bb.236:                              ;   in Loop: Header=BB293_109 Depth=1
	v_or_b32_e32 v32, 0x10000, v31
	v_cmp_eq_u32_sdwa s[0:1], v31, v15 src0_sel:WORD_0 src1_sel:DWORD
	s_nop 1
	v_cndmask_b32_e64 v32, v32, v31, s[0:1]
; %bb.237:                              ;   in Loop: Header=BB293_109 Depth=1
	s_or_b64 exec, exec, s[20:21]
	v_lshrrev_b32_e32 v5, 24, v5
	v_cvt_f32_fp8_sdwa v5, v5 src0_sel:BYTE_0
                                        ; implicit-def: $vgpr33
	s_nop 0
	v_mul_f32_e32 v5, s34, v5
	v_and_b32_e32 v31, 0x7f800000, v5
	v_cmp_ne_u32_e64 s[0:1], s30, v31
	s_and_saveexec_b64 s[20:21], s[0:1]
	s_xor_b64 s[0:1], exec, s[20:21]
; %bb.238:                              ;   in Loop: Header=BB293_109 Depth=1
	v_bfe_u32 v31, v5, 16, 1
	v_add3_u32 v33, v5, v31, s31
                                        ; implicit-def: $vgpr5
; %bb.239:                              ;   in Loop: Header=BB293_109 Depth=1
	s_andn2_saveexec_b64 s[20:21], s[0:1]
; %bb.240:                              ;   in Loop: Header=BB293_109 Depth=1
	v_or_b32_e32 v31, 0x10000, v5
	v_cmp_eq_u32_sdwa s[0:1], v5, v15 src0_sel:WORD_0 src1_sel:DWORD
	s_nop 1
	v_cndmask_b32_e64 v33, v31, v5, s[0:1]
; %bb.241:                              ;   in Loop: Header=BB293_109 Depth=1
	s_or_b64 exec, exec, s[20:21]
	v_lshrrev_b32_e32 v28, 16, v28
	v_lshrrev_b32_e32 v30, 16, v30
	;; [unrolled: 1-line block ×8, first 2 shown]
	s_and_saveexec_b64 s[20:21], s[2:3]
	s_cbranch_execz .LBB293_243
; %bb.242:                              ;   in Loop: Header=BB293_109 Depth=1
	v_cmp_gt_i32_e64 s[0:1], s25, v11
	v_add_u32_e32 v32, 1, v11
	s_nop 0
	v_cndmask_b32_e64 v4, 0, v4, s[0:1]
	v_cmp_gt_i32_e64 s[0:1], s25, v32
	v_add_u32_e32 v32, 2, v11
	s_nop 0
	v_cndmask_b32_e64 v27, 0, v27, s[0:1]
	;; [unrolled: 4-line block ×7, first 2 shown]
	v_cmp_gt_i32_e64 s[0:1], s25, v32
	s_nop 1
	v_cndmask_b32_e64 v3, 0, v3, s[0:1]
.LBB293_243:                            ;   in Loop: Header=BB293_109 Depth=1
	s_or_b64 exec, exec, s[20:21]
	v_lshlrev_b32_e32 v4, 16, v4
	v_mul_f32_e32 v6, v6, v4
	v_and_b32_e32 v4, 0x7f800000, v6
	v_cmp_ne_u32_e64 s[0:1], s30, v4
                                        ; implicit-def: $vgpr4
	s_and_saveexec_b64 s[2:3], s[0:1]
	s_xor_b64 s[0:1], exec, s[2:3]
; %bb.244:                              ;   in Loop: Header=BB293_109 Depth=1
	v_bfe_u32 v4, v6, 16, 1
	v_add3_u32 v4, v6, v4, s31
                                        ; implicit-def: $vgpr6
; %bb.245:                              ;   in Loop: Header=BB293_109 Depth=1
	s_andn2_saveexec_b64 s[2:3], s[0:1]
; %bb.246:                              ;   in Loop: Header=BB293_109 Depth=1
	v_or_b32_e32 v4, 0x10000, v6
	v_cmp_eq_u32_sdwa s[0:1], v6, v15 src0_sel:WORD_0 src1_sel:DWORD
	s_nop 1
	v_cndmask_b32_e64 v4, v4, v6, s[0:1]
; %bb.247:                              ;   in Loop: Header=BB293_109 Depth=1
	s_or_b64 exec, exec, s[2:3]
	v_lshlrev_b32_e32 v6, 16, v27
	v_mul_f32_e32 v7, v7, v6
	v_and_b32_e32 v6, 0x7f800000, v7
	v_cmp_ne_u32_e64 s[0:1], s30, v6
                                        ; implicit-def: $vgpr6
	s_and_saveexec_b64 s[2:3], s[0:1]
	s_xor_b64 s[0:1], exec, s[2:3]
; %bb.248:                              ;   in Loop: Header=BB293_109 Depth=1
	v_bfe_u32 v6, v7, 16, 1
	v_add3_u32 v6, v7, v6, s31
                                        ; implicit-def: $vgpr7
; %bb.249:                              ;   in Loop: Header=BB293_109 Depth=1
	s_andn2_saveexec_b64 s[2:3], s[0:1]
; %bb.250:                              ;   in Loop: Header=BB293_109 Depth=1
	v_or_b32_e32 v6, 0x10000, v7
	v_cmp_eq_u32_sdwa s[0:1], v7, v15 src0_sel:WORD_0 src1_sel:DWORD
	s_nop 1
	v_cndmask_b32_e64 v6, v6, v7, s[0:1]
; %bb.251:                              ;   in Loop: Header=BB293_109 Depth=1
	s_or_b64 exec, exec, s[2:3]
	v_lshlrev_b32_e32 v7, 16, v29
	v_mul_f32_e32 v8, v8, v7
	v_and_b32_e32 v7, 0x7f800000, v8
	v_cmp_ne_u32_e64 s[0:1], s30, v7
                                        ; implicit-def: $vgpr7
	s_and_saveexec_b64 s[2:3], s[0:1]
	s_xor_b64 s[0:1], exec, s[2:3]
; %bb.252:                              ;   in Loop: Header=BB293_109 Depth=1
	v_bfe_u32 v7, v8, 16, 1
	v_add3_u32 v7, v8, v7, s31
                                        ; implicit-def: $vgpr8
; %bb.253:                              ;   in Loop: Header=BB293_109 Depth=1
	s_andn2_saveexec_b64 s[2:3], s[0:1]
; %bb.254:                              ;   in Loop: Header=BB293_109 Depth=1
	v_or_b32_e32 v7, 0x10000, v8
	v_cmp_eq_u32_sdwa s[0:1], v8, v15 src0_sel:WORD_0 src1_sel:DWORD
	s_nop 1
	v_cndmask_b32_e64 v7, v7, v8, s[0:1]
; %bb.255:                              ;   in Loop: Header=BB293_109 Depth=1
	s_or_b64 exec, exec, s[2:3]
	v_lshlrev_b32_e32 v8, 16, v31
	v_mul_f32_e32 v9, v9, v8
	v_and_b32_e32 v8, 0x7f800000, v9
	v_cmp_ne_u32_e64 s[0:1], s30, v8
                                        ; implicit-def: $vgpr8
	s_and_saveexec_b64 s[2:3], s[0:1]
	s_xor_b64 s[0:1], exec, s[2:3]
; %bb.256:                              ;   in Loop: Header=BB293_109 Depth=1
	v_bfe_u32 v8, v9, 16, 1
	v_add3_u32 v8, v9, v8, s31
                                        ; implicit-def: $vgpr9
; %bb.257:                              ;   in Loop: Header=BB293_109 Depth=1
	s_andn2_saveexec_b64 s[2:3], s[0:1]
; %bb.258:                              ;   in Loop: Header=BB293_109 Depth=1
	v_or_b32_e32 v8, 0x10000, v9
	v_cmp_eq_u32_sdwa s[0:1], v9, v15 src0_sel:WORD_0 src1_sel:DWORD
	s_nop 1
	v_cndmask_b32_e64 v8, v8, v9, s[0:1]
; %bb.259:                              ;   in Loop: Header=BB293_109 Depth=1
	s_or_b64 exec, exec, s[2:3]
	v_lshlrev_b32_e32 v9, 16, v30
	v_mul_f32_e32 v23, v23, v9
	v_and_b32_e32 v9, 0x7f800000, v23
	v_cmp_ne_u32_e64 s[0:1], s30, v9
                                        ; implicit-def: $vgpr9
	s_and_saveexec_b64 s[2:3], s[0:1]
	s_xor_b64 s[0:1], exec, s[2:3]
; %bb.260:                              ;   in Loop: Header=BB293_109 Depth=1
	v_bfe_u32 v9, v23, 16, 1
	v_add3_u32 v9, v23, v9, s31
                                        ; implicit-def: $vgpr23
; %bb.261:                              ;   in Loop: Header=BB293_109 Depth=1
	s_andn2_saveexec_b64 s[2:3], s[0:1]
; %bb.262:                              ;   in Loop: Header=BB293_109 Depth=1
	v_or_b32_e32 v9, 0x10000, v23
	v_cmp_eq_u32_sdwa s[0:1], v23, v15 src0_sel:WORD_0 src1_sel:DWORD
	s_nop 1
	v_cndmask_b32_e64 v9, v9, v23, s[0:1]
; %bb.263:                              ;   in Loop: Header=BB293_109 Depth=1
	s_or_b64 exec, exec, s[2:3]
	v_lshlrev_b32_e32 v23, 16, v28
	v_mul_f32_e32 v24, v24, v23
	v_and_b32_e32 v23, 0x7f800000, v24
	v_cmp_ne_u32_e64 s[0:1], s30, v23
                                        ; implicit-def: $vgpr23
	s_and_saveexec_b64 s[2:3], s[0:1]
	s_xor_b64 s[0:1], exec, s[2:3]
; %bb.264:                              ;   in Loop: Header=BB293_109 Depth=1
	v_bfe_u32 v23, v24, 16, 1
	v_add3_u32 v23, v24, v23, s31
                                        ; implicit-def: $vgpr24
; %bb.265:                              ;   in Loop: Header=BB293_109 Depth=1
	s_andn2_saveexec_b64 s[2:3], s[0:1]
; %bb.266:                              ;   in Loop: Header=BB293_109 Depth=1
	v_or_b32_e32 v23, 0x10000, v24
	v_cmp_eq_u32_sdwa s[0:1], v24, v15 src0_sel:WORD_0 src1_sel:DWORD
	s_nop 1
	v_cndmask_b32_e64 v23, v23, v24, s[0:1]
; %bb.267:                              ;   in Loop: Header=BB293_109 Depth=1
	s_or_b64 exec, exec, s[2:3]
	v_lshlrev_b32_e32 v5, 16, v5
	v_mul_f32_e32 v24, v25, v5
	v_and_b32_e32 v5, 0x7f800000, v24
	v_cmp_ne_u32_e64 s[0:1], s30, v5
                                        ; implicit-def: $vgpr5
	s_and_saveexec_b64 s[2:3], s[0:1]
	s_xor_b64 s[0:1], exec, s[2:3]
; %bb.268:                              ;   in Loop: Header=BB293_109 Depth=1
	v_bfe_u32 v5, v24, 16, 1
	v_add3_u32 v5, v24, v5, s31
                                        ; implicit-def: $vgpr24
; %bb.269:                              ;   in Loop: Header=BB293_109 Depth=1
	s_andn2_saveexec_b64 s[2:3], s[0:1]
; %bb.270:                              ;   in Loop: Header=BB293_109 Depth=1
	v_or_b32_e32 v5, 0x10000, v24
	v_cmp_eq_u32_sdwa s[0:1], v24, v15 src0_sel:WORD_0 src1_sel:DWORD
	s_nop 1
	v_cndmask_b32_e64 v5, v5, v24, s[0:1]
; %bb.271:                              ;   in Loop: Header=BB293_109 Depth=1
	s_or_b64 exec, exec, s[2:3]
	v_lshlrev_b32_e32 v3, 16, v3
	v_mul_f32_e32 v3, v26, v3
	v_and_b32_e32 v24, 0x7f800000, v3
	v_cmp_ne_u32_e64 s[0:1], s30, v24
                                        ; implicit-def: $vgpr24
	s_and_saveexec_b64 s[2:3], s[0:1]
	s_xor_b64 s[0:1], exec, s[2:3]
; %bb.272:                              ;   in Loop: Header=BB293_109 Depth=1
	v_bfe_u32 v24, v3, 16, 1
	v_add3_u32 v24, v3, v24, s31
                                        ; implicit-def: $vgpr3
; %bb.273:                              ;   in Loop: Header=BB293_109 Depth=1
	s_andn2_saveexec_b64 s[2:3], s[0:1]
	s_cbranch_execz .LBB293_106
; %bb.274:                              ;   in Loop: Header=BB293_109 Depth=1
	v_or_b32_e32 v24, 0x10000, v3
	v_cmp_eq_u32_sdwa s[0:1], v3, v15 src0_sel:WORD_0 src1_sel:DWORD
	s_nop 1
	v_cndmask_b32_e64 v24, v24, v3, s[0:1]
	s_branch .LBB293_106
.LBB293_275:
	s_or_b64 exec, exec, s[12:13]
.LBB293_276:
	s_or_b64 exec, exec, s[8:9]
	v_and_b32_e32 v1, 0x3c0, v0
	v_cmp_eq_u32_e32 vcc, 64, v1
	s_barrier
	s_and_saveexec_b64 s[0:1], vcc
	s_cbranch_execz .LBB293_279
; %bb.277:
	v_mov_b32_e32 v1, 0x100
	v_lshl_add_u32 v2, v20, 2, v1
	ds_write_b32 v2, v12
	s_and_b64 exec, exec, s[6:7]
	s_cbranch_execz .LBB293_279
; %bb.278:
	v_lshl_add_u32 v1, v0, 2, v1
	ds_write_b32 v1, v13
.LBB293_279:
	s_or_b64 exec, exec, s[0:1]
	v_cmp_gt_u32_e32 vcc, 64, v0
	v_or_b32_e32 v1, 64, v0
	s_waitcnt lgkmcnt(0)
	s_barrier
	s_and_saveexec_b64 s[2:3], vcc
	s_cbranch_execz .LBB293_283
; %bb.280:
	v_mov_b32_e32 v2, 0x100
	v_lshl_add_u32 v2, v0, 2, v2
	ds_read_b32 v0, v2
	s_movk_i32 s0, 0x78
	v_cmp_gt_u32_e64 s[0:1], s0, v1
	s_and_saveexec_b64 s[6:7], s[0:1]
	s_cbranch_execz .LBB293_282
; %bb.281:
	ds_read_b32 v2, v2 offset:256
	s_waitcnt lgkmcnt(0)
	v_add_f32_e32 v13, v13, v2
.LBB293_282:
	s_or_b64 exec, exec, s[6:7]
	s_waitcnt lgkmcnt(0)
	v_add_f32_e32 v12, v12, v0
.LBB293_283:
	s_or_b64 exec, exec, s[2:3]
	s_barrier
	s_and_saveexec_b64 s[0:1], vcc
	s_cbranch_execz .LBB293_294
; %bb.284:
	s_mov_b32 s0, 0x7f800000
	v_and_b32_e32 v0, 0x7f800000, v12
	v_cmp_ne_u32_e32 vcc, s0, v0
                                        ; implicit-def: $vgpr0
	s_and_saveexec_b64 s[0:1], vcc
	s_xor_b64 s[0:1], exec, s[0:1]
; %bb.285:
	v_bfe_u32 v0, v12, 16, 1
	s_movk_i32 s2, 0x7fff
	v_add3_u32 v0, v12, v0, s2
; %bb.286:
	s_andn2_saveexec_b64 s[0:1], s[0:1]
; %bb.287:
	v_mov_b32_e32 v0, 0
	v_or_b32_e32 v2, 0x10000, v12
	v_cmp_eq_u32_sdwa vcc, v12, v0 src0_sel:WORD_0 src1_sel:DWORD
	s_nop 1
	v_cndmask_b32_e32 v0, v2, v12, vcc
; %bb.288:
	s_or_b64 exec, exec, s[0:1]
	s_mul_i32 s0, s24, s23
	s_mul_i32 s0, s0, s5
	s_mulk_i32 s0, 0x78
	s_ashr_i32 s1, s0, 31
	s_lshl_b64 s[0:1], s[0:1], 1
	s_add_u32 s3, s28, s0
	s_mul_i32 s0, s23, s26
	s_addc_u32 s5, s29, s1
	s_ashr_i32 s1, s0, 31
	s_lshl_b64 s[0:1], s[0:1], 1
	s_add_u32 s3, s3, s0
	s_mul_i32 s0, s4, 0x78
	s_addc_u32 s5, s5, s1
	s_ashr_i32 s1, s0, 31
	s_lshl_b64 s[0:1], s[0:1], 1
	s_movk_i32 s2, 0x78
	s_add_u32 s0, s3, s0
	s_addc_u32 s1, s5, s1
	v_cmp_gt_u32_e32 vcc, s2, v1
	global_store_short_d16_hi v10, v0, s[0:1]
	s_and_b64 exec, exec, vcc
	s_cbranch_execz .LBB293_294
; %bb.289:
	s_mov_b32 s2, 0x7f800000
	v_and_b32_e32 v0, 0x7f800000, v13
	v_mov_b32_e32 v11, 0
	v_cmp_ne_u32_e32 vcc, s2, v0
                                        ; implicit-def: $vgpr2
	s_and_saveexec_b64 s[2:3], vcc
	s_xor_b64 s[2:3], exec, s[2:3]
; %bb.290:
	v_bfe_u32 v0, v13, 16, 1
	s_movk_i32 s4, 0x7fff
	v_add3_u32 v2, v13, v0, s4
                                        ; implicit-def: $vgpr13
; %bb.291:
	s_or_saveexec_b64 s[2:3], s[2:3]
	v_lshl_add_u64 v[0:1], s[0:1], 0, v[10:11]
	s_xor_b64 exec, exec, s[2:3]
; %bb.292:
	v_mov_b32_e32 v2, 0
	v_or_b32_e32 v3, 0x10000, v13
	v_cmp_eq_u32_sdwa vcc, v13, v2 src0_sel:WORD_0 src1_sel:DWORD
	s_nop 1
	v_cndmask_b32_e32 v2, v3, v13, vcc
; %bb.293:
	s_or_b64 exec, exec, s[2:3]
	global_store_short_d16_hi v[0:1], v2, off offset:128
.LBB293_294:
	s_endpgm
	.section	.rodata,"a",@progbits
	.p2align	6, 0x0
	.amdhsa_kernel _ZN4vllm25paged_attention_v1_kernelI14__hip_bfloat16hLi120ELi8ELi128ELNS_18Fp8KVCacheDataTypeE1ELb1EEEvPT_PKS3_PKT0_S9_ifPKiSB_iPKfiiiSD_SD_iiiii
		.amdhsa_group_segment_fixed_size 256
		.amdhsa_private_segment_fixed_size 0
		.amdhsa_kernarg_size 384
		.amdhsa_user_sgpr_count 2
		.amdhsa_user_sgpr_dispatch_ptr 0
		.amdhsa_user_sgpr_queue_ptr 0
		.amdhsa_user_sgpr_kernarg_segment_ptr 1
		.amdhsa_user_sgpr_dispatch_id 0
		.amdhsa_user_sgpr_kernarg_preload_length 0
		.amdhsa_user_sgpr_kernarg_preload_offset 0
		.amdhsa_user_sgpr_private_segment_size 0
		.amdhsa_uses_dynamic_stack 0
		.amdhsa_enable_private_segment 0
		.amdhsa_system_sgpr_workgroup_id_x 1
		.amdhsa_system_sgpr_workgroup_id_y 1
		.amdhsa_system_sgpr_workgroup_id_z 1
		.amdhsa_system_sgpr_workgroup_info 0
		.amdhsa_system_vgpr_workitem_id 0
		.amdhsa_next_free_vgpr 54
		.amdhsa_next_free_sgpr 53
		.amdhsa_accum_offset 56
		.amdhsa_reserve_vcc 1
		.amdhsa_float_round_mode_32 0
		.amdhsa_float_round_mode_16_64 0
		.amdhsa_float_denorm_mode_32 3
		.amdhsa_float_denorm_mode_16_64 3
		.amdhsa_dx10_clamp 1
		.amdhsa_ieee_mode 1
		.amdhsa_fp16_overflow 0
		.amdhsa_tg_split 0
		.amdhsa_exception_fp_ieee_invalid_op 0
		.amdhsa_exception_fp_denorm_src 0
		.amdhsa_exception_fp_ieee_div_zero 0
		.amdhsa_exception_fp_ieee_overflow 0
		.amdhsa_exception_fp_ieee_underflow 0
		.amdhsa_exception_fp_ieee_inexact 0
		.amdhsa_exception_int_div_zero 0
	.end_amdhsa_kernel
	.section	.text._ZN4vllm25paged_attention_v1_kernelI14__hip_bfloat16hLi120ELi8ELi128ELNS_18Fp8KVCacheDataTypeE1ELb1EEEvPT_PKS3_PKT0_S9_ifPKiSB_iPKfiiiSD_SD_iiiii,"axG",@progbits,_ZN4vllm25paged_attention_v1_kernelI14__hip_bfloat16hLi120ELi8ELi128ELNS_18Fp8KVCacheDataTypeE1ELb1EEEvPT_PKS3_PKT0_S9_ifPKiSB_iPKfiiiSD_SD_iiiii,comdat
.Lfunc_end293:
	.size	_ZN4vllm25paged_attention_v1_kernelI14__hip_bfloat16hLi120ELi8ELi128ELNS_18Fp8KVCacheDataTypeE1ELb1EEEvPT_PKS3_PKT0_S9_ifPKiSB_iPKfiiiSD_SD_iiiii, .Lfunc_end293-_ZN4vllm25paged_attention_v1_kernelI14__hip_bfloat16hLi120ELi8ELi128ELNS_18Fp8KVCacheDataTypeE1ELb1EEEvPT_PKS3_PKT0_S9_ifPKiSB_iPKfiiiSD_SD_iiiii
                                        ; -- End function
	.section	.AMDGPU.csdata,"",@progbits
; Kernel info:
; codeLenInByte = 10136
; NumSgprs: 59
; NumVgprs: 54
; NumAgprs: 0
; TotalNumVgprs: 54
; ScratchSize: 0
; MemoryBound: 0
; FloatMode: 240
; IeeeMode: 1
; LDSByteSize: 256 bytes/workgroup (compile time only)
; SGPRBlocks: 7
; VGPRBlocks: 6
; NumSGPRsForWavesPerEU: 59
; NumVGPRsForWavesPerEU: 54
; AccumOffset: 56
; Occupancy: 8
; WaveLimiterHint : 1
; COMPUTE_PGM_RSRC2:SCRATCH_EN: 0
; COMPUTE_PGM_RSRC2:USER_SGPR: 2
; COMPUTE_PGM_RSRC2:TRAP_HANDLER: 0
; COMPUTE_PGM_RSRC2:TGID_X_EN: 1
; COMPUTE_PGM_RSRC2:TGID_Y_EN: 1
; COMPUTE_PGM_RSRC2:TGID_Z_EN: 1
; COMPUTE_PGM_RSRC2:TIDIG_COMP_CNT: 0
; COMPUTE_PGM_RSRC3_GFX90A:ACCUM_OFFSET: 13
; COMPUTE_PGM_RSRC3_GFX90A:TG_SPLIT: 0
	.section	.text._ZN4vllm25paged_attention_v1_kernelI14__hip_bfloat16hLi128ELi8ELi128ELNS_18Fp8KVCacheDataTypeE1ELb1EEEvPT_PKS3_PKT0_S9_ifPKiSB_iPKfiiiSD_SD_iiiii,"axG",@progbits,_ZN4vllm25paged_attention_v1_kernelI14__hip_bfloat16hLi128ELi8ELi128ELNS_18Fp8KVCacheDataTypeE1ELb1EEEvPT_PKS3_PKT0_S9_ifPKiSB_iPKfiiiSD_SD_iiiii,comdat
	.protected	_ZN4vllm25paged_attention_v1_kernelI14__hip_bfloat16hLi128ELi8ELi128ELNS_18Fp8KVCacheDataTypeE1ELb1EEEvPT_PKS3_PKT0_S9_ifPKiSB_iPKfiiiSD_SD_iiiii ; -- Begin function _ZN4vllm25paged_attention_v1_kernelI14__hip_bfloat16hLi128ELi8ELi128ELNS_18Fp8KVCacheDataTypeE1ELb1EEEvPT_PKS3_PKT0_S9_ifPKiSB_iPKfiiiSD_SD_iiiii
	.globl	_ZN4vllm25paged_attention_v1_kernelI14__hip_bfloat16hLi128ELi8ELi128ELNS_18Fp8KVCacheDataTypeE1ELb1EEEvPT_PKS3_PKT0_S9_ifPKiSB_iPKfiiiSD_SD_iiiii
	.p2align	8
	.type	_ZN4vllm25paged_attention_v1_kernelI14__hip_bfloat16hLi128ELi8ELi128ELNS_18Fp8KVCacheDataTypeE1ELb1EEEvPT_PKS3_PKT0_S9_ifPKiSB_iPKfiiiSD_SD_iiiii,@function
_ZN4vllm25paged_attention_v1_kernelI14__hip_bfloat16hLi128ELi8ELi128ELNS_18Fp8KVCacheDataTypeE1ELb1EEEvPT_PKS3_PKT0_S9_ifPKiSB_iPKfiiiSD_SD_iiiii: ; @_ZN4vllm25paged_attention_v1_kernelI14__hip_bfloat16hLi128ELi8ELi128ELNS_18Fp8KVCacheDataTypeE1ELb1EEEvPT_PKS3_PKT0_S9_ifPKiSB_iPKfiiiSD_SD_iiiii
; %bb.0:
	s_load_dword s5, s[0:1], 0x80
	s_load_dwordx2 s[6:7], s[0:1], 0x30
	s_load_dwordx2 s[36:37], s[0:1], 0x20
	s_mov_b32 s10, s3
	s_ashr_i32 s11, s3, 31
	s_lshl_b64 s[8:9], s[10:11], 2
	s_waitcnt lgkmcnt(0)
	s_add_u32 s6, s6, s8
	s_addc_u32 s7, s7, s9
	s_abs_i32 s3, s36
	v_cvt_f32_u32_e32 v1, s3
	s_sub_i32 s11, 0, s3
	s_abs_i32 s9, s5
	s_xor_b32 s8, s5, s36
	v_rcp_iflag_f32_e32 v1, v1
	s_ashr_i32 s8, s8, 31
	s_mov_b32 s44, 0
	v_mul_f32_e32 v1, 0x4f7ffffe, v1
	v_cvt_u32_f32_e32 v1, v1
	s_nop 0
	v_readfirstlane_b32 s12, v1
	s_mul_i32 s11, s11, s12
	s_mul_hi_u32 s11, s12, s11
	s_add_i32 s12, s12, s11
	s_mul_hi_u32 s11, s9, s12
	s_mul_i32 s12, s11, s3
	s_sub_i32 s9, s9, s12
	s_add_i32 s12, s11, 1
	s_sub_i32 s13, s9, s3
	s_cmp_ge_u32 s9, s3
	s_cselect_b32 s11, s12, s11
	s_cselect_b32 s9, s13, s9
	s_add_i32 s12, s11, 1
	s_cmp_ge_u32 s9, s3
	s_cselect_b32 s3, s12, s11
	s_xor_b32 s3, s3, s8
	s_sub_i32 s15, s3, s8
	s_abs_i32 s12, s15
	v_cvt_f32_u32_e32 v1, s12
	s_load_dwordx2 s[8:9], s[0:1], 0x40
	s_sub_i32 s3, 0, s12
	s_abs_i32 s13, s2
	v_rcp_iflag_f32_e32 v1, v1
	s_nop 0
	v_mul_f32_e32 v1, 0x4f7ffffe, v1
	v_cvt_u32_f32_e32 v1, v1
	s_nop 0
	v_readfirstlane_b32 s11, v1
	s_mul_i32 s3, s3, s11
	s_mul_hi_u32 s3, s11, s3
	s_add_i32 s11, s11, s3
	s_waitcnt lgkmcnt(0)
	s_cmp_eq_u64 s[8:9], 0
	s_mul_hi_u32 s14, s13, s11
	s_cbranch_scc1 .LBB294_2
; %bb.1:
	s_ashr_i32 s3, s2, 31
	s_lshl_b64 s[16:17], s[2:3], 2
	s_add_u32 s8, s8, s16
	s_addc_u32 s9, s9, s17
	s_load_dword s44, s[8:9], 0x0
.LBB294_2:
	s_load_dword s11, s[6:7], 0x0
	s_load_dwordx4 s[16:19], s[0:1], 0x48
	s_movk_i32 s3, 0x80
	s_ashr_i32 s8, s2, 31
	s_ashr_i32 s9, s15, 31
	v_and_b32_e32 v12, 7, v0
	s_lshl_b32 s24, s2, 7
	v_cmp_gt_u32_e32 vcc, s3, v0
	v_lshlrev_b32_e32 v10, 1, v0
	s_and_saveexec_b64 s[6:7], vcc
	s_cbranch_execz .LBB294_4
; %bb.3:
	s_load_dwordx2 s[20:21], s[0:1], 0x8
	s_waitcnt lgkmcnt(0)
	s_mul_i32 s22, s10, s16
	s_ashr_i32 s23, s22, 31
	s_lshl_b64 s[22:23], s[22:23], 1
	v_lshrrev_b32_e32 v2, 2, v0
	s_add_u32 s3, s20, s22
	s_addc_u32 s15, s21, s23
	s_ashr_i32 s25, s24, 31
	s_lshl_b64 s[20:21], s[24:25], 1
	s_add_u32 s20, s3, s20
	s_addc_u32 s21, s15, s21
	global_load_ushort v1, v10, s[20:21]
	v_and_b32_e32 v2, 0xfe, v2
	v_lshl_add_u32 v2, v12, 5, v2
	s_waitcnt vmcnt(0)
	ds_write_b16 v2, v1
.LBB294_4:
	s_or_b64 exec, exec, s[6:7]
	s_mul_i32 s7, s14, s12
	s_sub_i32 s7, s13, s7
	s_xor_b32 s6, s8, s9
	s_add_i32 s8, s14, 1
	s_sub_i32 s9, s7, s12
	s_load_dwordx4 s[20:23], s[0:1], 0x68
	s_load_dword s3, s[0:1], 0x78
	s_cmp_ge_u32 s7, s12
	s_cselect_b32 s8, s8, s14
	s_cselect_b32 s7, s9, s7
	s_add_i32 s9, s8, 1
	s_cmp_ge_u32 s7, s12
	s_cselect_b32 s7, s9, s8
	s_waitcnt lgkmcnt(0)
	s_abs_i32 s25, s23
	v_cvt_f32_u32_e32 v1, s25
	s_xor_b32 s7, s7, s6
	s_sub_i32 s43, s7, s6
	s_sub_i32 s6, 0, s25
	v_rcp_iflag_f32_e32 v1, v1
	s_add_i32 s12, s11, -1
	s_abs_i32 s8, s12
	v_mul_f32_e32 v1, 0x4f7ffffe, v1
	v_cvt_u32_f32_e32 v1, v1
	s_barrier
	v_readfirstlane_b32 s33, v1
	s_mul_i32 s6, s6, s33
	s_mul_hi_u32 s6, s33, s6
	s_add_i32 s33, s33, s6
	s_cmp_lt_i32 s3, 0
	s_mul_hi_u32 s9, s8, s33
	s_cbranch_scc0 .LBB294_6
; %bb.5:
	s_mul_i32 s6, s20, s36
	s_add_i32 s6, s43, s6
	s_mul_i32 s6, s6, s3
	s_sub_i32 s36, 1, s6
	s_mov_b64 s[6:7], 0
	s_branch .LBB294_7
.LBB294_6:
	s_mov_b64 s[6:7], -1
                                        ; implicit-def: $sgpr36
.LBB294_7:
	s_load_dwordx2 s[28:29], s[0:1], 0x28
	s_ashr_i32 s19, s12, 31
	s_andn2_b64 vcc, exec, s[6:7]
	s_ashr_i32 s23, s23, 31
	s_cbranch_vccnz .LBB294_9
; %bb.8:
	s_mul_i32 s6, s5, s20
	s_add_i32 s2, s6, s2
	s_mul_i32 s2, s2, s3
	s_add_i32 s36, s2, 1
.LBB294_9:
	s_load_dword s2, s[0:1], 0x38
	s_load_dwordx2 s[26:27], s[0:1], 0x0
	s_load_dwordx2 s[34:35], s[0:1], 0x18
	s_load_dword s16, s[0:1], 0x88
	s_load_dwordx4 s[12:15], s[0:1], 0x58
	s_mul_i32 s3, s9, s25
	s_waitcnt lgkmcnt(0)
	s_mul_i32 s30, s10, s2
	s_sub_i32 s3, s8, s3
	s_ashr_i32 s31, s30, 31
	s_xor_b32 s2, s19, s23
	s_add_i32 s6, s9, 1
	s_sub_i32 s7, s3, s25
	s_cmp_ge_u32 s3, s25
	s_cselect_b32 s6, s6, s9
	s_cselect_b32 s3, s7, s3
	s_add_i32 s7, s6, 1
	s_cmp_ge_u32 s3, s25
	s_cselect_b32 s3, s7, s6
	s_xor_b32 s3, s3, s2
	s_sub_i32 s42, s3, s2
	s_add_i32 s2, s11, 7
	s_ashr_i32 s3, s2, 31
	s_lshr_b32 s3, s3, 29
	s_add_i32 s2, s2, s3
	s_ashr_i32 s20, s2, 3
	v_lshrrev_b32_e32 v1, 6, v0
	v_cmp_gt_i32_e64 s[6:7], s20, v1
	v_mov_b32_e32 v24, 0xff7fffff
	s_mul_i32 s43, s43, s18
	v_lshrrev_b32_e32 v21, 4, v0
	v_lshlrev_b32_e32 v11, 3, v1
	v_mbcnt_lo_u32_b32 v20, -1, 0
	s_and_saveexec_b64 s[18:19], s[6:7]
	s_cbranch_execz .LBB294_83
; %bb.10:
	s_load_dwordx2 s[0:1], s[0:1], 0x10
	s_sub_i32 s45, s42, s21
	s_ashr_i32 s2, s43, 31
	v_bfe_u32 v22, v0, 3, 3
	v_mov_b32_e32 v13, 0
	s_waitcnt lgkmcnt(0)
	s_add_u32 s0, s0, s43
	s_addc_u32 s1, s1, s2
	s_abs_i32 s46, s22
	v_cvt_f32_u32_e32 v2, s46
	v_cmp_eq_u32_e32 vcc, 0, v12
	s_mov_b32 s47, s17
	v_lshlrev_b32_e32 v23, 5, v12
	v_rcp_iflag_f32_e32 v3, v2
	v_lshlrev_b32_e32 v2, 4, v22
	v_cmp_neq_f32_e64 s[2:3], s44, 0
	v_lshlrev_b32_e32 v26, 3, v1
	v_mul_f32_e32 v3, 0x4f7ffffe, v3
	v_cvt_u32_f32_e32 v4, v3
	v_mov_b32_e32 v3, v13
	v_lshl_add_u64 v[14:15], s[0:1], 0, v[2:3]
	s_sub_i32 s0, 0, s46
	v_mul_lo_u32 v2, s0, v4
	s_lshl_b64 s[0:1], s[30:31], 2
	v_mul_hi_u32 v2, v4, v2
	s_add_u32 s0, s28, s0
	v_add_u32_e32 v25, v4, v2
	v_and_b32_e32 v2, 60, v21
	s_addc_u32 s1, s29, s1
	v_lshl_add_u64 v[16:17], s[0:1], 0, v[2:3]
	v_lshlrev_b32_e32 v2, 2, v22
	v_lshl_or_b32 v2, v1, 5, v2
	v_add_u32_e32 v27, 0x110, v2
	v_subrev_u32_e32 v2, s11, v22
	v_add_u32_e32 v28, 1, v2
	s_mov_b64 s[38:39], 0
	v_mov_b32_e32 v29, 0xff7fffff
	s_mov_b32 s48, 0x7f800000
	s_movk_i32 s49, 0x7fff
	v_mbcnt_hi_u32_b32 v30, -1, v20
	v_mov_b32_e32 v24, 0xff7fffff
	v_mov_b32_e32 v31, v1
	s_branch .LBB294_13
.LBB294_11:                             ;   in Loop: Header=BB294_13 Depth=1
	s_or_b64 exec, exec, s[40:41]
.LBB294_12:                             ;   in Loop: Header=BB294_13 Depth=1
	s_or_b64 exec, exec, s[8:9]
	v_add_u32_e32 v31, 2, v31
	v_cmp_le_i32_e64 s[0:1], s20, v31
	v_lshl_add_u64 v[16:17], v[16:17], 0, 8
	v_add_u32_e32 v26, 16, v26
	s_or_b64 s[38:39], s[0:1], s[38:39]
	v_add_u32_e32 v27, 64, v27
	s_andn2_b64 exec, exec, s[38:39]
	s_cbranch_execz .LBB294_82
.LBB294_13:                             ; =>This Inner Loop Header: Depth=1
	v_mul_hi_u32 v2, v26, s33
	s_waitcnt lgkmcnt(0)
	v_mul_lo_u32 v3, v2, s25
	v_sub_u32_e32 v3, v26, v3
	v_add_u32_e32 v4, 1, v2
	v_cmp_le_u32_e64 s[0:1], s25, v3
	s_nop 1
	v_cndmask_b32_e64 v2, v2, v4, s[0:1]
	v_subrev_u32_e32 v4, s25, v3
	v_cndmask_b32_e64 v3, v3, v4, s[0:1]
	v_add_u32_e32 v4, 1, v2
	v_cmp_le_u32_e64 s[0:1], s25, v3
	s_nop 1
	v_cndmask_b32_e64 v2, v2, v4, s[0:1]
	v_xor_b32_e32 v2, s23, v2
	v_subrev_u32_e32 v2, s23, v2
	v_add_u32_e32 v3, s36, v2
	v_sub_u32_e32 v5, 0, v3
	v_ashrrev_i32_e32 v4, 31, v3
	v_max_i32_e32 v3, v3, v5
	v_mul_hi_u32 v5, v3, v25
	v_mul_lo_u32 v5, v5, s46
	v_sub_u32_e32 v3, v3, v5
	v_subrev_u32_e32 v5, s46, v3
	v_cmp_le_u32_e64 s[0:1], s46, v3
	v_cmp_ge_i32_e64 s[8:9], s45, v2
	s_nop 0
	v_cndmask_b32_e64 v3, v3, v5, s[0:1]
	v_subrev_u32_e32 v5, s46, v3
	v_cmp_le_u32_e64 s[0:1], s46, v3
	s_nop 1
	v_cndmask_b32_e64 v3, v3, v5, s[0:1]
	v_xor_b32_e32 v3, v3, v4
	v_sub_u32_e32 v3, v3, v4
	v_cmp_ne_u32_e64 s[0:1], 0, v3
	s_and_b64 s[0:1], s[0:1], s[8:9]
	s_and_b64 s[40:41], vcc, s[0:1]
	s_and_saveexec_b64 s[8:9], s[40:41]
	s_cbranch_execz .LBB294_15
; %bb.14:                               ;   in Loop: Header=BB294_13 Depth=1
	ds_write_b32 v27, v29
.LBB294_15:                             ;   in Loop: Header=BB294_13 Depth=1
	s_or_b64 exec, exec, s[8:9]
	s_xor_b64 s[0:1], s[0:1], -1
	s_and_saveexec_b64 s[8:9], s[0:1]
	s_cbranch_execz .LBB294_12
; %bb.16:                               ;   in Loop: Header=BB294_13 Depth=1
	global_load_dword v2, v[16:17], off
	s_load_dword s50, s[12:13], 0x0
	s_waitcnt vmcnt(0)
	v_mad_i64_i32 v[2:3], s[0:1], v2, s47, v[14:15]
	v_lshl_add_u64 v[18:19], v[2:3], 0, v[12:13]
	global_load_ubyte v2, v[18:19], off
	s_waitcnt vmcnt(0)
	v_cvt_f32_fp8_sdwa v32, v2 src0_sel:BYTE_0
	ds_read_b128 v[6:9], v23
	ds_read_b128 v[2:5], v23 offset:16
	s_waitcnt lgkmcnt(0)
	v_mul_f32_e32 v33, s50, v32
	v_and_b32_e32 v32, 0x7f800000, v33
	v_cmp_ne_u32_e64 s[0:1], s48, v32
                                        ; implicit-def: $vgpr32
	s_and_saveexec_b64 s[40:41], s[0:1]
	s_xor_b64 s[0:1], exec, s[40:41]
; %bb.17:                               ;   in Loop: Header=BB294_13 Depth=1
	v_bfe_u32 v32, v33, 16, 1
	v_add3_u32 v32, v33, v32, s49
                                        ; implicit-def: $vgpr33
; %bb.18:                               ;   in Loop: Header=BB294_13 Depth=1
	s_andn2_saveexec_b64 s[40:41], s[0:1]
; %bb.19:                               ;   in Loop: Header=BB294_13 Depth=1
	v_or_b32_e32 v32, 0x10000, v33
	v_cmp_eq_u32_sdwa s[0:1], v33, v13 src0_sel:WORD_0 src1_sel:DWORD
	s_nop 1
	v_cndmask_b32_e64 v32, v32, v33, s[0:1]
; %bb.20:                               ;   in Loop: Header=BB294_13 Depth=1
	s_or_b64 exec, exec, s[40:41]
	global_load_ubyte v33, v[18:19], off offset:8
	s_waitcnt vmcnt(0)
	v_cvt_f32_fp8_sdwa v33, v33 src0_sel:BYTE_0
	s_nop 0
	v_mul_f32_e32 v34, s50, v33
	v_and_b32_e32 v33, 0x7f800000, v34
	v_cmp_ne_u32_e64 s[0:1], s48, v33
                                        ; implicit-def: $vgpr33
	s_and_saveexec_b64 s[40:41], s[0:1]
	s_xor_b64 s[0:1], exec, s[40:41]
; %bb.21:                               ;   in Loop: Header=BB294_13 Depth=1
	v_bfe_u32 v33, v34, 16, 1
	v_add3_u32 v33, v34, v33, s49
                                        ; implicit-def: $vgpr34
; %bb.22:                               ;   in Loop: Header=BB294_13 Depth=1
	s_andn2_saveexec_b64 s[40:41], s[0:1]
; %bb.23:                               ;   in Loop: Header=BB294_13 Depth=1
	v_or_b32_e32 v33, 0x10000, v34
	v_cmp_eq_u32_sdwa s[0:1], v34, v13 src0_sel:WORD_0 src1_sel:DWORD
	s_nop 1
	v_cndmask_b32_e64 v33, v33, v34, s[0:1]
; %bb.24:                               ;   in Loop: Header=BB294_13 Depth=1
	s_or_b64 exec, exec, s[40:41]
	global_load_ubyte v34, v[18:19], off offset:128
	s_waitcnt vmcnt(0)
	v_cvt_f32_fp8_sdwa v34, v34 src0_sel:BYTE_0
	s_nop 0
	v_mul_f32_e32 v35, s50, v34
	v_and_b32_e32 v34, 0x7f800000, v35
	v_cmp_ne_u32_e64 s[0:1], s48, v34
                                        ; implicit-def: $vgpr34
	s_and_saveexec_b64 s[40:41], s[0:1]
	s_xor_b64 s[0:1], exec, s[40:41]
; %bb.25:                               ;   in Loop: Header=BB294_13 Depth=1
	v_bfe_u32 v34, v35, 16, 1
	v_add3_u32 v34, v35, v34, s49
                                        ; implicit-def: $vgpr35
; %bb.26:                               ;   in Loop: Header=BB294_13 Depth=1
	s_andn2_saveexec_b64 s[40:41], s[0:1]
; %bb.27:                               ;   in Loop: Header=BB294_13 Depth=1
	v_or_b32_e32 v34, 0x10000, v35
	v_cmp_eq_u32_sdwa s[0:1], v35, v13 src0_sel:WORD_0 src1_sel:DWORD
	s_nop 1
	v_cndmask_b32_e64 v34, v34, v35, s[0:1]
; %bb.28:                               ;   in Loop: Header=BB294_13 Depth=1
	s_or_b64 exec, exec, s[40:41]
	global_load_ubyte v35, v[18:19], off offset:136
	s_waitcnt vmcnt(0)
	v_cvt_f32_fp8_sdwa v35, v35 src0_sel:BYTE_0
	s_nop 0
	v_mul_f32_e32 v36, s50, v35
	v_and_b32_e32 v35, 0x7f800000, v36
	v_cmp_ne_u32_e64 s[0:1], s48, v35
                                        ; implicit-def: $vgpr35
	s_and_saveexec_b64 s[40:41], s[0:1]
	s_xor_b64 s[0:1], exec, s[40:41]
; %bb.29:                               ;   in Loop: Header=BB294_13 Depth=1
	v_bfe_u32 v35, v36, 16, 1
	v_add3_u32 v35, v36, v35, s49
                                        ; implicit-def: $vgpr36
; %bb.30:                               ;   in Loop: Header=BB294_13 Depth=1
	s_andn2_saveexec_b64 s[40:41], s[0:1]
; %bb.31:                               ;   in Loop: Header=BB294_13 Depth=1
	v_or_b32_e32 v35, 0x10000, v36
	v_cmp_eq_u32_sdwa s[0:1], v36, v13 src0_sel:WORD_0 src1_sel:DWORD
	s_nop 1
	v_cndmask_b32_e64 v35, v35, v36, s[0:1]
; %bb.32:                               ;   in Loop: Header=BB294_13 Depth=1
	s_or_b64 exec, exec, s[40:41]
	global_load_ubyte v36, v[18:19], off offset:256
	s_waitcnt vmcnt(0)
	v_cvt_f32_fp8_sdwa v36, v36 src0_sel:BYTE_0
	s_nop 0
	v_mul_f32_e32 v37, s50, v36
	v_and_b32_e32 v36, 0x7f800000, v37
	v_cmp_ne_u32_e64 s[0:1], s48, v36
                                        ; implicit-def: $vgpr36
	s_and_saveexec_b64 s[40:41], s[0:1]
	s_xor_b64 s[0:1], exec, s[40:41]
; %bb.33:                               ;   in Loop: Header=BB294_13 Depth=1
	v_bfe_u32 v36, v37, 16, 1
	v_add3_u32 v36, v37, v36, s49
                                        ; implicit-def: $vgpr37
; %bb.34:                               ;   in Loop: Header=BB294_13 Depth=1
	s_andn2_saveexec_b64 s[40:41], s[0:1]
; %bb.35:                               ;   in Loop: Header=BB294_13 Depth=1
	v_or_b32_e32 v36, 0x10000, v37
	v_cmp_eq_u32_sdwa s[0:1], v37, v13 src0_sel:WORD_0 src1_sel:DWORD
	s_nop 1
	v_cndmask_b32_e64 v36, v36, v37, s[0:1]
; %bb.36:                               ;   in Loop: Header=BB294_13 Depth=1
	s_or_b64 exec, exec, s[40:41]
	global_load_ubyte v37, v[18:19], off offset:264
	s_waitcnt vmcnt(0)
	v_cvt_f32_fp8_sdwa v37, v37 src0_sel:BYTE_0
	s_nop 0
	v_mul_f32_e32 v38, s50, v37
	v_and_b32_e32 v37, 0x7f800000, v38
	v_cmp_ne_u32_e64 s[0:1], s48, v37
                                        ; implicit-def: $vgpr37
	s_and_saveexec_b64 s[40:41], s[0:1]
	s_xor_b64 s[0:1], exec, s[40:41]
; %bb.37:                               ;   in Loop: Header=BB294_13 Depth=1
	v_bfe_u32 v37, v38, 16, 1
	v_add3_u32 v37, v38, v37, s49
                                        ; implicit-def: $vgpr38
; %bb.38:                               ;   in Loop: Header=BB294_13 Depth=1
	s_andn2_saveexec_b64 s[40:41], s[0:1]
; %bb.39:                               ;   in Loop: Header=BB294_13 Depth=1
	v_or_b32_e32 v37, 0x10000, v38
	v_cmp_eq_u32_sdwa s[0:1], v38, v13 src0_sel:WORD_0 src1_sel:DWORD
	s_nop 1
	v_cndmask_b32_e64 v37, v37, v38, s[0:1]
; %bb.40:                               ;   in Loop: Header=BB294_13 Depth=1
	s_or_b64 exec, exec, s[40:41]
	global_load_ubyte v38, v[18:19], off offset:384
	s_waitcnt vmcnt(0)
	v_cvt_f32_fp8_sdwa v38, v38 src0_sel:BYTE_0
	s_nop 0
	v_mul_f32_e32 v39, s50, v38
	v_and_b32_e32 v38, 0x7f800000, v39
	v_cmp_ne_u32_e64 s[0:1], s48, v38
                                        ; implicit-def: $vgpr38
	s_and_saveexec_b64 s[40:41], s[0:1]
	s_xor_b64 s[0:1], exec, s[40:41]
; %bb.41:                               ;   in Loop: Header=BB294_13 Depth=1
	v_bfe_u32 v38, v39, 16, 1
	v_add3_u32 v38, v39, v38, s49
                                        ; implicit-def: $vgpr39
; %bb.42:                               ;   in Loop: Header=BB294_13 Depth=1
	s_andn2_saveexec_b64 s[40:41], s[0:1]
; %bb.43:                               ;   in Loop: Header=BB294_13 Depth=1
	v_or_b32_e32 v38, 0x10000, v39
	v_cmp_eq_u32_sdwa s[0:1], v39, v13 src0_sel:WORD_0 src1_sel:DWORD
	s_nop 1
	v_cndmask_b32_e64 v38, v38, v39, s[0:1]
; %bb.44:                               ;   in Loop: Header=BB294_13 Depth=1
	s_or_b64 exec, exec, s[40:41]
	global_load_ubyte v39, v[18:19], off offset:392
	s_waitcnt vmcnt(0)
	v_cvt_f32_fp8_sdwa v39, v39 src0_sel:BYTE_0
	s_nop 0
	v_mul_f32_e32 v40, s50, v39
	v_and_b32_e32 v39, 0x7f800000, v40
	v_cmp_ne_u32_e64 s[0:1], s48, v39
                                        ; implicit-def: $vgpr39
	s_and_saveexec_b64 s[40:41], s[0:1]
	s_xor_b64 s[0:1], exec, s[40:41]
; %bb.45:                               ;   in Loop: Header=BB294_13 Depth=1
	v_bfe_u32 v39, v40, 16, 1
	v_add3_u32 v39, v40, v39, s49
                                        ; implicit-def: $vgpr40
; %bb.46:                               ;   in Loop: Header=BB294_13 Depth=1
	s_andn2_saveexec_b64 s[40:41], s[0:1]
; %bb.47:                               ;   in Loop: Header=BB294_13 Depth=1
	v_or_b32_e32 v39, 0x10000, v40
	v_cmp_eq_u32_sdwa s[0:1], v40, v13 src0_sel:WORD_0 src1_sel:DWORD
	s_nop 1
	v_cndmask_b32_e64 v39, v39, v40, s[0:1]
; %bb.48:                               ;   in Loop: Header=BB294_13 Depth=1
	s_or_b64 exec, exec, s[40:41]
	global_load_ubyte v40, v[18:19], off offset:512
	s_waitcnt vmcnt(0)
	v_cvt_f32_fp8_sdwa v40, v40 src0_sel:BYTE_0
	s_nop 0
	v_mul_f32_e32 v41, s50, v40
	v_and_b32_e32 v40, 0x7f800000, v41
	v_cmp_ne_u32_e64 s[0:1], s48, v40
                                        ; implicit-def: $vgpr40
	s_and_saveexec_b64 s[40:41], s[0:1]
	s_xor_b64 s[0:1], exec, s[40:41]
; %bb.49:                               ;   in Loop: Header=BB294_13 Depth=1
	v_bfe_u32 v40, v41, 16, 1
	v_add3_u32 v40, v41, v40, s49
                                        ; implicit-def: $vgpr41
; %bb.50:                               ;   in Loop: Header=BB294_13 Depth=1
	s_andn2_saveexec_b64 s[40:41], s[0:1]
; %bb.51:                               ;   in Loop: Header=BB294_13 Depth=1
	v_or_b32_e32 v40, 0x10000, v41
	v_cmp_eq_u32_sdwa s[0:1], v41, v13 src0_sel:WORD_0 src1_sel:DWORD
	s_nop 1
	v_cndmask_b32_e64 v40, v40, v41, s[0:1]
; %bb.52:                               ;   in Loop: Header=BB294_13 Depth=1
	s_or_b64 exec, exec, s[40:41]
	global_load_ubyte v41, v[18:19], off offset:520
	s_waitcnt vmcnt(0)
	v_cvt_f32_fp8_sdwa v41, v41 src0_sel:BYTE_0
	s_nop 0
	v_mul_f32_e32 v42, s50, v41
	v_and_b32_e32 v41, 0x7f800000, v42
	v_cmp_ne_u32_e64 s[0:1], s48, v41
                                        ; implicit-def: $vgpr41
	s_and_saveexec_b64 s[40:41], s[0:1]
	s_xor_b64 s[0:1], exec, s[40:41]
; %bb.53:                               ;   in Loop: Header=BB294_13 Depth=1
	v_bfe_u32 v41, v42, 16, 1
	v_add3_u32 v41, v42, v41, s49
                                        ; implicit-def: $vgpr42
; %bb.54:                               ;   in Loop: Header=BB294_13 Depth=1
	s_andn2_saveexec_b64 s[40:41], s[0:1]
; %bb.55:                               ;   in Loop: Header=BB294_13 Depth=1
	v_or_b32_e32 v41, 0x10000, v42
	v_cmp_eq_u32_sdwa s[0:1], v42, v13 src0_sel:WORD_0 src1_sel:DWORD
	s_nop 1
	v_cndmask_b32_e64 v41, v41, v42, s[0:1]
; %bb.56:                               ;   in Loop: Header=BB294_13 Depth=1
	s_or_b64 exec, exec, s[40:41]
	global_load_ubyte v42, v[18:19], off offset:640
	s_waitcnt vmcnt(0)
	v_cvt_f32_fp8_sdwa v42, v42 src0_sel:BYTE_0
	s_nop 0
	v_mul_f32_e32 v43, s50, v42
	v_and_b32_e32 v42, 0x7f800000, v43
	v_cmp_ne_u32_e64 s[0:1], s48, v42
                                        ; implicit-def: $vgpr42
	s_and_saveexec_b64 s[40:41], s[0:1]
	s_xor_b64 s[0:1], exec, s[40:41]
; %bb.57:                               ;   in Loop: Header=BB294_13 Depth=1
	v_bfe_u32 v42, v43, 16, 1
	v_add3_u32 v42, v43, v42, s49
                                        ; implicit-def: $vgpr43
; %bb.58:                               ;   in Loop: Header=BB294_13 Depth=1
	s_andn2_saveexec_b64 s[40:41], s[0:1]
; %bb.59:                               ;   in Loop: Header=BB294_13 Depth=1
	v_or_b32_e32 v42, 0x10000, v43
	v_cmp_eq_u32_sdwa s[0:1], v43, v13 src0_sel:WORD_0 src1_sel:DWORD
	s_nop 1
	v_cndmask_b32_e64 v42, v42, v43, s[0:1]
; %bb.60:                               ;   in Loop: Header=BB294_13 Depth=1
	s_or_b64 exec, exec, s[40:41]
	global_load_ubyte v43, v[18:19], off offset:648
	s_waitcnt vmcnt(0)
	v_cvt_f32_fp8_sdwa v43, v43 src0_sel:BYTE_0
	s_nop 0
	v_mul_f32_e32 v44, s50, v43
	v_and_b32_e32 v43, 0x7f800000, v44
	v_cmp_ne_u32_e64 s[0:1], s48, v43
                                        ; implicit-def: $vgpr43
	s_and_saveexec_b64 s[40:41], s[0:1]
	s_xor_b64 s[0:1], exec, s[40:41]
; %bb.61:                               ;   in Loop: Header=BB294_13 Depth=1
	v_bfe_u32 v43, v44, 16, 1
	v_add3_u32 v43, v44, v43, s49
                                        ; implicit-def: $vgpr44
; %bb.62:                               ;   in Loop: Header=BB294_13 Depth=1
	s_andn2_saveexec_b64 s[40:41], s[0:1]
; %bb.63:                               ;   in Loop: Header=BB294_13 Depth=1
	v_or_b32_e32 v43, 0x10000, v44
	v_cmp_eq_u32_sdwa s[0:1], v44, v13 src0_sel:WORD_0 src1_sel:DWORD
	s_nop 1
	v_cndmask_b32_e64 v43, v43, v44, s[0:1]
; %bb.64:                               ;   in Loop: Header=BB294_13 Depth=1
	s_or_b64 exec, exec, s[40:41]
	global_load_ubyte v44, v[18:19], off offset:768
	s_waitcnt vmcnt(0)
	v_cvt_f32_fp8_sdwa v44, v44 src0_sel:BYTE_0
	s_nop 0
	v_mul_f32_e32 v45, s50, v44
	v_and_b32_e32 v44, 0x7f800000, v45
	v_cmp_ne_u32_e64 s[0:1], s48, v44
                                        ; implicit-def: $vgpr44
	s_and_saveexec_b64 s[40:41], s[0:1]
	s_xor_b64 s[0:1], exec, s[40:41]
; %bb.65:                               ;   in Loop: Header=BB294_13 Depth=1
	v_bfe_u32 v44, v45, 16, 1
	v_add3_u32 v44, v45, v44, s49
                                        ; implicit-def: $vgpr45
; %bb.66:                               ;   in Loop: Header=BB294_13 Depth=1
	s_andn2_saveexec_b64 s[40:41], s[0:1]
; %bb.67:                               ;   in Loop: Header=BB294_13 Depth=1
	v_or_b32_e32 v44, 0x10000, v45
	v_cmp_eq_u32_sdwa s[0:1], v45, v13 src0_sel:WORD_0 src1_sel:DWORD
	s_nop 1
	v_cndmask_b32_e64 v44, v44, v45, s[0:1]
; %bb.68:                               ;   in Loop: Header=BB294_13 Depth=1
	s_or_b64 exec, exec, s[40:41]
	global_load_ubyte v45, v[18:19], off offset:776
	s_waitcnt vmcnt(0)
	v_cvt_f32_fp8_sdwa v45, v45 src0_sel:BYTE_0
	s_nop 0
	v_mul_f32_e32 v46, s50, v45
	v_and_b32_e32 v45, 0x7f800000, v46
	v_cmp_ne_u32_e64 s[0:1], s48, v45
                                        ; implicit-def: $vgpr45
	s_and_saveexec_b64 s[40:41], s[0:1]
	s_xor_b64 s[0:1], exec, s[40:41]
; %bb.69:                               ;   in Loop: Header=BB294_13 Depth=1
	v_bfe_u32 v45, v46, 16, 1
	v_add3_u32 v45, v46, v45, s49
                                        ; implicit-def: $vgpr46
; %bb.70:                               ;   in Loop: Header=BB294_13 Depth=1
	s_andn2_saveexec_b64 s[40:41], s[0:1]
; %bb.71:                               ;   in Loop: Header=BB294_13 Depth=1
	v_or_b32_e32 v45, 0x10000, v46
	v_cmp_eq_u32_sdwa s[0:1], v46, v13 src0_sel:WORD_0 src1_sel:DWORD
	s_nop 1
	v_cndmask_b32_e64 v45, v45, v46, s[0:1]
; %bb.72:                               ;   in Loop: Header=BB294_13 Depth=1
	s_or_b64 exec, exec, s[40:41]
	global_load_ubyte v46, v[18:19], off offset:896
	s_waitcnt vmcnt(0)
	v_cvt_f32_fp8_sdwa v46, v46 src0_sel:BYTE_0
	s_nop 0
	v_mul_f32_e32 v47, s50, v46
	v_and_b32_e32 v46, 0x7f800000, v47
	v_cmp_ne_u32_e64 s[0:1], s48, v46
                                        ; implicit-def: $vgpr46
	s_and_saveexec_b64 s[40:41], s[0:1]
	s_xor_b64 s[0:1], exec, s[40:41]
; %bb.73:                               ;   in Loop: Header=BB294_13 Depth=1
	v_bfe_u32 v46, v47, 16, 1
	v_add3_u32 v46, v47, v46, s49
                                        ; implicit-def: $vgpr47
; %bb.74:                               ;   in Loop: Header=BB294_13 Depth=1
	s_andn2_saveexec_b64 s[40:41], s[0:1]
; %bb.75:                               ;   in Loop: Header=BB294_13 Depth=1
	v_or_b32_e32 v46, 0x10000, v47
	v_cmp_eq_u32_sdwa s[0:1], v47, v13 src0_sel:WORD_0 src1_sel:DWORD
	s_nop 1
	v_cndmask_b32_e64 v46, v46, v47, s[0:1]
; %bb.76:                               ;   in Loop: Header=BB294_13 Depth=1
	s_or_b64 exec, exec, s[40:41]
	global_load_ubyte v18, v[18:19], off offset:904
	s_waitcnt vmcnt(0)
	v_cvt_f32_fp8_sdwa v18, v18 src0_sel:BYTE_0
	s_nop 0
	v_mul_f32_e32 v19, s50, v18
	v_and_b32_e32 v18, 0x7f800000, v19
	v_cmp_ne_u32_e64 s[0:1], s48, v18
                                        ; implicit-def: $vgpr18
	s_and_saveexec_b64 s[40:41], s[0:1]
	s_xor_b64 s[0:1], exec, s[40:41]
; %bb.77:                               ;   in Loop: Header=BB294_13 Depth=1
	v_bfe_u32 v18, v19, 16, 1
	v_add3_u32 v18, v19, v18, s49
                                        ; implicit-def: $vgpr19
; %bb.78:                               ;   in Loop: Header=BB294_13 Depth=1
	s_andn2_saveexec_b64 s[40:41], s[0:1]
; %bb.79:                               ;   in Loop: Header=BB294_13 Depth=1
	v_or_b32_e32 v18, 0x10000, v19
	v_cmp_eq_u32_sdwa s[0:1], v19, v13 src0_sel:WORD_0 src1_sel:DWORD
	s_nop 1
	v_cndmask_b32_e64 v18, v18, v19, s[0:1]
; %bb.80:                               ;   in Loop: Header=BB294_13 Depth=1
	s_or_b64 exec, exec, s[40:41]
	v_and_b32_e32 v19, 0xffff0000, v46
	v_and_b32_e32 v33, 0xffff0000, v33
	v_lshlrev_b32_e32 v46, 16, v6
	v_and_b32_e32 v6, 0xffff0000, v6
	v_and_b32_e32 v32, 0xffff0000, v32
	v_mul_f32_e32 v6, v6, v33
	v_and_b32_e32 v34, 0xffff0000, v34
	v_lshlrev_b32_e32 v47, 16, v7
	v_fmac_f32_e32 v6, v46, v32
	v_and_b32_e32 v35, 0xffff0000, v35
	v_and_b32_e32 v7, 0xffff0000, v7
	v_fmac_f32_e32 v6, v47, v34
	v_and_b32_e32 v36, 0xffff0000, v36
	v_lshlrev_b32_e32 v48, 16, v8
	v_fmac_f32_e32 v6, v7, v35
	v_and_b32_e32 v37, 0xffff0000, v37
	v_and_b32_e32 v8, 0xffff0000, v8
	v_fmac_f32_e32 v6, v48, v36
	;; [unrolled: 6-line block ×5, first 2 shown]
	v_and_b32_e32 v44, 0xffff0000, v44
	v_lshlrev_b32_e32 v52, 16, v4
	v_and_b32_e32 v54, 64, v30
	v_fmac_f32_e32 v6, v3, v43
	v_and_b32_e32 v45, 0xffff0000, v45
	v_and_b32_e32 v4, 0xffff0000, v4
	v_add_u32_e32 v54, 64, v54
	v_xor_b32_e32 v55, 4, v30
	v_fmac_f32_e32 v6, v52, v44
	v_lshlrev_b32_e32 v53, 16, v5
	v_cmp_lt_i32_e64 s[0:1], v55, v54
	v_fmac_f32_e32 v6, v4, v45
	v_and_b32_e32 v5, 0xffff0000, v5
	v_cndmask_b32_e64 v55, v30, v55, s[0:1]
	v_and_b32_e32 v18, 0xffff0000, v18
	v_fmac_f32_e32 v6, v53, v19
	v_lshlrev_b32_e32 v55, 2, v55
	v_fmac_f32_e32 v6, v5, v18
	ds_bpermute_b32 v2, v55, v6
	v_xor_b32_e32 v3, 2, v30
	v_cmp_lt_i32_e64 s[0:1], v3, v54
	v_xor_b32_e32 v4, 1, v30
	s_waitcnt lgkmcnt(0)
	v_add_f32_e32 v2, v6, v2
	v_cndmask_b32_e64 v3, v30, v3, s[0:1]
	v_lshlrev_b32_e32 v3, 2, v3
	ds_bpermute_b32 v3, v3, v2
	v_cmp_lt_i32_e64 s[0:1], v4, v54
	s_waitcnt lgkmcnt(0)
	v_add_f32_e32 v2, v2, v3
	v_cndmask_b32_e64 v4, v30, v4, s[0:1]
	v_lshlrev_b32_e32 v4, 2, v4
	ds_bpermute_b32 v3, v4, v2
	s_and_saveexec_b64 s[40:41], vcc
	s_cbranch_execz .LBB294_11
; %bb.81:                               ;   in Loop: Header=BB294_13 Depth=1
	v_add_u32_e32 v4, v28, v26
	v_cvt_f32_i32_e32 v4, v4
	s_waitcnt lgkmcnt(0)
	v_add_f32_e32 v2, v2, v3
	v_add_u32_e32 v5, v22, v26
	v_cmp_gt_i32_e64 s[0:1], s11, v5
	v_mul_f32_e32 v3, s44, v4
	v_cndmask_b32_e64 v3, 0, v3, s[2:3]
	v_fmac_f32_e32 v3, s37, v2
	v_cndmask_b32_e64 v2, 0, v3, s[0:1]
	ds_write_b32 v27, v2
	v_max_f32_e32 v2, v24, v24
	v_max_f32_e32 v2, v2, v3
	v_cndmask_b32_e64 v24, v24, v2, s[0:1]
	s_branch .LBB294_11
.LBB294_82:
	s_or_b64 exec, exec, s[38:39]
.LBB294_83:
	s_or_b64 exec, exec, s[18:19]
	v_mbcnt_hi_u32_b32 v2, -1, v20
	s_waitcnt lgkmcnt(0)
	v_and_b32_e32 v3, 64, v2
	v_add_u32_e32 v3, 64, v3
	v_xor_b32_e32 v4, 32, v2
	v_cmp_lt_i32_e32 vcc, v4, v3
	v_xor_b32_e32 v7, 16, v2
	v_max_f32_e32 v6, v24, v24
	v_cndmask_b32_e32 v4, v2, v4, vcc
	v_lshlrev_b32_e32 v5, 2, v4
	ds_bpermute_b32 v4, v5, v24
	v_cmp_lt_i32_e32 vcc, v7, v3
	v_xor_b32_e32 v8, 8, v2
	v_and_b32_e32 v20, 63, v0
	s_waitcnt lgkmcnt(0)
	v_max_f32_e32 v4, v4, v4
	v_max_f32_e32 v4, v6, v4
	v_cndmask_b32_e32 v6, v2, v7, vcc
	v_lshlrev_b32_e32 v7, 2, v6
	ds_bpermute_b32 v6, v7, v4
	v_cmp_lt_i32_e32 vcc, v8, v3
	s_waitcnt lgkmcnt(0)
	v_max_f32_e32 v6, v6, v6
	v_max_f32_e32 v6, v4, v6
	v_cndmask_b32_e32 v4, v2, v8, vcc
	v_lshlrev_b32_e32 v9, 2, v4
	ds_bpermute_b32 v8, v9, v6
	v_cmp_eq_u32_e32 vcc, 0, v20
	v_lshlrev_b32_e32 v4, 2, v1
	s_and_saveexec_b64 s[0:1], vcc
	s_cbranch_execz .LBB294_85
; %bb.84:
	s_waitcnt lgkmcnt(0)
	v_max_f32_e32 v8, v8, v8
	v_max_f32_e32 v6, v6, v6
	v_max_f32_e32 v6, v6, v8
	ds_write_b32 v4, v6 offset:256
.LBB294_85:
	s_or_b64 exec, exec, s[0:1]
	v_cmp_gt_u32_e64 s[0:1], 2, v20
	v_mov_b32_e32 v12, 0xff7fffff
	v_lshlrev_b32_e32 v6, 2, v20
	s_waitcnt lgkmcnt(0)
	s_barrier
	s_and_saveexec_b64 s[2:3], s[0:1]
	s_cbranch_execz .LBB294_87
; %bb.86:
	ds_read_b32 v12, v6 offset:256
.LBB294_87:
	s_or_b64 exec, exec, s[2:3]
	v_xor_b32_e32 v8, 1, v2
	v_cmp_lt_i32_e64 s[2:3], v8, v3
	v_lshlrev_b32_e32 v14, 2, v2
	s_nop 0
	v_cndmask_b32_e64 v8, v2, v8, s[2:3]
	v_lshlrev_b32_e32 v8, 2, v8
	s_waitcnt lgkmcnt(0)
	ds_bpermute_b32 v13, v8, v12
	v_max_f32_e32 v12, v12, v12
	s_lshl_b32 s2, s20, 3
	s_min_i32 s37, s2, s11
	v_cmp_gt_i32_e64 s[2:3], s37, v0
	s_waitcnt lgkmcnt(0)
	v_max_f32_e32 v13, v13, v13
	v_max_f32_e32 v13, v12, v13
	v_and_b32_e32 v12, 0x100, v14
	ds_bpermute_b32 v14, v12, v13
	v_mov_b32_e32 v13, 0
	s_and_saveexec_b64 s[12:13], s[2:3]
	s_cbranch_execz .LBB294_91
; %bb.88:
	v_mov_b32_e32 v13, 0x110
	v_lshl_add_u32 v15, v0, 2, v13
	s_mov_b64 s[18:19], 0
	v_mov_b32_e32 v13, 0
	v_mov_b32_e32 v16, v0
.LBB294_89:                             ; =>This Inner Loop Header: Depth=1
	ds_read_b32 v17, v15
	v_add_u32_e32 v16, 0x80, v16
	v_cmp_le_i32_e64 s[8:9], s37, v16
	s_or_b64 s[18:19], s[8:9], s[18:19]
	s_waitcnt lgkmcnt(0)
	v_sub_f32_e32 v17, v17, v14
	v_mul_f32_e32 v17, 0x3fb8aa3b, v17
	v_exp_f32_e32 v17, v17
	ds_write_b32 v15, v17
	v_add_f32_e32 v13, v13, v17
	v_add_u32_e32 v15, 0x200, v15
	s_andn2_b64 exec, exec, s[18:19]
	s_cbranch_execnz .LBB294_89
; %bb.90:
	s_or_b64 exec, exec, s[18:19]
.LBB294_91:
	s_or_b64 exec, exec, s[12:13]
	ds_bpermute_b32 v5, v5, v13
	s_waitcnt lgkmcnt(0)
	v_add_f32_e32 v5, v13, v5
	ds_bpermute_b32 v7, v7, v5
	s_waitcnt lgkmcnt(0)
	v_add_f32_e32 v5, v5, v7
	ds_bpermute_b32 v7, v9, v5
	v_xor_b32_e32 v9, 4, v2
	v_cmp_lt_i32_e64 s[8:9], v9, v3
	s_waitcnt lgkmcnt(0)
	v_add_f32_e32 v5, v5, v7
	v_cndmask_b32_e64 v9, v2, v9, s[8:9]
	v_lshlrev_b32_e32 v9, 2, v9
	ds_bpermute_b32 v7, v9, v5
	v_xor_b32_e32 v9, 2, v2
	v_cmp_lt_i32_e64 s[8:9], v9, v3
	s_waitcnt lgkmcnt(0)
	v_add_f32_e32 v3, v5, v7
	v_cndmask_b32_e64 v2, v2, v9, s[8:9]
	v_lshlrev_b32_e32 v2, 2, v2
	ds_bpermute_b32 v2, v2, v3
	s_waitcnt lgkmcnt(0)
	v_add_f32_e32 v2, v3, v2
	ds_bpermute_b32 v3, v8, v2
	s_waitcnt lgkmcnt(0)
	v_add_f32_e32 v2, v2, v3
	s_and_saveexec_b64 s[8:9], vcc
	s_cbranch_execz .LBB294_93
; %bb.92:
	ds_write_b32 v4, v2 offset:264
.LBB294_93:
	s_or_b64 exec, exec, s[8:9]
	s_waitcnt lgkmcnt(0)
	s_barrier
	s_and_saveexec_b64 s[8:9], s[0:1]
	s_cbranch_execz .LBB294_95
; %bb.94:
	ds_read_b32 v2, v6 offset:264
.LBB294_95:
	s_or_b64 exec, exec, s[8:9]
	s_waitcnt lgkmcnt(0)
	ds_bpermute_b32 v3, v8, v2
	s_waitcnt lgkmcnt(0)
	v_add_f32_e32 v2, v2, v3
	ds_bpermute_b32 v2, v12, v2
	s_and_saveexec_b64 s[0:1], s[2:3]
	s_cbranch_execz .LBB294_108
; %bb.96:
	s_waitcnt lgkmcnt(0)
	v_add_f32_e32 v2, 0x358637bd, v2
	v_div_scale_f32 v3, s[2:3], v2, v2, 1.0
	v_rcp_f32_e32 v4, v3
	v_div_scale_f32 v5, vcc, 1.0, v2, 1.0
	s_movk_i32 s2, 0x7f
	v_fma_f32 v6, -v3, v4, 1.0
	v_fmac_f32_e32 v4, v6, v4
	v_mul_f32_e32 v6, v5, v4
	v_fma_f32 v7, -v3, v6, v5
	v_fmac_f32_e32 v6, v7, v4
	v_fma_f32 v3, -v3, v6, v5
	v_div_fmas_f32 v3, v3, v4, v6
	v_xad_u32 v4, v0, -1, s37
	v_div_fixup_f32 v2, v3, v2, 1.0
	v_cmp_lt_u32_e32 vcc, s2, v4
	s_mov_b64 s[8:9], -1
	v_mov_b32_e32 v3, v0
	s_and_saveexec_b64 s[2:3], vcc
	s_cbranch_execz .LBB294_105
; %bb.97:
	v_lshrrev_b32_e32 v4, 7, v4
	v_add_u32_e32 v6, -1, v4
	v_lshrrev_b32_e32 v5, 1, v6
	v_mov_b32_e32 v3, v2
	v_add_u32_e32 v5, 1, v5
	v_cmp_lt_u32_e32 vcc, 13, v6
	v_mov_b32_e32 v8, 0
	s_and_saveexec_b64 s[8:9], vcc
	s_cbranch_execz .LBB294_101
; %bb.98:
	v_mov_b32_e32 v7, 0x110
	v_and_b32_e32 v6, -8, v5
	v_lshl_add_u32 v7, v0, 2, v7
	s_mov_b32 s18, 0
	s_mov_b64 s[12:13], 0
.LBB294_99:                             ; =>This Inner Loop Header: Depth=1
	ds_read2st64_b32 v[8:9], v7 offset1:2
	ds_read2st64_b32 v[12:13], v7 offset0:4 offset1:6
	ds_read2st64_b32 v[14:15], v7 offset0:8 offset1:10
	;; [unrolled: 1-line block ×3, first 2 shown]
	v_add_u32_e32 v6, -8, v6
	s_waitcnt lgkmcnt(3)
	v_pk_mul_f32 v[8:9], v[2:3], v[8:9]
	s_waitcnt lgkmcnt(2)
	v_pk_mul_f32 v[12:13], v[2:3], v[12:13]
	ds_write2st64_b32 v7, v8, v9 offset1:2
	ds_write2st64_b32 v7, v12, v13 offset0:4 offset1:6
	ds_read2st64_b32 v[12:13], v7 offset0:16 offset1:18
	s_waitcnt lgkmcnt(4)
	v_pk_mul_f32 v[8:9], v[2:3], v[14:15]
	ds_write2st64_b32 v7, v8, v9 offset0:8 offset1:10
	s_waitcnt lgkmcnt(4)
	v_pk_mul_f32 v[8:9], v[2:3], v[16:17]
	ds_write2st64_b32 v7, v8, v9 offset0:12 offset1:14
	ds_read2st64_b32 v[8:9], v7 offset0:20 offset1:22
	s_waitcnt lgkmcnt(3)
	v_pk_mul_f32 v[12:13], v[2:3], v[12:13]
	ds_read2st64_b32 v[14:15], v7 offset0:24 offset1:26
	ds_write2st64_b32 v7, v12, v13 offset0:16 offset1:18
	ds_read2st64_b32 v[12:13], v7 offset0:28 offset1:30
	s_waitcnt lgkmcnt(3)
	v_pk_mul_f32 v[8:9], v[2:3], v[8:9]
	ds_write2st64_b32 v7, v8, v9 offset0:20 offset1:22
	s_waitcnt lgkmcnt(3)
	v_pk_mul_f32 v[8:9], v[2:3], v[14:15]
	ds_write2st64_b32 v7, v8, v9 offset0:24 offset1:26
	s_waitcnt lgkmcnt(2)
	v_pk_mul_f32 v[8:9], v[2:3], v[12:13]
	s_add_i32 s18, s18, 16
	v_cmp_eq_u32_e32 vcc, 0, v6
	ds_write2st64_b32 v7, v8, v9 offset0:28 offset1:30
	v_add_u32_e32 v7, 0x2000, v7
	s_or_b64 s[12:13], vcc, s[12:13]
	v_mov_b32_e32 v8, s18
	s_andn2_b64 exec, exec, s[12:13]
	s_cbranch_execnz .LBB294_99
; %bb.100:
	s_or_b64 exec, exec, s[12:13]
.LBB294_101:
	s_or_b64 exec, exec, s[8:9]
	v_and_b32_e32 v5, 7, v5
	v_cmp_ne_u32_e32 vcc, 0, v5
	s_and_saveexec_b64 s[8:9], vcc
	s_cbranch_execz .LBB294_104
; %bb.102:
	v_lshlrev_b32_e32 v6, 9, v8
	v_lshlrev_b32_e32 v7, 2, v0
	s_movk_i32 s12, 0x110
	v_add3_u32 v6, v6, v7, s12
	s_mov_b64 s[12:13], 0
.LBB294_103:                            ; =>This Inner Loop Header: Depth=1
	ds_read2st64_b32 v[8:9], v6 offset1:2
	v_add_u32_e32 v5, -1, v5
	v_cmp_eq_u32_e32 vcc, 0, v5
	s_or_b64 s[12:13], vcc, s[12:13]
	s_waitcnt lgkmcnt(0)
	v_pk_mul_f32 v[8:9], v[2:3], v[8:9]
	ds_write2st64_b32 v6, v8, v9 offset1:2
	v_add_u32_e32 v6, 0x400, v6
	s_andn2_b64 exec, exec, s[12:13]
	s_cbranch_execnz .LBB294_103
.LBB294_104:
	s_or_b64 exec, exec, s[8:9]
	v_add_u32_e32 v4, 1, v4
	v_and_b32_e32 v5, 0x3fffffe, v4
	v_cmp_ne_u32_e32 vcc, v4, v5
	v_lshl_add_u32 v3, v5, 7, v0
	s_orn2_b64 s[8:9], vcc, exec
.LBB294_105:
	s_or_b64 exec, exec, s[2:3]
	s_and_b64 exec, exec, s[8:9]
	s_cbranch_execz .LBB294_108
; %bb.106:
	v_mov_b32_e32 v4, 0x110
	v_lshl_add_u32 v4, v3, 2, v4
	s_mov_b64 s[2:3], 0
.LBB294_107:                            ; =>This Inner Loop Header: Depth=1
	ds_read_b32 v5, v4
	v_add_u32_e32 v3, 0x80, v3
	v_cmp_le_i32_e32 vcc, s37, v3
	s_or_b64 s[2:3], vcc, s[2:3]
	s_waitcnt lgkmcnt(0)
	v_mul_f32_e32 v5, v2, v5
	ds_write_b32 v4, v5
	v_add_u32_e32 v4, 0x200, v4
	s_andn2_b64 exec, exec, s[2:3]
	s_cbranch_execnz .LBB294_107
.LBB294_108:
	s_or_b64 exec, exec, s[0:1]
	v_mov_b32_e32 v13, 0
	v_mov_b32_e32 v12, v13
	s_waitcnt lgkmcnt(0)
	s_barrier
	s_and_saveexec_b64 s[2:3], s[6:7]
	s_cbranch_execz .LBB294_278
; %bb.109:
	s_sub_i32 s18, s42, s21
	s_ashr_i32 s1, s43, 31
	s_add_u32 s0, s34, s43
	s_addc_u32 s1, s35, s1
	s_abs_i32 s19, s22
	v_cvt_f32_u32_e32 v2, s19
	v_lshlrev_b32_e32 v14, 3, v20
	v_mov_b32_e32 v15, 0
	s_sub_i32 s6, 0, s19
	v_rcp_iflag_f32_e32 v2, v2
	s_add_i32 s21, s20, -1
	v_lshl_add_u64 v[16:17], s[0:1], 0, v[14:15]
	s_lshl_b64 s[0:1], s[30:31], 2
	v_mul_f32_e32 v2, 0x4f7ffffe, v2
	v_cvt_u32_f32_e32 v2, v2
	s_add_u32 s0, s28, s0
	v_and_b32_e32 v14, 60, v21
	s_addc_u32 s1, s29, s1
	v_mul_lo_u32 v3, s6, v2
	v_mul_hi_u32 v3, v2, v3
	v_add_u32_e32 v21, v2, v3
	v_mov_b32_e32 v2, 0x110
	v_lshl_add_u64 v[18:19], s[0:1], 0, v[14:15]
	v_lshl_add_u32 v14, v1, 5, v2
	s_mov_b64 s[6:7], 0
	s_mov_b32 s22, 0x7f800000
	s_movk_i32 s28, 0x7fff
	v_mov_b32_e32 v22, 0
	v_mov_b32_e32 v13, 0
	s_branch .LBB294_112
.LBB294_110:                            ;   in Loop: Header=BB294_112 Depth=1
	s_or_b64 exec, exec, s[0:1]
	v_and_b32_e32 v31, 0xffff0000, v30
	v_and_b32_e32 v30, 0xffff0000, v9
	;; [unrolled: 1-line block ×7, first 2 shown]
	v_pk_add_f32 v[6:7], v[8:9], v[30:31]
	v_and_b32_e32 v9, 0xffff0000, v3
	v_and_b32_e32 v8, 0xffff0000, v27
	;; [unrolled: 1-line block ×7, first 2 shown]
	v_pk_add_f32 v[2:3], v[2:3], v[28:29]
	v_and_b32_e32 v26, 0xffff0000, v26
	v_mov_b32_e32 v12, v3
	v_pk_add_f32 v[2:3], v[2:3], v[12:13]
	v_pk_add_f32 v[8:9], v[26:27], v[8:9]
	v_and_b32_e32 v4, 0xffff0000, v4
	v_pk_add_f32 v[2:3], v[2:3], v[8:9]
	v_mov_b32_e32 v8, v9
	v_pk_add_f32 v[2:3], v[2:3], v[8:9]
	v_pk_add_f32 v[4:5], v[4:5], v[32:33]
	v_mov_b32_e32 v3, v2
	v_pk_add_f32 v[12:13], v[12:13], v[2:3]
	v_add_f32_e32 v2, v4, v5
	v_add_f32_e32 v2, v2, v6
	;; [unrolled: 1-line block ×4, first 2 shown]
.LBB294_111:                            ;   in Loop: Header=BB294_112 Depth=1
	s_or_b64 exec, exec, s[8:9]
	v_add_u32_e32 v1, 2, v1
	v_cmp_le_i32_e32 vcc, s20, v1
	v_lshl_add_u64 v[18:19], v[18:19], 0, 8
	v_add_u32_e32 v11, 16, v11
	s_or_b64 s[6:7], vcc, s[6:7]
	v_add_u32_e32 v14, 64, v14
	s_andn2_b64 exec, exec, s[6:7]
	s_cbranch_execz .LBB294_277
.LBB294_112:                            ; =>This Inner Loop Header: Depth=1
	v_mul_hi_u32 v2, v11, s33
	v_mul_lo_u32 v3, v2, s25
	v_sub_u32_e32 v3, v11, v3
	v_add_u32_e32 v4, 1, v2
	v_cmp_le_u32_e32 vcc, s25, v3
	s_nop 1
	v_cndmask_b32_e32 v2, v2, v4, vcc
	v_subrev_u32_e32 v4, s25, v3
	v_cndmask_b32_e32 v3, v3, v4, vcc
	v_add_u32_e32 v4, 1, v2
	v_cmp_le_u32_e32 vcc, s25, v3
	s_nop 1
	v_cndmask_b32_e32 v2, v2, v4, vcc
	v_xor_b32_e32 v2, s23, v2
	v_subrev_u32_e32 v2, s23, v2
	v_add_u32_e32 v3, s36, v2
	v_sub_u32_e32 v5, 0, v3
	v_ashrrev_i32_e32 v4, 31, v3
	v_max_i32_e32 v3, v3, v5
	v_mul_hi_u32 v5, v3, v21
	v_mul_lo_u32 v5, v5, s19
	v_sub_u32_e32 v3, v3, v5
	v_subrev_u32_e32 v5, s19, v3
	v_cmp_le_u32_e32 vcc, s19, v3
	v_cmp_lt_i32_e64 s[0:1], s18, v2
	s_nop 0
	v_cndmask_b32_e32 v3, v3, v5, vcc
	v_subrev_u32_e32 v5, s19, v3
	v_cmp_le_u32_e32 vcc, s19, v3
	s_nop 1
	v_cndmask_b32_e32 v3, v3, v5, vcc
	v_xor_b32_e32 v3, v3, v4
	v_sub_u32_e32 v3, v3, v4
	v_cmp_eq_u32_e32 vcc, 0, v3
	s_or_b64 s[0:1], vcc, s[0:1]
	s_and_saveexec_b64 s[8:9], s[0:1]
	s_cbranch_execz .LBB294_111
; %bb.113:                              ;   in Loop: Header=BB294_112 Depth=1
	global_load_dword v23, v[18:19], off
	ds_read2_b64 v[6:9], v14 offset1:1
	ds_read2_b64 v[2:5], v14 offset0:2 offset1:3
                                        ; implicit-def: $vgpr31
	s_waitcnt lgkmcnt(1)
	v_and_b32_e32 v12, 0x7f800000, v6
	v_cmp_ne_u32_e32 vcc, s22, v12
	s_and_saveexec_b64 s[0:1], vcc
	s_xor_b64 s[0:1], exec, s[0:1]
; %bb.114:                              ;   in Loop: Header=BB294_112 Depth=1
	v_bfe_u32 v12, v6, 16, 1
	v_add3_u32 v31, v6, v12, s28
; %bb.115:                              ;   in Loop: Header=BB294_112 Depth=1
	s_andn2_saveexec_b64 s[0:1], s[0:1]
; %bb.116:                              ;   in Loop: Header=BB294_112 Depth=1
	v_or_b32_e32 v12, 0x10000, v6
	v_cmp_eq_u32_sdwa vcc, v6, v15 src0_sel:WORD_0 src1_sel:DWORD
	s_nop 1
	v_cndmask_b32_e32 v31, v12, v6, vcc
; %bb.117:                              ;   in Loop: Header=BB294_112 Depth=1
	s_or_b64 exec, exec, s[0:1]
	v_and_b32_e32 v6, 0x7f800000, v7
	v_cmp_ne_u32_e32 vcc, s22, v6
                                        ; implicit-def: $vgpr32
	s_and_saveexec_b64 s[0:1], vcc
	s_xor_b64 s[0:1], exec, s[0:1]
; %bb.118:                              ;   in Loop: Header=BB294_112 Depth=1
	v_bfe_u32 v6, v7, 16, 1
	v_add3_u32 v32, v7, v6, s28
; %bb.119:                              ;   in Loop: Header=BB294_112 Depth=1
	s_andn2_saveexec_b64 s[0:1], s[0:1]
; %bb.120:                              ;   in Loop: Header=BB294_112 Depth=1
	v_or_b32_e32 v6, 0x10000, v7
	v_cmp_eq_u32_sdwa vcc, v7, v15 src0_sel:WORD_0 src1_sel:DWORD
	s_nop 1
	v_cndmask_b32_e32 v32, v6, v7, vcc
; %bb.121:                              ;   in Loop: Header=BB294_112 Depth=1
	s_or_b64 exec, exec, s[0:1]
	v_and_b32_e32 v6, 0x7f800000, v8
	v_cmp_ne_u32_e32 vcc, s22, v6
                                        ; implicit-def: $vgpr33
	s_and_saveexec_b64 s[0:1], vcc
	s_xor_b64 s[0:1], exec, s[0:1]
; %bb.122:                              ;   in Loop: Header=BB294_112 Depth=1
	v_bfe_u32 v6, v8, 16, 1
	v_add3_u32 v33, v8, v6, s28
; %bb.123:                              ;   in Loop: Header=BB294_112 Depth=1
	s_andn2_saveexec_b64 s[0:1], s[0:1]
; %bb.124:                              ;   in Loop: Header=BB294_112 Depth=1
	v_or_b32_e32 v6, 0x10000, v8
	v_cmp_eq_u32_sdwa vcc, v8, v15 src0_sel:WORD_0 src1_sel:DWORD
	s_nop 1
	v_cndmask_b32_e32 v33, v6, v8, vcc
; %bb.125:                              ;   in Loop: Header=BB294_112 Depth=1
	s_or_b64 exec, exec, s[0:1]
	v_and_b32_e32 v6, 0x7f800000, v9
	v_cmp_ne_u32_e32 vcc, s22, v6
                                        ; implicit-def: $vgpr34
	s_and_saveexec_b64 s[0:1], vcc
	s_xor_b64 s[0:1], exec, s[0:1]
; %bb.126:                              ;   in Loop: Header=BB294_112 Depth=1
	v_bfe_u32 v6, v9, 16, 1
	v_add3_u32 v34, v9, v6, s28
                                        ; implicit-def: $vgpr6_vgpr7_vgpr8_vgpr9
; %bb.127:                              ;   in Loop: Header=BB294_112 Depth=1
	s_andn2_saveexec_b64 s[0:1], s[0:1]
; %bb.128:                              ;   in Loop: Header=BB294_112 Depth=1
	v_or_b32_e32 v6, 0x10000, v9
	v_cmp_eq_u32_sdwa vcc, v9, v15 src0_sel:WORD_0 src1_sel:DWORD
	s_nop 1
	v_cndmask_b32_e32 v34, v6, v9, vcc
; %bb.129:                              ;   in Loop: Header=BB294_112 Depth=1
	s_or_b64 exec, exec, s[0:1]
	s_waitcnt lgkmcnt(0)
	v_and_b32_e32 v6, 0x7f800000, v2
	v_cmp_ne_u32_e32 vcc, s22, v6
                                        ; implicit-def: $vgpr8
	s_and_saveexec_b64 s[0:1], vcc
	s_xor_b64 s[0:1], exec, s[0:1]
; %bb.130:                              ;   in Loop: Header=BB294_112 Depth=1
	v_bfe_u32 v6, v2, 16, 1
	v_add3_u32 v8, v2, v6, s28
; %bb.131:                              ;   in Loop: Header=BB294_112 Depth=1
	s_andn2_saveexec_b64 s[0:1], s[0:1]
; %bb.132:                              ;   in Loop: Header=BB294_112 Depth=1
	v_or_b32_e32 v6, 0x10000, v2
	v_cmp_eq_u32_sdwa vcc, v2, v15 src0_sel:WORD_0 src1_sel:DWORD
	s_nop 1
	v_cndmask_b32_e32 v8, v6, v2, vcc
; %bb.133:                              ;   in Loop: Header=BB294_112 Depth=1
	s_or_b64 exec, exec, s[0:1]
	v_and_b32_e32 v2, 0x7f800000, v3
	v_cmp_ne_u32_e32 vcc, s22, v2
                                        ; implicit-def: $vgpr9
	s_and_saveexec_b64 s[0:1], vcc
	s_xor_b64 s[0:1], exec, s[0:1]
; %bb.134:                              ;   in Loop: Header=BB294_112 Depth=1
	v_bfe_u32 v2, v3, 16, 1
	v_add3_u32 v9, v3, v2, s28
; %bb.135:                              ;   in Loop: Header=BB294_112 Depth=1
	s_andn2_saveexec_b64 s[0:1], s[0:1]
; %bb.136:                              ;   in Loop: Header=BB294_112 Depth=1
	v_or_b32_e32 v2, 0x10000, v3
	v_cmp_eq_u32_sdwa vcc, v3, v15 src0_sel:WORD_0 src1_sel:DWORD
	s_nop 1
	v_cndmask_b32_e32 v9, v2, v3, vcc
; %bb.137:                              ;   in Loop: Header=BB294_112 Depth=1
	s_or_b64 exec, exec, s[0:1]
	v_and_b32_e32 v2, 0x7f800000, v4
	v_cmp_ne_u32_e32 vcc, s22, v2
                                        ; implicit-def: $vgpr12
	s_and_saveexec_b64 s[0:1], vcc
	s_xor_b64 s[0:1], exec, s[0:1]
; %bb.138:                              ;   in Loop: Header=BB294_112 Depth=1
	v_bfe_u32 v2, v4, 16, 1
	v_add3_u32 v12, v4, v2, s28
; %bb.139:                              ;   in Loop: Header=BB294_112 Depth=1
	s_andn2_saveexec_b64 s[0:1], s[0:1]
; %bb.140:                              ;   in Loop: Header=BB294_112 Depth=1
	v_or_b32_e32 v2, 0x10000, v4
	v_cmp_eq_u32_sdwa vcc, v4, v15 src0_sel:WORD_0 src1_sel:DWORD
	s_nop 1
	v_cndmask_b32_e32 v12, v2, v4, vcc
; %bb.141:                              ;   in Loop: Header=BB294_112 Depth=1
	s_or_b64 exec, exec, s[0:1]
	v_and_b32_e32 v2, 0x7f800000, v5
	v_cmp_ne_u32_e32 vcc, s22, v2
                                        ; implicit-def: $vgpr30
	s_and_saveexec_b64 s[0:1], vcc
	s_xor_b64 s[0:1], exec, s[0:1]
; %bb.142:                              ;   in Loop: Header=BB294_112 Depth=1
	v_bfe_u32 v2, v5, 16, 1
	v_add3_u32 v30, v5, v2, s28
                                        ; implicit-def: $vgpr2_vgpr3_vgpr4_vgpr5
; %bb.143:                              ;   in Loop: Header=BB294_112 Depth=1
	s_andn2_saveexec_b64 s[0:1], s[0:1]
; %bb.144:                              ;   in Loop: Header=BB294_112 Depth=1
	v_or_b32_e32 v2, 0x10000, v5
	v_cmp_eq_u32_sdwa vcc, v5, v15 src0_sel:WORD_0 src1_sel:DWORD
	s_nop 1
	v_cndmask_b32_e32 v30, v2, v5, vcc
; %bb.145:                              ;   in Loop: Header=BB294_112 Depth=1
	s_or_b64 exec, exec, s[0:1]
	s_waitcnt vmcnt(0)
	v_mad_i64_i32 v[2:3], s[0:1], v23, s17, v[16:17]
	global_load_dwordx2 v[4:5], v[2:3], off
	s_load_dword s29, s[14:15], 0x0
	s_waitcnt vmcnt(0)
	v_and_b32_e32 v6, 0xff, v4
	v_cvt_f32_fp8_sdwa v6, v6 src0_sel:BYTE_0
	s_waitcnt lgkmcnt(0)
	v_mul_f32_e32 v7, s29, v6
	v_and_b32_e32 v6, 0x7f800000, v7
	v_cmp_ne_u32_e32 vcc, s22, v6
                                        ; implicit-def: $vgpr6
	s_and_saveexec_b64 s[0:1], vcc
	s_xor_b64 s[0:1], exec, s[0:1]
; %bb.146:                              ;   in Loop: Header=BB294_112 Depth=1
	v_bfe_u32 v6, v7, 16, 1
	v_add3_u32 v6, v7, v6, s28
                                        ; implicit-def: $vgpr7
; %bb.147:                              ;   in Loop: Header=BB294_112 Depth=1
	s_andn2_saveexec_b64 s[0:1], s[0:1]
; %bb.148:                              ;   in Loop: Header=BB294_112 Depth=1
	v_or_b32_e32 v6, 0x10000, v7
	v_cmp_eq_u32_sdwa vcc, v7, v15 src0_sel:WORD_0 src1_sel:DWORD
	s_nop 1
	v_cndmask_b32_e32 v6, v6, v7, vcc
; %bb.149:                              ;   in Loop: Header=BB294_112 Depth=1
	s_or_b64 exec, exec, s[0:1]
	v_bfe_u32 v7, v4, 8, 8
	v_cvt_f32_fp8_sdwa v7, v7 src0_sel:BYTE_0
	s_nop 0
	v_mul_f32_e32 v23, s29, v7
	v_and_b32_e32 v7, 0x7f800000, v23
	v_cmp_ne_u32_e32 vcc, s22, v7
                                        ; implicit-def: $vgpr7
	s_and_saveexec_b64 s[0:1], vcc
	s_xor_b64 s[0:1], exec, s[0:1]
; %bb.150:                              ;   in Loop: Header=BB294_112 Depth=1
	v_bfe_u32 v7, v23, 16, 1
	v_add3_u32 v7, v23, v7, s28
                                        ; implicit-def: $vgpr23
; %bb.151:                              ;   in Loop: Header=BB294_112 Depth=1
	s_andn2_saveexec_b64 s[0:1], s[0:1]
; %bb.152:                              ;   in Loop: Header=BB294_112 Depth=1
	v_or_b32_e32 v7, 0x10000, v23
	v_cmp_eq_u32_sdwa vcc, v23, v15 src0_sel:WORD_0 src1_sel:DWORD
	s_nop 1
	v_cndmask_b32_e32 v7, v7, v23, vcc
; %bb.153:                              ;   in Loop: Header=BB294_112 Depth=1
	s_or_b64 exec, exec, s[0:1]
	v_bfe_u32 v23, v4, 16, 8
	v_cvt_f32_fp8_sdwa v23, v23 src0_sel:BYTE_0
	s_nop 0
	v_mul_f32_e32 v24, s29, v23
	v_and_b32_e32 v23, 0x7f800000, v24
	v_cmp_ne_u32_e32 vcc, s22, v23
                                        ; implicit-def: $vgpr23
	s_and_saveexec_b64 s[0:1], vcc
	s_xor_b64 s[0:1], exec, s[0:1]
; %bb.154:                              ;   in Loop: Header=BB294_112 Depth=1
	v_bfe_u32 v23, v24, 16, 1
	v_add3_u32 v23, v24, v23, s28
                                        ; implicit-def: $vgpr24
; %bb.155:                              ;   in Loop: Header=BB294_112 Depth=1
	s_andn2_saveexec_b64 s[0:1], s[0:1]
; %bb.156:                              ;   in Loop: Header=BB294_112 Depth=1
	v_or_b32_e32 v23, 0x10000, v24
	v_cmp_eq_u32_sdwa vcc, v24, v15 src0_sel:WORD_0 src1_sel:DWORD
	s_nop 1
	v_cndmask_b32_e32 v23, v23, v24, vcc
; %bb.157:                              ;   in Loop: Header=BB294_112 Depth=1
	s_or_b64 exec, exec, s[0:1]
	v_lshrrev_b32_e32 v4, 24, v4
	v_cvt_f32_fp8_sdwa v4, v4 src0_sel:BYTE_0
	s_nop 0
	v_mul_f32_e32 v24, s29, v4
	v_and_b32_e32 v4, 0x7f800000, v24
	v_cmp_ne_u32_e32 vcc, s22, v4
                                        ; implicit-def: $vgpr4
	s_and_saveexec_b64 s[0:1], vcc
	s_xor_b64 s[0:1], exec, s[0:1]
; %bb.158:                              ;   in Loop: Header=BB294_112 Depth=1
	v_bfe_u32 v4, v24, 16, 1
	v_add3_u32 v4, v24, v4, s28
                                        ; implicit-def: $vgpr24
; %bb.159:                              ;   in Loop: Header=BB294_112 Depth=1
	s_andn2_saveexec_b64 s[0:1], s[0:1]
; %bb.160:                              ;   in Loop: Header=BB294_112 Depth=1
	v_or_b32_e32 v4, 0x10000, v24
	v_cmp_eq_u32_sdwa vcc, v24, v15 src0_sel:WORD_0 src1_sel:DWORD
	s_nop 1
	v_cndmask_b32_e32 v4, v4, v24, vcc
; %bb.161:                              ;   in Loop: Header=BB294_112 Depth=1
	s_or_b64 exec, exec, s[0:1]
	v_and_b32_e32 v24, 0xff, v5
	v_cvt_f32_fp8_sdwa v24, v24 src0_sel:BYTE_0
	s_nop 0
	v_mul_f32_e32 v25, s29, v24
	v_and_b32_e32 v24, 0x7f800000, v25
	v_cmp_ne_u32_e32 vcc, s22, v24
                                        ; implicit-def: $vgpr24
	s_and_saveexec_b64 s[0:1], vcc
	s_xor_b64 s[0:1], exec, s[0:1]
; %bb.162:                              ;   in Loop: Header=BB294_112 Depth=1
	v_bfe_u32 v24, v25, 16, 1
	v_add3_u32 v24, v25, v24, s28
                                        ; implicit-def: $vgpr25
; %bb.163:                              ;   in Loop: Header=BB294_112 Depth=1
	s_andn2_saveexec_b64 s[0:1], s[0:1]
; %bb.164:                              ;   in Loop: Header=BB294_112 Depth=1
	v_or_b32_e32 v24, 0x10000, v25
	v_cmp_eq_u32_sdwa vcc, v25, v15 src0_sel:WORD_0 src1_sel:DWORD
	s_nop 1
	v_cndmask_b32_e32 v24, v24, v25, vcc
; %bb.165:                              ;   in Loop: Header=BB294_112 Depth=1
	s_or_b64 exec, exec, s[0:1]
	v_bfe_u32 v25, v5, 8, 8
	v_cvt_f32_fp8_sdwa v25, v25 src0_sel:BYTE_0
	s_nop 0
	v_mul_f32_e32 v26, s29, v25
	v_and_b32_e32 v25, 0x7f800000, v26
	v_cmp_ne_u32_e32 vcc, s22, v25
                                        ; implicit-def: $vgpr25
	s_and_saveexec_b64 s[0:1], vcc
	s_xor_b64 s[0:1], exec, s[0:1]
; %bb.166:                              ;   in Loop: Header=BB294_112 Depth=1
	v_bfe_u32 v25, v26, 16, 1
	v_add3_u32 v25, v26, v25, s28
                                        ; implicit-def: $vgpr26
; %bb.167:                              ;   in Loop: Header=BB294_112 Depth=1
	s_andn2_saveexec_b64 s[0:1], s[0:1]
; %bb.168:                              ;   in Loop: Header=BB294_112 Depth=1
	v_or_b32_e32 v25, 0x10000, v26
	v_cmp_eq_u32_sdwa vcc, v26, v15 src0_sel:WORD_0 src1_sel:DWORD
	s_nop 1
	v_cndmask_b32_e32 v25, v25, v26, vcc
; %bb.169:                              ;   in Loop: Header=BB294_112 Depth=1
	s_or_b64 exec, exec, s[0:1]
	v_bfe_u32 v26, v5, 16, 8
	v_cvt_f32_fp8_sdwa v26, v26 src0_sel:BYTE_0
	s_nop 0
	v_mul_f32_e32 v27, s29, v26
	v_and_b32_e32 v26, 0x7f800000, v27
	v_cmp_ne_u32_e32 vcc, s22, v26
                                        ; implicit-def: $vgpr26
	s_and_saveexec_b64 s[0:1], vcc
	s_xor_b64 s[0:1], exec, s[0:1]
; %bb.170:                              ;   in Loop: Header=BB294_112 Depth=1
	v_bfe_u32 v26, v27, 16, 1
	v_add3_u32 v26, v27, v26, s28
                                        ; implicit-def: $vgpr27
; %bb.171:                              ;   in Loop: Header=BB294_112 Depth=1
	s_andn2_saveexec_b64 s[0:1], s[0:1]
; %bb.172:                              ;   in Loop: Header=BB294_112 Depth=1
	v_or_b32_e32 v26, 0x10000, v27
	v_cmp_eq_u32_sdwa vcc, v27, v15 src0_sel:WORD_0 src1_sel:DWORD
	s_nop 1
	v_cndmask_b32_e32 v26, v26, v27, vcc
; %bb.173:                              ;   in Loop: Header=BB294_112 Depth=1
	s_or_b64 exec, exec, s[0:1]
	v_lshrrev_b32_e32 v5, 24, v5
	v_cvt_f32_fp8_sdwa v5, v5 src0_sel:BYTE_0
	s_nop 0
	v_mul_f32_e32 v5, s29, v5
	v_and_b32_e32 v27, 0x7f800000, v5
	v_cmp_ne_u32_e32 vcc, s22, v27
                                        ; implicit-def: $vgpr27
	s_and_saveexec_b64 s[0:1], vcc
	s_xor_b64 s[0:1], exec, s[0:1]
; %bb.174:                              ;   in Loop: Header=BB294_112 Depth=1
	v_bfe_u32 v27, v5, 16, 1
	v_add3_u32 v27, v5, v27, s28
                                        ; implicit-def: $vgpr5
; %bb.175:                              ;   in Loop: Header=BB294_112 Depth=1
	s_andn2_saveexec_b64 s[0:1], s[0:1]
; %bb.176:                              ;   in Loop: Header=BB294_112 Depth=1
	v_or_b32_e32 v27, 0x10000, v5
	v_cmp_eq_u32_sdwa vcc, v5, v15 src0_sel:WORD_0 src1_sel:DWORD
	s_nop 1
	v_cndmask_b32_e32 v27, v27, v5, vcc
; %bb.177:                              ;   in Loop: Header=BB294_112 Depth=1
	s_or_b64 exec, exec, s[0:1]
	v_cmp_eq_u32_e32 vcc, s21, v1
	v_lshrrev_b32_e32 v37, 16, v25
	v_lshrrev_b32_e32 v36, 16, v24
	v_lshrrev_b32_e32 v35, 16, v4
	v_lshrrev_b32_e32 v40, 16, v23
	v_lshrrev_b32_e32 v5, 16, v7
	v_lshrrev_b32_e32 v4, 16, v6
	v_lshrrev_b32_e32 v38, 16, v26
	v_lshrrev_b32_e32 v39, 16, v27
	v_add_u32_e32 v29, 1, v11
	v_add_u32_e32 v28, 2, v11
	;; [unrolled: 1-line block ×7, first 2 shown]
	s_and_saveexec_b64 s[12:13], vcc
	s_cbranch_execz .LBB294_179
; %bb.178:                              ;   in Loop: Header=BB294_112 Depth=1
	v_cmp_gt_i32_e64 s[0:1], s11, v11
	s_nop 1
	v_cndmask_b32_e64 v4, 0, v4, s[0:1]
	v_cmp_gt_i32_e64 s[0:1], s11, v29
	s_nop 1
	v_cndmask_b32_e64 v5, 0, v5, s[0:1]
	;; [unrolled: 3-line block ×8, first 2 shown]
.LBB294_179:                            ;   in Loop: Header=BB294_112 Depth=1
	s_or_b64 exec, exec, s[12:13]
	v_and_b32_e32 v31, 0xffff0000, v31
	v_lshlrev_b32_e32 v4, 16, v4
	v_mul_f32_e32 v6, v31, v4
	v_and_b32_e32 v4, 0x7f800000, v6
	v_cmp_ne_u32_e64 s[0:1], s22, v4
                                        ; implicit-def: $vgpr4
	s_and_saveexec_b64 s[12:13], s[0:1]
	s_xor_b64 s[0:1], exec, s[12:13]
; %bb.180:                              ;   in Loop: Header=BB294_112 Depth=1
	v_bfe_u32 v4, v6, 16, 1
	v_add3_u32 v4, v6, v4, s28
                                        ; implicit-def: $vgpr6
; %bb.181:                              ;   in Loop: Header=BB294_112 Depth=1
	s_andn2_saveexec_b64 s[12:13], s[0:1]
; %bb.182:                              ;   in Loop: Header=BB294_112 Depth=1
	v_or_b32_e32 v4, 0x10000, v6
	v_cmp_eq_u32_sdwa s[0:1], v6, v15 src0_sel:WORD_0 src1_sel:DWORD
	s_nop 1
	v_cndmask_b32_e64 v4, v4, v6, s[0:1]
; %bb.183:                              ;   in Loop: Header=BB294_112 Depth=1
	s_or_b64 exec, exec, s[12:13]
	v_and_b32_e32 v32, 0xffff0000, v32
	v_lshlrev_b32_e32 v5, 16, v5
	v_mul_f32_e32 v6, v32, v5
	v_and_b32_e32 v5, 0x7f800000, v6
	v_cmp_ne_u32_e64 s[0:1], s22, v5
                                        ; implicit-def: $vgpr5
	s_and_saveexec_b64 s[12:13], s[0:1]
	s_xor_b64 s[0:1], exec, s[12:13]
; %bb.184:                              ;   in Loop: Header=BB294_112 Depth=1
	v_bfe_u32 v5, v6, 16, 1
	v_add3_u32 v5, v6, v5, s28
                                        ; implicit-def: $vgpr6
; %bb.185:                              ;   in Loop: Header=BB294_112 Depth=1
	s_andn2_saveexec_b64 s[12:13], s[0:1]
; %bb.186:                              ;   in Loop: Header=BB294_112 Depth=1
	v_or_b32_e32 v5, 0x10000, v6
	v_cmp_eq_u32_sdwa s[0:1], v6, v15 src0_sel:WORD_0 src1_sel:DWORD
	s_nop 1
	v_cndmask_b32_e64 v5, v5, v6, s[0:1]
; %bb.187:                              ;   in Loop: Header=BB294_112 Depth=1
	s_or_b64 exec, exec, s[12:13]
	v_and_b32_e32 v33, 0xffff0000, v33
	v_lshlrev_b32_e32 v6, 16, v40
	v_mul_f32_e32 v7, v33, v6
	v_and_b32_e32 v6, 0x7f800000, v7
	v_cmp_ne_u32_e64 s[0:1], s22, v6
                                        ; implicit-def: $vgpr6
	s_and_saveexec_b64 s[12:13], s[0:1]
	s_xor_b64 s[0:1], exec, s[12:13]
; %bb.188:                              ;   in Loop: Header=BB294_112 Depth=1
	v_bfe_u32 v6, v7, 16, 1
	v_add3_u32 v6, v7, v6, s28
                                        ; implicit-def: $vgpr7
; %bb.189:                              ;   in Loop: Header=BB294_112 Depth=1
	s_andn2_saveexec_b64 s[12:13], s[0:1]
; %bb.190:                              ;   in Loop: Header=BB294_112 Depth=1
	v_or_b32_e32 v6, 0x10000, v7
	v_cmp_eq_u32_sdwa s[0:1], v7, v15 src0_sel:WORD_0 src1_sel:DWORD
	s_nop 1
	v_cndmask_b32_e64 v6, v6, v7, s[0:1]
; %bb.191:                              ;   in Loop: Header=BB294_112 Depth=1
	s_or_b64 exec, exec, s[12:13]
	v_and_b32_e32 v34, 0xffff0000, v34
	v_lshlrev_b32_e32 v7, 16, v35
	v_mul_f32_e32 v35, v34, v7
	v_and_b32_e32 v7, 0x7f800000, v35
	v_cmp_ne_u32_e64 s[0:1], s22, v7
                                        ; implicit-def: $vgpr7
	s_and_saveexec_b64 s[12:13], s[0:1]
	s_xor_b64 s[0:1], exec, s[12:13]
; %bb.192:                              ;   in Loop: Header=BB294_112 Depth=1
	v_bfe_u32 v7, v35, 16, 1
	v_add3_u32 v7, v35, v7, s28
                                        ; implicit-def: $vgpr35
; %bb.193:                              ;   in Loop: Header=BB294_112 Depth=1
	s_andn2_saveexec_b64 s[12:13], s[0:1]
; %bb.194:                              ;   in Loop: Header=BB294_112 Depth=1
	v_or_b32_e32 v7, 0x10000, v35
	v_cmp_eq_u32_sdwa s[0:1], v35, v15 src0_sel:WORD_0 src1_sel:DWORD
	s_nop 1
	v_cndmask_b32_e64 v7, v7, v35, s[0:1]
; %bb.195:                              ;   in Loop: Header=BB294_112 Depth=1
	s_or_b64 exec, exec, s[12:13]
	v_and_b32_e32 v35, 0xffff0000, v8
	v_lshlrev_b32_e32 v8, 16, v36
	v_mul_f32_e32 v36, v35, v8
	v_and_b32_e32 v8, 0x7f800000, v36
	v_cmp_ne_u32_e64 s[0:1], s22, v8
                                        ; implicit-def: $vgpr8
	s_and_saveexec_b64 s[12:13], s[0:1]
	s_xor_b64 s[0:1], exec, s[12:13]
; %bb.196:                              ;   in Loop: Header=BB294_112 Depth=1
	v_bfe_u32 v8, v36, 16, 1
	v_add3_u32 v8, v36, v8, s28
                                        ; implicit-def: $vgpr36
; %bb.197:                              ;   in Loop: Header=BB294_112 Depth=1
	s_andn2_saveexec_b64 s[12:13], s[0:1]
; %bb.198:                              ;   in Loop: Header=BB294_112 Depth=1
	v_or_b32_e32 v8, 0x10000, v36
	v_cmp_eq_u32_sdwa s[0:1], v36, v15 src0_sel:WORD_0 src1_sel:DWORD
	s_nop 1
	v_cndmask_b32_e64 v8, v8, v36, s[0:1]
; %bb.199:                              ;   in Loop: Header=BB294_112 Depth=1
	s_or_b64 exec, exec, s[12:13]
	v_and_b32_e32 v36, 0xffff0000, v9
	v_lshlrev_b32_e32 v9, 16, v37
	v_mul_f32_e32 v37, v36, v9
	v_and_b32_e32 v9, 0x7f800000, v37
	v_cmp_ne_u32_e64 s[0:1], s22, v9
                                        ; implicit-def: $vgpr9
	s_and_saveexec_b64 s[12:13], s[0:1]
	s_xor_b64 s[0:1], exec, s[12:13]
; %bb.200:                              ;   in Loop: Header=BB294_112 Depth=1
	v_bfe_u32 v9, v37, 16, 1
	v_add3_u32 v9, v37, v9, s28
                                        ; implicit-def: $vgpr37
; %bb.201:                              ;   in Loop: Header=BB294_112 Depth=1
	s_andn2_saveexec_b64 s[12:13], s[0:1]
; %bb.202:                              ;   in Loop: Header=BB294_112 Depth=1
	v_or_b32_e32 v9, 0x10000, v37
	v_cmp_eq_u32_sdwa s[0:1], v37, v15 src0_sel:WORD_0 src1_sel:DWORD
	s_nop 1
	v_cndmask_b32_e64 v9, v9, v37, s[0:1]
; %bb.203:                              ;   in Loop: Header=BB294_112 Depth=1
	s_or_b64 exec, exec, s[12:13]
	v_and_b32_e32 v37, 0xffff0000, v12
	v_lshlrev_b32_e32 v12, 16, v38
	v_mul_f32_e32 v38, v37, v12
	v_and_b32_e32 v12, 0x7f800000, v38
	v_cmp_ne_u32_e64 s[0:1], s22, v12
                                        ; implicit-def: $vgpr12
	s_and_saveexec_b64 s[12:13], s[0:1]
	s_xor_b64 s[0:1], exec, s[12:13]
; %bb.204:                              ;   in Loop: Header=BB294_112 Depth=1
	v_bfe_u32 v12, v38, 16, 1
	v_add3_u32 v12, v38, v12, s28
                                        ; implicit-def: $vgpr38
; %bb.205:                              ;   in Loop: Header=BB294_112 Depth=1
	s_andn2_saveexec_b64 s[12:13], s[0:1]
; %bb.206:                              ;   in Loop: Header=BB294_112 Depth=1
	v_or_b32_e32 v12, 0x10000, v38
	v_cmp_eq_u32_sdwa s[0:1], v38, v15 src0_sel:WORD_0 src1_sel:DWORD
	s_nop 1
	v_cndmask_b32_e64 v12, v12, v38, s[0:1]
; %bb.207:                              ;   in Loop: Header=BB294_112 Depth=1
	s_or_b64 exec, exec, s[12:13]
	v_and_b32_e32 v38, 0xffff0000, v30
	v_lshlrev_b32_e32 v30, 16, v39
	v_mul_f32_e32 v39, v38, v30
	v_and_b32_e32 v30, 0x7f800000, v39
	v_cmp_ne_u32_e64 s[0:1], s22, v30
                                        ; implicit-def: $vgpr30
	s_and_saveexec_b64 s[12:13], s[0:1]
	s_xor_b64 s[0:1], exec, s[12:13]
; %bb.208:                              ;   in Loop: Header=BB294_112 Depth=1
	v_bfe_u32 v30, v39, 16, 1
	v_add3_u32 v30, v39, v30, s28
                                        ; implicit-def: $vgpr39
; %bb.209:                              ;   in Loop: Header=BB294_112 Depth=1
	s_andn2_saveexec_b64 s[12:13], s[0:1]
; %bb.210:                              ;   in Loop: Header=BB294_112 Depth=1
	v_or_b32_e32 v30, 0x10000, v39
	v_cmp_eq_u32_sdwa s[0:1], v39, v15 src0_sel:WORD_0 src1_sel:DWORD
	s_nop 1
	v_cndmask_b32_e64 v30, v30, v39, s[0:1]
; %bb.211:                              ;   in Loop: Header=BB294_112 Depth=1
	s_or_b64 exec, exec, s[12:13]
	global_load_dwordx2 v[2:3], v[2:3], off offset:512
	s_waitcnt vmcnt(0)
	v_and_b32_e32 v39, 0xff, v2
	v_cvt_f32_fp8_sdwa v39, v39 src0_sel:BYTE_0
	s_nop 0
	v_mul_f32_e32 v40, s29, v39
	v_and_b32_e32 v39, 0x7f800000, v40
	v_cmp_ne_u32_e64 s[0:1], s22, v39
                                        ; implicit-def: $vgpr39
	s_and_saveexec_b64 s[12:13], s[0:1]
	s_xor_b64 s[0:1], exec, s[12:13]
; %bb.212:                              ;   in Loop: Header=BB294_112 Depth=1
	v_bfe_u32 v39, v40, 16, 1
	v_add3_u32 v39, v40, v39, s28
                                        ; implicit-def: $vgpr40
; %bb.213:                              ;   in Loop: Header=BB294_112 Depth=1
	s_andn2_saveexec_b64 s[12:13], s[0:1]
; %bb.214:                              ;   in Loop: Header=BB294_112 Depth=1
	v_or_b32_e32 v39, 0x10000, v40
	v_cmp_eq_u32_sdwa s[0:1], v40, v15 src0_sel:WORD_0 src1_sel:DWORD
	s_nop 1
	v_cndmask_b32_e64 v39, v39, v40, s[0:1]
; %bb.215:                              ;   in Loop: Header=BB294_112 Depth=1
	s_or_b64 exec, exec, s[12:13]
	v_bfe_u32 v40, v2, 8, 8
	v_cvt_f32_fp8_sdwa v40, v40 src0_sel:BYTE_0
	s_nop 0
	v_mul_f32_e32 v41, s29, v40
	v_and_b32_e32 v40, 0x7f800000, v41
	v_cmp_ne_u32_e64 s[0:1], s22, v40
                                        ; implicit-def: $vgpr40
	s_and_saveexec_b64 s[12:13], s[0:1]
	s_xor_b64 s[0:1], exec, s[12:13]
; %bb.216:                              ;   in Loop: Header=BB294_112 Depth=1
	v_bfe_u32 v40, v41, 16, 1
	v_add3_u32 v40, v41, v40, s28
                                        ; implicit-def: $vgpr41
; %bb.217:                              ;   in Loop: Header=BB294_112 Depth=1
	s_andn2_saveexec_b64 s[12:13], s[0:1]
; %bb.218:                              ;   in Loop: Header=BB294_112 Depth=1
	v_or_b32_e32 v40, 0x10000, v41
	v_cmp_eq_u32_sdwa s[0:1], v41, v15 src0_sel:WORD_0 src1_sel:DWORD
	s_nop 1
	v_cndmask_b32_e64 v40, v40, v41, s[0:1]
; %bb.219:                              ;   in Loop: Header=BB294_112 Depth=1
	s_or_b64 exec, exec, s[12:13]
	v_bfe_u32 v41, v2, 16, 8
	v_cvt_f32_fp8_sdwa v41, v41 src0_sel:BYTE_0
	s_nop 0
	v_mul_f32_e32 v41, s29, v41
	v_and_b32_e32 v42, 0x7f800000, v41
	v_cmp_ne_u32_e64 s[0:1], s22, v42
                                        ; implicit-def: $vgpr42
	s_and_saveexec_b64 s[12:13], s[0:1]
	s_xor_b64 s[0:1], exec, s[12:13]
; %bb.220:                              ;   in Loop: Header=BB294_112 Depth=1
	v_bfe_u32 v42, v41, 16, 1
	v_add3_u32 v42, v41, v42, s28
                                        ; implicit-def: $vgpr41
; %bb.221:                              ;   in Loop: Header=BB294_112 Depth=1
	s_andn2_saveexec_b64 s[12:13], s[0:1]
; %bb.222:                              ;   in Loop: Header=BB294_112 Depth=1
	v_or_b32_e32 v42, 0x10000, v41
	v_cmp_eq_u32_sdwa s[0:1], v41, v15 src0_sel:WORD_0 src1_sel:DWORD
	s_nop 1
	v_cndmask_b32_e64 v42, v42, v41, s[0:1]
; %bb.223:                              ;   in Loop: Header=BB294_112 Depth=1
	s_or_b64 exec, exec, s[12:13]
	v_lshrrev_b32_e32 v2, 24, v2
	v_cvt_f32_fp8_sdwa v2, v2 src0_sel:BYTE_0
	s_nop 0
	v_mul_f32_e32 v41, s29, v2
	v_and_b32_e32 v2, 0x7f800000, v41
	v_cmp_ne_u32_e64 s[0:1], s22, v2
                                        ; implicit-def: $vgpr2
	s_and_saveexec_b64 s[12:13], s[0:1]
	s_xor_b64 s[0:1], exec, s[12:13]
; %bb.224:                              ;   in Loop: Header=BB294_112 Depth=1
	v_bfe_u32 v2, v41, 16, 1
	v_add3_u32 v2, v41, v2, s28
                                        ; implicit-def: $vgpr41
; %bb.225:                              ;   in Loop: Header=BB294_112 Depth=1
	s_andn2_saveexec_b64 s[12:13], s[0:1]
; %bb.226:                              ;   in Loop: Header=BB294_112 Depth=1
	v_or_b32_e32 v2, 0x10000, v41
	v_cmp_eq_u32_sdwa s[0:1], v41, v15 src0_sel:WORD_0 src1_sel:DWORD
	s_nop 1
	v_cndmask_b32_e64 v2, v2, v41, s[0:1]
; %bb.227:                              ;   in Loop: Header=BB294_112 Depth=1
	s_or_b64 exec, exec, s[12:13]
	v_and_b32_e32 v41, 0xff, v3
	v_cvt_f32_fp8_sdwa v41, v41 src0_sel:BYTE_0
	s_nop 0
	v_mul_f32_e32 v41, s29, v41
	v_and_b32_e32 v43, 0x7f800000, v41
	v_cmp_ne_u32_e64 s[0:1], s22, v43
                                        ; implicit-def: $vgpr43
	s_and_saveexec_b64 s[12:13], s[0:1]
	s_xor_b64 s[0:1], exec, s[12:13]
; %bb.228:                              ;   in Loop: Header=BB294_112 Depth=1
	v_bfe_u32 v43, v41, 16, 1
	v_add3_u32 v43, v41, v43, s28
                                        ; implicit-def: $vgpr41
; %bb.229:                              ;   in Loop: Header=BB294_112 Depth=1
	s_andn2_saveexec_b64 s[12:13], s[0:1]
; %bb.230:                              ;   in Loop: Header=BB294_112 Depth=1
	v_or_b32_e32 v43, 0x10000, v41
	v_cmp_eq_u32_sdwa s[0:1], v41, v15 src0_sel:WORD_0 src1_sel:DWORD
	s_nop 1
	v_cndmask_b32_e64 v43, v43, v41, s[0:1]
; %bb.231:                              ;   in Loop: Header=BB294_112 Depth=1
	s_or_b64 exec, exec, s[12:13]
	v_bfe_u32 v41, v3, 8, 8
	v_cvt_f32_fp8_sdwa v41, v41 src0_sel:BYTE_0
	s_nop 0
	v_mul_f32_e32 v44, s29, v41
	v_and_b32_e32 v41, 0x7f800000, v44
	v_cmp_ne_u32_e64 s[0:1], s22, v41
                                        ; implicit-def: $vgpr41
	s_and_saveexec_b64 s[12:13], s[0:1]
	s_xor_b64 s[0:1], exec, s[12:13]
; %bb.232:                              ;   in Loop: Header=BB294_112 Depth=1
	v_bfe_u32 v41, v44, 16, 1
	v_add3_u32 v41, v44, v41, s28
                                        ; implicit-def: $vgpr44
; %bb.233:                              ;   in Loop: Header=BB294_112 Depth=1
	s_andn2_saveexec_b64 s[12:13], s[0:1]
; %bb.234:                              ;   in Loop: Header=BB294_112 Depth=1
	v_or_b32_e32 v41, 0x10000, v44
	v_cmp_eq_u32_sdwa s[0:1], v44, v15 src0_sel:WORD_0 src1_sel:DWORD
	s_nop 1
	v_cndmask_b32_e64 v41, v41, v44, s[0:1]
; %bb.235:                              ;   in Loop: Header=BB294_112 Depth=1
	s_or_b64 exec, exec, s[12:13]
	v_bfe_u32 v44, v3, 16, 8
	v_cvt_f32_fp8_sdwa v44, v44 src0_sel:BYTE_0
	s_nop 0
	v_mul_f32_e32 v44, s29, v44
	v_and_b32_e32 v45, 0x7f800000, v44
	v_cmp_ne_u32_e64 s[0:1], s22, v45
                                        ; implicit-def: $vgpr45
	s_and_saveexec_b64 s[12:13], s[0:1]
	s_xor_b64 s[0:1], exec, s[12:13]
; %bb.236:                              ;   in Loop: Header=BB294_112 Depth=1
	v_bfe_u32 v45, v44, 16, 1
	v_add3_u32 v45, v44, v45, s28
                                        ; implicit-def: $vgpr44
; %bb.237:                              ;   in Loop: Header=BB294_112 Depth=1
	s_andn2_saveexec_b64 s[12:13], s[0:1]
; %bb.238:                              ;   in Loop: Header=BB294_112 Depth=1
	v_or_b32_e32 v45, 0x10000, v44
	v_cmp_eq_u32_sdwa s[0:1], v44, v15 src0_sel:WORD_0 src1_sel:DWORD
	s_nop 1
	v_cndmask_b32_e64 v45, v45, v44, s[0:1]
; %bb.239:                              ;   in Loop: Header=BB294_112 Depth=1
	s_or_b64 exec, exec, s[12:13]
	v_lshrrev_b32_e32 v3, 24, v3
	v_cvt_f32_fp8_sdwa v3, v3 src0_sel:BYTE_0
	s_nop 0
	v_mul_f32_e32 v44, s29, v3
	v_and_b32_e32 v3, 0x7f800000, v44
	v_cmp_ne_u32_e64 s[0:1], s22, v3
                                        ; implicit-def: $vgpr3
	s_and_saveexec_b64 s[12:13], s[0:1]
	s_xor_b64 s[0:1], exec, s[12:13]
; %bb.240:                              ;   in Loop: Header=BB294_112 Depth=1
	v_bfe_u32 v3, v44, 16, 1
	v_add3_u32 v3, v44, v3, s28
                                        ; implicit-def: $vgpr44
; %bb.241:                              ;   in Loop: Header=BB294_112 Depth=1
	s_andn2_saveexec_b64 s[12:13], s[0:1]
; %bb.242:                              ;   in Loop: Header=BB294_112 Depth=1
	v_or_b32_e32 v3, 0x10000, v44
	v_cmp_eq_u32_sdwa s[0:1], v44, v15 src0_sel:WORD_0 src1_sel:DWORD
	s_nop 1
	v_cndmask_b32_e64 v3, v3, v44, s[0:1]
; %bb.243:                              ;   in Loop: Header=BB294_112 Depth=1
	s_or_b64 exec, exec, s[12:13]
	v_lshrrev_b32_e32 v41, 16, v41
	v_lshrrev_b32_e32 v43, 16, v43
	;; [unrolled: 1-line block ×8, first 2 shown]
	s_and_saveexec_b64 s[0:1], vcc
	s_cbranch_execz .LBB294_245
; %bb.244:                              ;   in Loop: Header=BB294_112 Depth=1
	v_cmp_gt_i32_e32 vcc, s11, v11
	s_nop 1
	v_cndmask_b32_e32 v2, 0, v2, vcc
	v_cmp_gt_i32_e32 vcc, s11, v29
	s_nop 1
	v_cndmask_b32_e32 v40, 0, v40, vcc
	;; [unrolled: 3-line block ×8, first 2 shown]
.LBB294_245:                            ;   in Loop: Header=BB294_112 Depth=1
	s_or_b64 exec, exec, s[0:1]
	v_lshlrev_b32_e32 v2, 16, v2
	v_mul_f32_e32 v23, v31, v2
	v_and_b32_e32 v2, 0x7f800000, v23
	v_cmp_ne_u32_e32 vcc, s22, v2
                                        ; implicit-def: $vgpr2
	s_and_saveexec_b64 s[0:1], vcc
	s_xor_b64 s[0:1], exec, s[0:1]
; %bb.246:                              ;   in Loop: Header=BB294_112 Depth=1
	v_bfe_u32 v2, v23, 16, 1
	v_add3_u32 v2, v23, v2, s28
                                        ; implicit-def: $vgpr23
; %bb.247:                              ;   in Loop: Header=BB294_112 Depth=1
	s_andn2_saveexec_b64 s[0:1], s[0:1]
; %bb.248:                              ;   in Loop: Header=BB294_112 Depth=1
	v_or_b32_e32 v2, 0x10000, v23
	v_cmp_eq_u32_sdwa vcc, v23, v15 src0_sel:WORD_0 src1_sel:DWORD
	s_nop 1
	v_cndmask_b32_e32 v2, v2, v23, vcc
; %bb.249:                              ;   in Loop: Header=BB294_112 Depth=1
	s_or_b64 exec, exec, s[0:1]
	v_lshlrev_b32_e32 v23, 16, v40
	v_mul_f32_e32 v24, v32, v23
	v_and_b32_e32 v23, 0x7f800000, v24
	v_cmp_ne_u32_e32 vcc, s22, v23
                                        ; implicit-def: $vgpr23
	s_and_saveexec_b64 s[0:1], vcc
	s_xor_b64 s[0:1], exec, s[0:1]
; %bb.250:                              ;   in Loop: Header=BB294_112 Depth=1
	v_bfe_u32 v23, v24, 16, 1
	v_add3_u32 v23, v24, v23, s28
                                        ; implicit-def: $vgpr24
; %bb.251:                              ;   in Loop: Header=BB294_112 Depth=1
	s_andn2_saveexec_b64 s[0:1], s[0:1]
; %bb.252:                              ;   in Loop: Header=BB294_112 Depth=1
	v_or_b32_e32 v23, 0x10000, v24
	v_cmp_eq_u32_sdwa vcc, v24, v15 src0_sel:WORD_0 src1_sel:DWORD
	s_nop 1
	v_cndmask_b32_e32 v23, v23, v24, vcc
; %bb.253:                              ;   in Loop: Header=BB294_112 Depth=1
	s_or_b64 exec, exec, s[0:1]
	v_lshlrev_b32_e32 v24, 16, v42
	v_mul_f32_e32 v25, v33, v24
	v_and_b32_e32 v24, 0x7f800000, v25
	v_cmp_ne_u32_e32 vcc, s22, v24
                                        ; implicit-def: $vgpr24
	s_and_saveexec_b64 s[0:1], vcc
	s_xor_b64 s[0:1], exec, s[0:1]
; %bb.254:                              ;   in Loop: Header=BB294_112 Depth=1
	v_bfe_u32 v24, v25, 16, 1
	v_add3_u32 v24, v25, v24, s28
                                        ; implicit-def: $vgpr25
; %bb.255:                              ;   in Loop: Header=BB294_112 Depth=1
	s_andn2_saveexec_b64 s[0:1], s[0:1]
; %bb.256:                              ;   in Loop: Header=BB294_112 Depth=1
	v_or_b32_e32 v24, 0x10000, v25
	v_cmp_eq_u32_sdwa vcc, v25, v15 src0_sel:WORD_0 src1_sel:DWORD
	s_nop 1
	v_cndmask_b32_e32 v24, v24, v25, vcc
; %bb.257:                              ;   in Loop: Header=BB294_112 Depth=1
	s_or_b64 exec, exec, s[0:1]
	v_lshlrev_b32_e32 v25, 16, v44
	v_mul_f32_e32 v26, v34, v25
	v_and_b32_e32 v25, 0x7f800000, v26
	v_cmp_ne_u32_e32 vcc, s22, v25
                                        ; implicit-def: $vgpr25
	s_and_saveexec_b64 s[0:1], vcc
	s_xor_b64 s[0:1], exec, s[0:1]
; %bb.258:                              ;   in Loop: Header=BB294_112 Depth=1
	v_bfe_u32 v25, v26, 16, 1
	v_add3_u32 v25, v26, v25, s28
                                        ; implicit-def: $vgpr26
; %bb.259:                              ;   in Loop: Header=BB294_112 Depth=1
	s_andn2_saveexec_b64 s[0:1], s[0:1]
; %bb.260:                              ;   in Loop: Header=BB294_112 Depth=1
	v_or_b32_e32 v25, 0x10000, v26
	v_cmp_eq_u32_sdwa vcc, v26, v15 src0_sel:WORD_0 src1_sel:DWORD
	s_nop 1
	v_cndmask_b32_e32 v25, v25, v26, vcc
; %bb.261:                              ;   in Loop: Header=BB294_112 Depth=1
	s_or_b64 exec, exec, s[0:1]
	v_lshlrev_b32_e32 v26, 16, v43
	v_mul_f32_e32 v27, v35, v26
	v_and_b32_e32 v26, 0x7f800000, v27
	v_cmp_ne_u32_e32 vcc, s22, v26
                                        ; implicit-def: $vgpr26
	s_and_saveexec_b64 s[0:1], vcc
	s_xor_b64 s[0:1], exec, s[0:1]
; %bb.262:                              ;   in Loop: Header=BB294_112 Depth=1
	v_bfe_u32 v26, v27, 16, 1
	v_add3_u32 v26, v27, v26, s28
                                        ; implicit-def: $vgpr27
; %bb.263:                              ;   in Loop: Header=BB294_112 Depth=1
	s_andn2_saveexec_b64 s[0:1], s[0:1]
; %bb.264:                              ;   in Loop: Header=BB294_112 Depth=1
	v_or_b32_e32 v26, 0x10000, v27
	v_cmp_eq_u32_sdwa vcc, v27, v15 src0_sel:WORD_0 src1_sel:DWORD
	s_nop 1
	v_cndmask_b32_e32 v26, v26, v27, vcc
; %bb.265:                              ;   in Loop: Header=BB294_112 Depth=1
	s_or_b64 exec, exec, s[0:1]
	v_lshlrev_b32_e32 v27, 16, v41
	v_mul_f32_e32 v28, v36, v27
	v_and_b32_e32 v27, 0x7f800000, v28
	v_cmp_ne_u32_e32 vcc, s22, v27
                                        ; implicit-def: $vgpr27
	s_and_saveexec_b64 s[0:1], vcc
	s_xor_b64 s[0:1], exec, s[0:1]
; %bb.266:                              ;   in Loop: Header=BB294_112 Depth=1
	v_bfe_u32 v27, v28, 16, 1
	v_add3_u32 v27, v28, v27, s28
                                        ; implicit-def: $vgpr28
; %bb.267:                              ;   in Loop: Header=BB294_112 Depth=1
	s_andn2_saveexec_b64 s[0:1], s[0:1]
; %bb.268:                              ;   in Loop: Header=BB294_112 Depth=1
	v_or_b32_e32 v27, 0x10000, v28
	v_cmp_eq_u32_sdwa vcc, v28, v15 src0_sel:WORD_0 src1_sel:DWORD
	s_nop 1
	v_cndmask_b32_e32 v27, v27, v28, vcc
; %bb.269:                              ;   in Loop: Header=BB294_112 Depth=1
	s_or_b64 exec, exec, s[0:1]
	v_lshlrev_b32_e32 v28, 16, v39
	v_mul_f32_e32 v29, v37, v28
	v_and_b32_e32 v28, 0x7f800000, v29
	v_cmp_ne_u32_e32 vcc, s22, v28
                                        ; implicit-def: $vgpr28
	s_and_saveexec_b64 s[0:1], vcc
	s_xor_b64 s[0:1], exec, s[0:1]
; %bb.270:                              ;   in Loop: Header=BB294_112 Depth=1
	v_bfe_u32 v28, v29, 16, 1
	v_add3_u32 v28, v29, v28, s28
                                        ; implicit-def: $vgpr29
; %bb.271:                              ;   in Loop: Header=BB294_112 Depth=1
	s_andn2_saveexec_b64 s[0:1], s[0:1]
; %bb.272:                              ;   in Loop: Header=BB294_112 Depth=1
	v_or_b32_e32 v28, 0x10000, v29
	v_cmp_eq_u32_sdwa vcc, v29, v15 src0_sel:WORD_0 src1_sel:DWORD
	s_nop 1
	v_cndmask_b32_e32 v28, v28, v29, vcc
; %bb.273:                              ;   in Loop: Header=BB294_112 Depth=1
	s_or_b64 exec, exec, s[0:1]
	v_lshlrev_b32_e32 v3, 16, v3
	v_mul_f32_e32 v29, v38, v3
	v_and_b32_e32 v3, 0x7f800000, v29
	v_cmp_ne_u32_e32 vcc, s22, v3
                                        ; implicit-def: $vgpr3
	s_and_saveexec_b64 s[0:1], vcc
	s_xor_b64 s[0:1], exec, s[0:1]
; %bb.274:                              ;   in Loop: Header=BB294_112 Depth=1
	v_bfe_u32 v3, v29, 16, 1
	v_add3_u32 v3, v29, v3, s28
                                        ; implicit-def: $vgpr29
; %bb.275:                              ;   in Loop: Header=BB294_112 Depth=1
	s_andn2_saveexec_b64 s[0:1], s[0:1]
	s_cbranch_execz .LBB294_110
; %bb.276:                              ;   in Loop: Header=BB294_112 Depth=1
	v_or_b32_e32 v3, 0x10000, v29
	v_cmp_eq_u32_sdwa vcc, v29, v15 src0_sel:WORD_0 src1_sel:DWORD
	s_nop 1
	v_cndmask_b32_e32 v3, v3, v29, vcc
	s_branch .LBB294_110
.LBB294_277:
	s_or_b64 exec, exec, s[6:7]
	v_mov_b32_e32 v12, v22
.LBB294_278:
	s_or_b64 exec, exec, s[2:3]
	v_and_b32_e32 v1, 0x3c0, v0
	v_cmp_eq_u32_e32 vcc, 64, v1
	s_barrier
	s_and_saveexec_b64 s[0:1], vcc
	s_cbranch_execz .LBB294_280
; %bb.279:
	v_mov_b32_e32 v1, 0x110
	v_lshl_add_u32 v2, v0, 2, v1
	v_lshl_add_u32 v1, v20, 2, v1
	ds_write_b32 v1, v12
	ds_write_b32 v2, v13
.LBB294_280:
	s_or_b64 exec, exec, s[0:1]
	v_cmp_gt_u32_e32 vcc, 64, v0
	s_waitcnt lgkmcnt(0)
	s_barrier
	s_and_saveexec_b64 s[0:1], vcc
	s_cbranch_execz .LBB294_282
; %bb.281:
	v_mov_b32_e32 v1, 0x110
	v_lshl_add_u32 v0, v0, 2, v1
	ds_read2st64_b32 v[0:1], v0 offset1:1
	s_waitcnt lgkmcnt(0)
	v_pk_add_f32 v[12:13], v[12:13], v[0:1]
.LBB294_282:
	s_or_b64 exec, exec, s[0:1]
	s_barrier
	s_and_saveexec_b64 s[0:1], vcc
	s_cbranch_execz .LBB294_292
; %bb.283:
	s_mov_b32 s0, 0x7f800000
	v_and_b32_e32 v0, 0x7f800000, v12
	v_cmp_ne_u32_e32 vcc, s0, v0
                                        ; implicit-def: $vgpr0
	s_and_saveexec_b64 s[0:1], vcc
	s_xor_b64 s[0:1], exec, s[0:1]
; %bb.284:
	v_bfe_u32 v0, v12, 16, 1
	s_movk_i32 s2, 0x7fff
	v_add3_u32 v0, v12, v0, s2
; %bb.285:
	s_andn2_saveexec_b64 s[0:1], s[0:1]
; %bb.286:
	v_mov_b32_e32 v0, 0
	v_or_b32_e32 v1, 0x10000, v12
	v_cmp_eq_u32_sdwa vcc, v12, v0 src0_sel:WORD_0 src1_sel:DWORD
	s_nop 1
	v_cndmask_b32_e32 v0, v1, v12, vcc
; %bb.287:
	s_or_b64 exec, exec, s[0:1]
	s_mul_i32 s0, s10, s16
	s_mul_i32 s0, s0, s5
	s_lshl_b32 s0, s0, 7
	s_ashr_i32 s1, s0, 31
	s_lshl_b64 s[0:1], s[0:1], 1
	s_add_u32 s2, s26, s0
	s_mul_i32 s0, s16, s24
	s_addc_u32 s3, s27, s1
	s_ashr_i32 s1, s0, 31
	s_lshl_b64 s[0:1], s[0:1], 1
	s_add_u32 s2, s2, s0
	s_addc_u32 s3, s3, s1
	s_lshl_b32 s0, s4, 7
	s_ashr_i32 s1, s0, 31
	s_lshl_b64 s[0:1], s[0:1], 1
	s_add_u32 s0, s2, s0
	s_addc_u32 s1, s3, s1
	global_store_short_d16_hi v10, v0, s[0:1]
	s_mov_b32 s2, 0x7f800000
	v_and_b32_e32 v0, 0x7f800000, v13
	v_mov_b32_e32 v11, 0
	v_cmp_ne_u32_e32 vcc, s2, v0
                                        ; implicit-def: $vgpr2
	s_and_saveexec_b64 s[2:3], vcc
	s_xor_b64 s[2:3], exec, s[2:3]
; %bb.288:
	v_bfe_u32 v0, v13, 16, 1
	s_movk_i32 s4, 0x7fff
	v_add3_u32 v2, v13, v0, s4
                                        ; implicit-def: $vgpr12_vgpr13
; %bb.289:
	s_or_saveexec_b64 s[2:3], s[2:3]
	v_lshl_add_u64 v[0:1], s[0:1], 0, v[10:11]
	s_xor_b64 exec, exec, s[2:3]
; %bb.290:
	v_mov_b32_e32 v2, 0
	v_or_b32_e32 v3, 0x10000, v13
	v_cmp_eq_u32_sdwa vcc, v13, v2 src0_sel:WORD_0 src1_sel:DWORD
	s_nop 1
	v_cndmask_b32_e32 v2, v3, v13, vcc
; %bb.291:
	s_or_b64 exec, exec, s[2:3]
	global_store_short_d16_hi v[0:1], v2, off offset:128
.LBB294_292:
	s_endpgm
	.section	.rodata,"a",@progbits
	.p2align	6, 0x0
	.amdhsa_kernel _ZN4vllm25paged_attention_v1_kernelI14__hip_bfloat16hLi128ELi8ELi128ELNS_18Fp8KVCacheDataTypeE1ELb1EEEvPT_PKS3_PKT0_S9_ifPKiSB_iPKfiiiSD_SD_iiiii
		.amdhsa_group_segment_fixed_size 272
		.amdhsa_private_segment_fixed_size 0
		.amdhsa_kernarg_size 384
		.amdhsa_user_sgpr_count 2
		.amdhsa_user_sgpr_dispatch_ptr 0
		.amdhsa_user_sgpr_queue_ptr 0
		.amdhsa_user_sgpr_kernarg_segment_ptr 1
		.amdhsa_user_sgpr_dispatch_id 0
		.amdhsa_user_sgpr_kernarg_preload_length 0
		.amdhsa_user_sgpr_kernarg_preload_offset 0
		.amdhsa_user_sgpr_private_segment_size 0
		.amdhsa_uses_dynamic_stack 0
		.amdhsa_enable_private_segment 0
		.amdhsa_system_sgpr_workgroup_id_x 1
		.amdhsa_system_sgpr_workgroup_id_y 1
		.amdhsa_system_sgpr_workgroup_id_z 1
		.amdhsa_system_sgpr_workgroup_info 0
		.amdhsa_system_vgpr_workitem_id 0
		.amdhsa_next_free_vgpr 56
		.amdhsa_next_free_sgpr 51
		.amdhsa_accum_offset 56
		.amdhsa_reserve_vcc 1
		.amdhsa_float_round_mode_32 0
		.amdhsa_float_round_mode_16_64 0
		.amdhsa_float_denorm_mode_32 3
		.amdhsa_float_denorm_mode_16_64 3
		.amdhsa_dx10_clamp 1
		.amdhsa_ieee_mode 1
		.amdhsa_fp16_overflow 0
		.amdhsa_tg_split 0
		.amdhsa_exception_fp_ieee_invalid_op 0
		.amdhsa_exception_fp_denorm_src 0
		.amdhsa_exception_fp_ieee_div_zero 0
		.amdhsa_exception_fp_ieee_overflow 0
		.amdhsa_exception_fp_ieee_underflow 0
		.amdhsa_exception_fp_ieee_inexact 0
		.amdhsa_exception_int_div_zero 0
	.end_amdhsa_kernel
	.section	.text._ZN4vllm25paged_attention_v1_kernelI14__hip_bfloat16hLi128ELi8ELi128ELNS_18Fp8KVCacheDataTypeE1ELb1EEEvPT_PKS3_PKT0_S9_ifPKiSB_iPKfiiiSD_SD_iiiii,"axG",@progbits,_ZN4vllm25paged_attention_v1_kernelI14__hip_bfloat16hLi128ELi8ELi128ELNS_18Fp8KVCacheDataTypeE1ELb1EEEvPT_PKS3_PKT0_S9_ifPKiSB_iPKfiiiSD_SD_iiiii,comdat
.Lfunc_end294:
	.size	_ZN4vllm25paged_attention_v1_kernelI14__hip_bfloat16hLi128ELi8ELi128ELNS_18Fp8KVCacheDataTypeE1ELb1EEEvPT_PKS3_PKT0_S9_ifPKiSB_iPKfiiiSD_SD_iiiii, .Lfunc_end294-_ZN4vllm25paged_attention_v1_kernelI14__hip_bfloat16hLi128ELi8ELi128ELNS_18Fp8KVCacheDataTypeE1ELb1EEEvPT_PKS3_PKT0_S9_ifPKiSB_iPKfiiiSD_SD_iiiii
                                        ; -- End function
	.section	.AMDGPU.csdata,"",@progbits
; Kernel info:
; codeLenInByte = 9752
; NumSgprs: 57
; NumVgprs: 56
; NumAgprs: 0
; TotalNumVgprs: 56
; ScratchSize: 0
; MemoryBound: 0
; FloatMode: 240
; IeeeMode: 1
; LDSByteSize: 272 bytes/workgroup (compile time only)
; SGPRBlocks: 7
; VGPRBlocks: 6
; NumSGPRsForWavesPerEU: 57
; NumVGPRsForWavesPerEU: 56
; AccumOffset: 56
; Occupancy: 8
; WaveLimiterHint : 1
; COMPUTE_PGM_RSRC2:SCRATCH_EN: 0
; COMPUTE_PGM_RSRC2:USER_SGPR: 2
; COMPUTE_PGM_RSRC2:TRAP_HANDLER: 0
; COMPUTE_PGM_RSRC2:TGID_X_EN: 1
; COMPUTE_PGM_RSRC2:TGID_Y_EN: 1
; COMPUTE_PGM_RSRC2:TGID_Z_EN: 1
; COMPUTE_PGM_RSRC2:TIDIG_COMP_CNT: 0
; COMPUTE_PGM_RSRC3_GFX90A:ACCUM_OFFSET: 13
; COMPUTE_PGM_RSRC3_GFX90A:TG_SPLIT: 0
	.section	.text._ZN4vllm25paged_attention_v1_kernelI14__hip_bfloat16hLi192ELi8ELi128ELNS_18Fp8KVCacheDataTypeE1ELb1EEEvPT_PKS3_PKT0_S9_ifPKiSB_iPKfiiiSD_SD_iiiii,"axG",@progbits,_ZN4vllm25paged_attention_v1_kernelI14__hip_bfloat16hLi192ELi8ELi128ELNS_18Fp8KVCacheDataTypeE1ELb1EEEvPT_PKS3_PKT0_S9_ifPKiSB_iPKfiiiSD_SD_iiiii,comdat
	.protected	_ZN4vllm25paged_attention_v1_kernelI14__hip_bfloat16hLi192ELi8ELi128ELNS_18Fp8KVCacheDataTypeE1ELb1EEEvPT_PKS3_PKT0_S9_ifPKiSB_iPKfiiiSD_SD_iiiii ; -- Begin function _ZN4vllm25paged_attention_v1_kernelI14__hip_bfloat16hLi192ELi8ELi128ELNS_18Fp8KVCacheDataTypeE1ELb1EEEvPT_PKS3_PKT0_S9_ifPKiSB_iPKfiiiSD_SD_iiiii
	.globl	_ZN4vllm25paged_attention_v1_kernelI14__hip_bfloat16hLi192ELi8ELi128ELNS_18Fp8KVCacheDataTypeE1ELb1EEEvPT_PKS3_PKT0_S9_ifPKiSB_iPKfiiiSD_SD_iiiii
	.p2align	8
	.type	_ZN4vllm25paged_attention_v1_kernelI14__hip_bfloat16hLi192ELi8ELi128ELNS_18Fp8KVCacheDataTypeE1ELb1EEEvPT_PKS3_PKT0_S9_ifPKiSB_iPKfiiiSD_SD_iiiii,@function
_ZN4vllm25paged_attention_v1_kernelI14__hip_bfloat16hLi192ELi8ELi128ELNS_18Fp8KVCacheDataTypeE1ELb1EEEvPT_PKS3_PKT0_S9_ifPKiSB_iPKfiiiSD_SD_iiiii: ; @_ZN4vllm25paged_attention_v1_kernelI14__hip_bfloat16hLi192ELi8ELi128ELNS_18Fp8KVCacheDataTypeE1ELb1EEEvPT_PKS3_PKT0_S9_ifPKiSB_iPKfiiiSD_SD_iiiii
; %bb.0:
	s_load_dword s5, s[0:1], 0x80
	s_load_dwordx2 s[6:7], s[0:1], 0x30
	s_load_dwordx2 s[36:37], s[0:1], 0x20
	s_mov_b32 s24, s3
	s_ashr_i32 s25, s3, 31
	s_lshl_b64 s[8:9], s[24:25], 2
	s_waitcnt lgkmcnt(0)
	s_add_u32 s6, s6, s8
	s_addc_u32 s7, s7, s9
	s_abs_i32 s3, s36
	v_cvt_f32_u32_e32 v1, s3
	s_sub_i32 s10, 0, s3
	s_abs_i32 s9, s5
	s_xor_b32 s8, s5, s36
	v_rcp_iflag_f32_e32 v1, v1
	s_ashr_i32 s8, s8, 31
	s_mov_b32 s44, 0
	v_mul_f32_e32 v1, 0x4f7ffffe, v1
	v_cvt_u32_f32_e32 v1, v1
	s_nop 0
	v_readfirstlane_b32 s11, v1
	s_mul_i32 s10, s10, s11
	s_mul_hi_u32 s10, s11, s10
	s_add_i32 s11, s11, s10
	s_mul_hi_u32 s10, s9, s11
	s_mul_i32 s11, s10, s3
	s_sub_i32 s9, s9, s11
	s_add_i32 s11, s10, 1
	s_sub_i32 s12, s9, s3
	s_cmp_ge_u32 s9, s3
	s_cselect_b32 s10, s11, s10
	s_cselect_b32 s9, s12, s9
	s_add_i32 s11, s10, 1
	s_cmp_ge_u32 s9, s3
	s_cselect_b32 s3, s11, s10
	s_xor_b32 s3, s3, s8
	s_sub_i32 s20, s3, s8
	s_abs_i32 s34, s20
	v_cvt_f32_u32_e32 v1, s34
	s_load_dwordx2 s[8:9], s[0:1], 0x40
	s_sub_i32 s3, 0, s34
	s_abs_i32 s35, s2
	v_rcp_iflag_f32_e32 v1, v1
	s_nop 0
	v_mul_f32_e32 v1, 0x4f7ffffe, v1
	v_cvt_u32_f32_e32 v1, v1
	s_nop 0
	v_readfirstlane_b32 s12, v1
	s_mul_i32 s3, s3, s12
	s_mul_hi_u32 s3, s12, s3
	s_add_i32 s12, s12, s3
	s_waitcnt lgkmcnt(0)
	s_cmp_eq_u64 s[8:9], 0
	s_cbranch_scc1 .LBB295_2
; %bb.1:
	s_ashr_i32 s3, s2, 31
	s_lshl_b64 s[10:11], s[2:3], 2
	s_add_u32 s8, s8, s10
	s_addc_u32 s9, s9, s11
	s_load_dword s44, s[8:9], 0x0
.LBB295_2:
	s_load_dwordx2 s[26:27], s[0:1], 0x0
	s_nop 0
	s_load_dwordx4 s[8:11], s[0:1], 0x10
	s_load_dword s25, s[0:1], 0x88
	s_load_dword s33, s[6:7], 0x0
	s_load_dwordx2 s[30:31], s[0:1], 0x28
	s_load_dwordx4 s[16:19], s[0:1], 0x48
	s_movk_i32 s6, 0xc0
	s_mul_i32 s28, s2, 0xc0
	s_mul_hi_u32 s3, s35, s12
	v_and_b32_e32 v14, 7, v0
	s_ashr_i32 s29, s28, 31
	v_cmp_gt_u32_e32 vcc, s6, v0
	s_and_saveexec_b64 s[6:7], vcc
	s_cbranch_execz .LBB295_5
; %bb.3:
	s_load_dwordx2 s[12:13], s[0:1], 0x8
	s_waitcnt lgkmcnt(0)
	s_mul_i32 s14, s24, s16
	s_ashr_i32 s15, s14, 31
	s_lshl_b64 s[14:15], s[14:15], 1
	s_lshl_b64 s[22:23], s[28:29], 1
	v_lshrrev_b32_e32 v2, 3, v0
	s_add_u32 s14, s14, s22
	v_lshlrev_b32_e32 v3, 1, v2
	s_addc_u32 s15, s15, s23
	v_mad_u32_u24 v4, v14, 48, v3
	v_lshlrev_b32_e32 v3, 1, v14
	s_add_u32 s12, s12, s14
	v_add_u32_e32 v1, -16, v2
	v_lshl_or_b32 v2, v2, 4, v3
	v_mov_b32_e32 v3, 0
	s_addc_u32 s13, s13, s15
	v_lshl_add_u64 v[2:3], s[12:13], 0, v[2:3]
	s_mov_b64 s[12:13], 0
	s_mov_b64 s[14:15], 0x100
.LBB295_4:                              ; =>This Inner Loop Header: Depth=1
	global_load_ushort v5, v[2:3], off
	v_add_u32_e32 v1, 16, v1
	v_cmp_lt_u32_e32 vcc, 7, v1
	v_lshl_add_u64 v[2:3], v[2:3], 0, s[14:15]
	s_or_b64 s[12:13], vcc, s[12:13]
	s_waitcnt vmcnt(0)
	ds_write_b16 v4, v5
	v_add_u32_e32 v4, 32, v4
	s_andn2_b64 exec, exec, s[12:13]
	s_cbranch_execnz .LBB295_4
.LBB295_5:
	s_or_b64 exec, exec, s[6:7]
	s_ashr_i32 s6, s2, 31
	s_ashr_i32 s7, s20, 31
	s_xor_b32 s6, s6, s7
	s_mul_i32 s7, s3, s34
	s_sub_i32 s7, s35, s7
	s_add_i32 s13, s3, 1
	s_sub_i32 s14, s7, s34
	s_load_dwordx4 s[20:23], s[0:1], 0x68
	s_load_dword s12, s[0:1], 0x78
	s_cmp_ge_u32 s7, s34
	s_cselect_b32 s3, s13, s3
	s_cselect_b32 s7, s14, s7
	s_add_i32 s13, s3, 1
	s_cmp_ge_u32 s7, s34
	s_cselect_b32 s3, s13, s3
	s_waitcnt lgkmcnt(0)
	s_abs_i32 s16, s23
	v_cvt_f32_u32_e32 v1, s16
	s_xor_b32 s3, s3, s6
	s_sub_i32 s43, s3, s6
	s_sub_i32 s6, 0, s16
	v_rcp_iflag_f32_e32 v1, v1
	s_add_i32 s13, s33, -1
	s_abs_i32 s3, s13
	v_mul_f32_e32 v1, 0x4f7ffffe, v1
	v_cvt_u32_f32_e32 v1, v1
	s_barrier
	v_readfirstlane_b32 s29, v1
	s_mul_i32 s6, s6, s29
	s_mul_hi_u32 s6, s29, s6
	s_add_i32 s29, s29, s6
	s_cmp_lt_i32 s12, 0
	s_mul_hi_u32 s19, s3, s29
	s_cbranch_scc0 .LBB295_7
; %bb.6:
	s_mul_i32 s6, s20, s36
	s_add_i32 s6, s43, s6
	s_mul_i32 s6, s6, s12
	s_sub_i32 s36, 1, s6
	s_ashr_i32 s34, s13, 31
	s_ashr_i32 s23, s23, 31
	s_cbranch_execz .LBB295_8
	s_branch .LBB295_9
.LBB295_7:
                                        ; implicit-def: $sgpr36
	s_ashr_i32 s34, s13, 31
	s_ashr_i32 s23, s23, 31
.LBB295_8:
	s_mul_i32 s6, s5, s20
	s_add_i32 s2, s6, s2
	s_mul_i32 s2, s2, s12
	s_add_i32 s36, s2, 1
.LBB295_9:
	s_load_dword s2, s[0:1], 0x38
	s_load_dwordx4 s[12:15], s[0:1], 0x58
	s_mul_i32 s1, s19, s16
	s_xor_b32 s0, s34, s23
	s_sub_i32 s1, s3, s1
	s_waitcnt lgkmcnt(0)
	s_mul_i32 s34, s24, s2
	s_ashr_i32 s35, s34, 31
	s_add_i32 s2, s19, 1
	s_sub_i32 s3, s1, s16
	s_cmp_ge_u32 s1, s16
	s_cselect_b32 s2, s2, s19
	s_cselect_b32 s1, s3, s1
	s_add_i32 s3, s2, 1
	s_cmp_ge_u32 s1, s16
	s_cselect_b32 s1, s3, s2
	s_xor_b32 s1, s1, s0
	s_sub_i32 s42, s1, s0
	s_add_i32 s0, s33, 7
	s_ashr_i32 s1, s0, 31
	s_lshr_b32 s1, s1, 29
	s_add_i32 s0, s0, s1
	s_ashr_i32 s20, s0, 3
	v_lshrrev_b32_e32 v1, 6, v0
	v_cmp_gt_i32_e64 s[0:1], s20, v1
	v_mov_b32_e32 v27, 0xff7fffff
	s_mul_i32 s43, s43, s18
	v_lshrrev_b32_e32 v23, 4, v0
	v_lshlrev_b32_e32 v22, 3, v1
	v_mbcnt_lo_u32_b32 v24, -1, 0
	s_and_saveexec_b64 s[18:19], s[0:1]
	s_cbranch_execz .LBB295_115
; %bb.10:
	s_sub_i32 s45, s42, s21
	s_ashr_i32 s3, s43, 31
	s_add_u32 s2, s8, s43
	s_addc_u32 s3, s9, s3
	s_abs_i32 s46, s22
	v_cvt_f32_u32_e32 v3, s46
	v_bfe_u32 v25, v0, 3, 3
	v_mov_b32_e32 v15, 0
	v_lshlrev_b32_e32 v2, 4, v25
	v_rcp_iflag_f32_e32 v4, v3
	v_mov_b32_e32 v3, v15
	v_lshl_add_u64 v[16:17], s[2:3], 0, v[2:3]
	s_sub_i32 s6, 0, s46
	v_mul_f32_e32 v2, 0x4f7ffffe, v4
	v_cvt_u32_f32_e32 v2, v2
	v_cmp_eq_u32_e32 vcc, 0, v14
	s_mov_b32 s47, s17
	v_mul_u32_u24_e32 v26, 48, v14
	v_mul_lo_u32 v3, s6, v2
	s_lshl_b64 s[6:7], s[34:35], 2
	v_mul_hi_u32 v3, v2, v3
	s_add_u32 s6, s30, s6
	v_add_u32_e32 v28, v2, v3
	v_and_b32_e32 v2, 60, v23
	v_mov_b32_e32 v3, v15
	s_addc_u32 s7, s31, s7
	v_lshl_add_u64 v[18:19], s[6:7], 0, v[2:3]
	v_lshlrev_b32_e32 v2, 2, v25
	v_lshl_or_b32 v2, v1, 5, v2
	v_add_u32_e32 v30, 0x190, v2
	v_subrev_u32_e32 v2, s33, v25
	v_cmp_neq_f32_e64 s[2:3], s44, 0
	v_lshlrev_b32_e32 v29, 3, v1
	v_add_u32_e32 v31, 1, v2
	s_mov_b64 s[38:39], 0
	v_mov_b32_e32 v32, 0xff7fffff
	s_mov_b32 s48, 0x7f800000
	s_movk_i32 s49, 0x7fff
	v_mbcnt_hi_u32_b32 v33, -1, v24
	v_mov_b32_e32 v27, 0xff7fffff
	v_mov_b32_e32 v34, v1
	s_branch .LBB295_13
.LBB295_11:                             ;   in Loop: Header=BB295_13 Depth=1
	s_or_b64 exec, exec, s[40:41]
.LBB295_12:                             ;   in Loop: Header=BB295_13 Depth=1
	s_or_b64 exec, exec, s[8:9]
	v_add_u32_e32 v34, 2, v34
	v_cmp_le_i32_e64 s[6:7], s20, v34
	v_lshl_add_u64 v[18:19], v[18:19], 0, 8
	v_add_u32_e32 v29, 16, v29
	s_or_b64 s[38:39], s[6:7], s[38:39]
	v_add_u32_e32 v30, 64, v30
	s_andn2_b64 exec, exec, s[38:39]
	s_cbranch_execz .LBB295_114
.LBB295_13:                             ; =>This Inner Loop Header: Depth=1
	v_mul_hi_u32 v2, v29, s29
	s_waitcnt lgkmcnt(0)
	v_mul_lo_u32 v3, v2, s16
	v_sub_u32_e32 v3, v29, v3
	v_add_u32_e32 v4, 1, v2
	v_cmp_le_u32_e64 s[6:7], s16, v3
	s_nop 1
	v_cndmask_b32_e64 v2, v2, v4, s[6:7]
	v_subrev_u32_e32 v4, s16, v3
	v_cndmask_b32_e64 v3, v3, v4, s[6:7]
	v_add_u32_e32 v4, 1, v2
	v_cmp_le_u32_e64 s[6:7], s16, v3
	s_nop 1
	v_cndmask_b32_e64 v2, v2, v4, s[6:7]
	v_xor_b32_e32 v2, s23, v2
	v_subrev_u32_e32 v2, s23, v2
	v_add_u32_e32 v3, s36, v2
	v_sub_u32_e32 v5, 0, v3
	v_ashrrev_i32_e32 v4, 31, v3
	v_max_i32_e32 v3, v3, v5
	v_mul_hi_u32 v5, v3, v28
	v_mul_lo_u32 v5, v5, s46
	v_sub_u32_e32 v3, v3, v5
	v_subrev_u32_e32 v5, s46, v3
	v_cmp_le_u32_e64 s[6:7], s46, v3
	v_cmp_ge_i32_e64 s[8:9], s45, v2
	s_nop 0
	v_cndmask_b32_e64 v3, v3, v5, s[6:7]
	v_subrev_u32_e32 v5, s46, v3
	v_cmp_le_u32_e64 s[6:7], s46, v3
	s_nop 1
	v_cndmask_b32_e64 v3, v3, v5, s[6:7]
	v_xor_b32_e32 v3, v3, v4
	v_sub_u32_e32 v3, v3, v4
	v_cmp_ne_u32_e64 s[6:7], 0, v3
	s_and_b64 s[6:7], s[6:7], s[8:9]
	s_and_b64 s[40:41], vcc, s[6:7]
	s_and_saveexec_b64 s[8:9], s[40:41]
	s_cbranch_execz .LBB295_15
; %bb.14:                               ;   in Loop: Header=BB295_13 Depth=1
	ds_write_b32 v30, v32
.LBB295_15:                             ;   in Loop: Header=BB295_13 Depth=1
	s_or_b64 exec, exec, s[8:9]
	s_xor_b64 s[6:7], s[6:7], -1
	s_and_saveexec_b64 s[8:9], s[6:7]
	s_cbranch_execz .LBB295_12
; %bb.16:                               ;   in Loop: Header=BB295_13 Depth=1
	global_load_dword v2, v[18:19], off
	s_load_dword s50, s[12:13], 0x0
	s_waitcnt vmcnt(0)
	v_mad_i64_i32 v[2:3], s[6:7], v2, s47, v[16:17]
	v_lshl_add_u64 v[20:21], v[2:3], 0, v[14:15]
	global_load_ubyte v2, v[20:21], off
	s_waitcnt vmcnt(0)
	v_cvt_f32_fp8_sdwa v35, v2 src0_sel:BYTE_0
	ds_read_b128 v[10:13], v26
	ds_read_b128 v[6:9], v26 offset:16
	ds_read_b128 v[2:5], v26 offset:32
	s_waitcnt lgkmcnt(0)
	v_mul_f32_e32 v36, s50, v35
	v_and_b32_e32 v35, 0x7f800000, v36
	v_cmp_ne_u32_e64 s[6:7], s48, v35
                                        ; implicit-def: $vgpr35
	s_and_saveexec_b64 s[40:41], s[6:7]
	s_xor_b64 s[6:7], exec, s[40:41]
; %bb.17:                               ;   in Loop: Header=BB295_13 Depth=1
	v_bfe_u32 v35, v36, 16, 1
	v_add3_u32 v35, v36, v35, s49
                                        ; implicit-def: $vgpr36
; %bb.18:                               ;   in Loop: Header=BB295_13 Depth=1
	s_andn2_saveexec_b64 s[40:41], s[6:7]
; %bb.19:                               ;   in Loop: Header=BB295_13 Depth=1
	v_or_b32_e32 v35, 0x10000, v36
	v_cmp_eq_u32_sdwa s[6:7], v36, v15 src0_sel:WORD_0 src1_sel:DWORD
	s_nop 1
	v_cndmask_b32_e64 v35, v35, v36, s[6:7]
; %bb.20:                               ;   in Loop: Header=BB295_13 Depth=1
	s_or_b64 exec, exec, s[40:41]
	global_load_ubyte v36, v[20:21], off offset:8
	s_waitcnt vmcnt(0)
	v_cvt_f32_fp8_sdwa v36, v36 src0_sel:BYTE_0
	s_nop 0
	v_mul_f32_e32 v37, s50, v36
	v_and_b32_e32 v36, 0x7f800000, v37
	v_cmp_ne_u32_e64 s[6:7], s48, v36
                                        ; implicit-def: $vgpr36
	s_and_saveexec_b64 s[40:41], s[6:7]
	s_xor_b64 s[6:7], exec, s[40:41]
; %bb.21:                               ;   in Loop: Header=BB295_13 Depth=1
	v_bfe_u32 v36, v37, 16, 1
	v_add3_u32 v36, v37, v36, s49
                                        ; implicit-def: $vgpr37
; %bb.22:                               ;   in Loop: Header=BB295_13 Depth=1
	s_andn2_saveexec_b64 s[40:41], s[6:7]
; %bb.23:                               ;   in Loop: Header=BB295_13 Depth=1
	v_or_b32_e32 v36, 0x10000, v37
	v_cmp_eq_u32_sdwa s[6:7], v37, v15 src0_sel:WORD_0 src1_sel:DWORD
	s_nop 1
	v_cndmask_b32_e64 v36, v36, v37, s[6:7]
; %bb.24:                               ;   in Loop: Header=BB295_13 Depth=1
	s_or_b64 exec, exec, s[40:41]
	global_load_ubyte v37, v[20:21], off offset:128
	s_waitcnt vmcnt(0)
	v_cvt_f32_fp8_sdwa v37, v37 src0_sel:BYTE_0
	s_nop 0
	v_mul_f32_e32 v38, s50, v37
	v_and_b32_e32 v37, 0x7f800000, v38
	v_cmp_ne_u32_e64 s[6:7], s48, v37
                                        ; implicit-def: $vgpr37
	s_and_saveexec_b64 s[40:41], s[6:7]
	s_xor_b64 s[6:7], exec, s[40:41]
; %bb.25:                               ;   in Loop: Header=BB295_13 Depth=1
	v_bfe_u32 v37, v38, 16, 1
	v_add3_u32 v37, v38, v37, s49
                                        ; implicit-def: $vgpr38
; %bb.26:                               ;   in Loop: Header=BB295_13 Depth=1
	s_andn2_saveexec_b64 s[40:41], s[6:7]
; %bb.27:                               ;   in Loop: Header=BB295_13 Depth=1
	v_or_b32_e32 v37, 0x10000, v38
	v_cmp_eq_u32_sdwa s[6:7], v38, v15 src0_sel:WORD_0 src1_sel:DWORD
	s_nop 1
	v_cndmask_b32_e64 v37, v37, v38, s[6:7]
; %bb.28:                               ;   in Loop: Header=BB295_13 Depth=1
	s_or_b64 exec, exec, s[40:41]
	global_load_ubyte v38, v[20:21], off offset:136
	s_waitcnt vmcnt(0)
	v_cvt_f32_fp8_sdwa v38, v38 src0_sel:BYTE_0
	s_nop 0
	v_mul_f32_e32 v39, s50, v38
	v_and_b32_e32 v38, 0x7f800000, v39
	v_cmp_ne_u32_e64 s[6:7], s48, v38
                                        ; implicit-def: $vgpr38
	s_and_saveexec_b64 s[40:41], s[6:7]
	s_xor_b64 s[6:7], exec, s[40:41]
; %bb.29:                               ;   in Loop: Header=BB295_13 Depth=1
	v_bfe_u32 v38, v39, 16, 1
	v_add3_u32 v38, v39, v38, s49
                                        ; implicit-def: $vgpr39
; %bb.30:                               ;   in Loop: Header=BB295_13 Depth=1
	s_andn2_saveexec_b64 s[40:41], s[6:7]
; %bb.31:                               ;   in Loop: Header=BB295_13 Depth=1
	v_or_b32_e32 v38, 0x10000, v39
	v_cmp_eq_u32_sdwa s[6:7], v39, v15 src0_sel:WORD_0 src1_sel:DWORD
	s_nop 1
	v_cndmask_b32_e64 v38, v38, v39, s[6:7]
; %bb.32:                               ;   in Loop: Header=BB295_13 Depth=1
	s_or_b64 exec, exec, s[40:41]
	global_load_ubyte v39, v[20:21], off offset:256
	s_waitcnt vmcnt(0)
	v_cvt_f32_fp8_sdwa v39, v39 src0_sel:BYTE_0
	s_nop 0
	v_mul_f32_e32 v40, s50, v39
	v_and_b32_e32 v39, 0x7f800000, v40
	v_cmp_ne_u32_e64 s[6:7], s48, v39
                                        ; implicit-def: $vgpr39
	s_and_saveexec_b64 s[40:41], s[6:7]
	s_xor_b64 s[6:7], exec, s[40:41]
; %bb.33:                               ;   in Loop: Header=BB295_13 Depth=1
	v_bfe_u32 v39, v40, 16, 1
	v_add3_u32 v39, v40, v39, s49
                                        ; implicit-def: $vgpr40
; %bb.34:                               ;   in Loop: Header=BB295_13 Depth=1
	s_andn2_saveexec_b64 s[40:41], s[6:7]
; %bb.35:                               ;   in Loop: Header=BB295_13 Depth=1
	v_or_b32_e32 v39, 0x10000, v40
	v_cmp_eq_u32_sdwa s[6:7], v40, v15 src0_sel:WORD_0 src1_sel:DWORD
	s_nop 1
	v_cndmask_b32_e64 v39, v39, v40, s[6:7]
; %bb.36:                               ;   in Loop: Header=BB295_13 Depth=1
	s_or_b64 exec, exec, s[40:41]
	global_load_ubyte v40, v[20:21], off offset:264
	s_waitcnt vmcnt(0)
	v_cvt_f32_fp8_sdwa v40, v40 src0_sel:BYTE_0
	s_nop 0
	v_mul_f32_e32 v41, s50, v40
	v_and_b32_e32 v40, 0x7f800000, v41
	v_cmp_ne_u32_e64 s[6:7], s48, v40
                                        ; implicit-def: $vgpr40
	s_and_saveexec_b64 s[40:41], s[6:7]
	s_xor_b64 s[6:7], exec, s[40:41]
; %bb.37:                               ;   in Loop: Header=BB295_13 Depth=1
	v_bfe_u32 v40, v41, 16, 1
	v_add3_u32 v40, v41, v40, s49
                                        ; implicit-def: $vgpr41
; %bb.38:                               ;   in Loop: Header=BB295_13 Depth=1
	s_andn2_saveexec_b64 s[40:41], s[6:7]
; %bb.39:                               ;   in Loop: Header=BB295_13 Depth=1
	v_or_b32_e32 v40, 0x10000, v41
	v_cmp_eq_u32_sdwa s[6:7], v41, v15 src0_sel:WORD_0 src1_sel:DWORD
	s_nop 1
	v_cndmask_b32_e64 v40, v40, v41, s[6:7]
; %bb.40:                               ;   in Loop: Header=BB295_13 Depth=1
	s_or_b64 exec, exec, s[40:41]
	global_load_ubyte v41, v[20:21], off offset:384
	s_waitcnt vmcnt(0)
	v_cvt_f32_fp8_sdwa v41, v41 src0_sel:BYTE_0
	s_nop 0
	v_mul_f32_e32 v42, s50, v41
	v_and_b32_e32 v41, 0x7f800000, v42
	v_cmp_ne_u32_e64 s[6:7], s48, v41
                                        ; implicit-def: $vgpr41
	s_and_saveexec_b64 s[40:41], s[6:7]
	s_xor_b64 s[6:7], exec, s[40:41]
; %bb.41:                               ;   in Loop: Header=BB295_13 Depth=1
	v_bfe_u32 v41, v42, 16, 1
	v_add3_u32 v41, v42, v41, s49
                                        ; implicit-def: $vgpr42
; %bb.42:                               ;   in Loop: Header=BB295_13 Depth=1
	s_andn2_saveexec_b64 s[40:41], s[6:7]
; %bb.43:                               ;   in Loop: Header=BB295_13 Depth=1
	v_or_b32_e32 v41, 0x10000, v42
	v_cmp_eq_u32_sdwa s[6:7], v42, v15 src0_sel:WORD_0 src1_sel:DWORD
	s_nop 1
	v_cndmask_b32_e64 v41, v41, v42, s[6:7]
; %bb.44:                               ;   in Loop: Header=BB295_13 Depth=1
	s_or_b64 exec, exec, s[40:41]
	global_load_ubyte v42, v[20:21], off offset:392
	s_waitcnt vmcnt(0)
	v_cvt_f32_fp8_sdwa v42, v42 src0_sel:BYTE_0
	s_nop 0
	v_mul_f32_e32 v43, s50, v42
	v_and_b32_e32 v42, 0x7f800000, v43
	v_cmp_ne_u32_e64 s[6:7], s48, v42
                                        ; implicit-def: $vgpr42
	s_and_saveexec_b64 s[40:41], s[6:7]
	s_xor_b64 s[6:7], exec, s[40:41]
; %bb.45:                               ;   in Loop: Header=BB295_13 Depth=1
	v_bfe_u32 v42, v43, 16, 1
	v_add3_u32 v42, v43, v42, s49
                                        ; implicit-def: $vgpr43
; %bb.46:                               ;   in Loop: Header=BB295_13 Depth=1
	s_andn2_saveexec_b64 s[40:41], s[6:7]
; %bb.47:                               ;   in Loop: Header=BB295_13 Depth=1
	v_or_b32_e32 v42, 0x10000, v43
	v_cmp_eq_u32_sdwa s[6:7], v43, v15 src0_sel:WORD_0 src1_sel:DWORD
	s_nop 1
	v_cndmask_b32_e64 v42, v42, v43, s[6:7]
; %bb.48:                               ;   in Loop: Header=BB295_13 Depth=1
	s_or_b64 exec, exec, s[40:41]
	global_load_ubyte v43, v[20:21], off offset:512
	s_waitcnt vmcnt(0)
	v_cvt_f32_fp8_sdwa v43, v43 src0_sel:BYTE_0
	s_nop 0
	v_mul_f32_e32 v44, s50, v43
	v_and_b32_e32 v43, 0x7f800000, v44
	v_cmp_ne_u32_e64 s[6:7], s48, v43
                                        ; implicit-def: $vgpr43
	s_and_saveexec_b64 s[40:41], s[6:7]
	s_xor_b64 s[6:7], exec, s[40:41]
; %bb.49:                               ;   in Loop: Header=BB295_13 Depth=1
	v_bfe_u32 v43, v44, 16, 1
	v_add3_u32 v43, v44, v43, s49
                                        ; implicit-def: $vgpr44
; %bb.50:                               ;   in Loop: Header=BB295_13 Depth=1
	s_andn2_saveexec_b64 s[40:41], s[6:7]
; %bb.51:                               ;   in Loop: Header=BB295_13 Depth=1
	v_or_b32_e32 v43, 0x10000, v44
	v_cmp_eq_u32_sdwa s[6:7], v44, v15 src0_sel:WORD_0 src1_sel:DWORD
	s_nop 1
	v_cndmask_b32_e64 v43, v43, v44, s[6:7]
; %bb.52:                               ;   in Loop: Header=BB295_13 Depth=1
	s_or_b64 exec, exec, s[40:41]
	global_load_ubyte v44, v[20:21], off offset:520
	s_waitcnt vmcnt(0)
	v_cvt_f32_fp8_sdwa v44, v44 src0_sel:BYTE_0
	s_nop 0
	v_mul_f32_e32 v45, s50, v44
	v_and_b32_e32 v44, 0x7f800000, v45
	v_cmp_ne_u32_e64 s[6:7], s48, v44
                                        ; implicit-def: $vgpr44
	s_and_saveexec_b64 s[40:41], s[6:7]
	s_xor_b64 s[6:7], exec, s[40:41]
; %bb.53:                               ;   in Loop: Header=BB295_13 Depth=1
	v_bfe_u32 v44, v45, 16, 1
	v_add3_u32 v44, v45, v44, s49
                                        ; implicit-def: $vgpr45
; %bb.54:                               ;   in Loop: Header=BB295_13 Depth=1
	s_andn2_saveexec_b64 s[40:41], s[6:7]
; %bb.55:                               ;   in Loop: Header=BB295_13 Depth=1
	v_or_b32_e32 v44, 0x10000, v45
	v_cmp_eq_u32_sdwa s[6:7], v45, v15 src0_sel:WORD_0 src1_sel:DWORD
	s_nop 1
	v_cndmask_b32_e64 v44, v44, v45, s[6:7]
; %bb.56:                               ;   in Loop: Header=BB295_13 Depth=1
	s_or_b64 exec, exec, s[40:41]
	global_load_ubyte v45, v[20:21], off offset:640
	s_waitcnt vmcnt(0)
	v_cvt_f32_fp8_sdwa v45, v45 src0_sel:BYTE_0
	s_nop 0
	v_mul_f32_e32 v46, s50, v45
	v_and_b32_e32 v45, 0x7f800000, v46
	v_cmp_ne_u32_e64 s[6:7], s48, v45
                                        ; implicit-def: $vgpr45
	s_and_saveexec_b64 s[40:41], s[6:7]
	s_xor_b64 s[6:7], exec, s[40:41]
; %bb.57:                               ;   in Loop: Header=BB295_13 Depth=1
	v_bfe_u32 v45, v46, 16, 1
	v_add3_u32 v45, v46, v45, s49
                                        ; implicit-def: $vgpr46
; %bb.58:                               ;   in Loop: Header=BB295_13 Depth=1
	s_andn2_saveexec_b64 s[40:41], s[6:7]
; %bb.59:                               ;   in Loop: Header=BB295_13 Depth=1
	v_or_b32_e32 v45, 0x10000, v46
	v_cmp_eq_u32_sdwa s[6:7], v46, v15 src0_sel:WORD_0 src1_sel:DWORD
	s_nop 1
	v_cndmask_b32_e64 v45, v45, v46, s[6:7]
; %bb.60:                               ;   in Loop: Header=BB295_13 Depth=1
	s_or_b64 exec, exec, s[40:41]
	global_load_ubyte v46, v[20:21], off offset:648
	s_waitcnt vmcnt(0)
	v_cvt_f32_fp8_sdwa v46, v46 src0_sel:BYTE_0
	s_nop 0
	v_mul_f32_e32 v47, s50, v46
	v_and_b32_e32 v46, 0x7f800000, v47
	v_cmp_ne_u32_e64 s[6:7], s48, v46
                                        ; implicit-def: $vgpr46
	s_and_saveexec_b64 s[40:41], s[6:7]
	s_xor_b64 s[6:7], exec, s[40:41]
; %bb.61:                               ;   in Loop: Header=BB295_13 Depth=1
	v_bfe_u32 v46, v47, 16, 1
	v_add3_u32 v46, v47, v46, s49
                                        ; implicit-def: $vgpr47
; %bb.62:                               ;   in Loop: Header=BB295_13 Depth=1
	s_andn2_saveexec_b64 s[40:41], s[6:7]
; %bb.63:                               ;   in Loop: Header=BB295_13 Depth=1
	v_or_b32_e32 v46, 0x10000, v47
	v_cmp_eq_u32_sdwa s[6:7], v47, v15 src0_sel:WORD_0 src1_sel:DWORD
	s_nop 1
	v_cndmask_b32_e64 v46, v46, v47, s[6:7]
; %bb.64:                               ;   in Loop: Header=BB295_13 Depth=1
	s_or_b64 exec, exec, s[40:41]
	global_load_ubyte v47, v[20:21], off offset:768
	s_waitcnt vmcnt(0)
	v_cvt_f32_fp8_sdwa v47, v47 src0_sel:BYTE_0
	s_nop 0
	v_mul_f32_e32 v48, s50, v47
	v_and_b32_e32 v47, 0x7f800000, v48
	v_cmp_ne_u32_e64 s[6:7], s48, v47
                                        ; implicit-def: $vgpr47
	s_and_saveexec_b64 s[40:41], s[6:7]
	s_xor_b64 s[6:7], exec, s[40:41]
; %bb.65:                               ;   in Loop: Header=BB295_13 Depth=1
	v_bfe_u32 v47, v48, 16, 1
	v_add3_u32 v47, v48, v47, s49
                                        ; implicit-def: $vgpr48
; %bb.66:                               ;   in Loop: Header=BB295_13 Depth=1
	s_andn2_saveexec_b64 s[40:41], s[6:7]
; %bb.67:                               ;   in Loop: Header=BB295_13 Depth=1
	v_or_b32_e32 v47, 0x10000, v48
	v_cmp_eq_u32_sdwa s[6:7], v48, v15 src0_sel:WORD_0 src1_sel:DWORD
	s_nop 1
	v_cndmask_b32_e64 v47, v47, v48, s[6:7]
; %bb.68:                               ;   in Loop: Header=BB295_13 Depth=1
	s_or_b64 exec, exec, s[40:41]
	global_load_ubyte v48, v[20:21], off offset:776
	s_waitcnt vmcnt(0)
	v_cvt_f32_fp8_sdwa v48, v48 src0_sel:BYTE_0
	s_nop 0
	v_mul_f32_e32 v49, s50, v48
	v_and_b32_e32 v48, 0x7f800000, v49
	v_cmp_ne_u32_e64 s[6:7], s48, v48
                                        ; implicit-def: $vgpr48
	s_and_saveexec_b64 s[40:41], s[6:7]
	s_xor_b64 s[6:7], exec, s[40:41]
; %bb.69:                               ;   in Loop: Header=BB295_13 Depth=1
	v_bfe_u32 v48, v49, 16, 1
	v_add3_u32 v48, v49, v48, s49
                                        ; implicit-def: $vgpr49
; %bb.70:                               ;   in Loop: Header=BB295_13 Depth=1
	s_andn2_saveexec_b64 s[40:41], s[6:7]
; %bb.71:                               ;   in Loop: Header=BB295_13 Depth=1
	v_or_b32_e32 v48, 0x10000, v49
	v_cmp_eq_u32_sdwa s[6:7], v49, v15 src0_sel:WORD_0 src1_sel:DWORD
	s_nop 1
	v_cndmask_b32_e64 v48, v48, v49, s[6:7]
; %bb.72:                               ;   in Loop: Header=BB295_13 Depth=1
	s_or_b64 exec, exec, s[40:41]
	global_load_ubyte v49, v[20:21], off offset:896
	s_waitcnt vmcnt(0)
	v_cvt_f32_fp8_sdwa v49, v49 src0_sel:BYTE_0
	s_nop 0
	v_mul_f32_e32 v50, s50, v49
	v_and_b32_e32 v49, 0x7f800000, v50
	v_cmp_ne_u32_e64 s[6:7], s48, v49
                                        ; implicit-def: $vgpr49
	s_and_saveexec_b64 s[40:41], s[6:7]
	s_xor_b64 s[6:7], exec, s[40:41]
; %bb.73:                               ;   in Loop: Header=BB295_13 Depth=1
	v_bfe_u32 v49, v50, 16, 1
	v_add3_u32 v49, v50, v49, s49
                                        ; implicit-def: $vgpr50
; %bb.74:                               ;   in Loop: Header=BB295_13 Depth=1
	s_andn2_saveexec_b64 s[40:41], s[6:7]
; %bb.75:                               ;   in Loop: Header=BB295_13 Depth=1
	v_or_b32_e32 v49, 0x10000, v50
	v_cmp_eq_u32_sdwa s[6:7], v50, v15 src0_sel:WORD_0 src1_sel:DWORD
	s_nop 1
	v_cndmask_b32_e64 v49, v49, v50, s[6:7]
; %bb.76:                               ;   in Loop: Header=BB295_13 Depth=1
	s_or_b64 exec, exec, s[40:41]
	global_load_ubyte v50, v[20:21], off offset:904
	s_waitcnt vmcnt(0)
	v_cvt_f32_fp8_sdwa v50, v50 src0_sel:BYTE_0
	s_nop 0
	v_mul_f32_e32 v51, s50, v50
	v_and_b32_e32 v50, 0x7f800000, v51
	v_cmp_ne_u32_e64 s[6:7], s48, v50
                                        ; implicit-def: $vgpr50
	s_and_saveexec_b64 s[40:41], s[6:7]
	s_xor_b64 s[6:7], exec, s[40:41]
; %bb.77:                               ;   in Loop: Header=BB295_13 Depth=1
	v_bfe_u32 v50, v51, 16, 1
	v_add3_u32 v50, v51, v50, s49
                                        ; implicit-def: $vgpr51
; %bb.78:                               ;   in Loop: Header=BB295_13 Depth=1
	s_andn2_saveexec_b64 s[40:41], s[6:7]
; %bb.79:                               ;   in Loop: Header=BB295_13 Depth=1
	v_or_b32_e32 v50, 0x10000, v51
	v_cmp_eq_u32_sdwa s[6:7], v51, v15 src0_sel:WORD_0 src1_sel:DWORD
	s_nop 1
	v_cndmask_b32_e64 v50, v50, v51, s[6:7]
; %bb.80:                               ;   in Loop: Header=BB295_13 Depth=1
	s_or_b64 exec, exec, s[40:41]
	global_load_ubyte v51, v[20:21], off offset:1024
	s_waitcnt vmcnt(0)
	v_cvt_f32_fp8_sdwa v51, v51 src0_sel:BYTE_0
	s_nop 0
	v_mul_f32_e32 v52, s50, v51
	v_and_b32_e32 v51, 0x7f800000, v52
	v_cmp_ne_u32_e64 s[6:7], s48, v51
                                        ; implicit-def: $vgpr51
	s_and_saveexec_b64 s[40:41], s[6:7]
	s_xor_b64 s[6:7], exec, s[40:41]
; %bb.81:                               ;   in Loop: Header=BB295_13 Depth=1
	v_bfe_u32 v51, v52, 16, 1
	v_add3_u32 v51, v52, v51, s49
                                        ; implicit-def: $vgpr52
; %bb.82:                               ;   in Loop: Header=BB295_13 Depth=1
	s_andn2_saveexec_b64 s[40:41], s[6:7]
; %bb.83:                               ;   in Loop: Header=BB295_13 Depth=1
	v_or_b32_e32 v51, 0x10000, v52
	v_cmp_eq_u32_sdwa s[6:7], v52, v15 src0_sel:WORD_0 src1_sel:DWORD
	s_nop 1
	v_cndmask_b32_e64 v51, v51, v52, s[6:7]
; %bb.84:                               ;   in Loop: Header=BB295_13 Depth=1
	s_or_b64 exec, exec, s[40:41]
	global_load_ubyte v52, v[20:21], off offset:1032
	s_waitcnt vmcnt(0)
	v_cvt_f32_fp8_sdwa v52, v52 src0_sel:BYTE_0
	s_nop 0
	v_mul_f32_e32 v53, s50, v52
	v_and_b32_e32 v52, 0x7f800000, v53
	v_cmp_ne_u32_e64 s[6:7], s48, v52
                                        ; implicit-def: $vgpr52
	s_and_saveexec_b64 s[40:41], s[6:7]
	s_xor_b64 s[6:7], exec, s[40:41]
; %bb.85:                               ;   in Loop: Header=BB295_13 Depth=1
	v_bfe_u32 v52, v53, 16, 1
	v_add3_u32 v52, v53, v52, s49
                                        ; implicit-def: $vgpr53
; %bb.86:                               ;   in Loop: Header=BB295_13 Depth=1
	s_andn2_saveexec_b64 s[40:41], s[6:7]
; %bb.87:                               ;   in Loop: Header=BB295_13 Depth=1
	v_or_b32_e32 v52, 0x10000, v53
	v_cmp_eq_u32_sdwa s[6:7], v53, v15 src0_sel:WORD_0 src1_sel:DWORD
	s_nop 1
	v_cndmask_b32_e64 v52, v52, v53, s[6:7]
; %bb.88:                               ;   in Loop: Header=BB295_13 Depth=1
	s_or_b64 exec, exec, s[40:41]
	global_load_ubyte v53, v[20:21], off offset:1152
	s_waitcnt vmcnt(0)
	v_cvt_f32_fp8_sdwa v53, v53 src0_sel:BYTE_0
	s_nop 0
	v_mul_f32_e32 v54, s50, v53
	v_and_b32_e32 v53, 0x7f800000, v54
	v_cmp_ne_u32_e64 s[6:7], s48, v53
                                        ; implicit-def: $vgpr53
	s_and_saveexec_b64 s[40:41], s[6:7]
	s_xor_b64 s[6:7], exec, s[40:41]
; %bb.89:                               ;   in Loop: Header=BB295_13 Depth=1
	v_bfe_u32 v53, v54, 16, 1
	v_add3_u32 v53, v54, v53, s49
                                        ; implicit-def: $vgpr54
; %bb.90:                               ;   in Loop: Header=BB295_13 Depth=1
	s_andn2_saveexec_b64 s[40:41], s[6:7]
; %bb.91:                               ;   in Loop: Header=BB295_13 Depth=1
	v_or_b32_e32 v53, 0x10000, v54
	v_cmp_eq_u32_sdwa s[6:7], v54, v15 src0_sel:WORD_0 src1_sel:DWORD
	s_nop 1
	v_cndmask_b32_e64 v53, v53, v54, s[6:7]
; %bb.92:                               ;   in Loop: Header=BB295_13 Depth=1
	s_or_b64 exec, exec, s[40:41]
	global_load_ubyte v54, v[20:21], off offset:1160
	s_waitcnt vmcnt(0)
	v_cvt_f32_fp8_sdwa v54, v54 src0_sel:BYTE_0
	s_nop 0
	v_mul_f32_e32 v55, s50, v54
	v_and_b32_e32 v54, 0x7f800000, v55
	v_cmp_ne_u32_e64 s[6:7], s48, v54
                                        ; implicit-def: $vgpr54
	s_and_saveexec_b64 s[40:41], s[6:7]
	s_xor_b64 s[6:7], exec, s[40:41]
; %bb.93:                               ;   in Loop: Header=BB295_13 Depth=1
	v_bfe_u32 v54, v55, 16, 1
	v_add3_u32 v54, v55, v54, s49
                                        ; implicit-def: $vgpr55
; %bb.94:                               ;   in Loop: Header=BB295_13 Depth=1
	s_andn2_saveexec_b64 s[40:41], s[6:7]
; %bb.95:                               ;   in Loop: Header=BB295_13 Depth=1
	v_or_b32_e32 v54, 0x10000, v55
	v_cmp_eq_u32_sdwa s[6:7], v55, v15 src0_sel:WORD_0 src1_sel:DWORD
	s_nop 1
	v_cndmask_b32_e64 v54, v54, v55, s[6:7]
; %bb.96:                               ;   in Loop: Header=BB295_13 Depth=1
	s_or_b64 exec, exec, s[40:41]
	global_load_ubyte v55, v[20:21], off offset:1280
	s_waitcnt vmcnt(0)
	v_cvt_f32_fp8_sdwa v55, v55 src0_sel:BYTE_0
	s_nop 0
	v_mul_f32_e32 v56, s50, v55
	v_and_b32_e32 v55, 0x7f800000, v56
	v_cmp_ne_u32_e64 s[6:7], s48, v55
                                        ; implicit-def: $vgpr55
	s_and_saveexec_b64 s[40:41], s[6:7]
	s_xor_b64 s[6:7], exec, s[40:41]
; %bb.97:                               ;   in Loop: Header=BB295_13 Depth=1
	v_bfe_u32 v55, v56, 16, 1
	v_add3_u32 v55, v56, v55, s49
                                        ; implicit-def: $vgpr56
; %bb.98:                               ;   in Loop: Header=BB295_13 Depth=1
	s_andn2_saveexec_b64 s[40:41], s[6:7]
; %bb.99:                               ;   in Loop: Header=BB295_13 Depth=1
	v_or_b32_e32 v55, 0x10000, v56
	v_cmp_eq_u32_sdwa s[6:7], v56, v15 src0_sel:WORD_0 src1_sel:DWORD
	s_nop 1
	v_cndmask_b32_e64 v55, v55, v56, s[6:7]
; %bb.100:                              ;   in Loop: Header=BB295_13 Depth=1
	s_or_b64 exec, exec, s[40:41]
	global_load_ubyte v56, v[20:21], off offset:1288
	s_waitcnt vmcnt(0)
	v_cvt_f32_fp8_sdwa v56, v56 src0_sel:BYTE_0
	s_nop 0
	v_mul_f32_e32 v57, s50, v56
	v_and_b32_e32 v56, 0x7f800000, v57
	v_cmp_ne_u32_e64 s[6:7], s48, v56
                                        ; implicit-def: $vgpr56
	s_and_saveexec_b64 s[40:41], s[6:7]
	s_xor_b64 s[6:7], exec, s[40:41]
; %bb.101:                              ;   in Loop: Header=BB295_13 Depth=1
	v_bfe_u32 v56, v57, 16, 1
	v_add3_u32 v56, v57, v56, s49
                                        ; implicit-def: $vgpr57
; %bb.102:                              ;   in Loop: Header=BB295_13 Depth=1
	s_andn2_saveexec_b64 s[40:41], s[6:7]
; %bb.103:                              ;   in Loop: Header=BB295_13 Depth=1
	v_or_b32_e32 v56, 0x10000, v57
	v_cmp_eq_u32_sdwa s[6:7], v57, v15 src0_sel:WORD_0 src1_sel:DWORD
	s_nop 1
	v_cndmask_b32_e64 v56, v56, v57, s[6:7]
; %bb.104:                              ;   in Loop: Header=BB295_13 Depth=1
	s_or_b64 exec, exec, s[40:41]
	global_load_ubyte v57, v[20:21], off offset:1408
	s_waitcnt vmcnt(0)
	v_cvt_f32_fp8_sdwa v57, v57 src0_sel:BYTE_0
	s_nop 0
	v_mul_f32_e32 v58, s50, v57
	v_and_b32_e32 v57, 0x7f800000, v58
	v_cmp_ne_u32_e64 s[6:7], s48, v57
                                        ; implicit-def: $vgpr57
	s_and_saveexec_b64 s[40:41], s[6:7]
	s_xor_b64 s[6:7], exec, s[40:41]
; %bb.105:                              ;   in Loop: Header=BB295_13 Depth=1
	v_bfe_u32 v57, v58, 16, 1
	v_add3_u32 v57, v58, v57, s49
                                        ; implicit-def: $vgpr58
; %bb.106:                              ;   in Loop: Header=BB295_13 Depth=1
	s_andn2_saveexec_b64 s[40:41], s[6:7]
; %bb.107:                              ;   in Loop: Header=BB295_13 Depth=1
	v_or_b32_e32 v57, 0x10000, v58
	v_cmp_eq_u32_sdwa s[6:7], v58, v15 src0_sel:WORD_0 src1_sel:DWORD
	s_nop 1
	v_cndmask_b32_e64 v57, v57, v58, s[6:7]
; %bb.108:                              ;   in Loop: Header=BB295_13 Depth=1
	s_or_b64 exec, exec, s[40:41]
	global_load_ubyte v20, v[20:21], off offset:1416
	s_waitcnt vmcnt(0)
	v_cvt_f32_fp8_sdwa v20, v20 src0_sel:BYTE_0
	s_nop 0
	v_mul_f32_e32 v21, s50, v20
	v_and_b32_e32 v20, 0x7f800000, v21
	v_cmp_ne_u32_e64 s[6:7], s48, v20
                                        ; implicit-def: $vgpr20
	s_and_saveexec_b64 s[40:41], s[6:7]
	s_xor_b64 s[6:7], exec, s[40:41]
; %bb.109:                              ;   in Loop: Header=BB295_13 Depth=1
	v_bfe_u32 v20, v21, 16, 1
	v_add3_u32 v20, v21, v20, s49
                                        ; implicit-def: $vgpr21
; %bb.110:                              ;   in Loop: Header=BB295_13 Depth=1
	s_andn2_saveexec_b64 s[40:41], s[6:7]
; %bb.111:                              ;   in Loop: Header=BB295_13 Depth=1
	v_or_b32_e32 v20, 0x10000, v21
	v_cmp_eq_u32_sdwa s[6:7], v21, v15 src0_sel:WORD_0 src1_sel:DWORD
	s_nop 1
	v_cndmask_b32_e64 v20, v20, v21, s[6:7]
; %bb.112:                              ;   in Loop: Header=BB295_13 Depth=1
	s_or_b64 exec, exec, s[40:41]
	v_and_b32_e32 v21, 0xffff0000, v57
	v_and_b32_e32 v36, 0xffff0000, v36
	v_lshlrev_b32_e32 v57, 16, v10
	v_and_b32_e32 v10, 0xffff0000, v10
	v_and_b32_e32 v35, 0xffff0000, v35
	v_mul_f32_e32 v10, v10, v36
	v_and_b32_e32 v37, 0xffff0000, v37
	v_lshlrev_b32_e32 v58, 16, v11
	v_fmac_f32_e32 v10, v57, v35
	v_and_b32_e32 v38, 0xffff0000, v38
	v_and_b32_e32 v11, 0xffff0000, v11
	v_fmac_f32_e32 v10, v58, v37
	v_and_b32_e32 v39, 0xffff0000, v39
	v_lshlrev_b32_e32 v59, 16, v12
	v_fmac_f32_e32 v10, v11, v38
	v_and_b32_e32 v40, 0xffff0000, v40
	v_and_b32_e32 v12, 0xffff0000, v12
	v_fmac_f32_e32 v10, v59, v39
	;; [unrolled: 6-line block ×9, first 2 shown]
	v_and_b32_e32 v55, 0xffff0000, v55
	v_lshlrev_b32_e32 v67, 16, v4
	v_and_b32_e32 v69, 64, v33
	v_fmac_f32_e32 v10, v3, v54
	v_and_b32_e32 v56, 0xffff0000, v56
	v_and_b32_e32 v4, 0xffff0000, v4
	v_add_u32_e32 v69, 64, v69
	v_xor_b32_e32 v70, 4, v33
	v_fmac_f32_e32 v10, v67, v55
	v_lshlrev_b32_e32 v68, 16, v5
	v_cmp_lt_i32_e64 s[6:7], v70, v69
	v_fmac_f32_e32 v10, v4, v56
	v_and_b32_e32 v5, 0xffff0000, v5
	v_cndmask_b32_e64 v70, v33, v70, s[6:7]
	v_and_b32_e32 v20, 0xffff0000, v20
	v_fmac_f32_e32 v10, v68, v21
	v_lshlrev_b32_e32 v70, 2, v70
	v_fmac_f32_e32 v10, v5, v20
	ds_bpermute_b32 v2, v70, v10
	v_xor_b32_e32 v3, 2, v33
	v_cmp_lt_i32_e64 s[6:7], v3, v69
	v_xor_b32_e32 v4, 1, v33
	s_waitcnt lgkmcnt(0)
	v_add_f32_e32 v2, v10, v2
	v_cndmask_b32_e64 v3, v33, v3, s[6:7]
	v_lshlrev_b32_e32 v3, 2, v3
	ds_bpermute_b32 v3, v3, v2
	v_cmp_lt_i32_e64 s[6:7], v4, v69
	s_waitcnt lgkmcnt(0)
	v_add_f32_e32 v2, v2, v3
	v_cndmask_b32_e64 v4, v33, v4, s[6:7]
	v_lshlrev_b32_e32 v4, 2, v4
	ds_bpermute_b32 v3, v4, v2
	s_and_saveexec_b64 s[40:41], vcc
	s_cbranch_execz .LBB295_11
; %bb.113:                              ;   in Loop: Header=BB295_13 Depth=1
	v_add_u32_e32 v4, v31, v29
	v_cvt_f32_i32_e32 v4, v4
	s_waitcnt lgkmcnt(0)
	v_add_f32_e32 v2, v2, v3
	v_add_u32_e32 v5, v25, v29
	v_cmp_gt_i32_e64 s[6:7], s33, v5
	v_mul_f32_e32 v3, s44, v4
	v_cndmask_b32_e64 v3, 0, v3, s[2:3]
	v_fmac_f32_e32 v3, s37, v2
	v_cndmask_b32_e64 v2, 0, v3, s[6:7]
	ds_write_b32 v30, v2
	v_max_f32_e32 v2, v27, v27
	v_max_f32_e32 v2, v2, v3
	v_cndmask_b32_e64 v27, v27, v2, s[6:7]
	s_branch .LBB295_11
.LBB295_114:
	s_or_b64 exec, exec, s[38:39]
.LBB295_115:
	s_or_b64 exec, exec, s[18:19]
	v_mbcnt_hi_u32_b32 v2, -1, v24
	s_waitcnt lgkmcnt(0)
	v_and_b32_e32 v3, 64, v2
	v_add_u32_e32 v3, 64, v3
	v_xor_b32_e32 v4, 32, v2
	v_cmp_lt_i32_e32 vcc, v4, v3
	v_xor_b32_e32 v7, 16, v2
	v_max_f32_e32 v6, v27, v27
	v_cndmask_b32_e32 v4, v2, v4, vcc
	v_lshlrev_b32_e32 v5, 2, v4
	ds_bpermute_b32 v4, v5, v27
	v_cmp_lt_i32_e32 vcc, v7, v3
	v_xor_b32_e32 v8, 8, v2
	v_and_b32_e32 v18, 63, v0
	s_waitcnt lgkmcnt(0)
	v_max_f32_e32 v4, v4, v4
	v_max_f32_e32 v4, v6, v4
	v_cndmask_b32_e32 v6, v2, v7, vcc
	v_lshlrev_b32_e32 v7, 2, v6
	ds_bpermute_b32 v6, v7, v4
	v_cmp_lt_i32_e32 vcc, v8, v3
	s_waitcnt lgkmcnt(0)
	v_max_f32_e32 v6, v6, v6
	v_max_f32_e32 v6, v4, v6
	v_cndmask_b32_e32 v4, v2, v8, vcc
	v_lshlrev_b32_e32 v9, 2, v4
	ds_bpermute_b32 v8, v9, v6
	v_cmp_eq_u32_e32 vcc, 0, v18
	v_lshlrev_b32_e32 v4, 2, v1
	s_and_saveexec_b64 s[2:3], vcc
	s_cbranch_execz .LBB295_117
; %bb.116:
	s_waitcnt lgkmcnt(0)
	v_max_f32_e32 v8, v8, v8
	v_max_f32_e32 v6, v6, v6
	;; [unrolled: 1-line block ×3, first 2 shown]
	ds_write_b32 v4, v6 offset:384
.LBB295_117:
	s_or_b64 exec, exec, s[2:3]
	v_cmp_gt_u32_e64 s[2:3], 2, v18
	v_mov_b32_e32 v10, 0xff7fffff
	v_lshlrev_b32_e32 v6, 2, v18
	s_waitcnt lgkmcnt(0)
	s_barrier
	s_and_saveexec_b64 s[6:7], s[2:3]
	s_cbranch_execz .LBB295_119
; %bb.118:
	ds_read_b32 v10, v6 offset:384
.LBB295_119:
	s_or_b64 exec, exec, s[6:7]
	v_xor_b32_e32 v8, 1, v2
	v_cmp_lt_i32_e64 s[6:7], v8, v3
	v_lshlrev_b32_e32 v12, 2, v2
	s_nop 0
	v_cndmask_b32_e64 v8, v2, v8, s[6:7]
	v_lshlrev_b32_e32 v8, 2, v8
	s_waitcnt lgkmcnt(0)
	ds_bpermute_b32 v11, v8, v10
	v_max_f32_e32 v10, v10, v10
	s_lshl_b32 s6, s20, 3
	s_min_i32 s37, s6, s33
	v_cmp_gt_i32_e64 s[6:7], s37, v0
	s_waitcnt lgkmcnt(0)
	v_max_f32_e32 v11, v11, v11
	v_max_f32_e32 v11, v10, v11
	v_and_b32_e32 v10, 0x100, v12
	ds_bpermute_b32 v12, v10, v11
	v_mov_b32_e32 v11, 0
	s_and_saveexec_b64 s[12:13], s[6:7]
	s_cbranch_execz .LBB295_123
; %bb.120:
	v_mov_b32_e32 v11, 0x190
	v_lshl_add_u32 v13, v0, 2, v11
	s_mov_b64 s[18:19], 0
	v_mov_b32_e32 v11, 0
	v_mov_b32_e32 v14, v0
.LBB295_121:                            ; =>This Inner Loop Header: Depth=1
	ds_read_b32 v15, v13
	v_add_u32_e32 v14, 0x80, v14
	v_cmp_le_i32_e64 s[8:9], s37, v14
	s_or_b64 s[18:19], s[8:9], s[18:19]
	s_waitcnt lgkmcnt(0)
	v_sub_f32_e32 v15, v15, v12
	v_mul_f32_e32 v15, 0x3fb8aa3b, v15
	v_exp_f32_e32 v15, v15
	ds_write_b32 v13, v15
	v_add_f32_e32 v11, v11, v15
	v_add_u32_e32 v13, 0x200, v13
	s_andn2_b64 exec, exec, s[18:19]
	s_cbranch_execnz .LBB295_121
; %bb.122:
	s_or_b64 exec, exec, s[18:19]
.LBB295_123:
	s_or_b64 exec, exec, s[12:13]
	ds_bpermute_b32 v5, v5, v11
	s_waitcnt lgkmcnt(0)
	v_add_f32_e32 v5, v11, v5
	ds_bpermute_b32 v7, v7, v5
	s_waitcnt lgkmcnt(0)
	v_add_f32_e32 v5, v5, v7
	ds_bpermute_b32 v7, v9, v5
	v_xor_b32_e32 v9, 4, v2
	v_cmp_lt_i32_e64 s[8:9], v9, v3
	s_waitcnt lgkmcnt(0)
	v_add_f32_e32 v5, v5, v7
	v_cndmask_b32_e64 v9, v2, v9, s[8:9]
	v_lshlrev_b32_e32 v9, 2, v9
	ds_bpermute_b32 v7, v9, v5
	v_xor_b32_e32 v9, 2, v2
	v_cmp_lt_i32_e64 s[8:9], v9, v3
	s_waitcnt lgkmcnt(0)
	v_add_f32_e32 v3, v5, v7
	v_cndmask_b32_e64 v2, v2, v9, s[8:9]
	v_lshlrev_b32_e32 v2, 2, v2
	ds_bpermute_b32 v2, v2, v3
	s_waitcnt lgkmcnt(0)
	v_add_f32_e32 v2, v3, v2
	ds_bpermute_b32 v3, v8, v2
	s_waitcnt lgkmcnt(0)
	v_add_f32_e32 v2, v2, v3
	s_and_saveexec_b64 s[8:9], vcc
	s_cbranch_execz .LBB295_125
; %bb.124:
	ds_write_b32 v4, v2 offset:392
.LBB295_125:
	s_or_b64 exec, exec, s[8:9]
	s_waitcnt lgkmcnt(0)
	s_barrier
	s_and_saveexec_b64 s[8:9], s[2:3]
	s_cbranch_execz .LBB295_127
; %bb.126:
	ds_read_b32 v2, v6 offset:392
.LBB295_127:
	s_or_b64 exec, exec, s[8:9]
	s_waitcnt lgkmcnt(0)
	ds_bpermute_b32 v3, v8, v2
	s_waitcnt lgkmcnt(0)
	v_add_f32_e32 v2, v2, v3
	ds_bpermute_b32 v2, v10, v2
	s_and_saveexec_b64 s[2:3], s[6:7]
	s_cbranch_execz .LBB295_140
; %bb.128:
	s_waitcnt lgkmcnt(0)
	v_add_f32_e32 v2, 0x358637bd, v2
	v_div_scale_f32 v3, s[6:7], v2, v2, 1.0
	v_rcp_f32_e32 v4, v3
	v_div_scale_f32 v5, vcc, 1.0, v2, 1.0
	s_movk_i32 s6, 0x7f
	v_fma_f32 v6, -v3, v4, 1.0
	v_fmac_f32_e32 v4, v6, v4
	v_mul_f32_e32 v6, v5, v4
	v_fma_f32 v7, -v3, v6, v5
	v_fmac_f32_e32 v6, v7, v4
	v_fma_f32 v3, -v3, v6, v5
	v_div_fmas_f32 v3, v3, v4, v6
	v_xad_u32 v4, v0, -1, s37
	v_div_fixup_f32 v2, v3, v2, 1.0
	v_cmp_lt_u32_e32 vcc, s6, v4
	s_mov_b64 s[8:9], -1
	v_mov_b32_e32 v3, v0
	s_and_saveexec_b64 s[6:7], vcc
	s_cbranch_execz .LBB295_137
; %bb.129:
	v_lshrrev_b32_e32 v4, 7, v4
	v_add_u32_e32 v6, -1, v4
	v_lshrrev_b32_e32 v5, 1, v6
	v_mov_b32_e32 v3, v2
	v_add_u32_e32 v5, 1, v5
	v_cmp_lt_u32_e32 vcc, 13, v6
	v_mov_b32_e32 v8, 0
	s_and_saveexec_b64 s[8:9], vcc
	s_cbranch_execz .LBB295_133
; %bb.130:
	v_mov_b32_e32 v7, 0x190
	v_and_b32_e32 v6, -8, v5
	v_lshl_add_u32 v7, v0, 2, v7
	s_mov_b32 s18, 0
	s_mov_b64 s[12:13], 0
.LBB295_131:                            ; =>This Inner Loop Header: Depth=1
	ds_read2st64_b32 v[8:9], v7 offset1:2
	ds_read2st64_b32 v[10:11], v7 offset0:4 offset1:6
	ds_read2st64_b32 v[12:13], v7 offset0:8 offset1:10
	;; [unrolled: 1-line block ×3, first 2 shown]
	v_add_u32_e32 v6, -8, v6
	s_waitcnt lgkmcnt(3)
	v_pk_mul_f32 v[8:9], v[2:3], v[8:9]
	s_waitcnt lgkmcnt(2)
	v_pk_mul_f32 v[10:11], v[2:3], v[10:11]
	ds_write2st64_b32 v7, v8, v9 offset1:2
	ds_write2st64_b32 v7, v10, v11 offset0:4 offset1:6
	ds_read2st64_b32 v[10:11], v7 offset0:16 offset1:18
	s_waitcnt lgkmcnt(4)
	v_pk_mul_f32 v[8:9], v[2:3], v[12:13]
	ds_write2st64_b32 v7, v8, v9 offset0:8 offset1:10
	s_waitcnt lgkmcnt(4)
	v_pk_mul_f32 v[8:9], v[2:3], v[14:15]
	ds_write2st64_b32 v7, v8, v9 offset0:12 offset1:14
	ds_read2st64_b32 v[8:9], v7 offset0:20 offset1:22
	s_waitcnt lgkmcnt(3)
	v_pk_mul_f32 v[10:11], v[2:3], v[10:11]
	ds_read2st64_b32 v[12:13], v7 offset0:24 offset1:26
	ds_write2st64_b32 v7, v10, v11 offset0:16 offset1:18
	ds_read2st64_b32 v[10:11], v7 offset0:28 offset1:30
	s_waitcnt lgkmcnt(3)
	v_pk_mul_f32 v[8:9], v[2:3], v[8:9]
	ds_write2st64_b32 v7, v8, v9 offset0:20 offset1:22
	s_waitcnt lgkmcnt(3)
	v_pk_mul_f32 v[8:9], v[2:3], v[12:13]
	ds_write2st64_b32 v7, v8, v9 offset0:24 offset1:26
	s_waitcnt lgkmcnt(2)
	v_pk_mul_f32 v[8:9], v[2:3], v[10:11]
	s_add_i32 s18, s18, 16
	v_cmp_eq_u32_e32 vcc, 0, v6
	ds_write2st64_b32 v7, v8, v9 offset0:28 offset1:30
	v_add_u32_e32 v7, 0x2000, v7
	s_or_b64 s[12:13], vcc, s[12:13]
	v_mov_b32_e32 v8, s18
	s_andn2_b64 exec, exec, s[12:13]
	s_cbranch_execnz .LBB295_131
; %bb.132:
	s_or_b64 exec, exec, s[12:13]
.LBB295_133:
	s_or_b64 exec, exec, s[8:9]
	v_and_b32_e32 v5, 7, v5
	v_cmp_ne_u32_e32 vcc, 0, v5
	s_and_saveexec_b64 s[8:9], vcc
	s_cbranch_execz .LBB295_136
; %bb.134:
	v_lshlrev_b32_e32 v6, 9, v8
	v_lshlrev_b32_e32 v7, 2, v0
	s_movk_i32 s12, 0x190
	v_add3_u32 v6, v6, v7, s12
	s_mov_b64 s[12:13], 0
.LBB295_135:                            ; =>This Inner Loop Header: Depth=1
	ds_read2st64_b32 v[8:9], v6 offset1:2
	v_add_u32_e32 v5, -1, v5
	v_cmp_eq_u32_e32 vcc, 0, v5
	s_or_b64 s[12:13], vcc, s[12:13]
	s_waitcnt lgkmcnt(0)
	v_pk_mul_f32 v[8:9], v[2:3], v[8:9]
	ds_write2st64_b32 v6, v8, v9 offset1:2
	v_add_u32_e32 v6, 0x400, v6
	s_andn2_b64 exec, exec, s[12:13]
	s_cbranch_execnz .LBB295_135
.LBB295_136:
	s_or_b64 exec, exec, s[8:9]
	v_add_u32_e32 v4, 1, v4
	v_and_b32_e32 v5, 0x3fffffe, v4
	v_cmp_ne_u32_e32 vcc, v4, v5
	v_lshl_add_u32 v3, v5, 7, v0
	s_orn2_b64 s[8:9], vcc, exec
.LBB295_137:
	s_or_b64 exec, exec, s[6:7]
	s_and_b64 exec, exec, s[8:9]
	s_cbranch_execz .LBB295_140
; %bb.138:
	v_mov_b32_e32 v4, 0x190
	v_lshl_add_u32 v4, v3, 2, v4
	s_mov_b64 s[6:7], 0
.LBB295_139:                            ; =>This Inner Loop Header: Depth=1
	ds_read_b32 v5, v4
	v_add_u32_e32 v3, 0x80, v3
	v_cmp_le_i32_e32 vcc, s37, v3
	s_or_b64 s[6:7], vcc, s[6:7]
	s_waitcnt lgkmcnt(0)
	v_mul_f32_e32 v5, v2, v5
	ds_write_b32 v4, v5
	v_add_u32_e32 v4, 0x200, v4
	s_andn2_b64 exec, exec, s[6:7]
	s_cbranch_execnz .LBB295_139
.LBB295_140:
	s_or_b64 exec, exec, s[2:3]
	v_mov_b32_e32 v10, 0
	v_mov_b32_e32 v13, v10
	;; [unrolled: 1-line block ×3, first 2 shown]
	s_waitcnt lgkmcnt(0)
	s_barrier
	s_and_saveexec_b64 s[2:3], s[0:1]
	s_cbranch_execz .LBB295_376
; %bb.141:
	s_sub_i32 s12, s42, s21
	s_ashr_i32 s1, s43, 31
	s_add_u32 s0, s10, s43
	s_addc_u32 s1, s11, s1
	s_abs_i32 s13, s22
	v_cvt_f32_u32_e32 v2, s13
	v_lshlrev_b32_e32 v10, 3, v18
	v_mov_b32_e32 v11, 0
	s_sub_i32 s6, 0, s13
	v_rcp_iflag_f32_e32 v2, v2
	s_add_i32 s18, s20, -1
	v_lshl_add_u64 v[14:15], s[0:1], 0, v[10:11]
	s_lshl_b64 s[0:1], s[34:35], 2
	v_mul_f32_e32 v2, 0x4f7ffffe, v2
	v_cvt_u32_f32_e32 v2, v2
	s_add_u32 s0, s30, s0
	v_and_b32_e32 v10, 60, v23
	s_addc_u32 s1, s31, s1
	v_mul_lo_u32 v3, s6, v2
	v_mul_hi_u32 v3, v2, v3
	v_add_u32_e32 v19, v2, v3
	v_mov_b32_e32 v2, 0x190
	v_lshl_add_u64 v[16:17], s[0:1], 0, v[10:11]
	v_lshl_add_u32 v20, v1, 5, v2
	s_mov_b64 s[6:7], 0
	s_mov_b32 s19, 0x7f800000
	s_movk_i32 s21, 0x7fff
	v_mov_b32_e32 v12, 0
	v_mov_b32_e32 v13, 0
	;; [unrolled: 1-line block ×3, first 2 shown]
	s_branch .LBB295_144
.LBB295_142:                            ;   in Loop: Header=BB295_144 Depth=1
	s_or_b64 exec, exec, s[0:1]
	v_and_b32_e32 v37, 0xffff0000, v42
	v_and_b32_e32 v36, 0xffff0000, v5
	v_and_b32_e32 v5, 0xffff0000, v41
	v_and_b32_e32 v4, 0xffff0000, v4
	v_and_b32_e32 v33, 0xffff0000, v46
	v_and_b32_e32 v32, 0xffff0000, v44
	v_and_b32_e32 v35, 0xffff0000, v45
	v_and_b32_e32 v34, 0xffff0000, v43
	v_pk_add_f32 v[4:5], v[4:5], v[36:37]
	v_pk_add_f32 v[32:33], v[34:35], v[32:33]
	v_add_f32_e32 v4, v4, v5
	v_add_f32_e32 v4, v4, v32
	;; [unrolled: 1-line block ×3, first 2 shown]
	v_and_b32_e32 v33, 0xffff0000, v9
	v_and_b32_e32 v32, 0xffff0000, v7
	;; [unrolled: 1-line block ×4, first 2 shown]
	v_add_f32_e32 v13, v13, v4
	v_and_b32_e32 v5, 0xffff0000, v25
	v_and_b32_e32 v4, 0xffff0000, v23
	;; [unrolled: 1-line block ×4, first 2 shown]
	v_pk_add_f32 v[6:7], v[6:7], v[32:33]
	v_pk_add_f32 v[4:5], v[24:25], v[4:5]
	v_add_f32_e32 v6, v6, v7
	v_add_f32_e32 v4, v6, v4
	;; [unrolled: 1-line block ×3, first 2 shown]
	v_and_b32_e32 v5, 0xffff0000, v3
	v_and_b32_e32 v9, 0xffff0000, v28
	;; [unrolled: 1-line block ×5, first 2 shown]
	v_add_f32_e32 v12, v12, v4
	v_and_b32_e32 v4, 0xffff0000, v30
	v_and_b32_e32 v7, 0xffff0000, v31
	v_and_b32_e32 v6, 0xffff0000, v29
	v_pk_add_f32 v[2:3], v[2:3], v[8:9]
	v_pk_add_f32 v[4:5], v[6:7], v[4:5]
	v_add_f32_e32 v2, v2, v3
	v_add_f32_e32 v2, v2, v4
	;; [unrolled: 1-line block ×4, first 2 shown]
.LBB295_143:                            ;   in Loop: Header=BB295_144 Depth=1
	s_or_b64 exec, exec, s[8:9]
	v_add_u32_e32 v1, 2, v1
	v_cmp_le_i32_e32 vcc, s20, v1
	v_lshl_add_u64 v[16:17], v[16:17], 0, 8
	v_add_u32_e32 v22, 16, v22
	s_or_b64 s[6:7], vcc, s[6:7]
	v_add_u32_e32 v20, 64, v20
	s_andn2_b64 exec, exec, s[6:7]
	s_cbranch_execz .LBB295_375
.LBB295_144:                            ; =>This Inner Loop Header: Depth=1
	v_mul_hi_u32 v2, v22, s29
	v_mul_lo_u32 v3, v2, s16
	v_sub_u32_e32 v3, v22, v3
	v_add_u32_e32 v4, 1, v2
	v_cmp_le_u32_e32 vcc, s16, v3
	s_nop 1
	v_cndmask_b32_e32 v2, v2, v4, vcc
	v_subrev_u32_e32 v4, s16, v3
	v_cndmask_b32_e32 v3, v3, v4, vcc
	v_add_u32_e32 v4, 1, v2
	v_cmp_le_u32_e32 vcc, s16, v3
	s_nop 1
	v_cndmask_b32_e32 v2, v2, v4, vcc
	v_xor_b32_e32 v2, s23, v2
	v_subrev_u32_e32 v2, s23, v2
	v_add_u32_e32 v3, s36, v2
	v_sub_u32_e32 v5, 0, v3
	v_ashrrev_i32_e32 v4, 31, v3
	v_max_i32_e32 v3, v3, v5
	v_mul_hi_u32 v5, v3, v19
	v_mul_lo_u32 v5, v5, s13
	v_sub_u32_e32 v3, v3, v5
	v_subrev_u32_e32 v5, s13, v3
	v_cmp_le_u32_e32 vcc, s13, v3
	v_cmp_lt_i32_e64 s[0:1], s12, v2
	s_nop 0
	v_cndmask_b32_e32 v3, v3, v5, vcc
	v_subrev_u32_e32 v5, s13, v3
	v_cmp_le_u32_e32 vcc, s13, v3
	s_nop 1
	v_cndmask_b32_e32 v3, v3, v5, vcc
	v_xor_b32_e32 v3, v3, v4
	v_sub_u32_e32 v3, v3, v4
	v_cmp_eq_u32_e32 vcc, 0, v3
	s_or_b64 s[0:1], vcc, s[0:1]
	s_and_saveexec_b64 s[8:9], s[0:1]
	s_cbranch_execz .LBB295_143
; %bb.145:                              ;   in Loop: Header=BB295_144 Depth=1
	global_load_dword v26, v[16:17], off
	ds_read2_b64 v[6:9], v20 offset1:1
	ds_read2_b64 v[2:5], v20 offset0:2 offset1:3
                                        ; implicit-def: $vgpr33
	s_waitcnt lgkmcnt(1)
	v_and_b32_e32 v21, 0x7f800000, v6
	v_cmp_ne_u32_e32 vcc, s19, v21
	s_and_saveexec_b64 s[0:1], vcc
	s_xor_b64 s[0:1], exec, s[0:1]
; %bb.146:                              ;   in Loop: Header=BB295_144 Depth=1
	v_bfe_u32 v21, v6, 16, 1
	v_add3_u32 v33, v6, v21, s21
; %bb.147:                              ;   in Loop: Header=BB295_144 Depth=1
	s_andn2_saveexec_b64 s[0:1], s[0:1]
; %bb.148:                              ;   in Loop: Header=BB295_144 Depth=1
	v_or_b32_e32 v21, 0x10000, v6
	v_cmp_eq_u32_sdwa vcc, v6, v11 src0_sel:WORD_0 src1_sel:DWORD
	s_nop 1
	v_cndmask_b32_e32 v33, v21, v6, vcc
; %bb.149:                              ;   in Loop: Header=BB295_144 Depth=1
	s_or_b64 exec, exec, s[0:1]
	v_and_b32_e32 v6, 0x7f800000, v7
	v_cmp_ne_u32_e32 vcc, s19, v6
                                        ; implicit-def: $vgpr34
	s_and_saveexec_b64 s[0:1], vcc
	s_xor_b64 s[0:1], exec, s[0:1]
; %bb.150:                              ;   in Loop: Header=BB295_144 Depth=1
	v_bfe_u32 v6, v7, 16, 1
	v_add3_u32 v34, v7, v6, s21
; %bb.151:                              ;   in Loop: Header=BB295_144 Depth=1
	s_andn2_saveexec_b64 s[0:1], s[0:1]
; %bb.152:                              ;   in Loop: Header=BB295_144 Depth=1
	v_or_b32_e32 v6, 0x10000, v7
	v_cmp_eq_u32_sdwa vcc, v7, v11 src0_sel:WORD_0 src1_sel:DWORD
	s_nop 1
	v_cndmask_b32_e32 v34, v6, v7, vcc
; %bb.153:                              ;   in Loop: Header=BB295_144 Depth=1
	s_or_b64 exec, exec, s[0:1]
	v_and_b32_e32 v6, 0x7f800000, v8
	v_cmp_ne_u32_e32 vcc, s19, v6
                                        ; implicit-def: $vgpr35
	s_and_saveexec_b64 s[0:1], vcc
	s_xor_b64 s[0:1], exec, s[0:1]
; %bb.154:                              ;   in Loop: Header=BB295_144 Depth=1
	v_bfe_u32 v6, v8, 16, 1
	v_add3_u32 v35, v8, v6, s21
; %bb.155:                              ;   in Loop: Header=BB295_144 Depth=1
	s_andn2_saveexec_b64 s[0:1], s[0:1]
; %bb.156:                              ;   in Loop: Header=BB295_144 Depth=1
	v_or_b32_e32 v6, 0x10000, v8
	v_cmp_eq_u32_sdwa vcc, v8, v11 src0_sel:WORD_0 src1_sel:DWORD
	s_nop 1
	v_cndmask_b32_e32 v35, v6, v8, vcc
; %bb.157:                              ;   in Loop: Header=BB295_144 Depth=1
	s_or_b64 exec, exec, s[0:1]
	v_and_b32_e32 v6, 0x7f800000, v9
	v_cmp_ne_u32_e32 vcc, s19, v6
                                        ; implicit-def: $vgpr36
	s_and_saveexec_b64 s[0:1], vcc
	s_xor_b64 s[0:1], exec, s[0:1]
; %bb.158:                              ;   in Loop: Header=BB295_144 Depth=1
	v_bfe_u32 v6, v9, 16, 1
	v_add3_u32 v36, v9, v6, s21
                                        ; implicit-def: $vgpr6_vgpr7_vgpr8_vgpr9
; %bb.159:                              ;   in Loop: Header=BB295_144 Depth=1
	s_andn2_saveexec_b64 s[0:1], s[0:1]
; %bb.160:                              ;   in Loop: Header=BB295_144 Depth=1
	v_or_b32_e32 v6, 0x10000, v9
	v_cmp_eq_u32_sdwa vcc, v9, v11 src0_sel:WORD_0 src1_sel:DWORD
	s_nop 1
	v_cndmask_b32_e32 v36, v6, v9, vcc
; %bb.161:                              ;   in Loop: Header=BB295_144 Depth=1
	s_or_b64 exec, exec, s[0:1]
	s_waitcnt lgkmcnt(0)
	v_and_b32_e32 v6, 0x7f800000, v2
	v_cmp_ne_u32_e32 vcc, s19, v6
                                        ; implicit-def: $vgpr21
	s_and_saveexec_b64 s[0:1], vcc
	s_xor_b64 s[0:1], exec, s[0:1]
; %bb.162:                              ;   in Loop: Header=BB295_144 Depth=1
	v_bfe_u32 v6, v2, 16, 1
	v_add3_u32 v21, v2, v6, s21
; %bb.163:                              ;   in Loop: Header=BB295_144 Depth=1
	s_andn2_saveexec_b64 s[0:1], s[0:1]
; %bb.164:                              ;   in Loop: Header=BB295_144 Depth=1
	v_or_b32_e32 v6, 0x10000, v2
	v_cmp_eq_u32_sdwa vcc, v2, v11 src0_sel:WORD_0 src1_sel:DWORD
	s_nop 1
	v_cndmask_b32_e32 v21, v6, v2, vcc
; %bb.165:                              ;   in Loop: Header=BB295_144 Depth=1
	s_or_b64 exec, exec, s[0:1]
	v_and_b32_e32 v2, 0x7f800000, v3
	v_cmp_ne_u32_e32 vcc, s19, v2
                                        ; implicit-def: $vgpr23
	s_and_saveexec_b64 s[0:1], vcc
	s_xor_b64 s[0:1], exec, s[0:1]
; %bb.166:                              ;   in Loop: Header=BB295_144 Depth=1
	v_bfe_u32 v2, v3, 16, 1
	v_add3_u32 v23, v3, v2, s21
; %bb.167:                              ;   in Loop: Header=BB295_144 Depth=1
	s_andn2_saveexec_b64 s[0:1], s[0:1]
; %bb.168:                              ;   in Loop: Header=BB295_144 Depth=1
	v_or_b32_e32 v2, 0x10000, v3
	v_cmp_eq_u32_sdwa vcc, v3, v11 src0_sel:WORD_0 src1_sel:DWORD
	s_nop 1
	v_cndmask_b32_e32 v23, v2, v3, vcc
; %bb.169:                              ;   in Loop: Header=BB295_144 Depth=1
	s_or_b64 exec, exec, s[0:1]
	v_and_b32_e32 v2, 0x7f800000, v4
	v_cmp_ne_u32_e32 vcc, s19, v2
                                        ; implicit-def: $vgpr24
	s_and_saveexec_b64 s[0:1], vcc
	s_xor_b64 s[0:1], exec, s[0:1]
; %bb.170:                              ;   in Loop: Header=BB295_144 Depth=1
	v_bfe_u32 v2, v4, 16, 1
	v_add3_u32 v24, v4, v2, s21
; %bb.171:                              ;   in Loop: Header=BB295_144 Depth=1
	s_andn2_saveexec_b64 s[0:1], s[0:1]
; %bb.172:                              ;   in Loop: Header=BB295_144 Depth=1
	v_or_b32_e32 v2, 0x10000, v4
	v_cmp_eq_u32_sdwa vcc, v4, v11 src0_sel:WORD_0 src1_sel:DWORD
	s_nop 1
	v_cndmask_b32_e32 v24, v2, v4, vcc
; %bb.173:                              ;   in Loop: Header=BB295_144 Depth=1
	s_or_b64 exec, exec, s[0:1]
	v_and_b32_e32 v2, 0x7f800000, v5
	v_cmp_ne_u32_e32 vcc, s19, v2
                                        ; implicit-def: $vgpr25
	s_and_saveexec_b64 s[0:1], vcc
	s_xor_b64 s[0:1], exec, s[0:1]
; %bb.174:                              ;   in Loop: Header=BB295_144 Depth=1
	v_bfe_u32 v2, v5, 16, 1
	v_add3_u32 v25, v5, v2, s21
                                        ; implicit-def: $vgpr2_vgpr3_vgpr4_vgpr5
; %bb.175:                              ;   in Loop: Header=BB295_144 Depth=1
	s_andn2_saveexec_b64 s[0:1], s[0:1]
; %bb.176:                              ;   in Loop: Header=BB295_144 Depth=1
	v_or_b32_e32 v2, 0x10000, v5
	v_cmp_eq_u32_sdwa vcc, v5, v11 src0_sel:WORD_0 src1_sel:DWORD
	s_nop 1
	v_cndmask_b32_e32 v25, v2, v5, vcc
; %bb.177:                              ;   in Loop: Header=BB295_144 Depth=1
	s_or_b64 exec, exec, s[0:1]
	s_waitcnt vmcnt(0)
	v_mad_i64_i32 v[2:3], s[0:1], v26, s17, v[14:15]
	global_load_dwordx2 v[4:5], v[2:3], off
	s_load_dword s22, s[14:15], 0x0
	s_waitcnt vmcnt(0)
	v_and_b32_e32 v6, 0xff, v4
	v_cvt_f32_fp8_sdwa v6, v6 src0_sel:BYTE_0
	s_waitcnt lgkmcnt(0)
	v_mul_f32_e32 v7, s22, v6
	v_and_b32_e32 v6, 0x7f800000, v7
	v_cmp_ne_u32_e32 vcc, s19, v6
                                        ; implicit-def: $vgpr6
	s_and_saveexec_b64 s[0:1], vcc
	s_xor_b64 s[0:1], exec, s[0:1]
; %bb.178:                              ;   in Loop: Header=BB295_144 Depth=1
	v_bfe_u32 v6, v7, 16, 1
	v_add3_u32 v6, v7, v6, s21
                                        ; implicit-def: $vgpr7
; %bb.179:                              ;   in Loop: Header=BB295_144 Depth=1
	s_andn2_saveexec_b64 s[0:1], s[0:1]
; %bb.180:                              ;   in Loop: Header=BB295_144 Depth=1
	v_or_b32_e32 v6, 0x10000, v7
	v_cmp_eq_u32_sdwa vcc, v7, v11 src0_sel:WORD_0 src1_sel:DWORD
	s_nop 1
	v_cndmask_b32_e32 v6, v6, v7, vcc
; %bb.181:                              ;   in Loop: Header=BB295_144 Depth=1
	s_or_b64 exec, exec, s[0:1]
	v_bfe_u32 v7, v4, 8, 8
	v_cvt_f32_fp8_sdwa v7, v7 src0_sel:BYTE_0
	s_nop 0
	v_mul_f32_e32 v8, s22, v7
	v_and_b32_e32 v7, 0x7f800000, v8
	v_cmp_ne_u32_e32 vcc, s19, v7
                                        ; implicit-def: $vgpr7
	s_and_saveexec_b64 s[0:1], vcc
	s_xor_b64 s[0:1], exec, s[0:1]
; %bb.182:                              ;   in Loop: Header=BB295_144 Depth=1
	v_bfe_u32 v7, v8, 16, 1
	v_add3_u32 v7, v8, v7, s21
                                        ; implicit-def: $vgpr8
; %bb.183:                              ;   in Loop: Header=BB295_144 Depth=1
	s_andn2_saveexec_b64 s[0:1], s[0:1]
; %bb.184:                              ;   in Loop: Header=BB295_144 Depth=1
	v_or_b32_e32 v7, 0x10000, v8
	v_cmp_eq_u32_sdwa vcc, v8, v11 src0_sel:WORD_0 src1_sel:DWORD
	s_nop 1
	v_cndmask_b32_e32 v7, v7, v8, vcc
; %bb.185:                              ;   in Loop: Header=BB295_144 Depth=1
	s_or_b64 exec, exec, s[0:1]
	v_bfe_u32 v8, v4, 16, 8
	v_cvt_f32_fp8_sdwa v8, v8 src0_sel:BYTE_0
	s_nop 0
	v_mul_f32_e32 v9, s22, v8
	v_and_b32_e32 v8, 0x7f800000, v9
	v_cmp_ne_u32_e32 vcc, s19, v8
                                        ; implicit-def: $vgpr8
	s_and_saveexec_b64 s[0:1], vcc
	s_xor_b64 s[0:1], exec, s[0:1]
; %bb.186:                              ;   in Loop: Header=BB295_144 Depth=1
	v_bfe_u32 v8, v9, 16, 1
	v_add3_u32 v8, v9, v8, s21
                                        ; implicit-def: $vgpr9
; %bb.187:                              ;   in Loop: Header=BB295_144 Depth=1
	s_andn2_saveexec_b64 s[0:1], s[0:1]
; %bb.188:                              ;   in Loop: Header=BB295_144 Depth=1
	v_or_b32_e32 v8, 0x10000, v9
	v_cmp_eq_u32_sdwa vcc, v9, v11 src0_sel:WORD_0 src1_sel:DWORD
	s_nop 1
	v_cndmask_b32_e32 v8, v8, v9, vcc
; %bb.189:                              ;   in Loop: Header=BB295_144 Depth=1
	s_or_b64 exec, exec, s[0:1]
	v_lshrrev_b32_e32 v4, 24, v4
	v_cvt_f32_fp8_sdwa v4, v4 src0_sel:BYTE_0
	s_nop 0
	v_mul_f32_e32 v9, s22, v4
	v_and_b32_e32 v4, 0x7f800000, v9
	v_cmp_ne_u32_e32 vcc, s19, v4
                                        ; implicit-def: $vgpr4
	s_and_saveexec_b64 s[0:1], vcc
	s_xor_b64 s[0:1], exec, s[0:1]
; %bb.190:                              ;   in Loop: Header=BB295_144 Depth=1
	v_bfe_u32 v4, v9, 16, 1
	v_add3_u32 v4, v9, v4, s21
                                        ; implicit-def: $vgpr9
; %bb.191:                              ;   in Loop: Header=BB295_144 Depth=1
	s_andn2_saveexec_b64 s[0:1], s[0:1]
; %bb.192:                              ;   in Loop: Header=BB295_144 Depth=1
	v_or_b32_e32 v4, 0x10000, v9
	v_cmp_eq_u32_sdwa vcc, v9, v11 src0_sel:WORD_0 src1_sel:DWORD
	s_nop 1
	v_cndmask_b32_e32 v4, v4, v9, vcc
; %bb.193:                              ;   in Loop: Header=BB295_144 Depth=1
	s_or_b64 exec, exec, s[0:1]
	v_and_b32_e32 v9, 0xff, v5
	v_cvt_f32_fp8_sdwa v9, v9 src0_sel:BYTE_0
	s_nop 0
	v_mul_f32_e32 v26, s22, v9
	v_and_b32_e32 v9, 0x7f800000, v26
	v_cmp_ne_u32_e32 vcc, s19, v9
                                        ; implicit-def: $vgpr9
	s_and_saveexec_b64 s[0:1], vcc
	s_xor_b64 s[0:1], exec, s[0:1]
; %bb.194:                              ;   in Loop: Header=BB295_144 Depth=1
	v_bfe_u32 v9, v26, 16, 1
	v_add3_u32 v9, v26, v9, s21
                                        ; implicit-def: $vgpr26
; %bb.195:                              ;   in Loop: Header=BB295_144 Depth=1
	s_andn2_saveexec_b64 s[0:1], s[0:1]
; %bb.196:                              ;   in Loop: Header=BB295_144 Depth=1
	v_or_b32_e32 v9, 0x10000, v26
	v_cmp_eq_u32_sdwa vcc, v26, v11 src0_sel:WORD_0 src1_sel:DWORD
	s_nop 1
	v_cndmask_b32_e32 v9, v9, v26, vcc
; %bb.197:                              ;   in Loop: Header=BB295_144 Depth=1
	s_or_b64 exec, exec, s[0:1]
	v_bfe_u32 v26, v5, 8, 8
	v_cvt_f32_fp8_sdwa v26, v26 src0_sel:BYTE_0
	s_nop 0
	v_mul_f32_e32 v27, s22, v26
	v_and_b32_e32 v26, 0x7f800000, v27
	v_cmp_ne_u32_e32 vcc, s19, v26
                                        ; implicit-def: $vgpr26
	s_and_saveexec_b64 s[0:1], vcc
	s_xor_b64 s[0:1], exec, s[0:1]
; %bb.198:                              ;   in Loop: Header=BB295_144 Depth=1
	v_bfe_u32 v26, v27, 16, 1
	v_add3_u32 v26, v27, v26, s21
                                        ; implicit-def: $vgpr27
; %bb.199:                              ;   in Loop: Header=BB295_144 Depth=1
	s_andn2_saveexec_b64 s[0:1], s[0:1]
; %bb.200:                              ;   in Loop: Header=BB295_144 Depth=1
	v_or_b32_e32 v26, 0x10000, v27
	v_cmp_eq_u32_sdwa vcc, v27, v11 src0_sel:WORD_0 src1_sel:DWORD
	s_nop 1
	v_cndmask_b32_e32 v26, v26, v27, vcc
; %bb.201:                              ;   in Loop: Header=BB295_144 Depth=1
	s_or_b64 exec, exec, s[0:1]
	v_bfe_u32 v27, v5, 16, 8
	v_cvt_f32_fp8_sdwa v27, v27 src0_sel:BYTE_0
	s_nop 0
	v_mul_f32_e32 v28, s22, v27
	v_and_b32_e32 v27, 0x7f800000, v28
	v_cmp_ne_u32_e32 vcc, s19, v27
                                        ; implicit-def: $vgpr27
	s_and_saveexec_b64 s[0:1], vcc
	s_xor_b64 s[0:1], exec, s[0:1]
; %bb.202:                              ;   in Loop: Header=BB295_144 Depth=1
	v_bfe_u32 v27, v28, 16, 1
	v_add3_u32 v27, v28, v27, s21
                                        ; implicit-def: $vgpr28
; %bb.203:                              ;   in Loop: Header=BB295_144 Depth=1
	s_andn2_saveexec_b64 s[0:1], s[0:1]
; %bb.204:                              ;   in Loop: Header=BB295_144 Depth=1
	v_or_b32_e32 v27, 0x10000, v28
	v_cmp_eq_u32_sdwa vcc, v28, v11 src0_sel:WORD_0 src1_sel:DWORD
	s_nop 1
	v_cndmask_b32_e32 v27, v27, v28, vcc
; %bb.205:                              ;   in Loop: Header=BB295_144 Depth=1
	s_or_b64 exec, exec, s[0:1]
	v_lshrrev_b32_e32 v5, 24, v5
	v_cvt_f32_fp8_sdwa v5, v5 src0_sel:BYTE_0
	s_nop 0
	v_mul_f32_e32 v5, s22, v5
	v_and_b32_e32 v28, 0x7f800000, v5
	v_cmp_ne_u32_e32 vcc, s19, v28
                                        ; implicit-def: $vgpr28
	s_and_saveexec_b64 s[0:1], vcc
	s_xor_b64 s[0:1], exec, s[0:1]
; %bb.206:                              ;   in Loop: Header=BB295_144 Depth=1
	v_bfe_u32 v28, v5, 16, 1
	v_add3_u32 v28, v5, v28, s21
                                        ; implicit-def: $vgpr5
; %bb.207:                              ;   in Loop: Header=BB295_144 Depth=1
	s_andn2_saveexec_b64 s[0:1], s[0:1]
; %bb.208:                              ;   in Loop: Header=BB295_144 Depth=1
	v_or_b32_e32 v28, 0x10000, v5
	v_cmp_eq_u32_sdwa vcc, v5, v11 src0_sel:WORD_0 src1_sel:DWORD
	s_nop 1
	v_cndmask_b32_e32 v28, v28, v5, vcc
; %bb.209:                              ;   in Loop: Header=BB295_144 Depth=1
	s_or_b64 exec, exec, s[0:1]
	v_cmp_eq_u32_e32 vcc, s18, v1
	v_lshrrev_b32_e32 v39, 16, v26
	v_lshrrev_b32_e32 v38, 16, v9
	;; [unrolled: 1-line block ×8, first 2 shown]
	v_add_u32_e32 v32, 1, v22
	v_add_u32_e32 v31, 2, v22
	;; [unrolled: 1-line block ×7, first 2 shown]
	s_and_saveexec_b64 s[10:11], vcc
	s_cbranch_execz .LBB295_211
; %bb.210:                              ;   in Loop: Header=BB295_144 Depth=1
	v_cmp_gt_i32_e64 s[0:1], s33, v22
	s_nop 1
	v_cndmask_b32_e64 v6, 0, v6, s[0:1]
	v_cmp_gt_i32_e64 s[0:1], s33, v32
	s_nop 1
	v_cndmask_b32_e64 v7, 0, v7, s[0:1]
	;; [unrolled: 3-line block ×8, first 2 shown]
.LBB295_211:                            ;   in Loop: Header=BB295_144 Depth=1
	s_or_b64 exec, exec, s[10:11]
	v_and_b32_e32 v33, 0xffff0000, v33
	v_lshlrev_b32_e32 v6, 16, v6
	v_mul_f32_e32 v37, v33, v6
	v_and_b32_e32 v6, 0x7f800000, v37
	v_cmp_ne_u32_e64 s[0:1], s19, v6
                                        ; implicit-def: $vgpr6
	s_and_saveexec_b64 s[10:11], s[0:1]
	s_xor_b64 s[0:1], exec, s[10:11]
; %bb.212:                              ;   in Loop: Header=BB295_144 Depth=1
	v_bfe_u32 v6, v37, 16, 1
	v_add3_u32 v6, v37, v6, s21
                                        ; implicit-def: $vgpr37
; %bb.213:                              ;   in Loop: Header=BB295_144 Depth=1
	s_andn2_saveexec_b64 s[10:11], s[0:1]
; %bb.214:                              ;   in Loop: Header=BB295_144 Depth=1
	v_or_b32_e32 v6, 0x10000, v37
	v_cmp_eq_u32_sdwa s[0:1], v37, v11 src0_sel:WORD_0 src1_sel:DWORD
	s_nop 1
	v_cndmask_b32_e64 v6, v6, v37, s[0:1]
; %bb.215:                              ;   in Loop: Header=BB295_144 Depth=1
	s_or_b64 exec, exec, s[10:11]
	v_and_b32_e32 v34, 0xffff0000, v34
	v_lshlrev_b32_e32 v7, 16, v7
	v_mul_f32_e32 v37, v34, v7
	v_and_b32_e32 v7, 0x7f800000, v37
	v_cmp_ne_u32_e64 s[0:1], s19, v7
                                        ; implicit-def: $vgpr7
	s_and_saveexec_b64 s[10:11], s[0:1]
	s_xor_b64 s[0:1], exec, s[10:11]
; %bb.216:                              ;   in Loop: Header=BB295_144 Depth=1
	v_bfe_u32 v7, v37, 16, 1
	v_add3_u32 v7, v37, v7, s21
                                        ; implicit-def: $vgpr37
; %bb.217:                              ;   in Loop: Header=BB295_144 Depth=1
	s_andn2_saveexec_b64 s[10:11], s[0:1]
; %bb.218:                              ;   in Loop: Header=BB295_144 Depth=1
	v_or_b32_e32 v7, 0x10000, v37
	v_cmp_eq_u32_sdwa s[0:1], v37, v11 src0_sel:WORD_0 src1_sel:DWORD
	s_nop 1
	v_cndmask_b32_e64 v7, v7, v37, s[0:1]
; %bb.219:                              ;   in Loop: Header=BB295_144 Depth=1
	s_or_b64 exec, exec, s[10:11]
	v_and_b32_e32 v35, 0xffff0000, v35
	v_lshlrev_b32_e32 v8, 16, v8
	v_mul_f32_e32 v37, v35, v8
	v_and_b32_e32 v8, 0x7f800000, v37
	v_cmp_ne_u32_e64 s[0:1], s19, v8
                                        ; implicit-def: $vgpr8
	s_and_saveexec_b64 s[10:11], s[0:1]
	s_xor_b64 s[0:1], exec, s[10:11]
; %bb.220:                              ;   in Loop: Header=BB295_144 Depth=1
	v_bfe_u32 v8, v37, 16, 1
	v_add3_u32 v8, v37, v8, s21
                                        ; implicit-def: $vgpr37
; %bb.221:                              ;   in Loop: Header=BB295_144 Depth=1
	s_andn2_saveexec_b64 s[10:11], s[0:1]
; %bb.222:                              ;   in Loop: Header=BB295_144 Depth=1
	v_or_b32_e32 v8, 0x10000, v37
	v_cmp_eq_u32_sdwa s[0:1], v37, v11 src0_sel:WORD_0 src1_sel:DWORD
	s_nop 1
	v_cndmask_b32_e64 v8, v8, v37, s[0:1]
; %bb.223:                              ;   in Loop: Header=BB295_144 Depth=1
	s_or_b64 exec, exec, s[10:11]
	v_and_b32_e32 v36, 0xffff0000, v36
	v_lshlrev_b32_e32 v9, 16, v9
	v_mul_f32_e32 v37, v36, v9
	v_and_b32_e32 v9, 0x7f800000, v37
	v_cmp_ne_u32_e64 s[0:1], s19, v9
                                        ; implicit-def: $vgpr9
	s_and_saveexec_b64 s[10:11], s[0:1]
	s_xor_b64 s[0:1], exec, s[10:11]
; %bb.224:                              ;   in Loop: Header=BB295_144 Depth=1
	v_bfe_u32 v9, v37, 16, 1
	v_add3_u32 v9, v37, v9, s21
                                        ; implicit-def: $vgpr37
; %bb.225:                              ;   in Loop: Header=BB295_144 Depth=1
	s_andn2_saveexec_b64 s[10:11], s[0:1]
; %bb.226:                              ;   in Loop: Header=BB295_144 Depth=1
	v_or_b32_e32 v9, 0x10000, v37
	v_cmp_eq_u32_sdwa s[0:1], v37, v11 src0_sel:WORD_0 src1_sel:DWORD
	s_nop 1
	v_cndmask_b32_e64 v9, v9, v37, s[0:1]
; %bb.227:                              ;   in Loop: Header=BB295_144 Depth=1
	s_or_b64 exec, exec, s[10:11]
	v_and_b32_e32 v37, 0xffff0000, v21
	v_lshlrev_b32_e32 v21, 16, v38
	v_mul_f32_e32 v38, v37, v21
	v_and_b32_e32 v21, 0x7f800000, v38
	v_cmp_ne_u32_e64 s[0:1], s19, v21
                                        ; implicit-def: $vgpr21
	s_and_saveexec_b64 s[10:11], s[0:1]
	s_xor_b64 s[0:1], exec, s[10:11]
; %bb.228:                              ;   in Loop: Header=BB295_144 Depth=1
	v_bfe_u32 v21, v38, 16, 1
	v_add3_u32 v21, v38, v21, s21
                                        ; implicit-def: $vgpr38
; %bb.229:                              ;   in Loop: Header=BB295_144 Depth=1
	s_andn2_saveexec_b64 s[10:11], s[0:1]
; %bb.230:                              ;   in Loop: Header=BB295_144 Depth=1
	v_or_b32_e32 v21, 0x10000, v38
	v_cmp_eq_u32_sdwa s[0:1], v38, v11 src0_sel:WORD_0 src1_sel:DWORD
	s_nop 1
	v_cndmask_b32_e64 v21, v21, v38, s[0:1]
; %bb.231:                              ;   in Loop: Header=BB295_144 Depth=1
	s_or_b64 exec, exec, s[10:11]
	v_and_b32_e32 v38, 0xffff0000, v23
	v_lshlrev_b32_e32 v23, 16, v39
	v_mul_f32_e32 v39, v38, v23
	v_and_b32_e32 v23, 0x7f800000, v39
	v_cmp_ne_u32_e64 s[0:1], s19, v23
                                        ; implicit-def: $vgpr23
	s_and_saveexec_b64 s[10:11], s[0:1]
	s_xor_b64 s[0:1], exec, s[10:11]
; %bb.232:                              ;   in Loop: Header=BB295_144 Depth=1
	v_bfe_u32 v23, v39, 16, 1
	v_add3_u32 v23, v39, v23, s21
                                        ; implicit-def: $vgpr39
; %bb.233:                              ;   in Loop: Header=BB295_144 Depth=1
	s_andn2_saveexec_b64 s[10:11], s[0:1]
; %bb.234:                              ;   in Loop: Header=BB295_144 Depth=1
	v_or_b32_e32 v23, 0x10000, v39
	v_cmp_eq_u32_sdwa s[0:1], v39, v11 src0_sel:WORD_0 src1_sel:DWORD
	s_nop 1
	v_cndmask_b32_e64 v23, v23, v39, s[0:1]
; %bb.235:                              ;   in Loop: Header=BB295_144 Depth=1
	s_or_b64 exec, exec, s[10:11]
	v_and_b32_e32 v39, 0xffff0000, v24
	v_lshlrev_b32_e32 v5, 16, v5
	v_mul_f32_e32 v5, v39, v5
	v_and_b32_e32 v24, 0x7f800000, v5
	v_cmp_ne_u32_e64 s[0:1], s19, v24
                                        ; implicit-def: $vgpr24
	s_and_saveexec_b64 s[10:11], s[0:1]
	s_xor_b64 s[0:1], exec, s[10:11]
; %bb.236:                              ;   in Loop: Header=BB295_144 Depth=1
	v_bfe_u32 v24, v5, 16, 1
	v_add3_u32 v24, v5, v24, s21
                                        ; implicit-def: $vgpr5
; %bb.237:                              ;   in Loop: Header=BB295_144 Depth=1
	s_andn2_saveexec_b64 s[10:11], s[0:1]
; %bb.238:                              ;   in Loop: Header=BB295_144 Depth=1
	v_or_b32_e32 v24, 0x10000, v5
	v_cmp_eq_u32_sdwa s[0:1], v5, v11 src0_sel:WORD_0 src1_sel:DWORD
	s_nop 1
	v_cndmask_b32_e64 v24, v24, v5, s[0:1]
; %bb.239:                              ;   in Loop: Header=BB295_144 Depth=1
	s_or_b64 exec, exec, s[10:11]
	v_and_b32_e32 v40, 0xffff0000, v25
	v_lshlrev_b32_e32 v4, 16, v4
	v_mul_f32_e32 v4, v40, v4
	v_and_b32_e32 v5, 0x7f800000, v4
	v_cmp_ne_u32_e64 s[0:1], s19, v5
                                        ; implicit-def: $vgpr25
	s_and_saveexec_b64 s[10:11], s[0:1]
	s_xor_b64 s[0:1], exec, s[10:11]
; %bb.240:                              ;   in Loop: Header=BB295_144 Depth=1
	v_bfe_u32 v5, v4, 16, 1
	v_add3_u32 v25, v4, v5, s21
                                        ; implicit-def: $vgpr4
; %bb.241:                              ;   in Loop: Header=BB295_144 Depth=1
	s_andn2_saveexec_b64 s[10:11], s[0:1]
; %bb.242:                              ;   in Loop: Header=BB295_144 Depth=1
	v_or_b32_e32 v5, 0x10000, v4
	v_cmp_eq_u32_sdwa s[0:1], v4, v11 src0_sel:WORD_0 src1_sel:DWORD
	s_nop 1
	v_cndmask_b32_e64 v25, v5, v4, s[0:1]
; %bb.243:                              ;   in Loop: Header=BB295_144 Depth=1
	s_or_b64 exec, exec, s[10:11]
	global_load_dwordx2 v[4:5], v[2:3], off offset:512
	s_waitcnt vmcnt(0)
	v_and_b32_e32 v41, 0xff, v4
	v_cvt_f32_fp8_sdwa v41, v41 src0_sel:BYTE_0
	s_nop 0
	v_mul_f32_e32 v42, s22, v41
	v_and_b32_e32 v41, 0x7f800000, v42
	v_cmp_ne_u32_e64 s[0:1], s19, v41
                                        ; implicit-def: $vgpr41
	s_and_saveexec_b64 s[10:11], s[0:1]
	s_xor_b64 s[0:1], exec, s[10:11]
; %bb.244:                              ;   in Loop: Header=BB295_144 Depth=1
	v_bfe_u32 v41, v42, 16, 1
	v_add3_u32 v41, v42, v41, s21
                                        ; implicit-def: $vgpr42
; %bb.245:                              ;   in Loop: Header=BB295_144 Depth=1
	s_andn2_saveexec_b64 s[10:11], s[0:1]
; %bb.246:                              ;   in Loop: Header=BB295_144 Depth=1
	v_or_b32_e32 v41, 0x10000, v42
	v_cmp_eq_u32_sdwa s[0:1], v42, v11 src0_sel:WORD_0 src1_sel:DWORD
	s_nop 1
	v_cndmask_b32_e64 v41, v41, v42, s[0:1]
; %bb.247:                              ;   in Loop: Header=BB295_144 Depth=1
	s_or_b64 exec, exec, s[10:11]
	v_bfe_u32 v42, v4, 8, 8
	v_cvt_f32_fp8_sdwa v42, v42 src0_sel:BYTE_0
	s_nop 0
	v_mul_f32_e32 v43, s22, v42
	v_and_b32_e32 v42, 0x7f800000, v43
	v_cmp_ne_u32_e64 s[0:1], s19, v42
                                        ; implicit-def: $vgpr42
	s_and_saveexec_b64 s[10:11], s[0:1]
	s_xor_b64 s[0:1], exec, s[10:11]
; %bb.248:                              ;   in Loop: Header=BB295_144 Depth=1
	v_bfe_u32 v42, v43, 16, 1
	v_add3_u32 v42, v43, v42, s21
                                        ; implicit-def: $vgpr43
; %bb.249:                              ;   in Loop: Header=BB295_144 Depth=1
	s_andn2_saveexec_b64 s[10:11], s[0:1]
; %bb.250:                              ;   in Loop: Header=BB295_144 Depth=1
	v_or_b32_e32 v42, 0x10000, v43
	v_cmp_eq_u32_sdwa s[0:1], v43, v11 src0_sel:WORD_0 src1_sel:DWORD
	s_nop 1
	v_cndmask_b32_e64 v42, v42, v43, s[0:1]
; %bb.251:                              ;   in Loop: Header=BB295_144 Depth=1
	s_or_b64 exec, exec, s[10:11]
	v_bfe_u32 v43, v4, 16, 8
	v_cvt_f32_fp8_sdwa v43, v43 src0_sel:BYTE_0
	s_nop 0
	v_mul_f32_e32 v44, s22, v43
	v_and_b32_e32 v43, 0x7f800000, v44
	v_cmp_ne_u32_e64 s[0:1], s19, v43
                                        ; implicit-def: $vgpr43
	s_and_saveexec_b64 s[10:11], s[0:1]
	s_xor_b64 s[0:1], exec, s[10:11]
; %bb.252:                              ;   in Loop: Header=BB295_144 Depth=1
	v_bfe_u32 v43, v44, 16, 1
	v_add3_u32 v43, v44, v43, s21
                                        ; implicit-def: $vgpr44
; %bb.253:                              ;   in Loop: Header=BB295_144 Depth=1
	s_andn2_saveexec_b64 s[10:11], s[0:1]
; %bb.254:                              ;   in Loop: Header=BB295_144 Depth=1
	v_or_b32_e32 v43, 0x10000, v44
	v_cmp_eq_u32_sdwa s[0:1], v44, v11 src0_sel:WORD_0 src1_sel:DWORD
	s_nop 1
	v_cndmask_b32_e64 v43, v43, v44, s[0:1]
; %bb.255:                              ;   in Loop: Header=BB295_144 Depth=1
	s_or_b64 exec, exec, s[10:11]
	v_lshrrev_b32_e32 v4, 24, v4
	v_cvt_f32_fp8_sdwa v4, v4 src0_sel:BYTE_0
	s_nop 0
	v_mul_f32_e32 v44, s22, v4
	v_and_b32_e32 v4, 0x7f800000, v44
	v_cmp_ne_u32_e64 s[0:1], s19, v4
                                        ; implicit-def: $vgpr4
	s_and_saveexec_b64 s[10:11], s[0:1]
	s_xor_b64 s[0:1], exec, s[10:11]
; %bb.256:                              ;   in Loop: Header=BB295_144 Depth=1
	v_bfe_u32 v4, v44, 16, 1
	v_add3_u32 v4, v44, v4, s21
                                        ; implicit-def: $vgpr44
; %bb.257:                              ;   in Loop: Header=BB295_144 Depth=1
	s_andn2_saveexec_b64 s[10:11], s[0:1]
; %bb.258:                              ;   in Loop: Header=BB295_144 Depth=1
	v_or_b32_e32 v4, 0x10000, v44
	v_cmp_eq_u32_sdwa s[0:1], v44, v11 src0_sel:WORD_0 src1_sel:DWORD
	s_nop 1
	v_cndmask_b32_e64 v4, v4, v44, s[0:1]
; %bb.259:                              ;   in Loop: Header=BB295_144 Depth=1
	s_or_b64 exec, exec, s[10:11]
	v_and_b32_e32 v44, 0xff, v5
	v_cvt_f32_fp8_sdwa v44, v44 src0_sel:BYTE_0
	s_nop 0
	v_mul_f32_e32 v44, s22, v44
	v_and_b32_e32 v45, 0x7f800000, v44
	v_cmp_ne_u32_e64 s[0:1], s19, v45
                                        ; implicit-def: $vgpr45
	s_and_saveexec_b64 s[10:11], s[0:1]
	s_xor_b64 s[0:1], exec, s[10:11]
; %bb.260:                              ;   in Loop: Header=BB295_144 Depth=1
	v_bfe_u32 v45, v44, 16, 1
	v_add3_u32 v45, v44, v45, s21
                                        ; implicit-def: $vgpr44
; %bb.261:                              ;   in Loop: Header=BB295_144 Depth=1
	s_andn2_saveexec_b64 s[10:11], s[0:1]
; %bb.262:                              ;   in Loop: Header=BB295_144 Depth=1
	v_or_b32_e32 v45, 0x10000, v44
	v_cmp_eq_u32_sdwa s[0:1], v44, v11 src0_sel:WORD_0 src1_sel:DWORD
	s_nop 1
	v_cndmask_b32_e64 v45, v45, v44, s[0:1]
; %bb.263:                              ;   in Loop: Header=BB295_144 Depth=1
	s_or_b64 exec, exec, s[10:11]
	v_bfe_u32 v44, v5, 8, 8
	v_cvt_f32_fp8_sdwa v44, v44 src0_sel:BYTE_0
	s_nop 0
	v_mul_f32_e32 v46, s22, v44
	v_and_b32_e32 v44, 0x7f800000, v46
	v_cmp_ne_u32_e64 s[0:1], s19, v44
                                        ; implicit-def: $vgpr44
	s_and_saveexec_b64 s[10:11], s[0:1]
	s_xor_b64 s[0:1], exec, s[10:11]
; %bb.264:                              ;   in Loop: Header=BB295_144 Depth=1
	v_bfe_u32 v44, v46, 16, 1
	v_add3_u32 v44, v46, v44, s21
                                        ; implicit-def: $vgpr46
; %bb.265:                              ;   in Loop: Header=BB295_144 Depth=1
	s_andn2_saveexec_b64 s[10:11], s[0:1]
; %bb.266:                              ;   in Loop: Header=BB295_144 Depth=1
	v_or_b32_e32 v44, 0x10000, v46
	v_cmp_eq_u32_sdwa s[0:1], v46, v11 src0_sel:WORD_0 src1_sel:DWORD
	s_nop 1
	v_cndmask_b32_e64 v44, v44, v46, s[0:1]
; %bb.267:                              ;   in Loop: Header=BB295_144 Depth=1
	s_or_b64 exec, exec, s[10:11]
	v_bfe_u32 v46, v5, 16, 8
	v_cvt_f32_fp8_sdwa v46, v46 src0_sel:BYTE_0
	s_nop 0
	v_mul_f32_e32 v47, s22, v46
	v_and_b32_e32 v46, 0x7f800000, v47
	v_cmp_ne_u32_e64 s[0:1], s19, v46
                                        ; implicit-def: $vgpr46
	s_and_saveexec_b64 s[10:11], s[0:1]
	s_xor_b64 s[0:1], exec, s[10:11]
; %bb.268:                              ;   in Loop: Header=BB295_144 Depth=1
	v_bfe_u32 v46, v47, 16, 1
	v_add3_u32 v46, v47, v46, s21
                                        ; implicit-def: $vgpr47
; %bb.269:                              ;   in Loop: Header=BB295_144 Depth=1
	s_andn2_saveexec_b64 s[10:11], s[0:1]
; %bb.270:                              ;   in Loop: Header=BB295_144 Depth=1
	v_or_b32_e32 v46, 0x10000, v47
	v_cmp_eq_u32_sdwa s[0:1], v47, v11 src0_sel:WORD_0 src1_sel:DWORD
	s_nop 1
	v_cndmask_b32_e64 v46, v46, v47, s[0:1]
; %bb.271:                              ;   in Loop: Header=BB295_144 Depth=1
	s_or_b64 exec, exec, s[10:11]
	v_lshrrev_b32_e32 v5, 24, v5
	v_cvt_f32_fp8_sdwa v5, v5 src0_sel:BYTE_0
                                        ; implicit-def: $vgpr49
	s_nop 0
	v_mul_f32_e32 v5, s22, v5
	v_and_b32_e32 v47, 0x7f800000, v5
	v_cmp_ne_u32_e64 s[0:1], s19, v47
	s_and_saveexec_b64 s[10:11], s[0:1]
	s_xor_b64 s[0:1], exec, s[10:11]
; %bb.272:                              ;   in Loop: Header=BB295_144 Depth=1
	v_bfe_u32 v47, v5, 16, 1
	v_add3_u32 v49, v5, v47, s21
                                        ; implicit-def: $vgpr5
; %bb.273:                              ;   in Loop: Header=BB295_144 Depth=1
	s_andn2_saveexec_b64 s[10:11], s[0:1]
; %bb.274:                              ;   in Loop: Header=BB295_144 Depth=1
	v_or_b32_e32 v47, 0x10000, v5
	v_cmp_eq_u32_sdwa s[0:1], v5, v11 src0_sel:WORD_0 src1_sel:DWORD
	s_nop 1
	v_cndmask_b32_e64 v49, v47, v5, s[0:1]
; %bb.275:                              ;   in Loop: Header=BB295_144 Depth=1
	s_or_b64 exec, exec, s[10:11]
	v_lshrrev_b32_e32 v44, 16, v44
	v_lshrrev_b32_e32 v47, 16, v45
	;; [unrolled: 1-line block ×8, first 2 shown]
	s_and_saveexec_b64 s[10:11], vcc
	s_cbranch_execz .LBB295_277
; %bb.276:                              ;   in Loop: Header=BB295_144 Depth=1
	v_cmp_gt_i32_e64 s[0:1], s33, v22
	s_nop 1
	v_cndmask_b32_e64 v4, 0, v4, s[0:1]
	v_cmp_gt_i32_e64 s[0:1], s33, v32
	s_nop 1
	v_cndmask_b32_e64 v5, 0, v5, s[0:1]
	;; [unrolled: 3-line block ×8, first 2 shown]
.LBB295_277:                            ;   in Loop: Header=BB295_144 Depth=1
	s_or_b64 exec, exec, s[10:11]
	v_lshlrev_b32_e32 v4, 16, v4
	v_mul_f32_e32 v41, v33, v4
	v_and_b32_e32 v4, 0x7f800000, v41
	v_cmp_ne_u32_e64 s[0:1], s19, v4
                                        ; implicit-def: $vgpr4
	s_and_saveexec_b64 s[10:11], s[0:1]
	s_xor_b64 s[0:1], exec, s[10:11]
; %bb.278:                              ;   in Loop: Header=BB295_144 Depth=1
	v_bfe_u32 v4, v41, 16, 1
	v_add3_u32 v4, v41, v4, s21
                                        ; implicit-def: $vgpr41
; %bb.279:                              ;   in Loop: Header=BB295_144 Depth=1
	s_andn2_saveexec_b64 s[10:11], s[0:1]
; %bb.280:                              ;   in Loop: Header=BB295_144 Depth=1
	v_or_b32_e32 v4, 0x10000, v41
	v_cmp_eq_u32_sdwa s[0:1], v41, v11 src0_sel:WORD_0 src1_sel:DWORD
	s_nop 1
	v_cndmask_b32_e64 v4, v4, v41, s[0:1]
; %bb.281:                              ;   in Loop: Header=BB295_144 Depth=1
	s_or_b64 exec, exec, s[10:11]
	v_lshlrev_b32_e32 v5, 16, v5
	v_mul_f32_e32 v41, v34, v5
	v_and_b32_e32 v5, 0x7f800000, v41
	v_cmp_ne_u32_e64 s[0:1], s19, v5
                                        ; implicit-def: $vgpr5
	s_and_saveexec_b64 s[10:11], s[0:1]
	s_xor_b64 s[0:1], exec, s[10:11]
; %bb.282:                              ;   in Loop: Header=BB295_144 Depth=1
	v_bfe_u32 v5, v41, 16, 1
	v_add3_u32 v5, v41, v5, s21
                                        ; implicit-def: $vgpr41
; %bb.283:                              ;   in Loop: Header=BB295_144 Depth=1
	s_andn2_saveexec_b64 s[10:11], s[0:1]
; %bb.284:                              ;   in Loop: Header=BB295_144 Depth=1
	v_or_b32_e32 v5, 0x10000, v41
	v_cmp_eq_u32_sdwa s[0:1], v41, v11 src0_sel:WORD_0 src1_sel:DWORD
	s_nop 1
	v_cndmask_b32_e64 v5, v5, v41, s[0:1]
; %bb.285:                              ;   in Loop: Header=BB295_144 Depth=1
	s_or_b64 exec, exec, s[10:11]
	v_lshlrev_b32_e32 v41, 16, v43
	v_mul_f32_e32 v42, v35, v41
	v_and_b32_e32 v41, 0x7f800000, v42
	v_cmp_ne_u32_e64 s[0:1], s19, v41
                                        ; implicit-def: $vgpr41
	s_and_saveexec_b64 s[10:11], s[0:1]
	s_xor_b64 s[0:1], exec, s[10:11]
; %bb.286:                              ;   in Loop: Header=BB295_144 Depth=1
	v_bfe_u32 v41, v42, 16, 1
	v_add3_u32 v41, v42, v41, s21
                                        ; implicit-def: $vgpr42
; %bb.287:                              ;   in Loop: Header=BB295_144 Depth=1
	s_andn2_saveexec_b64 s[10:11], s[0:1]
; %bb.288:                              ;   in Loop: Header=BB295_144 Depth=1
	v_or_b32_e32 v41, 0x10000, v42
	v_cmp_eq_u32_sdwa s[0:1], v42, v11 src0_sel:WORD_0 src1_sel:DWORD
	s_nop 1
	v_cndmask_b32_e64 v41, v41, v42, s[0:1]
; %bb.289:                              ;   in Loop: Header=BB295_144 Depth=1
	s_or_b64 exec, exec, s[10:11]
	v_lshlrev_b32_e32 v42, 16, v48
	v_mul_f32_e32 v43, v36, v42
	v_and_b32_e32 v42, 0x7f800000, v43
	v_cmp_ne_u32_e64 s[0:1], s19, v42
                                        ; implicit-def: $vgpr42
	s_and_saveexec_b64 s[10:11], s[0:1]
	s_xor_b64 s[0:1], exec, s[10:11]
; %bb.290:                              ;   in Loop: Header=BB295_144 Depth=1
	v_bfe_u32 v42, v43, 16, 1
	v_add3_u32 v42, v43, v42, s21
                                        ; implicit-def: $vgpr43
; %bb.291:                              ;   in Loop: Header=BB295_144 Depth=1
	s_andn2_saveexec_b64 s[10:11], s[0:1]
; %bb.292:                              ;   in Loop: Header=BB295_144 Depth=1
	v_or_b32_e32 v42, 0x10000, v43
	v_cmp_eq_u32_sdwa s[0:1], v43, v11 src0_sel:WORD_0 src1_sel:DWORD
	s_nop 1
	v_cndmask_b32_e64 v42, v42, v43, s[0:1]
; %bb.293:                              ;   in Loop: Header=BB295_144 Depth=1
	s_or_b64 exec, exec, s[10:11]
	v_lshlrev_b32_e32 v43, 16, v47
	v_mul_f32_e32 v47, v37, v43
	v_and_b32_e32 v43, 0x7f800000, v47
	v_cmp_ne_u32_e64 s[0:1], s19, v43
                                        ; implicit-def: $vgpr43
	s_and_saveexec_b64 s[10:11], s[0:1]
	s_xor_b64 s[0:1], exec, s[10:11]
; %bb.294:                              ;   in Loop: Header=BB295_144 Depth=1
	v_bfe_u32 v43, v47, 16, 1
	v_add3_u32 v43, v47, v43, s21
                                        ; implicit-def: $vgpr47
; %bb.295:                              ;   in Loop: Header=BB295_144 Depth=1
	s_andn2_saveexec_b64 s[10:11], s[0:1]
; %bb.296:                              ;   in Loop: Header=BB295_144 Depth=1
	v_or_b32_e32 v43, 0x10000, v47
	v_cmp_eq_u32_sdwa s[0:1], v47, v11 src0_sel:WORD_0 src1_sel:DWORD
	s_nop 1
	v_cndmask_b32_e64 v43, v43, v47, s[0:1]
; %bb.297:                              ;   in Loop: Header=BB295_144 Depth=1
	s_or_b64 exec, exec, s[10:11]
	v_lshlrev_b32_e32 v44, 16, v44
	v_mul_f32_e32 v47, v38, v44
	v_and_b32_e32 v44, 0x7f800000, v47
	v_cmp_ne_u32_e64 s[0:1], s19, v44
                                        ; implicit-def: $vgpr44
	s_and_saveexec_b64 s[10:11], s[0:1]
	s_xor_b64 s[0:1], exec, s[10:11]
; %bb.298:                              ;   in Loop: Header=BB295_144 Depth=1
	v_bfe_u32 v44, v47, 16, 1
	v_add3_u32 v44, v47, v44, s21
                                        ; implicit-def: $vgpr47
; %bb.299:                              ;   in Loop: Header=BB295_144 Depth=1
	s_andn2_saveexec_b64 s[10:11], s[0:1]
; %bb.300:                              ;   in Loop: Header=BB295_144 Depth=1
	v_or_b32_e32 v44, 0x10000, v47
	v_cmp_eq_u32_sdwa s[0:1], v47, v11 src0_sel:WORD_0 src1_sel:DWORD
	s_nop 1
	v_cndmask_b32_e64 v44, v44, v47, s[0:1]
; %bb.301:                              ;   in Loop: Header=BB295_144 Depth=1
	s_or_b64 exec, exec, s[10:11]
	v_lshlrev_b32_e32 v45, 16, v45
	v_mul_f32_e32 v47, v39, v45
	v_and_b32_e32 v45, 0x7f800000, v47
	v_cmp_ne_u32_e64 s[0:1], s19, v45
                                        ; implicit-def: $vgpr45
	s_and_saveexec_b64 s[10:11], s[0:1]
	s_xor_b64 s[0:1], exec, s[10:11]
; %bb.302:                              ;   in Loop: Header=BB295_144 Depth=1
	v_bfe_u32 v45, v47, 16, 1
	v_add3_u32 v45, v47, v45, s21
                                        ; implicit-def: $vgpr47
; %bb.303:                              ;   in Loop: Header=BB295_144 Depth=1
	s_andn2_saveexec_b64 s[10:11], s[0:1]
; %bb.304:                              ;   in Loop: Header=BB295_144 Depth=1
	v_or_b32_e32 v45, 0x10000, v47
	v_cmp_eq_u32_sdwa s[0:1], v47, v11 src0_sel:WORD_0 src1_sel:DWORD
	s_nop 1
	v_cndmask_b32_e64 v45, v45, v47, s[0:1]
; %bb.305:                              ;   in Loop: Header=BB295_144 Depth=1
	s_or_b64 exec, exec, s[10:11]
	v_lshlrev_b32_e32 v46, 16, v46
	v_mul_f32_e32 v47, v40, v46
	v_and_b32_e32 v46, 0x7f800000, v47
	v_cmp_ne_u32_e64 s[0:1], s19, v46
                                        ; implicit-def: $vgpr46
	s_and_saveexec_b64 s[10:11], s[0:1]
	s_xor_b64 s[0:1], exec, s[10:11]
; %bb.306:                              ;   in Loop: Header=BB295_144 Depth=1
	v_bfe_u32 v46, v47, 16, 1
	v_add3_u32 v46, v47, v46, s21
                                        ; implicit-def: $vgpr47
; %bb.307:                              ;   in Loop: Header=BB295_144 Depth=1
	s_andn2_saveexec_b64 s[10:11], s[0:1]
; %bb.308:                              ;   in Loop: Header=BB295_144 Depth=1
	v_or_b32_e32 v46, 0x10000, v47
	v_cmp_eq_u32_sdwa s[0:1], v47, v11 src0_sel:WORD_0 src1_sel:DWORD
	s_nop 1
	v_cndmask_b32_e64 v46, v46, v47, s[0:1]
; %bb.309:                              ;   in Loop: Header=BB295_144 Depth=1
	s_or_b64 exec, exec, s[10:11]
	global_load_dwordx2 v[2:3], v[2:3], off offset:1024
	s_waitcnt vmcnt(0)
	v_and_b32_e32 v47, 0xff, v2
	v_cvt_f32_fp8_sdwa v47, v47 src0_sel:BYTE_0
	s_nop 0
	v_mul_f32_e32 v48, s22, v47
	v_and_b32_e32 v47, 0x7f800000, v48
	v_cmp_ne_u32_e64 s[0:1], s19, v47
                                        ; implicit-def: $vgpr47
	s_and_saveexec_b64 s[10:11], s[0:1]
	s_xor_b64 s[0:1], exec, s[10:11]
; %bb.310:                              ;   in Loop: Header=BB295_144 Depth=1
	v_bfe_u32 v47, v48, 16, 1
	v_add3_u32 v47, v48, v47, s21
                                        ; implicit-def: $vgpr48
; %bb.311:                              ;   in Loop: Header=BB295_144 Depth=1
	s_andn2_saveexec_b64 s[10:11], s[0:1]
; %bb.312:                              ;   in Loop: Header=BB295_144 Depth=1
	v_or_b32_e32 v47, 0x10000, v48
	v_cmp_eq_u32_sdwa s[0:1], v48, v11 src0_sel:WORD_0 src1_sel:DWORD
	s_nop 1
	v_cndmask_b32_e64 v47, v47, v48, s[0:1]
; %bb.313:                              ;   in Loop: Header=BB295_144 Depth=1
	s_or_b64 exec, exec, s[10:11]
	v_bfe_u32 v48, v2, 8, 8
	v_cvt_f32_fp8_sdwa v48, v48 src0_sel:BYTE_0
	s_nop 0
	v_mul_f32_e32 v49, s22, v48
	v_and_b32_e32 v48, 0x7f800000, v49
	v_cmp_ne_u32_e64 s[0:1], s19, v48
                                        ; implicit-def: $vgpr48
	s_and_saveexec_b64 s[10:11], s[0:1]
	s_xor_b64 s[0:1], exec, s[10:11]
; %bb.314:                              ;   in Loop: Header=BB295_144 Depth=1
	v_bfe_u32 v48, v49, 16, 1
	v_add3_u32 v48, v49, v48, s21
                                        ; implicit-def: $vgpr49
; %bb.315:                              ;   in Loop: Header=BB295_144 Depth=1
	s_andn2_saveexec_b64 s[10:11], s[0:1]
; %bb.316:                              ;   in Loop: Header=BB295_144 Depth=1
	v_or_b32_e32 v48, 0x10000, v49
	v_cmp_eq_u32_sdwa s[0:1], v49, v11 src0_sel:WORD_0 src1_sel:DWORD
	s_nop 1
	v_cndmask_b32_e64 v48, v48, v49, s[0:1]
; %bb.317:                              ;   in Loop: Header=BB295_144 Depth=1
	s_or_b64 exec, exec, s[10:11]
	v_bfe_u32 v49, v2, 16, 8
	v_cvt_f32_fp8_sdwa v49, v49 src0_sel:BYTE_0
	s_nop 0
	v_mul_f32_e32 v49, s22, v49
	v_and_b32_e32 v50, 0x7f800000, v49
	v_cmp_ne_u32_e64 s[0:1], s19, v50
                                        ; implicit-def: $vgpr50
	s_and_saveexec_b64 s[10:11], s[0:1]
	s_xor_b64 s[0:1], exec, s[10:11]
; %bb.318:                              ;   in Loop: Header=BB295_144 Depth=1
	v_bfe_u32 v50, v49, 16, 1
	v_add3_u32 v50, v49, v50, s21
                                        ; implicit-def: $vgpr49
; %bb.319:                              ;   in Loop: Header=BB295_144 Depth=1
	s_andn2_saveexec_b64 s[10:11], s[0:1]
; %bb.320:                              ;   in Loop: Header=BB295_144 Depth=1
	v_or_b32_e32 v50, 0x10000, v49
	v_cmp_eq_u32_sdwa s[0:1], v49, v11 src0_sel:WORD_0 src1_sel:DWORD
	s_nop 1
	v_cndmask_b32_e64 v50, v50, v49, s[0:1]
; %bb.321:                              ;   in Loop: Header=BB295_144 Depth=1
	s_or_b64 exec, exec, s[10:11]
	v_lshrrev_b32_e32 v2, 24, v2
	v_cvt_f32_fp8_sdwa v2, v2 src0_sel:BYTE_0
	s_nop 0
	v_mul_f32_e32 v49, s22, v2
	v_and_b32_e32 v2, 0x7f800000, v49
	v_cmp_ne_u32_e64 s[0:1], s19, v2
                                        ; implicit-def: $vgpr2
	s_and_saveexec_b64 s[10:11], s[0:1]
	s_xor_b64 s[0:1], exec, s[10:11]
; %bb.322:                              ;   in Loop: Header=BB295_144 Depth=1
	v_bfe_u32 v2, v49, 16, 1
	v_add3_u32 v2, v49, v2, s21
                                        ; implicit-def: $vgpr49
; %bb.323:                              ;   in Loop: Header=BB295_144 Depth=1
	s_andn2_saveexec_b64 s[10:11], s[0:1]
; %bb.324:                              ;   in Loop: Header=BB295_144 Depth=1
	v_or_b32_e32 v2, 0x10000, v49
	v_cmp_eq_u32_sdwa s[0:1], v49, v11 src0_sel:WORD_0 src1_sel:DWORD
	s_nop 1
	v_cndmask_b32_e64 v2, v2, v49, s[0:1]
; %bb.325:                              ;   in Loop: Header=BB295_144 Depth=1
	s_or_b64 exec, exec, s[10:11]
	v_and_b32_e32 v49, 0xff, v3
	v_cvt_f32_fp8_sdwa v49, v49 src0_sel:BYTE_0
	s_nop 0
	v_mul_f32_e32 v49, s22, v49
	v_and_b32_e32 v51, 0x7f800000, v49
	v_cmp_ne_u32_e64 s[0:1], s19, v51
                                        ; implicit-def: $vgpr51
	s_and_saveexec_b64 s[10:11], s[0:1]
	s_xor_b64 s[0:1], exec, s[10:11]
; %bb.326:                              ;   in Loop: Header=BB295_144 Depth=1
	v_bfe_u32 v51, v49, 16, 1
	v_add3_u32 v51, v49, v51, s21
                                        ; implicit-def: $vgpr49
; %bb.327:                              ;   in Loop: Header=BB295_144 Depth=1
	s_andn2_saveexec_b64 s[10:11], s[0:1]
; %bb.328:                              ;   in Loop: Header=BB295_144 Depth=1
	v_or_b32_e32 v51, 0x10000, v49
	v_cmp_eq_u32_sdwa s[0:1], v49, v11 src0_sel:WORD_0 src1_sel:DWORD
	s_nop 1
	v_cndmask_b32_e64 v51, v51, v49, s[0:1]
; %bb.329:                              ;   in Loop: Header=BB295_144 Depth=1
	s_or_b64 exec, exec, s[10:11]
	v_bfe_u32 v49, v3, 8, 8
	v_cvt_f32_fp8_sdwa v49, v49 src0_sel:BYTE_0
	s_nop 0
	v_mul_f32_e32 v52, s22, v49
	v_and_b32_e32 v49, 0x7f800000, v52
	v_cmp_ne_u32_e64 s[0:1], s19, v49
                                        ; implicit-def: $vgpr49
	s_and_saveexec_b64 s[10:11], s[0:1]
	s_xor_b64 s[0:1], exec, s[10:11]
; %bb.330:                              ;   in Loop: Header=BB295_144 Depth=1
	v_bfe_u32 v49, v52, 16, 1
	v_add3_u32 v49, v52, v49, s21
                                        ; implicit-def: $vgpr52
; %bb.331:                              ;   in Loop: Header=BB295_144 Depth=1
	s_andn2_saveexec_b64 s[10:11], s[0:1]
; %bb.332:                              ;   in Loop: Header=BB295_144 Depth=1
	v_or_b32_e32 v49, 0x10000, v52
	v_cmp_eq_u32_sdwa s[0:1], v52, v11 src0_sel:WORD_0 src1_sel:DWORD
	s_nop 1
	v_cndmask_b32_e64 v49, v49, v52, s[0:1]
; %bb.333:                              ;   in Loop: Header=BB295_144 Depth=1
	s_or_b64 exec, exec, s[10:11]
	v_bfe_u32 v52, v3, 16, 8
	v_cvt_f32_fp8_sdwa v52, v52 src0_sel:BYTE_0
	s_nop 0
	v_mul_f32_e32 v52, s22, v52
	v_and_b32_e32 v53, 0x7f800000, v52
	v_cmp_ne_u32_e64 s[0:1], s19, v53
                                        ; implicit-def: $vgpr53
	s_and_saveexec_b64 s[10:11], s[0:1]
	s_xor_b64 s[0:1], exec, s[10:11]
; %bb.334:                              ;   in Loop: Header=BB295_144 Depth=1
	v_bfe_u32 v53, v52, 16, 1
	v_add3_u32 v53, v52, v53, s21
                                        ; implicit-def: $vgpr52
; %bb.335:                              ;   in Loop: Header=BB295_144 Depth=1
	s_andn2_saveexec_b64 s[10:11], s[0:1]
; %bb.336:                              ;   in Loop: Header=BB295_144 Depth=1
	v_or_b32_e32 v53, 0x10000, v52
	v_cmp_eq_u32_sdwa s[0:1], v52, v11 src0_sel:WORD_0 src1_sel:DWORD
	s_nop 1
	v_cndmask_b32_e64 v53, v53, v52, s[0:1]
; %bb.337:                              ;   in Loop: Header=BB295_144 Depth=1
	s_or_b64 exec, exec, s[10:11]
	v_lshrrev_b32_e32 v3, 24, v3
	v_cvt_f32_fp8_sdwa v3, v3 src0_sel:BYTE_0
	s_nop 0
	v_mul_f32_e32 v52, s22, v3
	v_and_b32_e32 v3, 0x7f800000, v52
	v_cmp_ne_u32_e64 s[0:1], s19, v3
                                        ; implicit-def: $vgpr3
	s_and_saveexec_b64 s[10:11], s[0:1]
	s_xor_b64 s[0:1], exec, s[10:11]
; %bb.338:                              ;   in Loop: Header=BB295_144 Depth=1
	v_bfe_u32 v3, v52, 16, 1
	v_add3_u32 v3, v52, v3, s21
                                        ; implicit-def: $vgpr52
; %bb.339:                              ;   in Loop: Header=BB295_144 Depth=1
	s_andn2_saveexec_b64 s[10:11], s[0:1]
; %bb.340:                              ;   in Loop: Header=BB295_144 Depth=1
	v_or_b32_e32 v3, 0x10000, v52
	v_cmp_eq_u32_sdwa s[0:1], v52, v11 src0_sel:WORD_0 src1_sel:DWORD
	s_nop 1
	v_cndmask_b32_e64 v3, v3, v52, s[0:1]
; %bb.341:                              ;   in Loop: Header=BB295_144 Depth=1
	s_or_b64 exec, exec, s[10:11]
	v_lshrrev_b32_e32 v49, 16, v49
	v_lshrrev_b32_e32 v51, 16, v51
	;; [unrolled: 1-line block ×8, first 2 shown]
	s_and_saveexec_b64 s[0:1], vcc
	s_cbranch_execz .LBB295_343
; %bb.342:                              ;   in Loop: Header=BB295_144 Depth=1
	v_cmp_gt_i32_e32 vcc, s33, v22
	s_nop 1
	v_cndmask_b32_e32 v2, 0, v2, vcc
	v_cmp_gt_i32_e32 vcc, s33, v32
	s_nop 1
	v_cndmask_b32_e32 v48, 0, v48, vcc
	v_cmp_gt_i32_e32 vcc, s33, v31
	s_nop 1
	v_cndmask_b32_e32 v50, 0, v50, vcc
	v_cmp_gt_i32_e32 vcc, s33, v30
	s_nop 1
	v_cndmask_b32_e32 v52, 0, v52, vcc
	v_cmp_gt_i32_e32 vcc, s33, v29
	s_nop 1
	v_cndmask_b32_e32 v51, 0, v51, vcc
	v_cmp_gt_i32_e32 vcc, s33, v28
	s_nop 1
	v_cndmask_b32_e32 v49, 0, v49, vcc
	v_cmp_gt_i32_e32 vcc, s33, v27
	s_nop 1
	v_cndmask_b32_e32 v47, 0, v47, vcc
	v_cmp_gt_i32_e32 vcc, s33, v26
	s_nop 1
	v_cndmask_b32_e32 v3, 0, v3, vcc
.LBB295_343:                            ;   in Loop: Header=BB295_144 Depth=1
	s_or_b64 exec, exec, s[0:1]
	v_lshlrev_b32_e32 v2, 16, v2
	v_mul_f32_e32 v26, v33, v2
	v_and_b32_e32 v2, 0x7f800000, v26
	v_cmp_ne_u32_e32 vcc, s19, v2
                                        ; implicit-def: $vgpr2
	s_and_saveexec_b64 s[0:1], vcc
	s_xor_b64 s[0:1], exec, s[0:1]
; %bb.344:                              ;   in Loop: Header=BB295_144 Depth=1
	v_bfe_u32 v2, v26, 16, 1
	v_add3_u32 v2, v26, v2, s21
                                        ; implicit-def: $vgpr26
; %bb.345:                              ;   in Loop: Header=BB295_144 Depth=1
	s_andn2_saveexec_b64 s[0:1], s[0:1]
; %bb.346:                              ;   in Loop: Header=BB295_144 Depth=1
	v_or_b32_e32 v2, 0x10000, v26
	v_cmp_eq_u32_sdwa vcc, v26, v11 src0_sel:WORD_0 src1_sel:DWORD
	s_nop 1
	v_cndmask_b32_e32 v2, v2, v26, vcc
; %bb.347:                              ;   in Loop: Header=BB295_144 Depth=1
	s_or_b64 exec, exec, s[0:1]
	v_lshlrev_b32_e32 v26, 16, v48
	v_mul_f32_e32 v27, v34, v26
	v_and_b32_e32 v26, 0x7f800000, v27
	v_cmp_ne_u32_e32 vcc, s19, v26
                                        ; implicit-def: $vgpr26
	s_and_saveexec_b64 s[0:1], vcc
	s_xor_b64 s[0:1], exec, s[0:1]
; %bb.348:                              ;   in Loop: Header=BB295_144 Depth=1
	v_bfe_u32 v26, v27, 16, 1
	v_add3_u32 v26, v27, v26, s21
                                        ; implicit-def: $vgpr27
; %bb.349:                              ;   in Loop: Header=BB295_144 Depth=1
	s_andn2_saveexec_b64 s[0:1], s[0:1]
; %bb.350:                              ;   in Loop: Header=BB295_144 Depth=1
	v_or_b32_e32 v26, 0x10000, v27
	v_cmp_eq_u32_sdwa vcc, v27, v11 src0_sel:WORD_0 src1_sel:DWORD
	s_nop 1
	v_cndmask_b32_e32 v26, v26, v27, vcc
; %bb.351:                              ;   in Loop: Header=BB295_144 Depth=1
	s_or_b64 exec, exec, s[0:1]
	v_lshlrev_b32_e32 v27, 16, v50
	v_mul_f32_e32 v28, v35, v27
	v_and_b32_e32 v27, 0x7f800000, v28
	v_cmp_ne_u32_e32 vcc, s19, v27
                                        ; implicit-def: $vgpr27
	s_and_saveexec_b64 s[0:1], vcc
	s_xor_b64 s[0:1], exec, s[0:1]
; %bb.352:                              ;   in Loop: Header=BB295_144 Depth=1
	v_bfe_u32 v27, v28, 16, 1
	v_add3_u32 v27, v28, v27, s21
                                        ; implicit-def: $vgpr28
; %bb.353:                              ;   in Loop: Header=BB295_144 Depth=1
	s_andn2_saveexec_b64 s[0:1], s[0:1]
; %bb.354:                              ;   in Loop: Header=BB295_144 Depth=1
	v_or_b32_e32 v27, 0x10000, v28
	v_cmp_eq_u32_sdwa vcc, v28, v11 src0_sel:WORD_0 src1_sel:DWORD
	s_nop 1
	v_cndmask_b32_e32 v27, v27, v28, vcc
; %bb.355:                              ;   in Loop: Header=BB295_144 Depth=1
	s_or_b64 exec, exec, s[0:1]
	v_lshlrev_b32_e32 v28, 16, v52
	v_mul_f32_e32 v29, v36, v28
	v_and_b32_e32 v28, 0x7f800000, v29
	v_cmp_ne_u32_e32 vcc, s19, v28
                                        ; implicit-def: $vgpr28
	s_and_saveexec_b64 s[0:1], vcc
	s_xor_b64 s[0:1], exec, s[0:1]
; %bb.356:                              ;   in Loop: Header=BB295_144 Depth=1
	v_bfe_u32 v28, v29, 16, 1
	v_add3_u32 v28, v29, v28, s21
                                        ; implicit-def: $vgpr29
; %bb.357:                              ;   in Loop: Header=BB295_144 Depth=1
	s_andn2_saveexec_b64 s[0:1], s[0:1]
; %bb.358:                              ;   in Loop: Header=BB295_144 Depth=1
	v_or_b32_e32 v28, 0x10000, v29
	v_cmp_eq_u32_sdwa vcc, v29, v11 src0_sel:WORD_0 src1_sel:DWORD
	s_nop 1
	v_cndmask_b32_e32 v28, v28, v29, vcc
; %bb.359:                              ;   in Loop: Header=BB295_144 Depth=1
	s_or_b64 exec, exec, s[0:1]
	v_lshlrev_b32_e32 v29, 16, v51
	v_mul_f32_e32 v30, v37, v29
	v_and_b32_e32 v29, 0x7f800000, v30
	v_cmp_ne_u32_e32 vcc, s19, v29
                                        ; implicit-def: $vgpr29
	s_and_saveexec_b64 s[0:1], vcc
	s_xor_b64 s[0:1], exec, s[0:1]
; %bb.360:                              ;   in Loop: Header=BB295_144 Depth=1
	v_bfe_u32 v29, v30, 16, 1
	v_add3_u32 v29, v30, v29, s21
                                        ; implicit-def: $vgpr30
; %bb.361:                              ;   in Loop: Header=BB295_144 Depth=1
	s_andn2_saveexec_b64 s[0:1], s[0:1]
; %bb.362:                              ;   in Loop: Header=BB295_144 Depth=1
	v_or_b32_e32 v29, 0x10000, v30
	v_cmp_eq_u32_sdwa vcc, v30, v11 src0_sel:WORD_0 src1_sel:DWORD
	s_nop 1
	v_cndmask_b32_e32 v29, v29, v30, vcc
; %bb.363:                              ;   in Loop: Header=BB295_144 Depth=1
	s_or_b64 exec, exec, s[0:1]
	v_lshlrev_b32_e32 v30, 16, v49
	v_mul_f32_e32 v31, v38, v30
	v_and_b32_e32 v30, 0x7f800000, v31
	v_cmp_ne_u32_e32 vcc, s19, v30
                                        ; implicit-def: $vgpr30
	s_and_saveexec_b64 s[0:1], vcc
	s_xor_b64 s[0:1], exec, s[0:1]
; %bb.364:                              ;   in Loop: Header=BB295_144 Depth=1
	v_bfe_u32 v30, v31, 16, 1
	v_add3_u32 v30, v31, v30, s21
                                        ; implicit-def: $vgpr31
; %bb.365:                              ;   in Loop: Header=BB295_144 Depth=1
	s_andn2_saveexec_b64 s[0:1], s[0:1]
; %bb.366:                              ;   in Loop: Header=BB295_144 Depth=1
	v_or_b32_e32 v30, 0x10000, v31
	v_cmp_eq_u32_sdwa vcc, v31, v11 src0_sel:WORD_0 src1_sel:DWORD
	s_nop 1
	v_cndmask_b32_e32 v30, v30, v31, vcc
; %bb.367:                              ;   in Loop: Header=BB295_144 Depth=1
	s_or_b64 exec, exec, s[0:1]
	v_lshlrev_b32_e32 v31, 16, v47
	v_mul_f32_e32 v32, v39, v31
	v_and_b32_e32 v31, 0x7f800000, v32
	v_cmp_ne_u32_e32 vcc, s19, v31
                                        ; implicit-def: $vgpr31
	s_and_saveexec_b64 s[0:1], vcc
	s_xor_b64 s[0:1], exec, s[0:1]
; %bb.368:                              ;   in Loop: Header=BB295_144 Depth=1
	v_bfe_u32 v31, v32, 16, 1
	v_add3_u32 v31, v32, v31, s21
                                        ; implicit-def: $vgpr32
; %bb.369:                              ;   in Loop: Header=BB295_144 Depth=1
	s_andn2_saveexec_b64 s[0:1], s[0:1]
; %bb.370:                              ;   in Loop: Header=BB295_144 Depth=1
	v_or_b32_e32 v31, 0x10000, v32
	v_cmp_eq_u32_sdwa vcc, v32, v11 src0_sel:WORD_0 src1_sel:DWORD
	s_nop 1
	v_cndmask_b32_e32 v31, v31, v32, vcc
; %bb.371:                              ;   in Loop: Header=BB295_144 Depth=1
	s_or_b64 exec, exec, s[0:1]
	v_lshlrev_b32_e32 v3, 16, v3
	v_mul_f32_e32 v32, v40, v3
	v_and_b32_e32 v3, 0x7f800000, v32
	v_cmp_ne_u32_e32 vcc, s19, v3
                                        ; implicit-def: $vgpr3
	s_and_saveexec_b64 s[0:1], vcc
	s_xor_b64 s[0:1], exec, s[0:1]
; %bb.372:                              ;   in Loop: Header=BB295_144 Depth=1
	v_bfe_u32 v3, v32, 16, 1
	v_add3_u32 v3, v32, v3, s21
                                        ; implicit-def: $vgpr32
; %bb.373:                              ;   in Loop: Header=BB295_144 Depth=1
	s_andn2_saveexec_b64 s[0:1], s[0:1]
	s_cbranch_execz .LBB295_142
; %bb.374:                              ;   in Loop: Header=BB295_144 Depth=1
	v_or_b32_e32 v3, 0x10000, v32
	v_cmp_eq_u32_sdwa vcc, v32, v11 src0_sel:WORD_0 src1_sel:DWORD
	s_nop 1
	v_cndmask_b32_e32 v3, v3, v32, vcc
	s_branch .LBB295_142
.LBB295_375:
	s_or_b64 exec, exec, s[6:7]
.LBB295_376:
	s_or_b64 exec, exec, s[2:3]
	v_and_b32_e32 v1, 0x3c0, v0
	v_cmp_eq_u32_e32 vcc, 64, v1
	s_barrier
	s_and_saveexec_b64 s[0:1], vcc
	s_cbranch_execz .LBB295_378
; %bb.377:
	v_mov_b32_e32 v1, 0x190
	v_lshl_add_u32 v2, v18, 2, v1
	v_lshl_add_u32 v1, v0, 2, v1
	ds_write_b32 v2, v12
	ds_write_b32 v1, v13
	ds_write_b32 v2, v10 offset:512
.LBB295_378:
	s_or_b64 exec, exec, s[0:1]
	v_cmp_gt_u32_e32 vcc, 64, v0
	s_waitcnt lgkmcnt(0)
	s_barrier
	s_and_saveexec_b64 s[0:1], vcc
	s_cbranch_execz .LBB295_380
; %bb.379:
	v_mov_b32_e32 v1, 0x190
	v_lshl_add_u32 v1, v0, 2, v1
	ds_read2st64_b32 v[2:3], v1 offset1:1
	ds_read_b32 v1, v1 offset:512
	s_waitcnt lgkmcnt(1)
	v_pk_add_f32 v[12:13], v[12:13], v[2:3]
	s_waitcnt lgkmcnt(0)
	v_add_f32_e32 v10, v10, v1
.LBB295_380:
	s_or_b64 exec, exec, s[0:1]
	s_barrier
	s_and_saveexec_b64 s[0:1], vcc
	s_cbranch_execz .LBB295_394
; %bb.381:
	s_mov_b32 s0, 0x7f800000
	v_and_b32_e32 v1, 0x7f800000, v12
	v_cmp_ne_u32_e32 vcc, s0, v1
                                        ; implicit-def: $vgpr2
	s_and_saveexec_b64 s[0:1], vcc
	s_xor_b64 s[0:1], exec, s[0:1]
; %bb.382:
	v_bfe_u32 v1, v12, 16, 1
	s_movk_i32 s2, 0x7fff
	v_add3_u32 v2, v12, v1, s2
; %bb.383:
	s_andn2_saveexec_b64 s[0:1], s[0:1]
; %bb.384:
	v_mov_b32_e32 v1, 0
	v_or_b32_e32 v2, 0x10000, v12
	v_cmp_eq_u32_sdwa vcc, v12, v1 src0_sel:WORD_0 src1_sel:DWORD
	s_nop 1
	v_cndmask_b32_e32 v2, v2, v12, vcc
; %bb.385:
	s_or_b64 exec, exec, s[0:1]
	s_mul_i32 s0, s24, s25
	s_mul_i32 s0, s0, s5
	s_mulk_i32 s0, 0xc0
	s_ashr_i32 s1, s0, 31
	s_lshl_b64 s[0:1], s[0:1], 1
	s_add_u32 s2, s26, s0
	s_mul_i32 s0, s25, s28
	s_addc_u32 s3, s27, s1
	s_ashr_i32 s1, s0, 31
	s_lshl_b64 s[0:1], s[0:1], 1
	s_add_u32 s2, s2, s0
	s_mul_i32 s0, s4, 0xc0
	s_addc_u32 s3, s3, s1
	s_ashr_i32 s1, s0, 31
	s_lshl_b64 s[0:1], s[0:1], 1
	s_add_u32 s0, s2, s0
	s_addc_u32 s1, s3, s1
	v_lshlrev_b32_e32 v0, 1, v0
	global_store_short_d16_hi v0, v2, s[0:1]
	s_mov_b32 s2, 0x7f800000
	v_and_b32_e32 v2, 0x7f800000, v13
	v_mov_b32_e32 v1, 0
	v_cmp_ne_u32_e32 vcc, s2, v2
                                        ; implicit-def: $vgpr2
	s_and_saveexec_b64 s[2:3], vcc
	s_xor_b64 s[2:3], exec, s[2:3]
; %bb.386:
	v_bfe_u32 v2, v13, 16, 1
	s_movk_i32 s4, 0x7fff
	v_add3_u32 v2, v13, v2, s4
; %bb.387:
	s_or_saveexec_b64 s[2:3], s[2:3]
	v_lshl_add_u64 v[0:1], s[0:1], 0, v[0:1]
	s_xor_b64 exec, exec, s[2:3]
; %bb.388:
	v_mov_b32_e32 v2, 0
	v_or_b32_e32 v3, 0x10000, v13
	v_cmp_eq_u32_sdwa vcc, v13, v2 src0_sel:WORD_0 src1_sel:DWORD
	s_nop 1
	v_cndmask_b32_e32 v2, v3, v13, vcc
; %bb.389:
	s_or_b64 exec, exec, s[2:3]
	global_store_short_d16_hi v[0:1], v2, off offset:128
	s_mov_b32 s0, 0x7f800000
	v_and_b32_e32 v2, 0x7f800000, v10
	v_cmp_ne_u32_e32 vcc, s0, v2
                                        ; implicit-def: $vgpr2
	s_and_saveexec_b64 s[0:1], vcc
	s_xor_b64 s[0:1], exec, s[0:1]
; %bb.390:
	v_bfe_u32 v2, v10, 16, 1
	s_movk_i32 s2, 0x7fff
	v_add3_u32 v2, v10, v2, s2
                                        ; implicit-def: $vgpr8_vgpr9_vgpr10
; %bb.391:
	s_andn2_saveexec_b64 s[0:1], s[0:1]
; %bb.392:
	v_mov_b32_e32 v2, 0
	v_or_b32_e32 v3, 0x10000, v10
	v_cmp_eq_u32_sdwa vcc, v10, v2 src0_sel:WORD_0 src1_sel:DWORD
	s_nop 1
	v_cndmask_b32_e32 v2, v3, v10, vcc
; %bb.393:
	s_or_b64 exec, exec, s[0:1]
	global_store_short_d16_hi v[0:1], v2, off offset:256
.LBB295_394:
	s_endpgm
	.section	.rodata,"a",@progbits
	.p2align	6, 0x0
	.amdhsa_kernel _ZN4vllm25paged_attention_v1_kernelI14__hip_bfloat16hLi192ELi8ELi128ELNS_18Fp8KVCacheDataTypeE1ELb1EEEvPT_PKS3_PKT0_S9_ifPKiSB_iPKfiiiSD_SD_iiiii
		.amdhsa_group_segment_fixed_size 400
		.amdhsa_private_segment_fixed_size 0
		.amdhsa_kernarg_size 384
		.amdhsa_user_sgpr_count 2
		.amdhsa_user_sgpr_dispatch_ptr 0
		.amdhsa_user_sgpr_queue_ptr 0
		.amdhsa_user_sgpr_kernarg_segment_ptr 1
		.amdhsa_user_sgpr_dispatch_id 0
		.amdhsa_user_sgpr_kernarg_preload_length 0
		.amdhsa_user_sgpr_kernarg_preload_offset 0
		.amdhsa_user_sgpr_private_segment_size 0
		.amdhsa_uses_dynamic_stack 0
		.amdhsa_enable_private_segment 0
		.amdhsa_system_sgpr_workgroup_id_x 1
		.amdhsa_system_sgpr_workgroup_id_y 1
		.amdhsa_system_sgpr_workgroup_id_z 1
		.amdhsa_system_sgpr_workgroup_info 0
		.amdhsa_system_vgpr_workitem_id 0
		.amdhsa_next_free_vgpr 71
		.amdhsa_next_free_sgpr 51
		.amdhsa_accum_offset 72
		.amdhsa_reserve_vcc 1
		.amdhsa_float_round_mode_32 0
		.amdhsa_float_round_mode_16_64 0
		.amdhsa_float_denorm_mode_32 3
		.amdhsa_float_denorm_mode_16_64 3
		.amdhsa_dx10_clamp 1
		.amdhsa_ieee_mode 1
		.amdhsa_fp16_overflow 0
		.amdhsa_tg_split 0
		.amdhsa_exception_fp_ieee_invalid_op 0
		.amdhsa_exception_fp_denorm_src 0
		.amdhsa_exception_fp_ieee_div_zero 0
		.amdhsa_exception_fp_ieee_overflow 0
		.amdhsa_exception_fp_ieee_underflow 0
		.amdhsa_exception_fp_ieee_inexact 0
		.amdhsa_exception_int_div_zero 0
	.end_amdhsa_kernel
	.section	.text._ZN4vllm25paged_attention_v1_kernelI14__hip_bfloat16hLi192ELi8ELi128ELNS_18Fp8KVCacheDataTypeE1ELb1EEEvPT_PKS3_PKT0_S9_ifPKiSB_iPKfiiiSD_SD_iiiii,"axG",@progbits,_ZN4vllm25paged_attention_v1_kernelI14__hip_bfloat16hLi192ELi8ELi128ELNS_18Fp8KVCacheDataTypeE1ELb1EEEvPT_PKS3_PKT0_S9_ifPKiSB_iPKfiiiSD_SD_iiiii,comdat
.Lfunc_end295:
	.size	_ZN4vllm25paged_attention_v1_kernelI14__hip_bfloat16hLi192ELi8ELi128ELNS_18Fp8KVCacheDataTypeE1ELb1EEEvPT_PKS3_PKT0_S9_ifPKiSB_iPKfiiiSD_SD_iiiii, .Lfunc_end295-_ZN4vllm25paged_attention_v1_kernelI14__hip_bfloat16hLi192ELi8ELi128ELNS_18Fp8KVCacheDataTypeE1ELb1EEEvPT_PKS3_PKT0_S9_ifPKiSB_iPKfiiiSD_SD_iiiii
                                        ; -- End function
	.section	.AMDGPU.csdata,"",@progbits
; Kernel info:
; codeLenInByte = 12672
; NumSgprs: 57
; NumVgprs: 71
; NumAgprs: 0
; TotalNumVgprs: 71
; ScratchSize: 0
; MemoryBound: 0
; FloatMode: 240
; IeeeMode: 1
; LDSByteSize: 400 bytes/workgroup (compile time only)
; SGPRBlocks: 7
; VGPRBlocks: 8
; NumSGPRsForWavesPerEU: 57
; NumVGPRsForWavesPerEU: 71
; AccumOffset: 72
; Occupancy: 7
; WaveLimiterHint : 1
; COMPUTE_PGM_RSRC2:SCRATCH_EN: 0
; COMPUTE_PGM_RSRC2:USER_SGPR: 2
; COMPUTE_PGM_RSRC2:TRAP_HANDLER: 0
; COMPUTE_PGM_RSRC2:TGID_X_EN: 1
; COMPUTE_PGM_RSRC2:TGID_Y_EN: 1
; COMPUTE_PGM_RSRC2:TGID_Z_EN: 1
; COMPUTE_PGM_RSRC2:TIDIG_COMP_CNT: 0
; COMPUTE_PGM_RSRC3_GFX90A:ACCUM_OFFSET: 17
; COMPUTE_PGM_RSRC3_GFX90A:TG_SPLIT: 0
	.section	.text._ZN4vllm25paged_attention_v1_kernelI14__hip_bfloat16hLi256ELi8ELi128ELNS_18Fp8KVCacheDataTypeE1ELb1EEEvPT_PKS3_PKT0_S9_ifPKiSB_iPKfiiiSD_SD_iiiii,"axG",@progbits,_ZN4vllm25paged_attention_v1_kernelI14__hip_bfloat16hLi256ELi8ELi128ELNS_18Fp8KVCacheDataTypeE1ELb1EEEvPT_PKS3_PKT0_S9_ifPKiSB_iPKfiiiSD_SD_iiiii,comdat
	.protected	_ZN4vllm25paged_attention_v1_kernelI14__hip_bfloat16hLi256ELi8ELi128ELNS_18Fp8KVCacheDataTypeE1ELb1EEEvPT_PKS3_PKT0_S9_ifPKiSB_iPKfiiiSD_SD_iiiii ; -- Begin function _ZN4vllm25paged_attention_v1_kernelI14__hip_bfloat16hLi256ELi8ELi128ELNS_18Fp8KVCacheDataTypeE1ELb1EEEvPT_PKS3_PKT0_S9_ifPKiSB_iPKfiiiSD_SD_iiiii
	.globl	_ZN4vllm25paged_attention_v1_kernelI14__hip_bfloat16hLi256ELi8ELi128ELNS_18Fp8KVCacheDataTypeE1ELb1EEEvPT_PKS3_PKT0_S9_ifPKiSB_iPKfiiiSD_SD_iiiii
	.p2align	8
	.type	_ZN4vllm25paged_attention_v1_kernelI14__hip_bfloat16hLi256ELi8ELi128ELNS_18Fp8KVCacheDataTypeE1ELb1EEEvPT_PKS3_PKT0_S9_ifPKiSB_iPKfiiiSD_SD_iiiii,@function
_ZN4vllm25paged_attention_v1_kernelI14__hip_bfloat16hLi256ELi8ELi128ELNS_18Fp8KVCacheDataTypeE1ELb1EEEvPT_PKS3_PKT0_S9_ifPKiSB_iPKfiiiSD_SD_iiiii: ; @_ZN4vllm25paged_attention_v1_kernelI14__hip_bfloat16hLi256ELi8ELi128ELNS_18Fp8KVCacheDataTypeE1ELb1EEEvPT_PKS3_PKT0_S9_ifPKiSB_iPKfiiiSD_SD_iiiii
; %bb.0:
	s_load_dword s5, s[0:1], 0x80
	s_load_dwordx2 s[6:7], s[0:1], 0x30
	s_load_dwordx2 s[24:25], s[0:1], 0x20
	s_mov_b32 s28, s3
	s_ashr_i32 s29, s3, 31
	s_lshl_b64 s[8:9], s[28:29], 2
	s_waitcnt lgkmcnt(0)
	s_add_u32 s6, s6, s8
	s_addc_u32 s7, s7, s9
	s_abs_i32 s3, s24
	v_cvt_f32_u32_e32 v1, s3
	s_sub_i32 s10, 0, s3
	s_abs_i32 s9, s5
	s_xor_b32 s8, s5, s24
	v_rcp_iflag_f32_e32 v1, v1
	s_ashr_i32 s8, s8, 31
	s_mov_b32 s45, 0
	v_mul_f32_e32 v1, 0x4f7ffffe, v1
	v_cvt_u32_f32_e32 v1, v1
	s_nop 0
	v_readfirstlane_b32 s11, v1
	s_mul_i32 s10, s10, s11
	s_mul_hi_u32 s10, s11, s10
	s_add_i32 s11, s11, s10
	s_mul_hi_u32 s10, s9, s11
	s_mul_i32 s11, s10, s3
	s_sub_i32 s9, s9, s11
	s_add_i32 s11, s10, 1
	s_sub_i32 s12, s9, s3
	s_cmp_ge_u32 s9, s3
	s_cselect_b32 s10, s11, s10
	s_cselect_b32 s9, s12, s9
	s_add_i32 s11, s10, 1
	s_cmp_ge_u32 s9, s3
	s_cselect_b32 s3, s11, s10
	s_xor_b32 s3, s3, s8
	s_sub_i32 s20, s3, s8
	s_abs_i32 s26, s20
	v_cvt_f32_u32_e32 v1, s26
	s_load_dwordx2 s[8:9], s[0:1], 0x40
	s_sub_i32 s3, 0, s26
	s_abs_i32 s27, s2
	v_rcp_iflag_f32_e32 v1, v1
	s_nop 0
	v_mul_f32_e32 v1, 0x4f7ffffe, v1
	v_cvt_u32_f32_e32 v1, v1
	s_nop 0
	v_readfirstlane_b32 s12, v1
	s_mul_i32 s3, s3, s12
	s_mul_hi_u32 s3, s12, s3
	s_add_i32 s12, s12, s3
	s_waitcnt lgkmcnt(0)
	s_cmp_eq_u64 s[8:9], 0
	s_cbranch_scc1 .LBB296_2
; %bb.1:
	s_ashr_i32 s3, s2, 31
	s_lshl_b64 s[10:11], s[2:3], 2
	s_add_u32 s8, s8, s10
	s_addc_u32 s9, s9, s11
	s_load_dword s45, s[8:9], 0x0
.LBB296_2:
	s_load_dwordx2 s[30:31], s[0:1], 0x0
	s_nop 0
	s_load_dwordx4 s[8:11], s[0:1], 0x10
	s_load_dword s29, s[0:1], 0x88
	s_load_dword s33, s[6:7], 0x0
	s_load_dwordx2 s[36:37], s[0:1], 0x28
	s_load_dwordx4 s[16:19], s[0:1], 0x48
	s_lshl_b32 s34, s2, 8
	s_movk_i32 s6, 0x100
	s_mul_hi_u32 s3, s27, s12
	v_and_b32_e32 v18, 7, v0
	s_ashr_i32 s35, s34, 31
	v_cmp_gt_u32_e32 vcc, s6, v0
	s_and_saveexec_b64 s[6:7], vcc
	s_cbranch_execz .LBB296_5
; %bb.3:
	s_load_dwordx2 s[12:13], s[0:1], 0x8
	s_waitcnt lgkmcnt(0)
	s_mul_i32 s14, s28, s16
	s_ashr_i32 s15, s14, 31
	s_lshl_b64 s[14:15], s[14:15], 1
	s_lshl_b64 s[22:23], s[34:35], 1
	v_lshrrev_b32_e32 v2, 3, v0
	s_add_u32 s14, s14, s22
	v_lshlrev_b32_e32 v3, 1, v2
	s_addc_u32 s15, s15, s23
	v_lshl_add_u32 v4, v18, 6, v3
	v_lshlrev_b32_e32 v3, 1, v18
	s_add_u32 s12, s12, s14
	v_add_u32_e32 v1, -16, v2
	v_lshl_or_b32 v2, v2, 4, v3
	v_mov_b32_e32 v3, 0
	s_addc_u32 s13, s13, s15
	v_lshl_add_u64 v[2:3], s[12:13], 0, v[2:3]
	s_mov_b64 s[12:13], 0
	s_mov_b64 s[14:15], 0x100
.LBB296_4:                              ; =>This Inner Loop Header: Depth=1
	global_load_ushort v5, v[2:3], off
	v_add_co_u32_e32 v1, vcc, 16, v1
	s_xor_b64 s[22:23], vcc, -1
	s_and_b64 s[22:23], exec, s[22:23]
	v_lshl_add_u64 v[2:3], v[2:3], 0, s[14:15]
	s_or_b64 s[12:13], s[22:23], s[12:13]
	s_waitcnt vmcnt(0)
	ds_write_b16 v4, v5
	v_add_u32_e32 v4, 32, v4
	s_andn2_b64 exec, exec, s[12:13]
	s_cbranch_execnz .LBB296_4
.LBB296_5:
	s_or_b64 exec, exec, s[6:7]
	s_ashr_i32 s6, s2, 31
	s_ashr_i32 s7, s20, 31
	s_xor_b32 s6, s6, s7
	s_mul_i32 s7, s3, s26
	s_sub_i32 s7, s27, s7
	s_add_i32 s13, s3, 1
	s_sub_i32 s14, s7, s26
	s_load_dwordx4 s[20:23], s[0:1], 0x68
	s_load_dword s12, s[0:1], 0x78
	s_cmp_ge_u32 s7, s26
	s_cselect_b32 s3, s13, s3
	s_cselect_b32 s7, s14, s7
	s_add_i32 s13, s3, 1
	s_cmp_ge_u32 s7, s26
	s_cselect_b32 s3, s13, s3
	s_waitcnt lgkmcnt(0)
	s_abs_i32 s16, s23
	v_cvt_f32_u32_e32 v1, s16
	s_xor_b32 s3, s3, s6
	s_sub_i32 s44, s3, s6
	s_sub_i32 s6, 0, s16
	v_rcp_iflag_f32_e32 v1, v1
	s_add_i32 s13, s33, -1
	s_abs_i32 s3, s13
	v_mul_f32_e32 v1, 0x4f7ffffe, v1
	v_cvt_u32_f32_e32 v1, v1
	s_barrier
	v_readfirstlane_b32 s35, v1
	s_mul_i32 s6, s6, s35
	s_mul_hi_u32 s6, s35, s6
	s_add_i32 s35, s35, s6
	s_cmp_lt_i32 s12, 0
	s_mul_hi_u32 s19, s3, s35
	s_cbranch_scc0 .LBB296_7
; %bb.6:
	s_mul_i32 s6, s20, s24
	s_add_i32 s6, s44, s6
	s_mul_i32 s6, s6, s12
	s_sub_i32 s42, 1, s6
	s_ashr_i32 s24, s13, 31
	s_ashr_i32 s23, s23, 31
	s_cbranch_execz .LBB296_8
	s_branch .LBB296_9
.LBB296_7:
                                        ; implicit-def: $sgpr42
	s_ashr_i32 s24, s13, 31
	s_ashr_i32 s23, s23, 31
.LBB296_8:
	s_mul_i32 s6, s5, s20
	s_add_i32 s2, s6, s2
	s_mul_i32 s2, s2, s12
	s_add_i32 s42, s2, 1
.LBB296_9:
	s_load_dword s2, s[0:1], 0x38
	s_load_dwordx4 s[12:15], s[0:1], 0x58
	s_mul_i32 s1, s19, s16
	s_sub_i32 s1, s3, s1
	s_xor_b32 s0, s24, s23
	s_waitcnt lgkmcnt(0)
	s_mul_i32 s38, s28, s2
	s_ashr_i32 s39, s38, 31
	s_add_i32 s2, s19, 1
	s_sub_i32 s3, s1, s16
	s_cmp_ge_u32 s1, s16
	s_cselect_b32 s2, s2, s19
	s_cselect_b32 s1, s3, s1
	s_add_i32 s3, s2, 1
	s_cmp_ge_u32 s1, s16
	s_cselect_b32 s1, s3, s2
	s_xor_b32 s1, s1, s0
	s_sub_i32 s43, s1, s0
	s_add_i32 s0, s33, 7
	s_ashr_i32 s1, s0, 31
	s_lshr_b32 s1, s1, 29
	s_add_i32 s0, s0, s1
	s_ashr_i32 s20, s0, 3
	v_lshrrev_b32_e32 v1, 6, v0
	v_cmp_gt_i32_e64 s[0:1], s20, v1
	v_mov_b32_e32 v31, 0xff7fffff
	s_mul_i32 s44, s44, s18
	v_lshrrev_b32_e32 v27, 4, v0
	v_lshlrev_b32_e32 v26, 3, v1
	v_mbcnt_lo_u32_b32 v28, -1, 0
	s_and_saveexec_b64 s[18:19], s[0:1]
	s_cbranch_execz .LBB296_147
; %bb.10:
	s_sub_i32 s24, s43, s21
	s_ashr_i32 s3, s44, 31
	s_add_u32 s2, s8, s44
	s_addc_u32 s3, s9, s3
	s_abs_i32 s46, s22
	v_cvt_f32_u32_e32 v3, s46
	v_bfe_u32 v29, v0, 3, 3
	v_mov_b32_e32 v19, 0
	v_lshlrev_b32_e32 v2, 4, v29
	v_rcp_iflag_f32_e32 v4, v3
	v_mov_b32_e32 v3, v19
	v_lshl_add_u64 v[20:21], s[2:3], 0, v[2:3]
	s_sub_i32 s6, 0, s46
	v_mul_f32_e32 v2, 0x4f7ffffe, v4
	v_cvt_u32_f32_e32 v2, v2
	v_cmp_eq_u32_e32 vcc, 0, v18
	s_mov_b32 s47, s17
	v_lshlrev_b32_e32 v30, 6, v18
	v_mul_lo_u32 v3, s6, v2
	s_lshl_b64 s[6:7], s[38:39], 2
	v_mul_hi_u32 v3, v2, v3
	s_add_u32 s6, s36, s6
	v_add_u32_e32 v32, v2, v3
	v_and_b32_e32 v2, 60, v27
	v_mov_b32_e32 v3, v19
	s_addc_u32 s7, s37, s7
	v_lshl_add_u64 v[22:23], s[6:7], 0, v[2:3]
	v_lshlrev_b32_e32 v2, 2, v29
	v_lshl_or_b32 v2, v1, 5, v2
	v_add_u32_e32 v34, 0x210, v2
	v_subrev_u32_e32 v2, s33, v29
	v_cmp_neq_f32_e64 s[2:3], s45, 0
	v_lshlrev_b32_e32 v33, 3, v1
	v_add_u32_e32 v35, 1, v2
	s_mov_b64 s[26:27], 0
	v_mov_b32_e32 v36, 0xff7fffff
	s_mov_b32 s48, 0x7f800000
	s_movk_i32 s49, 0x7fff
	v_mbcnt_hi_u32_b32 v37, -1, v28
	v_mov_b32_e32 v31, 0xff7fffff
	v_mov_b32_e32 v38, v1
	s_branch .LBB296_13
.LBB296_11:                             ;   in Loop: Header=BB296_13 Depth=1
	s_or_b64 exec, exec, s[40:41]
.LBB296_12:                             ;   in Loop: Header=BB296_13 Depth=1
	s_or_b64 exec, exec, s[8:9]
	v_add_u32_e32 v38, 2, v38
	v_cmp_le_i32_e64 s[6:7], s20, v38
	v_lshl_add_u64 v[22:23], v[22:23], 0, 8
	v_add_u32_e32 v33, 16, v33
	s_or_b64 s[26:27], s[6:7], s[26:27]
	v_add_u32_e32 v34, 64, v34
	s_andn2_b64 exec, exec, s[26:27]
	s_cbranch_execz .LBB296_146
.LBB296_13:                             ; =>This Inner Loop Header: Depth=1
	v_mul_hi_u32 v2, v33, s35
	s_waitcnt lgkmcnt(0)
	v_mul_lo_u32 v3, v2, s16
	v_sub_u32_e32 v3, v33, v3
	v_add_u32_e32 v4, 1, v2
	v_cmp_le_u32_e64 s[6:7], s16, v3
	s_nop 1
	v_cndmask_b32_e64 v2, v2, v4, s[6:7]
	v_subrev_u32_e32 v4, s16, v3
	v_cndmask_b32_e64 v3, v3, v4, s[6:7]
	v_add_u32_e32 v4, 1, v2
	v_cmp_le_u32_e64 s[6:7], s16, v3
	s_nop 1
	v_cndmask_b32_e64 v2, v2, v4, s[6:7]
	v_xor_b32_e32 v2, s23, v2
	v_subrev_u32_e32 v2, s23, v2
	v_add_u32_e32 v3, s42, v2
	v_sub_u32_e32 v5, 0, v3
	v_ashrrev_i32_e32 v4, 31, v3
	v_max_i32_e32 v3, v3, v5
	v_mul_hi_u32 v5, v3, v32
	v_mul_lo_u32 v5, v5, s46
	v_sub_u32_e32 v3, v3, v5
	v_subrev_u32_e32 v5, s46, v3
	v_cmp_le_u32_e64 s[6:7], s46, v3
	v_cmp_ge_i32_e64 s[8:9], s24, v2
	s_nop 0
	v_cndmask_b32_e64 v3, v3, v5, s[6:7]
	v_subrev_u32_e32 v5, s46, v3
	v_cmp_le_u32_e64 s[6:7], s46, v3
	s_nop 1
	v_cndmask_b32_e64 v3, v3, v5, s[6:7]
	v_xor_b32_e32 v3, v3, v4
	v_sub_u32_e32 v3, v3, v4
	v_cmp_ne_u32_e64 s[6:7], 0, v3
	s_and_b64 s[6:7], s[6:7], s[8:9]
	s_and_b64 s[40:41], vcc, s[6:7]
	s_and_saveexec_b64 s[8:9], s[40:41]
	s_cbranch_execz .LBB296_15
; %bb.14:                               ;   in Loop: Header=BB296_13 Depth=1
	ds_write_b32 v34, v36
.LBB296_15:                             ;   in Loop: Header=BB296_13 Depth=1
	s_or_b64 exec, exec, s[8:9]
	s_xor_b64 s[6:7], s[6:7], -1
	s_and_saveexec_b64 s[8:9], s[6:7]
	s_cbranch_execz .LBB296_12
; %bb.16:                               ;   in Loop: Header=BB296_13 Depth=1
	global_load_dword v2, v[22:23], off
	s_waitcnt vmcnt(0)
	v_mad_i64_i32 v[2:3], s[6:7], v2, s47, v[20:21]
	v_lshl_add_u64 v[24:25], v[2:3], 0, v[18:19]
	global_load_ubyte v2, v[24:25], off
	ds_read_b128 v[14:17], v30
	ds_read_b128 v[10:13], v30 offset:16
	s_load_dword s50, s[12:13], 0x0
	s_waitcnt vmcnt(0)
	v_cvt_f32_fp8_sdwa v39, v2 src0_sel:BYTE_0
	ds_read_b128 v[6:9], v30 offset:32
	ds_read_b128 v[2:5], v30 offset:48
	s_waitcnt lgkmcnt(0)
	v_mul_f32_e32 v40, s50, v39
	v_and_b32_e32 v39, 0x7f800000, v40
	v_cmp_ne_u32_e64 s[6:7], s48, v39
                                        ; implicit-def: $vgpr39
	s_and_saveexec_b64 s[40:41], s[6:7]
	s_xor_b64 s[6:7], exec, s[40:41]
; %bb.17:                               ;   in Loop: Header=BB296_13 Depth=1
	v_bfe_u32 v39, v40, 16, 1
	v_add3_u32 v39, v40, v39, s49
                                        ; implicit-def: $vgpr40
; %bb.18:                               ;   in Loop: Header=BB296_13 Depth=1
	s_andn2_saveexec_b64 s[40:41], s[6:7]
; %bb.19:                               ;   in Loop: Header=BB296_13 Depth=1
	v_or_b32_e32 v39, 0x10000, v40
	v_cmp_eq_u32_sdwa s[6:7], v40, v19 src0_sel:WORD_0 src1_sel:DWORD
	s_nop 1
	v_cndmask_b32_e64 v39, v39, v40, s[6:7]
; %bb.20:                               ;   in Loop: Header=BB296_13 Depth=1
	s_or_b64 exec, exec, s[40:41]
	global_load_ubyte v40, v[24:25], off offset:8
	s_waitcnt vmcnt(0)
	v_cvt_f32_fp8_sdwa v40, v40 src0_sel:BYTE_0
	s_nop 0
	v_mul_f32_e32 v41, s50, v40
	v_and_b32_e32 v40, 0x7f800000, v41
	v_cmp_ne_u32_e64 s[6:7], s48, v40
                                        ; implicit-def: $vgpr40
	s_and_saveexec_b64 s[40:41], s[6:7]
	s_xor_b64 s[6:7], exec, s[40:41]
; %bb.21:                               ;   in Loop: Header=BB296_13 Depth=1
	v_bfe_u32 v40, v41, 16, 1
	v_add3_u32 v40, v41, v40, s49
                                        ; implicit-def: $vgpr41
; %bb.22:                               ;   in Loop: Header=BB296_13 Depth=1
	s_andn2_saveexec_b64 s[40:41], s[6:7]
; %bb.23:                               ;   in Loop: Header=BB296_13 Depth=1
	v_or_b32_e32 v40, 0x10000, v41
	v_cmp_eq_u32_sdwa s[6:7], v41, v19 src0_sel:WORD_0 src1_sel:DWORD
	s_nop 1
	v_cndmask_b32_e64 v40, v40, v41, s[6:7]
; %bb.24:                               ;   in Loop: Header=BB296_13 Depth=1
	s_or_b64 exec, exec, s[40:41]
	global_load_ubyte v41, v[24:25], off offset:128
	s_waitcnt vmcnt(0)
	v_cvt_f32_fp8_sdwa v41, v41 src0_sel:BYTE_0
	s_nop 0
	v_mul_f32_e32 v42, s50, v41
	v_and_b32_e32 v41, 0x7f800000, v42
	v_cmp_ne_u32_e64 s[6:7], s48, v41
                                        ; implicit-def: $vgpr41
	s_and_saveexec_b64 s[40:41], s[6:7]
	s_xor_b64 s[6:7], exec, s[40:41]
; %bb.25:                               ;   in Loop: Header=BB296_13 Depth=1
	v_bfe_u32 v41, v42, 16, 1
	v_add3_u32 v41, v42, v41, s49
                                        ; implicit-def: $vgpr42
; %bb.26:                               ;   in Loop: Header=BB296_13 Depth=1
	s_andn2_saveexec_b64 s[40:41], s[6:7]
; %bb.27:                               ;   in Loop: Header=BB296_13 Depth=1
	v_or_b32_e32 v41, 0x10000, v42
	v_cmp_eq_u32_sdwa s[6:7], v42, v19 src0_sel:WORD_0 src1_sel:DWORD
	s_nop 1
	v_cndmask_b32_e64 v41, v41, v42, s[6:7]
; %bb.28:                               ;   in Loop: Header=BB296_13 Depth=1
	s_or_b64 exec, exec, s[40:41]
	global_load_ubyte v42, v[24:25], off offset:136
	s_waitcnt vmcnt(0)
	v_cvt_f32_fp8_sdwa v42, v42 src0_sel:BYTE_0
	s_nop 0
	v_mul_f32_e32 v43, s50, v42
	v_and_b32_e32 v42, 0x7f800000, v43
	v_cmp_ne_u32_e64 s[6:7], s48, v42
                                        ; implicit-def: $vgpr42
	s_and_saveexec_b64 s[40:41], s[6:7]
	s_xor_b64 s[6:7], exec, s[40:41]
; %bb.29:                               ;   in Loop: Header=BB296_13 Depth=1
	v_bfe_u32 v42, v43, 16, 1
	v_add3_u32 v42, v43, v42, s49
                                        ; implicit-def: $vgpr43
; %bb.30:                               ;   in Loop: Header=BB296_13 Depth=1
	s_andn2_saveexec_b64 s[40:41], s[6:7]
; %bb.31:                               ;   in Loop: Header=BB296_13 Depth=1
	v_or_b32_e32 v42, 0x10000, v43
	v_cmp_eq_u32_sdwa s[6:7], v43, v19 src0_sel:WORD_0 src1_sel:DWORD
	s_nop 1
	v_cndmask_b32_e64 v42, v42, v43, s[6:7]
; %bb.32:                               ;   in Loop: Header=BB296_13 Depth=1
	s_or_b64 exec, exec, s[40:41]
	global_load_ubyte v43, v[24:25], off offset:256
	s_waitcnt vmcnt(0)
	v_cvt_f32_fp8_sdwa v43, v43 src0_sel:BYTE_0
	s_nop 0
	v_mul_f32_e32 v44, s50, v43
	v_and_b32_e32 v43, 0x7f800000, v44
	v_cmp_ne_u32_e64 s[6:7], s48, v43
                                        ; implicit-def: $vgpr43
	s_and_saveexec_b64 s[40:41], s[6:7]
	s_xor_b64 s[6:7], exec, s[40:41]
; %bb.33:                               ;   in Loop: Header=BB296_13 Depth=1
	v_bfe_u32 v43, v44, 16, 1
	v_add3_u32 v43, v44, v43, s49
                                        ; implicit-def: $vgpr44
; %bb.34:                               ;   in Loop: Header=BB296_13 Depth=1
	s_andn2_saveexec_b64 s[40:41], s[6:7]
; %bb.35:                               ;   in Loop: Header=BB296_13 Depth=1
	v_or_b32_e32 v43, 0x10000, v44
	v_cmp_eq_u32_sdwa s[6:7], v44, v19 src0_sel:WORD_0 src1_sel:DWORD
	s_nop 1
	v_cndmask_b32_e64 v43, v43, v44, s[6:7]
; %bb.36:                               ;   in Loop: Header=BB296_13 Depth=1
	s_or_b64 exec, exec, s[40:41]
	global_load_ubyte v44, v[24:25], off offset:264
	s_waitcnt vmcnt(0)
	v_cvt_f32_fp8_sdwa v44, v44 src0_sel:BYTE_0
	s_nop 0
	v_mul_f32_e32 v45, s50, v44
	v_and_b32_e32 v44, 0x7f800000, v45
	v_cmp_ne_u32_e64 s[6:7], s48, v44
                                        ; implicit-def: $vgpr44
	s_and_saveexec_b64 s[40:41], s[6:7]
	s_xor_b64 s[6:7], exec, s[40:41]
; %bb.37:                               ;   in Loop: Header=BB296_13 Depth=1
	v_bfe_u32 v44, v45, 16, 1
	v_add3_u32 v44, v45, v44, s49
                                        ; implicit-def: $vgpr45
; %bb.38:                               ;   in Loop: Header=BB296_13 Depth=1
	s_andn2_saveexec_b64 s[40:41], s[6:7]
; %bb.39:                               ;   in Loop: Header=BB296_13 Depth=1
	v_or_b32_e32 v44, 0x10000, v45
	v_cmp_eq_u32_sdwa s[6:7], v45, v19 src0_sel:WORD_0 src1_sel:DWORD
	s_nop 1
	v_cndmask_b32_e64 v44, v44, v45, s[6:7]
; %bb.40:                               ;   in Loop: Header=BB296_13 Depth=1
	s_or_b64 exec, exec, s[40:41]
	global_load_ubyte v45, v[24:25], off offset:384
	s_waitcnt vmcnt(0)
	v_cvt_f32_fp8_sdwa v45, v45 src0_sel:BYTE_0
	s_nop 0
	v_mul_f32_e32 v46, s50, v45
	v_and_b32_e32 v45, 0x7f800000, v46
	v_cmp_ne_u32_e64 s[6:7], s48, v45
                                        ; implicit-def: $vgpr45
	s_and_saveexec_b64 s[40:41], s[6:7]
	s_xor_b64 s[6:7], exec, s[40:41]
; %bb.41:                               ;   in Loop: Header=BB296_13 Depth=1
	v_bfe_u32 v45, v46, 16, 1
	v_add3_u32 v45, v46, v45, s49
                                        ; implicit-def: $vgpr46
; %bb.42:                               ;   in Loop: Header=BB296_13 Depth=1
	s_andn2_saveexec_b64 s[40:41], s[6:7]
; %bb.43:                               ;   in Loop: Header=BB296_13 Depth=1
	v_or_b32_e32 v45, 0x10000, v46
	v_cmp_eq_u32_sdwa s[6:7], v46, v19 src0_sel:WORD_0 src1_sel:DWORD
	s_nop 1
	v_cndmask_b32_e64 v45, v45, v46, s[6:7]
; %bb.44:                               ;   in Loop: Header=BB296_13 Depth=1
	s_or_b64 exec, exec, s[40:41]
	global_load_ubyte v46, v[24:25], off offset:392
	s_waitcnt vmcnt(0)
	v_cvt_f32_fp8_sdwa v46, v46 src0_sel:BYTE_0
	s_nop 0
	v_mul_f32_e32 v47, s50, v46
	v_and_b32_e32 v46, 0x7f800000, v47
	v_cmp_ne_u32_e64 s[6:7], s48, v46
                                        ; implicit-def: $vgpr46
	s_and_saveexec_b64 s[40:41], s[6:7]
	s_xor_b64 s[6:7], exec, s[40:41]
; %bb.45:                               ;   in Loop: Header=BB296_13 Depth=1
	v_bfe_u32 v46, v47, 16, 1
	v_add3_u32 v46, v47, v46, s49
                                        ; implicit-def: $vgpr47
; %bb.46:                               ;   in Loop: Header=BB296_13 Depth=1
	s_andn2_saveexec_b64 s[40:41], s[6:7]
; %bb.47:                               ;   in Loop: Header=BB296_13 Depth=1
	v_or_b32_e32 v46, 0x10000, v47
	v_cmp_eq_u32_sdwa s[6:7], v47, v19 src0_sel:WORD_0 src1_sel:DWORD
	s_nop 1
	v_cndmask_b32_e64 v46, v46, v47, s[6:7]
; %bb.48:                               ;   in Loop: Header=BB296_13 Depth=1
	s_or_b64 exec, exec, s[40:41]
	global_load_ubyte v47, v[24:25], off offset:512
	s_waitcnt vmcnt(0)
	v_cvt_f32_fp8_sdwa v47, v47 src0_sel:BYTE_0
	s_nop 0
	v_mul_f32_e32 v48, s50, v47
	v_and_b32_e32 v47, 0x7f800000, v48
	v_cmp_ne_u32_e64 s[6:7], s48, v47
                                        ; implicit-def: $vgpr47
	s_and_saveexec_b64 s[40:41], s[6:7]
	s_xor_b64 s[6:7], exec, s[40:41]
; %bb.49:                               ;   in Loop: Header=BB296_13 Depth=1
	v_bfe_u32 v47, v48, 16, 1
	v_add3_u32 v47, v48, v47, s49
                                        ; implicit-def: $vgpr48
; %bb.50:                               ;   in Loop: Header=BB296_13 Depth=1
	s_andn2_saveexec_b64 s[40:41], s[6:7]
; %bb.51:                               ;   in Loop: Header=BB296_13 Depth=1
	v_or_b32_e32 v47, 0x10000, v48
	v_cmp_eq_u32_sdwa s[6:7], v48, v19 src0_sel:WORD_0 src1_sel:DWORD
	s_nop 1
	v_cndmask_b32_e64 v47, v47, v48, s[6:7]
; %bb.52:                               ;   in Loop: Header=BB296_13 Depth=1
	s_or_b64 exec, exec, s[40:41]
	global_load_ubyte v48, v[24:25], off offset:520
	s_waitcnt vmcnt(0)
	v_cvt_f32_fp8_sdwa v48, v48 src0_sel:BYTE_0
	s_nop 0
	v_mul_f32_e32 v49, s50, v48
	v_and_b32_e32 v48, 0x7f800000, v49
	v_cmp_ne_u32_e64 s[6:7], s48, v48
                                        ; implicit-def: $vgpr48
	s_and_saveexec_b64 s[40:41], s[6:7]
	s_xor_b64 s[6:7], exec, s[40:41]
; %bb.53:                               ;   in Loop: Header=BB296_13 Depth=1
	v_bfe_u32 v48, v49, 16, 1
	v_add3_u32 v48, v49, v48, s49
                                        ; implicit-def: $vgpr49
; %bb.54:                               ;   in Loop: Header=BB296_13 Depth=1
	s_andn2_saveexec_b64 s[40:41], s[6:7]
; %bb.55:                               ;   in Loop: Header=BB296_13 Depth=1
	v_or_b32_e32 v48, 0x10000, v49
	v_cmp_eq_u32_sdwa s[6:7], v49, v19 src0_sel:WORD_0 src1_sel:DWORD
	s_nop 1
	v_cndmask_b32_e64 v48, v48, v49, s[6:7]
; %bb.56:                               ;   in Loop: Header=BB296_13 Depth=1
	s_or_b64 exec, exec, s[40:41]
	global_load_ubyte v49, v[24:25], off offset:640
	s_waitcnt vmcnt(0)
	v_cvt_f32_fp8_sdwa v49, v49 src0_sel:BYTE_0
	s_nop 0
	v_mul_f32_e32 v50, s50, v49
	v_and_b32_e32 v49, 0x7f800000, v50
	v_cmp_ne_u32_e64 s[6:7], s48, v49
                                        ; implicit-def: $vgpr49
	s_and_saveexec_b64 s[40:41], s[6:7]
	s_xor_b64 s[6:7], exec, s[40:41]
; %bb.57:                               ;   in Loop: Header=BB296_13 Depth=1
	v_bfe_u32 v49, v50, 16, 1
	v_add3_u32 v49, v50, v49, s49
                                        ; implicit-def: $vgpr50
; %bb.58:                               ;   in Loop: Header=BB296_13 Depth=1
	s_andn2_saveexec_b64 s[40:41], s[6:7]
; %bb.59:                               ;   in Loop: Header=BB296_13 Depth=1
	v_or_b32_e32 v49, 0x10000, v50
	v_cmp_eq_u32_sdwa s[6:7], v50, v19 src0_sel:WORD_0 src1_sel:DWORD
	s_nop 1
	v_cndmask_b32_e64 v49, v49, v50, s[6:7]
; %bb.60:                               ;   in Loop: Header=BB296_13 Depth=1
	s_or_b64 exec, exec, s[40:41]
	global_load_ubyte v50, v[24:25], off offset:648
	s_waitcnt vmcnt(0)
	v_cvt_f32_fp8_sdwa v50, v50 src0_sel:BYTE_0
	s_nop 0
	v_mul_f32_e32 v51, s50, v50
	v_and_b32_e32 v50, 0x7f800000, v51
	v_cmp_ne_u32_e64 s[6:7], s48, v50
                                        ; implicit-def: $vgpr50
	s_and_saveexec_b64 s[40:41], s[6:7]
	s_xor_b64 s[6:7], exec, s[40:41]
; %bb.61:                               ;   in Loop: Header=BB296_13 Depth=1
	v_bfe_u32 v50, v51, 16, 1
	v_add3_u32 v50, v51, v50, s49
                                        ; implicit-def: $vgpr51
; %bb.62:                               ;   in Loop: Header=BB296_13 Depth=1
	s_andn2_saveexec_b64 s[40:41], s[6:7]
; %bb.63:                               ;   in Loop: Header=BB296_13 Depth=1
	v_or_b32_e32 v50, 0x10000, v51
	v_cmp_eq_u32_sdwa s[6:7], v51, v19 src0_sel:WORD_0 src1_sel:DWORD
	s_nop 1
	v_cndmask_b32_e64 v50, v50, v51, s[6:7]
; %bb.64:                               ;   in Loop: Header=BB296_13 Depth=1
	s_or_b64 exec, exec, s[40:41]
	global_load_ubyte v51, v[24:25], off offset:768
	s_waitcnt vmcnt(0)
	v_cvt_f32_fp8_sdwa v51, v51 src0_sel:BYTE_0
	s_nop 0
	v_mul_f32_e32 v52, s50, v51
	v_and_b32_e32 v51, 0x7f800000, v52
	v_cmp_ne_u32_e64 s[6:7], s48, v51
                                        ; implicit-def: $vgpr51
	s_and_saveexec_b64 s[40:41], s[6:7]
	s_xor_b64 s[6:7], exec, s[40:41]
; %bb.65:                               ;   in Loop: Header=BB296_13 Depth=1
	v_bfe_u32 v51, v52, 16, 1
	v_add3_u32 v51, v52, v51, s49
                                        ; implicit-def: $vgpr52
; %bb.66:                               ;   in Loop: Header=BB296_13 Depth=1
	s_andn2_saveexec_b64 s[40:41], s[6:7]
; %bb.67:                               ;   in Loop: Header=BB296_13 Depth=1
	v_or_b32_e32 v51, 0x10000, v52
	v_cmp_eq_u32_sdwa s[6:7], v52, v19 src0_sel:WORD_0 src1_sel:DWORD
	s_nop 1
	v_cndmask_b32_e64 v51, v51, v52, s[6:7]
; %bb.68:                               ;   in Loop: Header=BB296_13 Depth=1
	s_or_b64 exec, exec, s[40:41]
	global_load_ubyte v52, v[24:25], off offset:776
	s_waitcnt vmcnt(0)
	v_cvt_f32_fp8_sdwa v52, v52 src0_sel:BYTE_0
	s_nop 0
	v_mul_f32_e32 v53, s50, v52
	v_and_b32_e32 v52, 0x7f800000, v53
	v_cmp_ne_u32_e64 s[6:7], s48, v52
                                        ; implicit-def: $vgpr52
	s_and_saveexec_b64 s[40:41], s[6:7]
	s_xor_b64 s[6:7], exec, s[40:41]
; %bb.69:                               ;   in Loop: Header=BB296_13 Depth=1
	v_bfe_u32 v52, v53, 16, 1
	v_add3_u32 v52, v53, v52, s49
                                        ; implicit-def: $vgpr53
; %bb.70:                               ;   in Loop: Header=BB296_13 Depth=1
	s_andn2_saveexec_b64 s[40:41], s[6:7]
; %bb.71:                               ;   in Loop: Header=BB296_13 Depth=1
	v_or_b32_e32 v52, 0x10000, v53
	v_cmp_eq_u32_sdwa s[6:7], v53, v19 src0_sel:WORD_0 src1_sel:DWORD
	s_nop 1
	v_cndmask_b32_e64 v52, v52, v53, s[6:7]
; %bb.72:                               ;   in Loop: Header=BB296_13 Depth=1
	s_or_b64 exec, exec, s[40:41]
	global_load_ubyte v53, v[24:25], off offset:896
	s_waitcnt vmcnt(0)
	v_cvt_f32_fp8_sdwa v53, v53 src0_sel:BYTE_0
	s_nop 0
	v_mul_f32_e32 v54, s50, v53
	v_and_b32_e32 v53, 0x7f800000, v54
	v_cmp_ne_u32_e64 s[6:7], s48, v53
                                        ; implicit-def: $vgpr53
	s_and_saveexec_b64 s[40:41], s[6:7]
	s_xor_b64 s[6:7], exec, s[40:41]
; %bb.73:                               ;   in Loop: Header=BB296_13 Depth=1
	v_bfe_u32 v53, v54, 16, 1
	v_add3_u32 v53, v54, v53, s49
                                        ; implicit-def: $vgpr54
; %bb.74:                               ;   in Loop: Header=BB296_13 Depth=1
	s_andn2_saveexec_b64 s[40:41], s[6:7]
; %bb.75:                               ;   in Loop: Header=BB296_13 Depth=1
	v_or_b32_e32 v53, 0x10000, v54
	v_cmp_eq_u32_sdwa s[6:7], v54, v19 src0_sel:WORD_0 src1_sel:DWORD
	s_nop 1
	v_cndmask_b32_e64 v53, v53, v54, s[6:7]
; %bb.76:                               ;   in Loop: Header=BB296_13 Depth=1
	s_or_b64 exec, exec, s[40:41]
	global_load_ubyte v54, v[24:25], off offset:904
	s_waitcnt vmcnt(0)
	v_cvt_f32_fp8_sdwa v54, v54 src0_sel:BYTE_0
	s_nop 0
	v_mul_f32_e32 v55, s50, v54
	v_and_b32_e32 v54, 0x7f800000, v55
	v_cmp_ne_u32_e64 s[6:7], s48, v54
                                        ; implicit-def: $vgpr54
	s_and_saveexec_b64 s[40:41], s[6:7]
	s_xor_b64 s[6:7], exec, s[40:41]
; %bb.77:                               ;   in Loop: Header=BB296_13 Depth=1
	v_bfe_u32 v54, v55, 16, 1
	v_add3_u32 v54, v55, v54, s49
                                        ; implicit-def: $vgpr55
; %bb.78:                               ;   in Loop: Header=BB296_13 Depth=1
	s_andn2_saveexec_b64 s[40:41], s[6:7]
; %bb.79:                               ;   in Loop: Header=BB296_13 Depth=1
	v_or_b32_e32 v54, 0x10000, v55
	v_cmp_eq_u32_sdwa s[6:7], v55, v19 src0_sel:WORD_0 src1_sel:DWORD
	s_nop 1
	v_cndmask_b32_e64 v54, v54, v55, s[6:7]
; %bb.80:                               ;   in Loop: Header=BB296_13 Depth=1
	s_or_b64 exec, exec, s[40:41]
	global_load_ubyte v55, v[24:25], off offset:1024
	s_waitcnt vmcnt(0)
	v_cvt_f32_fp8_sdwa v55, v55 src0_sel:BYTE_0
	s_nop 0
	v_mul_f32_e32 v56, s50, v55
	v_and_b32_e32 v55, 0x7f800000, v56
	v_cmp_ne_u32_e64 s[6:7], s48, v55
                                        ; implicit-def: $vgpr55
	s_and_saveexec_b64 s[40:41], s[6:7]
	s_xor_b64 s[6:7], exec, s[40:41]
; %bb.81:                               ;   in Loop: Header=BB296_13 Depth=1
	v_bfe_u32 v55, v56, 16, 1
	v_add3_u32 v55, v56, v55, s49
                                        ; implicit-def: $vgpr56
; %bb.82:                               ;   in Loop: Header=BB296_13 Depth=1
	s_andn2_saveexec_b64 s[40:41], s[6:7]
; %bb.83:                               ;   in Loop: Header=BB296_13 Depth=1
	v_or_b32_e32 v55, 0x10000, v56
	v_cmp_eq_u32_sdwa s[6:7], v56, v19 src0_sel:WORD_0 src1_sel:DWORD
	s_nop 1
	v_cndmask_b32_e64 v55, v55, v56, s[6:7]
; %bb.84:                               ;   in Loop: Header=BB296_13 Depth=1
	s_or_b64 exec, exec, s[40:41]
	global_load_ubyte v56, v[24:25], off offset:1032
	s_waitcnt vmcnt(0)
	v_cvt_f32_fp8_sdwa v56, v56 src0_sel:BYTE_0
	s_nop 0
	v_mul_f32_e32 v57, s50, v56
	v_and_b32_e32 v56, 0x7f800000, v57
	v_cmp_ne_u32_e64 s[6:7], s48, v56
                                        ; implicit-def: $vgpr56
	s_and_saveexec_b64 s[40:41], s[6:7]
	s_xor_b64 s[6:7], exec, s[40:41]
; %bb.85:                               ;   in Loop: Header=BB296_13 Depth=1
	v_bfe_u32 v56, v57, 16, 1
	v_add3_u32 v56, v57, v56, s49
                                        ; implicit-def: $vgpr57
; %bb.86:                               ;   in Loop: Header=BB296_13 Depth=1
	s_andn2_saveexec_b64 s[40:41], s[6:7]
; %bb.87:                               ;   in Loop: Header=BB296_13 Depth=1
	v_or_b32_e32 v56, 0x10000, v57
	v_cmp_eq_u32_sdwa s[6:7], v57, v19 src0_sel:WORD_0 src1_sel:DWORD
	s_nop 1
	v_cndmask_b32_e64 v56, v56, v57, s[6:7]
; %bb.88:                               ;   in Loop: Header=BB296_13 Depth=1
	s_or_b64 exec, exec, s[40:41]
	global_load_ubyte v57, v[24:25], off offset:1152
	s_waitcnt vmcnt(0)
	v_cvt_f32_fp8_sdwa v57, v57 src0_sel:BYTE_0
	s_nop 0
	v_mul_f32_e32 v58, s50, v57
	v_and_b32_e32 v57, 0x7f800000, v58
	v_cmp_ne_u32_e64 s[6:7], s48, v57
                                        ; implicit-def: $vgpr57
	s_and_saveexec_b64 s[40:41], s[6:7]
	s_xor_b64 s[6:7], exec, s[40:41]
; %bb.89:                               ;   in Loop: Header=BB296_13 Depth=1
	v_bfe_u32 v57, v58, 16, 1
	v_add3_u32 v57, v58, v57, s49
                                        ; implicit-def: $vgpr58
; %bb.90:                               ;   in Loop: Header=BB296_13 Depth=1
	s_andn2_saveexec_b64 s[40:41], s[6:7]
; %bb.91:                               ;   in Loop: Header=BB296_13 Depth=1
	v_or_b32_e32 v57, 0x10000, v58
	v_cmp_eq_u32_sdwa s[6:7], v58, v19 src0_sel:WORD_0 src1_sel:DWORD
	s_nop 1
	v_cndmask_b32_e64 v57, v57, v58, s[6:7]
; %bb.92:                               ;   in Loop: Header=BB296_13 Depth=1
	s_or_b64 exec, exec, s[40:41]
	global_load_ubyte v58, v[24:25], off offset:1160
	s_waitcnt vmcnt(0)
	v_cvt_f32_fp8_sdwa v58, v58 src0_sel:BYTE_0
	s_nop 0
	v_mul_f32_e32 v59, s50, v58
	v_and_b32_e32 v58, 0x7f800000, v59
	v_cmp_ne_u32_e64 s[6:7], s48, v58
                                        ; implicit-def: $vgpr58
	s_and_saveexec_b64 s[40:41], s[6:7]
	s_xor_b64 s[6:7], exec, s[40:41]
; %bb.93:                               ;   in Loop: Header=BB296_13 Depth=1
	v_bfe_u32 v58, v59, 16, 1
	v_add3_u32 v58, v59, v58, s49
                                        ; implicit-def: $vgpr59
; %bb.94:                               ;   in Loop: Header=BB296_13 Depth=1
	s_andn2_saveexec_b64 s[40:41], s[6:7]
; %bb.95:                               ;   in Loop: Header=BB296_13 Depth=1
	v_or_b32_e32 v58, 0x10000, v59
	v_cmp_eq_u32_sdwa s[6:7], v59, v19 src0_sel:WORD_0 src1_sel:DWORD
	s_nop 1
	v_cndmask_b32_e64 v58, v58, v59, s[6:7]
; %bb.96:                               ;   in Loop: Header=BB296_13 Depth=1
	s_or_b64 exec, exec, s[40:41]
	global_load_ubyte v59, v[24:25], off offset:1280
	s_waitcnt vmcnt(0)
	v_cvt_f32_fp8_sdwa v59, v59 src0_sel:BYTE_0
	s_nop 0
	v_mul_f32_e32 v60, s50, v59
	v_and_b32_e32 v59, 0x7f800000, v60
	v_cmp_ne_u32_e64 s[6:7], s48, v59
                                        ; implicit-def: $vgpr59
	s_and_saveexec_b64 s[40:41], s[6:7]
	s_xor_b64 s[6:7], exec, s[40:41]
; %bb.97:                               ;   in Loop: Header=BB296_13 Depth=1
	v_bfe_u32 v59, v60, 16, 1
	v_add3_u32 v59, v60, v59, s49
                                        ; implicit-def: $vgpr60
; %bb.98:                               ;   in Loop: Header=BB296_13 Depth=1
	s_andn2_saveexec_b64 s[40:41], s[6:7]
; %bb.99:                               ;   in Loop: Header=BB296_13 Depth=1
	v_or_b32_e32 v59, 0x10000, v60
	v_cmp_eq_u32_sdwa s[6:7], v60, v19 src0_sel:WORD_0 src1_sel:DWORD
	s_nop 1
	v_cndmask_b32_e64 v59, v59, v60, s[6:7]
; %bb.100:                              ;   in Loop: Header=BB296_13 Depth=1
	s_or_b64 exec, exec, s[40:41]
	global_load_ubyte v60, v[24:25], off offset:1288
	s_waitcnt vmcnt(0)
	v_cvt_f32_fp8_sdwa v60, v60 src0_sel:BYTE_0
	s_nop 0
	v_mul_f32_e32 v61, s50, v60
	v_and_b32_e32 v60, 0x7f800000, v61
	v_cmp_ne_u32_e64 s[6:7], s48, v60
                                        ; implicit-def: $vgpr60
	s_and_saveexec_b64 s[40:41], s[6:7]
	s_xor_b64 s[6:7], exec, s[40:41]
; %bb.101:                              ;   in Loop: Header=BB296_13 Depth=1
	v_bfe_u32 v60, v61, 16, 1
	v_add3_u32 v60, v61, v60, s49
                                        ; implicit-def: $vgpr61
; %bb.102:                              ;   in Loop: Header=BB296_13 Depth=1
	s_andn2_saveexec_b64 s[40:41], s[6:7]
; %bb.103:                              ;   in Loop: Header=BB296_13 Depth=1
	v_or_b32_e32 v60, 0x10000, v61
	v_cmp_eq_u32_sdwa s[6:7], v61, v19 src0_sel:WORD_0 src1_sel:DWORD
	s_nop 1
	v_cndmask_b32_e64 v60, v60, v61, s[6:7]
; %bb.104:                              ;   in Loop: Header=BB296_13 Depth=1
	s_or_b64 exec, exec, s[40:41]
	global_load_ubyte v61, v[24:25], off offset:1408
	s_waitcnt vmcnt(0)
	v_cvt_f32_fp8_sdwa v61, v61 src0_sel:BYTE_0
	s_nop 0
	v_mul_f32_e32 v62, s50, v61
	v_and_b32_e32 v61, 0x7f800000, v62
	v_cmp_ne_u32_e64 s[6:7], s48, v61
                                        ; implicit-def: $vgpr61
	s_and_saveexec_b64 s[40:41], s[6:7]
	s_xor_b64 s[6:7], exec, s[40:41]
; %bb.105:                              ;   in Loop: Header=BB296_13 Depth=1
	v_bfe_u32 v61, v62, 16, 1
	v_add3_u32 v61, v62, v61, s49
                                        ; implicit-def: $vgpr62
; %bb.106:                              ;   in Loop: Header=BB296_13 Depth=1
	s_andn2_saveexec_b64 s[40:41], s[6:7]
; %bb.107:                              ;   in Loop: Header=BB296_13 Depth=1
	v_or_b32_e32 v61, 0x10000, v62
	v_cmp_eq_u32_sdwa s[6:7], v62, v19 src0_sel:WORD_0 src1_sel:DWORD
	s_nop 1
	v_cndmask_b32_e64 v61, v61, v62, s[6:7]
; %bb.108:                              ;   in Loop: Header=BB296_13 Depth=1
	s_or_b64 exec, exec, s[40:41]
	global_load_ubyte v62, v[24:25], off offset:1416
	s_waitcnt vmcnt(0)
	v_cvt_f32_fp8_sdwa v62, v62 src0_sel:BYTE_0
	s_nop 0
	v_mul_f32_e32 v63, s50, v62
	v_and_b32_e32 v62, 0x7f800000, v63
	v_cmp_ne_u32_e64 s[6:7], s48, v62
                                        ; implicit-def: $vgpr62
	s_and_saveexec_b64 s[40:41], s[6:7]
	s_xor_b64 s[6:7], exec, s[40:41]
; %bb.109:                              ;   in Loop: Header=BB296_13 Depth=1
	v_bfe_u32 v62, v63, 16, 1
	v_add3_u32 v62, v63, v62, s49
                                        ; implicit-def: $vgpr63
; %bb.110:                              ;   in Loop: Header=BB296_13 Depth=1
	s_andn2_saveexec_b64 s[40:41], s[6:7]
; %bb.111:                              ;   in Loop: Header=BB296_13 Depth=1
	v_or_b32_e32 v62, 0x10000, v63
	v_cmp_eq_u32_sdwa s[6:7], v63, v19 src0_sel:WORD_0 src1_sel:DWORD
	s_nop 1
	v_cndmask_b32_e64 v62, v62, v63, s[6:7]
; %bb.112:                              ;   in Loop: Header=BB296_13 Depth=1
	s_or_b64 exec, exec, s[40:41]
	global_load_ubyte v63, v[24:25], off offset:1536
	s_waitcnt vmcnt(0)
	v_cvt_f32_fp8_sdwa v63, v63 src0_sel:BYTE_0
	s_nop 0
	v_mul_f32_e32 v64, s50, v63
	v_and_b32_e32 v63, 0x7f800000, v64
	v_cmp_ne_u32_e64 s[6:7], s48, v63
                                        ; implicit-def: $vgpr63
	s_and_saveexec_b64 s[40:41], s[6:7]
	s_xor_b64 s[6:7], exec, s[40:41]
; %bb.113:                              ;   in Loop: Header=BB296_13 Depth=1
	v_bfe_u32 v63, v64, 16, 1
	v_add3_u32 v63, v64, v63, s49
                                        ; implicit-def: $vgpr64
; %bb.114:                              ;   in Loop: Header=BB296_13 Depth=1
	s_andn2_saveexec_b64 s[40:41], s[6:7]
; %bb.115:                              ;   in Loop: Header=BB296_13 Depth=1
	v_or_b32_e32 v63, 0x10000, v64
	v_cmp_eq_u32_sdwa s[6:7], v64, v19 src0_sel:WORD_0 src1_sel:DWORD
	s_nop 1
	v_cndmask_b32_e64 v63, v63, v64, s[6:7]
; %bb.116:                              ;   in Loop: Header=BB296_13 Depth=1
	s_or_b64 exec, exec, s[40:41]
	global_load_ubyte v64, v[24:25], off offset:1544
	s_waitcnt vmcnt(0)
	v_cvt_f32_fp8_sdwa v64, v64 src0_sel:BYTE_0
	s_nop 0
	v_mul_f32_e32 v65, s50, v64
	v_and_b32_e32 v64, 0x7f800000, v65
	v_cmp_ne_u32_e64 s[6:7], s48, v64
                                        ; implicit-def: $vgpr64
	s_and_saveexec_b64 s[40:41], s[6:7]
	s_xor_b64 s[6:7], exec, s[40:41]
; %bb.117:                              ;   in Loop: Header=BB296_13 Depth=1
	v_bfe_u32 v64, v65, 16, 1
	v_add3_u32 v64, v65, v64, s49
                                        ; implicit-def: $vgpr65
; %bb.118:                              ;   in Loop: Header=BB296_13 Depth=1
	s_andn2_saveexec_b64 s[40:41], s[6:7]
; %bb.119:                              ;   in Loop: Header=BB296_13 Depth=1
	v_or_b32_e32 v64, 0x10000, v65
	v_cmp_eq_u32_sdwa s[6:7], v65, v19 src0_sel:WORD_0 src1_sel:DWORD
	s_nop 1
	v_cndmask_b32_e64 v64, v64, v65, s[6:7]
; %bb.120:                              ;   in Loop: Header=BB296_13 Depth=1
	s_or_b64 exec, exec, s[40:41]
	global_load_ubyte v65, v[24:25], off offset:1664
	s_waitcnt vmcnt(0)
	v_cvt_f32_fp8_sdwa v65, v65 src0_sel:BYTE_0
	s_nop 0
	v_mul_f32_e32 v66, s50, v65
	v_and_b32_e32 v65, 0x7f800000, v66
	v_cmp_ne_u32_e64 s[6:7], s48, v65
                                        ; implicit-def: $vgpr65
	s_and_saveexec_b64 s[40:41], s[6:7]
	s_xor_b64 s[6:7], exec, s[40:41]
; %bb.121:                              ;   in Loop: Header=BB296_13 Depth=1
	v_bfe_u32 v65, v66, 16, 1
	v_add3_u32 v65, v66, v65, s49
                                        ; implicit-def: $vgpr66
; %bb.122:                              ;   in Loop: Header=BB296_13 Depth=1
	s_andn2_saveexec_b64 s[40:41], s[6:7]
; %bb.123:                              ;   in Loop: Header=BB296_13 Depth=1
	v_or_b32_e32 v65, 0x10000, v66
	v_cmp_eq_u32_sdwa s[6:7], v66, v19 src0_sel:WORD_0 src1_sel:DWORD
	s_nop 1
	v_cndmask_b32_e64 v65, v65, v66, s[6:7]
; %bb.124:                              ;   in Loop: Header=BB296_13 Depth=1
	s_or_b64 exec, exec, s[40:41]
	global_load_ubyte v66, v[24:25], off offset:1672
	s_waitcnt vmcnt(0)
	v_cvt_f32_fp8_sdwa v66, v66 src0_sel:BYTE_0
	s_nop 0
	v_mul_f32_e32 v67, s50, v66
	v_and_b32_e32 v66, 0x7f800000, v67
	v_cmp_ne_u32_e64 s[6:7], s48, v66
                                        ; implicit-def: $vgpr66
	s_and_saveexec_b64 s[40:41], s[6:7]
	s_xor_b64 s[6:7], exec, s[40:41]
; %bb.125:                              ;   in Loop: Header=BB296_13 Depth=1
	v_bfe_u32 v66, v67, 16, 1
	v_add3_u32 v66, v67, v66, s49
                                        ; implicit-def: $vgpr67
; %bb.126:                              ;   in Loop: Header=BB296_13 Depth=1
	s_andn2_saveexec_b64 s[40:41], s[6:7]
; %bb.127:                              ;   in Loop: Header=BB296_13 Depth=1
	v_or_b32_e32 v66, 0x10000, v67
	v_cmp_eq_u32_sdwa s[6:7], v67, v19 src0_sel:WORD_0 src1_sel:DWORD
	s_nop 1
	v_cndmask_b32_e64 v66, v66, v67, s[6:7]
; %bb.128:                              ;   in Loop: Header=BB296_13 Depth=1
	s_or_b64 exec, exec, s[40:41]
	global_load_ubyte v67, v[24:25], off offset:1792
	s_waitcnt vmcnt(0)
	v_cvt_f32_fp8_sdwa v67, v67 src0_sel:BYTE_0
	s_nop 0
	v_mul_f32_e32 v68, s50, v67
	v_and_b32_e32 v67, 0x7f800000, v68
	v_cmp_ne_u32_e64 s[6:7], s48, v67
                                        ; implicit-def: $vgpr67
	s_and_saveexec_b64 s[40:41], s[6:7]
	s_xor_b64 s[6:7], exec, s[40:41]
; %bb.129:                              ;   in Loop: Header=BB296_13 Depth=1
	v_bfe_u32 v67, v68, 16, 1
	v_add3_u32 v67, v68, v67, s49
                                        ; implicit-def: $vgpr68
; %bb.130:                              ;   in Loop: Header=BB296_13 Depth=1
	s_andn2_saveexec_b64 s[40:41], s[6:7]
; %bb.131:                              ;   in Loop: Header=BB296_13 Depth=1
	v_or_b32_e32 v67, 0x10000, v68
	v_cmp_eq_u32_sdwa s[6:7], v68, v19 src0_sel:WORD_0 src1_sel:DWORD
	s_nop 1
	v_cndmask_b32_e64 v67, v67, v68, s[6:7]
; %bb.132:                              ;   in Loop: Header=BB296_13 Depth=1
	s_or_b64 exec, exec, s[40:41]
	global_load_ubyte v68, v[24:25], off offset:1800
	s_waitcnt vmcnt(0)
	v_cvt_f32_fp8_sdwa v68, v68 src0_sel:BYTE_0
	s_nop 0
	v_mul_f32_e32 v69, s50, v68
	v_and_b32_e32 v68, 0x7f800000, v69
	v_cmp_ne_u32_e64 s[6:7], s48, v68
                                        ; implicit-def: $vgpr68
	s_and_saveexec_b64 s[40:41], s[6:7]
	s_xor_b64 s[6:7], exec, s[40:41]
; %bb.133:                              ;   in Loop: Header=BB296_13 Depth=1
	v_bfe_u32 v68, v69, 16, 1
	v_add3_u32 v68, v69, v68, s49
                                        ; implicit-def: $vgpr69
; %bb.134:                              ;   in Loop: Header=BB296_13 Depth=1
	s_andn2_saveexec_b64 s[40:41], s[6:7]
; %bb.135:                              ;   in Loop: Header=BB296_13 Depth=1
	v_or_b32_e32 v68, 0x10000, v69
	v_cmp_eq_u32_sdwa s[6:7], v69, v19 src0_sel:WORD_0 src1_sel:DWORD
	s_nop 1
	v_cndmask_b32_e64 v68, v68, v69, s[6:7]
; %bb.136:                              ;   in Loop: Header=BB296_13 Depth=1
	s_or_b64 exec, exec, s[40:41]
	global_load_ubyte v69, v[24:25], off offset:1920
	s_waitcnt vmcnt(0)
	v_cvt_f32_fp8_sdwa v69, v69 src0_sel:BYTE_0
	s_nop 0
	v_mul_f32_e32 v70, s50, v69
	v_and_b32_e32 v69, 0x7f800000, v70
	v_cmp_ne_u32_e64 s[6:7], s48, v69
                                        ; implicit-def: $vgpr69
	s_and_saveexec_b64 s[40:41], s[6:7]
	s_xor_b64 s[6:7], exec, s[40:41]
; %bb.137:                              ;   in Loop: Header=BB296_13 Depth=1
	v_bfe_u32 v69, v70, 16, 1
	v_add3_u32 v69, v70, v69, s49
                                        ; implicit-def: $vgpr70
; %bb.138:                              ;   in Loop: Header=BB296_13 Depth=1
	s_andn2_saveexec_b64 s[40:41], s[6:7]
; %bb.139:                              ;   in Loop: Header=BB296_13 Depth=1
	v_or_b32_e32 v69, 0x10000, v70
	v_cmp_eq_u32_sdwa s[6:7], v70, v19 src0_sel:WORD_0 src1_sel:DWORD
	s_nop 1
	v_cndmask_b32_e64 v69, v69, v70, s[6:7]
; %bb.140:                              ;   in Loop: Header=BB296_13 Depth=1
	s_or_b64 exec, exec, s[40:41]
	global_load_ubyte v24, v[24:25], off offset:1928
	s_waitcnt vmcnt(0)
	v_cvt_f32_fp8_sdwa v24, v24 src0_sel:BYTE_0
	s_nop 0
	v_mul_f32_e32 v25, s50, v24
	v_and_b32_e32 v24, 0x7f800000, v25
	v_cmp_ne_u32_e64 s[6:7], s48, v24
                                        ; implicit-def: $vgpr24
	s_and_saveexec_b64 s[40:41], s[6:7]
	s_xor_b64 s[6:7], exec, s[40:41]
; %bb.141:                              ;   in Loop: Header=BB296_13 Depth=1
	v_bfe_u32 v24, v25, 16, 1
	v_add3_u32 v24, v25, v24, s49
                                        ; implicit-def: $vgpr25
; %bb.142:                              ;   in Loop: Header=BB296_13 Depth=1
	s_andn2_saveexec_b64 s[40:41], s[6:7]
; %bb.143:                              ;   in Loop: Header=BB296_13 Depth=1
	v_or_b32_e32 v24, 0x10000, v25
	v_cmp_eq_u32_sdwa s[6:7], v25, v19 src0_sel:WORD_0 src1_sel:DWORD
	s_nop 1
	v_cndmask_b32_e64 v24, v24, v25, s[6:7]
; %bb.144:                              ;   in Loop: Header=BB296_13 Depth=1
	s_or_b64 exec, exec, s[40:41]
	v_and_b32_e32 v25, 0xffff0000, v69
	v_and_b32_e32 v40, 0xffff0000, v40
	v_lshlrev_b32_e32 v69, 16, v14
	v_and_b32_e32 v14, 0xffff0000, v14
	v_and_b32_e32 v39, 0xffff0000, v39
	v_mul_f32_e32 v14, v14, v40
	v_and_b32_e32 v41, 0xffff0000, v41
	v_lshlrev_b32_e32 v70, 16, v15
	v_fmac_f32_e32 v14, v69, v39
	v_and_b32_e32 v42, 0xffff0000, v42
	v_and_b32_e32 v15, 0xffff0000, v15
	v_fmac_f32_e32 v14, v70, v41
	v_and_b32_e32 v43, 0xffff0000, v43
	v_lshlrev_b32_e32 v71, 16, v16
	v_fmac_f32_e32 v14, v15, v42
	v_and_b32_e32 v44, 0xffff0000, v44
	v_and_b32_e32 v16, 0xffff0000, v16
	v_fmac_f32_e32 v14, v71, v43
	v_and_b32_e32 v45, 0xffff0000, v45
	v_lshlrev_b32_e32 v72, 16, v17
	v_fmac_f32_e32 v14, v16, v44
	v_and_b32_e32 v46, 0xffff0000, v46
	v_and_b32_e32 v17, 0xffff0000, v17
	v_fmac_f32_e32 v14, v72, v45
	v_and_b32_e32 v47, 0xffff0000, v47
	v_lshlrev_b32_e32 v73, 16, v10
	v_fmac_f32_e32 v14, v17, v46
	v_and_b32_e32 v48, 0xffff0000, v48
	v_and_b32_e32 v10, 0xffff0000, v10
	v_fmac_f32_e32 v14, v73, v47
	v_and_b32_e32 v49, 0xffff0000, v49
	v_lshlrev_b32_e32 v74, 16, v11
	v_fmac_f32_e32 v14, v10, v48
	v_and_b32_e32 v50, 0xffff0000, v50
	v_and_b32_e32 v11, 0xffff0000, v11
	v_fmac_f32_e32 v14, v74, v49
	v_and_b32_e32 v51, 0xffff0000, v51
	v_lshlrev_b32_e32 v75, 16, v12
	v_fmac_f32_e32 v14, v11, v50
	v_and_b32_e32 v52, 0xffff0000, v52
	v_and_b32_e32 v12, 0xffff0000, v12
	v_fmac_f32_e32 v14, v75, v51
	v_and_b32_e32 v53, 0xffff0000, v53
	v_lshlrev_b32_e32 v76, 16, v13
	v_fmac_f32_e32 v14, v12, v52
	v_and_b32_e32 v54, 0xffff0000, v54
	v_and_b32_e32 v13, 0xffff0000, v13
	v_fmac_f32_e32 v14, v76, v53
	v_and_b32_e32 v55, 0xffff0000, v55
	v_lshlrev_b32_e32 v77, 16, v6
	v_fmac_f32_e32 v14, v13, v54
	v_and_b32_e32 v56, 0xffff0000, v56
	v_and_b32_e32 v6, 0xffff0000, v6
	v_fmac_f32_e32 v14, v77, v55
	v_and_b32_e32 v57, 0xffff0000, v57
	v_lshlrev_b32_e32 v78, 16, v7
	v_fmac_f32_e32 v14, v6, v56
	v_and_b32_e32 v58, 0xffff0000, v58
	v_and_b32_e32 v7, 0xffff0000, v7
	v_fmac_f32_e32 v14, v78, v57
	v_and_b32_e32 v59, 0xffff0000, v59
	v_lshlrev_b32_e32 v79, 16, v8
	v_fmac_f32_e32 v14, v7, v58
	v_and_b32_e32 v60, 0xffff0000, v60
	v_and_b32_e32 v8, 0xffff0000, v8
	v_fmac_f32_e32 v14, v79, v59
	v_and_b32_e32 v61, 0xffff0000, v61
	v_lshlrev_b32_e32 v80, 16, v9
	v_fmac_f32_e32 v14, v8, v60
	v_and_b32_e32 v62, 0xffff0000, v62
	v_and_b32_e32 v9, 0xffff0000, v9
	v_fmac_f32_e32 v14, v80, v61
	v_and_b32_e32 v63, 0xffff0000, v63
	v_lshlrev_b32_e32 v81, 16, v2
	v_fmac_f32_e32 v14, v9, v62
	v_and_b32_e32 v64, 0xffff0000, v64
	v_and_b32_e32 v2, 0xffff0000, v2
	v_fmac_f32_e32 v14, v81, v63
	v_and_b32_e32 v65, 0xffff0000, v65
	v_lshlrev_b32_e32 v82, 16, v3
	v_fmac_f32_e32 v14, v2, v64
	v_and_b32_e32 v66, 0xffff0000, v66
	v_and_b32_e32 v3, 0xffff0000, v3
	v_fmac_f32_e32 v14, v82, v65
	v_and_b32_e32 v67, 0xffff0000, v67
	v_lshlrev_b32_e32 v83, 16, v4
	v_and_b32_e32 v85, 64, v37
	v_fmac_f32_e32 v14, v3, v66
	v_and_b32_e32 v68, 0xffff0000, v68
	v_and_b32_e32 v4, 0xffff0000, v4
	v_add_u32_e32 v85, 64, v85
	v_xor_b32_e32 v86, 4, v37
	v_fmac_f32_e32 v14, v83, v67
	v_lshlrev_b32_e32 v84, 16, v5
	v_cmp_lt_i32_e64 s[6:7], v86, v85
	v_fmac_f32_e32 v14, v4, v68
	v_and_b32_e32 v5, 0xffff0000, v5
	v_cndmask_b32_e64 v86, v37, v86, s[6:7]
	v_and_b32_e32 v24, 0xffff0000, v24
	v_fmac_f32_e32 v14, v84, v25
	v_lshlrev_b32_e32 v86, 2, v86
	v_fmac_f32_e32 v14, v5, v24
	ds_bpermute_b32 v2, v86, v14
	v_xor_b32_e32 v3, 2, v37
	v_cmp_lt_i32_e64 s[6:7], v3, v85
	v_xor_b32_e32 v4, 1, v37
	s_waitcnt lgkmcnt(0)
	v_add_f32_e32 v2, v14, v2
	v_cndmask_b32_e64 v3, v37, v3, s[6:7]
	v_lshlrev_b32_e32 v3, 2, v3
	ds_bpermute_b32 v3, v3, v2
	v_cmp_lt_i32_e64 s[6:7], v4, v85
	s_waitcnt lgkmcnt(0)
	v_add_f32_e32 v2, v2, v3
	v_cndmask_b32_e64 v4, v37, v4, s[6:7]
	v_lshlrev_b32_e32 v4, 2, v4
	ds_bpermute_b32 v3, v4, v2
	s_and_saveexec_b64 s[40:41], vcc
	s_cbranch_execz .LBB296_11
; %bb.145:                              ;   in Loop: Header=BB296_13 Depth=1
	v_add_u32_e32 v4, v35, v33
	v_cvt_f32_i32_e32 v4, v4
	s_waitcnt lgkmcnt(0)
	v_add_f32_e32 v2, v2, v3
	v_add_u32_e32 v5, v29, v33
	v_cmp_gt_i32_e64 s[6:7], s33, v5
	v_mul_f32_e32 v3, s45, v4
	v_cndmask_b32_e64 v3, 0, v3, s[2:3]
	v_fmac_f32_e32 v3, s25, v2
	v_cndmask_b32_e64 v2, 0, v3, s[6:7]
	ds_write_b32 v34, v2
	v_max_f32_e32 v2, v31, v31
	v_max_f32_e32 v2, v2, v3
	v_cndmask_b32_e64 v31, v31, v2, s[6:7]
	s_branch .LBB296_11
.LBB296_146:
	s_or_b64 exec, exec, s[26:27]
.LBB296_147:
	s_or_b64 exec, exec, s[18:19]
	v_mbcnt_hi_u32_b32 v2, -1, v28
	s_waitcnt lgkmcnt(0)
	v_and_b32_e32 v3, 64, v2
	v_add_u32_e32 v3, 64, v3
	v_xor_b32_e32 v4, 32, v2
	v_cmp_lt_i32_e32 vcc, v4, v3
	v_xor_b32_e32 v7, 16, v2
	v_max_f32_e32 v6, v31, v31
	v_cndmask_b32_e32 v4, v2, v4, vcc
	v_lshlrev_b32_e32 v5, 2, v4
	ds_bpermute_b32 v4, v5, v31
	v_cmp_lt_i32_e32 vcc, v7, v3
	v_xor_b32_e32 v8, 8, v2
	v_and_b32_e32 v20, 63, v0
	s_waitcnt lgkmcnt(0)
	v_max_f32_e32 v4, v4, v4
	v_max_f32_e32 v4, v6, v4
	v_cndmask_b32_e32 v6, v2, v7, vcc
	v_lshlrev_b32_e32 v7, 2, v6
	ds_bpermute_b32 v6, v7, v4
	v_cmp_lt_i32_e32 vcc, v8, v3
	s_waitcnt lgkmcnt(0)
	v_max_f32_e32 v6, v6, v6
	v_max_f32_e32 v6, v4, v6
	v_cndmask_b32_e32 v4, v2, v8, vcc
	v_lshlrev_b32_e32 v9, 2, v4
	ds_bpermute_b32 v8, v9, v6
	v_cmp_eq_u32_e32 vcc, 0, v20
	v_lshlrev_b32_e32 v4, 2, v1
	s_and_saveexec_b64 s[2:3], vcc
	s_cbranch_execz .LBB296_149
; %bb.148:
	s_waitcnt lgkmcnt(0)
	v_max_f32_e32 v8, v8, v8
	v_max_f32_e32 v6, v6, v6
	;; [unrolled: 1-line block ×3, first 2 shown]
	ds_write_b32 v4, v6 offset:512
.LBB296_149:
	s_or_b64 exec, exec, s[2:3]
	v_cmp_gt_u32_e64 s[2:3], 2, v20
	v_mov_b32_e32 v10, 0xff7fffff
	v_lshlrev_b32_e32 v6, 2, v20
	s_waitcnt lgkmcnt(0)
	s_barrier
	s_and_saveexec_b64 s[6:7], s[2:3]
	s_cbranch_execz .LBB296_151
; %bb.150:
	ds_read_b32 v10, v6 offset:512
.LBB296_151:
	s_or_b64 exec, exec, s[6:7]
	v_xor_b32_e32 v8, 1, v2
	v_cmp_lt_i32_e64 s[6:7], v8, v3
	v_lshlrev_b32_e32 v12, 2, v2
	s_nop 0
	v_cndmask_b32_e64 v8, v2, v8, s[6:7]
	v_lshlrev_b32_e32 v8, 2, v8
	s_waitcnt lgkmcnt(0)
	ds_bpermute_b32 v11, v8, v10
	v_max_f32_e32 v10, v10, v10
	s_lshl_b32 s6, s20, 3
	s_min_i32 s24, s6, s33
	v_cmp_gt_i32_e64 s[6:7], s24, v0
	s_waitcnt lgkmcnt(0)
	v_max_f32_e32 v11, v11, v11
	v_max_f32_e32 v11, v10, v11
	v_and_b32_e32 v10, 0x100, v12
	ds_bpermute_b32 v12, v10, v11
	v_mov_b32_e32 v11, 0
	s_and_saveexec_b64 s[12:13], s[6:7]
	s_cbranch_execz .LBB296_155
; %bb.152:
	v_mov_b32_e32 v11, 0x210
	v_lshl_add_u32 v13, v0, 2, v11
	s_mov_b64 s[18:19], 0
	v_mov_b32_e32 v11, 0
	v_mov_b32_e32 v14, v0
.LBB296_153:                            ; =>This Inner Loop Header: Depth=1
	ds_read_b32 v15, v13
	v_add_u32_e32 v14, 0x80, v14
	v_cmp_le_i32_e64 s[8:9], s24, v14
	s_or_b64 s[18:19], s[8:9], s[18:19]
	s_waitcnt lgkmcnt(0)
	v_sub_f32_e32 v15, v15, v12
	v_mul_f32_e32 v15, 0x3fb8aa3b, v15
	v_exp_f32_e32 v15, v15
	ds_write_b32 v13, v15
	v_add_f32_e32 v11, v11, v15
	v_add_u32_e32 v13, 0x200, v13
	s_andn2_b64 exec, exec, s[18:19]
	s_cbranch_execnz .LBB296_153
; %bb.154:
	s_or_b64 exec, exec, s[18:19]
.LBB296_155:
	s_or_b64 exec, exec, s[12:13]
	ds_bpermute_b32 v5, v5, v11
	s_waitcnt lgkmcnt(0)
	v_add_f32_e32 v5, v11, v5
	ds_bpermute_b32 v7, v7, v5
	s_waitcnt lgkmcnt(0)
	v_add_f32_e32 v5, v5, v7
	ds_bpermute_b32 v7, v9, v5
	v_xor_b32_e32 v9, 4, v2
	v_cmp_lt_i32_e64 s[8:9], v9, v3
	s_waitcnt lgkmcnt(0)
	v_add_f32_e32 v5, v5, v7
	v_cndmask_b32_e64 v9, v2, v9, s[8:9]
	v_lshlrev_b32_e32 v9, 2, v9
	ds_bpermute_b32 v7, v9, v5
	v_xor_b32_e32 v9, 2, v2
	v_cmp_lt_i32_e64 s[8:9], v9, v3
	s_waitcnt lgkmcnt(0)
	v_add_f32_e32 v3, v5, v7
	v_cndmask_b32_e64 v2, v2, v9, s[8:9]
	v_lshlrev_b32_e32 v2, 2, v2
	ds_bpermute_b32 v2, v2, v3
	s_waitcnt lgkmcnt(0)
	v_add_f32_e32 v2, v3, v2
	ds_bpermute_b32 v3, v8, v2
	s_waitcnt lgkmcnt(0)
	v_add_f32_e32 v2, v2, v3
	s_and_saveexec_b64 s[8:9], vcc
	s_cbranch_execz .LBB296_157
; %bb.156:
	ds_write_b32 v4, v2 offset:520
.LBB296_157:
	s_or_b64 exec, exec, s[8:9]
	s_waitcnt lgkmcnt(0)
	s_barrier
	s_and_saveexec_b64 s[8:9], s[2:3]
	s_cbranch_execz .LBB296_159
; %bb.158:
	ds_read_b32 v2, v6 offset:520
.LBB296_159:
	s_or_b64 exec, exec, s[8:9]
	s_waitcnt lgkmcnt(0)
	ds_bpermute_b32 v3, v8, v2
	s_waitcnt lgkmcnt(0)
	v_add_f32_e32 v2, v2, v3
	ds_bpermute_b32 v2, v10, v2
	s_and_saveexec_b64 s[2:3], s[6:7]
	s_cbranch_execz .LBB296_172
; %bb.160:
	s_waitcnt lgkmcnt(0)
	v_add_f32_e32 v2, 0x358637bd, v2
	v_div_scale_f32 v3, s[6:7], v2, v2, 1.0
	v_rcp_f32_e32 v4, v3
	v_div_scale_f32 v5, vcc, 1.0, v2, 1.0
	s_movk_i32 s6, 0x7f
	v_fma_f32 v6, -v3, v4, 1.0
	v_fmac_f32_e32 v4, v6, v4
	v_mul_f32_e32 v6, v5, v4
	v_fma_f32 v7, -v3, v6, v5
	v_fmac_f32_e32 v6, v7, v4
	v_fma_f32 v3, -v3, v6, v5
	v_div_fmas_f32 v3, v3, v4, v6
	v_xad_u32 v4, v0, -1, s24
	v_div_fixup_f32 v2, v3, v2, 1.0
	v_cmp_lt_u32_e32 vcc, s6, v4
	s_mov_b64 s[8:9], -1
	v_mov_b32_e32 v3, v0
	s_and_saveexec_b64 s[6:7], vcc
	s_cbranch_execz .LBB296_169
; %bb.161:
	v_lshrrev_b32_e32 v4, 7, v4
	v_add_u32_e32 v6, -1, v4
	v_lshrrev_b32_e32 v5, 1, v6
	v_mov_b32_e32 v3, v2
	v_add_u32_e32 v5, 1, v5
	v_cmp_lt_u32_e32 vcc, 13, v6
	v_mov_b32_e32 v8, 0
	s_and_saveexec_b64 s[8:9], vcc
	s_cbranch_execz .LBB296_165
; %bb.162:
	v_mov_b32_e32 v7, 0x210
	v_and_b32_e32 v6, -8, v5
	v_lshl_add_u32 v7, v0, 2, v7
	s_mov_b32 s18, 0
	s_mov_b64 s[12:13], 0
.LBB296_163:                            ; =>This Inner Loop Header: Depth=1
	ds_read2st64_b32 v[8:9], v7 offset1:2
	ds_read2st64_b32 v[10:11], v7 offset0:4 offset1:6
	ds_read2st64_b32 v[12:13], v7 offset0:8 offset1:10
	;; [unrolled: 1-line block ×3, first 2 shown]
	v_add_u32_e32 v6, -8, v6
	s_waitcnt lgkmcnt(3)
	v_pk_mul_f32 v[8:9], v[2:3], v[8:9]
	s_waitcnt lgkmcnt(2)
	v_pk_mul_f32 v[10:11], v[2:3], v[10:11]
	ds_write2st64_b32 v7, v8, v9 offset1:2
	ds_write2st64_b32 v7, v10, v11 offset0:4 offset1:6
	ds_read2st64_b32 v[10:11], v7 offset0:16 offset1:18
	s_waitcnt lgkmcnt(4)
	v_pk_mul_f32 v[8:9], v[2:3], v[12:13]
	ds_write2st64_b32 v7, v8, v9 offset0:8 offset1:10
	s_waitcnt lgkmcnt(4)
	v_pk_mul_f32 v[8:9], v[2:3], v[14:15]
	ds_write2st64_b32 v7, v8, v9 offset0:12 offset1:14
	ds_read2st64_b32 v[8:9], v7 offset0:20 offset1:22
	s_waitcnt lgkmcnt(3)
	v_pk_mul_f32 v[10:11], v[2:3], v[10:11]
	ds_read2st64_b32 v[12:13], v7 offset0:24 offset1:26
	ds_write2st64_b32 v7, v10, v11 offset0:16 offset1:18
	ds_read2st64_b32 v[10:11], v7 offset0:28 offset1:30
	s_waitcnt lgkmcnt(3)
	v_pk_mul_f32 v[8:9], v[2:3], v[8:9]
	ds_write2st64_b32 v7, v8, v9 offset0:20 offset1:22
	s_waitcnt lgkmcnt(3)
	v_pk_mul_f32 v[8:9], v[2:3], v[12:13]
	ds_write2st64_b32 v7, v8, v9 offset0:24 offset1:26
	s_waitcnt lgkmcnt(2)
	v_pk_mul_f32 v[8:9], v[2:3], v[10:11]
	s_add_i32 s18, s18, 16
	v_cmp_eq_u32_e32 vcc, 0, v6
	ds_write2st64_b32 v7, v8, v9 offset0:28 offset1:30
	v_add_u32_e32 v7, 0x2000, v7
	s_or_b64 s[12:13], vcc, s[12:13]
	v_mov_b32_e32 v8, s18
	s_andn2_b64 exec, exec, s[12:13]
	s_cbranch_execnz .LBB296_163
; %bb.164:
	s_or_b64 exec, exec, s[12:13]
.LBB296_165:
	s_or_b64 exec, exec, s[8:9]
	v_and_b32_e32 v5, 7, v5
	v_cmp_ne_u32_e32 vcc, 0, v5
	s_and_saveexec_b64 s[8:9], vcc
	s_cbranch_execz .LBB296_168
; %bb.166:
	v_lshlrev_b32_e32 v6, 9, v8
	v_lshlrev_b32_e32 v7, 2, v0
	s_movk_i32 s12, 0x210
	v_add3_u32 v6, v6, v7, s12
	s_mov_b64 s[12:13], 0
.LBB296_167:                            ; =>This Inner Loop Header: Depth=1
	ds_read2st64_b32 v[8:9], v6 offset1:2
	v_add_u32_e32 v5, -1, v5
	v_cmp_eq_u32_e32 vcc, 0, v5
	s_or_b64 s[12:13], vcc, s[12:13]
	s_waitcnt lgkmcnt(0)
	v_pk_mul_f32 v[8:9], v[2:3], v[8:9]
	ds_write2st64_b32 v6, v8, v9 offset1:2
	v_add_u32_e32 v6, 0x400, v6
	s_andn2_b64 exec, exec, s[12:13]
	s_cbranch_execnz .LBB296_167
.LBB296_168:
	s_or_b64 exec, exec, s[8:9]
	v_add_u32_e32 v4, 1, v4
	v_and_b32_e32 v5, 0x3fffffe, v4
	v_cmp_ne_u32_e32 vcc, v4, v5
	v_lshl_add_u32 v3, v5, 7, v0
	s_orn2_b64 s[8:9], vcc, exec
.LBB296_169:
	s_or_b64 exec, exec, s[6:7]
	s_and_b64 exec, exec, s[8:9]
	s_cbranch_execz .LBB296_172
; %bb.170:
	v_mov_b32_e32 v4, 0x210
	v_lshl_add_u32 v4, v3, 2, v4
	s_mov_b64 s[6:7], 0
.LBB296_171:                            ; =>This Inner Loop Header: Depth=1
	ds_read_b32 v5, v4
	v_add_u32_e32 v3, 0x80, v3
	v_cmp_le_i32_e32 vcc, s24, v3
	s_or_b64 s[6:7], vcc, s[6:7]
	s_waitcnt lgkmcnt(0)
	v_mul_f32_e32 v5, v2, v5
	ds_write_b32 v4, v5
	v_add_u32_e32 v4, 0x200, v4
	s_andn2_b64 exec, exec, s[6:7]
	s_cbranch_execnz .LBB296_171
.LBB296_172:
	s_or_b64 exec, exec, s[2:3]
	s_mov_b32 s24, 0
	s_mov_b32 s25, s24
	;; [unrolled: 1-line block ×4, first 2 shown]
	s_waitcnt lgkmcnt(0)
	v_mov_b64_e32 v[2:3], s[24:25]
	v_mov_b64_e32 v[4:5], s[26:27]
	s_barrier
	s_and_saveexec_b64 s[2:3], s[0:1]
	s_cbranch_execz .LBB296_474
; %bb.173:
	s_sub_i32 s12, s43, s21
	s_ashr_i32 s1, s44, 31
	s_add_u32 s0, s10, s44
	s_addc_u32 s1, s11, s1
	s_abs_i32 s13, s22
	v_cvt_f32_u32_e32 v2, s13
	v_lshlrev_b32_e32 v14, 3, v20
	v_mov_b32_e32 v15, 0
	s_sub_i32 s6, 0, s13
	v_rcp_iflag_f32_e32 v2, v2
	s_add_i32 s18, s20, -1
	v_lshl_add_u64 v[16:17], s[0:1], 0, v[14:15]
	s_lshl_b64 s[0:1], s[38:39], 2
	v_mul_f32_e32 v2, 0x4f7ffffe, v2
	v_cvt_u32_f32_e32 v2, v2
	s_add_u32 s0, s36, s0
	v_and_b32_e32 v14, 60, v27
	s_addc_u32 s1, s37, s1
	v_mul_lo_u32 v3, s6, v2
	v_mul_hi_u32 v3, v2, v3
	v_add_u32_e32 v21, v2, v3
	v_mov_b32_e32 v2, 0x210
	v_lshl_add_u64 v[18:19], s[0:1], 0, v[14:15]
	v_lshl_add_u32 v14, v1, 5, v2
	v_mov_b64_e32 v[2:3], s[24:25]
	s_mov_b64 s[6:7], 0
	v_mov_b64_e32 v[4:5], s[26:27]
	s_mov_b32 s19, 0x7f800000
	s_movk_i32 s21, 0x7fff
	s_branch .LBB296_176
.LBB296_174:                            ;   in Loop: Header=BB296_176 Depth=1
	s_or_b64 exec, exec, s[0:1]
	v_and_b32_e32 v35, 0xffff0000, v13
	v_and_b32_e32 v34, 0xffff0000, v11
	;; [unrolled: 1-line block ×8, first 2 shown]
	v_pk_add_f32 v[10:11], v[10:11], v[34:35]
	v_pk_add_f32 v[12:13], v[22:23], v[32:33]
	v_add_f32_e32 v10, v10, v11
	v_add_f32_e32 v10, v10, v12
	v_add_f32_e32 v10, v10, v13
	v_and_b32_e32 v23, 0xffff0000, v45
	v_and_b32_e32 v22, 0xffff0000, v43
	v_and_b32_e32 v33, 0xffff0000, v44
	v_and_b32_e32 v32, 0xffff0000, v42
	v_add_f32_e32 v2, v2, v10
	v_and_b32_e32 v11, 0xffff0000, v49
	v_and_b32_e32 v10, 0xffff0000, v47
	v_and_b32_e32 v13, 0xffff0000, v48
	v_and_b32_e32 v12, 0xffff0000, v46
	v_pk_add_f32 v[22:23], v[32:33], v[22:23]
	v_pk_add_f32 v[10:11], v[12:13], v[10:11]
	v_add_f32_e32 v12, v22, v23
	v_add_f32_e32 v10, v12, v10
	v_add_f32_e32 v10, v10, v11
	v_and_b32_e32 v23, 0xffff0000, v51
	v_and_b32_e32 v22, 0xffff0000, v9
	v_and_b32_e32 v9, 0xffff0000, v50
	v_and_b32_e32 v8, 0xffff0000, v8
	v_add_f32_e32 v3, v3, v10
	v_and_b32_e32 v11, 0xffff0000, v55
	v_and_b32_e32 v10, 0xffff0000, v53
	v_and_b32_e32 v13, 0xffff0000, v54
	v_and_b32_e32 v12, 0xffff0000, v52
	;; [unrolled: 14-line block ×3, first 2 shown]
	v_pk_add_f32 v[6:7], v[6:7], v[12:13]
	v_pk_add_f32 v[8:9], v[10:11], v[8:9]
	v_add_f32_e32 v6, v6, v7
	v_add_f32_e32 v6, v6, v8
	;; [unrolled: 1-line block ×4, first 2 shown]
.LBB296_175:                            ;   in Loop: Header=BB296_176 Depth=1
	s_or_b64 exec, exec, s[8:9]
	v_add_u32_e32 v1, 2, v1
	v_cmp_le_i32_e32 vcc, s20, v1
	v_lshl_add_u64 v[18:19], v[18:19], 0, 8
	v_add_u32_e32 v26, 16, v26
	s_or_b64 s[6:7], vcc, s[6:7]
	v_add_u32_e32 v14, 64, v14
	s_andn2_b64 exec, exec, s[6:7]
	s_cbranch_execz .LBB296_473
.LBB296_176:                            ; =>This Inner Loop Header: Depth=1
	v_mul_hi_u32 v6, v26, s35
	v_mul_lo_u32 v7, v6, s16
	v_sub_u32_e32 v7, v26, v7
	v_add_u32_e32 v8, 1, v6
	v_cmp_le_u32_e32 vcc, s16, v7
	s_nop 1
	v_cndmask_b32_e32 v6, v6, v8, vcc
	v_subrev_u32_e32 v8, s16, v7
	v_cndmask_b32_e32 v7, v7, v8, vcc
	v_add_u32_e32 v8, 1, v6
	v_cmp_le_u32_e32 vcc, s16, v7
	s_nop 1
	v_cndmask_b32_e32 v6, v6, v8, vcc
	v_xor_b32_e32 v6, s23, v6
	v_subrev_u32_e32 v6, s23, v6
	v_add_u32_e32 v7, s42, v6
	v_sub_u32_e32 v9, 0, v7
	v_ashrrev_i32_e32 v8, 31, v7
	v_max_i32_e32 v7, v7, v9
	v_mul_hi_u32 v9, v7, v21
	v_mul_lo_u32 v9, v9, s13
	v_sub_u32_e32 v7, v7, v9
	v_subrev_u32_e32 v9, s13, v7
	v_cmp_le_u32_e32 vcc, s13, v7
	v_cmp_lt_i32_e64 s[0:1], s12, v6
	s_nop 0
	v_cndmask_b32_e32 v7, v7, v9, vcc
	v_subrev_u32_e32 v9, s13, v7
	v_cmp_le_u32_e32 vcc, s13, v7
	s_nop 1
	v_cndmask_b32_e32 v7, v7, v9, vcc
	v_xor_b32_e32 v7, v7, v8
	v_sub_u32_e32 v7, v7, v8
	v_cmp_eq_u32_e32 vcc, 0, v7
	s_or_b64 s[0:1], vcc, s[0:1]
	s_and_saveexec_b64 s[8:9], s[0:1]
	s_cbranch_execz .LBB296_175
; %bb.177:                              ;   in Loop: Header=BB296_176 Depth=1
	global_load_dword v25, v[18:19], off
	ds_read2_b64 v[10:13], v14 offset1:1
	ds_read2_b64 v[6:9], v14 offset0:2 offset1:3
                                        ; implicit-def: $vgpr34
	s_waitcnt lgkmcnt(1)
	v_and_b32_e32 v22, 0x7f800000, v10
	v_cmp_ne_u32_e32 vcc, s19, v22
	s_and_saveexec_b64 s[0:1], vcc
	s_xor_b64 s[0:1], exec, s[0:1]
; %bb.178:                              ;   in Loop: Header=BB296_176 Depth=1
	v_bfe_u32 v22, v10, 16, 1
	v_add3_u32 v34, v10, v22, s21
; %bb.179:                              ;   in Loop: Header=BB296_176 Depth=1
	s_andn2_saveexec_b64 s[0:1], s[0:1]
; %bb.180:                              ;   in Loop: Header=BB296_176 Depth=1
	v_or_b32_e32 v22, 0x10000, v10
	v_cmp_eq_u32_sdwa vcc, v10, v15 src0_sel:WORD_0 src1_sel:DWORD
	s_nop 1
	v_cndmask_b32_e32 v34, v22, v10, vcc
; %bb.181:                              ;   in Loop: Header=BB296_176 Depth=1
	s_or_b64 exec, exec, s[0:1]
	v_and_b32_e32 v10, 0x7f800000, v11
	v_cmp_ne_u32_e32 vcc, s19, v10
                                        ; implicit-def: $vgpr35
	s_and_saveexec_b64 s[0:1], vcc
	s_xor_b64 s[0:1], exec, s[0:1]
; %bb.182:                              ;   in Loop: Header=BB296_176 Depth=1
	v_bfe_u32 v10, v11, 16, 1
	v_add3_u32 v35, v11, v10, s21
; %bb.183:                              ;   in Loop: Header=BB296_176 Depth=1
	s_andn2_saveexec_b64 s[0:1], s[0:1]
; %bb.184:                              ;   in Loop: Header=BB296_176 Depth=1
	v_or_b32_e32 v10, 0x10000, v11
	v_cmp_eq_u32_sdwa vcc, v11, v15 src0_sel:WORD_0 src1_sel:DWORD
	s_nop 1
	v_cndmask_b32_e32 v35, v10, v11, vcc
; %bb.185:                              ;   in Loop: Header=BB296_176 Depth=1
	s_or_b64 exec, exec, s[0:1]
	v_and_b32_e32 v10, 0x7f800000, v12
	v_cmp_ne_u32_e32 vcc, s19, v10
                                        ; implicit-def: $vgpr36
	s_and_saveexec_b64 s[0:1], vcc
	s_xor_b64 s[0:1], exec, s[0:1]
; %bb.186:                              ;   in Loop: Header=BB296_176 Depth=1
	v_bfe_u32 v10, v12, 16, 1
	v_add3_u32 v36, v12, v10, s21
; %bb.187:                              ;   in Loop: Header=BB296_176 Depth=1
	s_andn2_saveexec_b64 s[0:1], s[0:1]
; %bb.188:                              ;   in Loop: Header=BB296_176 Depth=1
	v_or_b32_e32 v10, 0x10000, v12
	v_cmp_eq_u32_sdwa vcc, v12, v15 src0_sel:WORD_0 src1_sel:DWORD
	s_nop 1
	v_cndmask_b32_e32 v36, v10, v12, vcc
; %bb.189:                              ;   in Loop: Header=BB296_176 Depth=1
	s_or_b64 exec, exec, s[0:1]
	v_and_b32_e32 v10, 0x7f800000, v13
	v_cmp_ne_u32_e32 vcc, s19, v10
                                        ; implicit-def: $vgpr37
	s_and_saveexec_b64 s[0:1], vcc
	s_xor_b64 s[0:1], exec, s[0:1]
; %bb.190:                              ;   in Loop: Header=BB296_176 Depth=1
	v_bfe_u32 v10, v13, 16, 1
	v_add3_u32 v37, v13, v10, s21
                                        ; implicit-def: $vgpr10_vgpr11_vgpr12_vgpr13
; %bb.191:                              ;   in Loop: Header=BB296_176 Depth=1
	s_andn2_saveexec_b64 s[0:1], s[0:1]
; %bb.192:                              ;   in Loop: Header=BB296_176 Depth=1
	v_or_b32_e32 v10, 0x10000, v13
	v_cmp_eq_u32_sdwa vcc, v13, v15 src0_sel:WORD_0 src1_sel:DWORD
	s_nop 1
	v_cndmask_b32_e32 v37, v10, v13, vcc
; %bb.193:                              ;   in Loop: Header=BB296_176 Depth=1
	s_or_b64 exec, exec, s[0:1]
	s_waitcnt lgkmcnt(0)
	v_and_b32_e32 v10, 0x7f800000, v6
	v_cmp_ne_u32_e32 vcc, s19, v10
                                        ; implicit-def: $vgpr22
	s_and_saveexec_b64 s[0:1], vcc
	s_xor_b64 s[0:1], exec, s[0:1]
; %bb.194:                              ;   in Loop: Header=BB296_176 Depth=1
	v_bfe_u32 v10, v6, 16, 1
	v_add3_u32 v22, v6, v10, s21
; %bb.195:                              ;   in Loop: Header=BB296_176 Depth=1
	s_andn2_saveexec_b64 s[0:1], s[0:1]
; %bb.196:                              ;   in Loop: Header=BB296_176 Depth=1
	v_or_b32_e32 v10, 0x10000, v6
	v_cmp_eq_u32_sdwa vcc, v6, v15 src0_sel:WORD_0 src1_sel:DWORD
	s_nop 1
	v_cndmask_b32_e32 v22, v10, v6, vcc
; %bb.197:                              ;   in Loop: Header=BB296_176 Depth=1
	s_or_b64 exec, exec, s[0:1]
	v_and_b32_e32 v6, 0x7f800000, v7
	v_cmp_ne_u32_e32 vcc, s19, v6
                                        ; implicit-def: $vgpr23
	s_and_saveexec_b64 s[0:1], vcc
	s_xor_b64 s[0:1], exec, s[0:1]
; %bb.198:                              ;   in Loop: Header=BB296_176 Depth=1
	v_bfe_u32 v6, v7, 16, 1
	v_add3_u32 v23, v7, v6, s21
; %bb.199:                              ;   in Loop: Header=BB296_176 Depth=1
	s_andn2_saveexec_b64 s[0:1], s[0:1]
; %bb.200:                              ;   in Loop: Header=BB296_176 Depth=1
	v_or_b32_e32 v6, 0x10000, v7
	v_cmp_eq_u32_sdwa vcc, v7, v15 src0_sel:WORD_0 src1_sel:DWORD
	s_nop 1
	v_cndmask_b32_e32 v23, v6, v7, vcc
; %bb.201:                              ;   in Loop: Header=BB296_176 Depth=1
	s_or_b64 exec, exec, s[0:1]
	v_and_b32_e32 v6, 0x7f800000, v8
	v_cmp_ne_u32_e32 vcc, s19, v6
                                        ; implicit-def: $vgpr24
	s_and_saveexec_b64 s[0:1], vcc
	s_xor_b64 s[0:1], exec, s[0:1]
; %bb.202:                              ;   in Loop: Header=BB296_176 Depth=1
	v_bfe_u32 v6, v8, 16, 1
	v_add3_u32 v24, v8, v6, s21
; %bb.203:                              ;   in Loop: Header=BB296_176 Depth=1
	s_andn2_saveexec_b64 s[0:1], s[0:1]
; %bb.204:                              ;   in Loop: Header=BB296_176 Depth=1
	v_or_b32_e32 v6, 0x10000, v8
	v_cmp_eq_u32_sdwa vcc, v8, v15 src0_sel:WORD_0 src1_sel:DWORD
	s_nop 1
	v_cndmask_b32_e32 v24, v6, v8, vcc
; %bb.205:                              ;   in Loop: Header=BB296_176 Depth=1
	s_or_b64 exec, exec, s[0:1]
	v_and_b32_e32 v6, 0x7f800000, v9
	v_cmp_ne_u32_e32 vcc, s19, v6
                                        ; implicit-def: $vgpr33
	s_and_saveexec_b64 s[0:1], vcc
	s_xor_b64 s[0:1], exec, s[0:1]
; %bb.206:                              ;   in Loop: Header=BB296_176 Depth=1
	v_bfe_u32 v6, v9, 16, 1
	v_add3_u32 v33, v9, v6, s21
                                        ; implicit-def: $vgpr6_vgpr7_vgpr8_vgpr9
; %bb.207:                              ;   in Loop: Header=BB296_176 Depth=1
	s_andn2_saveexec_b64 s[0:1], s[0:1]
; %bb.208:                              ;   in Loop: Header=BB296_176 Depth=1
	v_or_b32_e32 v6, 0x10000, v9
	v_cmp_eq_u32_sdwa vcc, v9, v15 src0_sel:WORD_0 src1_sel:DWORD
	s_nop 1
	v_cndmask_b32_e32 v33, v6, v9, vcc
; %bb.209:                              ;   in Loop: Header=BB296_176 Depth=1
	s_or_b64 exec, exec, s[0:1]
	s_waitcnt vmcnt(0)
	v_mad_i64_i32 v[6:7], s[0:1], v25, s17, v[16:17]
	global_load_dwordx2 v[8:9], v[6:7], off
	s_load_dword s22, s[14:15], 0x0
	s_waitcnt vmcnt(0)
	v_and_b32_e32 v10, 0xff, v8
	v_cvt_f32_fp8_sdwa v10, v10 src0_sel:BYTE_0
	s_waitcnt lgkmcnt(0)
	v_mul_f32_e32 v11, s22, v10
	v_and_b32_e32 v10, 0x7f800000, v11
	v_cmp_ne_u32_e32 vcc, s19, v10
                                        ; implicit-def: $vgpr10
	s_and_saveexec_b64 s[0:1], vcc
	s_xor_b64 s[0:1], exec, s[0:1]
; %bb.210:                              ;   in Loop: Header=BB296_176 Depth=1
	v_bfe_u32 v10, v11, 16, 1
	v_add3_u32 v10, v11, v10, s21
                                        ; implicit-def: $vgpr11
; %bb.211:                              ;   in Loop: Header=BB296_176 Depth=1
	s_andn2_saveexec_b64 s[0:1], s[0:1]
; %bb.212:                              ;   in Loop: Header=BB296_176 Depth=1
	v_or_b32_e32 v10, 0x10000, v11
	v_cmp_eq_u32_sdwa vcc, v11, v15 src0_sel:WORD_0 src1_sel:DWORD
	s_nop 1
	v_cndmask_b32_e32 v10, v10, v11, vcc
; %bb.213:                              ;   in Loop: Header=BB296_176 Depth=1
	s_or_b64 exec, exec, s[0:1]
	v_bfe_u32 v11, v8, 8, 8
	v_cvt_f32_fp8_sdwa v11, v11 src0_sel:BYTE_0
	s_nop 0
	v_mul_f32_e32 v12, s22, v11
	v_and_b32_e32 v11, 0x7f800000, v12
	v_cmp_ne_u32_e32 vcc, s19, v11
                                        ; implicit-def: $vgpr11
	s_and_saveexec_b64 s[0:1], vcc
	s_xor_b64 s[0:1], exec, s[0:1]
; %bb.214:                              ;   in Loop: Header=BB296_176 Depth=1
	v_bfe_u32 v11, v12, 16, 1
	v_add3_u32 v11, v12, v11, s21
                                        ; implicit-def: $vgpr12
; %bb.215:                              ;   in Loop: Header=BB296_176 Depth=1
	s_andn2_saveexec_b64 s[0:1], s[0:1]
; %bb.216:                              ;   in Loop: Header=BB296_176 Depth=1
	v_or_b32_e32 v11, 0x10000, v12
	v_cmp_eq_u32_sdwa vcc, v12, v15 src0_sel:WORD_0 src1_sel:DWORD
	s_nop 1
	v_cndmask_b32_e32 v11, v11, v12, vcc
; %bb.217:                              ;   in Loop: Header=BB296_176 Depth=1
	s_or_b64 exec, exec, s[0:1]
	v_bfe_u32 v12, v8, 16, 8
	v_cvt_f32_fp8_sdwa v12, v12 src0_sel:BYTE_0
	s_nop 0
	v_mul_f32_e32 v13, s22, v12
	v_and_b32_e32 v12, 0x7f800000, v13
	v_cmp_ne_u32_e32 vcc, s19, v12
                                        ; implicit-def: $vgpr12
	s_and_saveexec_b64 s[0:1], vcc
	s_xor_b64 s[0:1], exec, s[0:1]
; %bb.218:                              ;   in Loop: Header=BB296_176 Depth=1
	v_bfe_u32 v12, v13, 16, 1
	v_add3_u32 v12, v13, v12, s21
                                        ; implicit-def: $vgpr13
; %bb.219:                              ;   in Loop: Header=BB296_176 Depth=1
	s_andn2_saveexec_b64 s[0:1], s[0:1]
; %bb.220:                              ;   in Loop: Header=BB296_176 Depth=1
	v_or_b32_e32 v12, 0x10000, v13
	v_cmp_eq_u32_sdwa vcc, v13, v15 src0_sel:WORD_0 src1_sel:DWORD
	s_nop 1
	v_cndmask_b32_e32 v12, v12, v13, vcc
; %bb.221:                              ;   in Loop: Header=BB296_176 Depth=1
	s_or_b64 exec, exec, s[0:1]
	v_lshrrev_b32_e32 v8, 24, v8
	v_cvt_f32_fp8_sdwa v8, v8 src0_sel:BYTE_0
	s_nop 0
	v_mul_f32_e32 v13, s22, v8
	v_and_b32_e32 v8, 0x7f800000, v13
	v_cmp_ne_u32_e32 vcc, s19, v8
                                        ; implicit-def: $vgpr8
	s_and_saveexec_b64 s[0:1], vcc
	s_xor_b64 s[0:1], exec, s[0:1]
; %bb.222:                              ;   in Loop: Header=BB296_176 Depth=1
	v_bfe_u32 v8, v13, 16, 1
	v_add3_u32 v8, v13, v8, s21
                                        ; implicit-def: $vgpr13
; %bb.223:                              ;   in Loop: Header=BB296_176 Depth=1
	s_andn2_saveexec_b64 s[0:1], s[0:1]
; %bb.224:                              ;   in Loop: Header=BB296_176 Depth=1
	v_or_b32_e32 v8, 0x10000, v13
	v_cmp_eq_u32_sdwa vcc, v13, v15 src0_sel:WORD_0 src1_sel:DWORD
	s_nop 1
	v_cndmask_b32_e32 v8, v8, v13, vcc
; %bb.225:                              ;   in Loop: Header=BB296_176 Depth=1
	s_or_b64 exec, exec, s[0:1]
	v_and_b32_e32 v13, 0xff, v9
	v_cvt_f32_fp8_sdwa v13, v13 src0_sel:BYTE_0
	s_nop 0
	v_mul_f32_e32 v25, s22, v13
	v_and_b32_e32 v13, 0x7f800000, v25
	v_cmp_ne_u32_e32 vcc, s19, v13
                                        ; implicit-def: $vgpr13
	s_and_saveexec_b64 s[0:1], vcc
	s_xor_b64 s[0:1], exec, s[0:1]
; %bb.226:                              ;   in Loop: Header=BB296_176 Depth=1
	v_bfe_u32 v13, v25, 16, 1
	v_add3_u32 v13, v25, v13, s21
                                        ; implicit-def: $vgpr25
; %bb.227:                              ;   in Loop: Header=BB296_176 Depth=1
	s_andn2_saveexec_b64 s[0:1], s[0:1]
; %bb.228:                              ;   in Loop: Header=BB296_176 Depth=1
	v_or_b32_e32 v13, 0x10000, v25
	v_cmp_eq_u32_sdwa vcc, v25, v15 src0_sel:WORD_0 src1_sel:DWORD
	s_nop 1
	v_cndmask_b32_e32 v13, v13, v25, vcc
; %bb.229:                              ;   in Loop: Header=BB296_176 Depth=1
	s_or_b64 exec, exec, s[0:1]
	v_bfe_u32 v25, v9, 8, 8
	v_cvt_f32_fp8_sdwa v25, v25 src0_sel:BYTE_0
	s_nop 0
	v_mul_f32_e32 v27, s22, v25
	v_and_b32_e32 v25, 0x7f800000, v27
	v_cmp_ne_u32_e32 vcc, s19, v25
                                        ; implicit-def: $vgpr25
	s_and_saveexec_b64 s[0:1], vcc
	s_xor_b64 s[0:1], exec, s[0:1]
; %bb.230:                              ;   in Loop: Header=BB296_176 Depth=1
	v_bfe_u32 v25, v27, 16, 1
	v_add3_u32 v25, v27, v25, s21
                                        ; implicit-def: $vgpr27
; %bb.231:                              ;   in Loop: Header=BB296_176 Depth=1
	s_andn2_saveexec_b64 s[0:1], s[0:1]
; %bb.232:                              ;   in Loop: Header=BB296_176 Depth=1
	v_or_b32_e32 v25, 0x10000, v27
	v_cmp_eq_u32_sdwa vcc, v27, v15 src0_sel:WORD_0 src1_sel:DWORD
	s_nop 1
	v_cndmask_b32_e32 v25, v25, v27, vcc
; %bb.233:                              ;   in Loop: Header=BB296_176 Depth=1
	s_or_b64 exec, exec, s[0:1]
	v_bfe_u32 v27, v9, 16, 8
	v_cvt_f32_fp8_sdwa v27, v27 src0_sel:BYTE_0
	s_nop 0
	v_mul_f32_e32 v28, s22, v27
	v_and_b32_e32 v27, 0x7f800000, v28
	v_cmp_ne_u32_e32 vcc, s19, v27
                                        ; implicit-def: $vgpr27
	s_and_saveexec_b64 s[0:1], vcc
	s_xor_b64 s[0:1], exec, s[0:1]
; %bb.234:                              ;   in Loop: Header=BB296_176 Depth=1
	v_bfe_u32 v27, v28, 16, 1
	v_add3_u32 v27, v28, v27, s21
                                        ; implicit-def: $vgpr28
; %bb.235:                              ;   in Loop: Header=BB296_176 Depth=1
	s_andn2_saveexec_b64 s[0:1], s[0:1]
; %bb.236:                              ;   in Loop: Header=BB296_176 Depth=1
	v_or_b32_e32 v27, 0x10000, v28
	v_cmp_eq_u32_sdwa vcc, v28, v15 src0_sel:WORD_0 src1_sel:DWORD
	s_nop 1
	v_cndmask_b32_e32 v27, v27, v28, vcc
; %bb.237:                              ;   in Loop: Header=BB296_176 Depth=1
	s_or_b64 exec, exec, s[0:1]
	v_lshrrev_b32_e32 v9, 24, v9
	v_cvt_f32_fp8_sdwa v9, v9 src0_sel:BYTE_0
	s_nop 0
	v_mul_f32_e32 v9, s22, v9
	v_and_b32_e32 v28, 0x7f800000, v9
	v_cmp_ne_u32_e32 vcc, s19, v28
                                        ; implicit-def: $vgpr28
	s_and_saveexec_b64 s[0:1], vcc
	s_xor_b64 s[0:1], exec, s[0:1]
; %bb.238:                              ;   in Loop: Header=BB296_176 Depth=1
	v_bfe_u32 v28, v9, 16, 1
	v_add3_u32 v28, v9, v28, s21
                                        ; implicit-def: $vgpr9
; %bb.239:                              ;   in Loop: Header=BB296_176 Depth=1
	s_andn2_saveexec_b64 s[0:1], s[0:1]
; %bb.240:                              ;   in Loop: Header=BB296_176 Depth=1
	v_or_b32_e32 v28, 0x10000, v9
	v_cmp_eq_u32_sdwa vcc, v9, v15 src0_sel:WORD_0 src1_sel:DWORD
	s_nop 1
	v_cndmask_b32_e32 v28, v28, v9, vcc
; %bb.241:                              ;   in Loop: Header=BB296_176 Depth=1
	s_or_b64 exec, exec, s[0:1]
	v_cmp_eq_u32_e32 vcc, s18, v1
	v_lshrrev_b32_e32 v40, 16, v25
	v_lshrrev_b32_e32 v39, 16, v13
	;; [unrolled: 1-line block ×8, first 2 shown]
	v_add_u32_e32 v32, 1, v26
	v_add_u32_e32 v31, 2, v26
	;; [unrolled: 1-line block ×7, first 2 shown]
	s_and_saveexec_b64 s[10:11], vcc
	s_cbranch_execz .LBB296_243
; %bb.242:                              ;   in Loop: Header=BB296_176 Depth=1
	v_cmp_gt_i32_e64 s[0:1], s33, v26
	s_nop 1
	v_cndmask_b32_e64 v10, 0, v10, s[0:1]
	v_cmp_gt_i32_e64 s[0:1], s33, v32
	s_nop 1
	v_cndmask_b32_e64 v11, 0, v11, s[0:1]
	;; [unrolled: 3-line block ×8, first 2 shown]
.LBB296_243:                            ;   in Loop: Header=BB296_176 Depth=1
	s_or_b64 exec, exec, s[10:11]
	v_and_b32_e32 v34, 0xffff0000, v34
	v_lshlrev_b32_e32 v10, 16, v10
	v_mul_f32_e32 v38, v34, v10
	v_and_b32_e32 v10, 0x7f800000, v38
	v_cmp_ne_u32_e64 s[0:1], s19, v10
                                        ; implicit-def: $vgpr10
	s_and_saveexec_b64 s[10:11], s[0:1]
	s_xor_b64 s[0:1], exec, s[10:11]
; %bb.244:                              ;   in Loop: Header=BB296_176 Depth=1
	v_bfe_u32 v10, v38, 16, 1
	v_add3_u32 v10, v38, v10, s21
                                        ; implicit-def: $vgpr38
; %bb.245:                              ;   in Loop: Header=BB296_176 Depth=1
	s_andn2_saveexec_b64 s[10:11], s[0:1]
; %bb.246:                              ;   in Loop: Header=BB296_176 Depth=1
	v_or_b32_e32 v10, 0x10000, v38
	v_cmp_eq_u32_sdwa s[0:1], v38, v15 src0_sel:WORD_0 src1_sel:DWORD
	s_nop 1
	v_cndmask_b32_e64 v10, v10, v38, s[0:1]
; %bb.247:                              ;   in Loop: Header=BB296_176 Depth=1
	s_or_b64 exec, exec, s[10:11]
	v_and_b32_e32 v35, 0xffff0000, v35
	v_lshlrev_b32_e32 v11, 16, v11
	v_mul_f32_e32 v38, v35, v11
	v_and_b32_e32 v11, 0x7f800000, v38
	v_cmp_ne_u32_e64 s[0:1], s19, v11
                                        ; implicit-def: $vgpr11
	s_and_saveexec_b64 s[10:11], s[0:1]
	s_xor_b64 s[0:1], exec, s[10:11]
; %bb.248:                              ;   in Loop: Header=BB296_176 Depth=1
	v_bfe_u32 v11, v38, 16, 1
	v_add3_u32 v11, v38, v11, s21
                                        ; implicit-def: $vgpr38
; %bb.249:                              ;   in Loop: Header=BB296_176 Depth=1
	s_andn2_saveexec_b64 s[10:11], s[0:1]
; %bb.250:                              ;   in Loop: Header=BB296_176 Depth=1
	v_or_b32_e32 v11, 0x10000, v38
	v_cmp_eq_u32_sdwa s[0:1], v38, v15 src0_sel:WORD_0 src1_sel:DWORD
	s_nop 1
	v_cndmask_b32_e64 v11, v11, v38, s[0:1]
; %bb.251:                              ;   in Loop: Header=BB296_176 Depth=1
	s_or_b64 exec, exec, s[10:11]
	v_and_b32_e32 v36, 0xffff0000, v36
	v_lshlrev_b32_e32 v12, 16, v12
	v_mul_f32_e32 v38, v36, v12
	v_and_b32_e32 v12, 0x7f800000, v38
	v_cmp_ne_u32_e64 s[0:1], s19, v12
                                        ; implicit-def: $vgpr12
	s_and_saveexec_b64 s[10:11], s[0:1]
	s_xor_b64 s[0:1], exec, s[10:11]
; %bb.252:                              ;   in Loop: Header=BB296_176 Depth=1
	v_bfe_u32 v12, v38, 16, 1
	v_add3_u32 v12, v38, v12, s21
                                        ; implicit-def: $vgpr38
; %bb.253:                              ;   in Loop: Header=BB296_176 Depth=1
	s_andn2_saveexec_b64 s[10:11], s[0:1]
; %bb.254:                              ;   in Loop: Header=BB296_176 Depth=1
	v_or_b32_e32 v12, 0x10000, v38
	v_cmp_eq_u32_sdwa s[0:1], v38, v15 src0_sel:WORD_0 src1_sel:DWORD
	s_nop 1
	v_cndmask_b32_e64 v12, v12, v38, s[0:1]
; %bb.255:                              ;   in Loop: Header=BB296_176 Depth=1
	s_or_b64 exec, exec, s[10:11]
	v_and_b32_e32 v37, 0xffff0000, v37
	v_lshlrev_b32_e32 v13, 16, v13
	v_mul_f32_e32 v38, v37, v13
	v_and_b32_e32 v13, 0x7f800000, v38
	v_cmp_ne_u32_e64 s[0:1], s19, v13
                                        ; implicit-def: $vgpr13
	s_and_saveexec_b64 s[10:11], s[0:1]
	s_xor_b64 s[0:1], exec, s[10:11]
; %bb.256:                              ;   in Loop: Header=BB296_176 Depth=1
	v_bfe_u32 v13, v38, 16, 1
	v_add3_u32 v13, v38, v13, s21
                                        ; implicit-def: $vgpr38
; %bb.257:                              ;   in Loop: Header=BB296_176 Depth=1
	s_andn2_saveexec_b64 s[10:11], s[0:1]
; %bb.258:                              ;   in Loop: Header=BB296_176 Depth=1
	v_or_b32_e32 v13, 0x10000, v38
	v_cmp_eq_u32_sdwa s[0:1], v38, v15 src0_sel:WORD_0 src1_sel:DWORD
	s_nop 1
	v_cndmask_b32_e64 v13, v13, v38, s[0:1]
; %bb.259:                              ;   in Loop: Header=BB296_176 Depth=1
	s_or_b64 exec, exec, s[10:11]
	v_and_b32_e32 v38, 0xffff0000, v22
	v_lshlrev_b32_e32 v22, 16, v39
	v_mul_f32_e32 v39, v38, v22
	v_and_b32_e32 v22, 0x7f800000, v39
	v_cmp_ne_u32_e64 s[0:1], s19, v22
                                        ; implicit-def: $vgpr22
	s_and_saveexec_b64 s[10:11], s[0:1]
	s_xor_b64 s[0:1], exec, s[10:11]
; %bb.260:                              ;   in Loop: Header=BB296_176 Depth=1
	v_bfe_u32 v22, v39, 16, 1
	v_add3_u32 v22, v39, v22, s21
                                        ; implicit-def: $vgpr39
; %bb.261:                              ;   in Loop: Header=BB296_176 Depth=1
	s_andn2_saveexec_b64 s[10:11], s[0:1]
; %bb.262:                              ;   in Loop: Header=BB296_176 Depth=1
	v_or_b32_e32 v22, 0x10000, v39
	v_cmp_eq_u32_sdwa s[0:1], v39, v15 src0_sel:WORD_0 src1_sel:DWORD
	s_nop 1
	v_cndmask_b32_e64 v22, v22, v39, s[0:1]
; %bb.263:                              ;   in Loop: Header=BB296_176 Depth=1
	s_or_b64 exec, exec, s[10:11]
	v_and_b32_e32 v39, 0xffff0000, v23
	v_lshlrev_b32_e32 v23, 16, v40
	v_mul_f32_e32 v40, v39, v23
	v_and_b32_e32 v23, 0x7f800000, v40
	v_cmp_ne_u32_e64 s[0:1], s19, v23
                                        ; implicit-def: $vgpr23
	s_and_saveexec_b64 s[10:11], s[0:1]
	s_xor_b64 s[0:1], exec, s[10:11]
; %bb.264:                              ;   in Loop: Header=BB296_176 Depth=1
	v_bfe_u32 v23, v40, 16, 1
	v_add3_u32 v23, v40, v23, s21
                                        ; implicit-def: $vgpr40
; %bb.265:                              ;   in Loop: Header=BB296_176 Depth=1
	s_andn2_saveexec_b64 s[10:11], s[0:1]
; %bb.266:                              ;   in Loop: Header=BB296_176 Depth=1
	v_or_b32_e32 v23, 0x10000, v40
	v_cmp_eq_u32_sdwa s[0:1], v40, v15 src0_sel:WORD_0 src1_sel:DWORD
	s_nop 1
	v_cndmask_b32_e64 v23, v23, v40, s[0:1]
; %bb.267:                              ;   in Loop: Header=BB296_176 Depth=1
	s_or_b64 exec, exec, s[10:11]
	v_and_b32_e32 v40, 0xffff0000, v24
	v_lshlrev_b32_e32 v9, 16, v9
	v_mul_f32_e32 v9, v40, v9
	v_and_b32_e32 v24, 0x7f800000, v9
	v_cmp_ne_u32_e64 s[0:1], s19, v24
                                        ; implicit-def: $vgpr24
	s_and_saveexec_b64 s[10:11], s[0:1]
	s_xor_b64 s[0:1], exec, s[10:11]
; %bb.268:                              ;   in Loop: Header=BB296_176 Depth=1
	v_bfe_u32 v24, v9, 16, 1
	v_add3_u32 v24, v9, v24, s21
                                        ; implicit-def: $vgpr9
; %bb.269:                              ;   in Loop: Header=BB296_176 Depth=1
	s_andn2_saveexec_b64 s[10:11], s[0:1]
; %bb.270:                              ;   in Loop: Header=BB296_176 Depth=1
	v_or_b32_e32 v24, 0x10000, v9
	v_cmp_eq_u32_sdwa s[0:1], v9, v15 src0_sel:WORD_0 src1_sel:DWORD
	s_nop 1
	v_cndmask_b32_e64 v24, v24, v9, s[0:1]
; %bb.271:                              ;   in Loop: Header=BB296_176 Depth=1
	s_or_b64 exec, exec, s[10:11]
	v_and_b32_e32 v41, 0xffff0000, v33
	v_lshlrev_b32_e32 v8, 16, v8
	v_mul_f32_e32 v8, v41, v8
	v_and_b32_e32 v9, 0x7f800000, v8
	v_cmp_ne_u32_e64 s[0:1], s19, v9
                                        ; implicit-def: $vgpr33
	s_and_saveexec_b64 s[10:11], s[0:1]
	s_xor_b64 s[0:1], exec, s[10:11]
; %bb.272:                              ;   in Loop: Header=BB296_176 Depth=1
	v_bfe_u32 v9, v8, 16, 1
	v_add3_u32 v33, v8, v9, s21
                                        ; implicit-def: $vgpr8
; %bb.273:                              ;   in Loop: Header=BB296_176 Depth=1
	s_andn2_saveexec_b64 s[10:11], s[0:1]
; %bb.274:                              ;   in Loop: Header=BB296_176 Depth=1
	v_or_b32_e32 v9, 0x10000, v8
	v_cmp_eq_u32_sdwa s[0:1], v8, v15 src0_sel:WORD_0 src1_sel:DWORD
	s_nop 1
	v_cndmask_b32_e64 v33, v9, v8, s[0:1]
; %bb.275:                              ;   in Loop: Header=BB296_176 Depth=1
	s_or_b64 exec, exec, s[10:11]
	global_load_dwordx2 v[8:9], v[6:7], off offset:512
	s_waitcnt vmcnt(0)
	v_and_b32_e32 v42, 0xff, v8
	v_cvt_f32_fp8_sdwa v42, v42 src0_sel:BYTE_0
	s_nop 0
	v_mul_f32_e32 v43, s22, v42
	v_and_b32_e32 v42, 0x7f800000, v43
	v_cmp_ne_u32_e64 s[0:1], s19, v42
                                        ; implicit-def: $vgpr42
	s_and_saveexec_b64 s[10:11], s[0:1]
	s_xor_b64 s[0:1], exec, s[10:11]
; %bb.276:                              ;   in Loop: Header=BB296_176 Depth=1
	v_bfe_u32 v42, v43, 16, 1
	v_add3_u32 v42, v43, v42, s21
                                        ; implicit-def: $vgpr43
; %bb.277:                              ;   in Loop: Header=BB296_176 Depth=1
	s_andn2_saveexec_b64 s[10:11], s[0:1]
; %bb.278:                              ;   in Loop: Header=BB296_176 Depth=1
	v_or_b32_e32 v42, 0x10000, v43
	v_cmp_eq_u32_sdwa s[0:1], v43, v15 src0_sel:WORD_0 src1_sel:DWORD
	s_nop 1
	v_cndmask_b32_e64 v42, v42, v43, s[0:1]
; %bb.279:                              ;   in Loop: Header=BB296_176 Depth=1
	s_or_b64 exec, exec, s[10:11]
	v_bfe_u32 v43, v8, 8, 8
	v_cvt_f32_fp8_sdwa v43, v43 src0_sel:BYTE_0
	s_nop 0
	v_mul_f32_e32 v44, s22, v43
	v_and_b32_e32 v43, 0x7f800000, v44
	v_cmp_ne_u32_e64 s[0:1], s19, v43
                                        ; implicit-def: $vgpr43
	s_and_saveexec_b64 s[10:11], s[0:1]
	s_xor_b64 s[0:1], exec, s[10:11]
; %bb.280:                              ;   in Loop: Header=BB296_176 Depth=1
	v_bfe_u32 v43, v44, 16, 1
	v_add3_u32 v43, v44, v43, s21
                                        ; implicit-def: $vgpr44
; %bb.281:                              ;   in Loop: Header=BB296_176 Depth=1
	s_andn2_saveexec_b64 s[10:11], s[0:1]
; %bb.282:                              ;   in Loop: Header=BB296_176 Depth=1
	v_or_b32_e32 v43, 0x10000, v44
	v_cmp_eq_u32_sdwa s[0:1], v44, v15 src0_sel:WORD_0 src1_sel:DWORD
	s_nop 1
	v_cndmask_b32_e64 v43, v43, v44, s[0:1]
; %bb.283:                              ;   in Loop: Header=BB296_176 Depth=1
	s_or_b64 exec, exec, s[10:11]
	v_bfe_u32 v44, v8, 16, 8
	v_cvt_f32_fp8_sdwa v44, v44 src0_sel:BYTE_0
	s_nop 0
	v_mul_f32_e32 v45, s22, v44
	v_and_b32_e32 v44, 0x7f800000, v45
	v_cmp_ne_u32_e64 s[0:1], s19, v44
                                        ; implicit-def: $vgpr44
	s_and_saveexec_b64 s[10:11], s[0:1]
	s_xor_b64 s[0:1], exec, s[10:11]
; %bb.284:                              ;   in Loop: Header=BB296_176 Depth=1
	v_bfe_u32 v44, v45, 16, 1
	v_add3_u32 v44, v45, v44, s21
                                        ; implicit-def: $vgpr45
; %bb.285:                              ;   in Loop: Header=BB296_176 Depth=1
	s_andn2_saveexec_b64 s[10:11], s[0:1]
; %bb.286:                              ;   in Loop: Header=BB296_176 Depth=1
	v_or_b32_e32 v44, 0x10000, v45
	v_cmp_eq_u32_sdwa s[0:1], v45, v15 src0_sel:WORD_0 src1_sel:DWORD
	s_nop 1
	v_cndmask_b32_e64 v44, v44, v45, s[0:1]
; %bb.287:                              ;   in Loop: Header=BB296_176 Depth=1
	s_or_b64 exec, exec, s[10:11]
	v_lshrrev_b32_e32 v8, 24, v8
	v_cvt_f32_fp8_sdwa v8, v8 src0_sel:BYTE_0
	s_nop 0
	v_mul_f32_e32 v45, s22, v8
	v_and_b32_e32 v8, 0x7f800000, v45
	v_cmp_ne_u32_e64 s[0:1], s19, v8
                                        ; implicit-def: $vgpr8
	s_and_saveexec_b64 s[10:11], s[0:1]
	s_xor_b64 s[0:1], exec, s[10:11]
; %bb.288:                              ;   in Loop: Header=BB296_176 Depth=1
	v_bfe_u32 v8, v45, 16, 1
	v_add3_u32 v8, v45, v8, s21
                                        ; implicit-def: $vgpr45
; %bb.289:                              ;   in Loop: Header=BB296_176 Depth=1
	s_andn2_saveexec_b64 s[10:11], s[0:1]
; %bb.290:                              ;   in Loop: Header=BB296_176 Depth=1
	v_or_b32_e32 v8, 0x10000, v45
	v_cmp_eq_u32_sdwa s[0:1], v45, v15 src0_sel:WORD_0 src1_sel:DWORD
	s_nop 1
	v_cndmask_b32_e64 v8, v8, v45, s[0:1]
; %bb.291:                              ;   in Loop: Header=BB296_176 Depth=1
	s_or_b64 exec, exec, s[10:11]
	v_and_b32_e32 v45, 0xff, v9
	v_cvt_f32_fp8_sdwa v45, v45 src0_sel:BYTE_0
	s_nop 0
	v_mul_f32_e32 v46, s22, v45
	v_and_b32_e32 v45, 0x7f800000, v46
	v_cmp_ne_u32_e64 s[0:1], s19, v45
                                        ; implicit-def: $vgpr45
	s_and_saveexec_b64 s[10:11], s[0:1]
	s_xor_b64 s[0:1], exec, s[10:11]
; %bb.292:                              ;   in Loop: Header=BB296_176 Depth=1
	v_bfe_u32 v45, v46, 16, 1
	v_add3_u32 v45, v46, v45, s21
                                        ; implicit-def: $vgpr46
; %bb.293:                              ;   in Loop: Header=BB296_176 Depth=1
	s_andn2_saveexec_b64 s[10:11], s[0:1]
; %bb.294:                              ;   in Loop: Header=BB296_176 Depth=1
	v_or_b32_e32 v45, 0x10000, v46
	v_cmp_eq_u32_sdwa s[0:1], v46, v15 src0_sel:WORD_0 src1_sel:DWORD
	s_nop 1
	v_cndmask_b32_e64 v45, v45, v46, s[0:1]
; %bb.295:                              ;   in Loop: Header=BB296_176 Depth=1
	s_or_b64 exec, exec, s[10:11]
	v_bfe_u32 v46, v9, 8, 8
	v_cvt_f32_fp8_sdwa v46, v46 src0_sel:BYTE_0
	s_nop 0
	v_mul_f32_e32 v47, s22, v46
	v_and_b32_e32 v46, 0x7f800000, v47
	v_cmp_ne_u32_e64 s[0:1], s19, v46
                                        ; implicit-def: $vgpr46
	s_and_saveexec_b64 s[10:11], s[0:1]
	s_xor_b64 s[0:1], exec, s[10:11]
; %bb.296:                              ;   in Loop: Header=BB296_176 Depth=1
	v_bfe_u32 v46, v47, 16, 1
	v_add3_u32 v46, v47, v46, s21
                                        ; implicit-def: $vgpr47
; %bb.297:                              ;   in Loop: Header=BB296_176 Depth=1
	s_andn2_saveexec_b64 s[10:11], s[0:1]
; %bb.298:                              ;   in Loop: Header=BB296_176 Depth=1
	v_or_b32_e32 v46, 0x10000, v47
	v_cmp_eq_u32_sdwa s[0:1], v47, v15 src0_sel:WORD_0 src1_sel:DWORD
	s_nop 1
	v_cndmask_b32_e64 v46, v46, v47, s[0:1]
; %bb.299:                              ;   in Loop: Header=BB296_176 Depth=1
	s_or_b64 exec, exec, s[10:11]
	v_bfe_u32 v47, v9, 16, 8
	v_cvt_f32_fp8_sdwa v47, v47 src0_sel:BYTE_0
	s_nop 0
	v_mul_f32_e32 v47, s22, v47
	v_and_b32_e32 v48, 0x7f800000, v47
	v_cmp_ne_u32_e64 s[0:1], s19, v48
                                        ; implicit-def: $vgpr48
	s_and_saveexec_b64 s[10:11], s[0:1]
	s_xor_b64 s[0:1], exec, s[10:11]
; %bb.300:                              ;   in Loop: Header=BB296_176 Depth=1
	v_bfe_u32 v48, v47, 16, 1
	v_add3_u32 v48, v47, v48, s21
                                        ; implicit-def: $vgpr47
; %bb.301:                              ;   in Loop: Header=BB296_176 Depth=1
	s_andn2_saveexec_b64 s[10:11], s[0:1]
; %bb.302:                              ;   in Loop: Header=BB296_176 Depth=1
	v_or_b32_e32 v48, 0x10000, v47
	v_cmp_eq_u32_sdwa s[0:1], v47, v15 src0_sel:WORD_0 src1_sel:DWORD
	s_nop 1
	v_cndmask_b32_e64 v48, v48, v47, s[0:1]
; %bb.303:                              ;   in Loop: Header=BB296_176 Depth=1
	s_or_b64 exec, exec, s[10:11]
	v_lshrrev_b32_e32 v9, 24, v9
	v_cvt_f32_fp8_sdwa v9, v9 src0_sel:BYTE_0
                                        ; implicit-def: $vgpr49
	s_nop 0
	v_mul_f32_e32 v9, s22, v9
	v_and_b32_e32 v47, 0x7f800000, v9
	v_cmp_ne_u32_e64 s[0:1], s19, v47
	s_and_saveexec_b64 s[10:11], s[0:1]
	s_xor_b64 s[0:1], exec, s[10:11]
; %bb.304:                              ;   in Loop: Header=BB296_176 Depth=1
	v_bfe_u32 v47, v9, 16, 1
	v_add3_u32 v49, v9, v47, s21
                                        ; implicit-def: $vgpr9
; %bb.305:                              ;   in Loop: Header=BB296_176 Depth=1
	s_andn2_saveexec_b64 s[10:11], s[0:1]
; %bb.306:                              ;   in Loop: Header=BB296_176 Depth=1
	v_or_b32_e32 v47, 0x10000, v9
	v_cmp_eq_u32_sdwa s[0:1], v9, v15 src0_sel:WORD_0 src1_sel:DWORD
	s_nop 1
	v_cndmask_b32_e64 v49, v47, v9, s[0:1]
; %bb.307:                              ;   in Loop: Header=BB296_176 Depth=1
	s_or_b64 exec, exec, s[10:11]
	v_lshrrev_b32_e32 v47, 16, v46
	v_lshrrev_b32_e32 v46, 16, v45
	;; [unrolled: 1-line block ×8, first 2 shown]
	s_and_saveexec_b64 s[10:11], vcc
	s_cbranch_execz .LBB296_309
; %bb.308:                              ;   in Loop: Header=BB296_176 Depth=1
	v_cmp_gt_i32_e64 s[0:1], s33, v26
	s_nop 1
	v_cndmask_b32_e64 v42, 0, v42, s[0:1]
	v_cmp_gt_i32_e64 s[0:1], s33, v32
	s_nop 1
	v_cndmask_b32_e64 v43, 0, v43, s[0:1]
	;; [unrolled: 3-line block ×8, first 2 shown]
.LBB296_309:                            ;   in Loop: Header=BB296_176 Depth=1
	s_or_b64 exec, exec, s[10:11]
	v_lshlrev_b32_e32 v42, 16, v42
	v_mul_f32_e32 v48, v34, v42
	v_and_b32_e32 v42, 0x7f800000, v48
	v_cmp_ne_u32_e64 s[0:1], s19, v42
                                        ; implicit-def: $vgpr42
	s_and_saveexec_b64 s[10:11], s[0:1]
	s_xor_b64 s[0:1], exec, s[10:11]
; %bb.310:                              ;   in Loop: Header=BB296_176 Depth=1
	v_bfe_u32 v42, v48, 16, 1
	v_add3_u32 v42, v48, v42, s21
                                        ; implicit-def: $vgpr48
; %bb.311:                              ;   in Loop: Header=BB296_176 Depth=1
	s_andn2_saveexec_b64 s[10:11], s[0:1]
; %bb.312:                              ;   in Loop: Header=BB296_176 Depth=1
	v_or_b32_e32 v42, 0x10000, v48
	v_cmp_eq_u32_sdwa s[0:1], v48, v15 src0_sel:WORD_0 src1_sel:DWORD
	s_nop 1
	v_cndmask_b32_e64 v42, v42, v48, s[0:1]
; %bb.313:                              ;   in Loop: Header=BB296_176 Depth=1
	s_or_b64 exec, exec, s[10:11]
	v_lshlrev_b32_e32 v43, 16, v43
	v_mul_f32_e32 v48, v35, v43
	v_and_b32_e32 v43, 0x7f800000, v48
	v_cmp_ne_u32_e64 s[0:1], s19, v43
                                        ; implicit-def: $vgpr43
	s_and_saveexec_b64 s[10:11], s[0:1]
	s_xor_b64 s[0:1], exec, s[10:11]
; %bb.314:                              ;   in Loop: Header=BB296_176 Depth=1
	v_bfe_u32 v43, v48, 16, 1
	v_add3_u32 v43, v48, v43, s21
                                        ; implicit-def: $vgpr48
; %bb.315:                              ;   in Loop: Header=BB296_176 Depth=1
	s_andn2_saveexec_b64 s[10:11], s[0:1]
; %bb.316:                              ;   in Loop: Header=BB296_176 Depth=1
	v_or_b32_e32 v43, 0x10000, v48
	v_cmp_eq_u32_sdwa s[0:1], v48, v15 src0_sel:WORD_0 src1_sel:DWORD
	s_nop 1
	v_cndmask_b32_e64 v43, v43, v48, s[0:1]
; %bb.317:                              ;   in Loop: Header=BB296_176 Depth=1
	s_or_b64 exec, exec, s[10:11]
	v_lshlrev_b32_e32 v44, 16, v44
	v_mul_f32_e32 v48, v36, v44
	v_and_b32_e32 v44, 0x7f800000, v48
	v_cmp_ne_u32_e64 s[0:1], s19, v44
                                        ; implicit-def: $vgpr44
	s_and_saveexec_b64 s[10:11], s[0:1]
	s_xor_b64 s[0:1], exec, s[10:11]
; %bb.318:                              ;   in Loop: Header=BB296_176 Depth=1
	v_bfe_u32 v44, v48, 16, 1
	v_add3_u32 v44, v48, v44, s21
                                        ; implicit-def: $vgpr48
; %bb.319:                              ;   in Loop: Header=BB296_176 Depth=1
	s_andn2_saveexec_b64 s[10:11], s[0:1]
; %bb.320:                              ;   in Loop: Header=BB296_176 Depth=1
	v_or_b32_e32 v44, 0x10000, v48
	v_cmp_eq_u32_sdwa s[0:1], v48, v15 src0_sel:WORD_0 src1_sel:DWORD
	s_nop 1
	v_cndmask_b32_e64 v44, v44, v48, s[0:1]
; %bb.321:                              ;   in Loop: Header=BB296_176 Depth=1
	s_or_b64 exec, exec, s[10:11]
	v_lshlrev_b32_e32 v45, 16, v45
	v_mul_f32_e32 v48, v37, v45
	v_and_b32_e32 v45, 0x7f800000, v48
	v_cmp_ne_u32_e64 s[0:1], s19, v45
                                        ; implicit-def: $vgpr45
	s_and_saveexec_b64 s[10:11], s[0:1]
	s_xor_b64 s[0:1], exec, s[10:11]
; %bb.322:                              ;   in Loop: Header=BB296_176 Depth=1
	v_bfe_u32 v45, v48, 16, 1
	v_add3_u32 v45, v48, v45, s21
                                        ; implicit-def: $vgpr48
; %bb.323:                              ;   in Loop: Header=BB296_176 Depth=1
	s_andn2_saveexec_b64 s[10:11], s[0:1]
; %bb.324:                              ;   in Loop: Header=BB296_176 Depth=1
	v_or_b32_e32 v45, 0x10000, v48
	v_cmp_eq_u32_sdwa s[0:1], v48, v15 src0_sel:WORD_0 src1_sel:DWORD
	s_nop 1
	v_cndmask_b32_e64 v45, v45, v48, s[0:1]
; %bb.325:                              ;   in Loop: Header=BB296_176 Depth=1
	s_or_b64 exec, exec, s[10:11]
	v_lshlrev_b32_e32 v46, 16, v46
	v_mul_f32_e32 v48, v38, v46
	v_and_b32_e32 v46, 0x7f800000, v48
	v_cmp_ne_u32_e64 s[0:1], s19, v46
                                        ; implicit-def: $vgpr46
	s_and_saveexec_b64 s[10:11], s[0:1]
	s_xor_b64 s[0:1], exec, s[10:11]
; %bb.326:                              ;   in Loop: Header=BB296_176 Depth=1
	v_bfe_u32 v46, v48, 16, 1
	v_add3_u32 v46, v48, v46, s21
                                        ; implicit-def: $vgpr48
; %bb.327:                              ;   in Loop: Header=BB296_176 Depth=1
	s_andn2_saveexec_b64 s[10:11], s[0:1]
; %bb.328:                              ;   in Loop: Header=BB296_176 Depth=1
	v_or_b32_e32 v46, 0x10000, v48
	v_cmp_eq_u32_sdwa s[0:1], v48, v15 src0_sel:WORD_0 src1_sel:DWORD
	s_nop 1
	v_cndmask_b32_e64 v46, v46, v48, s[0:1]
; %bb.329:                              ;   in Loop: Header=BB296_176 Depth=1
	s_or_b64 exec, exec, s[10:11]
	v_lshlrev_b32_e32 v47, 16, v47
	v_mul_f32_e32 v48, v39, v47
	v_and_b32_e32 v47, 0x7f800000, v48
	v_cmp_ne_u32_e64 s[0:1], s19, v47
                                        ; implicit-def: $vgpr47
	s_and_saveexec_b64 s[10:11], s[0:1]
	s_xor_b64 s[0:1], exec, s[10:11]
; %bb.330:                              ;   in Loop: Header=BB296_176 Depth=1
	v_bfe_u32 v47, v48, 16, 1
	v_add3_u32 v47, v48, v47, s21
                                        ; implicit-def: $vgpr48
; %bb.331:                              ;   in Loop: Header=BB296_176 Depth=1
	s_andn2_saveexec_b64 s[10:11], s[0:1]
; %bb.332:                              ;   in Loop: Header=BB296_176 Depth=1
	v_or_b32_e32 v47, 0x10000, v48
	v_cmp_eq_u32_sdwa s[0:1], v48, v15 src0_sel:WORD_0 src1_sel:DWORD
	s_nop 1
	v_cndmask_b32_e64 v47, v47, v48, s[0:1]
; %bb.333:                              ;   in Loop: Header=BB296_176 Depth=1
	s_or_b64 exec, exec, s[10:11]
	v_lshlrev_b32_e32 v9, 16, v9
	v_mul_f32_e32 v9, v40, v9
	v_and_b32_e32 v48, 0x7f800000, v9
	v_cmp_ne_u32_e64 s[0:1], s19, v48
                                        ; implicit-def: $vgpr48
	s_and_saveexec_b64 s[10:11], s[0:1]
	s_xor_b64 s[0:1], exec, s[10:11]
; %bb.334:                              ;   in Loop: Header=BB296_176 Depth=1
	v_bfe_u32 v48, v9, 16, 1
	v_add3_u32 v48, v9, v48, s21
                                        ; implicit-def: $vgpr9
; %bb.335:                              ;   in Loop: Header=BB296_176 Depth=1
	s_andn2_saveexec_b64 s[10:11], s[0:1]
; %bb.336:                              ;   in Loop: Header=BB296_176 Depth=1
	v_or_b32_e32 v48, 0x10000, v9
	v_cmp_eq_u32_sdwa s[0:1], v9, v15 src0_sel:WORD_0 src1_sel:DWORD
	s_nop 1
	v_cndmask_b32_e64 v48, v48, v9, s[0:1]
; %bb.337:                              ;   in Loop: Header=BB296_176 Depth=1
	s_or_b64 exec, exec, s[10:11]
	v_lshlrev_b32_e32 v8, 16, v8
	v_mul_f32_e32 v8, v41, v8
	v_and_b32_e32 v9, 0x7f800000, v8
	v_cmp_ne_u32_e64 s[0:1], s19, v9
                                        ; implicit-def: $vgpr49
	s_and_saveexec_b64 s[10:11], s[0:1]
	s_xor_b64 s[0:1], exec, s[10:11]
; %bb.338:                              ;   in Loop: Header=BB296_176 Depth=1
	v_bfe_u32 v9, v8, 16, 1
	v_add3_u32 v49, v8, v9, s21
                                        ; implicit-def: $vgpr8
; %bb.339:                              ;   in Loop: Header=BB296_176 Depth=1
	s_andn2_saveexec_b64 s[10:11], s[0:1]
; %bb.340:                              ;   in Loop: Header=BB296_176 Depth=1
	v_or_b32_e32 v9, 0x10000, v8
	v_cmp_eq_u32_sdwa s[0:1], v8, v15 src0_sel:WORD_0 src1_sel:DWORD
	s_nop 1
	v_cndmask_b32_e64 v49, v9, v8, s[0:1]
; %bb.341:                              ;   in Loop: Header=BB296_176 Depth=1
	s_or_b64 exec, exec, s[10:11]
	global_load_dwordx2 v[8:9], v[6:7], off offset:1024
	s_waitcnt vmcnt(0)
	v_and_b32_e32 v50, 0xff, v8
	v_cvt_f32_fp8_sdwa v50, v50 src0_sel:BYTE_0
	s_nop 0
	v_mul_f32_e32 v51, s22, v50
	v_and_b32_e32 v50, 0x7f800000, v51
	v_cmp_ne_u32_e64 s[0:1], s19, v50
                                        ; implicit-def: $vgpr50
	s_and_saveexec_b64 s[10:11], s[0:1]
	s_xor_b64 s[0:1], exec, s[10:11]
; %bb.342:                              ;   in Loop: Header=BB296_176 Depth=1
	v_bfe_u32 v50, v51, 16, 1
	v_add3_u32 v50, v51, v50, s21
                                        ; implicit-def: $vgpr51
; %bb.343:                              ;   in Loop: Header=BB296_176 Depth=1
	s_andn2_saveexec_b64 s[10:11], s[0:1]
; %bb.344:                              ;   in Loop: Header=BB296_176 Depth=1
	v_or_b32_e32 v50, 0x10000, v51
	v_cmp_eq_u32_sdwa s[0:1], v51, v15 src0_sel:WORD_0 src1_sel:DWORD
	s_nop 1
	v_cndmask_b32_e64 v50, v50, v51, s[0:1]
; %bb.345:                              ;   in Loop: Header=BB296_176 Depth=1
	s_or_b64 exec, exec, s[10:11]
	v_bfe_u32 v51, v8, 8, 8
	v_cvt_f32_fp8_sdwa v51, v51 src0_sel:BYTE_0
	s_nop 0
	v_mul_f32_e32 v52, s22, v51
	v_and_b32_e32 v51, 0x7f800000, v52
	v_cmp_ne_u32_e64 s[0:1], s19, v51
                                        ; implicit-def: $vgpr51
	s_and_saveexec_b64 s[10:11], s[0:1]
	s_xor_b64 s[0:1], exec, s[10:11]
; %bb.346:                              ;   in Loop: Header=BB296_176 Depth=1
	v_bfe_u32 v51, v52, 16, 1
	v_add3_u32 v51, v52, v51, s21
                                        ; implicit-def: $vgpr52
; %bb.347:                              ;   in Loop: Header=BB296_176 Depth=1
	s_andn2_saveexec_b64 s[10:11], s[0:1]
; %bb.348:                              ;   in Loop: Header=BB296_176 Depth=1
	v_or_b32_e32 v51, 0x10000, v52
	v_cmp_eq_u32_sdwa s[0:1], v52, v15 src0_sel:WORD_0 src1_sel:DWORD
	s_nop 1
	v_cndmask_b32_e64 v51, v51, v52, s[0:1]
; %bb.349:                              ;   in Loop: Header=BB296_176 Depth=1
	s_or_b64 exec, exec, s[10:11]
	v_bfe_u32 v52, v8, 16, 8
	v_cvt_f32_fp8_sdwa v52, v52 src0_sel:BYTE_0
	s_nop 0
	v_mul_f32_e32 v53, s22, v52
	v_and_b32_e32 v52, 0x7f800000, v53
	v_cmp_ne_u32_e64 s[0:1], s19, v52
                                        ; implicit-def: $vgpr52
	s_and_saveexec_b64 s[10:11], s[0:1]
	s_xor_b64 s[0:1], exec, s[10:11]
; %bb.350:                              ;   in Loop: Header=BB296_176 Depth=1
	v_bfe_u32 v52, v53, 16, 1
	v_add3_u32 v52, v53, v52, s21
                                        ; implicit-def: $vgpr53
; %bb.351:                              ;   in Loop: Header=BB296_176 Depth=1
	s_andn2_saveexec_b64 s[10:11], s[0:1]
; %bb.352:                              ;   in Loop: Header=BB296_176 Depth=1
	v_or_b32_e32 v52, 0x10000, v53
	v_cmp_eq_u32_sdwa s[0:1], v53, v15 src0_sel:WORD_0 src1_sel:DWORD
	s_nop 1
	v_cndmask_b32_e64 v52, v52, v53, s[0:1]
; %bb.353:                              ;   in Loop: Header=BB296_176 Depth=1
	s_or_b64 exec, exec, s[10:11]
	v_lshrrev_b32_e32 v8, 24, v8
	v_cvt_f32_fp8_sdwa v8, v8 src0_sel:BYTE_0
	s_nop 0
	v_mul_f32_e32 v53, s22, v8
	v_and_b32_e32 v8, 0x7f800000, v53
	v_cmp_ne_u32_e64 s[0:1], s19, v8
                                        ; implicit-def: $vgpr8
	s_and_saveexec_b64 s[10:11], s[0:1]
	s_xor_b64 s[0:1], exec, s[10:11]
; %bb.354:                              ;   in Loop: Header=BB296_176 Depth=1
	v_bfe_u32 v8, v53, 16, 1
	v_add3_u32 v8, v53, v8, s21
                                        ; implicit-def: $vgpr53
; %bb.355:                              ;   in Loop: Header=BB296_176 Depth=1
	s_andn2_saveexec_b64 s[10:11], s[0:1]
; %bb.356:                              ;   in Loop: Header=BB296_176 Depth=1
	v_or_b32_e32 v8, 0x10000, v53
	v_cmp_eq_u32_sdwa s[0:1], v53, v15 src0_sel:WORD_0 src1_sel:DWORD
	s_nop 1
	v_cndmask_b32_e64 v8, v8, v53, s[0:1]
; %bb.357:                              ;   in Loop: Header=BB296_176 Depth=1
	s_or_b64 exec, exec, s[10:11]
	v_and_b32_e32 v53, 0xff, v9
	v_cvt_f32_fp8_sdwa v53, v53 src0_sel:BYTE_0
	s_nop 0
	v_mul_f32_e32 v53, s22, v53
	v_and_b32_e32 v54, 0x7f800000, v53
	v_cmp_ne_u32_e64 s[0:1], s19, v54
                                        ; implicit-def: $vgpr54
	s_and_saveexec_b64 s[10:11], s[0:1]
	s_xor_b64 s[0:1], exec, s[10:11]
; %bb.358:                              ;   in Loop: Header=BB296_176 Depth=1
	v_bfe_u32 v54, v53, 16, 1
	v_add3_u32 v54, v53, v54, s21
                                        ; implicit-def: $vgpr53
; %bb.359:                              ;   in Loop: Header=BB296_176 Depth=1
	s_andn2_saveexec_b64 s[10:11], s[0:1]
; %bb.360:                              ;   in Loop: Header=BB296_176 Depth=1
	v_or_b32_e32 v54, 0x10000, v53
	v_cmp_eq_u32_sdwa s[0:1], v53, v15 src0_sel:WORD_0 src1_sel:DWORD
	s_nop 1
	v_cndmask_b32_e64 v54, v54, v53, s[0:1]
; %bb.361:                              ;   in Loop: Header=BB296_176 Depth=1
	s_or_b64 exec, exec, s[10:11]
	v_bfe_u32 v53, v9, 8, 8
	v_cvt_f32_fp8_sdwa v53, v53 src0_sel:BYTE_0
	s_nop 0
	v_mul_f32_e32 v55, s22, v53
	v_and_b32_e32 v53, 0x7f800000, v55
	v_cmp_ne_u32_e64 s[0:1], s19, v53
                                        ; implicit-def: $vgpr53
	s_and_saveexec_b64 s[10:11], s[0:1]
	s_xor_b64 s[0:1], exec, s[10:11]
; %bb.362:                              ;   in Loop: Header=BB296_176 Depth=1
	v_bfe_u32 v53, v55, 16, 1
	v_add3_u32 v53, v55, v53, s21
                                        ; implicit-def: $vgpr55
; %bb.363:                              ;   in Loop: Header=BB296_176 Depth=1
	s_andn2_saveexec_b64 s[10:11], s[0:1]
; %bb.364:                              ;   in Loop: Header=BB296_176 Depth=1
	v_or_b32_e32 v53, 0x10000, v55
	v_cmp_eq_u32_sdwa s[0:1], v55, v15 src0_sel:WORD_0 src1_sel:DWORD
	s_nop 1
	v_cndmask_b32_e64 v53, v53, v55, s[0:1]
; %bb.365:                              ;   in Loop: Header=BB296_176 Depth=1
	s_or_b64 exec, exec, s[10:11]
	v_bfe_u32 v55, v9, 16, 8
	v_cvt_f32_fp8_sdwa v55, v55 src0_sel:BYTE_0
	s_nop 0
	v_mul_f32_e32 v56, s22, v55
	v_and_b32_e32 v55, 0x7f800000, v56
	v_cmp_ne_u32_e64 s[0:1], s19, v55
                                        ; implicit-def: $vgpr55
	s_and_saveexec_b64 s[10:11], s[0:1]
	s_xor_b64 s[0:1], exec, s[10:11]
; %bb.366:                              ;   in Loop: Header=BB296_176 Depth=1
	v_bfe_u32 v55, v56, 16, 1
	v_add3_u32 v55, v56, v55, s21
                                        ; implicit-def: $vgpr56
; %bb.367:                              ;   in Loop: Header=BB296_176 Depth=1
	s_andn2_saveexec_b64 s[10:11], s[0:1]
; %bb.368:                              ;   in Loop: Header=BB296_176 Depth=1
	v_or_b32_e32 v55, 0x10000, v56
	v_cmp_eq_u32_sdwa s[0:1], v56, v15 src0_sel:WORD_0 src1_sel:DWORD
	s_nop 1
	v_cndmask_b32_e64 v55, v55, v56, s[0:1]
; %bb.369:                              ;   in Loop: Header=BB296_176 Depth=1
	s_or_b64 exec, exec, s[10:11]
	v_lshrrev_b32_e32 v9, 24, v9
	v_cvt_f32_fp8_sdwa v9, v9 src0_sel:BYTE_0
                                        ; implicit-def: $vgpr58
	s_nop 0
	v_mul_f32_e32 v9, s22, v9
	v_and_b32_e32 v56, 0x7f800000, v9
	v_cmp_ne_u32_e64 s[0:1], s19, v56
	s_and_saveexec_b64 s[10:11], s[0:1]
	s_xor_b64 s[0:1], exec, s[10:11]
; %bb.370:                              ;   in Loop: Header=BB296_176 Depth=1
	v_bfe_u32 v56, v9, 16, 1
	v_add3_u32 v58, v9, v56, s21
                                        ; implicit-def: $vgpr9
; %bb.371:                              ;   in Loop: Header=BB296_176 Depth=1
	s_andn2_saveexec_b64 s[10:11], s[0:1]
; %bb.372:                              ;   in Loop: Header=BB296_176 Depth=1
	v_or_b32_e32 v56, 0x10000, v9
	v_cmp_eq_u32_sdwa s[0:1], v9, v15 src0_sel:WORD_0 src1_sel:DWORD
	s_nop 1
	v_cndmask_b32_e64 v58, v56, v9, s[0:1]
; %bb.373:                              ;   in Loop: Header=BB296_176 Depth=1
	s_or_b64 exec, exec, s[10:11]
	v_lshrrev_b32_e32 v53, 16, v53
	v_lshrrev_b32_e32 v56, 16, v54
	;; [unrolled: 1-line block ×8, first 2 shown]
	s_and_saveexec_b64 s[10:11], vcc
	s_cbranch_execz .LBB296_375
; %bb.374:                              ;   in Loop: Header=BB296_176 Depth=1
	v_cmp_gt_i32_e64 s[0:1], s33, v26
	s_nop 1
	v_cndmask_b32_e64 v8, 0, v8, s[0:1]
	v_cmp_gt_i32_e64 s[0:1], s33, v32
	s_nop 1
	v_cndmask_b32_e64 v9, 0, v9, s[0:1]
	;; [unrolled: 3-line block ×8, first 2 shown]
.LBB296_375:                            ;   in Loop: Header=BB296_176 Depth=1
	s_or_b64 exec, exec, s[10:11]
	v_lshlrev_b32_e32 v8, 16, v8
	v_mul_f32_e32 v50, v34, v8
	v_and_b32_e32 v8, 0x7f800000, v50
	v_cmp_ne_u32_e64 s[0:1], s19, v8
                                        ; implicit-def: $vgpr8
	s_and_saveexec_b64 s[10:11], s[0:1]
	s_xor_b64 s[0:1], exec, s[10:11]
; %bb.376:                              ;   in Loop: Header=BB296_176 Depth=1
	v_bfe_u32 v8, v50, 16, 1
	v_add3_u32 v8, v50, v8, s21
                                        ; implicit-def: $vgpr50
; %bb.377:                              ;   in Loop: Header=BB296_176 Depth=1
	s_andn2_saveexec_b64 s[10:11], s[0:1]
; %bb.378:                              ;   in Loop: Header=BB296_176 Depth=1
	v_or_b32_e32 v8, 0x10000, v50
	v_cmp_eq_u32_sdwa s[0:1], v50, v15 src0_sel:WORD_0 src1_sel:DWORD
	s_nop 1
	v_cndmask_b32_e64 v8, v8, v50, s[0:1]
; %bb.379:                              ;   in Loop: Header=BB296_176 Depth=1
	s_or_b64 exec, exec, s[10:11]
	v_lshlrev_b32_e32 v9, 16, v9
	v_mul_f32_e32 v50, v35, v9
	v_and_b32_e32 v9, 0x7f800000, v50
	v_cmp_ne_u32_e64 s[0:1], s19, v9
                                        ; implicit-def: $vgpr9
	s_and_saveexec_b64 s[10:11], s[0:1]
	s_xor_b64 s[0:1], exec, s[10:11]
; %bb.380:                              ;   in Loop: Header=BB296_176 Depth=1
	v_bfe_u32 v9, v50, 16, 1
	v_add3_u32 v9, v50, v9, s21
                                        ; implicit-def: $vgpr50
; %bb.381:                              ;   in Loop: Header=BB296_176 Depth=1
	s_andn2_saveexec_b64 s[10:11], s[0:1]
; %bb.382:                              ;   in Loop: Header=BB296_176 Depth=1
	v_or_b32_e32 v9, 0x10000, v50
	v_cmp_eq_u32_sdwa s[0:1], v50, v15 src0_sel:WORD_0 src1_sel:DWORD
	s_nop 1
	v_cndmask_b32_e64 v9, v9, v50, s[0:1]
; %bb.383:                              ;   in Loop: Header=BB296_176 Depth=1
	s_or_b64 exec, exec, s[10:11]
	v_lshlrev_b32_e32 v50, 16, v52
	v_mul_f32_e32 v51, v36, v50
	v_and_b32_e32 v50, 0x7f800000, v51
	v_cmp_ne_u32_e64 s[0:1], s19, v50
                                        ; implicit-def: $vgpr50
	s_and_saveexec_b64 s[10:11], s[0:1]
	s_xor_b64 s[0:1], exec, s[10:11]
; %bb.384:                              ;   in Loop: Header=BB296_176 Depth=1
	v_bfe_u32 v50, v51, 16, 1
	v_add3_u32 v50, v51, v50, s21
                                        ; implicit-def: $vgpr51
; %bb.385:                              ;   in Loop: Header=BB296_176 Depth=1
	s_andn2_saveexec_b64 s[10:11], s[0:1]
; %bb.386:                              ;   in Loop: Header=BB296_176 Depth=1
	v_or_b32_e32 v50, 0x10000, v51
	v_cmp_eq_u32_sdwa s[0:1], v51, v15 src0_sel:WORD_0 src1_sel:DWORD
	s_nop 1
	v_cndmask_b32_e64 v50, v50, v51, s[0:1]
; %bb.387:                              ;   in Loop: Header=BB296_176 Depth=1
	s_or_b64 exec, exec, s[10:11]
	v_lshlrev_b32_e32 v51, 16, v57
	v_mul_f32_e32 v52, v37, v51
	v_and_b32_e32 v51, 0x7f800000, v52
	v_cmp_ne_u32_e64 s[0:1], s19, v51
                                        ; implicit-def: $vgpr51
	s_and_saveexec_b64 s[10:11], s[0:1]
	s_xor_b64 s[0:1], exec, s[10:11]
; %bb.388:                              ;   in Loop: Header=BB296_176 Depth=1
	v_bfe_u32 v51, v52, 16, 1
	v_add3_u32 v51, v52, v51, s21
                                        ; implicit-def: $vgpr52
; %bb.389:                              ;   in Loop: Header=BB296_176 Depth=1
	s_andn2_saveexec_b64 s[10:11], s[0:1]
; %bb.390:                              ;   in Loop: Header=BB296_176 Depth=1
	v_or_b32_e32 v51, 0x10000, v52
	v_cmp_eq_u32_sdwa s[0:1], v52, v15 src0_sel:WORD_0 src1_sel:DWORD
	s_nop 1
	v_cndmask_b32_e64 v51, v51, v52, s[0:1]
; %bb.391:                              ;   in Loop: Header=BB296_176 Depth=1
	s_or_b64 exec, exec, s[10:11]
	v_lshlrev_b32_e32 v52, 16, v56
	v_mul_f32_e32 v56, v38, v52
	v_and_b32_e32 v52, 0x7f800000, v56
	v_cmp_ne_u32_e64 s[0:1], s19, v52
                                        ; implicit-def: $vgpr52
	s_and_saveexec_b64 s[10:11], s[0:1]
	s_xor_b64 s[0:1], exec, s[10:11]
; %bb.392:                              ;   in Loop: Header=BB296_176 Depth=1
	v_bfe_u32 v52, v56, 16, 1
	v_add3_u32 v52, v56, v52, s21
                                        ; implicit-def: $vgpr56
; %bb.393:                              ;   in Loop: Header=BB296_176 Depth=1
	s_andn2_saveexec_b64 s[10:11], s[0:1]
; %bb.394:                              ;   in Loop: Header=BB296_176 Depth=1
	v_or_b32_e32 v52, 0x10000, v56
	v_cmp_eq_u32_sdwa s[0:1], v56, v15 src0_sel:WORD_0 src1_sel:DWORD
	s_nop 1
	v_cndmask_b32_e64 v52, v52, v56, s[0:1]
; %bb.395:                              ;   in Loop: Header=BB296_176 Depth=1
	s_or_b64 exec, exec, s[10:11]
	v_lshlrev_b32_e32 v53, 16, v53
	v_mul_f32_e32 v56, v39, v53
	v_and_b32_e32 v53, 0x7f800000, v56
	v_cmp_ne_u32_e64 s[0:1], s19, v53
                                        ; implicit-def: $vgpr53
	s_and_saveexec_b64 s[10:11], s[0:1]
	s_xor_b64 s[0:1], exec, s[10:11]
; %bb.396:                              ;   in Loop: Header=BB296_176 Depth=1
	v_bfe_u32 v53, v56, 16, 1
	v_add3_u32 v53, v56, v53, s21
                                        ; implicit-def: $vgpr56
; %bb.397:                              ;   in Loop: Header=BB296_176 Depth=1
	s_andn2_saveexec_b64 s[10:11], s[0:1]
; %bb.398:                              ;   in Loop: Header=BB296_176 Depth=1
	v_or_b32_e32 v53, 0x10000, v56
	v_cmp_eq_u32_sdwa s[0:1], v56, v15 src0_sel:WORD_0 src1_sel:DWORD
	s_nop 1
	v_cndmask_b32_e64 v53, v53, v56, s[0:1]
; %bb.399:                              ;   in Loop: Header=BB296_176 Depth=1
	s_or_b64 exec, exec, s[10:11]
	v_lshlrev_b32_e32 v54, 16, v54
	v_mul_f32_e32 v56, v40, v54
	v_and_b32_e32 v54, 0x7f800000, v56
	v_cmp_ne_u32_e64 s[0:1], s19, v54
                                        ; implicit-def: $vgpr54
	s_and_saveexec_b64 s[10:11], s[0:1]
	s_xor_b64 s[0:1], exec, s[10:11]
; %bb.400:                              ;   in Loop: Header=BB296_176 Depth=1
	v_bfe_u32 v54, v56, 16, 1
	v_add3_u32 v54, v56, v54, s21
                                        ; implicit-def: $vgpr56
; %bb.401:                              ;   in Loop: Header=BB296_176 Depth=1
	s_andn2_saveexec_b64 s[10:11], s[0:1]
; %bb.402:                              ;   in Loop: Header=BB296_176 Depth=1
	v_or_b32_e32 v54, 0x10000, v56
	v_cmp_eq_u32_sdwa s[0:1], v56, v15 src0_sel:WORD_0 src1_sel:DWORD
	s_nop 1
	v_cndmask_b32_e64 v54, v54, v56, s[0:1]
; %bb.403:                              ;   in Loop: Header=BB296_176 Depth=1
	s_or_b64 exec, exec, s[10:11]
	v_lshlrev_b32_e32 v55, 16, v55
	v_mul_f32_e32 v56, v41, v55
	v_and_b32_e32 v55, 0x7f800000, v56
	v_cmp_ne_u32_e64 s[0:1], s19, v55
                                        ; implicit-def: $vgpr55
	s_and_saveexec_b64 s[10:11], s[0:1]
	s_xor_b64 s[0:1], exec, s[10:11]
; %bb.404:                              ;   in Loop: Header=BB296_176 Depth=1
	v_bfe_u32 v55, v56, 16, 1
	v_add3_u32 v55, v56, v55, s21
                                        ; implicit-def: $vgpr56
; %bb.405:                              ;   in Loop: Header=BB296_176 Depth=1
	s_andn2_saveexec_b64 s[10:11], s[0:1]
; %bb.406:                              ;   in Loop: Header=BB296_176 Depth=1
	v_or_b32_e32 v55, 0x10000, v56
	v_cmp_eq_u32_sdwa s[0:1], v56, v15 src0_sel:WORD_0 src1_sel:DWORD
	s_nop 1
	v_cndmask_b32_e64 v55, v55, v56, s[0:1]
; %bb.407:                              ;   in Loop: Header=BB296_176 Depth=1
	s_or_b64 exec, exec, s[10:11]
	global_load_dwordx2 v[6:7], v[6:7], off offset:1536
	s_waitcnt vmcnt(0)
	v_and_b32_e32 v56, 0xff, v6
	v_cvt_f32_fp8_sdwa v56, v56 src0_sel:BYTE_0
	s_nop 0
	v_mul_f32_e32 v57, s22, v56
	v_and_b32_e32 v56, 0x7f800000, v57
	v_cmp_ne_u32_e64 s[0:1], s19, v56
                                        ; implicit-def: $vgpr56
	s_and_saveexec_b64 s[10:11], s[0:1]
	s_xor_b64 s[0:1], exec, s[10:11]
; %bb.408:                              ;   in Loop: Header=BB296_176 Depth=1
	v_bfe_u32 v56, v57, 16, 1
	v_add3_u32 v56, v57, v56, s21
                                        ; implicit-def: $vgpr57
; %bb.409:                              ;   in Loop: Header=BB296_176 Depth=1
	s_andn2_saveexec_b64 s[10:11], s[0:1]
; %bb.410:                              ;   in Loop: Header=BB296_176 Depth=1
	v_or_b32_e32 v56, 0x10000, v57
	v_cmp_eq_u32_sdwa s[0:1], v57, v15 src0_sel:WORD_0 src1_sel:DWORD
	s_nop 1
	v_cndmask_b32_e64 v56, v56, v57, s[0:1]
; %bb.411:                              ;   in Loop: Header=BB296_176 Depth=1
	s_or_b64 exec, exec, s[10:11]
	v_bfe_u32 v57, v6, 8, 8
	v_cvt_f32_fp8_sdwa v57, v57 src0_sel:BYTE_0
	s_nop 0
	v_mul_f32_e32 v58, s22, v57
	v_and_b32_e32 v57, 0x7f800000, v58
	v_cmp_ne_u32_e64 s[0:1], s19, v57
                                        ; implicit-def: $vgpr57
	s_and_saveexec_b64 s[10:11], s[0:1]
	s_xor_b64 s[0:1], exec, s[10:11]
; %bb.412:                              ;   in Loop: Header=BB296_176 Depth=1
	v_bfe_u32 v57, v58, 16, 1
	v_add3_u32 v57, v58, v57, s21
                                        ; implicit-def: $vgpr58
; %bb.413:                              ;   in Loop: Header=BB296_176 Depth=1
	s_andn2_saveexec_b64 s[10:11], s[0:1]
; %bb.414:                              ;   in Loop: Header=BB296_176 Depth=1
	v_or_b32_e32 v57, 0x10000, v58
	v_cmp_eq_u32_sdwa s[0:1], v58, v15 src0_sel:WORD_0 src1_sel:DWORD
	s_nop 1
	v_cndmask_b32_e64 v57, v57, v58, s[0:1]
; %bb.415:                              ;   in Loop: Header=BB296_176 Depth=1
	s_or_b64 exec, exec, s[10:11]
	v_bfe_u32 v58, v6, 16, 8
	v_cvt_f32_fp8_sdwa v58, v58 src0_sel:BYTE_0
	s_nop 0
	v_mul_f32_e32 v58, s22, v58
	v_and_b32_e32 v59, 0x7f800000, v58
	v_cmp_ne_u32_e64 s[0:1], s19, v59
                                        ; implicit-def: $vgpr59
	s_and_saveexec_b64 s[10:11], s[0:1]
	s_xor_b64 s[0:1], exec, s[10:11]
; %bb.416:                              ;   in Loop: Header=BB296_176 Depth=1
	v_bfe_u32 v59, v58, 16, 1
	v_add3_u32 v59, v58, v59, s21
                                        ; implicit-def: $vgpr58
; %bb.417:                              ;   in Loop: Header=BB296_176 Depth=1
	s_andn2_saveexec_b64 s[10:11], s[0:1]
; %bb.418:                              ;   in Loop: Header=BB296_176 Depth=1
	v_or_b32_e32 v59, 0x10000, v58
	v_cmp_eq_u32_sdwa s[0:1], v58, v15 src0_sel:WORD_0 src1_sel:DWORD
	s_nop 1
	v_cndmask_b32_e64 v59, v59, v58, s[0:1]
; %bb.419:                              ;   in Loop: Header=BB296_176 Depth=1
	s_or_b64 exec, exec, s[10:11]
	v_lshrrev_b32_e32 v6, 24, v6
	v_cvt_f32_fp8_sdwa v6, v6 src0_sel:BYTE_0
	s_nop 0
	v_mul_f32_e32 v58, s22, v6
	v_and_b32_e32 v6, 0x7f800000, v58
	v_cmp_ne_u32_e64 s[0:1], s19, v6
                                        ; implicit-def: $vgpr6
	s_and_saveexec_b64 s[10:11], s[0:1]
	s_xor_b64 s[0:1], exec, s[10:11]
; %bb.420:                              ;   in Loop: Header=BB296_176 Depth=1
	v_bfe_u32 v6, v58, 16, 1
	v_add3_u32 v6, v58, v6, s21
                                        ; implicit-def: $vgpr58
; %bb.421:                              ;   in Loop: Header=BB296_176 Depth=1
	s_andn2_saveexec_b64 s[10:11], s[0:1]
; %bb.422:                              ;   in Loop: Header=BB296_176 Depth=1
	v_or_b32_e32 v6, 0x10000, v58
	v_cmp_eq_u32_sdwa s[0:1], v58, v15 src0_sel:WORD_0 src1_sel:DWORD
	s_nop 1
	v_cndmask_b32_e64 v6, v6, v58, s[0:1]
; %bb.423:                              ;   in Loop: Header=BB296_176 Depth=1
	s_or_b64 exec, exec, s[10:11]
	v_and_b32_e32 v58, 0xff, v7
	v_cvt_f32_fp8_sdwa v58, v58 src0_sel:BYTE_0
	s_nop 0
	v_mul_f32_e32 v58, s22, v58
	v_and_b32_e32 v60, 0x7f800000, v58
	v_cmp_ne_u32_e64 s[0:1], s19, v60
                                        ; implicit-def: $vgpr60
	s_and_saveexec_b64 s[10:11], s[0:1]
	s_xor_b64 s[0:1], exec, s[10:11]
; %bb.424:                              ;   in Loop: Header=BB296_176 Depth=1
	v_bfe_u32 v60, v58, 16, 1
	v_add3_u32 v60, v58, v60, s21
                                        ; implicit-def: $vgpr58
; %bb.425:                              ;   in Loop: Header=BB296_176 Depth=1
	s_andn2_saveexec_b64 s[10:11], s[0:1]
; %bb.426:                              ;   in Loop: Header=BB296_176 Depth=1
	v_or_b32_e32 v60, 0x10000, v58
	v_cmp_eq_u32_sdwa s[0:1], v58, v15 src0_sel:WORD_0 src1_sel:DWORD
	s_nop 1
	v_cndmask_b32_e64 v60, v60, v58, s[0:1]
; %bb.427:                              ;   in Loop: Header=BB296_176 Depth=1
	s_or_b64 exec, exec, s[10:11]
	v_bfe_u32 v58, v7, 8, 8
	v_cvt_f32_fp8_sdwa v58, v58 src0_sel:BYTE_0
	s_nop 0
	v_mul_f32_e32 v61, s22, v58
	v_and_b32_e32 v58, 0x7f800000, v61
	v_cmp_ne_u32_e64 s[0:1], s19, v58
                                        ; implicit-def: $vgpr58
	s_and_saveexec_b64 s[10:11], s[0:1]
	s_xor_b64 s[0:1], exec, s[10:11]
; %bb.428:                              ;   in Loop: Header=BB296_176 Depth=1
	v_bfe_u32 v58, v61, 16, 1
	v_add3_u32 v58, v61, v58, s21
                                        ; implicit-def: $vgpr61
; %bb.429:                              ;   in Loop: Header=BB296_176 Depth=1
	s_andn2_saveexec_b64 s[10:11], s[0:1]
; %bb.430:                              ;   in Loop: Header=BB296_176 Depth=1
	v_or_b32_e32 v58, 0x10000, v61
	v_cmp_eq_u32_sdwa s[0:1], v61, v15 src0_sel:WORD_0 src1_sel:DWORD
	s_nop 1
	v_cndmask_b32_e64 v58, v58, v61, s[0:1]
; %bb.431:                              ;   in Loop: Header=BB296_176 Depth=1
	s_or_b64 exec, exec, s[10:11]
	v_bfe_u32 v61, v7, 16, 8
	v_cvt_f32_fp8_sdwa v61, v61 src0_sel:BYTE_0
	s_nop 0
	v_mul_f32_e32 v61, s22, v61
	v_and_b32_e32 v62, 0x7f800000, v61
	v_cmp_ne_u32_e64 s[0:1], s19, v62
                                        ; implicit-def: $vgpr62
	s_and_saveexec_b64 s[10:11], s[0:1]
	s_xor_b64 s[0:1], exec, s[10:11]
; %bb.432:                              ;   in Loop: Header=BB296_176 Depth=1
	v_bfe_u32 v62, v61, 16, 1
	v_add3_u32 v62, v61, v62, s21
                                        ; implicit-def: $vgpr61
; %bb.433:                              ;   in Loop: Header=BB296_176 Depth=1
	s_andn2_saveexec_b64 s[10:11], s[0:1]
; %bb.434:                              ;   in Loop: Header=BB296_176 Depth=1
	v_or_b32_e32 v62, 0x10000, v61
	v_cmp_eq_u32_sdwa s[0:1], v61, v15 src0_sel:WORD_0 src1_sel:DWORD
	s_nop 1
	v_cndmask_b32_e64 v62, v62, v61, s[0:1]
; %bb.435:                              ;   in Loop: Header=BB296_176 Depth=1
	s_or_b64 exec, exec, s[10:11]
	v_lshrrev_b32_e32 v7, 24, v7
	v_cvt_f32_fp8_sdwa v7, v7 src0_sel:BYTE_0
                                        ; implicit-def: $vgpr63
	s_nop 0
	v_mul_f32_e32 v7, s22, v7
	v_and_b32_e32 v61, 0x7f800000, v7
	v_cmp_ne_u32_e64 s[0:1], s19, v61
	s_and_saveexec_b64 s[10:11], s[0:1]
	s_xor_b64 s[0:1], exec, s[10:11]
; %bb.436:                              ;   in Loop: Header=BB296_176 Depth=1
	v_bfe_u32 v61, v7, 16, 1
	v_add3_u32 v63, v7, v61, s21
                                        ; implicit-def: $vgpr7
; %bb.437:                              ;   in Loop: Header=BB296_176 Depth=1
	s_andn2_saveexec_b64 s[10:11], s[0:1]
; %bb.438:                              ;   in Loop: Header=BB296_176 Depth=1
	v_or_b32_e32 v61, 0x10000, v7
	v_cmp_eq_u32_sdwa s[0:1], v7, v15 src0_sel:WORD_0 src1_sel:DWORD
	s_nop 1
	v_cndmask_b32_e64 v63, v61, v7, s[0:1]
; %bb.439:                              ;   in Loop: Header=BB296_176 Depth=1
	s_or_b64 exec, exec, s[10:11]
	v_lshrrev_b32_e32 v58, 16, v58
	v_lshrrev_b32_e32 v60, 16, v60
	;; [unrolled: 1-line block ×8, first 2 shown]
	s_and_saveexec_b64 s[0:1], vcc
	s_cbranch_execz .LBB296_441
; %bb.440:                              ;   in Loop: Header=BB296_176 Depth=1
	v_cmp_gt_i32_e32 vcc, s33, v26
	s_nop 1
	v_cndmask_b32_e32 v6, 0, v6, vcc
	v_cmp_gt_i32_e32 vcc, s33, v32
	s_nop 1
	v_cndmask_b32_e32 v7, 0, v7, vcc
	;; [unrolled: 3-line block ×8, first 2 shown]
.LBB296_441:                            ;   in Loop: Header=BB296_176 Depth=1
	s_or_b64 exec, exec, s[0:1]
	v_lshlrev_b32_e32 v6, 16, v6
	v_mul_f32_e32 v25, v34, v6
	v_and_b32_e32 v6, 0x7f800000, v25
	v_cmp_ne_u32_e32 vcc, s19, v6
                                        ; implicit-def: $vgpr6
	s_and_saveexec_b64 s[0:1], vcc
	s_xor_b64 s[0:1], exec, s[0:1]
; %bb.442:                              ;   in Loop: Header=BB296_176 Depth=1
	v_bfe_u32 v6, v25, 16, 1
	v_add3_u32 v6, v25, v6, s21
                                        ; implicit-def: $vgpr25
; %bb.443:                              ;   in Loop: Header=BB296_176 Depth=1
	s_andn2_saveexec_b64 s[0:1], s[0:1]
; %bb.444:                              ;   in Loop: Header=BB296_176 Depth=1
	v_or_b32_e32 v6, 0x10000, v25
	v_cmp_eq_u32_sdwa vcc, v25, v15 src0_sel:WORD_0 src1_sel:DWORD
	s_nop 1
	v_cndmask_b32_e32 v6, v6, v25, vcc
; %bb.445:                              ;   in Loop: Header=BB296_176 Depth=1
	s_or_b64 exec, exec, s[0:1]
	v_lshlrev_b32_e32 v7, 16, v7
	v_mul_f32_e32 v25, v35, v7
	v_and_b32_e32 v7, 0x7f800000, v25
	v_cmp_ne_u32_e32 vcc, s19, v7
                                        ; implicit-def: $vgpr7
	s_and_saveexec_b64 s[0:1], vcc
	s_xor_b64 s[0:1], exec, s[0:1]
; %bb.446:                              ;   in Loop: Header=BB296_176 Depth=1
	v_bfe_u32 v7, v25, 16, 1
	v_add3_u32 v7, v25, v7, s21
                                        ; implicit-def: $vgpr25
; %bb.447:                              ;   in Loop: Header=BB296_176 Depth=1
	s_andn2_saveexec_b64 s[0:1], s[0:1]
; %bb.448:                              ;   in Loop: Header=BB296_176 Depth=1
	v_or_b32_e32 v7, 0x10000, v25
	v_cmp_eq_u32_sdwa vcc, v25, v15 src0_sel:WORD_0 src1_sel:DWORD
	s_nop 1
	v_cndmask_b32_e32 v7, v7, v25, vcc
; %bb.449:                              ;   in Loop: Header=BB296_176 Depth=1
	s_or_b64 exec, exec, s[0:1]
	v_lshlrev_b32_e32 v25, 16, v59
	v_mul_f32_e32 v27, v36, v25
	v_and_b32_e32 v25, 0x7f800000, v27
	v_cmp_ne_u32_e32 vcc, s19, v25
                                        ; implicit-def: $vgpr25
	s_and_saveexec_b64 s[0:1], vcc
	s_xor_b64 s[0:1], exec, s[0:1]
; %bb.450:                              ;   in Loop: Header=BB296_176 Depth=1
	v_bfe_u32 v25, v27, 16, 1
	v_add3_u32 v25, v27, v25, s21
                                        ; implicit-def: $vgpr27
; %bb.451:                              ;   in Loop: Header=BB296_176 Depth=1
	s_andn2_saveexec_b64 s[0:1], s[0:1]
; %bb.452:                              ;   in Loop: Header=BB296_176 Depth=1
	v_or_b32_e32 v25, 0x10000, v27
	v_cmp_eq_u32_sdwa vcc, v27, v15 src0_sel:WORD_0 src1_sel:DWORD
	s_nop 1
	v_cndmask_b32_e32 v25, v25, v27, vcc
; %bb.453:                              ;   in Loop: Header=BB296_176 Depth=1
	s_or_b64 exec, exec, s[0:1]
	v_lshlrev_b32_e32 v27, 16, v61
	v_mul_f32_e32 v28, v37, v27
	v_and_b32_e32 v27, 0x7f800000, v28
	v_cmp_ne_u32_e32 vcc, s19, v27
                                        ; implicit-def: $vgpr27
	s_and_saveexec_b64 s[0:1], vcc
	s_xor_b64 s[0:1], exec, s[0:1]
; %bb.454:                              ;   in Loop: Header=BB296_176 Depth=1
	v_bfe_u32 v27, v28, 16, 1
	v_add3_u32 v27, v28, v27, s21
                                        ; implicit-def: $vgpr28
; %bb.455:                              ;   in Loop: Header=BB296_176 Depth=1
	s_andn2_saveexec_b64 s[0:1], s[0:1]
; %bb.456:                              ;   in Loop: Header=BB296_176 Depth=1
	v_or_b32_e32 v27, 0x10000, v28
	v_cmp_eq_u32_sdwa vcc, v28, v15 src0_sel:WORD_0 src1_sel:DWORD
	s_nop 1
	v_cndmask_b32_e32 v27, v27, v28, vcc
; %bb.457:                              ;   in Loop: Header=BB296_176 Depth=1
	s_or_b64 exec, exec, s[0:1]
	v_lshlrev_b32_e32 v28, 16, v60
	v_mul_f32_e32 v29, v38, v28
	v_and_b32_e32 v28, 0x7f800000, v29
	v_cmp_ne_u32_e32 vcc, s19, v28
                                        ; implicit-def: $vgpr28
	s_and_saveexec_b64 s[0:1], vcc
	s_xor_b64 s[0:1], exec, s[0:1]
; %bb.458:                              ;   in Loop: Header=BB296_176 Depth=1
	v_bfe_u32 v28, v29, 16, 1
	v_add3_u32 v28, v29, v28, s21
                                        ; implicit-def: $vgpr29
; %bb.459:                              ;   in Loop: Header=BB296_176 Depth=1
	s_andn2_saveexec_b64 s[0:1], s[0:1]
; %bb.460:                              ;   in Loop: Header=BB296_176 Depth=1
	v_or_b32_e32 v28, 0x10000, v29
	v_cmp_eq_u32_sdwa vcc, v29, v15 src0_sel:WORD_0 src1_sel:DWORD
	s_nop 1
	v_cndmask_b32_e32 v28, v28, v29, vcc
; %bb.461:                              ;   in Loop: Header=BB296_176 Depth=1
	s_or_b64 exec, exec, s[0:1]
	v_lshlrev_b32_e32 v29, 16, v58
	v_mul_f32_e32 v30, v39, v29
	v_and_b32_e32 v29, 0x7f800000, v30
	v_cmp_ne_u32_e32 vcc, s19, v29
                                        ; implicit-def: $vgpr29
	s_and_saveexec_b64 s[0:1], vcc
	s_xor_b64 s[0:1], exec, s[0:1]
; %bb.462:                              ;   in Loop: Header=BB296_176 Depth=1
	v_bfe_u32 v29, v30, 16, 1
	v_add3_u32 v29, v30, v29, s21
                                        ; implicit-def: $vgpr30
; %bb.463:                              ;   in Loop: Header=BB296_176 Depth=1
	s_andn2_saveexec_b64 s[0:1], s[0:1]
; %bb.464:                              ;   in Loop: Header=BB296_176 Depth=1
	v_or_b32_e32 v29, 0x10000, v30
	v_cmp_eq_u32_sdwa vcc, v30, v15 src0_sel:WORD_0 src1_sel:DWORD
	s_nop 1
	v_cndmask_b32_e32 v29, v29, v30, vcc
; %bb.465:                              ;   in Loop: Header=BB296_176 Depth=1
	s_or_b64 exec, exec, s[0:1]
	v_lshlrev_b32_e32 v30, 16, v57
	v_mul_f32_e32 v31, v40, v30
	v_and_b32_e32 v30, 0x7f800000, v31
	v_cmp_ne_u32_e32 vcc, s19, v30
                                        ; implicit-def: $vgpr30
	s_and_saveexec_b64 s[0:1], vcc
	s_xor_b64 s[0:1], exec, s[0:1]
; %bb.466:                              ;   in Loop: Header=BB296_176 Depth=1
	v_bfe_u32 v30, v31, 16, 1
	v_add3_u32 v30, v31, v30, s21
                                        ; implicit-def: $vgpr31
; %bb.467:                              ;   in Loop: Header=BB296_176 Depth=1
	s_andn2_saveexec_b64 s[0:1], s[0:1]
; %bb.468:                              ;   in Loop: Header=BB296_176 Depth=1
	v_or_b32_e32 v30, 0x10000, v31
	v_cmp_eq_u32_sdwa vcc, v31, v15 src0_sel:WORD_0 src1_sel:DWORD
	s_nop 1
	v_cndmask_b32_e32 v30, v30, v31, vcc
; %bb.469:                              ;   in Loop: Header=BB296_176 Depth=1
	s_or_b64 exec, exec, s[0:1]
	v_lshlrev_b32_e32 v31, 16, v56
	v_mul_f32_e32 v32, v41, v31
	v_and_b32_e32 v31, 0x7f800000, v32
	v_cmp_ne_u32_e32 vcc, s19, v31
                                        ; implicit-def: $vgpr31
	s_and_saveexec_b64 s[0:1], vcc
	s_xor_b64 s[0:1], exec, s[0:1]
; %bb.470:                              ;   in Loop: Header=BB296_176 Depth=1
	v_bfe_u32 v31, v32, 16, 1
	v_add3_u32 v31, v32, v31, s21
                                        ; implicit-def: $vgpr32
; %bb.471:                              ;   in Loop: Header=BB296_176 Depth=1
	s_andn2_saveexec_b64 s[0:1], s[0:1]
	s_cbranch_execz .LBB296_174
; %bb.472:                              ;   in Loop: Header=BB296_176 Depth=1
	v_or_b32_e32 v31, 0x10000, v32
	v_cmp_eq_u32_sdwa vcc, v32, v15 src0_sel:WORD_0 src1_sel:DWORD
	s_nop 1
	v_cndmask_b32_e32 v31, v31, v32, vcc
	s_branch .LBB296_174
.LBB296_473:
	s_or_b64 exec, exec, s[6:7]
.LBB296_474:
	s_or_b64 exec, exec, s[2:3]
	v_and_b32_e32 v1, 0x3c0, v0
	v_cmp_eq_u32_e32 vcc, 64, v1
	s_barrier
	s_and_saveexec_b64 s[0:1], vcc
	s_cbranch_execz .LBB296_476
; %bb.475:
	v_lshlrev_b32_e32 v1, 2, v0
	v_mov_b32_e32 v7, 0x210
	v_or_b32_e32 v6, 0x300, v1
	v_lshl_add_u32 v7, v20, 2, v7
	v_add_u32_e32 v6, 0x210, v6
	v_add_u32_e32 v1, 0x210, v1
	ds_write_b32 v7, v2
	ds_write_b32 v1, v3
	ds_write_b32 v7, v4 offset:512
	ds_write_b32 v6, v5
.LBB296_476:
	s_or_b64 exec, exec, s[0:1]
	v_cmp_gt_u32_e32 vcc, 64, v0
	s_waitcnt lgkmcnt(0)
	s_barrier
	s_and_saveexec_b64 s[0:1], vcc
	s_cbranch_execz .LBB296_478
; %bb.477:
	v_mov_b32_e32 v1, 0x210
	v_lshl_add_u32 v1, v0, 2, v1
	ds_read2st64_b32 v[6:7], v1 offset0:2 offset1:3
	ds_read2st64_b32 v[8:9], v1 offset1:1
	s_waitcnt lgkmcnt(1)
	v_pk_add_f32 v[4:5], v[4:5], v[6:7]
	s_waitcnt lgkmcnt(0)
	v_pk_add_f32 v[2:3], v[2:3], v[8:9]
.LBB296_478:
	s_or_b64 exec, exec, s[0:1]
	s_barrier
	s_and_saveexec_b64 s[0:1], vcc
	s_cbranch_execz .LBB296_496
; %bb.479:
	s_mov_b32 s0, 0x7f800000
	v_and_b32_e32 v1, 0x7f800000, v2
	v_cmp_ne_u32_e32 vcc, s0, v1
                                        ; implicit-def: $vgpr6
	s_and_saveexec_b64 s[0:1], vcc
	s_xor_b64 s[0:1], exec, s[0:1]
; %bb.480:
	v_bfe_u32 v1, v2, 16, 1
	s_movk_i32 s2, 0x7fff
	v_add3_u32 v6, v2, v1, s2
; %bb.481:
	s_andn2_saveexec_b64 s[0:1], s[0:1]
; %bb.482:
	v_mov_b32_e32 v1, 0
	v_or_b32_e32 v6, 0x10000, v2
	v_cmp_eq_u32_sdwa vcc, v2, v1 src0_sel:WORD_0 src1_sel:DWORD
	s_nop 1
	v_cndmask_b32_e32 v6, v6, v2, vcc
; %bb.483:
	s_or_b64 exec, exec, s[0:1]
	s_mul_i32 s0, s28, s29
	s_mul_i32 s0, s0, s5
	s_lshl_b32 s0, s0, 8
	s_ashr_i32 s1, s0, 31
	s_lshl_b64 s[0:1], s[0:1], 1
	s_add_u32 s2, s30, s0
	s_mul_i32 s0, s29, s34
	s_addc_u32 s3, s31, s1
	s_ashr_i32 s1, s0, 31
	s_lshl_b64 s[0:1], s[0:1], 1
	s_add_u32 s2, s2, s0
	s_addc_u32 s3, s3, s1
	s_lshl_b32 s0, s4, 8
	s_ashr_i32 s1, s0, 31
	s_lshl_b64 s[0:1], s[0:1], 1
	s_add_u32 s0, s2, s0
	s_mov_b32 s2, 0x7f800000
	v_and_b32_e32 v2, 0x7f800000, v3
	s_addc_u32 s1, s3, s1
	v_lshlrev_b32_e32 v0, 1, v0
	v_mov_b32_e32 v1, 0
	v_cmp_ne_u32_e32 vcc, s2, v2
	global_store_short_d16_hi v0, v6, s[0:1]
                                        ; implicit-def: $vgpr2
	s_and_saveexec_b64 s[2:3], vcc
	s_xor_b64 s[2:3], exec, s[2:3]
; %bb.484:
	v_bfe_u32 v2, v3, 16, 1
	s_movk_i32 s4, 0x7fff
	v_add3_u32 v2, v3, v2, s4
; %bb.485:
	s_or_saveexec_b64 s[2:3], s[2:3]
	v_lshl_add_u64 v[0:1], s[0:1], 0, v[0:1]
	s_xor_b64 exec, exec, s[2:3]
; %bb.486:
	v_mov_b32_e32 v2, 0
	v_or_b32_e32 v6, 0x10000, v3
	v_cmp_eq_u32_sdwa vcc, v3, v2 src0_sel:WORD_0 src1_sel:DWORD
	s_nop 1
	v_cndmask_b32_e32 v2, v6, v3, vcc
; %bb.487:
	s_or_b64 exec, exec, s[2:3]
	global_store_short_d16_hi v[0:1], v2, off offset:128
	s_mov_b32 s0, 0x7f800000
	v_and_b32_e32 v2, 0x7f800000, v4
	v_cmp_ne_u32_e32 vcc, s0, v2
                                        ; implicit-def: $vgpr2
	s_and_saveexec_b64 s[0:1], vcc
	s_xor_b64 s[0:1], exec, s[0:1]
; %bb.488:
	v_bfe_u32 v2, v4, 16, 1
	s_movk_i32 s2, 0x7fff
	v_add3_u32 v2, v4, v2, s2
; %bb.489:
	s_andn2_saveexec_b64 s[0:1], s[0:1]
; %bb.490:
	v_mov_b32_e32 v2, 0
	v_or_b32_e32 v3, 0x10000, v4
	v_cmp_eq_u32_sdwa vcc, v4, v2 src0_sel:WORD_0 src1_sel:DWORD
	s_nop 1
	v_cndmask_b32_e32 v2, v3, v4, vcc
; %bb.491:
	s_or_b64 exec, exec, s[0:1]
	global_store_short_d16_hi v[0:1], v2, off offset:256
	s_mov_b32 s0, 0x7f800000
	v_and_b32_e32 v2, 0x7f800000, v5
	v_cmp_ne_u32_e32 vcc, s0, v2
                                        ; implicit-def: $vgpr6
	s_and_saveexec_b64 s[0:1], vcc
	s_xor_b64 s[0:1], exec, s[0:1]
; %bb.492:
	v_bfe_u32 v2, v5, 16, 1
	s_movk_i32 s2, 0x7fff
	v_add3_u32 v6, v5, v2, s2
                                        ; implicit-def: $vgpr2_vgpr3_vgpr4_vgpr5
; %bb.493:
	s_andn2_saveexec_b64 s[0:1], s[0:1]
; %bb.494:
	v_mov_b32_e32 v2, 0
	v_or_b32_e32 v3, 0x10000, v5
	v_cmp_eq_u32_sdwa vcc, v5, v2 src0_sel:WORD_0 src1_sel:DWORD
	s_nop 1
	v_cndmask_b32_e32 v6, v3, v5, vcc
; %bb.495:
	s_or_b64 exec, exec, s[0:1]
	global_store_short_d16_hi v[0:1], v6, off offset:384
.LBB296_496:
	s_endpgm
	.section	.rodata,"a",@progbits
	.p2align	6, 0x0
	.amdhsa_kernel _ZN4vllm25paged_attention_v1_kernelI14__hip_bfloat16hLi256ELi8ELi128ELNS_18Fp8KVCacheDataTypeE1ELb1EEEvPT_PKS3_PKT0_S9_ifPKiSB_iPKfiiiSD_SD_iiiii
		.amdhsa_group_segment_fixed_size 528
		.amdhsa_private_segment_fixed_size 0
		.amdhsa_kernarg_size 384
		.amdhsa_user_sgpr_count 2
		.amdhsa_user_sgpr_dispatch_ptr 0
		.amdhsa_user_sgpr_queue_ptr 0
		.amdhsa_user_sgpr_kernarg_segment_ptr 1
		.amdhsa_user_sgpr_dispatch_id 0
		.amdhsa_user_sgpr_kernarg_preload_length 0
		.amdhsa_user_sgpr_kernarg_preload_offset 0
		.amdhsa_user_sgpr_private_segment_size 0
		.amdhsa_uses_dynamic_stack 0
		.amdhsa_enable_private_segment 0
		.amdhsa_system_sgpr_workgroup_id_x 1
		.amdhsa_system_sgpr_workgroup_id_y 1
		.amdhsa_system_sgpr_workgroup_id_z 1
		.amdhsa_system_sgpr_workgroup_info 0
		.amdhsa_system_vgpr_workitem_id 0
		.amdhsa_next_free_vgpr 87
		.amdhsa_next_free_sgpr 51
		.amdhsa_accum_offset 88
		.amdhsa_reserve_vcc 1
		.amdhsa_float_round_mode_32 0
		.amdhsa_float_round_mode_16_64 0
		.amdhsa_float_denorm_mode_32 3
		.amdhsa_float_denorm_mode_16_64 3
		.amdhsa_dx10_clamp 1
		.amdhsa_ieee_mode 1
		.amdhsa_fp16_overflow 0
		.amdhsa_tg_split 0
		.amdhsa_exception_fp_ieee_invalid_op 0
		.amdhsa_exception_fp_denorm_src 0
		.amdhsa_exception_fp_ieee_div_zero 0
		.amdhsa_exception_fp_ieee_overflow 0
		.amdhsa_exception_fp_ieee_underflow 0
		.amdhsa_exception_fp_ieee_inexact 0
		.amdhsa_exception_int_div_zero 0
	.end_amdhsa_kernel
	.section	.text._ZN4vllm25paged_attention_v1_kernelI14__hip_bfloat16hLi256ELi8ELi128ELNS_18Fp8KVCacheDataTypeE1ELb1EEEvPT_PKS3_PKT0_S9_ifPKiSB_iPKfiiiSD_SD_iiiii,"axG",@progbits,_ZN4vllm25paged_attention_v1_kernelI14__hip_bfloat16hLi256ELi8ELi128ELNS_18Fp8KVCacheDataTypeE1ELb1EEEvPT_PKS3_PKT0_S9_ifPKiSB_iPKfiiiSD_SD_iiiii,comdat
.Lfunc_end296:
	.size	_ZN4vllm25paged_attention_v1_kernelI14__hip_bfloat16hLi256ELi8ELi128ELNS_18Fp8KVCacheDataTypeE1ELb1EEEvPT_PKS3_PKT0_S9_ifPKiSB_iPKfiiiSD_SD_iiiii, .Lfunc_end296-_ZN4vllm25paged_attention_v1_kernelI14__hip_bfloat16hLi256ELi8ELi128ELNS_18Fp8KVCacheDataTypeE1ELb1EEEvPT_PKS3_PKT0_S9_ifPKiSB_iPKfiiiSD_SD_iiiii
                                        ; -- End function
	.section	.AMDGPU.csdata,"",@progbits
; Kernel info:
; codeLenInByte = 15560
; NumSgprs: 57
; NumVgprs: 87
; NumAgprs: 0
; TotalNumVgprs: 87
; ScratchSize: 0
; MemoryBound: 0
; FloatMode: 240
; IeeeMode: 1
; LDSByteSize: 528 bytes/workgroup (compile time only)
; SGPRBlocks: 7
; VGPRBlocks: 10
; NumSGPRsForWavesPerEU: 57
; NumVGPRsForWavesPerEU: 87
; AccumOffset: 88
; Occupancy: 5
; WaveLimiterHint : 1
; COMPUTE_PGM_RSRC2:SCRATCH_EN: 0
; COMPUTE_PGM_RSRC2:USER_SGPR: 2
; COMPUTE_PGM_RSRC2:TRAP_HANDLER: 0
; COMPUTE_PGM_RSRC2:TGID_X_EN: 1
; COMPUTE_PGM_RSRC2:TGID_Y_EN: 1
; COMPUTE_PGM_RSRC2:TGID_Z_EN: 1
; COMPUTE_PGM_RSRC2:TIDIG_COMP_CNT: 0
; COMPUTE_PGM_RSRC3_GFX90A:ACCUM_OFFSET: 21
; COMPUTE_PGM_RSRC3_GFX90A:TG_SPLIT: 0
	.section	.text._ZN4vllm25paged_attention_v1_kernelI14__hip_bfloat16hLi32ELi8ELi128ELNS_18Fp8KVCacheDataTypeE1ELb0EEEvPT_PKS3_PKT0_S9_ifPKiSB_iPKfiiiSD_SD_iiiii,"axG",@progbits,_ZN4vllm25paged_attention_v1_kernelI14__hip_bfloat16hLi32ELi8ELi128ELNS_18Fp8KVCacheDataTypeE1ELb0EEEvPT_PKS3_PKT0_S9_ifPKiSB_iPKfiiiSD_SD_iiiii,comdat
	.protected	_ZN4vllm25paged_attention_v1_kernelI14__hip_bfloat16hLi32ELi8ELi128ELNS_18Fp8KVCacheDataTypeE1ELb0EEEvPT_PKS3_PKT0_S9_ifPKiSB_iPKfiiiSD_SD_iiiii ; -- Begin function _ZN4vllm25paged_attention_v1_kernelI14__hip_bfloat16hLi32ELi8ELi128ELNS_18Fp8KVCacheDataTypeE1ELb0EEEvPT_PKS3_PKT0_S9_ifPKiSB_iPKfiiiSD_SD_iiiii
	.globl	_ZN4vllm25paged_attention_v1_kernelI14__hip_bfloat16hLi32ELi8ELi128ELNS_18Fp8KVCacheDataTypeE1ELb0EEEvPT_PKS3_PKT0_S9_ifPKiSB_iPKfiiiSD_SD_iiiii
	.p2align	8
	.type	_ZN4vllm25paged_attention_v1_kernelI14__hip_bfloat16hLi32ELi8ELi128ELNS_18Fp8KVCacheDataTypeE1ELb0EEEvPT_PKS3_PKT0_S9_ifPKiSB_iPKfiiiSD_SD_iiiii,@function
_ZN4vllm25paged_attention_v1_kernelI14__hip_bfloat16hLi32ELi8ELi128ELNS_18Fp8KVCacheDataTypeE1ELb0EEEvPT_PKS3_PKT0_S9_ifPKiSB_iPKfiiiSD_SD_iiiii: ; @_ZN4vllm25paged_attention_v1_kernelI14__hip_bfloat16hLi32ELi8ELi128ELNS_18Fp8KVCacheDataTypeE1ELb0EEEvPT_PKS3_PKT0_S9_ifPKiSB_iPKfiiiSD_SD_iiiii
; %bb.0:
	s_load_dword s5, s[0:1], 0x80
	s_load_dwordx2 s[6:7], s[0:1], 0x30
	s_load_dwordx2 s[28:29], s[0:1], 0x20
	s_mov_b32 s16, s3
	s_ashr_i32 s17, s3, 31
	s_lshl_b64 s[8:9], s[16:17], 2
	s_waitcnt lgkmcnt(0)
	s_add_u32 s6, s6, s8
	s_addc_u32 s7, s7, s9
	s_abs_i32 s3, s28
	v_cvt_f32_u32_e32 v1, s3
	s_sub_i32 s10, 0, s3
	s_abs_i32 s9, s5
	s_xor_b32 s8, s5, s28
	v_rcp_iflag_f32_e32 v1, v1
	s_ashr_i32 s8, s8, 31
	s_mov_b32 s28, 0
	v_mul_f32_e32 v1, 0x4f7ffffe, v1
	v_cvt_u32_f32_e32 v1, v1
	s_nop 0
	v_readfirstlane_b32 s11, v1
	s_mul_i32 s10, s10, s11
	s_mul_hi_u32 s10, s11, s10
	s_add_i32 s11, s11, s10
	s_mul_hi_u32 s10, s9, s11
	s_mul_i32 s11, s10, s3
	s_sub_i32 s9, s9, s11
	s_add_i32 s11, s10, 1
	s_sub_i32 s12, s9, s3
	s_cmp_ge_u32 s9, s3
	s_cselect_b32 s10, s11, s10
	s_cselect_b32 s9, s12, s9
	s_add_i32 s11, s10, 1
	s_cmp_ge_u32 s9, s3
	s_cselect_b32 s3, s11, s10
	s_xor_b32 s3, s3, s8
	s_sub_i32 s18, s3, s8
	s_abs_i32 s10, s18
	v_cvt_f32_u32_e32 v1, s10
	s_load_dwordx2 s[8:9], s[0:1], 0x40
	s_sub_i32 s3, 0, s10
	s_abs_i32 s11, s2
	v_rcp_iflag_f32_e32 v1, v1
	s_nop 0
	v_mul_f32_e32 v1, 0x4f7ffffe, v1
	v_cvt_u32_f32_e32 v1, v1
	s_nop 0
	v_readfirstlane_b32 s12, v1
	s_mul_i32 s3, s3, s12
	s_mul_hi_u32 s3, s12, s3
	s_add_i32 s12, s12, s3
	s_waitcnt lgkmcnt(0)
	s_cmp_eq_u64 s[8:9], 0
	s_mul_hi_u32 s17, s11, s12
	s_cbranch_scc1 .LBB297_2
; %bb.1:
	s_ashr_i32 s3, s2, 31
	s_lshl_b64 s[12:13], s[2:3], 2
	s_add_u32 s8, s8, s12
	s_addc_u32 s9, s9, s13
	s_load_dword s28, s[8:9], 0x0
.LBB297_2:
	s_load_dword s33, s[6:7], 0x0
	s_load_dwordx4 s[12:15], s[0:1], 0x48
	s_ashr_i32 s6, s2, 31
	s_ashr_i32 s7, s18, 31
	v_and_b32_e32 v2, 7, v0
	s_lshl_b32 s18, s2, 5
	v_cmp_gt_u32_e32 vcc, 32, v0
	s_and_saveexec_b64 s[2:3], vcc
	s_cbranch_execz .LBB297_4
; %bb.3:
	s_load_dwordx2 s[8:9], s[0:1], 0x8
	s_waitcnt lgkmcnt(0)
	s_mul_i32 s20, s16, s12
	s_ashr_i32 s21, s20, 31
	s_lshl_b64 s[20:21], s[20:21], 1
	v_lshlrev_b32_e32 v1, 1, v0
	s_add_u32 s12, s8, s20
	s_addc_u32 s15, s9, s21
	s_ashr_i32 s19, s18, 31
	s_lshl_b64 s[8:9], s[18:19], 1
	s_add_u32 s8, s12, s8
	s_addc_u32 s9, s15, s9
	global_load_ushort v1, v1, s[8:9]
	v_lshrrev_b32_e32 v3, 2, v0
	v_and_b32_e32 v3, 0xfe, v3
	v_lshl_add_u32 v3, v2, 3, v3
	s_waitcnt vmcnt(0)
	ds_write_b16 v3, v1
.LBB297_4:
	s_or_b64 exec, exec, s[2:3]
	s_waitcnt lgkmcnt(0)
	s_add_i32 s3, s33, 7
	s_ashr_i32 s8, s3, 31
	s_lshr_b32 s8, s8, 29
	s_add_i32 s3, s3, s8
	s_ashr_i32 s19, s3, 3
	s_xor_b32 s3, s6, s7
	s_mul_i32 s6, s17, s10
	s_sub_i32 s6, s11, s6
	s_add_i32 s7, s17, 1
	s_sub_i32 s8, s6, s10
	s_load_dwordx2 s[22:23], s[0:1], 0x28
	s_load_dword s2, s[0:1], 0x38
	s_cmp_ge_u32 s6, s10
	s_cselect_b32 s7, s7, s17
	s_cselect_b32 s6, s8, s6
	s_add_i32 s8, s7, 1
	s_cmp_ge_u32 s6, s10
	s_cselect_b32 s6, s8, s7
	v_lshrrev_b32_e32 v1, 6, v0
	s_xor_b32 s6, s6, s3
	s_waitcnt lgkmcnt(0)
	s_mul_i32 s24, s16, s2
	s_sub_i32 s12, s6, s3
	s_ashr_i32 s25, s24, 31
	v_cmp_gt_i32_e64 s[6:7], s19, v1
	v_cmp_le_i32_e32 vcc, s19, v1
	v_mbcnt_lo_u32_b32 v6, -1, 0
	s_barrier
	s_waitcnt lgkmcnt(0)
                                        ; implicit-def: $sgpr15
                                        ; implicit-def: $vgpr10
                                        ; implicit-def: $vgpr11
	s_and_saveexec_b64 s[2:3], vcc
	s_xor_b64 s[2:3], exec, s[2:3]
; %bb.5:
	v_mbcnt_hi_u32_b32 v10, -1, v6
	v_and_b32_e32 v2, 64, v10
	v_add_u32_e32 v11, 64, v2
	s_mov_b32 s15, 0xff7fffff
                                        ; implicit-def: $vgpr2
                                        ; implicit-def: $vgpr6
; %bb.6:
	s_or_saveexec_b64 s[30:31], s[2:3]
	s_load_dwordx2 s[20:21], s[0:1], 0x0
	s_load_dwordx2 s[26:27], s[0:1], 0x18
	s_load_dword s17, s[0:1], 0x88
	s_load_dwordx4 s[8:11], s[0:1], 0x58
	v_mov_b32_e32 v17, s15
	s_mul_i32 s12, s12, s14
	v_lshrrev_b32_e32 v14, 4, v0
	s_xor_b64 exec, exec, s[30:31]
	s_cbranch_execz .LBB297_28
; %bb.7:
	v_mbcnt_hi_u32_b32 v10, -1, v6
	v_and_b32_e32 v6, 64, v10
	v_add_u32_e32 v11, 64, v6
	v_xor_b32_e32 v6, 4, v10
	v_cmp_lt_i32_e32 vcc, v6, v11
	s_load_dwordx2 s[0:1], s[0:1], 0x10
	s_ashr_i32 s2, s12, 31
	v_cndmask_b32_e32 v6, v10, v6, vcc
	v_lshlrev_b32_e32 v18, 2, v6
	v_xor_b32_e32 v6, 2, v10
	v_cmp_lt_i32_e32 vcc, v6, v11
	v_lshlrev_b32_e32 v3, 3, v2
	v_bfe_u32 v7, v0, 3, 3
	v_cndmask_b32_e32 v6, v10, v6, vcc
	v_lshlrev_b32_e32 v19, 2, v6
	v_xor_b32_e32 v6, 1, v10
	s_waitcnt lgkmcnt(0)
	s_add_u32 s0, s0, s12
	ds_read_b64 v[8:9], v3
	v_mov_b32_e32 v3, 0
	v_cmp_lt_i32_e32 vcc, v6, v11
	s_addc_u32 s1, s1, s2
	v_lshlrev_b32_e32 v4, 4, v7
	v_mov_b32_e32 v5, v3
	v_cndmask_b32_e32 v6, v10, v6, vcc
	s_load_dword s35, s[8:9], 0x0
	v_lshl_add_u64 v[4:5], s[0:1], 0, v[4:5]
	v_lshlrev_b32_e32 v20, 2, v6
	s_sub_i32 s36, 1, s33
	v_lshlrev_b32_e32 v6, 2, v7
	s_lshl_b64 s[0:1], s[24:25], 2
	v_lshl_or_b32 v6, v1, 5, v6
	s_add_u32 s0, s22, s0
	v_lshl_or_b32 v21, v1, 3, v7
	v_add_u32_e32 v22, 0x50, v6
	v_and_b32_e32 v6, 60, v14
	v_mov_b32_e32 v7, v3
	s_addc_u32 s1, s23, s1
	s_mov_b32 s34, s13
	s_waitcnt lgkmcnt(0)
	v_lshlrev_b32_e32 v12, 16, v8
	v_and_b32_e32 v13, 0xffff0000, v8
	v_lshlrev_b32_e32 v15, 16, v9
	v_and_b32_e32 v16, 0xffff0000, v9
	v_cmp_eq_u32_e32 vcc, 0, v2
	v_cmp_neq_f32_e64 s[2:3], s28, 0
	v_lshl_add_u64 v[6:7], s[0:1], 0, v[6:7]
	s_mov_b64 s[8:9], 0
	v_mov_b32_e32 v17, 0xff7fffff
	s_mov_b32 s37, 0x7f800000
	s_movk_i32 s38, 0x7fff
	v_mov_b32_e32 v23, v1
	s_branch .LBB297_9
.LBB297_8:                              ;   in Loop: Header=BB297_9 Depth=1
	s_or_b64 exec, exec, s[14:15]
	v_add_u32_e32 v23, 2, v23
	v_cmp_le_i32_e64 s[0:1], s19, v23
	v_add_u32_e32 v21, 16, v21
	v_add_u32_e32 v22, 64, v22
	s_or_b64 s[8:9], s[0:1], s[8:9]
	v_lshl_add_u64 v[6:7], v[6:7], 0, 8
	s_andn2_b64 exec, exec, s[8:9]
	s_cbranch_execz .LBB297_27
.LBB297_9:                              ; =>This Inner Loop Header: Depth=1
	global_load_dword v8, v[6:7], off
	s_waitcnt vmcnt(0) lgkmcnt(0)
	v_mad_i64_i32 v[8:9], s[0:1], v8, s34, v[4:5]
	v_lshl_add_u64 v[8:9], v[8:9], 0, v[2:3]
	global_load_ubyte v24, v[8:9], off
	s_waitcnt vmcnt(0)
	v_cvt_f32_fp8_sdwa v24, v24 src0_sel:BYTE_0
	s_nop 0
	v_mul_f32_e32 v25, s35, v24
	v_and_b32_e32 v24, 0x7f800000, v25
	v_cmp_ne_u32_e64 s[0:1], s37, v24
                                        ; implicit-def: $vgpr24
	s_and_saveexec_b64 s[14:15], s[0:1]
	s_xor_b64 s[0:1], exec, s[14:15]
; %bb.10:                               ;   in Loop: Header=BB297_9 Depth=1
	v_bfe_u32 v24, v25, 16, 1
	v_add3_u32 v24, v25, v24, s38
                                        ; implicit-def: $vgpr25
; %bb.11:                               ;   in Loop: Header=BB297_9 Depth=1
	s_andn2_saveexec_b64 s[14:15], s[0:1]
; %bb.12:                               ;   in Loop: Header=BB297_9 Depth=1
	v_or_b32_e32 v24, 0x10000, v25
	v_cmp_eq_u32_sdwa s[0:1], v25, v3 src0_sel:WORD_0 src1_sel:DWORD
	s_nop 1
	v_cndmask_b32_e64 v24, v24, v25, s[0:1]
; %bb.13:                               ;   in Loop: Header=BB297_9 Depth=1
	s_or_b64 exec, exec, s[14:15]
	global_load_ubyte v25, v[8:9], off offset:8
	s_waitcnt vmcnt(0)
	v_cvt_f32_fp8_sdwa v25, v25 src0_sel:BYTE_0
	s_nop 0
	v_mul_f32_e32 v26, s35, v25
	v_and_b32_e32 v25, 0x7f800000, v26
	v_cmp_ne_u32_e64 s[0:1], s37, v25
                                        ; implicit-def: $vgpr25
	s_and_saveexec_b64 s[14:15], s[0:1]
	s_xor_b64 s[0:1], exec, s[14:15]
; %bb.14:                               ;   in Loop: Header=BB297_9 Depth=1
	v_bfe_u32 v25, v26, 16, 1
	v_add3_u32 v25, v26, v25, s38
                                        ; implicit-def: $vgpr26
; %bb.15:                               ;   in Loop: Header=BB297_9 Depth=1
	s_andn2_saveexec_b64 s[14:15], s[0:1]
; %bb.16:                               ;   in Loop: Header=BB297_9 Depth=1
	v_or_b32_e32 v25, 0x10000, v26
	v_cmp_eq_u32_sdwa s[0:1], v26, v3 src0_sel:WORD_0 src1_sel:DWORD
	s_nop 1
	v_cndmask_b32_e64 v25, v25, v26, s[0:1]
; %bb.17:                               ;   in Loop: Header=BB297_9 Depth=1
	s_or_b64 exec, exec, s[14:15]
	global_load_ubyte v26, v[8:9], off offset:128
	s_waitcnt vmcnt(0)
	v_cvt_f32_fp8_sdwa v26, v26 src0_sel:BYTE_0
	s_nop 0
	v_mul_f32_e32 v27, s35, v26
	v_and_b32_e32 v26, 0x7f800000, v27
	v_cmp_ne_u32_e64 s[0:1], s37, v26
                                        ; implicit-def: $vgpr26
	s_and_saveexec_b64 s[14:15], s[0:1]
	s_xor_b64 s[0:1], exec, s[14:15]
; %bb.18:                               ;   in Loop: Header=BB297_9 Depth=1
	v_bfe_u32 v26, v27, 16, 1
	v_add3_u32 v26, v27, v26, s38
                                        ; implicit-def: $vgpr27
; %bb.19:                               ;   in Loop: Header=BB297_9 Depth=1
	s_andn2_saveexec_b64 s[14:15], s[0:1]
; %bb.20:                               ;   in Loop: Header=BB297_9 Depth=1
	v_or_b32_e32 v26, 0x10000, v27
	v_cmp_eq_u32_sdwa s[0:1], v27, v3 src0_sel:WORD_0 src1_sel:DWORD
	s_nop 1
	v_cndmask_b32_e64 v26, v26, v27, s[0:1]
; %bb.21:                               ;   in Loop: Header=BB297_9 Depth=1
	s_or_b64 exec, exec, s[14:15]
	global_load_ubyte v8, v[8:9], off offset:136
	s_waitcnt vmcnt(0)
	v_cvt_f32_fp8_sdwa v8, v8 src0_sel:BYTE_0
	s_nop 0
	v_mul_f32_e32 v9, s35, v8
	v_and_b32_e32 v8, 0x7f800000, v9
	v_cmp_ne_u32_e64 s[0:1], s37, v8
                                        ; implicit-def: $vgpr8
	s_and_saveexec_b64 s[14:15], s[0:1]
	s_xor_b64 s[0:1], exec, s[14:15]
; %bb.22:                               ;   in Loop: Header=BB297_9 Depth=1
	v_bfe_u32 v8, v9, 16, 1
	v_add3_u32 v8, v9, v8, s38
                                        ; implicit-def: $vgpr9
; %bb.23:                               ;   in Loop: Header=BB297_9 Depth=1
	s_andn2_saveexec_b64 s[14:15], s[0:1]
; %bb.24:                               ;   in Loop: Header=BB297_9 Depth=1
	v_or_b32_e32 v8, 0x10000, v9
	v_cmp_eq_u32_sdwa s[0:1], v9, v3 src0_sel:WORD_0 src1_sel:DWORD
	s_nop 1
	v_cndmask_b32_e64 v8, v8, v9, s[0:1]
; %bb.25:                               ;   in Loop: Header=BB297_9 Depth=1
	s_or_b64 exec, exec, s[14:15]
	v_and_b32_e32 v25, 0xffff0000, v25
	v_and_b32_e32 v24, 0xffff0000, v24
	v_mul_f32_e32 v25, v13, v25
	v_and_b32_e32 v9, 0xffff0000, v26
	v_fmac_f32_e32 v25, v12, v24
	v_and_b32_e32 v8, 0xffff0000, v8
	v_fmac_f32_e32 v25, v15, v9
	v_fmac_f32_e32 v25, v16, v8
	ds_bpermute_b32 v8, v18, v25
	s_waitcnt lgkmcnt(0)
	v_add_f32_e32 v8, v25, v8
	ds_bpermute_b32 v9, v19, v8
	s_waitcnt lgkmcnt(0)
	v_add_f32_e32 v8, v8, v9
	ds_bpermute_b32 v9, v20, v8
	s_and_saveexec_b64 s[14:15], vcc
	s_cbranch_execz .LBB297_8
; %bb.26:                               ;   in Loop: Header=BB297_9 Depth=1
	v_add_u32_e32 v24, s36, v21
	v_cvt_f32_i32_e32 v24, v24
	s_waitcnt lgkmcnt(0)
	v_add_f32_e32 v8, v8, v9
	v_cmp_gt_i32_e64 s[0:1], s33, v21
	v_max_f32_e32 v9, v17, v17
	v_mul_f32_e32 v24, s28, v24
	v_cndmask_b32_e64 v24, 0, v24, s[2:3]
	v_fmac_f32_e32 v24, s29, v8
	v_cndmask_b32_e64 v8, 0, v24, s[0:1]
	ds_write_b32 v22, v8
	v_max_f32_e32 v8, v9, v24
	v_cndmask_b32_e64 v17, v17, v8, s[0:1]
	s_branch .LBB297_8
.LBB297_27:
	s_or_b64 exec, exec, s[8:9]
.LBB297_28:
	s_or_b64 exec, exec, s[30:31]
	v_xor_b32_e32 v2, 32, v10
	v_cmp_lt_i32_e32 vcc, v2, v11
	v_xor_b32_e32 v5, 16, v10
	v_max_f32_e32 v4, v17, v17
	v_cndmask_b32_e32 v2, v10, v2, vcc
	v_lshlrev_b32_e32 v3, 2, v2
	ds_bpermute_b32 v2, v3, v17
	v_cmp_lt_i32_e32 vcc, v5, v11
	v_xor_b32_e32 v6, 8, v10
	v_and_b32_e32 v16, 63, v0
	s_waitcnt lgkmcnt(0)
	v_max_f32_e32 v2, v2, v2
	v_max_f32_e32 v2, v4, v2
	v_cndmask_b32_e32 v4, v10, v5, vcc
	v_lshlrev_b32_e32 v5, 2, v4
	ds_bpermute_b32 v4, v5, v2
	v_cmp_lt_i32_e32 vcc, v6, v11
	s_waitcnt lgkmcnt(0)
	v_max_f32_e32 v4, v4, v4
	v_max_f32_e32 v4, v2, v4
	v_cndmask_b32_e32 v2, v10, v6, vcc
	v_lshlrev_b32_e32 v7, 2, v2
	ds_bpermute_b32 v6, v7, v4
	v_cmp_eq_u32_e32 vcc, 0, v16
	v_lshlrev_b32_e32 v2, 2, v1
	s_and_saveexec_b64 s[0:1], vcc
	s_cbranch_execz .LBB297_30
; %bb.29:
	s_waitcnt lgkmcnt(0)
	v_max_f32_e32 v6, v6, v6
	v_max_f32_e32 v4, v4, v4
	;; [unrolled: 1-line block ×3, first 2 shown]
	ds_write_b32 v2, v4 offset:64
.LBB297_30:
	s_or_b64 exec, exec, s[0:1]
	v_cmp_gt_u32_e64 s[0:1], 2, v16
	v_mov_b32_e32 v8, 0xff7fffff
	v_lshlrev_b32_e32 v4, 2, v16
	s_waitcnt lgkmcnt(0)
	s_barrier
	s_and_saveexec_b64 s[2:3], s[0:1]
	s_cbranch_execz .LBB297_32
; %bb.31:
	ds_read_b32 v8, v4 offset:64
.LBB297_32:
	s_or_b64 exec, exec, s[2:3]
	v_xor_b32_e32 v6, 1, v10
	v_cmp_lt_i32_e64 s[2:3], v6, v11
	v_lshlrev_b32_e32 v12, 2, v10
	s_nop 0
	v_cndmask_b32_e64 v6, v10, v6, s[2:3]
	v_lshlrev_b32_e32 v6, 2, v6
	s_waitcnt lgkmcnt(0)
	ds_bpermute_b32 v9, v6, v8
	v_max_f32_e32 v8, v8, v8
	s_lshl_b32 s2, s19, 3
	s_min_i32 s30, s2, s33
	v_cmp_gt_i32_e64 s[2:3], s30, v0
	s_waitcnt lgkmcnt(0)
	v_max_f32_e32 v9, v9, v9
	v_max_f32_e32 v9, v8, v9
	v_and_b32_e32 v8, 0xffffff00, v12
	ds_bpermute_b32 v12, v8, v9
	v_mov_b32_e32 v9, 0
	s_and_saveexec_b64 s[14:15], s[2:3]
	s_cbranch_execz .LBB297_36
; %bb.33:
	v_mov_b32_e32 v9, 0x50
	v_lshl_add_u32 v13, v0, 2, v9
	s_mov_b64 s[28:29], 0
	v_mov_b32_e32 v9, 0
	v_mov_b32_e32 v15, v0
.LBB297_34:                             ; =>This Inner Loop Header: Depth=1
	ds_read_b32 v17, v13
	v_add_u32_e32 v15, 0x80, v15
	v_cmp_le_i32_e64 s[8:9], s30, v15
	s_or_b64 s[28:29], s[8:9], s[28:29]
	s_waitcnt lgkmcnt(0)
	v_sub_f32_e32 v17, v17, v12
	v_mul_f32_e32 v17, 0x3fb8aa3b, v17
	v_exp_f32_e32 v17, v17
	ds_write_b32 v13, v17
	v_add_f32_e32 v9, v9, v17
	v_add_u32_e32 v13, 0x200, v13
	s_andn2_b64 exec, exec, s[28:29]
	s_cbranch_execnz .LBB297_34
; %bb.35:
	s_or_b64 exec, exec, s[28:29]
.LBB297_36:
	s_or_b64 exec, exec, s[14:15]
	ds_bpermute_b32 v3, v3, v9
	s_waitcnt lgkmcnt(0)
	v_add_f32_e32 v3, v9, v3
	ds_bpermute_b32 v5, v5, v3
	s_waitcnt lgkmcnt(0)
	v_add_f32_e32 v3, v3, v5
	ds_bpermute_b32 v5, v7, v3
	v_xor_b32_e32 v7, 4, v10
	v_cmp_lt_i32_e64 s[8:9], v7, v11
	s_waitcnt lgkmcnt(0)
	v_add_f32_e32 v3, v3, v5
	v_cndmask_b32_e64 v7, v10, v7, s[8:9]
	v_lshlrev_b32_e32 v7, 2, v7
	ds_bpermute_b32 v5, v7, v3
	v_xor_b32_e32 v7, 2, v10
	v_cmp_lt_i32_e64 s[8:9], v7, v11
	s_waitcnt lgkmcnt(0)
	v_add_f32_e32 v3, v3, v5
	v_cndmask_b32_e64 v7, v10, v7, s[8:9]
	v_lshlrev_b32_e32 v5, 2, v7
	ds_bpermute_b32 v5, v5, v3
	s_waitcnt lgkmcnt(0)
	v_add_f32_e32 v3, v3, v5
	ds_bpermute_b32 v5, v6, v3
	s_waitcnt lgkmcnt(0)
	v_add_f32_e32 v3, v3, v5
	s_and_saveexec_b64 s[8:9], vcc
	s_cbranch_execz .LBB297_38
; %bb.37:
	ds_write_b32 v2, v3 offset:72
.LBB297_38:
	s_or_b64 exec, exec, s[8:9]
	s_waitcnt lgkmcnt(0)
	s_barrier
	s_and_saveexec_b64 s[8:9], s[0:1]
	s_cbranch_execz .LBB297_40
; %bb.39:
	ds_read_b32 v3, v4 offset:72
.LBB297_40:
	s_or_b64 exec, exec, s[8:9]
	s_waitcnt lgkmcnt(0)
	ds_bpermute_b32 v2, v6, v3
	s_waitcnt lgkmcnt(0)
	v_add_f32_e32 v2, v3, v2
	ds_bpermute_b32 v2, v8, v2
	s_and_saveexec_b64 s[0:1], s[2:3]
	s_cbranch_execz .LBB297_53
; %bb.41:
	s_waitcnt lgkmcnt(0)
	v_add_f32_e32 v2, 0x358637bd, v2
	v_div_scale_f32 v3, s[2:3], v2, v2, 1.0
	v_rcp_f32_e32 v4, v3
	v_div_scale_f32 v5, vcc, 1.0, v2, 1.0
	s_movk_i32 s2, 0x7f
	v_fma_f32 v6, -v3, v4, 1.0
	v_fmac_f32_e32 v4, v6, v4
	v_mul_f32_e32 v6, v5, v4
	v_fma_f32 v7, -v3, v6, v5
	v_fmac_f32_e32 v6, v7, v4
	v_fma_f32 v3, -v3, v6, v5
	v_div_fmas_f32 v3, v3, v4, v6
	v_xad_u32 v4, v0, -1, s30
	v_div_fixup_f32 v2, v3, v2, 1.0
	v_cmp_lt_u32_e32 vcc, s2, v4
	s_mov_b64 s[8:9], -1
	v_mov_b32_e32 v3, v0
	s_and_saveexec_b64 s[2:3], vcc
	s_cbranch_execz .LBB297_50
; %bb.42:
	v_lshrrev_b32_e32 v4, 7, v4
	v_add_u32_e32 v6, -1, v4
	v_lshrrev_b32_e32 v5, 1, v6
	v_mov_b32_e32 v3, v2
	v_add_u32_e32 v5, 1, v5
	v_cmp_lt_u32_e32 vcc, 13, v6
	v_mov_b32_e32 v8, 0
	s_and_saveexec_b64 s[8:9], vcc
	s_cbranch_execz .LBB297_46
; %bb.43:
	v_mov_b32_e32 v7, 0x50
	v_and_b32_e32 v6, -8, v5
	v_lshl_add_u32 v7, v0, 2, v7
	s_mov_b32 s28, 0
	s_mov_b64 s[14:15], 0
.LBB297_44:                             ; =>This Inner Loop Header: Depth=1
	ds_read2st64_b32 v[8:9], v7 offset1:2
	ds_read2st64_b32 v[10:11], v7 offset0:4 offset1:6
	ds_read2st64_b32 v[12:13], v7 offset0:8 offset1:10
	;; [unrolled: 1-line block ×3, first 2 shown]
	v_add_u32_e32 v6, -8, v6
	s_waitcnt lgkmcnt(3)
	v_pk_mul_f32 v[8:9], v[2:3], v[8:9]
	s_waitcnt lgkmcnt(2)
	v_pk_mul_f32 v[10:11], v[2:3], v[10:11]
	ds_write2st64_b32 v7, v8, v9 offset1:2
	ds_write2st64_b32 v7, v10, v11 offset0:4 offset1:6
	ds_read2st64_b32 v[10:11], v7 offset0:16 offset1:18
	s_waitcnt lgkmcnt(4)
	v_pk_mul_f32 v[8:9], v[2:3], v[12:13]
	ds_write2st64_b32 v7, v8, v9 offset0:8 offset1:10
	s_waitcnt lgkmcnt(4)
	v_pk_mul_f32 v[8:9], v[2:3], v[18:19]
	ds_write2st64_b32 v7, v8, v9 offset0:12 offset1:14
	ds_read2st64_b32 v[8:9], v7 offset0:20 offset1:22
	s_waitcnt lgkmcnt(3)
	v_pk_mul_f32 v[10:11], v[2:3], v[10:11]
	ds_read2st64_b32 v[12:13], v7 offset0:24 offset1:26
	ds_write2st64_b32 v7, v10, v11 offset0:16 offset1:18
	ds_read2st64_b32 v[10:11], v7 offset0:28 offset1:30
	s_waitcnt lgkmcnt(3)
	v_pk_mul_f32 v[8:9], v[2:3], v[8:9]
	ds_write2st64_b32 v7, v8, v9 offset0:20 offset1:22
	s_waitcnt lgkmcnt(3)
	v_pk_mul_f32 v[8:9], v[2:3], v[12:13]
	ds_write2st64_b32 v7, v8, v9 offset0:24 offset1:26
	s_waitcnt lgkmcnt(2)
	v_pk_mul_f32 v[8:9], v[2:3], v[10:11]
	s_add_i32 s28, s28, 16
	v_cmp_eq_u32_e32 vcc, 0, v6
	ds_write2st64_b32 v7, v8, v9 offset0:28 offset1:30
	v_add_u32_e32 v7, 0x2000, v7
	s_or_b64 s[14:15], vcc, s[14:15]
	v_mov_b32_e32 v8, s28
	s_andn2_b64 exec, exec, s[14:15]
	s_cbranch_execnz .LBB297_44
; %bb.45:
	s_or_b64 exec, exec, s[14:15]
.LBB297_46:
	s_or_b64 exec, exec, s[8:9]
	v_and_b32_e32 v5, 7, v5
	v_cmp_ne_u32_e32 vcc, 0, v5
	s_and_saveexec_b64 s[8:9], vcc
	s_cbranch_execz .LBB297_49
; %bb.47:
	v_lshlrev_b32_e32 v6, 9, v8
	v_lshlrev_b32_e32 v7, 2, v0
	s_movk_i32 s14, 0x50
	v_add3_u32 v6, v6, v7, s14
	s_mov_b64 s[14:15], 0
.LBB297_48:                             ; =>This Inner Loop Header: Depth=1
	ds_read2st64_b32 v[8:9], v6 offset1:2
	v_add_u32_e32 v5, -1, v5
	v_cmp_eq_u32_e32 vcc, 0, v5
	s_or_b64 s[14:15], vcc, s[14:15]
	s_waitcnt lgkmcnt(0)
	v_pk_mul_f32 v[8:9], v[2:3], v[8:9]
	ds_write2st64_b32 v6, v8, v9 offset1:2
	v_add_u32_e32 v6, 0x400, v6
	s_andn2_b64 exec, exec, s[14:15]
	s_cbranch_execnz .LBB297_48
.LBB297_49:
	s_or_b64 exec, exec, s[8:9]
	v_add_u32_e32 v4, 1, v4
	v_and_b32_e32 v5, 0x3fffffe, v4
	v_cmp_ne_u32_e32 vcc, v4, v5
	v_lshl_add_u32 v3, v5, 7, v0
	s_orn2_b64 s[8:9], vcc, exec
.LBB297_50:
	s_or_b64 exec, exec, s[2:3]
	s_and_b64 exec, exec, s[8:9]
	s_cbranch_execz .LBB297_53
; %bb.51:
	v_mov_b32_e32 v4, 0x50
	v_lshl_add_u32 v4, v3, 2, v4
	s_mov_b64 s[2:3], 0
.LBB297_52:                             ; =>This Inner Loop Header: Depth=1
	ds_read_b32 v5, v4
	v_add_u32_e32 v3, 0x80, v3
	v_cmp_le_i32_e32 vcc, s30, v3
	s_or_b64 s[2:3], vcc, s[2:3]
	s_waitcnt lgkmcnt(0)
	v_mul_f32_e32 v5, v2, v5
	ds_write_b32 v4, v5
	v_add_u32_e32 v4, 0x200, v4
	s_andn2_b64 exec, exec, s[2:3]
	s_cbranch_execnz .LBB297_52
.LBB297_53:
	s_or_b64 exec, exec, s[0:1]
	v_mov_b32_e32 v10, 0
	s_waitcnt lgkmcnt(0)
	s_barrier
	s_and_saveexec_b64 s[2:3], s[6:7]
	s_cbranch_execz .LBB297_157
; %bb.54:
	s_ashr_i32 s1, s12, 31
	s_add_u32 s0, s26, s12
	s_addc_u32 s1, s27, s1
	v_lshlrev_b32_e32 v10, 3, v16
	v_mov_b32_e32 v11, 0
	v_lshl_add_u64 v[12:13], s[0:1], 0, v[10:11]
	s_add_i32 s15, s19, -1
	s_lshl_b64 s[0:1], s[24:25], 2
	s_add_u32 s0, s22, s0
	v_mov_b32_e32 v2, 0x50
	v_and_b32_e32 v10, 60, v14
	s_addc_u32 s1, s23, s1
	v_cmp_gt_u32_e32 vcc, 32, v16
	s_mov_b32 s14, s13
	v_lshl_or_b32 v17, v1, 3, 7
	v_lshl_add_u32 v18, v1, 5, v2
	v_lshl_add_u64 v[14:15], s[0:1], 0, v[10:11]
	s_mov_b64 s[6:7], 0
	s_mov_b32 s22, 0x7f800000
	s_movk_i32 s23, 0x7fff
	v_mov_b32_e32 v10, 0
	s_branch .LBB297_57
.LBB297_55:                             ;   in Loop: Header=BB297_57 Depth=1
	s_or_b64 exec, exec, s[12:13]
	v_and_b32_e32 v7, 0xffff0000, v6
	v_and_b32_e32 v6, 0xffff0000, v8
	;; [unrolled: 1-line block ×8, first 2 shown]
	v_pk_add_f32 v[2:3], v[4:5], v[8:9]
	v_pk_add_f32 v[4:5], v[22:23], v[6:7]
	v_add_f32_e32 v2, v2, v3
	v_add_f32_e32 v2, v2, v4
	;; [unrolled: 1-line block ×4, first 2 shown]
.LBB297_56:                             ;   in Loop: Header=BB297_57 Depth=1
	s_or_b64 exec, exec, s[8:9]
	v_add_u32_e32 v1, 2, v1
	v_cmp_le_i32_e64 s[0:1], s19, v1
	v_add_u32_e32 v17, 16, v17
	v_add_u32_e32 v18, 64, v18
	s_or_b64 s[6:7], s[0:1], s[6:7]
	v_lshl_add_u64 v[14:15], v[14:15], 0, 8
	s_andn2_b64 exec, exec, s[6:7]
	s_cbranch_execz .LBB297_156
.LBB297_57:                             ; =>This Inner Loop Header: Depth=1
	global_load_dword v23, v[14:15], off
	ds_read2_b64 v[6:9], v18 offset1:1
	ds_read2_b64 v[2:5], v18 offset0:2 offset1:3
                                        ; implicit-def: $vgpr22
	s_waitcnt lgkmcnt(1)
	v_and_b32_e32 v19, 0x7f800000, v6
	v_cmp_ne_u32_e64 s[0:1], s22, v19
	s_and_saveexec_b64 s[8:9], s[0:1]
	s_xor_b64 s[0:1], exec, s[8:9]
; %bb.58:                               ;   in Loop: Header=BB297_57 Depth=1
	v_bfe_u32 v19, v6, 16, 1
	v_add3_u32 v22, v6, v19, s23
; %bb.59:                               ;   in Loop: Header=BB297_57 Depth=1
	s_andn2_saveexec_b64 s[8:9], s[0:1]
; %bb.60:                               ;   in Loop: Header=BB297_57 Depth=1
	v_or_b32_e32 v19, 0x10000, v6
	v_cmp_eq_u32_sdwa s[0:1], v6, v11 src0_sel:WORD_0 src1_sel:DWORD
	s_nop 1
	v_cndmask_b32_e64 v22, v19, v6, s[0:1]
; %bb.61:                               ;   in Loop: Header=BB297_57 Depth=1
	s_or_b64 exec, exec, s[8:9]
	v_and_b32_e32 v6, 0x7f800000, v7
	v_cmp_ne_u32_e64 s[0:1], s22, v6
                                        ; implicit-def: $vgpr21
	s_and_saveexec_b64 s[8:9], s[0:1]
	s_xor_b64 s[0:1], exec, s[8:9]
; %bb.62:                               ;   in Loop: Header=BB297_57 Depth=1
	v_bfe_u32 v6, v7, 16, 1
	v_add3_u32 v21, v7, v6, s23
; %bb.63:                               ;   in Loop: Header=BB297_57 Depth=1
	s_andn2_saveexec_b64 s[8:9], s[0:1]
; %bb.64:                               ;   in Loop: Header=BB297_57 Depth=1
	v_or_b32_e32 v6, 0x10000, v7
	v_cmp_eq_u32_sdwa s[0:1], v7, v11 src0_sel:WORD_0 src1_sel:DWORD
	s_nop 1
	v_cndmask_b32_e64 v21, v6, v7, s[0:1]
; %bb.65:                               ;   in Loop: Header=BB297_57 Depth=1
	s_or_b64 exec, exec, s[8:9]
	v_and_b32_e32 v6, 0x7f800000, v8
	v_cmp_ne_u32_e64 s[0:1], s22, v6
                                        ; implicit-def: $vgpr20
	s_and_saveexec_b64 s[8:9], s[0:1]
	s_xor_b64 s[0:1], exec, s[8:9]
; %bb.66:                               ;   in Loop: Header=BB297_57 Depth=1
	v_bfe_u32 v6, v8, 16, 1
	v_add3_u32 v20, v8, v6, s23
; %bb.67:                               ;   in Loop: Header=BB297_57 Depth=1
	s_andn2_saveexec_b64 s[8:9], s[0:1]
; %bb.68:                               ;   in Loop: Header=BB297_57 Depth=1
	v_or_b32_e32 v6, 0x10000, v8
	v_cmp_eq_u32_sdwa s[0:1], v8, v11 src0_sel:WORD_0 src1_sel:DWORD
	s_nop 1
	v_cndmask_b32_e64 v20, v6, v8, s[0:1]
; %bb.69:                               ;   in Loop: Header=BB297_57 Depth=1
	s_or_b64 exec, exec, s[8:9]
	v_and_b32_e32 v6, 0x7f800000, v9
	v_cmp_ne_u32_e64 s[0:1], s22, v6
                                        ; implicit-def: $vgpr19
	s_and_saveexec_b64 s[8:9], s[0:1]
	s_xor_b64 s[0:1], exec, s[8:9]
; %bb.70:                               ;   in Loop: Header=BB297_57 Depth=1
	v_bfe_u32 v6, v9, 16, 1
	v_add3_u32 v19, v9, v6, s23
                                        ; implicit-def: $vgpr6_vgpr7_vgpr8_vgpr9
; %bb.71:                               ;   in Loop: Header=BB297_57 Depth=1
	s_andn2_saveexec_b64 s[8:9], s[0:1]
; %bb.72:                               ;   in Loop: Header=BB297_57 Depth=1
	v_or_b32_e32 v6, 0x10000, v9
	v_cmp_eq_u32_sdwa s[0:1], v9, v11 src0_sel:WORD_0 src1_sel:DWORD
	s_nop 1
	v_cndmask_b32_e64 v19, v6, v9, s[0:1]
; %bb.73:                               ;   in Loop: Header=BB297_57 Depth=1
	s_or_b64 exec, exec, s[8:9]
	s_waitcnt lgkmcnt(0)
	v_and_b32_e32 v6, 0x7f800000, v2
	v_cmp_ne_u32_e64 s[0:1], s22, v6
                                        ; implicit-def: $vgpr9
	s_and_saveexec_b64 s[8:9], s[0:1]
	s_xor_b64 s[0:1], exec, s[8:9]
; %bb.74:                               ;   in Loop: Header=BB297_57 Depth=1
	v_bfe_u32 v6, v2, 16, 1
	v_add3_u32 v9, v2, v6, s23
; %bb.75:                               ;   in Loop: Header=BB297_57 Depth=1
	s_andn2_saveexec_b64 s[8:9], s[0:1]
; %bb.76:                               ;   in Loop: Header=BB297_57 Depth=1
	v_or_b32_e32 v6, 0x10000, v2
	v_cmp_eq_u32_sdwa s[0:1], v2, v11 src0_sel:WORD_0 src1_sel:DWORD
	s_nop 1
	v_cndmask_b32_e64 v9, v6, v2, s[0:1]
; %bb.77:                               ;   in Loop: Header=BB297_57 Depth=1
	s_or_b64 exec, exec, s[8:9]
	v_and_b32_e32 v2, 0x7f800000, v3
	v_cmp_ne_u32_e64 s[0:1], s22, v2
                                        ; implicit-def: $vgpr8
	s_and_saveexec_b64 s[8:9], s[0:1]
	s_xor_b64 s[0:1], exec, s[8:9]
; %bb.78:                               ;   in Loop: Header=BB297_57 Depth=1
	v_bfe_u32 v2, v3, 16, 1
	v_add3_u32 v8, v3, v2, s23
; %bb.79:                               ;   in Loop: Header=BB297_57 Depth=1
	s_andn2_saveexec_b64 s[8:9], s[0:1]
; %bb.80:                               ;   in Loop: Header=BB297_57 Depth=1
	v_or_b32_e32 v2, 0x10000, v3
	v_cmp_eq_u32_sdwa s[0:1], v3, v11 src0_sel:WORD_0 src1_sel:DWORD
	s_nop 1
	v_cndmask_b32_e64 v8, v2, v3, s[0:1]
; %bb.81:                               ;   in Loop: Header=BB297_57 Depth=1
	s_or_b64 exec, exec, s[8:9]
	v_and_b32_e32 v2, 0x7f800000, v4
	v_cmp_ne_u32_e64 s[0:1], s22, v2
                                        ; implicit-def: $vgpr7
	s_and_saveexec_b64 s[8:9], s[0:1]
	s_xor_b64 s[0:1], exec, s[8:9]
; %bb.82:                               ;   in Loop: Header=BB297_57 Depth=1
	v_bfe_u32 v2, v4, 16, 1
	v_add3_u32 v7, v4, v2, s23
; %bb.83:                               ;   in Loop: Header=BB297_57 Depth=1
	s_andn2_saveexec_b64 s[8:9], s[0:1]
; %bb.84:                               ;   in Loop: Header=BB297_57 Depth=1
	v_or_b32_e32 v2, 0x10000, v4
	v_cmp_eq_u32_sdwa s[0:1], v4, v11 src0_sel:WORD_0 src1_sel:DWORD
	s_nop 1
	v_cndmask_b32_e64 v7, v2, v4, s[0:1]
; %bb.85:                               ;   in Loop: Header=BB297_57 Depth=1
	s_or_b64 exec, exec, s[8:9]
	v_and_b32_e32 v2, 0x7f800000, v5
	v_cmp_ne_u32_e64 s[0:1], s22, v2
                                        ; implicit-def: $vgpr6
	s_and_saveexec_b64 s[8:9], s[0:1]
	s_xor_b64 s[0:1], exec, s[8:9]
	s_cbranch_execnz .LBB297_88
; %bb.86:                               ;   in Loop: Header=BB297_57 Depth=1
	s_andn2_saveexec_b64 s[8:9], s[0:1]
	s_cbranch_execnz .LBB297_89
.LBB297_87:                             ;   in Loop: Header=BB297_57 Depth=1
	s_or_b64 exec, exec, s[8:9]
	s_and_saveexec_b64 s[8:9], vcc
	s_cbranch_execz .LBB297_56
	s_branch .LBB297_90
.LBB297_88:                             ;   in Loop: Header=BB297_57 Depth=1
	v_bfe_u32 v2, v5, 16, 1
	v_add3_u32 v6, v5, v2, s23
                                        ; implicit-def: $vgpr2_vgpr3_vgpr4_vgpr5
	s_andn2_saveexec_b64 s[8:9], s[0:1]
	s_cbranch_execz .LBB297_87
.LBB297_89:                             ;   in Loop: Header=BB297_57 Depth=1
	v_or_b32_e32 v2, 0x10000, v5
	v_cmp_eq_u32_sdwa s[0:1], v5, v11 src0_sel:WORD_0 src1_sel:DWORD
	s_nop 1
	v_cndmask_b32_e64 v6, v2, v5, s[0:1]
	s_or_b64 exec, exec, s[8:9]
	s_and_saveexec_b64 s[8:9], vcc
	s_cbranch_execz .LBB297_56
.LBB297_90:                             ;   in Loop: Header=BB297_57 Depth=1
	s_waitcnt vmcnt(0)
	v_mad_i64_i32 v[2:3], s[0:1], v23, s14, v[12:13]
	global_load_dwordx2 v[2:3], v[2:3], off
	s_load_dword s24, s[10:11], 0x0
	s_waitcnt vmcnt(0)
	v_and_b32_e32 v4, 0xff, v2
	v_cvt_f32_fp8_sdwa v4, v4 src0_sel:BYTE_0
	s_waitcnt lgkmcnt(0)
	v_mul_f32_e32 v5, s24, v4
	v_and_b32_e32 v4, 0x7f800000, v5
	v_cmp_ne_u32_e64 s[0:1], s22, v4
                                        ; implicit-def: $vgpr4
	s_and_saveexec_b64 s[12:13], s[0:1]
	s_xor_b64 s[0:1], exec, s[12:13]
; %bb.91:                               ;   in Loop: Header=BB297_57 Depth=1
	v_bfe_u32 v4, v5, 16, 1
	v_add3_u32 v4, v5, v4, s23
                                        ; implicit-def: $vgpr5
; %bb.92:                               ;   in Loop: Header=BB297_57 Depth=1
	s_andn2_saveexec_b64 s[12:13], s[0:1]
; %bb.93:                               ;   in Loop: Header=BB297_57 Depth=1
	v_or_b32_e32 v4, 0x10000, v5
	v_cmp_eq_u32_sdwa s[0:1], v5, v11 src0_sel:WORD_0 src1_sel:DWORD
	s_nop 1
	v_cndmask_b32_e64 v4, v4, v5, s[0:1]
; %bb.94:                               ;   in Loop: Header=BB297_57 Depth=1
	s_or_b64 exec, exec, s[12:13]
	v_bfe_u32 v5, v2, 8, 8
	v_cvt_f32_fp8_sdwa v5, v5 src0_sel:BYTE_0
	s_nop 0
	v_mul_f32_e32 v23, s24, v5
	v_and_b32_e32 v5, 0x7f800000, v23
	v_cmp_ne_u32_e64 s[0:1], s22, v5
                                        ; implicit-def: $vgpr5
	s_and_saveexec_b64 s[12:13], s[0:1]
	s_xor_b64 s[0:1], exec, s[12:13]
; %bb.95:                               ;   in Loop: Header=BB297_57 Depth=1
	v_bfe_u32 v5, v23, 16, 1
	v_add3_u32 v5, v23, v5, s23
                                        ; implicit-def: $vgpr23
; %bb.96:                               ;   in Loop: Header=BB297_57 Depth=1
	s_andn2_saveexec_b64 s[12:13], s[0:1]
; %bb.97:                               ;   in Loop: Header=BB297_57 Depth=1
	v_or_b32_e32 v5, 0x10000, v23
	v_cmp_eq_u32_sdwa s[0:1], v23, v11 src0_sel:WORD_0 src1_sel:DWORD
	s_nop 1
	v_cndmask_b32_e64 v5, v5, v23, s[0:1]
; %bb.98:                               ;   in Loop: Header=BB297_57 Depth=1
	s_or_b64 exec, exec, s[12:13]
	v_bfe_u32 v23, v2, 16, 8
	v_cvt_f32_fp8_sdwa v23, v23 src0_sel:BYTE_0
                                        ; implicit-def: $vgpr25
	s_nop 0
	v_mul_f32_e32 v23, s24, v23
	v_and_b32_e32 v24, 0x7f800000, v23
	v_cmp_ne_u32_e64 s[0:1], s22, v24
	s_and_saveexec_b64 s[12:13], s[0:1]
	s_xor_b64 s[0:1], exec, s[12:13]
; %bb.99:                               ;   in Loop: Header=BB297_57 Depth=1
	v_bfe_u32 v24, v23, 16, 1
	v_add3_u32 v25, v23, v24, s23
                                        ; implicit-def: $vgpr23
; %bb.100:                              ;   in Loop: Header=BB297_57 Depth=1
	s_andn2_saveexec_b64 s[12:13], s[0:1]
; %bb.101:                              ;   in Loop: Header=BB297_57 Depth=1
	v_or_b32_e32 v24, 0x10000, v23
	v_cmp_eq_u32_sdwa s[0:1], v23, v11 src0_sel:WORD_0 src1_sel:DWORD
	s_nop 1
	v_cndmask_b32_e64 v25, v24, v23, s[0:1]
; %bb.102:                              ;   in Loop: Header=BB297_57 Depth=1
	s_or_b64 exec, exec, s[12:13]
	v_lshrrev_b32_e32 v2, 24, v2
	v_cvt_f32_fp8_sdwa v2, v2 src0_sel:BYTE_0
	s_nop 0
	v_mul_f32_e32 v23, s24, v2
	v_and_b32_e32 v2, 0x7f800000, v23
	v_cmp_ne_u32_e64 s[0:1], s22, v2
                                        ; implicit-def: $vgpr2
	s_and_saveexec_b64 s[12:13], s[0:1]
	s_xor_b64 s[0:1], exec, s[12:13]
; %bb.103:                              ;   in Loop: Header=BB297_57 Depth=1
	v_bfe_u32 v2, v23, 16, 1
	v_add3_u32 v2, v23, v2, s23
                                        ; implicit-def: $vgpr23
; %bb.104:                              ;   in Loop: Header=BB297_57 Depth=1
	s_andn2_saveexec_b64 s[12:13], s[0:1]
; %bb.105:                              ;   in Loop: Header=BB297_57 Depth=1
	v_or_b32_e32 v2, 0x10000, v23
	v_cmp_eq_u32_sdwa s[0:1], v23, v11 src0_sel:WORD_0 src1_sel:DWORD
	s_nop 1
	v_cndmask_b32_e64 v2, v2, v23, s[0:1]
; %bb.106:                              ;   in Loop: Header=BB297_57 Depth=1
	s_or_b64 exec, exec, s[12:13]
	v_and_b32_e32 v23, 0xff, v3
	v_cvt_f32_fp8_sdwa v23, v23 src0_sel:BYTE_0
	s_nop 0
	v_mul_f32_e32 v23, s24, v23
	v_and_b32_e32 v24, 0x7f800000, v23
	v_cmp_ne_u32_e64 s[0:1], s22, v24
                                        ; implicit-def: $vgpr24
	s_and_saveexec_b64 s[12:13], s[0:1]
	s_xor_b64 s[0:1], exec, s[12:13]
; %bb.107:                              ;   in Loop: Header=BB297_57 Depth=1
	v_bfe_u32 v24, v23, 16, 1
	v_add3_u32 v24, v23, v24, s23
                                        ; implicit-def: $vgpr23
; %bb.108:                              ;   in Loop: Header=BB297_57 Depth=1
	s_andn2_saveexec_b64 s[12:13], s[0:1]
; %bb.109:                              ;   in Loop: Header=BB297_57 Depth=1
	v_or_b32_e32 v24, 0x10000, v23
	v_cmp_eq_u32_sdwa s[0:1], v23, v11 src0_sel:WORD_0 src1_sel:DWORD
	s_nop 1
	v_cndmask_b32_e64 v24, v24, v23, s[0:1]
; %bb.110:                              ;   in Loop: Header=BB297_57 Depth=1
	s_or_b64 exec, exec, s[12:13]
	v_bfe_u32 v23, v3, 8, 8
	v_cvt_f32_fp8_sdwa v23, v23 src0_sel:BYTE_0
	s_nop 0
	v_mul_f32_e32 v26, s24, v23
	v_and_b32_e32 v23, 0x7f800000, v26
	v_cmp_ne_u32_e64 s[0:1], s22, v23
                                        ; implicit-def: $vgpr23
	s_and_saveexec_b64 s[12:13], s[0:1]
	s_xor_b64 s[0:1], exec, s[12:13]
; %bb.111:                              ;   in Loop: Header=BB297_57 Depth=1
	v_bfe_u32 v23, v26, 16, 1
	v_add3_u32 v23, v26, v23, s23
                                        ; implicit-def: $vgpr26
; %bb.112:                              ;   in Loop: Header=BB297_57 Depth=1
	s_andn2_saveexec_b64 s[12:13], s[0:1]
; %bb.113:                              ;   in Loop: Header=BB297_57 Depth=1
	v_or_b32_e32 v23, 0x10000, v26
	v_cmp_eq_u32_sdwa s[0:1], v26, v11 src0_sel:WORD_0 src1_sel:DWORD
	s_nop 1
	v_cndmask_b32_e64 v23, v23, v26, s[0:1]
; %bb.114:                              ;   in Loop: Header=BB297_57 Depth=1
	s_or_b64 exec, exec, s[12:13]
	v_bfe_u32 v26, v3, 16, 8
	v_cvt_f32_fp8_sdwa v26, v26 src0_sel:BYTE_0
	s_nop 0
	v_mul_f32_e32 v26, s24, v26
	v_and_b32_e32 v27, 0x7f800000, v26
	v_cmp_ne_u32_e64 s[0:1], s22, v27
                                        ; implicit-def: $vgpr27
	s_and_saveexec_b64 s[12:13], s[0:1]
	s_xor_b64 s[0:1], exec, s[12:13]
; %bb.115:                              ;   in Loop: Header=BB297_57 Depth=1
	v_bfe_u32 v27, v26, 16, 1
	v_add3_u32 v27, v26, v27, s23
                                        ; implicit-def: $vgpr26
; %bb.116:                              ;   in Loop: Header=BB297_57 Depth=1
	s_andn2_saveexec_b64 s[12:13], s[0:1]
; %bb.117:                              ;   in Loop: Header=BB297_57 Depth=1
	v_or_b32_e32 v27, 0x10000, v26
	v_cmp_eq_u32_sdwa s[0:1], v26, v11 src0_sel:WORD_0 src1_sel:DWORD
	s_nop 1
	v_cndmask_b32_e64 v27, v27, v26, s[0:1]
; %bb.118:                              ;   in Loop: Header=BB297_57 Depth=1
	s_or_b64 exec, exec, s[12:13]
	v_lshrrev_b32_e32 v3, 24, v3
	v_cvt_f32_fp8_sdwa v3, v3 src0_sel:BYTE_0
                                        ; implicit-def: $vgpr28
	s_nop 0
	v_mul_f32_e32 v3, s24, v3
	v_and_b32_e32 v26, 0x7f800000, v3
	v_cmp_ne_u32_e64 s[0:1], s22, v26
	s_and_saveexec_b64 s[12:13], s[0:1]
	s_xor_b64 s[0:1], exec, s[12:13]
; %bb.119:                              ;   in Loop: Header=BB297_57 Depth=1
	v_bfe_u32 v26, v3, 16, 1
	v_add3_u32 v28, v3, v26, s23
                                        ; implicit-def: $vgpr3
; %bb.120:                              ;   in Loop: Header=BB297_57 Depth=1
	s_andn2_saveexec_b64 s[12:13], s[0:1]
; %bb.121:                              ;   in Loop: Header=BB297_57 Depth=1
	v_or_b32_e32 v26, 0x10000, v3
	v_cmp_eq_u32_sdwa s[0:1], v3, v11 src0_sel:WORD_0 src1_sel:DWORD
	s_nop 1
	v_cndmask_b32_e64 v28, v26, v3, s[0:1]
; %bb.122:                              ;   in Loop: Header=BB297_57 Depth=1
	s_or_b64 exec, exec, s[12:13]
	v_lshrrev_b32_e32 v23, 16, v23
	v_lshrrev_b32_e32 v24, 16, v24
	;; [unrolled: 1-line block ×8, first 2 shown]
	v_cmp_eq_u32_e64 s[0:1], s15, v1
	s_and_saveexec_b64 s[12:13], s[0:1]
	s_cbranch_execz .LBB297_124
; %bb.123:                              ;   in Loop: Header=BB297_57 Depth=1
	v_add_u32_e32 v27, -7, v17
	v_cmp_gt_i32_e64 s[0:1], s33, v27
	v_add_u32_e32 v27, -6, v17
	s_nop 0
	v_cndmask_b32_e64 v3, 0, v3, s[0:1]
	v_cmp_gt_i32_e64 s[0:1], s33, v27
	v_add_u32_e32 v27, -5, v17
	s_nop 0
	v_cndmask_b32_e64 v5, 0, v5, s[0:1]
	;; [unrolled: 4-line block ×6, first 2 shown]
	v_cmp_gt_i32_e64 s[0:1], s33, v27
	s_nop 1
	v_cndmask_b32_e64 v4, 0, v4, s[0:1]
	v_cmp_gt_i32_e64 s[0:1], s33, v17
	s_nop 1
	v_cndmask_b32_e64 v2, 0, v2, s[0:1]
.LBB297_124:                            ;   in Loop: Header=BB297_57 Depth=1
	s_or_b64 exec, exec, s[12:13]
	v_and_b32_e32 v22, 0xffff0000, v22
	v_lshlrev_b32_e32 v3, 16, v3
	v_mul_f32_e32 v22, v22, v3
	v_and_b32_e32 v3, 0x7f800000, v22
	v_cmp_ne_u32_e64 s[0:1], s22, v3
                                        ; implicit-def: $vgpr3
	s_and_saveexec_b64 s[12:13], s[0:1]
	s_xor_b64 s[0:1], exec, s[12:13]
; %bb.125:                              ;   in Loop: Header=BB297_57 Depth=1
	v_bfe_u32 v3, v22, 16, 1
	v_add3_u32 v3, v22, v3, s23
                                        ; implicit-def: $vgpr22
; %bb.126:                              ;   in Loop: Header=BB297_57 Depth=1
	s_andn2_saveexec_b64 s[12:13], s[0:1]
; %bb.127:                              ;   in Loop: Header=BB297_57 Depth=1
	v_or_b32_e32 v3, 0x10000, v22
	v_cmp_eq_u32_sdwa s[0:1], v22, v11 src0_sel:WORD_0 src1_sel:DWORD
	s_nop 1
	v_cndmask_b32_e64 v3, v3, v22, s[0:1]
; %bb.128:                              ;   in Loop: Header=BB297_57 Depth=1
	s_or_b64 exec, exec, s[12:13]
	v_and_b32_e32 v21, 0xffff0000, v21
	v_lshlrev_b32_e32 v5, 16, v5
	v_mul_f32_e32 v21, v21, v5
	v_and_b32_e32 v5, 0x7f800000, v21
	v_cmp_ne_u32_e64 s[0:1], s22, v5
                                        ; implicit-def: $vgpr5
	s_and_saveexec_b64 s[12:13], s[0:1]
	s_xor_b64 s[0:1], exec, s[12:13]
; %bb.129:                              ;   in Loop: Header=BB297_57 Depth=1
	v_bfe_u32 v5, v21, 16, 1
	v_add3_u32 v5, v21, v5, s23
                                        ; implicit-def: $vgpr21
; %bb.130:                              ;   in Loop: Header=BB297_57 Depth=1
	s_andn2_saveexec_b64 s[12:13], s[0:1]
; %bb.131:                              ;   in Loop: Header=BB297_57 Depth=1
	v_or_b32_e32 v5, 0x10000, v21
	v_cmp_eq_u32_sdwa s[0:1], v21, v11 src0_sel:WORD_0 src1_sel:DWORD
	s_nop 1
	v_cndmask_b32_e64 v5, v5, v21, s[0:1]
; %bb.132:                              ;   in Loop: Header=BB297_57 Depth=1
	s_or_b64 exec, exec, s[12:13]
	v_and_b32_e32 v20, 0xffff0000, v20
	v_lshlrev_b32_e32 v21, 16, v25
	v_mul_f32_e32 v21, v20, v21
	v_and_b32_e32 v20, 0x7f800000, v21
	v_cmp_ne_u32_e64 s[0:1], s22, v20
                                        ; implicit-def: $vgpr20
	s_and_saveexec_b64 s[12:13], s[0:1]
	s_xor_b64 s[0:1], exec, s[12:13]
; %bb.133:                              ;   in Loop: Header=BB297_57 Depth=1
	v_bfe_u32 v20, v21, 16, 1
	v_add3_u32 v20, v21, v20, s23
                                        ; implicit-def: $vgpr21
; %bb.134:                              ;   in Loop: Header=BB297_57 Depth=1
	s_andn2_saveexec_b64 s[12:13], s[0:1]
; %bb.135:                              ;   in Loop: Header=BB297_57 Depth=1
	v_or_b32_e32 v20, 0x10000, v21
	v_cmp_eq_u32_sdwa s[0:1], v21, v11 src0_sel:WORD_0 src1_sel:DWORD
	s_nop 1
	v_cndmask_b32_e64 v20, v20, v21, s[0:1]
; %bb.136:                              ;   in Loop: Header=BB297_57 Depth=1
	s_or_b64 exec, exec, s[12:13]
	v_and_b32_e32 v19, 0xffff0000, v19
	v_lshlrev_b32_e32 v21, 16, v26
	v_mul_f32_e32 v21, v19, v21
	v_and_b32_e32 v19, 0x7f800000, v21
	v_cmp_ne_u32_e64 s[0:1], s22, v19
                                        ; implicit-def: $vgpr19
	s_and_saveexec_b64 s[12:13], s[0:1]
	s_xor_b64 s[0:1], exec, s[12:13]
; %bb.137:                              ;   in Loop: Header=BB297_57 Depth=1
	v_bfe_u32 v19, v21, 16, 1
	v_add3_u32 v19, v21, v19, s23
                                        ; implicit-def: $vgpr21
; %bb.138:                              ;   in Loop: Header=BB297_57 Depth=1
	s_andn2_saveexec_b64 s[12:13], s[0:1]
; %bb.139:                              ;   in Loop: Header=BB297_57 Depth=1
	v_or_b32_e32 v19, 0x10000, v21
	v_cmp_eq_u32_sdwa s[0:1], v21, v11 src0_sel:WORD_0 src1_sel:DWORD
	s_nop 1
	v_cndmask_b32_e64 v19, v19, v21, s[0:1]
; %bb.140:                              ;   in Loop: Header=BB297_57 Depth=1
	s_or_b64 exec, exec, s[12:13]
	v_and_b32_e32 v9, 0xffff0000, v9
	v_lshlrev_b32_e32 v21, 16, v24
	v_mul_f32_e32 v21, v9, v21
	v_and_b32_e32 v9, 0x7f800000, v21
	v_cmp_ne_u32_e64 s[0:1], s22, v9
                                        ; implicit-def: $vgpr9
	s_and_saveexec_b64 s[12:13], s[0:1]
	s_xor_b64 s[0:1], exec, s[12:13]
; %bb.141:                              ;   in Loop: Header=BB297_57 Depth=1
	v_bfe_u32 v9, v21, 16, 1
	v_add3_u32 v9, v21, v9, s23
                                        ; implicit-def: $vgpr21
; %bb.142:                              ;   in Loop: Header=BB297_57 Depth=1
	s_andn2_saveexec_b64 s[12:13], s[0:1]
; %bb.143:                              ;   in Loop: Header=BB297_57 Depth=1
	v_or_b32_e32 v9, 0x10000, v21
	v_cmp_eq_u32_sdwa s[0:1], v21, v11 src0_sel:WORD_0 src1_sel:DWORD
	s_nop 1
	v_cndmask_b32_e64 v9, v9, v21, s[0:1]
; %bb.144:                              ;   in Loop: Header=BB297_57 Depth=1
	s_or_b64 exec, exec, s[12:13]
	v_and_b32_e32 v8, 0xffff0000, v8
	v_lshlrev_b32_e32 v21, 16, v23
	v_mul_f32_e32 v21, v8, v21
	v_and_b32_e32 v8, 0x7f800000, v21
	v_cmp_ne_u32_e64 s[0:1], s22, v8
                                        ; implicit-def: $vgpr8
	s_and_saveexec_b64 s[12:13], s[0:1]
	s_xor_b64 s[0:1], exec, s[12:13]
; %bb.145:                              ;   in Loop: Header=BB297_57 Depth=1
	v_bfe_u32 v8, v21, 16, 1
	v_add3_u32 v8, v21, v8, s23
                                        ; implicit-def: $vgpr21
; %bb.146:                              ;   in Loop: Header=BB297_57 Depth=1
	s_andn2_saveexec_b64 s[12:13], s[0:1]
; %bb.147:                              ;   in Loop: Header=BB297_57 Depth=1
	v_or_b32_e32 v8, 0x10000, v21
	v_cmp_eq_u32_sdwa s[0:1], v21, v11 src0_sel:WORD_0 src1_sel:DWORD
	s_nop 1
	v_cndmask_b32_e64 v8, v8, v21, s[0:1]
; %bb.148:                              ;   in Loop: Header=BB297_57 Depth=1
	s_or_b64 exec, exec, s[12:13]
	v_and_b32_e32 v7, 0xffff0000, v7
	v_lshlrev_b32_e32 v4, 16, v4
	v_mul_f32_e32 v7, v7, v4
	v_and_b32_e32 v4, 0x7f800000, v7
	v_cmp_ne_u32_e64 s[0:1], s22, v4
                                        ; implicit-def: $vgpr4
	s_and_saveexec_b64 s[12:13], s[0:1]
	s_xor_b64 s[0:1], exec, s[12:13]
; %bb.149:                              ;   in Loop: Header=BB297_57 Depth=1
	v_bfe_u32 v4, v7, 16, 1
	v_add3_u32 v4, v7, v4, s23
                                        ; implicit-def: $vgpr7
; %bb.150:                              ;   in Loop: Header=BB297_57 Depth=1
	s_andn2_saveexec_b64 s[12:13], s[0:1]
; %bb.151:                              ;   in Loop: Header=BB297_57 Depth=1
	v_or_b32_e32 v4, 0x10000, v7
	v_cmp_eq_u32_sdwa s[0:1], v7, v11 src0_sel:WORD_0 src1_sel:DWORD
	s_nop 1
	v_cndmask_b32_e64 v4, v4, v7, s[0:1]
; %bb.152:                              ;   in Loop: Header=BB297_57 Depth=1
	s_or_b64 exec, exec, s[12:13]
	v_and_b32_e32 v6, 0xffff0000, v6
	v_lshlrev_b32_e32 v2, 16, v2
	v_mul_f32_e32 v2, v6, v2
	v_and_b32_e32 v6, 0x7f800000, v2
	v_cmp_ne_u32_e64 s[0:1], s22, v6
                                        ; implicit-def: $vgpr6
	s_and_saveexec_b64 s[12:13], s[0:1]
	s_xor_b64 s[0:1], exec, s[12:13]
; %bb.153:                              ;   in Loop: Header=BB297_57 Depth=1
	v_bfe_u32 v6, v2, 16, 1
	v_add3_u32 v6, v2, v6, s23
                                        ; implicit-def: $vgpr2
; %bb.154:                              ;   in Loop: Header=BB297_57 Depth=1
	s_andn2_saveexec_b64 s[12:13], s[0:1]
	s_cbranch_execz .LBB297_55
; %bb.155:                              ;   in Loop: Header=BB297_57 Depth=1
	v_or_b32_e32 v6, 0x10000, v2
	v_cmp_eq_u32_sdwa s[0:1], v2, v11 src0_sel:WORD_0 src1_sel:DWORD
	s_nop 1
	v_cndmask_b32_e64 v6, v6, v2, s[0:1]
	s_branch .LBB297_55
.LBB297_156:
	s_or_b64 exec, exec, s[6:7]
.LBB297_157:
	s_or_b64 exec, exec, s[2:3]
	v_and_b32_e32 v1, 0x3c0, v0
	v_cmp_eq_u32_e64 s[0:1], 64, v1
	v_cmp_gt_u32_e32 vcc, 32, v16
	s_and_b64 s[2:3], s[0:1], vcc
	s_barrier
	s_and_saveexec_b64 s[0:1], s[2:3]
	s_cbranch_execz .LBB297_159
; %bb.158:
	v_mov_b32_e32 v1, 0x50
	v_lshl_add_u32 v1, v16, 2, v1
	ds_write_b32 v1, v10
.LBB297_159:
	s_or_b64 exec, exec, s[0:1]
	v_cmp_gt_u32_e64 s[0:1], 64, v0
	s_and_b64 s[0:1], s[0:1], vcc
	s_waitcnt lgkmcnt(0)
	s_barrier
	s_and_saveexec_b64 s[2:3], s[0:1]
	s_cbranch_execz .LBB297_161
; %bb.160:
	v_mov_b32_e32 v0, 0x50
	v_lshl_add_u32 v0, v16, 2, v0
	ds_read_b32 v0, v0
	s_waitcnt lgkmcnt(0)
	v_add_f32_e32 v10, v10, v0
.LBB297_161:
	s_or_b64 exec, exec, s[2:3]
	s_barrier
	s_and_saveexec_b64 s[2:3], s[0:1]
	s_cbranch_execz .LBB297_167
; %bb.162:
	s_mov_b32 s0, 0x7f800000
	v_and_b32_e32 v0, 0x7f800000, v10
	v_cmp_ne_u32_e32 vcc, s0, v0
                                        ; implicit-def: $vgpr0
	s_and_saveexec_b64 s[0:1], vcc
	s_xor_b64 s[0:1], exec, s[0:1]
; %bb.163:
	v_bfe_u32 v0, v10, 16, 1
	s_movk_i32 s2, 0x7fff
	v_add3_u32 v0, v10, v0, s2
                                        ; implicit-def: $vgpr10
; %bb.164:
	s_andn2_saveexec_b64 s[0:1], s[0:1]
; %bb.165:
	v_mov_b32_e32 v0, 0
	v_or_b32_e32 v1, 0x10000, v10
	v_cmp_eq_u32_sdwa vcc, v10, v0 src0_sel:WORD_0 src1_sel:DWORD
	s_nop 1
	v_cndmask_b32_e32 v0, v1, v10, vcc
; %bb.166:
	s_or_b64 exec, exec, s[0:1]
	s_mul_i32 s0, s16, s17
	s_mul_i32 s0, s0, s5
	s_lshl_b32 s0, s0, 5
	s_ashr_i32 s1, s0, 31
	s_lshl_b64 s[0:1], s[0:1], 1
	s_add_u32 s2, s20, s0
	s_mul_i32 s0, s17, s18
	s_addc_u32 s3, s21, s1
	s_ashr_i32 s1, s0, 31
	s_lshl_b64 s[0:1], s[0:1], 1
	s_add_u32 s2, s2, s0
	s_addc_u32 s3, s3, s1
	s_lshl_b32 s0, s4, 5
	s_ashr_i32 s1, s0, 31
	s_lshl_b64 s[0:1], s[0:1], 1
	s_add_u32 s0, s2, s0
	s_addc_u32 s1, s3, s1
	v_lshlrev_b32_e32 v1, 1, v16
	global_store_short_d16_hi v1, v0, s[0:1]
.LBB297_167:
	s_endpgm
	.section	.rodata,"a",@progbits
	.p2align	6, 0x0
	.amdhsa_kernel _ZN4vllm25paged_attention_v1_kernelI14__hip_bfloat16hLi32ELi8ELi128ELNS_18Fp8KVCacheDataTypeE1ELb0EEEvPT_PKS3_PKT0_S9_ifPKiSB_iPKfiiiSD_SD_iiiii
		.amdhsa_group_segment_fixed_size 80
		.amdhsa_private_segment_fixed_size 0
		.amdhsa_kernarg_size 384
		.amdhsa_user_sgpr_count 2
		.amdhsa_user_sgpr_dispatch_ptr 0
		.amdhsa_user_sgpr_queue_ptr 0
		.amdhsa_user_sgpr_kernarg_segment_ptr 1
		.amdhsa_user_sgpr_dispatch_id 0
		.amdhsa_user_sgpr_kernarg_preload_length 0
		.amdhsa_user_sgpr_kernarg_preload_offset 0
		.amdhsa_user_sgpr_private_segment_size 0
		.amdhsa_uses_dynamic_stack 0
		.amdhsa_enable_private_segment 0
		.amdhsa_system_sgpr_workgroup_id_x 1
		.amdhsa_system_sgpr_workgroup_id_y 1
		.amdhsa_system_sgpr_workgroup_id_z 1
		.amdhsa_system_sgpr_workgroup_info 0
		.amdhsa_system_vgpr_workitem_id 0
		.amdhsa_next_free_vgpr 29
		.amdhsa_next_free_sgpr 39
		.amdhsa_accum_offset 32
		.amdhsa_reserve_vcc 1
		.amdhsa_float_round_mode_32 0
		.amdhsa_float_round_mode_16_64 0
		.amdhsa_float_denorm_mode_32 3
		.amdhsa_float_denorm_mode_16_64 3
		.amdhsa_dx10_clamp 1
		.amdhsa_ieee_mode 1
		.amdhsa_fp16_overflow 0
		.amdhsa_tg_split 0
		.amdhsa_exception_fp_ieee_invalid_op 0
		.amdhsa_exception_fp_denorm_src 0
		.amdhsa_exception_fp_ieee_div_zero 0
		.amdhsa_exception_fp_ieee_overflow 0
		.amdhsa_exception_fp_ieee_underflow 0
		.amdhsa_exception_fp_ieee_inexact 0
		.amdhsa_exception_int_div_zero 0
	.end_amdhsa_kernel
	.section	.text._ZN4vllm25paged_attention_v1_kernelI14__hip_bfloat16hLi32ELi8ELi128ELNS_18Fp8KVCacheDataTypeE1ELb0EEEvPT_PKS3_PKT0_S9_ifPKiSB_iPKfiiiSD_SD_iiiii,"axG",@progbits,_ZN4vllm25paged_attention_v1_kernelI14__hip_bfloat16hLi32ELi8ELi128ELNS_18Fp8KVCacheDataTypeE1ELb0EEEvPT_PKS3_PKT0_S9_ifPKiSB_iPKfiiiSD_SD_iiiii,comdat
.Lfunc_end297:
	.size	_ZN4vllm25paged_attention_v1_kernelI14__hip_bfloat16hLi32ELi8ELi128ELNS_18Fp8KVCacheDataTypeE1ELb0EEEvPT_PKS3_PKT0_S9_ifPKiSB_iPKfiiiSD_SD_iiiii, .Lfunc_end297-_ZN4vllm25paged_attention_v1_kernelI14__hip_bfloat16hLi32ELi8ELi128ELNS_18Fp8KVCacheDataTypeE1ELb0EEEvPT_PKS3_PKT0_S9_ifPKiSB_iPKfiiiSD_SD_iiiii
                                        ; -- End function
	.section	.AMDGPU.csdata,"",@progbits
; Kernel info:
; codeLenInByte = 5956
; NumSgprs: 45
; NumVgprs: 29
; NumAgprs: 0
; TotalNumVgprs: 29
; ScratchSize: 0
; MemoryBound: 0
; FloatMode: 240
; IeeeMode: 1
; LDSByteSize: 80 bytes/workgroup (compile time only)
; SGPRBlocks: 5
; VGPRBlocks: 3
; NumSGPRsForWavesPerEU: 45
; NumVGPRsForWavesPerEU: 29
; AccumOffset: 32
; Occupancy: 8
; WaveLimiterHint : 1
; COMPUTE_PGM_RSRC2:SCRATCH_EN: 0
; COMPUTE_PGM_RSRC2:USER_SGPR: 2
; COMPUTE_PGM_RSRC2:TRAP_HANDLER: 0
; COMPUTE_PGM_RSRC2:TGID_X_EN: 1
; COMPUTE_PGM_RSRC2:TGID_Y_EN: 1
; COMPUTE_PGM_RSRC2:TGID_Z_EN: 1
; COMPUTE_PGM_RSRC2:TIDIG_COMP_CNT: 0
; COMPUTE_PGM_RSRC3_GFX90A:ACCUM_OFFSET: 7
; COMPUTE_PGM_RSRC3_GFX90A:TG_SPLIT: 0
	.section	.text._ZN4vllm25paged_attention_v1_kernelI14__hip_bfloat16hLi64ELi8ELi128ELNS_18Fp8KVCacheDataTypeE1ELb0EEEvPT_PKS3_PKT0_S9_ifPKiSB_iPKfiiiSD_SD_iiiii,"axG",@progbits,_ZN4vllm25paged_attention_v1_kernelI14__hip_bfloat16hLi64ELi8ELi128ELNS_18Fp8KVCacheDataTypeE1ELb0EEEvPT_PKS3_PKT0_S9_ifPKiSB_iPKfiiiSD_SD_iiiii,comdat
	.protected	_ZN4vllm25paged_attention_v1_kernelI14__hip_bfloat16hLi64ELi8ELi128ELNS_18Fp8KVCacheDataTypeE1ELb0EEEvPT_PKS3_PKT0_S9_ifPKiSB_iPKfiiiSD_SD_iiiii ; -- Begin function _ZN4vllm25paged_attention_v1_kernelI14__hip_bfloat16hLi64ELi8ELi128ELNS_18Fp8KVCacheDataTypeE1ELb0EEEvPT_PKS3_PKT0_S9_ifPKiSB_iPKfiiiSD_SD_iiiii
	.globl	_ZN4vllm25paged_attention_v1_kernelI14__hip_bfloat16hLi64ELi8ELi128ELNS_18Fp8KVCacheDataTypeE1ELb0EEEvPT_PKS3_PKT0_S9_ifPKiSB_iPKfiiiSD_SD_iiiii
	.p2align	8
	.type	_ZN4vllm25paged_attention_v1_kernelI14__hip_bfloat16hLi64ELi8ELi128ELNS_18Fp8KVCacheDataTypeE1ELb0EEEvPT_PKS3_PKT0_S9_ifPKiSB_iPKfiiiSD_SD_iiiii,@function
_ZN4vllm25paged_attention_v1_kernelI14__hip_bfloat16hLi64ELi8ELi128ELNS_18Fp8KVCacheDataTypeE1ELb0EEEvPT_PKS3_PKT0_S9_ifPKiSB_iPKfiiiSD_SD_iiiii: ; @_ZN4vllm25paged_attention_v1_kernelI14__hip_bfloat16hLi64ELi8ELi128ELNS_18Fp8KVCacheDataTypeE1ELb0EEEvPT_PKS3_PKT0_S9_ifPKiSB_iPKfiiiSD_SD_iiiii
; %bb.0:
	s_load_dword s5, s[0:1], 0x80
	s_load_dwordx2 s[6:7], s[0:1], 0x30
	s_load_dwordx2 s[10:11], s[0:1], 0x20
	s_mov_b32 s20, s3
	s_ashr_i32 s21, s3, 31
	s_lshl_b64 s[8:9], s[20:21], 2
	s_waitcnt lgkmcnt(0)
	s_add_u32 s6, s6, s8
	s_addc_u32 s7, s7, s9
	s_abs_i32 s3, s10
	v_cvt_f32_u32_e32 v1, s3
	s_xor_b32 s8, s5, s10
	s_sub_i32 s10, 0, s3
	s_abs_i32 s9, s5
	v_rcp_iflag_f32_e32 v1, v1
	s_ashr_i32 s8, s8, 31
	v_mul_f32_e32 v1, 0x4f7ffffe, v1
	v_cvt_u32_f32_e32 v1, v1
	s_nop 0
	v_readfirstlane_b32 s12, v1
	s_mul_i32 s10, s10, s12
	s_mul_hi_u32 s10, s12, s10
	s_add_i32 s12, s12, s10
	s_mul_hi_u32 s10, s9, s12
	s_mul_i32 s12, s10, s3
	s_sub_i32 s9, s9, s12
	s_add_i32 s12, s10, 1
	s_sub_i32 s13, s9, s3
	s_cmp_ge_u32 s9, s3
	s_cselect_b32 s10, s12, s10
	s_cselect_b32 s9, s13, s9
	s_add_i32 s12, s10, 1
	s_cmp_ge_u32 s9, s3
	s_cselect_b32 s3, s12, s10
	s_xor_b32 s3, s3, s8
	s_sub_i32 s19, s3, s8
	s_abs_i32 s16, s19
	v_cvt_f32_u32_e32 v1, s16
	s_load_dwordx2 s[8:9], s[0:1], 0x40
	s_sub_i32 s3, 0, s16
	s_abs_i32 s17, s2
	v_rcp_iflag_f32_e32 v1, v1
	s_mov_b32 s10, 0
	v_mul_f32_e32 v1, 0x4f7ffffe, v1
	v_cvt_u32_f32_e32 v1, v1
	s_nop 0
	v_readfirstlane_b32 s12, v1
	s_mul_i32 s3, s3, s12
	s_mul_hi_u32 s3, s12, s3
	s_add_i32 s12, s12, s3
	s_waitcnt lgkmcnt(0)
	s_cmp_eq_u64 s[8:9], 0
	s_mul_hi_u32 s18, s17, s12
	s_cbranch_scc1 .LBB298_2
; %bb.1:
	s_ashr_i32 s3, s2, 31
	s_lshl_b64 s[12:13], s[2:3], 2
	s_add_u32 s8, s8, s12
	s_addc_u32 s9, s9, s13
	s_load_dword s10, s[8:9], 0x0
.LBB298_2:
	s_load_dword s21, s[6:7], 0x0
	s_load_dwordx4 s[12:15], s[0:1], 0x48
	s_ashr_i32 s8, s2, 31
	s_ashr_i32 s9, s19, 31
	v_and_b32_e32 v2, 7, v0
	s_lshl_b32 s22, s2, 6
	v_cmp_gt_u32_e64 s[6:7], 64, v0
	s_and_saveexec_b64 s[2:3], s[6:7]
	s_cbranch_execz .LBB298_4
; %bb.3:
	s_load_dwordx2 s[24:25], s[0:1], 0x8
	s_waitcnt lgkmcnt(0)
	s_mul_i32 s26, s20, s12
	s_ashr_i32 s27, s26, 31
	s_lshl_b64 s[26:27], s[26:27], 1
	v_lshlrev_b32_e32 v1, 1, v0
	s_add_u32 s12, s24, s26
	s_addc_u32 s15, s25, s27
	s_ashr_i32 s23, s22, 31
	s_lshl_b64 s[24:25], s[22:23], 1
	s_add_u32 s24, s12, s24
	s_addc_u32 s25, s15, s25
	global_load_ushort v1, v1, s[24:25]
	v_lshrrev_b32_e32 v3, 2, v0
	v_and_b32_e32 v3, 0xfe, v3
	v_lshl_add_u32 v3, v2, 4, v3
	s_waitcnt vmcnt(0)
	ds_write_b16 v3, v1
.LBB298_4:
	s_or_b64 exec, exec, s[2:3]
	s_waitcnt lgkmcnt(0)
	s_add_i32 s3, s21, 7
	s_ashr_i32 s12, s3, 31
	s_lshr_b32 s12, s12, 29
	s_add_i32 s3, s3, s12
	s_ashr_i32 s23, s3, 3
	s_xor_b32 s3, s8, s9
	s_mul_i32 s8, s18, s16
	s_sub_i32 s8, s17, s8
	s_add_i32 s9, s18, 1
	s_sub_i32 s12, s8, s16
	s_load_dwordx2 s[26:27], s[0:1], 0x28
	s_load_dword s2, s[0:1], 0x38
	s_cmp_ge_u32 s8, s16
	s_cselect_b32 s9, s9, s18
	s_cselect_b32 s8, s12, s8
	s_add_i32 s12, s9, 1
	s_cmp_ge_u32 s8, s16
	s_cselect_b32 s8, s12, s9
	v_lshrrev_b32_e32 v1, 6, v0
	s_xor_b32 s8, s8, s3
	s_waitcnt lgkmcnt(0)
	s_mul_i32 s28, s20, s2
	s_sub_i32 s33, s8, s3
	s_ashr_i32 s29, s28, 31
	v_cmp_gt_i32_e64 s[2:3], s23, v1
	v_cmp_le_i32_e32 vcc, s23, v1
	v_mbcnt_lo_u32_b32 v6, -1, 0
	s_barrier
	s_waitcnt lgkmcnt(0)
                                        ; implicit-def: $sgpr15
                                        ; implicit-def: $vgpr10
                                        ; implicit-def: $vgpr11
	s_and_saveexec_b64 s[8:9], vcc
	s_xor_b64 s[8:9], exec, s[8:9]
; %bb.5:
	v_mbcnt_hi_u32_b32 v10, -1, v6
	v_and_b32_e32 v2, 64, v10
	v_add_u32_e32 v11, 64, v2
	s_mov_b32 s15, 0xff7fffff
                                        ; implicit-def: $vgpr2
                                        ; implicit-def: $vgpr6
; %bb.6:
	s_or_saveexec_b64 s[34:35], s[8:9]
	s_load_dwordx2 s[24:25], s[0:1], 0x0
	s_load_dwordx2 s[30:31], s[0:1], 0x18
	s_load_dword s12, s[0:1], 0x88
	s_load_dwordx4 s[16:19], s[0:1], 0x58
	v_mov_b32_e32 v21, s15
	s_mul_i32 s33, s33, s14
	v_lshrrev_b32_e32 v14, 4, v0
	s_xor_b64 exec, exec, s[34:35]
	s_cbranch_execz .LBB298_44
; %bb.7:
	v_lshlrev_b32_e32 v3, 4, v2
	ds_read_b128 v[8:11], v3
	s_load_dwordx2 s[0:1], s[0:1], 0x10
	s_ashr_i32 s8, s33, 31
	v_bfe_u32 v7, v0, 3, 3
	s_waitcnt lgkmcnt(0)
	s_load_dword s37, s[16:17], 0x0
	v_lshlrev_b32_e32 v17, 16, v10
	v_and_b32_e32 v18, 0xffff0000, v10
	v_mbcnt_hi_u32_b32 v10, -1, v6
	v_and_b32_e32 v6, 64, v10
	v_lshlrev_b32_e32 v19, 16, v11
	v_and_b32_e32 v20, 0xffff0000, v11
	v_add_u32_e32 v11, 64, v6
	v_xor_b32_e32 v6, 4, v10
	v_cmp_lt_i32_e32 vcc, v6, v11
	s_add_u32 s0, s0, s33
	s_addc_u32 s1, s1, s8
	v_cndmask_b32_e32 v6, v10, v6, vcc
	v_lshlrev_b32_e32 v22, 2, v6
	v_xor_b32_e32 v6, 2, v10
	v_cmp_lt_i32_e32 vcc, v6, v11
	s_sub_i32 s38, 1, s21
	s_lshl_b64 s[8:9], s[28:29], 2
	v_cndmask_b32_e32 v6, v10, v6, vcc
	v_lshlrev_b32_e32 v23, 2, v6
	v_xor_b32_e32 v6, 1, v10
	v_cmp_lt_i32_e32 vcc, v6, v11
	v_mov_b32_e32 v3, 0
	s_add_u32 s8, s26, s8
	v_cndmask_b32_e32 v6, v10, v6, vcc
	v_lshlrev_b32_e32 v24, 2, v6
	v_lshlrev_b32_e32 v6, 2, v7
	v_lshl_or_b32 v6, v1, 5, v6
	v_lshlrev_b32_e32 v4, 4, v7
	v_mov_b32_e32 v5, v3
	v_lshl_or_b32 v25, v1, 3, v7
	v_add_u32_e32 v26, 0x90, v6
	v_and_b32_e32 v6, 60, v14
	v_mov_b32_e32 v7, v3
	s_addc_u32 s9, s27, s9
	s_mov_b32 s36, s13
	v_lshl_add_u64 v[4:5], s[0:1], 0, v[4:5]
	v_lshlrev_b32_e32 v12, 16, v8
	v_and_b32_e32 v13, 0xffff0000, v8
	v_lshlrev_b32_e32 v15, 16, v9
	v_and_b32_e32 v16, 0xffff0000, v9
	v_cmp_eq_u32_e32 vcc, 0, v2
	v_cmp_neq_f32_e64 s[0:1], s10, 0
	v_lshl_add_u64 v[6:7], s[8:9], 0, v[6:7]
	s_mov_b64 s[14:15], 0
	v_mov_b32_e32 v21, 0xff7fffff
	s_mov_b32 s39, 0x7f800000
	s_movk_i32 s40, 0x7fff
	v_mov_b32_e32 v27, v1
	s_branch .LBB298_9
.LBB298_8:                              ;   in Loop: Header=BB298_9 Depth=1
	s_or_b64 exec, exec, s[16:17]
	v_add_u32_e32 v27, 2, v27
	v_cmp_le_i32_e64 s[8:9], s23, v27
	v_add_u32_e32 v25, 16, v25
	v_add_u32_e32 v26, 64, v26
	s_or_b64 s[14:15], s[8:9], s[14:15]
	v_lshl_add_u64 v[6:7], v[6:7], 0, 8
	s_andn2_b64 exec, exec, s[14:15]
	s_cbranch_execz .LBB298_43
.LBB298_9:                              ; =>This Inner Loop Header: Depth=1
	global_load_dword v8, v[6:7], off
	s_waitcnt vmcnt(0) lgkmcnt(0)
	v_mad_i64_i32 v[8:9], s[8:9], v8, s36, v[4:5]
	v_lshl_add_u64 v[8:9], v[8:9], 0, v[2:3]
	global_load_ubyte v28, v[8:9], off
	s_waitcnt vmcnt(0)
	v_cvt_f32_fp8_sdwa v28, v28 src0_sel:BYTE_0
	s_waitcnt lgkmcnt(0)
	v_mul_f32_e32 v29, s37, v28
	v_and_b32_e32 v28, 0x7f800000, v29
	v_cmp_ne_u32_e64 s[8:9], s39, v28
                                        ; implicit-def: $vgpr28
	s_and_saveexec_b64 s[16:17], s[8:9]
	s_xor_b64 s[8:9], exec, s[16:17]
; %bb.10:                               ;   in Loop: Header=BB298_9 Depth=1
	v_bfe_u32 v28, v29, 16, 1
	v_add3_u32 v28, v29, v28, s40
                                        ; implicit-def: $vgpr29
; %bb.11:                               ;   in Loop: Header=BB298_9 Depth=1
	s_andn2_saveexec_b64 s[16:17], s[8:9]
; %bb.12:                               ;   in Loop: Header=BB298_9 Depth=1
	v_or_b32_e32 v28, 0x10000, v29
	v_cmp_eq_u32_sdwa s[8:9], v29, v3 src0_sel:WORD_0 src1_sel:DWORD
	s_nop 1
	v_cndmask_b32_e64 v28, v28, v29, s[8:9]
; %bb.13:                               ;   in Loop: Header=BB298_9 Depth=1
	s_or_b64 exec, exec, s[16:17]
	global_load_ubyte v29, v[8:9], off offset:8
	s_waitcnt vmcnt(0)
	v_cvt_f32_fp8_sdwa v29, v29 src0_sel:BYTE_0
	s_nop 0
	v_mul_f32_e32 v30, s37, v29
	v_and_b32_e32 v29, 0x7f800000, v30
	v_cmp_ne_u32_e64 s[8:9], s39, v29
                                        ; implicit-def: $vgpr29
	s_and_saveexec_b64 s[16:17], s[8:9]
	s_xor_b64 s[8:9], exec, s[16:17]
; %bb.14:                               ;   in Loop: Header=BB298_9 Depth=1
	v_bfe_u32 v29, v30, 16, 1
	v_add3_u32 v29, v30, v29, s40
                                        ; implicit-def: $vgpr30
; %bb.15:                               ;   in Loop: Header=BB298_9 Depth=1
	s_andn2_saveexec_b64 s[16:17], s[8:9]
; %bb.16:                               ;   in Loop: Header=BB298_9 Depth=1
	v_or_b32_e32 v29, 0x10000, v30
	v_cmp_eq_u32_sdwa s[8:9], v30, v3 src0_sel:WORD_0 src1_sel:DWORD
	s_nop 1
	v_cndmask_b32_e64 v29, v29, v30, s[8:9]
; %bb.17:                               ;   in Loop: Header=BB298_9 Depth=1
	s_or_b64 exec, exec, s[16:17]
	global_load_ubyte v30, v[8:9], off offset:128
	s_waitcnt vmcnt(0)
	v_cvt_f32_fp8_sdwa v30, v30 src0_sel:BYTE_0
	s_nop 0
	v_mul_f32_e32 v31, s37, v30
	v_and_b32_e32 v30, 0x7f800000, v31
	v_cmp_ne_u32_e64 s[8:9], s39, v30
                                        ; implicit-def: $vgpr30
	s_and_saveexec_b64 s[16:17], s[8:9]
	s_xor_b64 s[8:9], exec, s[16:17]
; %bb.18:                               ;   in Loop: Header=BB298_9 Depth=1
	v_bfe_u32 v30, v31, 16, 1
	v_add3_u32 v30, v31, v30, s40
                                        ; implicit-def: $vgpr31
; %bb.19:                               ;   in Loop: Header=BB298_9 Depth=1
	s_andn2_saveexec_b64 s[16:17], s[8:9]
; %bb.20:                               ;   in Loop: Header=BB298_9 Depth=1
	v_or_b32_e32 v30, 0x10000, v31
	v_cmp_eq_u32_sdwa s[8:9], v31, v3 src0_sel:WORD_0 src1_sel:DWORD
	s_nop 1
	v_cndmask_b32_e64 v30, v30, v31, s[8:9]
; %bb.21:                               ;   in Loop: Header=BB298_9 Depth=1
	s_or_b64 exec, exec, s[16:17]
	global_load_ubyte v31, v[8:9], off offset:136
	s_waitcnt vmcnt(0)
	v_cvt_f32_fp8_sdwa v31, v31 src0_sel:BYTE_0
	s_nop 0
	v_mul_f32_e32 v32, s37, v31
	v_and_b32_e32 v31, 0x7f800000, v32
	v_cmp_ne_u32_e64 s[8:9], s39, v31
                                        ; implicit-def: $vgpr31
	s_and_saveexec_b64 s[16:17], s[8:9]
	s_xor_b64 s[8:9], exec, s[16:17]
; %bb.22:                               ;   in Loop: Header=BB298_9 Depth=1
	v_bfe_u32 v31, v32, 16, 1
	v_add3_u32 v31, v32, v31, s40
                                        ; implicit-def: $vgpr32
; %bb.23:                               ;   in Loop: Header=BB298_9 Depth=1
	s_andn2_saveexec_b64 s[16:17], s[8:9]
; %bb.24:                               ;   in Loop: Header=BB298_9 Depth=1
	v_or_b32_e32 v31, 0x10000, v32
	v_cmp_eq_u32_sdwa s[8:9], v32, v3 src0_sel:WORD_0 src1_sel:DWORD
	s_nop 1
	v_cndmask_b32_e64 v31, v31, v32, s[8:9]
; %bb.25:                               ;   in Loop: Header=BB298_9 Depth=1
	s_or_b64 exec, exec, s[16:17]
	global_load_ubyte v32, v[8:9], off offset:256
	s_waitcnt vmcnt(0)
	v_cvt_f32_fp8_sdwa v32, v32 src0_sel:BYTE_0
	s_nop 0
	v_mul_f32_e32 v33, s37, v32
	v_and_b32_e32 v32, 0x7f800000, v33
	v_cmp_ne_u32_e64 s[8:9], s39, v32
                                        ; implicit-def: $vgpr32
	s_and_saveexec_b64 s[16:17], s[8:9]
	s_xor_b64 s[8:9], exec, s[16:17]
; %bb.26:                               ;   in Loop: Header=BB298_9 Depth=1
	v_bfe_u32 v32, v33, 16, 1
	v_add3_u32 v32, v33, v32, s40
                                        ; implicit-def: $vgpr33
; %bb.27:                               ;   in Loop: Header=BB298_9 Depth=1
	s_andn2_saveexec_b64 s[16:17], s[8:9]
; %bb.28:                               ;   in Loop: Header=BB298_9 Depth=1
	v_or_b32_e32 v32, 0x10000, v33
	v_cmp_eq_u32_sdwa s[8:9], v33, v3 src0_sel:WORD_0 src1_sel:DWORD
	s_nop 1
	v_cndmask_b32_e64 v32, v32, v33, s[8:9]
; %bb.29:                               ;   in Loop: Header=BB298_9 Depth=1
	s_or_b64 exec, exec, s[16:17]
	global_load_ubyte v33, v[8:9], off offset:264
	s_waitcnt vmcnt(0)
	v_cvt_f32_fp8_sdwa v33, v33 src0_sel:BYTE_0
	s_nop 0
	v_mul_f32_e32 v34, s37, v33
	v_and_b32_e32 v33, 0x7f800000, v34
	v_cmp_ne_u32_e64 s[8:9], s39, v33
                                        ; implicit-def: $vgpr33
	s_and_saveexec_b64 s[16:17], s[8:9]
	s_xor_b64 s[8:9], exec, s[16:17]
; %bb.30:                               ;   in Loop: Header=BB298_9 Depth=1
	v_bfe_u32 v33, v34, 16, 1
	v_add3_u32 v33, v34, v33, s40
                                        ; implicit-def: $vgpr34
; %bb.31:                               ;   in Loop: Header=BB298_9 Depth=1
	s_andn2_saveexec_b64 s[16:17], s[8:9]
; %bb.32:                               ;   in Loop: Header=BB298_9 Depth=1
	v_or_b32_e32 v33, 0x10000, v34
	v_cmp_eq_u32_sdwa s[8:9], v34, v3 src0_sel:WORD_0 src1_sel:DWORD
	s_nop 1
	v_cndmask_b32_e64 v33, v33, v34, s[8:9]
; %bb.33:                               ;   in Loop: Header=BB298_9 Depth=1
	s_or_b64 exec, exec, s[16:17]
	global_load_ubyte v34, v[8:9], off offset:384
	s_waitcnt vmcnt(0)
	v_cvt_f32_fp8_sdwa v34, v34 src0_sel:BYTE_0
	s_nop 0
	v_mul_f32_e32 v35, s37, v34
	v_and_b32_e32 v34, 0x7f800000, v35
	v_cmp_ne_u32_e64 s[8:9], s39, v34
                                        ; implicit-def: $vgpr34
	s_and_saveexec_b64 s[16:17], s[8:9]
	s_xor_b64 s[8:9], exec, s[16:17]
; %bb.34:                               ;   in Loop: Header=BB298_9 Depth=1
	v_bfe_u32 v34, v35, 16, 1
	v_add3_u32 v34, v35, v34, s40
                                        ; implicit-def: $vgpr35
; %bb.35:                               ;   in Loop: Header=BB298_9 Depth=1
	s_andn2_saveexec_b64 s[16:17], s[8:9]
; %bb.36:                               ;   in Loop: Header=BB298_9 Depth=1
	v_or_b32_e32 v34, 0x10000, v35
	v_cmp_eq_u32_sdwa s[8:9], v35, v3 src0_sel:WORD_0 src1_sel:DWORD
	s_nop 1
	v_cndmask_b32_e64 v34, v34, v35, s[8:9]
; %bb.37:                               ;   in Loop: Header=BB298_9 Depth=1
	s_or_b64 exec, exec, s[16:17]
	global_load_ubyte v8, v[8:9], off offset:392
	s_waitcnt vmcnt(0)
	v_cvt_f32_fp8_sdwa v8, v8 src0_sel:BYTE_0
	s_nop 0
	v_mul_f32_e32 v9, s37, v8
	v_and_b32_e32 v8, 0x7f800000, v9
	v_cmp_ne_u32_e64 s[8:9], s39, v8
                                        ; implicit-def: $vgpr8
	s_and_saveexec_b64 s[16:17], s[8:9]
	s_xor_b64 s[8:9], exec, s[16:17]
; %bb.38:                               ;   in Loop: Header=BB298_9 Depth=1
	v_bfe_u32 v8, v9, 16, 1
	v_add3_u32 v8, v9, v8, s40
                                        ; implicit-def: $vgpr9
; %bb.39:                               ;   in Loop: Header=BB298_9 Depth=1
	s_andn2_saveexec_b64 s[16:17], s[8:9]
; %bb.40:                               ;   in Loop: Header=BB298_9 Depth=1
	v_or_b32_e32 v8, 0x10000, v9
	v_cmp_eq_u32_sdwa s[8:9], v9, v3 src0_sel:WORD_0 src1_sel:DWORD
	s_nop 1
	v_cndmask_b32_e64 v8, v8, v9, s[8:9]
; %bb.41:                               ;   in Loop: Header=BB298_9 Depth=1
	s_or_b64 exec, exec, s[16:17]
	v_and_b32_e32 v29, 0xffff0000, v29
	v_and_b32_e32 v28, 0xffff0000, v28
	v_mul_f32_e32 v29, v13, v29
	v_and_b32_e32 v30, 0xffff0000, v30
	v_fmac_f32_e32 v29, v12, v28
	v_and_b32_e32 v31, 0xffff0000, v31
	v_fmac_f32_e32 v29, v15, v30
	;; [unrolled: 2-line block ×6, first 2 shown]
	v_fmac_f32_e32 v29, v20, v8
	ds_bpermute_b32 v8, v22, v29
	s_waitcnt lgkmcnt(0)
	v_add_f32_e32 v8, v29, v8
	ds_bpermute_b32 v9, v23, v8
	s_waitcnt lgkmcnt(0)
	v_add_f32_e32 v8, v8, v9
	ds_bpermute_b32 v9, v24, v8
	s_and_saveexec_b64 s[16:17], vcc
	s_cbranch_execz .LBB298_8
; %bb.42:                               ;   in Loop: Header=BB298_9 Depth=1
	v_add_u32_e32 v28, s38, v25
	v_cvt_f32_i32_e32 v28, v28
	s_waitcnt lgkmcnt(0)
	v_add_f32_e32 v8, v8, v9
	v_cmp_gt_i32_e64 s[8:9], s21, v25
	v_max_f32_e32 v9, v21, v21
	v_mul_f32_e32 v28, s10, v28
	v_cndmask_b32_e64 v28, 0, v28, s[0:1]
	v_fmac_f32_e32 v28, s11, v8
	v_cndmask_b32_e64 v8, 0, v28, s[8:9]
	ds_write_b32 v26, v8
	v_max_f32_e32 v8, v9, v28
	v_cndmask_b32_e64 v21, v21, v8, s[8:9]
	s_branch .LBB298_8
.LBB298_43:
	s_or_b64 exec, exec, s[14:15]
.LBB298_44:
	s_or_b64 exec, exec, s[34:35]
	v_xor_b32_e32 v2, 32, v10
	v_cmp_lt_i32_e32 vcc, v2, v11
	v_xor_b32_e32 v5, 16, v10
	v_max_f32_e32 v4, v21, v21
	v_cndmask_b32_e32 v2, v10, v2, vcc
	v_lshlrev_b32_e32 v3, 2, v2
	ds_bpermute_b32 v2, v3, v21
	v_cmp_lt_i32_e32 vcc, v5, v11
	v_xor_b32_e32 v6, 8, v10
	v_and_b32_e32 v16, 63, v0
	s_waitcnt lgkmcnt(0)
	v_max_f32_e32 v2, v2, v2
	v_max_f32_e32 v2, v4, v2
	v_cndmask_b32_e32 v4, v10, v5, vcc
	v_lshlrev_b32_e32 v5, 2, v4
	ds_bpermute_b32 v4, v5, v2
	v_cmp_lt_i32_e32 vcc, v6, v11
	s_waitcnt lgkmcnt(0)
	v_max_f32_e32 v4, v4, v4
	v_max_f32_e32 v4, v2, v4
	v_cndmask_b32_e32 v2, v10, v6, vcc
	v_lshlrev_b32_e32 v7, 2, v2
	ds_bpermute_b32 v6, v7, v4
	v_cmp_eq_u32_e32 vcc, 0, v16
	v_lshlrev_b32_e32 v2, 2, v1
	s_and_saveexec_b64 s[0:1], vcc
	s_cbranch_execz .LBB298_46
; %bb.45:
	s_waitcnt lgkmcnt(0)
	v_max_f32_e32 v6, v6, v6
	v_max_f32_e32 v4, v4, v4
	;; [unrolled: 1-line block ×3, first 2 shown]
	ds_write_b32 v2, v4 offset:128
.LBB298_46:
	s_or_b64 exec, exec, s[0:1]
	v_cmp_gt_u32_e64 s[0:1], 2, v16
	v_mov_b32_e32 v8, 0xff7fffff
	v_lshlrev_b32_e32 v4, 2, v16
	s_waitcnt lgkmcnt(0)
	s_barrier
	s_and_saveexec_b64 s[8:9], s[0:1]
	s_cbranch_execz .LBB298_48
; %bb.47:
	ds_read_b32 v8, v4 offset:128
.LBB298_48:
	s_or_b64 exec, exec, s[8:9]
	v_xor_b32_e32 v6, 1, v10
	v_cmp_lt_i32_e64 s[8:9], v6, v11
	v_lshlrev_b32_e32 v12, 2, v10
	s_nop 0
	v_cndmask_b32_e64 v6, v10, v6, s[8:9]
	v_lshlrev_b32_e32 v6, 2, v6
	s_waitcnt lgkmcnt(0)
	ds_bpermute_b32 v9, v6, v8
	v_max_f32_e32 v8, v8, v8
	s_lshl_b32 s8, s23, 3
	s_min_i32 s34, s8, s21
	v_cmp_gt_i32_e64 s[8:9], s34, v0
	s_waitcnt lgkmcnt(0)
	v_max_f32_e32 v9, v9, v9
	v_max_f32_e32 v9, v8, v9
	v_and_b32_e32 v8, 0xffffff00, v12
	ds_bpermute_b32 v12, v8, v9
	v_mov_b32_e32 v9, 0
	s_and_saveexec_b64 s[14:15], s[8:9]
	s_cbranch_execz .LBB298_52
; %bb.49:
	v_mov_b32_e32 v9, 0x90
	v_lshl_add_u32 v13, v0, 2, v9
	s_mov_b64 s[16:17], 0
	v_mov_b32_e32 v9, 0
	v_mov_b32_e32 v15, v0
.LBB298_50:                             ; =>This Inner Loop Header: Depth=1
	ds_read_b32 v17, v13
	v_add_u32_e32 v15, 0x80, v15
	v_cmp_le_i32_e64 s[10:11], s34, v15
	s_or_b64 s[16:17], s[10:11], s[16:17]
	s_waitcnt lgkmcnt(0)
	v_sub_f32_e32 v17, v17, v12
	v_mul_f32_e32 v17, 0x3fb8aa3b, v17
	v_exp_f32_e32 v17, v17
	ds_write_b32 v13, v17
	v_add_f32_e32 v9, v9, v17
	v_add_u32_e32 v13, 0x200, v13
	s_andn2_b64 exec, exec, s[16:17]
	s_cbranch_execnz .LBB298_50
; %bb.51:
	s_or_b64 exec, exec, s[16:17]
.LBB298_52:
	s_or_b64 exec, exec, s[14:15]
	ds_bpermute_b32 v3, v3, v9
	s_waitcnt lgkmcnt(0)
	v_add_f32_e32 v3, v9, v3
	ds_bpermute_b32 v5, v5, v3
	s_waitcnt lgkmcnt(0)
	v_add_f32_e32 v3, v3, v5
	ds_bpermute_b32 v5, v7, v3
	v_xor_b32_e32 v7, 4, v10
	v_cmp_lt_i32_e64 s[10:11], v7, v11
	s_waitcnt lgkmcnt(0)
	v_add_f32_e32 v3, v3, v5
	v_cndmask_b32_e64 v7, v10, v7, s[10:11]
	v_lshlrev_b32_e32 v7, 2, v7
	ds_bpermute_b32 v5, v7, v3
	v_xor_b32_e32 v7, 2, v10
	v_cmp_lt_i32_e64 s[10:11], v7, v11
	s_waitcnt lgkmcnt(0)
	v_add_f32_e32 v3, v3, v5
	v_cndmask_b32_e64 v7, v10, v7, s[10:11]
	v_lshlrev_b32_e32 v5, 2, v7
	ds_bpermute_b32 v5, v5, v3
	s_waitcnt lgkmcnt(0)
	v_add_f32_e32 v3, v3, v5
	ds_bpermute_b32 v5, v6, v3
	s_waitcnt lgkmcnt(0)
	v_add_f32_e32 v3, v3, v5
	s_and_saveexec_b64 s[10:11], vcc
	s_cbranch_execz .LBB298_54
; %bb.53:
	ds_write_b32 v2, v3 offset:136
.LBB298_54:
	s_or_b64 exec, exec, s[10:11]
	s_waitcnt lgkmcnt(0)
	s_barrier
	s_and_saveexec_b64 s[10:11], s[0:1]
	s_cbranch_execz .LBB298_56
; %bb.55:
	ds_read_b32 v3, v4 offset:136
.LBB298_56:
	s_or_b64 exec, exec, s[10:11]
	s_waitcnt lgkmcnt(0)
	ds_bpermute_b32 v2, v6, v3
	s_waitcnt lgkmcnt(0)
	v_add_f32_e32 v2, v3, v2
	ds_bpermute_b32 v2, v8, v2
	s_and_saveexec_b64 s[0:1], s[8:9]
	s_cbranch_execz .LBB298_69
; %bb.57:
	s_waitcnt lgkmcnt(0)
	v_add_f32_e32 v2, 0x358637bd, v2
	v_div_scale_f32 v3, s[8:9], v2, v2, 1.0
	v_rcp_f32_e32 v4, v3
	v_div_scale_f32 v5, vcc, 1.0, v2, 1.0
	s_movk_i32 s8, 0x7f
	v_fma_f32 v6, -v3, v4, 1.0
	v_fmac_f32_e32 v4, v6, v4
	v_mul_f32_e32 v6, v5, v4
	v_fma_f32 v7, -v3, v6, v5
	v_fmac_f32_e32 v6, v7, v4
	v_fma_f32 v3, -v3, v6, v5
	v_div_fmas_f32 v3, v3, v4, v6
	v_xad_u32 v4, v0, -1, s34
	v_div_fixup_f32 v2, v3, v2, 1.0
	v_cmp_lt_u32_e32 vcc, s8, v4
	s_mov_b64 s[10:11], -1
	v_mov_b32_e32 v3, v0
	s_and_saveexec_b64 s[8:9], vcc
	s_cbranch_execz .LBB298_66
; %bb.58:
	v_lshrrev_b32_e32 v4, 7, v4
	v_add_u32_e32 v6, -1, v4
	v_lshrrev_b32_e32 v5, 1, v6
	v_mov_b32_e32 v3, v2
	v_add_u32_e32 v5, 1, v5
	v_cmp_lt_u32_e32 vcc, 13, v6
	v_mov_b32_e32 v8, 0
	s_and_saveexec_b64 s[10:11], vcc
	s_cbranch_execz .LBB298_62
; %bb.59:
	v_mov_b32_e32 v7, 0x90
	v_and_b32_e32 v6, -8, v5
	v_lshl_add_u32 v7, v0, 2, v7
	s_mov_b32 s16, 0
	s_mov_b64 s[14:15], 0
.LBB298_60:                             ; =>This Inner Loop Header: Depth=1
	ds_read2st64_b32 v[8:9], v7 offset1:2
	ds_read2st64_b32 v[10:11], v7 offset0:4 offset1:6
	ds_read2st64_b32 v[12:13], v7 offset0:8 offset1:10
	;; [unrolled: 1-line block ×3, first 2 shown]
	v_add_u32_e32 v6, -8, v6
	s_waitcnt lgkmcnt(3)
	v_pk_mul_f32 v[8:9], v[2:3], v[8:9]
	s_waitcnt lgkmcnt(2)
	v_pk_mul_f32 v[10:11], v[2:3], v[10:11]
	ds_write2st64_b32 v7, v8, v9 offset1:2
	ds_write2st64_b32 v7, v10, v11 offset0:4 offset1:6
	ds_read2st64_b32 v[10:11], v7 offset0:16 offset1:18
	s_waitcnt lgkmcnt(4)
	v_pk_mul_f32 v[8:9], v[2:3], v[12:13]
	ds_write2st64_b32 v7, v8, v9 offset0:8 offset1:10
	s_waitcnt lgkmcnt(4)
	v_pk_mul_f32 v[8:9], v[2:3], v[18:19]
	ds_write2st64_b32 v7, v8, v9 offset0:12 offset1:14
	ds_read2st64_b32 v[8:9], v7 offset0:20 offset1:22
	s_waitcnt lgkmcnt(3)
	v_pk_mul_f32 v[10:11], v[2:3], v[10:11]
	ds_read2st64_b32 v[12:13], v7 offset0:24 offset1:26
	ds_write2st64_b32 v7, v10, v11 offset0:16 offset1:18
	ds_read2st64_b32 v[10:11], v7 offset0:28 offset1:30
	s_waitcnt lgkmcnt(3)
	v_pk_mul_f32 v[8:9], v[2:3], v[8:9]
	ds_write2st64_b32 v7, v8, v9 offset0:20 offset1:22
	s_waitcnt lgkmcnt(3)
	v_pk_mul_f32 v[8:9], v[2:3], v[12:13]
	ds_write2st64_b32 v7, v8, v9 offset0:24 offset1:26
	s_waitcnt lgkmcnt(2)
	v_pk_mul_f32 v[8:9], v[2:3], v[10:11]
	s_add_i32 s16, s16, 16
	v_cmp_eq_u32_e32 vcc, 0, v6
	ds_write2st64_b32 v7, v8, v9 offset0:28 offset1:30
	v_add_u32_e32 v7, 0x2000, v7
	s_or_b64 s[14:15], vcc, s[14:15]
	v_mov_b32_e32 v8, s16
	s_andn2_b64 exec, exec, s[14:15]
	s_cbranch_execnz .LBB298_60
; %bb.61:
	s_or_b64 exec, exec, s[14:15]
.LBB298_62:
	s_or_b64 exec, exec, s[10:11]
	v_and_b32_e32 v5, 7, v5
	v_cmp_ne_u32_e32 vcc, 0, v5
	s_and_saveexec_b64 s[10:11], vcc
	s_cbranch_execz .LBB298_65
; %bb.63:
	v_lshlrev_b32_e32 v6, 9, v8
	v_lshlrev_b32_e32 v7, 2, v0
	s_movk_i32 s14, 0x90
	v_add3_u32 v6, v6, v7, s14
	s_mov_b64 s[14:15], 0
.LBB298_64:                             ; =>This Inner Loop Header: Depth=1
	ds_read2st64_b32 v[8:9], v6 offset1:2
	v_add_u32_e32 v5, -1, v5
	v_cmp_eq_u32_e32 vcc, 0, v5
	s_or_b64 s[14:15], vcc, s[14:15]
	s_waitcnt lgkmcnt(0)
	v_pk_mul_f32 v[8:9], v[2:3], v[8:9]
	ds_write2st64_b32 v6, v8, v9 offset1:2
	v_add_u32_e32 v6, 0x400, v6
	s_andn2_b64 exec, exec, s[14:15]
	s_cbranch_execnz .LBB298_64
.LBB298_65:
	s_or_b64 exec, exec, s[10:11]
	v_add_u32_e32 v4, 1, v4
	v_and_b32_e32 v5, 0x3fffffe, v4
	v_cmp_ne_u32_e32 vcc, v4, v5
	v_lshl_add_u32 v3, v5, 7, v0
	s_orn2_b64 s[10:11], vcc, exec
.LBB298_66:
	s_or_b64 exec, exec, s[8:9]
	s_and_b64 exec, exec, s[10:11]
	s_cbranch_execz .LBB298_69
; %bb.67:
	v_mov_b32_e32 v4, 0x90
	v_lshl_add_u32 v4, v3, 2, v4
	s_mov_b64 s[8:9], 0
.LBB298_68:                             ; =>This Inner Loop Header: Depth=1
	ds_read_b32 v5, v4
	v_add_u32_e32 v3, 0x80, v3
	v_cmp_le_i32_e32 vcc, s34, v3
	s_or_b64 s[8:9], vcc, s[8:9]
	s_waitcnt lgkmcnt(0)
	v_mul_f32_e32 v5, v2, v5
	ds_write_b32 v4, v5
	v_add_u32_e32 v4, 0x200, v4
	s_andn2_b64 exec, exec, s[8:9]
	s_cbranch_execnz .LBB298_68
.LBB298_69:
	s_or_b64 exec, exec, s[0:1]
	v_mov_b32_e32 v10, 0
	s_waitcnt lgkmcnt(0)
	s_barrier
	s_and_saveexec_b64 s[0:1], s[2:3]
	s_cbranch_execz .LBB298_171
; %bb.70:
	s_ashr_i32 s3, s33, 31
	s_add_u32 s2, s30, s33
	s_addc_u32 s3, s31, s3
	v_lshlrev_b32_e32 v10, 3, v16
	v_mov_b32_e32 v11, 0
	s_load_dword s11, s[18:19], 0x0
	s_mov_b32 s10, s13
	v_lshl_add_u64 v[12:13], s[2:3], 0, v[10:11]
	s_add_i32 s13, s23, -1
	s_lshl_b64 s[2:3], s[28:29], 2
	s_add_u32 s2, s26, s2
	v_mov_b32_e32 v2, 0x90
	v_and_b32_e32 v10, 60, v14
	s_addc_u32 s3, s27, s3
	v_lshl_or_b32 v17, v1, 3, 7
	v_lshl_add_u32 v18, v1, 5, v2
	v_lshl_add_u64 v[14:15], s[2:3], 0, v[10:11]
	s_mov_b64 s[2:3], 0
	s_mov_b32 s14, 0x7f800000
	s_movk_i32 s15, 0x7fff
	v_mov_b32_e32 v10, 0
	s_branch .LBB298_72
.LBB298_71:                             ;   in Loop: Header=BB298_72 Depth=1
	s_or_b64 exec, exec, s[8:9]
	v_and_b32_e32 v7, 0xffff0000, v6
	v_and_b32_e32 v6, 0xffff0000, v8
	;; [unrolled: 1-line block ×8, first 2 shown]
	v_pk_add_f32 v[2:3], v[4:5], v[8:9]
	v_pk_add_f32 v[4:5], v[22:23], v[6:7]
	v_add_f32_e32 v2, v2, v3
	v_add_f32_e32 v2, v2, v4
	v_add_u32_e32 v1, 2, v1
	v_add_f32_e32 v2, v2, v5
	v_cmp_le_i32_e32 vcc, s23, v1
	v_add_f32_e32 v10, v10, v2
	v_add_u32_e32 v17, 16, v17
	v_add_u32_e32 v18, 64, v18
	s_or_b64 s[2:3], vcc, s[2:3]
	v_lshl_add_u64 v[14:15], v[14:15], 0, 8
	s_andn2_b64 exec, exec, s[2:3]
	s_cbranch_execz .LBB298_170
.LBB298_72:                             ; =>This Inner Loop Header: Depth=1
	global_load_dword v23, v[14:15], off
	ds_read2_b64 v[6:9], v18 offset1:1
	ds_read2_b64 v[2:5], v18 offset0:2 offset1:3
                                        ; implicit-def: $vgpr22
	s_waitcnt lgkmcnt(0)
	v_and_b32_e32 v19, 0x7f800000, v6
	v_cmp_ne_u32_e32 vcc, s14, v19
	s_and_saveexec_b64 s[8:9], vcc
	s_xor_b64 s[8:9], exec, s[8:9]
; %bb.73:                               ;   in Loop: Header=BB298_72 Depth=1
	v_bfe_u32 v19, v6, 16, 1
	v_add3_u32 v22, v6, v19, s15
; %bb.74:                               ;   in Loop: Header=BB298_72 Depth=1
	s_andn2_saveexec_b64 s[8:9], s[8:9]
; %bb.75:                               ;   in Loop: Header=BB298_72 Depth=1
	v_or_b32_e32 v19, 0x10000, v6
	v_cmp_eq_u32_sdwa vcc, v6, v11 src0_sel:WORD_0 src1_sel:DWORD
	s_nop 1
	v_cndmask_b32_e32 v22, v19, v6, vcc
; %bb.76:                               ;   in Loop: Header=BB298_72 Depth=1
	s_or_b64 exec, exec, s[8:9]
	v_and_b32_e32 v6, 0x7f800000, v7
	v_cmp_ne_u32_e32 vcc, s14, v6
                                        ; implicit-def: $vgpr21
	s_and_saveexec_b64 s[8:9], vcc
	s_xor_b64 s[8:9], exec, s[8:9]
; %bb.77:                               ;   in Loop: Header=BB298_72 Depth=1
	v_bfe_u32 v6, v7, 16, 1
	v_add3_u32 v21, v7, v6, s15
; %bb.78:                               ;   in Loop: Header=BB298_72 Depth=1
	s_andn2_saveexec_b64 s[8:9], s[8:9]
; %bb.79:                               ;   in Loop: Header=BB298_72 Depth=1
	v_or_b32_e32 v6, 0x10000, v7
	v_cmp_eq_u32_sdwa vcc, v7, v11 src0_sel:WORD_0 src1_sel:DWORD
	s_nop 1
	v_cndmask_b32_e32 v21, v6, v7, vcc
; %bb.80:                               ;   in Loop: Header=BB298_72 Depth=1
	s_or_b64 exec, exec, s[8:9]
	v_and_b32_e32 v6, 0x7f800000, v8
	v_cmp_ne_u32_e32 vcc, s14, v6
                                        ; implicit-def: $vgpr20
	s_and_saveexec_b64 s[8:9], vcc
	s_xor_b64 s[8:9], exec, s[8:9]
; %bb.81:                               ;   in Loop: Header=BB298_72 Depth=1
	v_bfe_u32 v6, v8, 16, 1
	v_add3_u32 v20, v8, v6, s15
; %bb.82:                               ;   in Loop: Header=BB298_72 Depth=1
	s_andn2_saveexec_b64 s[8:9], s[8:9]
; %bb.83:                               ;   in Loop: Header=BB298_72 Depth=1
	v_or_b32_e32 v6, 0x10000, v8
	v_cmp_eq_u32_sdwa vcc, v8, v11 src0_sel:WORD_0 src1_sel:DWORD
	s_nop 1
	v_cndmask_b32_e32 v20, v6, v8, vcc
; %bb.84:                               ;   in Loop: Header=BB298_72 Depth=1
	s_or_b64 exec, exec, s[8:9]
	v_and_b32_e32 v6, 0x7f800000, v9
	v_cmp_ne_u32_e32 vcc, s14, v6
                                        ; implicit-def: $vgpr19
	s_and_saveexec_b64 s[8:9], vcc
	s_xor_b64 s[8:9], exec, s[8:9]
; %bb.85:                               ;   in Loop: Header=BB298_72 Depth=1
	v_bfe_u32 v6, v9, 16, 1
	v_add3_u32 v19, v9, v6, s15
                                        ; implicit-def: $vgpr6_vgpr7_vgpr8_vgpr9
; %bb.86:                               ;   in Loop: Header=BB298_72 Depth=1
	s_andn2_saveexec_b64 s[8:9], s[8:9]
; %bb.87:                               ;   in Loop: Header=BB298_72 Depth=1
	v_or_b32_e32 v6, 0x10000, v9
	v_cmp_eq_u32_sdwa vcc, v9, v11 src0_sel:WORD_0 src1_sel:DWORD
	s_nop 1
	v_cndmask_b32_e32 v19, v6, v9, vcc
; %bb.88:                               ;   in Loop: Header=BB298_72 Depth=1
	s_or_b64 exec, exec, s[8:9]
	v_and_b32_e32 v6, 0x7f800000, v2
	v_cmp_ne_u32_e32 vcc, s14, v6
                                        ; implicit-def: $vgpr9
	s_and_saveexec_b64 s[8:9], vcc
	s_xor_b64 s[8:9], exec, s[8:9]
; %bb.89:                               ;   in Loop: Header=BB298_72 Depth=1
	v_bfe_u32 v6, v2, 16, 1
	v_add3_u32 v9, v2, v6, s15
; %bb.90:                               ;   in Loop: Header=BB298_72 Depth=1
	s_andn2_saveexec_b64 s[8:9], s[8:9]
; %bb.91:                               ;   in Loop: Header=BB298_72 Depth=1
	v_or_b32_e32 v6, 0x10000, v2
	v_cmp_eq_u32_sdwa vcc, v2, v11 src0_sel:WORD_0 src1_sel:DWORD
	s_nop 1
	v_cndmask_b32_e32 v9, v6, v2, vcc
; %bb.92:                               ;   in Loop: Header=BB298_72 Depth=1
	s_or_b64 exec, exec, s[8:9]
	v_and_b32_e32 v2, 0x7f800000, v3
	v_cmp_ne_u32_e32 vcc, s14, v2
                                        ; implicit-def: $vgpr8
	s_and_saveexec_b64 s[8:9], vcc
	s_xor_b64 s[8:9], exec, s[8:9]
; %bb.93:                               ;   in Loop: Header=BB298_72 Depth=1
	v_bfe_u32 v2, v3, 16, 1
	v_add3_u32 v8, v3, v2, s15
; %bb.94:                               ;   in Loop: Header=BB298_72 Depth=1
	s_andn2_saveexec_b64 s[8:9], s[8:9]
; %bb.95:                               ;   in Loop: Header=BB298_72 Depth=1
	v_or_b32_e32 v2, 0x10000, v3
	v_cmp_eq_u32_sdwa vcc, v3, v11 src0_sel:WORD_0 src1_sel:DWORD
	s_nop 1
	v_cndmask_b32_e32 v8, v2, v3, vcc
; %bb.96:                               ;   in Loop: Header=BB298_72 Depth=1
	s_or_b64 exec, exec, s[8:9]
	v_and_b32_e32 v2, 0x7f800000, v4
	v_cmp_ne_u32_e32 vcc, s14, v2
                                        ; implicit-def: $vgpr7
	s_and_saveexec_b64 s[8:9], vcc
	s_xor_b64 s[8:9], exec, s[8:9]
; %bb.97:                               ;   in Loop: Header=BB298_72 Depth=1
	v_bfe_u32 v2, v4, 16, 1
	v_add3_u32 v7, v4, v2, s15
; %bb.98:                               ;   in Loop: Header=BB298_72 Depth=1
	s_andn2_saveexec_b64 s[8:9], s[8:9]
; %bb.99:                               ;   in Loop: Header=BB298_72 Depth=1
	v_or_b32_e32 v2, 0x10000, v4
	v_cmp_eq_u32_sdwa vcc, v4, v11 src0_sel:WORD_0 src1_sel:DWORD
	s_nop 1
	v_cndmask_b32_e32 v7, v2, v4, vcc
; %bb.100:                              ;   in Loop: Header=BB298_72 Depth=1
	s_or_b64 exec, exec, s[8:9]
	v_and_b32_e32 v2, 0x7f800000, v5
	v_cmp_ne_u32_e32 vcc, s14, v2
                                        ; implicit-def: $vgpr6
	s_and_saveexec_b64 s[8:9], vcc
	s_xor_b64 s[8:9], exec, s[8:9]
; %bb.101:                              ;   in Loop: Header=BB298_72 Depth=1
	v_bfe_u32 v2, v5, 16, 1
	v_add3_u32 v6, v5, v2, s15
                                        ; implicit-def: $vgpr2_vgpr3_vgpr4_vgpr5
; %bb.102:                              ;   in Loop: Header=BB298_72 Depth=1
	s_andn2_saveexec_b64 s[8:9], s[8:9]
; %bb.103:                              ;   in Loop: Header=BB298_72 Depth=1
	v_or_b32_e32 v2, 0x10000, v5
	v_cmp_eq_u32_sdwa vcc, v5, v11 src0_sel:WORD_0 src1_sel:DWORD
	s_nop 1
	v_cndmask_b32_e32 v6, v2, v5, vcc
; %bb.104:                              ;   in Loop: Header=BB298_72 Depth=1
	s_or_b64 exec, exec, s[8:9]
	s_waitcnt vmcnt(0)
	v_mad_i64_i32 v[2:3], s[8:9], v23, s10, v[12:13]
	global_load_dwordx2 v[2:3], v[2:3], off
	s_waitcnt vmcnt(0)
	v_and_b32_e32 v4, 0xff, v2
	v_cvt_f32_fp8_sdwa v4, v4 src0_sel:BYTE_0
	s_nop 0
	v_mul_f32_e32 v5, s11, v4
	v_and_b32_e32 v4, 0x7f800000, v5
	v_cmp_ne_u32_e32 vcc, s14, v4
                                        ; implicit-def: $vgpr4
	s_and_saveexec_b64 s[8:9], vcc
	s_xor_b64 s[8:9], exec, s[8:9]
; %bb.105:                              ;   in Loop: Header=BB298_72 Depth=1
	v_bfe_u32 v4, v5, 16, 1
	v_add3_u32 v4, v5, v4, s15
                                        ; implicit-def: $vgpr5
; %bb.106:                              ;   in Loop: Header=BB298_72 Depth=1
	s_andn2_saveexec_b64 s[8:9], s[8:9]
; %bb.107:                              ;   in Loop: Header=BB298_72 Depth=1
	v_or_b32_e32 v4, 0x10000, v5
	v_cmp_eq_u32_sdwa vcc, v5, v11 src0_sel:WORD_0 src1_sel:DWORD
	s_nop 1
	v_cndmask_b32_e32 v4, v4, v5, vcc
; %bb.108:                              ;   in Loop: Header=BB298_72 Depth=1
	s_or_b64 exec, exec, s[8:9]
	v_bfe_u32 v5, v2, 8, 8
	v_cvt_f32_fp8_sdwa v5, v5 src0_sel:BYTE_0
	s_nop 0
	v_mul_f32_e32 v23, s11, v5
	v_and_b32_e32 v5, 0x7f800000, v23
	v_cmp_ne_u32_e32 vcc, s14, v5
                                        ; implicit-def: $vgpr5
	s_and_saveexec_b64 s[8:9], vcc
	s_xor_b64 s[8:9], exec, s[8:9]
; %bb.109:                              ;   in Loop: Header=BB298_72 Depth=1
	v_bfe_u32 v5, v23, 16, 1
	v_add3_u32 v5, v23, v5, s15
                                        ; implicit-def: $vgpr23
; %bb.110:                              ;   in Loop: Header=BB298_72 Depth=1
	s_andn2_saveexec_b64 s[8:9], s[8:9]
; %bb.111:                              ;   in Loop: Header=BB298_72 Depth=1
	v_or_b32_e32 v5, 0x10000, v23
	v_cmp_eq_u32_sdwa vcc, v23, v11 src0_sel:WORD_0 src1_sel:DWORD
	s_nop 1
	v_cndmask_b32_e32 v5, v5, v23, vcc
; %bb.112:                              ;   in Loop: Header=BB298_72 Depth=1
	s_or_b64 exec, exec, s[8:9]
	v_bfe_u32 v23, v2, 16, 8
	v_cvt_f32_fp8_sdwa v23, v23 src0_sel:BYTE_0
                                        ; implicit-def: $vgpr25
	s_nop 0
	v_mul_f32_e32 v23, s11, v23
	v_and_b32_e32 v24, 0x7f800000, v23
	v_cmp_ne_u32_e32 vcc, s14, v24
	s_and_saveexec_b64 s[8:9], vcc
	s_xor_b64 s[8:9], exec, s[8:9]
; %bb.113:                              ;   in Loop: Header=BB298_72 Depth=1
	v_bfe_u32 v24, v23, 16, 1
	v_add3_u32 v25, v23, v24, s15
                                        ; implicit-def: $vgpr23
; %bb.114:                              ;   in Loop: Header=BB298_72 Depth=1
	s_andn2_saveexec_b64 s[8:9], s[8:9]
; %bb.115:                              ;   in Loop: Header=BB298_72 Depth=1
	v_or_b32_e32 v24, 0x10000, v23
	v_cmp_eq_u32_sdwa vcc, v23, v11 src0_sel:WORD_0 src1_sel:DWORD
	s_nop 1
	v_cndmask_b32_e32 v25, v24, v23, vcc
; %bb.116:                              ;   in Loop: Header=BB298_72 Depth=1
	s_or_b64 exec, exec, s[8:9]
	v_lshrrev_b32_e32 v2, 24, v2
	v_cvt_f32_fp8_sdwa v2, v2 src0_sel:BYTE_0
	s_nop 0
	v_mul_f32_e32 v23, s11, v2
	v_and_b32_e32 v2, 0x7f800000, v23
	v_cmp_ne_u32_e32 vcc, s14, v2
                                        ; implicit-def: $vgpr2
	s_and_saveexec_b64 s[8:9], vcc
	s_xor_b64 s[8:9], exec, s[8:9]
; %bb.117:                              ;   in Loop: Header=BB298_72 Depth=1
	v_bfe_u32 v2, v23, 16, 1
	v_add3_u32 v2, v23, v2, s15
                                        ; implicit-def: $vgpr23
; %bb.118:                              ;   in Loop: Header=BB298_72 Depth=1
	s_andn2_saveexec_b64 s[8:9], s[8:9]
; %bb.119:                              ;   in Loop: Header=BB298_72 Depth=1
	v_or_b32_e32 v2, 0x10000, v23
	v_cmp_eq_u32_sdwa vcc, v23, v11 src0_sel:WORD_0 src1_sel:DWORD
	s_nop 1
	v_cndmask_b32_e32 v2, v2, v23, vcc
; %bb.120:                              ;   in Loop: Header=BB298_72 Depth=1
	s_or_b64 exec, exec, s[8:9]
	v_and_b32_e32 v23, 0xff, v3
	v_cvt_f32_fp8_sdwa v23, v23 src0_sel:BYTE_0
	s_nop 0
	v_mul_f32_e32 v23, s11, v23
	v_and_b32_e32 v24, 0x7f800000, v23
	v_cmp_ne_u32_e32 vcc, s14, v24
                                        ; implicit-def: $vgpr24
	s_and_saveexec_b64 s[8:9], vcc
	s_xor_b64 s[8:9], exec, s[8:9]
; %bb.121:                              ;   in Loop: Header=BB298_72 Depth=1
	v_bfe_u32 v24, v23, 16, 1
	v_add3_u32 v24, v23, v24, s15
                                        ; implicit-def: $vgpr23
; %bb.122:                              ;   in Loop: Header=BB298_72 Depth=1
	s_andn2_saveexec_b64 s[8:9], s[8:9]
; %bb.123:                              ;   in Loop: Header=BB298_72 Depth=1
	v_or_b32_e32 v24, 0x10000, v23
	v_cmp_eq_u32_sdwa vcc, v23, v11 src0_sel:WORD_0 src1_sel:DWORD
	s_nop 1
	v_cndmask_b32_e32 v24, v24, v23, vcc
; %bb.124:                              ;   in Loop: Header=BB298_72 Depth=1
	s_or_b64 exec, exec, s[8:9]
	v_bfe_u32 v23, v3, 8, 8
	v_cvt_f32_fp8_sdwa v23, v23 src0_sel:BYTE_0
	s_nop 0
	v_mul_f32_e32 v26, s11, v23
	v_and_b32_e32 v23, 0x7f800000, v26
	v_cmp_ne_u32_e32 vcc, s14, v23
                                        ; implicit-def: $vgpr23
	s_and_saveexec_b64 s[8:9], vcc
	s_xor_b64 s[8:9], exec, s[8:9]
; %bb.125:                              ;   in Loop: Header=BB298_72 Depth=1
	v_bfe_u32 v23, v26, 16, 1
	v_add3_u32 v23, v26, v23, s15
                                        ; implicit-def: $vgpr26
; %bb.126:                              ;   in Loop: Header=BB298_72 Depth=1
	s_andn2_saveexec_b64 s[8:9], s[8:9]
; %bb.127:                              ;   in Loop: Header=BB298_72 Depth=1
	v_or_b32_e32 v23, 0x10000, v26
	v_cmp_eq_u32_sdwa vcc, v26, v11 src0_sel:WORD_0 src1_sel:DWORD
	s_nop 1
	v_cndmask_b32_e32 v23, v23, v26, vcc
; %bb.128:                              ;   in Loop: Header=BB298_72 Depth=1
	s_or_b64 exec, exec, s[8:9]
	v_bfe_u32 v26, v3, 16, 8
	v_cvt_f32_fp8_sdwa v26, v26 src0_sel:BYTE_0
	s_nop 0
	v_mul_f32_e32 v26, s11, v26
	v_and_b32_e32 v27, 0x7f800000, v26
	v_cmp_ne_u32_e32 vcc, s14, v27
                                        ; implicit-def: $vgpr27
	s_and_saveexec_b64 s[8:9], vcc
	s_xor_b64 s[8:9], exec, s[8:9]
; %bb.129:                              ;   in Loop: Header=BB298_72 Depth=1
	v_bfe_u32 v27, v26, 16, 1
	v_add3_u32 v27, v26, v27, s15
                                        ; implicit-def: $vgpr26
; %bb.130:                              ;   in Loop: Header=BB298_72 Depth=1
	s_andn2_saveexec_b64 s[8:9], s[8:9]
; %bb.131:                              ;   in Loop: Header=BB298_72 Depth=1
	v_or_b32_e32 v27, 0x10000, v26
	v_cmp_eq_u32_sdwa vcc, v26, v11 src0_sel:WORD_0 src1_sel:DWORD
	s_nop 1
	v_cndmask_b32_e32 v27, v27, v26, vcc
; %bb.132:                              ;   in Loop: Header=BB298_72 Depth=1
	s_or_b64 exec, exec, s[8:9]
	v_lshrrev_b32_e32 v3, 24, v3
	v_cvt_f32_fp8_sdwa v3, v3 src0_sel:BYTE_0
                                        ; implicit-def: $vgpr28
	s_nop 0
	v_mul_f32_e32 v3, s11, v3
	v_and_b32_e32 v26, 0x7f800000, v3
	v_cmp_ne_u32_e32 vcc, s14, v26
	s_and_saveexec_b64 s[8:9], vcc
	s_xor_b64 s[8:9], exec, s[8:9]
; %bb.133:                              ;   in Loop: Header=BB298_72 Depth=1
	v_bfe_u32 v26, v3, 16, 1
	v_add3_u32 v28, v3, v26, s15
                                        ; implicit-def: $vgpr3
; %bb.134:                              ;   in Loop: Header=BB298_72 Depth=1
	s_andn2_saveexec_b64 s[8:9], s[8:9]
; %bb.135:                              ;   in Loop: Header=BB298_72 Depth=1
	v_or_b32_e32 v26, 0x10000, v3
	v_cmp_eq_u32_sdwa vcc, v3, v11 src0_sel:WORD_0 src1_sel:DWORD
	s_nop 1
	v_cndmask_b32_e32 v28, v26, v3, vcc
; %bb.136:                              ;   in Loop: Header=BB298_72 Depth=1
	s_or_b64 exec, exec, s[8:9]
	v_lshrrev_b32_e32 v23, 16, v23
	v_lshrrev_b32_e32 v24, 16, v24
	;; [unrolled: 1-line block ×8, first 2 shown]
	v_cmp_eq_u32_e32 vcc, s13, v1
	s_and_saveexec_b64 s[8:9], vcc
	s_cbranch_execz .LBB298_138
; %bb.137:                              ;   in Loop: Header=BB298_72 Depth=1
	v_add_u32_e32 v27, -7, v17
	v_cmp_gt_i32_e32 vcc, s21, v27
	v_add_u32_e32 v27, -6, v17
	s_nop 0
	v_cndmask_b32_e32 v3, 0, v3, vcc
	v_cmp_gt_i32_e32 vcc, s21, v27
	v_add_u32_e32 v27, -5, v17
	s_nop 0
	v_cndmask_b32_e32 v5, 0, v5, vcc
	;; [unrolled: 4-line block ×6, first 2 shown]
	v_cmp_gt_i32_e32 vcc, s21, v27
	s_nop 1
	v_cndmask_b32_e32 v4, 0, v4, vcc
	v_cmp_gt_i32_e32 vcc, s21, v17
	s_nop 1
	v_cndmask_b32_e32 v2, 0, v2, vcc
.LBB298_138:                            ;   in Loop: Header=BB298_72 Depth=1
	s_or_b64 exec, exec, s[8:9]
	v_and_b32_e32 v22, 0xffff0000, v22
	v_lshlrev_b32_e32 v3, 16, v3
	v_mul_f32_e32 v22, v22, v3
	v_and_b32_e32 v3, 0x7f800000, v22
	v_cmp_ne_u32_e32 vcc, s14, v3
                                        ; implicit-def: $vgpr3
	s_and_saveexec_b64 s[8:9], vcc
	s_xor_b64 s[8:9], exec, s[8:9]
; %bb.139:                              ;   in Loop: Header=BB298_72 Depth=1
	v_bfe_u32 v3, v22, 16, 1
	v_add3_u32 v3, v22, v3, s15
                                        ; implicit-def: $vgpr22
; %bb.140:                              ;   in Loop: Header=BB298_72 Depth=1
	s_andn2_saveexec_b64 s[8:9], s[8:9]
; %bb.141:                              ;   in Loop: Header=BB298_72 Depth=1
	v_or_b32_e32 v3, 0x10000, v22
	v_cmp_eq_u32_sdwa vcc, v22, v11 src0_sel:WORD_0 src1_sel:DWORD
	s_nop 1
	v_cndmask_b32_e32 v3, v3, v22, vcc
; %bb.142:                              ;   in Loop: Header=BB298_72 Depth=1
	s_or_b64 exec, exec, s[8:9]
	v_and_b32_e32 v21, 0xffff0000, v21
	v_lshlrev_b32_e32 v5, 16, v5
	v_mul_f32_e32 v21, v21, v5
	v_and_b32_e32 v5, 0x7f800000, v21
	v_cmp_ne_u32_e32 vcc, s14, v5
                                        ; implicit-def: $vgpr5
	s_and_saveexec_b64 s[8:9], vcc
	s_xor_b64 s[8:9], exec, s[8:9]
; %bb.143:                              ;   in Loop: Header=BB298_72 Depth=1
	v_bfe_u32 v5, v21, 16, 1
	v_add3_u32 v5, v21, v5, s15
                                        ; implicit-def: $vgpr21
; %bb.144:                              ;   in Loop: Header=BB298_72 Depth=1
	s_andn2_saveexec_b64 s[8:9], s[8:9]
; %bb.145:                              ;   in Loop: Header=BB298_72 Depth=1
	v_or_b32_e32 v5, 0x10000, v21
	v_cmp_eq_u32_sdwa vcc, v21, v11 src0_sel:WORD_0 src1_sel:DWORD
	s_nop 1
	v_cndmask_b32_e32 v5, v5, v21, vcc
; %bb.146:                              ;   in Loop: Header=BB298_72 Depth=1
	s_or_b64 exec, exec, s[8:9]
	v_and_b32_e32 v20, 0xffff0000, v20
	v_lshlrev_b32_e32 v21, 16, v25
	v_mul_f32_e32 v21, v20, v21
	v_and_b32_e32 v20, 0x7f800000, v21
	v_cmp_ne_u32_e32 vcc, s14, v20
                                        ; implicit-def: $vgpr20
	s_and_saveexec_b64 s[8:9], vcc
	s_xor_b64 s[8:9], exec, s[8:9]
; %bb.147:                              ;   in Loop: Header=BB298_72 Depth=1
	v_bfe_u32 v20, v21, 16, 1
	v_add3_u32 v20, v21, v20, s15
                                        ; implicit-def: $vgpr21
; %bb.148:                              ;   in Loop: Header=BB298_72 Depth=1
	s_andn2_saveexec_b64 s[8:9], s[8:9]
; %bb.149:                              ;   in Loop: Header=BB298_72 Depth=1
	v_or_b32_e32 v20, 0x10000, v21
	v_cmp_eq_u32_sdwa vcc, v21, v11 src0_sel:WORD_0 src1_sel:DWORD
	s_nop 1
	v_cndmask_b32_e32 v20, v20, v21, vcc
; %bb.150:                              ;   in Loop: Header=BB298_72 Depth=1
	s_or_b64 exec, exec, s[8:9]
	v_and_b32_e32 v19, 0xffff0000, v19
	v_lshlrev_b32_e32 v21, 16, v26
	v_mul_f32_e32 v21, v19, v21
	v_and_b32_e32 v19, 0x7f800000, v21
	v_cmp_ne_u32_e32 vcc, s14, v19
                                        ; implicit-def: $vgpr19
	s_and_saveexec_b64 s[8:9], vcc
	s_xor_b64 s[8:9], exec, s[8:9]
; %bb.151:                              ;   in Loop: Header=BB298_72 Depth=1
	v_bfe_u32 v19, v21, 16, 1
	v_add3_u32 v19, v21, v19, s15
                                        ; implicit-def: $vgpr21
; %bb.152:                              ;   in Loop: Header=BB298_72 Depth=1
	s_andn2_saveexec_b64 s[8:9], s[8:9]
; %bb.153:                              ;   in Loop: Header=BB298_72 Depth=1
	v_or_b32_e32 v19, 0x10000, v21
	v_cmp_eq_u32_sdwa vcc, v21, v11 src0_sel:WORD_0 src1_sel:DWORD
	s_nop 1
	v_cndmask_b32_e32 v19, v19, v21, vcc
; %bb.154:                              ;   in Loop: Header=BB298_72 Depth=1
	s_or_b64 exec, exec, s[8:9]
	v_and_b32_e32 v9, 0xffff0000, v9
	v_lshlrev_b32_e32 v21, 16, v24
	v_mul_f32_e32 v21, v9, v21
	v_and_b32_e32 v9, 0x7f800000, v21
	v_cmp_ne_u32_e32 vcc, s14, v9
                                        ; implicit-def: $vgpr9
	s_and_saveexec_b64 s[8:9], vcc
	s_xor_b64 s[8:9], exec, s[8:9]
; %bb.155:                              ;   in Loop: Header=BB298_72 Depth=1
	v_bfe_u32 v9, v21, 16, 1
	v_add3_u32 v9, v21, v9, s15
                                        ; implicit-def: $vgpr21
; %bb.156:                              ;   in Loop: Header=BB298_72 Depth=1
	s_andn2_saveexec_b64 s[8:9], s[8:9]
; %bb.157:                              ;   in Loop: Header=BB298_72 Depth=1
	v_or_b32_e32 v9, 0x10000, v21
	v_cmp_eq_u32_sdwa vcc, v21, v11 src0_sel:WORD_0 src1_sel:DWORD
	s_nop 1
	v_cndmask_b32_e32 v9, v9, v21, vcc
; %bb.158:                              ;   in Loop: Header=BB298_72 Depth=1
	s_or_b64 exec, exec, s[8:9]
	v_and_b32_e32 v8, 0xffff0000, v8
	v_lshlrev_b32_e32 v21, 16, v23
	v_mul_f32_e32 v21, v8, v21
	v_and_b32_e32 v8, 0x7f800000, v21
	v_cmp_ne_u32_e32 vcc, s14, v8
                                        ; implicit-def: $vgpr8
	s_and_saveexec_b64 s[8:9], vcc
	s_xor_b64 s[8:9], exec, s[8:9]
; %bb.159:                              ;   in Loop: Header=BB298_72 Depth=1
	v_bfe_u32 v8, v21, 16, 1
	v_add3_u32 v8, v21, v8, s15
                                        ; implicit-def: $vgpr21
; %bb.160:                              ;   in Loop: Header=BB298_72 Depth=1
	s_andn2_saveexec_b64 s[8:9], s[8:9]
; %bb.161:                              ;   in Loop: Header=BB298_72 Depth=1
	v_or_b32_e32 v8, 0x10000, v21
	v_cmp_eq_u32_sdwa vcc, v21, v11 src0_sel:WORD_0 src1_sel:DWORD
	s_nop 1
	v_cndmask_b32_e32 v8, v8, v21, vcc
; %bb.162:                              ;   in Loop: Header=BB298_72 Depth=1
	s_or_b64 exec, exec, s[8:9]
	v_and_b32_e32 v7, 0xffff0000, v7
	v_lshlrev_b32_e32 v4, 16, v4
	v_mul_f32_e32 v7, v7, v4
	v_and_b32_e32 v4, 0x7f800000, v7
	v_cmp_ne_u32_e32 vcc, s14, v4
                                        ; implicit-def: $vgpr4
	s_and_saveexec_b64 s[8:9], vcc
	s_xor_b64 s[8:9], exec, s[8:9]
; %bb.163:                              ;   in Loop: Header=BB298_72 Depth=1
	v_bfe_u32 v4, v7, 16, 1
	v_add3_u32 v4, v7, v4, s15
                                        ; implicit-def: $vgpr7
; %bb.164:                              ;   in Loop: Header=BB298_72 Depth=1
	s_andn2_saveexec_b64 s[8:9], s[8:9]
; %bb.165:                              ;   in Loop: Header=BB298_72 Depth=1
	v_or_b32_e32 v4, 0x10000, v7
	v_cmp_eq_u32_sdwa vcc, v7, v11 src0_sel:WORD_0 src1_sel:DWORD
	s_nop 1
	v_cndmask_b32_e32 v4, v4, v7, vcc
; %bb.166:                              ;   in Loop: Header=BB298_72 Depth=1
	s_or_b64 exec, exec, s[8:9]
	v_and_b32_e32 v6, 0xffff0000, v6
	v_lshlrev_b32_e32 v2, 16, v2
	v_mul_f32_e32 v2, v6, v2
	v_and_b32_e32 v6, 0x7f800000, v2
	v_cmp_ne_u32_e32 vcc, s14, v6
                                        ; implicit-def: $vgpr6
	s_and_saveexec_b64 s[8:9], vcc
	s_xor_b64 s[8:9], exec, s[8:9]
; %bb.167:                              ;   in Loop: Header=BB298_72 Depth=1
	v_bfe_u32 v6, v2, 16, 1
	v_add3_u32 v6, v2, v6, s15
                                        ; implicit-def: $vgpr2
; %bb.168:                              ;   in Loop: Header=BB298_72 Depth=1
	s_andn2_saveexec_b64 s[8:9], s[8:9]
	s_cbranch_execz .LBB298_71
; %bb.169:                              ;   in Loop: Header=BB298_72 Depth=1
	v_or_b32_e32 v6, 0x10000, v2
	v_cmp_eq_u32_sdwa vcc, v2, v11 src0_sel:WORD_0 src1_sel:DWORD
	s_nop 1
	v_cndmask_b32_e32 v6, v6, v2, vcc
	s_branch .LBB298_71
.LBB298_170:
	s_or_b64 exec, exec, s[2:3]
.LBB298_171:
	s_or_b64 exec, exec, s[0:1]
	v_and_b32_e32 v0, 0x3c0, v0
	v_cmp_eq_u32_e32 vcc, 64, v0
	s_barrier
	s_and_saveexec_b64 s[0:1], vcc
	s_cbranch_execz .LBB298_173
; %bb.172:
	v_mov_b32_e32 v0, 0x90
	v_lshl_add_u32 v0, v16, 2, v0
	ds_write_b32 v0, v10
.LBB298_173:
	s_or_b64 exec, exec, s[0:1]
	s_waitcnt lgkmcnt(0)
	s_barrier
	s_and_saveexec_b64 s[0:1], s[6:7]
	s_cbranch_execz .LBB298_175
; %bb.174:
	v_mov_b32_e32 v0, 0x90
	v_lshl_add_u32 v0, v16, 2, v0
	ds_read_b32 v0, v0
	s_waitcnt lgkmcnt(0)
	v_add_f32_e32 v10, v10, v0
.LBB298_175:
	s_or_b64 exec, exec, s[0:1]
	s_barrier
	s_and_saveexec_b64 s[0:1], s[6:7]
	s_cbranch_execz .LBB298_181
; %bb.176:
	s_mov_b32 s0, 0x7f800000
	v_and_b32_e32 v0, 0x7f800000, v10
	v_cmp_ne_u32_e32 vcc, s0, v0
                                        ; implicit-def: $vgpr0
	s_and_saveexec_b64 s[0:1], vcc
	s_xor_b64 s[0:1], exec, s[0:1]
; %bb.177:
	v_bfe_u32 v0, v10, 16, 1
	s_movk_i32 s2, 0x7fff
	v_add3_u32 v0, v10, v0, s2
                                        ; implicit-def: $vgpr10
; %bb.178:
	s_andn2_saveexec_b64 s[0:1], s[0:1]
; %bb.179:
	v_mov_b32_e32 v0, 0
	v_or_b32_e32 v1, 0x10000, v10
	v_cmp_eq_u32_sdwa vcc, v10, v0 src0_sel:WORD_0 src1_sel:DWORD
	s_nop 1
	v_cndmask_b32_e32 v0, v1, v10, vcc
; %bb.180:
	s_or_b64 exec, exec, s[0:1]
	s_mul_i32 s0, s20, s12
	s_mul_i32 s0, s0, s5
	s_lshl_b32 s0, s0, 6
	s_ashr_i32 s1, s0, 31
	s_lshl_b64 s[0:1], s[0:1], 1
	s_add_u32 s2, s24, s0
	s_mul_i32 s0, s12, s22
	s_addc_u32 s3, s25, s1
	s_ashr_i32 s1, s0, 31
	s_lshl_b64 s[0:1], s[0:1], 1
	s_add_u32 s2, s2, s0
	s_addc_u32 s3, s3, s1
	s_lshl_b32 s0, s4, 6
	s_ashr_i32 s1, s0, 31
	s_lshl_b64 s[0:1], s[0:1], 1
	s_add_u32 s0, s2, s0
	s_addc_u32 s1, s3, s1
	v_lshlrev_b32_e32 v1, 1, v16
	global_store_short_d16_hi v1, v0, s[0:1]
.LBB298_181:
	s_endpgm
	.section	.rodata,"a",@progbits
	.p2align	6, 0x0
	.amdhsa_kernel _ZN4vllm25paged_attention_v1_kernelI14__hip_bfloat16hLi64ELi8ELi128ELNS_18Fp8KVCacheDataTypeE1ELb0EEEvPT_PKS3_PKT0_S9_ifPKiSB_iPKfiiiSD_SD_iiiii
		.amdhsa_group_segment_fixed_size 144
		.amdhsa_private_segment_fixed_size 0
		.amdhsa_kernarg_size 384
		.amdhsa_user_sgpr_count 2
		.amdhsa_user_sgpr_dispatch_ptr 0
		.amdhsa_user_sgpr_queue_ptr 0
		.amdhsa_user_sgpr_kernarg_segment_ptr 1
		.amdhsa_user_sgpr_dispatch_id 0
		.amdhsa_user_sgpr_kernarg_preload_length 0
		.amdhsa_user_sgpr_kernarg_preload_offset 0
		.amdhsa_user_sgpr_private_segment_size 0
		.amdhsa_uses_dynamic_stack 0
		.amdhsa_enable_private_segment 0
		.amdhsa_system_sgpr_workgroup_id_x 1
		.amdhsa_system_sgpr_workgroup_id_y 1
		.amdhsa_system_sgpr_workgroup_id_z 1
		.amdhsa_system_sgpr_workgroup_info 0
		.amdhsa_system_vgpr_workitem_id 0
		.amdhsa_next_free_vgpr 36
		.amdhsa_next_free_sgpr 41
		.amdhsa_accum_offset 36
		.amdhsa_reserve_vcc 1
		.amdhsa_float_round_mode_32 0
		.amdhsa_float_round_mode_16_64 0
		.amdhsa_float_denorm_mode_32 3
		.amdhsa_float_denorm_mode_16_64 3
		.amdhsa_dx10_clamp 1
		.amdhsa_ieee_mode 1
		.amdhsa_fp16_overflow 0
		.amdhsa_tg_split 0
		.amdhsa_exception_fp_ieee_invalid_op 0
		.amdhsa_exception_fp_denorm_src 0
		.amdhsa_exception_fp_ieee_div_zero 0
		.amdhsa_exception_fp_ieee_overflow 0
		.amdhsa_exception_fp_ieee_underflow 0
		.amdhsa_exception_fp_ieee_inexact 0
		.amdhsa_exception_int_div_zero 0
	.end_amdhsa_kernel
	.section	.text._ZN4vllm25paged_attention_v1_kernelI14__hip_bfloat16hLi64ELi8ELi128ELNS_18Fp8KVCacheDataTypeE1ELb0EEEvPT_PKS3_PKT0_S9_ifPKiSB_iPKfiiiSD_SD_iiiii,"axG",@progbits,_ZN4vllm25paged_attention_v1_kernelI14__hip_bfloat16hLi64ELi8ELi128ELNS_18Fp8KVCacheDataTypeE1ELb0EEEvPT_PKS3_PKT0_S9_ifPKiSB_iPKfiiiSD_SD_iiiii,comdat
.Lfunc_end298:
	.size	_ZN4vllm25paged_attention_v1_kernelI14__hip_bfloat16hLi64ELi8ELi128ELNS_18Fp8KVCacheDataTypeE1ELb0EEEvPT_PKS3_PKT0_S9_ifPKiSB_iPKfiiiSD_SD_iiiii, .Lfunc_end298-_ZN4vllm25paged_attention_v1_kernelI14__hip_bfloat16hLi64ELi8ELi128ELNS_18Fp8KVCacheDataTypeE1ELb0EEEvPT_PKS3_PKT0_S9_ifPKiSB_iPKfiiiSD_SD_iiiii
                                        ; -- End function
	.section	.AMDGPU.csdata,"",@progbits
; Kernel info:
; codeLenInByte = 6100
; NumSgprs: 47
; NumVgprs: 36
; NumAgprs: 0
; TotalNumVgprs: 36
; ScratchSize: 0
; MemoryBound: 0
; FloatMode: 240
; IeeeMode: 1
; LDSByteSize: 144 bytes/workgroup (compile time only)
; SGPRBlocks: 5
; VGPRBlocks: 4
; NumSGPRsForWavesPerEU: 47
; NumVGPRsForWavesPerEU: 36
; AccumOffset: 36
; Occupancy: 8
; WaveLimiterHint : 1
; COMPUTE_PGM_RSRC2:SCRATCH_EN: 0
; COMPUTE_PGM_RSRC2:USER_SGPR: 2
; COMPUTE_PGM_RSRC2:TRAP_HANDLER: 0
; COMPUTE_PGM_RSRC2:TGID_X_EN: 1
; COMPUTE_PGM_RSRC2:TGID_Y_EN: 1
; COMPUTE_PGM_RSRC2:TGID_Z_EN: 1
; COMPUTE_PGM_RSRC2:TIDIG_COMP_CNT: 0
; COMPUTE_PGM_RSRC3_GFX90A:ACCUM_OFFSET: 8
; COMPUTE_PGM_RSRC3_GFX90A:TG_SPLIT: 0
	.section	.text._ZN4vllm25paged_attention_v1_kernelI14__hip_bfloat16hLi80ELi8ELi128ELNS_18Fp8KVCacheDataTypeE1ELb0EEEvPT_PKS3_PKT0_S9_ifPKiSB_iPKfiiiSD_SD_iiiii,"axG",@progbits,_ZN4vllm25paged_attention_v1_kernelI14__hip_bfloat16hLi80ELi8ELi128ELNS_18Fp8KVCacheDataTypeE1ELb0EEEvPT_PKS3_PKT0_S9_ifPKiSB_iPKfiiiSD_SD_iiiii,comdat
	.protected	_ZN4vllm25paged_attention_v1_kernelI14__hip_bfloat16hLi80ELi8ELi128ELNS_18Fp8KVCacheDataTypeE1ELb0EEEvPT_PKS3_PKT0_S9_ifPKiSB_iPKfiiiSD_SD_iiiii ; -- Begin function _ZN4vllm25paged_attention_v1_kernelI14__hip_bfloat16hLi80ELi8ELi128ELNS_18Fp8KVCacheDataTypeE1ELb0EEEvPT_PKS3_PKT0_S9_ifPKiSB_iPKfiiiSD_SD_iiiii
	.globl	_ZN4vllm25paged_attention_v1_kernelI14__hip_bfloat16hLi80ELi8ELi128ELNS_18Fp8KVCacheDataTypeE1ELb0EEEvPT_PKS3_PKT0_S9_ifPKiSB_iPKfiiiSD_SD_iiiii
	.p2align	8
	.type	_ZN4vllm25paged_attention_v1_kernelI14__hip_bfloat16hLi80ELi8ELi128ELNS_18Fp8KVCacheDataTypeE1ELb0EEEvPT_PKS3_PKT0_S9_ifPKiSB_iPKfiiiSD_SD_iiiii,@function
_ZN4vllm25paged_attention_v1_kernelI14__hip_bfloat16hLi80ELi8ELi128ELNS_18Fp8KVCacheDataTypeE1ELb0EEEvPT_PKS3_PKT0_S9_ifPKiSB_iPKfiiiSD_SD_iiiii: ; @_ZN4vllm25paged_attention_v1_kernelI14__hip_bfloat16hLi80ELi8ELi128ELNS_18Fp8KVCacheDataTypeE1ELb0EEEvPT_PKS3_PKT0_S9_ifPKiSB_iPKfiiiSD_SD_iiiii
; %bb.0:
	s_load_dword s5, s[0:1], 0x80
	s_load_dwordx2 s[6:7], s[0:1], 0x30
	s_load_dwordx2 s[10:11], s[0:1], 0x20
	s_mov_b32 s20, s3
	s_ashr_i32 s21, s3, 31
	s_lshl_b64 s[8:9], s[20:21], 2
	s_waitcnt lgkmcnt(0)
	s_add_u32 s6, s6, s8
	s_addc_u32 s7, s7, s9
	s_abs_i32 s3, s10
	v_cvt_f32_u32_e32 v1, s3
	s_xor_b32 s8, s5, s10
	s_sub_i32 s10, 0, s3
	s_abs_i32 s9, s5
	v_rcp_iflag_f32_e32 v1, v1
	s_ashr_i32 s8, s8, 31
	v_mul_f32_e32 v1, 0x4f7ffffe, v1
	v_cvt_u32_f32_e32 v1, v1
	s_nop 0
	v_readfirstlane_b32 s12, v1
	s_mul_i32 s10, s10, s12
	s_mul_hi_u32 s10, s12, s10
	s_add_i32 s12, s12, s10
	s_mul_hi_u32 s10, s9, s12
	s_mul_i32 s12, s10, s3
	s_sub_i32 s9, s9, s12
	s_add_i32 s12, s10, 1
	s_sub_i32 s13, s9, s3
	s_cmp_ge_u32 s9, s3
	s_cselect_b32 s10, s12, s10
	s_cselect_b32 s9, s13, s9
	s_add_i32 s12, s10, 1
	s_cmp_ge_u32 s9, s3
	s_cselect_b32 s3, s12, s10
	s_xor_b32 s3, s3, s8
	s_sub_i32 s12, s3, s8
	s_abs_i32 s16, s12
	v_cvt_f32_u32_e32 v1, s16
	s_load_dwordx2 s[8:9], s[0:1], 0x40
	s_sub_i32 s3, 0, s16
	s_abs_i32 s17, s2
	v_rcp_iflag_f32_e32 v1, v1
	s_mov_b32 s10, 0
	v_mul_f32_e32 v1, 0x4f7ffffe, v1
	v_cvt_u32_f32_e32 v1, v1
	s_nop 0
	v_readfirstlane_b32 s13, v1
	s_mul_i32 s3, s3, s13
	s_mul_hi_u32 s3, s13, s3
	s_add_i32 s13, s13, s3
	s_waitcnt lgkmcnt(0)
	s_cmp_eq_u64 s[8:9], 0
	s_mul_hi_u32 s18, s17, s13
	s_cbranch_scc1 .LBB299_2
; %bb.1:
	s_ashr_i32 s3, s2, 31
	s_lshl_b64 s[14:15], s[2:3], 2
	s_add_u32 s8, s8, s14
	s_addc_u32 s9, s9, s15
	s_load_dword s10, s[8:9], 0x0
.LBB299_2:
	s_load_dword s33, s[6:7], 0x0
	s_ashr_i32 s9, s12, 31
	s_load_dwordx4 s[12:15], s[0:1], 0x48
	s_movk_i32 s3, 0x50
	s_ashr_i32 s8, s2, 31
	v_and_b32_e32 v2, 7, v0
	s_mul_i32 s22, s2, 0x50
	v_cmp_gt_u32_e64 s[6:7], s3, v0
	v_lshlrev_b32_e32 v10, 1, v0
	s_and_saveexec_b64 s[2:3], s[6:7]
	s_cbranch_execz .LBB299_4
; %bb.3:
	s_load_dwordx2 s[24:25], s[0:1], 0x8
	s_waitcnt lgkmcnt(0)
	s_mul_i32 s26, s20, s12
	s_ashr_i32 s27, s26, 31
	s_lshl_b64 s[26:27], s[26:27], 1
	v_lshrrev_b32_e32 v3, 2, v0
	s_add_u32 s12, s24, s26
	s_addc_u32 s15, s25, s27
	s_ashr_i32 s23, s22, 31
	s_lshl_b64 s[24:25], s[22:23], 1
	s_add_u32 s24, s12, s24
	s_addc_u32 s25, s15, s25
	global_load_ushort v1, v10, s[24:25]
	v_and_b32_e32 v3, 0xfe, v3
	v_mad_u32_u24 v3, v2, 20, v3
	s_waitcnt vmcnt(0)
	ds_write_b16 v3, v1
.LBB299_4:
	s_or_b64 exec, exec, s[2:3]
	s_waitcnt lgkmcnt(0)
	s_add_i32 s3, s33, 7
	s_ashr_i32 s12, s3, 31
	s_lshr_b32 s12, s12, 29
	s_add_i32 s3, s3, s12
	s_ashr_i32 s23, s3, 3
	s_xor_b32 s3, s8, s9
	s_mul_i32 s8, s18, s16
	s_sub_i32 s8, s17, s8
	s_add_i32 s9, s18, 1
	s_sub_i32 s12, s8, s16
	s_load_dwordx2 s[26:27], s[0:1], 0x28
	s_load_dword s2, s[0:1], 0x38
	s_cmp_ge_u32 s8, s16
	s_cselect_b32 s9, s9, s18
	s_cselect_b32 s8, s12, s8
	s_add_i32 s12, s9, 1
	s_cmp_ge_u32 s8, s16
	s_cselect_b32 s8, s12, s9
	v_lshrrev_b32_e32 v1, 6, v0
	s_xor_b32 s8, s8, s3
	s_waitcnt lgkmcnt(0)
	s_mul_i32 s28, s20, s2
	s_sub_i32 s12, s8, s3
	s_ashr_i32 s29, s28, 31
	v_cmp_gt_i32_e64 s[2:3], s23, v1
	v_cmp_le_i32_e32 vcc, s23, v1
	v_mbcnt_lo_u32_b32 v6, -1, 0
	s_barrier
	s_waitcnt lgkmcnt(0)
                                        ; implicit-def: $sgpr15
                                        ; implicit-def: $vgpr13
                                        ; implicit-def: $vgpr14
	s_and_saveexec_b64 s[8:9], vcc
	s_xor_b64 s[8:9], exec, s[8:9]
; %bb.5:
	v_mbcnt_hi_u32_b32 v13, -1, v6
	v_and_b32_e32 v2, 64, v13
	v_add_u32_e32 v14, 64, v2
	s_mov_b32 s15, 0xff7fffff
                                        ; implicit-def: $vgpr2
                                        ; implicit-def: $vgpr6
; %bb.6:
	s_or_saveexec_b64 s[34:35], s[8:9]
	s_load_dwordx2 s[24:25], s[0:1], 0x0
	s_load_dwordx2 s[30:31], s[0:1], 0x18
	s_load_dword s21, s[0:1], 0x88
	s_load_dwordx4 s[16:19], s[0:1], 0x58
	v_mov_b32_e32 v24, s15
	s_mul_i32 s12, s12, s14
	v_lshrrev_b32_e32 v12, 4, v0
	s_xor_b64 exec, exec, s[34:35]
	s_cbranch_execz .LBB299_52
; %bb.7:
	v_mul_u32_u24_e32 v11, 20, v2
	ds_read2_b32 v[8:9], v11 offset1:1
	ds_read2_b32 v[20:21], v11 offset0:2 offset1:3
	ds_read_b32 v13, v11 offset:16
	s_load_dwordx2 s[0:1], s[0:1], 0x10
	s_ashr_i32 s8, s12, 31
	v_bfe_u32 v7, v0, 3, 3
	s_waitcnt lgkmcnt(0)
	s_load_dword s37, s[16:17], 0x0
	v_lshlrev_b32_e32 v22, 16, v13
	v_and_b32_e32 v23, 0xffff0000, v13
	v_mbcnt_hi_u32_b32 v13, -1, v6
	v_and_b32_e32 v6, 64, v13
	v_add_u32_e32 v14, 64, v6
	v_xor_b32_e32 v6, 4, v13
	v_cmp_lt_i32_e32 vcc, v6, v14
	s_add_u32 s0, s0, s12
	s_addc_u32 s1, s1, s8
	v_cndmask_b32_e32 v6, v13, v6, vcc
	v_lshlrev_b32_e32 v25, 2, v6
	v_xor_b32_e32 v6, 2, v13
	v_cmp_lt_i32_e32 vcc, v6, v14
	s_sub_i32 s38, 1, s33
	s_lshl_b64 s[8:9], s[28:29], 2
	v_cndmask_b32_e32 v6, v13, v6, vcc
	v_lshlrev_b32_e32 v26, 2, v6
	v_xor_b32_e32 v6, 1, v13
	v_cmp_lt_i32_e32 vcc, v6, v14
	v_mov_b32_e32 v3, 0
	s_add_u32 s8, s26, s8
	v_cndmask_b32_e32 v6, v13, v6, vcc
	v_lshlrev_b32_e32 v27, 2, v6
	v_lshlrev_b32_e32 v6, 2, v7
	v_lshl_or_b32 v6, v1, 5, v6
	v_lshlrev_b32_e32 v4, 4, v7
	v_mov_b32_e32 v5, v3
	v_lshl_or_b32 v28, v1, 3, v7
	v_add_u32_e32 v29, 0xb0, v6
	v_and_b32_e32 v6, 60, v12
	v_mov_b32_e32 v7, v3
	s_addc_u32 s9, s27, s9
	s_mov_b32 s36, s13
	v_lshl_add_u64 v[4:5], s[0:1], 0, v[4:5]
	v_lshlrev_b32_e32 v11, 16, v8
	v_and_b32_e32 v15, 0xffff0000, v8
	v_lshlrev_b32_e32 v16, 16, v9
	v_and_b32_e32 v17, 0xffff0000, v9
	;; [unrolled: 2-line block ×4, first 2 shown]
	v_cmp_eq_u32_e32 vcc, 0, v2
	v_cmp_neq_f32_e64 s[0:1], s10, 0
	v_lshl_add_u64 v[6:7], s[8:9], 0, v[6:7]
	s_mov_b64 s[14:15], 0
	v_mov_b32_e32 v24, 0xff7fffff
	s_mov_b32 s39, 0x7f800000
	s_movk_i32 s40, 0x7fff
	v_mov_b32_e32 v30, v1
	s_branch .LBB299_9
.LBB299_8:                              ;   in Loop: Header=BB299_9 Depth=1
	s_or_b64 exec, exec, s[16:17]
	v_add_u32_e32 v30, 2, v30
	v_cmp_le_i32_e64 s[8:9], s23, v30
	v_add_u32_e32 v28, 16, v28
	v_add_u32_e32 v29, 64, v29
	s_or_b64 s[14:15], s[8:9], s[14:15]
	v_lshl_add_u64 v[6:7], v[6:7], 0, 8
	s_andn2_b64 exec, exec, s[14:15]
	s_cbranch_execz .LBB299_51
.LBB299_9:                              ; =>This Inner Loop Header: Depth=1
	global_load_dword v8, v[6:7], off
	s_waitcnt vmcnt(0) lgkmcnt(0)
	v_mad_i64_i32 v[8:9], s[8:9], v8, s36, v[4:5]
	v_lshl_add_u64 v[8:9], v[8:9], 0, v[2:3]
	global_load_ubyte v31, v[8:9], off
	s_waitcnt vmcnt(0)
	v_cvt_f32_fp8_sdwa v31, v31 src0_sel:BYTE_0
	s_waitcnt lgkmcnt(0)
	v_mul_f32_e32 v32, s37, v31
	v_and_b32_e32 v31, 0x7f800000, v32
	v_cmp_ne_u32_e64 s[8:9], s39, v31
                                        ; implicit-def: $vgpr31
	s_and_saveexec_b64 s[16:17], s[8:9]
	s_xor_b64 s[8:9], exec, s[16:17]
; %bb.10:                               ;   in Loop: Header=BB299_9 Depth=1
	v_bfe_u32 v31, v32, 16, 1
	v_add3_u32 v31, v32, v31, s40
                                        ; implicit-def: $vgpr32
; %bb.11:                               ;   in Loop: Header=BB299_9 Depth=1
	s_andn2_saveexec_b64 s[16:17], s[8:9]
; %bb.12:                               ;   in Loop: Header=BB299_9 Depth=1
	v_or_b32_e32 v31, 0x10000, v32
	v_cmp_eq_u32_sdwa s[8:9], v32, v3 src0_sel:WORD_0 src1_sel:DWORD
	s_nop 1
	v_cndmask_b32_e64 v31, v31, v32, s[8:9]
; %bb.13:                               ;   in Loop: Header=BB299_9 Depth=1
	s_or_b64 exec, exec, s[16:17]
	global_load_ubyte v32, v[8:9], off offset:8
	s_waitcnt vmcnt(0)
	v_cvt_f32_fp8_sdwa v32, v32 src0_sel:BYTE_0
	s_nop 0
	v_mul_f32_e32 v33, s37, v32
	v_and_b32_e32 v32, 0x7f800000, v33
	v_cmp_ne_u32_e64 s[8:9], s39, v32
                                        ; implicit-def: $vgpr32
	s_and_saveexec_b64 s[16:17], s[8:9]
	s_xor_b64 s[8:9], exec, s[16:17]
; %bb.14:                               ;   in Loop: Header=BB299_9 Depth=1
	v_bfe_u32 v32, v33, 16, 1
	v_add3_u32 v32, v33, v32, s40
                                        ; implicit-def: $vgpr33
; %bb.15:                               ;   in Loop: Header=BB299_9 Depth=1
	s_andn2_saveexec_b64 s[16:17], s[8:9]
; %bb.16:                               ;   in Loop: Header=BB299_9 Depth=1
	v_or_b32_e32 v32, 0x10000, v33
	v_cmp_eq_u32_sdwa s[8:9], v33, v3 src0_sel:WORD_0 src1_sel:DWORD
	s_nop 1
	v_cndmask_b32_e64 v32, v32, v33, s[8:9]
; %bb.17:                               ;   in Loop: Header=BB299_9 Depth=1
	s_or_b64 exec, exec, s[16:17]
	global_load_ubyte v33, v[8:9], off offset:128
	s_waitcnt vmcnt(0)
	v_cvt_f32_fp8_sdwa v33, v33 src0_sel:BYTE_0
	s_nop 0
	v_mul_f32_e32 v34, s37, v33
	v_and_b32_e32 v33, 0x7f800000, v34
	v_cmp_ne_u32_e64 s[8:9], s39, v33
                                        ; implicit-def: $vgpr33
	s_and_saveexec_b64 s[16:17], s[8:9]
	s_xor_b64 s[8:9], exec, s[16:17]
; %bb.18:                               ;   in Loop: Header=BB299_9 Depth=1
	v_bfe_u32 v33, v34, 16, 1
	v_add3_u32 v33, v34, v33, s40
                                        ; implicit-def: $vgpr34
; %bb.19:                               ;   in Loop: Header=BB299_9 Depth=1
	s_andn2_saveexec_b64 s[16:17], s[8:9]
; %bb.20:                               ;   in Loop: Header=BB299_9 Depth=1
	v_or_b32_e32 v33, 0x10000, v34
	v_cmp_eq_u32_sdwa s[8:9], v34, v3 src0_sel:WORD_0 src1_sel:DWORD
	s_nop 1
	v_cndmask_b32_e64 v33, v33, v34, s[8:9]
; %bb.21:                               ;   in Loop: Header=BB299_9 Depth=1
	s_or_b64 exec, exec, s[16:17]
	global_load_ubyte v34, v[8:9], off offset:136
	s_waitcnt vmcnt(0)
	v_cvt_f32_fp8_sdwa v34, v34 src0_sel:BYTE_0
	s_nop 0
	v_mul_f32_e32 v35, s37, v34
	v_and_b32_e32 v34, 0x7f800000, v35
	v_cmp_ne_u32_e64 s[8:9], s39, v34
                                        ; implicit-def: $vgpr34
	s_and_saveexec_b64 s[16:17], s[8:9]
	s_xor_b64 s[8:9], exec, s[16:17]
; %bb.22:                               ;   in Loop: Header=BB299_9 Depth=1
	v_bfe_u32 v34, v35, 16, 1
	v_add3_u32 v34, v35, v34, s40
                                        ; implicit-def: $vgpr35
; %bb.23:                               ;   in Loop: Header=BB299_9 Depth=1
	s_andn2_saveexec_b64 s[16:17], s[8:9]
; %bb.24:                               ;   in Loop: Header=BB299_9 Depth=1
	v_or_b32_e32 v34, 0x10000, v35
	v_cmp_eq_u32_sdwa s[8:9], v35, v3 src0_sel:WORD_0 src1_sel:DWORD
	s_nop 1
	v_cndmask_b32_e64 v34, v34, v35, s[8:9]
; %bb.25:                               ;   in Loop: Header=BB299_9 Depth=1
	s_or_b64 exec, exec, s[16:17]
	global_load_ubyte v35, v[8:9], off offset:256
	s_waitcnt vmcnt(0)
	v_cvt_f32_fp8_sdwa v35, v35 src0_sel:BYTE_0
	s_nop 0
	v_mul_f32_e32 v36, s37, v35
	v_and_b32_e32 v35, 0x7f800000, v36
	v_cmp_ne_u32_e64 s[8:9], s39, v35
                                        ; implicit-def: $vgpr35
	s_and_saveexec_b64 s[16:17], s[8:9]
	s_xor_b64 s[8:9], exec, s[16:17]
; %bb.26:                               ;   in Loop: Header=BB299_9 Depth=1
	v_bfe_u32 v35, v36, 16, 1
	v_add3_u32 v35, v36, v35, s40
                                        ; implicit-def: $vgpr36
; %bb.27:                               ;   in Loop: Header=BB299_9 Depth=1
	s_andn2_saveexec_b64 s[16:17], s[8:9]
; %bb.28:                               ;   in Loop: Header=BB299_9 Depth=1
	v_or_b32_e32 v35, 0x10000, v36
	v_cmp_eq_u32_sdwa s[8:9], v36, v3 src0_sel:WORD_0 src1_sel:DWORD
	s_nop 1
	v_cndmask_b32_e64 v35, v35, v36, s[8:9]
; %bb.29:                               ;   in Loop: Header=BB299_9 Depth=1
	s_or_b64 exec, exec, s[16:17]
	global_load_ubyte v36, v[8:9], off offset:264
	s_waitcnt vmcnt(0)
	v_cvt_f32_fp8_sdwa v36, v36 src0_sel:BYTE_0
	s_nop 0
	v_mul_f32_e32 v37, s37, v36
	v_and_b32_e32 v36, 0x7f800000, v37
	v_cmp_ne_u32_e64 s[8:9], s39, v36
                                        ; implicit-def: $vgpr36
	s_and_saveexec_b64 s[16:17], s[8:9]
	s_xor_b64 s[8:9], exec, s[16:17]
; %bb.30:                               ;   in Loop: Header=BB299_9 Depth=1
	v_bfe_u32 v36, v37, 16, 1
	v_add3_u32 v36, v37, v36, s40
                                        ; implicit-def: $vgpr37
; %bb.31:                               ;   in Loop: Header=BB299_9 Depth=1
	s_andn2_saveexec_b64 s[16:17], s[8:9]
; %bb.32:                               ;   in Loop: Header=BB299_9 Depth=1
	v_or_b32_e32 v36, 0x10000, v37
	v_cmp_eq_u32_sdwa s[8:9], v37, v3 src0_sel:WORD_0 src1_sel:DWORD
	s_nop 1
	v_cndmask_b32_e64 v36, v36, v37, s[8:9]
; %bb.33:                               ;   in Loop: Header=BB299_9 Depth=1
	s_or_b64 exec, exec, s[16:17]
	global_load_ubyte v37, v[8:9], off offset:384
	s_waitcnt vmcnt(0)
	v_cvt_f32_fp8_sdwa v37, v37 src0_sel:BYTE_0
	s_nop 0
	v_mul_f32_e32 v38, s37, v37
	v_and_b32_e32 v37, 0x7f800000, v38
	v_cmp_ne_u32_e64 s[8:9], s39, v37
                                        ; implicit-def: $vgpr37
	s_and_saveexec_b64 s[16:17], s[8:9]
	s_xor_b64 s[8:9], exec, s[16:17]
; %bb.34:                               ;   in Loop: Header=BB299_9 Depth=1
	v_bfe_u32 v37, v38, 16, 1
	v_add3_u32 v37, v38, v37, s40
                                        ; implicit-def: $vgpr38
; %bb.35:                               ;   in Loop: Header=BB299_9 Depth=1
	s_andn2_saveexec_b64 s[16:17], s[8:9]
; %bb.36:                               ;   in Loop: Header=BB299_9 Depth=1
	v_or_b32_e32 v37, 0x10000, v38
	v_cmp_eq_u32_sdwa s[8:9], v38, v3 src0_sel:WORD_0 src1_sel:DWORD
	s_nop 1
	v_cndmask_b32_e64 v37, v37, v38, s[8:9]
; %bb.37:                               ;   in Loop: Header=BB299_9 Depth=1
	s_or_b64 exec, exec, s[16:17]
	global_load_ubyte v38, v[8:9], off offset:392
	s_waitcnt vmcnt(0)
	v_cvt_f32_fp8_sdwa v38, v38 src0_sel:BYTE_0
	s_nop 0
	v_mul_f32_e32 v39, s37, v38
	v_and_b32_e32 v38, 0x7f800000, v39
	v_cmp_ne_u32_e64 s[8:9], s39, v38
                                        ; implicit-def: $vgpr38
	s_and_saveexec_b64 s[16:17], s[8:9]
	s_xor_b64 s[8:9], exec, s[16:17]
; %bb.38:                               ;   in Loop: Header=BB299_9 Depth=1
	v_bfe_u32 v38, v39, 16, 1
	v_add3_u32 v38, v39, v38, s40
                                        ; implicit-def: $vgpr39
; %bb.39:                               ;   in Loop: Header=BB299_9 Depth=1
	s_andn2_saveexec_b64 s[16:17], s[8:9]
; %bb.40:                               ;   in Loop: Header=BB299_9 Depth=1
	v_or_b32_e32 v38, 0x10000, v39
	v_cmp_eq_u32_sdwa s[8:9], v39, v3 src0_sel:WORD_0 src1_sel:DWORD
	s_nop 1
	v_cndmask_b32_e64 v38, v38, v39, s[8:9]
; %bb.41:                               ;   in Loop: Header=BB299_9 Depth=1
	s_or_b64 exec, exec, s[16:17]
	global_load_ubyte v39, v[8:9], off offset:512
	s_waitcnt vmcnt(0)
	v_cvt_f32_fp8_sdwa v39, v39 src0_sel:BYTE_0
	s_nop 0
	v_mul_f32_e32 v40, s37, v39
	v_and_b32_e32 v39, 0x7f800000, v40
	v_cmp_ne_u32_e64 s[8:9], s39, v39
                                        ; implicit-def: $vgpr39
	s_and_saveexec_b64 s[16:17], s[8:9]
	s_xor_b64 s[8:9], exec, s[16:17]
; %bb.42:                               ;   in Loop: Header=BB299_9 Depth=1
	v_bfe_u32 v39, v40, 16, 1
	v_add3_u32 v39, v40, v39, s40
                                        ; implicit-def: $vgpr40
; %bb.43:                               ;   in Loop: Header=BB299_9 Depth=1
	s_andn2_saveexec_b64 s[16:17], s[8:9]
; %bb.44:                               ;   in Loop: Header=BB299_9 Depth=1
	v_or_b32_e32 v39, 0x10000, v40
	v_cmp_eq_u32_sdwa s[8:9], v40, v3 src0_sel:WORD_0 src1_sel:DWORD
	s_nop 1
	v_cndmask_b32_e64 v39, v39, v40, s[8:9]
; %bb.45:                               ;   in Loop: Header=BB299_9 Depth=1
	s_or_b64 exec, exec, s[16:17]
	global_load_ubyte v8, v[8:9], off offset:520
	s_waitcnt vmcnt(0)
	v_cvt_f32_fp8_sdwa v8, v8 src0_sel:BYTE_0
	s_nop 0
	v_mul_f32_e32 v9, s37, v8
	v_and_b32_e32 v8, 0x7f800000, v9
	v_cmp_ne_u32_e64 s[8:9], s39, v8
                                        ; implicit-def: $vgpr8
	s_and_saveexec_b64 s[16:17], s[8:9]
	s_xor_b64 s[8:9], exec, s[16:17]
; %bb.46:                               ;   in Loop: Header=BB299_9 Depth=1
	v_bfe_u32 v8, v9, 16, 1
	v_add3_u32 v8, v9, v8, s40
                                        ; implicit-def: $vgpr9
; %bb.47:                               ;   in Loop: Header=BB299_9 Depth=1
	s_andn2_saveexec_b64 s[16:17], s[8:9]
; %bb.48:                               ;   in Loop: Header=BB299_9 Depth=1
	v_or_b32_e32 v8, 0x10000, v9
	v_cmp_eq_u32_sdwa s[8:9], v9, v3 src0_sel:WORD_0 src1_sel:DWORD
	s_nop 1
	v_cndmask_b32_e64 v8, v8, v9, s[8:9]
; %bb.49:                               ;   in Loop: Header=BB299_9 Depth=1
	s_or_b64 exec, exec, s[16:17]
	v_and_b32_e32 v32, 0xffff0000, v32
	v_and_b32_e32 v31, 0xffff0000, v31
	v_mul_f32_e32 v32, v15, v32
	v_and_b32_e32 v33, 0xffff0000, v33
	v_fmac_f32_e32 v32, v11, v31
	v_and_b32_e32 v34, 0xffff0000, v34
	v_fmac_f32_e32 v32, v16, v33
	;; [unrolled: 2-line block ×8, first 2 shown]
	v_fmac_f32_e32 v32, v23, v8
	ds_bpermute_b32 v8, v25, v32
	s_waitcnt lgkmcnt(0)
	v_add_f32_e32 v8, v32, v8
	ds_bpermute_b32 v9, v26, v8
	s_waitcnt lgkmcnt(0)
	v_add_f32_e32 v8, v8, v9
	ds_bpermute_b32 v9, v27, v8
	s_and_saveexec_b64 s[16:17], vcc
	s_cbranch_execz .LBB299_8
; %bb.50:                               ;   in Loop: Header=BB299_9 Depth=1
	v_add_u32_e32 v31, s38, v28
	v_cvt_f32_i32_e32 v31, v31
	s_waitcnt lgkmcnt(0)
	v_add_f32_e32 v8, v8, v9
	v_cmp_gt_i32_e64 s[8:9], s33, v28
	v_max_f32_e32 v9, v24, v24
	v_mul_f32_e32 v31, s10, v31
	v_cndmask_b32_e64 v31, 0, v31, s[0:1]
	v_fmac_f32_e32 v31, s11, v8
	v_cndmask_b32_e64 v8, 0, v31, s[8:9]
	ds_write_b32 v29, v8
	v_max_f32_e32 v8, v9, v31
	v_cndmask_b32_e64 v24, v24, v8, s[8:9]
	s_branch .LBB299_8
.LBB299_51:
	s_or_b64 exec, exec, s[14:15]
.LBB299_52:
	s_or_b64 exec, exec, s[34:35]
	v_xor_b32_e32 v2, 32, v13
	v_cmp_lt_i32_e32 vcc, v2, v14
	v_xor_b32_e32 v5, 16, v13
	v_max_f32_e32 v4, v24, v24
	v_cndmask_b32_e32 v2, v13, v2, vcc
	v_lshlrev_b32_e32 v3, 2, v2
	ds_bpermute_b32 v2, v3, v24
	v_cmp_lt_i32_e32 vcc, v5, v14
	v_xor_b32_e32 v6, 8, v13
	v_and_b32_e32 v11, 63, v0
	s_waitcnt lgkmcnt(0)
	v_max_f32_e32 v2, v2, v2
	v_max_f32_e32 v2, v4, v2
	v_cndmask_b32_e32 v4, v13, v5, vcc
	v_lshlrev_b32_e32 v5, 2, v4
	ds_bpermute_b32 v4, v5, v2
	v_cmp_lt_i32_e32 vcc, v6, v14
	s_waitcnt lgkmcnt(0)
	v_max_f32_e32 v4, v4, v4
	v_max_f32_e32 v4, v2, v4
	v_cndmask_b32_e32 v2, v13, v6, vcc
	v_lshlrev_b32_e32 v7, 2, v2
	ds_bpermute_b32 v6, v7, v4
	v_cmp_eq_u32_e32 vcc, 0, v11
	v_lshlrev_b32_e32 v2, 2, v1
	s_and_saveexec_b64 s[0:1], vcc
	s_cbranch_execz .LBB299_54
; %bb.53:
	s_waitcnt lgkmcnt(0)
	v_max_f32_e32 v6, v6, v6
	v_max_f32_e32 v4, v4, v4
	v_max_f32_e32 v4, v4, v6
	ds_write_b32 v2, v4 offset:160
.LBB299_54:
	s_or_b64 exec, exec, s[0:1]
	v_cmp_gt_u32_e64 s[0:1], 2, v11
	v_mov_b32_e32 v8, 0xff7fffff
	v_lshlrev_b32_e32 v4, 2, v11
	s_waitcnt lgkmcnt(0)
	s_barrier
	s_and_saveexec_b64 s[8:9], s[0:1]
	s_cbranch_execz .LBB299_56
; %bb.55:
	ds_read_b32 v8, v4 offset:160
.LBB299_56:
	s_or_b64 exec, exec, s[8:9]
	v_xor_b32_e32 v6, 1, v13
	v_cmp_lt_i32_e64 s[8:9], v6, v14
	v_lshlrev_b32_e32 v15, 2, v13
	s_nop 0
	v_cndmask_b32_e64 v6, v13, v6, s[8:9]
	v_lshlrev_b32_e32 v6, 2, v6
	s_waitcnt lgkmcnt(0)
	ds_bpermute_b32 v9, v6, v8
	v_max_f32_e32 v8, v8, v8
	s_lshl_b32 s8, s23, 3
	s_min_i32 s34, s8, s33
	v_cmp_gt_i32_e64 s[8:9], s34, v0
	s_waitcnt lgkmcnt(0)
	v_max_f32_e32 v9, v9, v9
	v_max_f32_e32 v9, v8, v9
	v_and_b32_e32 v8, 0xffffff00, v15
	ds_bpermute_b32 v15, v8, v9
	v_mov_b32_e32 v9, 0
	s_and_saveexec_b64 s[14:15], s[8:9]
	s_cbranch_execz .LBB299_60
; %bb.57:
	v_mov_b32_e32 v9, 0xb0
	v_lshl_add_u32 v16, v0, 2, v9
	s_mov_b64 s[16:17], 0
	v_mov_b32_e32 v9, 0
	v_mov_b32_e32 v17, v0
.LBB299_58:                             ; =>This Inner Loop Header: Depth=1
	ds_read_b32 v18, v16
	v_add_u32_e32 v17, 0x80, v17
	v_cmp_le_i32_e64 s[10:11], s34, v17
	s_or_b64 s[16:17], s[10:11], s[16:17]
	s_waitcnt lgkmcnt(0)
	v_sub_f32_e32 v18, v18, v15
	v_mul_f32_e32 v18, 0x3fb8aa3b, v18
	v_exp_f32_e32 v18, v18
	ds_write_b32 v16, v18
	v_add_f32_e32 v9, v9, v18
	v_add_u32_e32 v16, 0x200, v16
	s_andn2_b64 exec, exec, s[16:17]
	s_cbranch_execnz .LBB299_58
; %bb.59:
	s_or_b64 exec, exec, s[16:17]
.LBB299_60:
	s_or_b64 exec, exec, s[14:15]
	ds_bpermute_b32 v3, v3, v9
	s_waitcnt lgkmcnt(0)
	v_add_f32_e32 v3, v9, v3
	ds_bpermute_b32 v5, v5, v3
	s_waitcnt lgkmcnt(0)
	v_add_f32_e32 v3, v3, v5
	ds_bpermute_b32 v5, v7, v3
	v_xor_b32_e32 v7, 4, v13
	v_cmp_lt_i32_e64 s[10:11], v7, v14
	s_waitcnt lgkmcnt(0)
	v_add_f32_e32 v3, v3, v5
	v_cndmask_b32_e64 v7, v13, v7, s[10:11]
	v_lshlrev_b32_e32 v7, 2, v7
	ds_bpermute_b32 v5, v7, v3
	v_xor_b32_e32 v7, 2, v13
	v_cmp_lt_i32_e64 s[10:11], v7, v14
	s_waitcnt lgkmcnt(0)
	v_add_f32_e32 v3, v3, v5
	v_cndmask_b32_e64 v7, v13, v7, s[10:11]
	v_lshlrev_b32_e32 v5, 2, v7
	ds_bpermute_b32 v5, v5, v3
	s_waitcnt lgkmcnt(0)
	v_add_f32_e32 v3, v3, v5
	ds_bpermute_b32 v5, v6, v3
	s_waitcnt lgkmcnt(0)
	v_add_f32_e32 v3, v3, v5
	s_and_saveexec_b64 s[10:11], vcc
	s_cbranch_execz .LBB299_62
; %bb.61:
	ds_write_b32 v2, v3 offset:168
.LBB299_62:
	s_or_b64 exec, exec, s[10:11]
	s_waitcnt lgkmcnt(0)
	s_barrier
	s_and_saveexec_b64 s[10:11], s[0:1]
	s_cbranch_execz .LBB299_64
; %bb.63:
	ds_read_b32 v3, v4 offset:168
.LBB299_64:
	s_or_b64 exec, exec, s[10:11]
	s_waitcnt lgkmcnt(0)
	ds_bpermute_b32 v2, v6, v3
	s_waitcnt lgkmcnt(0)
	v_add_f32_e32 v2, v3, v2
	ds_bpermute_b32 v2, v8, v2
	s_and_saveexec_b64 s[0:1], s[8:9]
	s_cbranch_execz .LBB299_77
; %bb.65:
	s_waitcnt lgkmcnt(0)
	v_add_f32_e32 v2, 0x358637bd, v2
	v_div_scale_f32 v3, s[8:9], v2, v2, 1.0
	v_rcp_f32_e32 v4, v3
	v_div_scale_f32 v5, vcc, 1.0, v2, 1.0
	s_movk_i32 s8, 0x7f
	v_fma_f32 v6, -v3, v4, 1.0
	v_fmac_f32_e32 v4, v6, v4
	v_mul_f32_e32 v6, v5, v4
	v_fma_f32 v7, -v3, v6, v5
	v_fmac_f32_e32 v6, v7, v4
	v_fma_f32 v3, -v3, v6, v5
	v_div_fmas_f32 v3, v3, v4, v6
	v_xad_u32 v4, v0, -1, s34
	v_div_fixup_f32 v2, v3, v2, 1.0
	v_cmp_lt_u32_e32 vcc, s8, v4
	s_mov_b64 s[10:11], -1
	v_mov_b32_e32 v3, v0
	s_and_saveexec_b64 s[8:9], vcc
	s_cbranch_execz .LBB299_74
; %bb.66:
	v_lshrrev_b32_e32 v4, 7, v4
	v_add_u32_e32 v6, -1, v4
	v_lshrrev_b32_e32 v5, 1, v6
	v_mov_b32_e32 v3, v2
	v_add_u32_e32 v5, 1, v5
	v_cmp_lt_u32_e32 vcc, 13, v6
	v_mov_b32_e32 v8, 0
	s_and_saveexec_b64 s[10:11], vcc
	s_cbranch_execz .LBB299_70
; %bb.67:
	v_mov_b32_e32 v7, 0xb0
	v_and_b32_e32 v6, -8, v5
	v_lshl_add_u32 v7, v0, 2, v7
	s_mov_b32 s16, 0
	s_mov_b64 s[14:15], 0
.LBB299_68:                             ; =>This Inner Loop Header: Depth=1
	ds_read2st64_b32 v[8:9], v7 offset1:2
	ds_read2st64_b32 v[14:15], v7 offset0:4 offset1:6
	ds_read2st64_b32 v[16:17], v7 offset0:8 offset1:10
	;; [unrolled: 1-line block ×3, first 2 shown]
	v_add_u32_e32 v6, -8, v6
	s_waitcnt lgkmcnt(3)
	v_pk_mul_f32 v[8:9], v[2:3], v[8:9]
	s_waitcnt lgkmcnt(2)
	v_pk_mul_f32 v[14:15], v[2:3], v[14:15]
	ds_write2st64_b32 v7, v8, v9 offset1:2
	ds_write2st64_b32 v7, v14, v15 offset0:4 offset1:6
	ds_read2st64_b32 v[14:15], v7 offset0:16 offset1:18
	s_waitcnt lgkmcnt(4)
	v_pk_mul_f32 v[8:9], v[2:3], v[16:17]
	ds_write2st64_b32 v7, v8, v9 offset0:8 offset1:10
	s_waitcnt lgkmcnt(4)
	v_pk_mul_f32 v[8:9], v[2:3], v[18:19]
	ds_write2st64_b32 v7, v8, v9 offset0:12 offset1:14
	ds_read2st64_b32 v[8:9], v7 offset0:20 offset1:22
	s_waitcnt lgkmcnt(3)
	v_pk_mul_f32 v[14:15], v[2:3], v[14:15]
	ds_read2st64_b32 v[16:17], v7 offset0:24 offset1:26
	ds_write2st64_b32 v7, v14, v15 offset0:16 offset1:18
	ds_read2st64_b32 v[14:15], v7 offset0:28 offset1:30
	s_waitcnt lgkmcnt(3)
	v_pk_mul_f32 v[8:9], v[2:3], v[8:9]
	ds_write2st64_b32 v7, v8, v9 offset0:20 offset1:22
	s_waitcnt lgkmcnt(3)
	v_pk_mul_f32 v[8:9], v[2:3], v[16:17]
	ds_write2st64_b32 v7, v8, v9 offset0:24 offset1:26
	s_waitcnt lgkmcnt(2)
	v_pk_mul_f32 v[8:9], v[2:3], v[14:15]
	s_add_i32 s16, s16, 16
	v_cmp_eq_u32_e32 vcc, 0, v6
	ds_write2st64_b32 v7, v8, v9 offset0:28 offset1:30
	v_add_u32_e32 v7, 0x2000, v7
	s_or_b64 s[14:15], vcc, s[14:15]
	v_mov_b32_e32 v8, s16
	s_andn2_b64 exec, exec, s[14:15]
	s_cbranch_execnz .LBB299_68
; %bb.69:
	s_or_b64 exec, exec, s[14:15]
.LBB299_70:
	s_or_b64 exec, exec, s[10:11]
	v_and_b32_e32 v5, 7, v5
	v_cmp_ne_u32_e32 vcc, 0, v5
	s_and_saveexec_b64 s[10:11], vcc
	s_cbranch_execz .LBB299_73
; %bb.71:
	v_lshlrev_b32_e32 v6, 9, v8
	v_lshlrev_b32_e32 v7, 2, v0
	s_movk_i32 s14, 0xb0
	v_add3_u32 v6, v6, v7, s14
	s_mov_b64 s[14:15], 0
.LBB299_72:                             ; =>This Inner Loop Header: Depth=1
	ds_read2st64_b32 v[8:9], v6 offset1:2
	v_add_u32_e32 v5, -1, v5
	v_cmp_eq_u32_e32 vcc, 0, v5
	s_or_b64 s[14:15], vcc, s[14:15]
	s_waitcnt lgkmcnt(0)
	v_pk_mul_f32 v[8:9], v[2:3], v[8:9]
	ds_write2st64_b32 v6, v8, v9 offset1:2
	v_add_u32_e32 v6, 0x400, v6
	s_andn2_b64 exec, exec, s[14:15]
	s_cbranch_execnz .LBB299_72
.LBB299_73:
	s_or_b64 exec, exec, s[10:11]
	v_add_u32_e32 v4, 1, v4
	v_and_b32_e32 v5, 0x3fffffe, v4
	v_cmp_ne_u32_e32 vcc, v4, v5
	v_lshl_add_u32 v3, v5, 7, v0
	s_orn2_b64 s[10:11], vcc, exec
.LBB299_74:
	s_or_b64 exec, exec, s[8:9]
	s_and_b64 exec, exec, s[10:11]
	s_cbranch_execz .LBB299_77
; %bb.75:
	v_mov_b32_e32 v4, 0xb0
	v_lshl_add_u32 v4, v3, 2, v4
	s_mov_b64 s[8:9], 0
.LBB299_76:                             ; =>This Inner Loop Header: Depth=1
	ds_read_b32 v5, v4
	v_add_u32_e32 v3, 0x80, v3
	v_cmp_le_i32_e32 vcc, s34, v3
	s_or_b64 s[8:9], vcc, s[8:9]
	s_waitcnt lgkmcnt(0)
	v_mul_f32_e32 v5, v2, v5
	ds_write_b32 v4, v5
	v_add_u32_e32 v4, 0x200, v4
	s_andn2_b64 exec, exec, s[8:9]
	s_cbranch_execnz .LBB299_76
.LBB299_77:
	s_or_b64 exec, exec, s[0:1]
	v_mov_b32_e32 v13, 0
	s_waitcnt lgkmcnt(0)
	v_mov_b32_e32 v2, v13
	s_barrier
	s_and_saveexec_b64 s[8:9], s[2:3]
	s_cbranch_execz .LBB299_247
; %bb.78:
	s_ashr_i32 s0, s12, 31
	s_add_u32 s10, s30, s12
	s_addc_u32 s11, s31, s0
	s_load_dword s18, s[18:19], 0x0
	v_or_b32_e32 v2, 64, v11
	s_movk_i32 s0, 0x50
	s_add_i32 s30, s23, -1
	v_cmp_gt_u32_e32 vcc, s0, v2
	s_lshl_b64 s[0:1], s[28:29], 2
	v_mov_b32_e32 v15, 0
	v_lshlrev_b32_e32 v16, 3, v2
	v_mov_b32_e32 v2, 0xb0
	s_add_u32 s0, s26, s0
	v_lshl_add_u32 v21, v1, 5, v2
	v_and_b32_e32 v2, 60, v12
	v_mov_b32_e32 v3, v15
	s_addc_u32 s1, s27, s1
	s_mov_b32 s34, s13
	v_lshlrev_b32_e32 v14, 3, v11
	v_mov_b32_e32 v17, v15
	v_lshl_or_b32 v20, v1, 3, 7
	v_lshl_add_u64 v[18:19], s[0:1], 0, v[2:3]
	s_mov_b64 s[12:13], 0
	s_mov_b32 s19, 0x7f800000
	s_movk_i32 s26, 0x7fff
	v_mov_b32_e32 v12, v15
	v_mov_b32_e32 v13, v15
	s_branch .LBB299_81
.LBB299_79:                             ;   in Loop: Header=BB299_81 Depth=1
	s_or_b64 exec, exec, s[2:3]
	v_and_b32_e32 v25, 0xffff0000, v5
	v_and_b32_e32 v24, 0xffff0000, v9
	;; [unrolled: 1-line block ×6, first 2 shown]
	v_pk_add_f32 v[4:5], v[4:5], v[8:9]
	v_and_b32_e32 v23, 0xffff0000, v23
	v_and_b32_e32 v22, 0xffff0000, v22
	v_mov_b32_e32 v6, v5
	v_pk_add_f32 v[4:5], v[4:5], v[6:7]
	v_pk_add_f32 v[6:7], v[24:25], v[22:23]
	s_nop 0
	v_pk_add_f32 v[4:5], v[4:5], v[6:7]
	v_mov_b32_e32 v6, v7
	v_pk_add_f32 v[4:5], v[4:5], v[6:7]
	s_nop 0
	v_mov_b32_e32 v3, v4
	v_pk_add_f32 v[12:13], v[12:13], v[2:3]
.LBB299_80:                             ;   in Loop: Header=BB299_81 Depth=1
	s_or_b64 exec, exec, s[14:15]
	v_add_u32_e32 v1, 2, v1
	v_cmp_le_i32_e64 s[0:1], s23, v1
	v_add_u32_e32 v20, 16, v20
	v_add_u32_e32 v21, 64, v21
	v_lshl_add_u64 v[18:19], v[18:19], 0, 8
	s_or_b64 s[12:13], s[0:1], s[12:13]
	v_mov_b32_e32 v12, v2
	s_andn2_b64 exec, exec, s[12:13]
	s_cbranch_execz .LBB299_246
.LBB299_81:                             ; =>This Inner Loop Header: Depth=1
	global_load_dword v30, v[18:19], off
	ds_read2_b64 v[6:9], v21 offset1:1
	ds_read2_b64 v[2:5], v21 offset0:2 offset1:3
                                        ; implicit-def: $vgpr29
	s_waitcnt lgkmcnt(0)
	v_and_b32_e32 v22, 0x7f800000, v6
	v_cmp_ne_u32_e64 s[0:1], s19, v22
	s_and_saveexec_b64 s[2:3], s[0:1]
	s_xor_b64 s[0:1], exec, s[2:3]
; %bb.82:                               ;   in Loop: Header=BB299_81 Depth=1
	v_bfe_u32 v22, v6, 16, 1
	v_add3_u32 v29, v6, v22, s26
; %bb.83:                               ;   in Loop: Header=BB299_81 Depth=1
	s_andn2_saveexec_b64 s[2:3], s[0:1]
; %bb.84:                               ;   in Loop: Header=BB299_81 Depth=1
	v_or_b32_e32 v22, 0x10000, v6
	v_cmp_eq_u32_sdwa s[0:1], v6, v15 src0_sel:WORD_0 src1_sel:DWORD
	s_nop 1
	v_cndmask_b32_e64 v29, v22, v6, s[0:1]
; %bb.85:                               ;   in Loop: Header=BB299_81 Depth=1
	s_or_b64 exec, exec, s[2:3]
	v_and_b32_e32 v6, 0x7f800000, v7
	v_cmp_ne_u32_e64 s[0:1], s19, v6
                                        ; implicit-def: $vgpr28
	s_and_saveexec_b64 s[2:3], s[0:1]
	s_xor_b64 s[0:1], exec, s[2:3]
; %bb.86:                               ;   in Loop: Header=BB299_81 Depth=1
	v_bfe_u32 v6, v7, 16, 1
	v_add3_u32 v28, v7, v6, s26
; %bb.87:                               ;   in Loop: Header=BB299_81 Depth=1
	s_andn2_saveexec_b64 s[2:3], s[0:1]
; %bb.88:                               ;   in Loop: Header=BB299_81 Depth=1
	v_or_b32_e32 v6, 0x10000, v7
	v_cmp_eq_u32_sdwa s[0:1], v7, v15 src0_sel:WORD_0 src1_sel:DWORD
	s_nop 1
	v_cndmask_b32_e64 v28, v6, v7, s[0:1]
; %bb.89:                               ;   in Loop: Header=BB299_81 Depth=1
	s_or_b64 exec, exec, s[2:3]
	v_and_b32_e32 v6, 0x7f800000, v8
	v_cmp_ne_u32_e64 s[0:1], s19, v6
                                        ; implicit-def: $vgpr27
	s_and_saveexec_b64 s[2:3], s[0:1]
	s_xor_b64 s[0:1], exec, s[2:3]
; %bb.90:                               ;   in Loop: Header=BB299_81 Depth=1
	v_bfe_u32 v6, v8, 16, 1
	v_add3_u32 v27, v8, v6, s26
; %bb.91:                               ;   in Loop: Header=BB299_81 Depth=1
	s_andn2_saveexec_b64 s[2:3], s[0:1]
; %bb.92:                               ;   in Loop: Header=BB299_81 Depth=1
	v_or_b32_e32 v6, 0x10000, v8
	v_cmp_eq_u32_sdwa s[0:1], v8, v15 src0_sel:WORD_0 src1_sel:DWORD
	s_nop 1
	v_cndmask_b32_e64 v27, v6, v8, s[0:1]
; %bb.93:                               ;   in Loop: Header=BB299_81 Depth=1
	s_or_b64 exec, exec, s[2:3]
	v_and_b32_e32 v6, 0x7f800000, v9
	v_cmp_ne_u32_e64 s[0:1], s19, v6
                                        ; implicit-def: $vgpr22
	s_and_saveexec_b64 s[2:3], s[0:1]
	s_xor_b64 s[0:1], exec, s[2:3]
; %bb.94:                               ;   in Loop: Header=BB299_81 Depth=1
	v_bfe_u32 v6, v9, 16, 1
	v_add3_u32 v22, v9, v6, s26
                                        ; implicit-def: $vgpr6_vgpr7_vgpr8_vgpr9
; %bb.95:                               ;   in Loop: Header=BB299_81 Depth=1
	s_andn2_saveexec_b64 s[2:3], s[0:1]
; %bb.96:                               ;   in Loop: Header=BB299_81 Depth=1
	v_or_b32_e32 v6, 0x10000, v9
	v_cmp_eq_u32_sdwa s[0:1], v9, v15 src0_sel:WORD_0 src1_sel:DWORD
	s_nop 1
	v_cndmask_b32_e64 v22, v6, v9, s[0:1]
; %bb.97:                               ;   in Loop: Header=BB299_81 Depth=1
	s_or_b64 exec, exec, s[2:3]
	v_and_b32_e32 v6, 0x7f800000, v2
	v_cmp_ne_u32_e64 s[0:1], s19, v6
                                        ; implicit-def: $vgpr23
	s_and_saveexec_b64 s[2:3], s[0:1]
	s_xor_b64 s[0:1], exec, s[2:3]
; %bb.98:                               ;   in Loop: Header=BB299_81 Depth=1
	v_bfe_u32 v6, v2, 16, 1
	v_add3_u32 v23, v2, v6, s26
; %bb.99:                               ;   in Loop: Header=BB299_81 Depth=1
	s_andn2_saveexec_b64 s[2:3], s[0:1]
; %bb.100:                              ;   in Loop: Header=BB299_81 Depth=1
	v_or_b32_e32 v6, 0x10000, v2
	v_cmp_eq_u32_sdwa s[0:1], v2, v15 src0_sel:WORD_0 src1_sel:DWORD
	s_nop 1
	v_cndmask_b32_e64 v23, v6, v2, s[0:1]
; %bb.101:                              ;   in Loop: Header=BB299_81 Depth=1
	s_or_b64 exec, exec, s[2:3]
	v_and_b32_e32 v2, 0x7f800000, v3
	v_cmp_ne_u32_e64 s[0:1], s19, v2
                                        ; implicit-def: $vgpr24
	s_and_saveexec_b64 s[2:3], s[0:1]
	s_xor_b64 s[0:1], exec, s[2:3]
; %bb.102:                              ;   in Loop: Header=BB299_81 Depth=1
	v_bfe_u32 v2, v3, 16, 1
	v_add3_u32 v24, v3, v2, s26
; %bb.103:                              ;   in Loop: Header=BB299_81 Depth=1
	s_andn2_saveexec_b64 s[2:3], s[0:1]
; %bb.104:                              ;   in Loop: Header=BB299_81 Depth=1
	v_or_b32_e32 v2, 0x10000, v3
	v_cmp_eq_u32_sdwa s[0:1], v3, v15 src0_sel:WORD_0 src1_sel:DWORD
	s_nop 1
	v_cndmask_b32_e64 v24, v2, v3, s[0:1]
; %bb.105:                              ;   in Loop: Header=BB299_81 Depth=1
	s_or_b64 exec, exec, s[2:3]
	v_and_b32_e32 v2, 0x7f800000, v4
	v_cmp_ne_u32_e64 s[0:1], s19, v2
                                        ; implicit-def: $vgpr25
	s_and_saveexec_b64 s[2:3], s[0:1]
	s_xor_b64 s[0:1], exec, s[2:3]
; %bb.106:                              ;   in Loop: Header=BB299_81 Depth=1
	v_bfe_u32 v2, v4, 16, 1
	v_add3_u32 v25, v4, v2, s26
; %bb.107:                              ;   in Loop: Header=BB299_81 Depth=1
	s_andn2_saveexec_b64 s[2:3], s[0:1]
; %bb.108:                              ;   in Loop: Header=BB299_81 Depth=1
	v_or_b32_e32 v2, 0x10000, v4
	v_cmp_eq_u32_sdwa s[0:1], v4, v15 src0_sel:WORD_0 src1_sel:DWORD
	s_nop 1
	v_cndmask_b32_e64 v25, v2, v4, s[0:1]
; %bb.109:                              ;   in Loop: Header=BB299_81 Depth=1
	s_or_b64 exec, exec, s[2:3]
	v_and_b32_e32 v2, 0x7f800000, v5
	v_cmp_ne_u32_e64 s[0:1], s19, v2
                                        ; implicit-def: $vgpr26
	s_and_saveexec_b64 s[2:3], s[0:1]
	s_xor_b64 s[0:1], exec, s[2:3]
; %bb.110:                              ;   in Loop: Header=BB299_81 Depth=1
	v_bfe_u32 v2, v5, 16, 1
	v_add3_u32 v26, v5, v2, s26
                                        ; implicit-def: $vgpr2_vgpr3_vgpr4_vgpr5
; %bb.111:                              ;   in Loop: Header=BB299_81 Depth=1
	s_andn2_saveexec_b64 s[2:3], s[0:1]
; %bb.112:                              ;   in Loop: Header=BB299_81 Depth=1
	v_or_b32_e32 v2, 0x10000, v5
	v_cmp_eq_u32_sdwa s[0:1], v5, v15 src0_sel:WORD_0 src1_sel:DWORD
	s_nop 1
	v_cndmask_b32_e64 v26, v2, v5, s[0:1]
; %bb.113:                              ;   in Loop: Header=BB299_81 Depth=1
	s_or_b64 exec, exec, s[2:3]
	v_mov_b64_e32 v[2:3], s[10:11]
	s_waitcnt vmcnt(0)
	v_mad_i64_i32 v[4:5], s[0:1], v30, s34, v[2:3]
	v_lshl_add_u64 v[2:3], v[4:5], 0, v[14:15]
	global_load_dwordx2 v[2:3], v[2:3], off
	s_waitcnt vmcnt(0)
	v_and_b32_e32 v6, 0xff, v2
	v_cvt_f32_fp8_sdwa v6, v6 src0_sel:BYTE_0
	s_nop 0
	v_mul_f32_e32 v6, s18, v6
	v_and_b32_e32 v7, 0x7f800000, v6
	v_cmp_ne_u32_e64 s[0:1], s19, v7
                                        ; implicit-def: $vgpr7
	s_and_saveexec_b64 s[2:3], s[0:1]
	s_xor_b64 s[0:1], exec, s[2:3]
; %bb.114:                              ;   in Loop: Header=BB299_81 Depth=1
	v_bfe_u32 v7, v6, 16, 1
	v_add3_u32 v7, v6, v7, s26
                                        ; implicit-def: $vgpr6
; %bb.115:                              ;   in Loop: Header=BB299_81 Depth=1
	s_andn2_saveexec_b64 s[2:3], s[0:1]
; %bb.116:                              ;   in Loop: Header=BB299_81 Depth=1
	v_or_b32_e32 v7, 0x10000, v6
	v_cmp_eq_u32_sdwa s[0:1], v6, v15 src0_sel:WORD_0 src1_sel:DWORD
	s_nop 1
	v_cndmask_b32_e64 v7, v7, v6, s[0:1]
; %bb.117:                              ;   in Loop: Header=BB299_81 Depth=1
	s_or_b64 exec, exec, s[2:3]
	v_bfe_u32 v6, v2, 8, 8
	v_cvt_f32_fp8_sdwa v6, v6 src0_sel:BYTE_0
	s_nop 0
	v_mul_f32_e32 v6, s18, v6
	v_and_b32_e32 v8, 0x7f800000, v6
	v_cmp_ne_u32_e64 s[0:1], s19, v8
                                        ; implicit-def: $vgpr8
	s_and_saveexec_b64 s[2:3], s[0:1]
	s_xor_b64 s[0:1], exec, s[2:3]
; %bb.118:                              ;   in Loop: Header=BB299_81 Depth=1
	v_bfe_u32 v8, v6, 16, 1
	v_add3_u32 v8, v6, v8, s26
                                        ; implicit-def: $vgpr6
; %bb.119:                              ;   in Loop: Header=BB299_81 Depth=1
	s_andn2_saveexec_b64 s[2:3], s[0:1]
; %bb.120:                              ;   in Loop: Header=BB299_81 Depth=1
	v_or_b32_e32 v8, 0x10000, v6
	v_cmp_eq_u32_sdwa s[0:1], v6, v15 src0_sel:WORD_0 src1_sel:DWORD
	s_nop 1
	v_cndmask_b32_e64 v8, v8, v6, s[0:1]
; %bb.121:                              ;   in Loop: Header=BB299_81 Depth=1
	s_or_b64 exec, exec, s[2:3]
	v_bfe_u32 v6, v2, 16, 8
	v_cvt_f32_fp8_sdwa v6, v6 src0_sel:BYTE_0
	s_nop 0
	v_mul_f32_e32 v6, s18, v6
	v_and_b32_e32 v9, 0x7f800000, v6
	v_cmp_ne_u32_e64 s[0:1], s19, v9
                                        ; implicit-def: $vgpr9
	s_and_saveexec_b64 s[2:3], s[0:1]
	s_xor_b64 s[0:1], exec, s[2:3]
; %bb.122:                              ;   in Loop: Header=BB299_81 Depth=1
	v_bfe_u32 v9, v6, 16, 1
	v_add3_u32 v9, v6, v9, s26
                                        ; implicit-def: $vgpr6
; %bb.123:                              ;   in Loop: Header=BB299_81 Depth=1
	s_andn2_saveexec_b64 s[2:3], s[0:1]
; %bb.124:                              ;   in Loop: Header=BB299_81 Depth=1
	v_or_b32_e32 v9, 0x10000, v6
	v_cmp_eq_u32_sdwa s[0:1], v6, v15 src0_sel:WORD_0 src1_sel:DWORD
	s_nop 1
	v_cndmask_b32_e64 v9, v9, v6, s[0:1]
; %bb.125:                              ;   in Loop: Header=BB299_81 Depth=1
	s_or_b64 exec, exec, s[2:3]
	v_lshrrev_b32_e32 v2, 24, v2
	v_cvt_f32_fp8_sdwa v2, v2 src0_sel:BYTE_0
	s_nop 0
	v_mul_f32_e32 v6, s18, v2
	v_and_b32_e32 v2, 0x7f800000, v6
	v_cmp_ne_u32_e64 s[0:1], s19, v2
                                        ; implicit-def: $vgpr2
	s_and_saveexec_b64 s[2:3], s[0:1]
	s_xor_b64 s[0:1], exec, s[2:3]
; %bb.126:                              ;   in Loop: Header=BB299_81 Depth=1
	v_bfe_u32 v2, v6, 16, 1
	v_add3_u32 v2, v6, v2, s26
                                        ; implicit-def: $vgpr6
; %bb.127:                              ;   in Loop: Header=BB299_81 Depth=1
	s_andn2_saveexec_b64 s[2:3], s[0:1]
; %bb.128:                              ;   in Loop: Header=BB299_81 Depth=1
	v_or_b32_e32 v2, 0x10000, v6
	v_cmp_eq_u32_sdwa s[0:1], v6, v15 src0_sel:WORD_0 src1_sel:DWORD
	s_nop 1
	v_cndmask_b32_e64 v2, v2, v6, s[0:1]
; %bb.129:                              ;   in Loop: Header=BB299_81 Depth=1
	s_or_b64 exec, exec, s[2:3]
	v_and_b32_e32 v6, 0xff, v3
	v_cvt_f32_fp8_sdwa v6, v6 src0_sel:BYTE_0
	s_nop 0
	v_mul_f32_e32 v6, s18, v6
	v_and_b32_e32 v30, 0x7f800000, v6
	v_cmp_ne_u32_e64 s[0:1], s19, v30
                                        ; implicit-def: $vgpr30
	s_and_saveexec_b64 s[2:3], s[0:1]
	s_xor_b64 s[0:1], exec, s[2:3]
; %bb.130:                              ;   in Loop: Header=BB299_81 Depth=1
	v_bfe_u32 v30, v6, 16, 1
	v_add3_u32 v30, v6, v30, s26
                                        ; implicit-def: $vgpr6
; %bb.131:                              ;   in Loop: Header=BB299_81 Depth=1
	s_andn2_saveexec_b64 s[2:3], s[0:1]
; %bb.132:                              ;   in Loop: Header=BB299_81 Depth=1
	v_or_b32_e32 v30, 0x10000, v6
	v_cmp_eq_u32_sdwa s[0:1], v6, v15 src0_sel:WORD_0 src1_sel:DWORD
	s_nop 1
	v_cndmask_b32_e64 v30, v30, v6, s[0:1]
; %bb.133:                              ;   in Loop: Header=BB299_81 Depth=1
	s_or_b64 exec, exec, s[2:3]
	v_bfe_u32 v6, v3, 8, 8
	v_cvt_f32_fp8_sdwa v6, v6 src0_sel:BYTE_0
	s_nop 0
	v_mul_f32_e32 v6, s18, v6
	v_and_b32_e32 v31, 0x7f800000, v6
	v_cmp_ne_u32_e64 s[0:1], s19, v31
                                        ; implicit-def: $vgpr31
	s_and_saveexec_b64 s[2:3], s[0:1]
	s_xor_b64 s[0:1], exec, s[2:3]
; %bb.134:                              ;   in Loop: Header=BB299_81 Depth=1
	v_bfe_u32 v31, v6, 16, 1
	v_add3_u32 v31, v6, v31, s26
                                        ; implicit-def: $vgpr6
; %bb.135:                              ;   in Loop: Header=BB299_81 Depth=1
	s_andn2_saveexec_b64 s[2:3], s[0:1]
; %bb.136:                              ;   in Loop: Header=BB299_81 Depth=1
	v_or_b32_e32 v31, 0x10000, v6
	v_cmp_eq_u32_sdwa s[0:1], v6, v15 src0_sel:WORD_0 src1_sel:DWORD
	s_nop 1
	v_cndmask_b32_e64 v31, v31, v6, s[0:1]
; %bb.137:                              ;   in Loop: Header=BB299_81 Depth=1
	s_or_b64 exec, exec, s[2:3]
	v_bfe_u32 v6, v3, 16, 8
	v_cvt_f32_fp8_sdwa v6, v6 src0_sel:BYTE_0
                                        ; implicit-def: $vgpr35
	s_nop 0
	v_mul_f32_e32 v6, s18, v6
	v_and_b32_e32 v32, 0x7f800000, v6
	v_cmp_ne_u32_e64 s[0:1], s19, v32
	s_and_saveexec_b64 s[2:3], s[0:1]
	s_xor_b64 s[0:1], exec, s[2:3]
; %bb.138:                              ;   in Loop: Header=BB299_81 Depth=1
	v_bfe_u32 v32, v6, 16, 1
	v_add3_u32 v35, v6, v32, s26
                                        ; implicit-def: $vgpr6
; %bb.139:                              ;   in Loop: Header=BB299_81 Depth=1
	s_andn2_saveexec_b64 s[2:3], s[0:1]
; %bb.140:                              ;   in Loop: Header=BB299_81 Depth=1
	v_or_b32_e32 v32, 0x10000, v6
	v_cmp_eq_u32_sdwa s[0:1], v6, v15 src0_sel:WORD_0 src1_sel:DWORD
	s_nop 1
	v_cndmask_b32_e64 v35, v32, v6, s[0:1]
; %bb.141:                              ;   in Loop: Header=BB299_81 Depth=1
	s_or_b64 exec, exec, s[2:3]
	v_lshrrev_b32_e32 v3, 24, v3
	v_cvt_f32_fp8_sdwa v3, v3 src0_sel:BYTE_0
                                        ; implicit-def: $vgpr36
	s_nop 0
	v_mul_f32_e32 v3, s18, v3
	v_and_b32_e32 v6, 0x7f800000, v3
	v_cmp_ne_u32_e64 s[0:1], s19, v6
	s_and_saveexec_b64 s[2:3], s[0:1]
	s_xor_b64 s[0:1], exec, s[2:3]
; %bb.142:                              ;   in Loop: Header=BB299_81 Depth=1
	v_bfe_u32 v6, v3, 16, 1
	v_add3_u32 v36, v3, v6, s26
                                        ; implicit-def: $vgpr3
; %bb.143:                              ;   in Loop: Header=BB299_81 Depth=1
	s_andn2_saveexec_b64 s[2:3], s[0:1]
; %bb.144:                              ;   in Loop: Header=BB299_81 Depth=1
	v_or_b32_e32 v6, 0x10000, v3
	v_cmp_eq_u32_sdwa s[0:1], v3, v15 src0_sel:WORD_0 src1_sel:DWORD
	s_nop 1
	v_cndmask_b32_e64 v36, v6, v3, s[0:1]
; %bb.145:                              ;   in Loop: Header=BB299_81 Depth=1
	s_or_b64 exec, exec, s[2:3]
	v_cmp_eq_u32_e64 s[2:3], s30, v1
	v_add_u32_e32 v6, -7, v20
	v_lshrrev_b32_e32 v31, 16, v31
	v_lshrrev_b32_e32 v32, 16, v30
	;; [unrolled: 1-line block ×8, first 2 shown]
	s_and_saveexec_b64 s[14:15], s[2:3]
	s_cbranch_execz .LBB299_147
; %bb.146:                              ;   in Loop: Header=BB299_81 Depth=1
	v_cmp_gt_i32_e64 s[0:1], s33, v6
	v_add_u32_e32 v7, -6, v20
	s_nop 0
	v_cndmask_b32_e64 v3, 0, v3, s[0:1]
	v_cmp_gt_i32_e64 s[0:1], s33, v7
	v_add_u32_e32 v7, -5, v20
	s_nop 0
	v_cndmask_b32_e64 v9, 0, v9, s[0:1]
	;; [unrolled: 4-line block ×6, first 2 shown]
	v_cmp_gt_i32_e64 s[0:1], s33, v7
	s_nop 1
	v_cndmask_b32_e64 v30, 0, v30, s[0:1]
	v_cmp_gt_i32_e64 s[0:1], s33, v20
	s_nop 1
	v_cndmask_b32_e64 v2, 0, v2, s[0:1]
.LBB299_147:                            ;   in Loop: Header=BB299_81 Depth=1
	s_or_b64 exec, exec, s[14:15]
	v_and_b32_e32 v7, 0xffff0000, v29
	v_lshlrev_b32_e32 v3, 16, v3
	v_mul_f32_e32 v8, v7, v3
	v_and_b32_e32 v3, 0x7f800000, v8
	v_cmp_ne_u32_e64 s[0:1], s19, v3
                                        ; implicit-def: $vgpr3
	s_and_saveexec_b64 s[14:15], s[0:1]
	s_xor_b64 s[0:1], exec, s[14:15]
; %bb.148:                              ;   in Loop: Header=BB299_81 Depth=1
	v_bfe_u32 v3, v8, 16, 1
	v_add3_u32 v3, v8, v3, s26
                                        ; implicit-def: $vgpr8
; %bb.149:                              ;   in Loop: Header=BB299_81 Depth=1
	s_andn2_saveexec_b64 s[14:15], s[0:1]
; %bb.150:                              ;   in Loop: Header=BB299_81 Depth=1
	v_or_b32_e32 v3, 0x10000, v8
	v_cmp_eq_u32_sdwa s[0:1], v8, v15 src0_sel:WORD_0 src1_sel:DWORD
	s_nop 1
	v_cndmask_b32_e64 v3, v3, v8, s[0:1]
; %bb.151:                              ;   in Loop: Header=BB299_81 Depth=1
	s_or_b64 exec, exec, s[14:15]
	v_and_b32_e32 v8, 0xffff0000, v28
	v_lshlrev_b32_e32 v9, 16, v9
	v_mul_f32_e32 v9, v8, v9
	v_and_b32_e32 v28, 0x7f800000, v9
	v_cmp_ne_u32_e64 s[0:1], s19, v28
                                        ; implicit-def: $vgpr28
	s_and_saveexec_b64 s[14:15], s[0:1]
	s_xor_b64 s[0:1], exec, s[14:15]
; %bb.152:                              ;   in Loop: Header=BB299_81 Depth=1
	v_bfe_u32 v28, v9, 16, 1
	v_add3_u32 v28, v9, v28, s26
                                        ; implicit-def: $vgpr9
; %bb.153:                              ;   in Loop: Header=BB299_81 Depth=1
	s_andn2_saveexec_b64 s[14:15], s[0:1]
; %bb.154:                              ;   in Loop: Header=BB299_81 Depth=1
	v_or_b32_e32 v28, 0x10000, v9
	v_cmp_eq_u32_sdwa s[0:1], v9, v15 src0_sel:WORD_0 src1_sel:DWORD
	s_nop 1
	v_cndmask_b32_e64 v28, v28, v9, s[0:1]
; %bb.155:                              ;   in Loop: Header=BB299_81 Depth=1
	s_or_b64 exec, exec, s[14:15]
	v_and_b32_e32 v9, 0xffff0000, v27
	v_lshlrev_b32_e32 v27, 16, v34
	v_mul_f32_e32 v29, v9, v27
	v_and_b32_e32 v27, 0x7f800000, v29
	v_cmp_ne_u32_e64 s[0:1], s19, v27
                                        ; implicit-def: $vgpr27
	s_and_saveexec_b64 s[14:15], s[0:1]
	s_xor_b64 s[0:1], exec, s[14:15]
; %bb.156:                              ;   in Loop: Header=BB299_81 Depth=1
	v_bfe_u32 v27, v29, 16, 1
	v_add3_u32 v27, v29, v27, s26
                                        ; implicit-def: $vgpr29
; %bb.157:                              ;   in Loop: Header=BB299_81 Depth=1
	s_andn2_saveexec_b64 s[14:15], s[0:1]
; %bb.158:                              ;   in Loop: Header=BB299_81 Depth=1
	v_or_b32_e32 v27, 0x10000, v29
	v_cmp_eq_u32_sdwa s[0:1], v29, v15 src0_sel:WORD_0 src1_sel:DWORD
	s_nop 1
	v_cndmask_b32_e64 v27, v27, v29, s[0:1]
; %bb.159:                              ;   in Loop: Header=BB299_81 Depth=1
	s_or_b64 exec, exec, s[14:15]
	v_and_b32_e32 v22, 0xffff0000, v22
	v_lshlrev_b32_e32 v29, 16, v33
	v_mul_f32_e32 v33, v22, v29
	v_and_b32_e32 v29, 0x7f800000, v33
	v_cmp_ne_u32_e64 s[0:1], s19, v29
                                        ; implicit-def: $vgpr29
	s_and_saveexec_b64 s[14:15], s[0:1]
	s_xor_b64 s[0:1], exec, s[14:15]
; %bb.160:                              ;   in Loop: Header=BB299_81 Depth=1
	v_bfe_u32 v29, v33, 16, 1
	v_add3_u32 v29, v33, v29, s26
                                        ; implicit-def: $vgpr33
; %bb.161:                              ;   in Loop: Header=BB299_81 Depth=1
	s_andn2_saveexec_b64 s[14:15], s[0:1]
; %bb.162:                              ;   in Loop: Header=BB299_81 Depth=1
	v_or_b32_e32 v29, 0x10000, v33
	v_cmp_eq_u32_sdwa s[0:1], v33, v15 src0_sel:WORD_0 src1_sel:DWORD
	s_nop 1
	v_cndmask_b32_e64 v29, v29, v33, s[0:1]
; %bb.163:                              ;   in Loop: Header=BB299_81 Depth=1
	s_or_b64 exec, exec, s[14:15]
	v_and_b32_e32 v23, 0xffff0000, v23
	v_lshlrev_b32_e32 v32, 16, v32
	v_mul_f32_e32 v33, v23, v32
	v_and_b32_e32 v32, 0x7f800000, v33
	v_cmp_ne_u32_e64 s[0:1], s19, v32
                                        ; implicit-def: $vgpr32
	s_and_saveexec_b64 s[14:15], s[0:1]
	s_xor_b64 s[0:1], exec, s[14:15]
; %bb.164:                              ;   in Loop: Header=BB299_81 Depth=1
	v_bfe_u32 v32, v33, 16, 1
	v_add3_u32 v32, v33, v32, s26
                                        ; implicit-def: $vgpr33
; %bb.165:                              ;   in Loop: Header=BB299_81 Depth=1
	s_andn2_saveexec_b64 s[14:15], s[0:1]
; %bb.166:                              ;   in Loop: Header=BB299_81 Depth=1
	v_or_b32_e32 v32, 0x10000, v33
	v_cmp_eq_u32_sdwa s[0:1], v33, v15 src0_sel:WORD_0 src1_sel:DWORD
	s_nop 1
	v_cndmask_b32_e64 v32, v32, v33, s[0:1]
; %bb.167:                              ;   in Loop: Header=BB299_81 Depth=1
	s_or_b64 exec, exec, s[14:15]
	v_and_b32_e32 v24, 0xffff0000, v24
	v_lshlrev_b32_e32 v31, 16, v31
	v_mul_f32_e32 v33, v24, v31
	v_and_b32_e32 v31, 0x7f800000, v33
	v_cmp_ne_u32_e64 s[0:1], s19, v31
                                        ; implicit-def: $vgpr31
	s_and_saveexec_b64 s[14:15], s[0:1]
	s_xor_b64 s[0:1], exec, s[14:15]
; %bb.168:                              ;   in Loop: Header=BB299_81 Depth=1
	v_bfe_u32 v31, v33, 16, 1
	v_add3_u32 v31, v33, v31, s26
                                        ; implicit-def: $vgpr33
; %bb.169:                              ;   in Loop: Header=BB299_81 Depth=1
	s_andn2_saveexec_b64 s[14:15], s[0:1]
; %bb.170:                              ;   in Loop: Header=BB299_81 Depth=1
	v_or_b32_e32 v31, 0x10000, v33
	v_cmp_eq_u32_sdwa s[0:1], v33, v15 src0_sel:WORD_0 src1_sel:DWORD
	s_nop 1
	v_cndmask_b32_e64 v31, v31, v33, s[0:1]
; %bb.171:                              ;   in Loop: Header=BB299_81 Depth=1
	s_or_b64 exec, exec, s[14:15]
	v_and_b32_e32 v25, 0xffff0000, v25
	v_lshlrev_b32_e32 v30, 16, v30
	v_mul_f32_e32 v33, v25, v30
	v_and_b32_e32 v30, 0x7f800000, v33
	v_cmp_ne_u32_e64 s[0:1], s19, v30
                                        ; implicit-def: $vgpr30
	s_and_saveexec_b64 s[14:15], s[0:1]
	s_xor_b64 s[0:1], exec, s[14:15]
; %bb.172:                              ;   in Loop: Header=BB299_81 Depth=1
	v_bfe_u32 v30, v33, 16, 1
	v_add3_u32 v30, v33, v30, s26
                                        ; implicit-def: $vgpr33
; %bb.173:                              ;   in Loop: Header=BB299_81 Depth=1
	s_andn2_saveexec_b64 s[14:15], s[0:1]
; %bb.174:                              ;   in Loop: Header=BB299_81 Depth=1
	v_or_b32_e32 v30, 0x10000, v33
	v_cmp_eq_u32_sdwa s[0:1], v33, v15 src0_sel:WORD_0 src1_sel:DWORD
	s_nop 1
	v_cndmask_b32_e64 v30, v30, v33, s[0:1]
; %bb.175:                              ;   in Loop: Header=BB299_81 Depth=1
	s_or_b64 exec, exec, s[14:15]
	v_and_b32_e32 v26, 0xffff0000, v26
	v_lshlrev_b32_e32 v2, 16, v2
	v_mul_f32_e32 v2, v26, v2
	v_and_b32_e32 v33, 0x7f800000, v2
	v_cmp_ne_u32_e64 s[0:1], s19, v33
                                        ; implicit-def: $vgpr33
	s_and_saveexec_b64 s[14:15], s[0:1]
	s_xor_b64 s[0:1], exec, s[14:15]
; %bb.176:                              ;   in Loop: Header=BB299_81 Depth=1
	v_bfe_u32 v33, v2, 16, 1
	v_add3_u32 v33, v2, v33, s26
                                        ; implicit-def: $vgpr2
; %bb.177:                              ;   in Loop: Header=BB299_81 Depth=1
	s_andn2_saveexec_b64 s[14:15], s[0:1]
; %bb.178:                              ;   in Loop: Header=BB299_81 Depth=1
	v_or_b32_e32 v33, 0x10000, v2
	v_cmp_eq_u32_sdwa s[0:1], v2, v15 src0_sel:WORD_0 src1_sel:DWORD
	s_nop 1
	v_cndmask_b32_e64 v33, v33, v2, s[0:1]
; %bb.179:                              ;   in Loop: Header=BB299_81 Depth=1
	s_or_b64 exec, exec, s[14:15]
	v_and_b32_e32 v35, 0xffff0000, v33
	v_and_b32_e32 v34, 0xffff0000, v31
	;; [unrolled: 1-line block ×8, first 2 shown]
	v_pk_add_f32 v[2:3], v[32:33], v[28:29]
	s_nop 0
	v_mov_b32_e32 v28, v3
	v_pk_add_f32 v[2:3], v[2:3], v[28:29]
	v_pk_add_f32 v[28:29], v[30:31], v[34:35]
	s_nop 0
	v_pk_add_f32 v[2:3], v[2:3], v[28:29]
	v_mov_b32_e32 v28, v29
	v_pk_add_f32 v[2:3], v[2:3], v[28:29]
	s_nop 0
	v_pk_add_f32 v[2:3], v[12:13], v[2:3]
	s_and_saveexec_b64 s[14:15], vcc
	s_cbranch_execz .LBB299_80
; %bb.180:                              ;   in Loop: Header=BB299_81 Depth=1
	v_lshl_add_u64 v[4:5], v[4:5], 0, v[16:17]
	global_load_dwordx2 v[4:5], v[4:5], off
	s_waitcnt vmcnt(0)
	v_and_b32_e32 v3, 0xff, v4
	v_cvt_f32_fp8_sdwa v3, v3 src0_sel:BYTE_0
	s_nop 0
	v_mul_f32_e32 v27, s18, v3
	v_and_b32_e32 v3, 0x7f800000, v27
	v_cmp_ne_u32_e64 s[0:1], s19, v3
                                        ; implicit-def: $vgpr3
	s_and_saveexec_b64 s[16:17], s[0:1]
	s_xor_b64 s[0:1], exec, s[16:17]
; %bb.181:                              ;   in Loop: Header=BB299_81 Depth=1
	v_bfe_u32 v3, v27, 16, 1
	v_add3_u32 v3, v27, v3, s26
                                        ; implicit-def: $vgpr27
; %bb.182:                              ;   in Loop: Header=BB299_81 Depth=1
	s_andn2_saveexec_b64 s[16:17], s[0:1]
; %bb.183:                              ;   in Loop: Header=BB299_81 Depth=1
	v_or_b32_e32 v3, 0x10000, v27
	v_cmp_eq_u32_sdwa s[0:1], v27, v15 src0_sel:WORD_0 src1_sel:DWORD
	s_nop 1
	v_cndmask_b32_e64 v3, v3, v27, s[0:1]
; %bb.184:                              ;   in Loop: Header=BB299_81 Depth=1
	s_or_b64 exec, exec, s[16:17]
	v_bfe_u32 v27, v4, 8, 8
	v_cvt_f32_fp8_sdwa v27, v27 src0_sel:BYTE_0
	s_nop 0
	v_mul_f32_e32 v28, s18, v27
	v_and_b32_e32 v27, 0x7f800000, v28
	v_cmp_ne_u32_e64 s[0:1], s19, v27
                                        ; implicit-def: $vgpr27
	s_and_saveexec_b64 s[16:17], s[0:1]
	s_xor_b64 s[0:1], exec, s[16:17]
; %bb.185:                              ;   in Loop: Header=BB299_81 Depth=1
	v_bfe_u32 v27, v28, 16, 1
	v_add3_u32 v27, v28, v27, s26
                                        ; implicit-def: $vgpr28
; %bb.186:                              ;   in Loop: Header=BB299_81 Depth=1
	s_andn2_saveexec_b64 s[16:17], s[0:1]
; %bb.187:                              ;   in Loop: Header=BB299_81 Depth=1
	v_or_b32_e32 v27, 0x10000, v28
	v_cmp_eq_u32_sdwa s[0:1], v28, v15 src0_sel:WORD_0 src1_sel:DWORD
	s_nop 1
	v_cndmask_b32_e64 v27, v27, v28, s[0:1]
; %bb.188:                              ;   in Loop: Header=BB299_81 Depth=1
	s_or_b64 exec, exec, s[16:17]
	v_bfe_u32 v28, v4, 16, 8
	v_cvt_f32_fp8_sdwa v28, v28 src0_sel:BYTE_0
	s_nop 0
	v_mul_f32_e32 v28, s18, v28
	v_and_b32_e32 v29, 0x7f800000, v28
	v_cmp_ne_u32_e64 s[0:1], s19, v29
                                        ; implicit-def: $vgpr29
	s_and_saveexec_b64 s[16:17], s[0:1]
	s_xor_b64 s[0:1], exec, s[16:17]
; %bb.189:                              ;   in Loop: Header=BB299_81 Depth=1
	v_bfe_u32 v29, v28, 16, 1
	v_add3_u32 v29, v28, v29, s26
                                        ; implicit-def: $vgpr28
; %bb.190:                              ;   in Loop: Header=BB299_81 Depth=1
	s_andn2_saveexec_b64 s[16:17], s[0:1]
; %bb.191:                              ;   in Loop: Header=BB299_81 Depth=1
	v_or_b32_e32 v29, 0x10000, v28
	v_cmp_eq_u32_sdwa s[0:1], v28, v15 src0_sel:WORD_0 src1_sel:DWORD
	s_nop 1
	v_cndmask_b32_e64 v29, v29, v28, s[0:1]
; %bb.192:                              ;   in Loop: Header=BB299_81 Depth=1
	s_or_b64 exec, exec, s[16:17]
	v_lshrrev_b32_e32 v4, 24, v4
	v_cvt_f32_fp8_sdwa v4, v4 src0_sel:BYTE_0
	s_nop 0
	v_mul_f32_e32 v28, s18, v4
	v_and_b32_e32 v4, 0x7f800000, v28
	v_cmp_ne_u32_e64 s[0:1], s19, v4
                                        ; implicit-def: $vgpr4
	s_and_saveexec_b64 s[16:17], s[0:1]
	s_xor_b64 s[0:1], exec, s[16:17]
; %bb.193:                              ;   in Loop: Header=BB299_81 Depth=1
	v_bfe_u32 v4, v28, 16, 1
	v_add3_u32 v4, v28, v4, s26
                                        ; implicit-def: $vgpr28
; %bb.194:                              ;   in Loop: Header=BB299_81 Depth=1
	s_andn2_saveexec_b64 s[16:17], s[0:1]
; %bb.195:                              ;   in Loop: Header=BB299_81 Depth=1
	v_or_b32_e32 v4, 0x10000, v28
	v_cmp_eq_u32_sdwa s[0:1], v28, v15 src0_sel:WORD_0 src1_sel:DWORD
	s_nop 1
	v_cndmask_b32_e64 v4, v4, v28, s[0:1]
; %bb.196:                              ;   in Loop: Header=BB299_81 Depth=1
	s_or_b64 exec, exec, s[16:17]
	v_and_b32_e32 v28, 0xff, v5
	v_cvt_f32_fp8_sdwa v28, v28 src0_sel:BYTE_0
	s_nop 0
	v_mul_f32_e32 v28, s18, v28
	v_and_b32_e32 v30, 0x7f800000, v28
	v_cmp_ne_u32_e64 s[0:1], s19, v30
                                        ; implicit-def: $vgpr30
	s_and_saveexec_b64 s[16:17], s[0:1]
	s_xor_b64 s[0:1], exec, s[16:17]
; %bb.197:                              ;   in Loop: Header=BB299_81 Depth=1
	v_bfe_u32 v30, v28, 16, 1
	v_add3_u32 v30, v28, v30, s26
                                        ; implicit-def: $vgpr28
; %bb.198:                              ;   in Loop: Header=BB299_81 Depth=1
	s_andn2_saveexec_b64 s[16:17], s[0:1]
; %bb.199:                              ;   in Loop: Header=BB299_81 Depth=1
	v_or_b32_e32 v30, 0x10000, v28
	v_cmp_eq_u32_sdwa s[0:1], v28, v15 src0_sel:WORD_0 src1_sel:DWORD
	s_nop 1
	v_cndmask_b32_e64 v30, v30, v28, s[0:1]
; %bb.200:                              ;   in Loop: Header=BB299_81 Depth=1
	s_or_b64 exec, exec, s[16:17]
	v_bfe_u32 v28, v5, 8, 8
	v_cvt_f32_fp8_sdwa v28, v28 src0_sel:BYTE_0
	s_nop 0
	v_mul_f32_e32 v31, s18, v28
	v_and_b32_e32 v28, 0x7f800000, v31
	v_cmp_ne_u32_e64 s[0:1], s19, v28
                                        ; implicit-def: $vgpr28
	s_and_saveexec_b64 s[16:17], s[0:1]
	s_xor_b64 s[0:1], exec, s[16:17]
; %bb.201:                              ;   in Loop: Header=BB299_81 Depth=1
	v_bfe_u32 v28, v31, 16, 1
	v_add3_u32 v28, v31, v28, s26
                                        ; implicit-def: $vgpr31
; %bb.202:                              ;   in Loop: Header=BB299_81 Depth=1
	s_andn2_saveexec_b64 s[16:17], s[0:1]
; %bb.203:                              ;   in Loop: Header=BB299_81 Depth=1
	v_or_b32_e32 v28, 0x10000, v31
	v_cmp_eq_u32_sdwa s[0:1], v31, v15 src0_sel:WORD_0 src1_sel:DWORD
	s_nop 1
	v_cndmask_b32_e64 v28, v28, v31, s[0:1]
; %bb.204:                              ;   in Loop: Header=BB299_81 Depth=1
	s_or_b64 exec, exec, s[16:17]
	v_bfe_u32 v31, v5, 16, 8
	v_cvt_f32_fp8_sdwa v31, v31 src0_sel:BYTE_0
	s_nop 0
	v_mul_f32_e32 v31, s18, v31
	v_and_b32_e32 v32, 0x7f800000, v31
	v_cmp_ne_u32_e64 s[0:1], s19, v32
                                        ; implicit-def: $vgpr32
	s_and_saveexec_b64 s[16:17], s[0:1]
	s_xor_b64 s[0:1], exec, s[16:17]
; %bb.205:                              ;   in Loop: Header=BB299_81 Depth=1
	v_bfe_u32 v32, v31, 16, 1
	v_add3_u32 v32, v31, v32, s26
                                        ; implicit-def: $vgpr31
; %bb.206:                              ;   in Loop: Header=BB299_81 Depth=1
	s_andn2_saveexec_b64 s[16:17], s[0:1]
; %bb.207:                              ;   in Loop: Header=BB299_81 Depth=1
	v_or_b32_e32 v32, 0x10000, v31
	v_cmp_eq_u32_sdwa s[0:1], v31, v15 src0_sel:WORD_0 src1_sel:DWORD
	s_nop 1
	v_cndmask_b32_e64 v32, v32, v31, s[0:1]
; %bb.208:                              ;   in Loop: Header=BB299_81 Depth=1
	s_or_b64 exec, exec, s[16:17]
	v_lshrrev_b32_e32 v5, 24, v5
	v_cvt_f32_fp8_sdwa v5, v5 src0_sel:BYTE_0
                                        ; implicit-def: $vgpr33
	s_nop 0
	v_mul_f32_e32 v5, s18, v5
	v_and_b32_e32 v31, 0x7f800000, v5
	v_cmp_ne_u32_e64 s[0:1], s19, v31
	s_and_saveexec_b64 s[16:17], s[0:1]
	s_xor_b64 s[0:1], exec, s[16:17]
; %bb.209:                              ;   in Loop: Header=BB299_81 Depth=1
	v_bfe_u32 v31, v5, 16, 1
	v_add3_u32 v33, v5, v31, s26
                                        ; implicit-def: $vgpr5
; %bb.210:                              ;   in Loop: Header=BB299_81 Depth=1
	s_andn2_saveexec_b64 s[16:17], s[0:1]
; %bb.211:                              ;   in Loop: Header=BB299_81 Depth=1
	v_or_b32_e32 v31, 0x10000, v5
	v_cmp_eq_u32_sdwa s[0:1], v5, v15 src0_sel:WORD_0 src1_sel:DWORD
	s_nop 1
	v_cndmask_b32_e64 v33, v31, v5, s[0:1]
; %bb.212:                              ;   in Loop: Header=BB299_81 Depth=1
	s_or_b64 exec, exec, s[16:17]
	v_lshrrev_b32_e32 v28, 16, v28
	v_lshrrev_b32_e32 v30, 16, v30
	;; [unrolled: 1-line block ×8, first 2 shown]
	s_and_saveexec_b64 s[16:17], s[2:3]
	s_cbranch_execz .LBB299_214
; %bb.213:                              ;   in Loop: Header=BB299_81 Depth=1
	v_cmp_gt_i32_e64 s[0:1], s33, v6
	v_add_u32_e32 v6, -6, v20
	s_nop 0
	v_cndmask_b32_e64 v4, 0, v4, s[0:1]
	v_cmp_gt_i32_e64 s[0:1], s33, v6
	v_add_u32_e32 v6, -5, v20
	s_nop 0
	v_cndmask_b32_e64 v27, 0, v27, s[0:1]
	v_cmp_gt_i32_e64 s[0:1], s33, v6
	v_add_u32_e32 v6, -4, v20
	s_nop 0
	v_cndmask_b32_e64 v29, 0, v29, s[0:1]
	v_cmp_gt_i32_e64 s[0:1], s33, v6
	v_add_u32_e32 v6, -3, v20
	s_nop 0
	v_cndmask_b32_e64 v31, 0, v31, s[0:1]
	v_cmp_gt_i32_e64 s[0:1], s33, v6
	v_add_u32_e32 v6, -2, v20
	s_nop 0
	v_cndmask_b32_e64 v30, 0, v30, s[0:1]
	v_cmp_gt_i32_e64 s[0:1], s33, v6
	v_add_u32_e32 v6, -1, v20
	s_nop 0
	v_cndmask_b32_e64 v28, 0, v28, s[0:1]
	v_cmp_gt_i32_e64 s[0:1], s33, v6
	s_nop 1
	v_cndmask_b32_e64 v5, 0, v5, s[0:1]
	v_cmp_gt_i32_e64 s[0:1], s33, v20
	s_nop 1
	v_cndmask_b32_e64 v3, 0, v3, s[0:1]
.LBB299_214:                            ;   in Loop: Header=BB299_81 Depth=1
	s_or_b64 exec, exec, s[16:17]
	v_lshlrev_b32_e32 v4, 16, v4
	v_mul_f32_e32 v6, v7, v4
	v_and_b32_e32 v4, 0x7f800000, v6
	v_cmp_ne_u32_e64 s[0:1], s19, v4
                                        ; implicit-def: $vgpr4
	s_and_saveexec_b64 s[2:3], s[0:1]
	s_xor_b64 s[0:1], exec, s[2:3]
; %bb.215:                              ;   in Loop: Header=BB299_81 Depth=1
	v_bfe_u32 v4, v6, 16, 1
	v_add3_u32 v4, v6, v4, s26
                                        ; implicit-def: $vgpr6
; %bb.216:                              ;   in Loop: Header=BB299_81 Depth=1
	s_andn2_saveexec_b64 s[2:3], s[0:1]
; %bb.217:                              ;   in Loop: Header=BB299_81 Depth=1
	v_or_b32_e32 v4, 0x10000, v6
	v_cmp_eq_u32_sdwa s[0:1], v6, v15 src0_sel:WORD_0 src1_sel:DWORD
	s_nop 1
	v_cndmask_b32_e64 v4, v4, v6, s[0:1]
; %bb.218:                              ;   in Loop: Header=BB299_81 Depth=1
	s_or_b64 exec, exec, s[2:3]
	v_lshlrev_b32_e32 v6, 16, v27
	v_mul_f32_e32 v7, v8, v6
	v_and_b32_e32 v6, 0x7f800000, v7
	v_cmp_ne_u32_e64 s[0:1], s19, v6
                                        ; implicit-def: $vgpr6
	s_and_saveexec_b64 s[2:3], s[0:1]
	s_xor_b64 s[0:1], exec, s[2:3]
; %bb.219:                              ;   in Loop: Header=BB299_81 Depth=1
	v_bfe_u32 v6, v7, 16, 1
	v_add3_u32 v6, v7, v6, s26
                                        ; implicit-def: $vgpr7
; %bb.220:                              ;   in Loop: Header=BB299_81 Depth=1
	s_andn2_saveexec_b64 s[2:3], s[0:1]
; %bb.221:                              ;   in Loop: Header=BB299_81 Depth=1
	v_or_b32_e32 v6, 0x10000, v7
	v_cmp_eq_u32_sdwa s[0:1], v7, v15 src0_sel:WORD_0 src1_sel:DWORD
	s_nop 1
	v_cndmask_b32_e64 v6, v6, v7, s[0:1]
; %bb.222:                              ;   in Loop: Header=BB299_81 Depth=1
	s_or_b64 exec, exec, s[2:3]
	v_lshlrev_b32_e32 v7, 16, v29
	v_mul_f32_e32 v8, v9, v7
	v_and_b32_e32 v7, 0x7f800000, v8
	v_cmp_ne_u32_e64 s[0:1], s19, v7
                                        ; implicit-def: $vgpr7
	s_and_saveexec_b64 s[2:3], s[0:1]
	s_xor_b64 s[0:1], exec, s[2:3]
; %bb.223:                              ;   in Loop: Header=BB299_81 Depth=1
	v_bfe_u32 v7, v8, 16, 1
	v_add3_u32 v7, v8, v7, s26
                                        ; implicit-def: $vgpr8
; %bb.224:                              ;   in Loop: Header=BB299_81 Depth=1
	s_andn2_saveexec_b64 s[2:3], s[0:1]
; %bb.225:                              ;   in Loop: Header=BB299_81 Depth=1
	v_or_b32_e32 v7, 0x10000, v8
	v_cmp_eq_u32_sdwa s[0:1], v8, v15 src0_sel:WORD_0 src1_sel:DWORD
	s_nop 1
	v_cndmask_b32_e64 v7, v7, v8, s[0:1]
; %bb.226:                              ;   in Loop: Header=BB299_81 Depth=1
	s_or_b64 exec, exec, s[2:3]
	v_lshlrev_b32_e32 v8, 16, v31
	v_mul_f32_e32 v9, v22, v8
	v_and_b32_e32 v8, 0x7f800000, v9
	v_cmp_ne_u32_e64 s[0:1], s19, v8
                                        ; implicit-def: $vgpr8
	s_and_saveexec_b64 s[2:3], s[0:1]
	s_xor_b64 s[0:1], exec, s[2:3]
; %bb.227:                              ;   in Loop: Header=BB299_81 Depth=1
	v_bfe_u32 v8, v9, 16, 1
	v_add3_u32 v8, v9, v8, s26
                                        ; implicit-def: $vgpr9
; %bb.228:                              ;   in Loop: Header=BB299_81 Depth=1
	s_andn2_saveexec_b64 s[2:3], s[0:1]
; %bb.229:                              ;   in Loop: Header=BB299_81 Depth=1
	v_or_b32_e32 v8, 0x10000, v9
	v_cmp_eq_u32_sdwa s[0:1], v9, v15 src0_sel:WORD_0 src1_sel:DWORD
	s_nop 1
	v_cndmask_b32_e64 v8, v8, v9, s[0:1]
; %bb.230:                              ;   in Loop: Header=BB299_81 Depth=1
	s_or_b64 exec, exec, s[2:3]
	v_lshlrev_b32_e32 v9, 16, v30
	v_mul_f32_e32 v22, v23, v9
	v_and_b32_e32 v9, 0x7f800000, v22
	v_cmp_ne_u32_e64 s[0:1], s19, v9
                                        ; implicit-def: $vgpr9
	s_and_saveexec_b64 s[2:3], s[0:1]
	s_xor_b64 s[0:1], exec, s[2:3]
; %bb.231:                              ;   in Loop: Header=BB299_81 Depth=1
	v_bfe_u32 v9, v22, 16, 1
	v_add3_u32 v9, v22, v9, s26
                                        ; implicit-def: $vgpr22
; %bb.232:                              ;   in Loop: Header=BB299_81 Depth=1
	s_andn2_saveexec_b64 s[2:3], s[0:1]
; %bb.233:                              ;   in Loop: Header=BB299_81 Depth=1
	v_or_b32_e32 v9, 0x10000, v22
	v_cmp_eq_u32_sdwa s[0:1], v22, v15 src0_sel:WORD_0 src1_sel:DWORD
	s_nop 1
	v_cndmask_b32_e64 v9, v9, v22, s[0:1]
; %bb.234:                              ;   in Loop: Header=BB299_81 Depth=1
	s_or_b64 exec, exec, s[2:3]
	v_lshlrev_b32_e32 v22, 16, v28
	v_mul_f32_e32 v23, v24, v22
	v_and_b32_e32 v22, 0x7f800000, v23
	v_cmp_ne_u32_e64 s[0:1], s19, v22
                                        ; implicit-def: $vgpr22
	s_and_saveexec_b64 s[2:3], s[0:1]
	s_xor_b64 s[0:1], exec, s[2:3]
; %bb.235:                              ;   in Loop: Header=BB299_81 Depth=1
	v_bfe_u32 v22, v23, 16, 1
	v_add3_u32 v22, v23, v22, s26
                                        ; implicit-def: $vgpr23
; %bb.236:                              ;   in Loop: Header=BB299_81 Depth=1
	s_andn2_saveexec_b64 s[2:3], s[0:1]
; %bb.237:                              ;   in Loop: Header=BB299_81 Depth=1
	v_or_b32_e32 v22, 0x10000, v23
	v_cmp_eq_u32_sdwa s[0:1], v23, v15 src0_sel:WORD_0 src1_sel:DWORD
	s_nop 1
	v_cndmask_b32_e64 v22, v22, v23, s[0:1]
; %bb.238:                              ;   in Loop: Header=BB299_81 Depth=1
	s_or_b64 exec, exec, s[2:3]
	v_lshlrev_b32_e32 v5, 16, v5
	v_mul_f32_e32 v23, v25, v5
	v_and_b32_e32 v5, 0x7f800000, v23
	v_cmp_ne_u32_e64 s[0:1], s19, v5
                                        ; implicit-def: $vgpr5
	s_and_saveexec_b64 s[2:3], s[0:1]
	s_xor_b64 s[0:1], exec, s[2:3]
; %bb.239:                              ;   in Loop: Header=BB299_81 Depth=1
	v_bfe_u32 v5, v23, 16, 1
	v_add3_u32 v5, v23, v5, s26
                                        ; implicit-def: $vgpr23
; %bb.240:                              ;   in Loop: Header=BB299_81 Depth=1
	s_andn2_saveexec_b64 s[2:3], s[0:1]
; %bb.241:                              ;   in Loop: Header=BB299_81 Depth=1
	v_or_b32_e32 v5, 0x10000, v23
	v_cmp_eq_u32_sdwa s[0:1], v23, v15 src0_sel:WORD_0 src1_sel:DWORD
	s_nop 1
	v_cndmask_b32_e64 v5, v5, v23, s[0:1]
; %bb.242:                              ;   in Loop: Header=BB299_81 Depth=1
	s_or_b64 exec, exec, s[2:3]
	v_lshlrev_b32_e32 v3, 16, v3
	v_mul_f32_e32 v3, v26, v3
	v_and_b32_e32 v23, 0x7f800000, v3
	v_cmp_ne_u32_e64 s[0:1], s19, v23
                                        ; implicit-def: $vgpr23
	s_and_saveexec_b64 s[2:3], s[0:1]
	s_xor_b64 s[0:1], exec, s[2:3]
; %bb.243:                              ;   in Loop: Header=BB299_81 Depth=1
	v_bfe_u32 v23, v3, 16, 1
	v_add3_u32 v23, v3, v23, s26
                                        ; implicit-def: $vgpr3
; %bb.244:                              ;   in Loop: Header=BB299_81 Depth=1
	s_andn2_saveexec_b64 s[2:3], s[0:1]
	s_cbranch_execz .LBB299_79
; %bb.245:                              ;   in Loop: Header=BB299_81 Depth=1
	v_or_b32_e32 v23, 0x10000, v3
	v_cmp_eq_u32_sdwa s[0:1], v3, v15 src0_sel:WORD_0 src1_sel:DWORD
	s_nop 1
	v_cndmask_b32_e64 v23, v23, v3, s[0:1]
	s_branch .LBB299_79
.LBB299_246:
	s_or_b64 exec, exec, s[12:13]
.LBB299_247:
	s_or_b64 exec, exec, s[8:9]
	v_and_b32_e32 v1, 0x3c0, v0
	v_cmp_eq_u32_e32 vcc, 64, v1
	s_barrier
	s_and_saveexec_b64 s[0:1], vcc
	s_cbranch_execz .LBB299_250
; %bb.248:
	v_mov_b32_e32 v1, 0xb0
	v_lshl_add_u32 v3, v11, 2, v1
	ds_write_b32 v3, v2
	s_and_b64 exec, exec, s[6:7]
	s_cbranch_execz .LBB299_250
; %bb.249:
	v_lshl_add_u32 v1, v0, 2, v1
	ds_write_b32 v1, v13
.LBB299_250:
	s_or_b64 exec, exec, s[0:1]
	v_cmp_gt_u32_e32 vcc, 64, v0
	v_or_b32_e32 v1, 64, v0
	s_waitcnt lgkmcnt(0)
	s_barrier
	s_and_saveexec_b64 s[2:3], vcc
	s_cbranch_execz .LBB299_254
; %bb.251:
	v_mov_b32_e32 v3, 0xb0
	v_lshl_add_u32 v3, v0, 2, v3
	ds_read_b32 v0, v3
	s_movk_i32 s0, 0x50
	v_cmp_gt_u32_e64 s[0:1], s0, v1
	s_and_saveexec_b64 s[6:7], s[0:1]
	s_cbranch_execz .LBB299_253
; %bb.252:
	ds_read_b32 v3, v3 offset:256
	s_waitcnt lgkmcnt(0)
	v_add_f32_e32 v13, v13, v3
.LBB299_253:
	s_or_b64 exec, exec, s[6:7]
	s_waitcnt lgkmcnt(0)
	v_add_f32_e32 v2, v2, v0
.LBB299_254:
	s_or_b64 exec, exec, s[2:3]
	s_barrier
	s_and_saveexec_b64 s[0:1], vcc
	s_cbranch_execz .LBB299_265
; %bb.255:
	s_mov_b32 s0, 0x7f800000
	v_and_b32_e32 v0, 0x7f800000, v2
	v_cmp_ne_u32_e32 vcc, s0, v0
                                        ; implicit-def: $vgpr0
	s_and_saveexec_b64 s[0:1], vcc
	s_xor_b64 s[0:1], exec, s[0:1]
; %bb.256:
	v_bfe_u32 v0, v2, 16, 1
	s_movk_i32 s2, 0x7fff
	v_add3_u32 v0, v2, v0, s2
                                        ; implicit-def: $vgpr2
; %bb.257:
	s_andn2_saveexec_b64 s[0:1], s[0:1]
; %bb.258:
	v_mov_b32_e32 v0, 0
	v_or_b32_e32 v3, 0x10000, v2
	v_cmp_eq_u32_sdwa vcc, v2, v0 src0_sel:WORD_0 src1_sel:DWORD
	s_nop 1
	v_cndmask_b32_e32 v0, v3, v2, vcc
; %bb.259:
	s_or_b64 exec, exec, s[0:1]
	s_mul_i32 s0, s20, s21
	s_mul_i32 s0, s0, s5
	s_mulk_i32 s0, 0x50
	s_ashr_i32 s1, s0, 31
	s_lshl_b64 s[0:1], s[0:1], 1
	s_add_u32 s3, s24, s0
	s_mul_i32 s0, s21, s22
	s_addc_u32 s5, s25, s1
	s_ashr_i32 s1, s0, 31
	s_lshl_b64 s[0:1], s[0:1], 1
	s_add_u32 s3, s3, s0
	s_mul_i32 s0, s4, 0x50
	s_addc_u32 s5, s5, s1
	s_ashr_i32 s1, s0, 31
	s_lshl_b64 s[0:1], s[0:1], 1
	s_movk_i32 s2, 0x50
	s_add_u32 s0, s3, s0
	s_addc_u32 s1, s5, s1
	v_cmp_gt_u32_e32 vcc, s2, v1
	global_store_short_d16_hi v10, v0, s[0:1]
	s_and_b64 exec, exec, vcc
	s_cbranch_execz .LBB299_265
; %bb.260:
	s_mov_b32 s2, 0x7f800000
	v_and_b32_e32 v0, 0x7f800000, v13
	v_mov_b32_e32 v11, 0
	v_cmp_ne_u32_e32 vcc, s2, v0
                                        ; implicit-def: $vgpr2
	s_and_saveexec_b64 s[2:3], vcc
	s_xor_b64 s[2:3], exec, s[2:3]
; %bb.261:
	v_bfe_u32 v0, v13, 16, 1
	s_movk_i32 s4, 0x7fff
	v_add3_u32 v2, v13, v0, s4
                                        ; implicit-def: $vgpr13
; %bb.262:
	s_or_saveexec_b64 s[2:3], s[2:3]
	v_lshl_add_u64 v[0:1], s[0:1], 0, v[10:11]
	s_xor_b64 exec, exec, s[2:3]
; %bb.263:
	v_mov_b32_e32 v2, 0
	v_or_b32_e32 v3, 0x10000, v13
	v_cmp_eq_u32_sdwa vcc, v13, v2 src0_sel:WORD_0 src1_sel:DWORD
	s_nop 1
	v_cndmask_b32_e32 v2, v3, v13, vcc
; %bb.264:
	s_or_b64 exec, exec, s[2:3]
	global_store_short_d16_hi v[0:1], v2, off offset:128
.LBB299_265:
	s_endpgm
	.section	.rodata,"a",@progbits
	.p2align	6, 0x0
	.amdhsa_kernel _ZN4vllm25paged_attention_v1_kernelI14__hip_bfloat16hLi80ELi8ELi128ELNS_18Fp8KVCacheDataTypeE1ELb0EEEvPT_PKS3_PKT0_S9_ifPKiSB_iPKfiiiSD_SD_iiiii
		.amdhsa_group_segment_fixed_size 176
		.amdhsa_private_segment_fixed_size 0
		.amdhsa_kernarg_size 384
		.amdhsa_user_sgpr_count 2
		.amdhsa_user_sgpr_dispatch_ptr 0
		.amdhsa_user_sgpr_queue_ptr 0
		.amdhsa_user_sgpr_kernarg_segment_ptr 1
		.amdhsa_user_sgpr_dispatch_id 0
		.amdhsa_user_sgpr_kernarg_preload_length 0
		.amdhsa_user_sgpr_kernarg_preload_offset 0
		.amdhsa_user_sgpr_private_segment_size 0
		.amdhsa_uses_dynamic_stack 0
		.amdhsa_enable_private_segment 0
		.amdhsa_system_sgpr_workgroup_id_x 1
		.amdhsa_system_sgpr_workgroup_id_y 1
		.amdhsa_system_sgpr_workgroup_id_z 1
		.amdhsa_system_sgpr_workgroup_info 0
		.amdhsa_system_vgpr_workitem_id 0
		.amdhsa_next_free_vgpr 41
		.amdhsa_next_free_sgpr 41
		.amdhsa_accum_offset 44
		.amdhsa_reserve_vcc 1
		.amdhsa_float_round_mode_32 0
		.amdhsa_float_round_mode_16_64 0
		.amdhsa_float_denorm_mode_32 3
		.amdhsa_float_denorm_mode_16_64 3
		.amdhsa_dx10_clamp 1
		.amdhsa_ieee_mode 1
		.amdhsa_fp16_overflow 0
		.amdhsa_tg_split 0
		.amdhsa_exception_fp_ieee_invalid_op 0
		.amdhsa_exception_fp_denorm_src 0
		.amdhsa_exception_fp_ieee_div_zero 0
		.amdhsa_exception_fp_ieee_overflow 0
		.amdhsa_exception_fp_ieee_underflow 0
		.amdhsa_exception_fp_ieee_inexact 0
		.amdhsa_exception_int_div_zero 0
	.end_amdhsa_kernel
	.section	.text._ZN4vllm25paged_attention_v1_kernelI14__hip_bfloat16hLi80ELi8ELi128ELNS_18Fp8KVCacheDataTypeE1ELb0EEEvPT_PKS3_PKT0_S9_ifPKiSB_iPKfiiiSD_SD_iiiii,"axG",@progbits,_ZN4vllm25paged_attention_v1_kernelI14__hip_bfloat16hLi80ELi8ELi128ELNS_18Fp8KVCacheDataTypeE1ELb0EEEvPT_PKS3_PKT0_S9_ifPKiSB_iPKfiiiSD_SD_iiiii,comdat
.Lfunc_end299:
	.size	_ZN4vllm25paged_attention_v1_kernelI14__hip_bfloat16hLi80ELi8ELi128ELNS_18Fp8KVCacheDataTypeE1ELb0EEEvPT_PKS3_PKT0_S9_ifPKiSB_iPKfiiiSD_SD_iiiii, .Lfunc_end299-_ZN4vllm25paged_attention_v1_kernelI14__hip_bfloat16hLi80ELi8ELi128ELNS_18Fp8KVCacheDataTypeE1ELb0EEEvPT_PKS3_PKT0_S9_ifPKiSB_iPKfiiiSD_SD_iiiii
                                        ; -- End function
	.section	.AMDGPU.csdata,"",@progbits
; Kernel info:
; codeLenInByte = 8760
; NumSgprs: 47
; NumVgprs: 41
; NumAgprs: 0
; TotalNumVgprs: 41
; ScratchSize: 0
; MemoryBound: 0
; FloatMode: 240
; IeeeMode: 1
; LDSByteSize: 176 bytes/workgroup (compile time only)
; SGPRBlocks: 5
; VGPRBlocks: 5
; NumSGPRsForWavesPerEU: 47
; NumVGPRsForWavesPerEU: 41
; AccumOffset: 44
; Occupancy: 8
; WaveLimiterHint : 1
; COMPUTE_PGM_RSRC2:SCRATCH_EN: 0
; COMPUTE_PGM_RSRC2:USER_SGPR: 2
; COMPUTE_PGM_RSRC2:TRAP_HANDLER: 0
; COMPUTE_PGM_RSRC2:TGID_X_EN: 1
; COMPUTE_PGM_RSRC2:TGID_Y_EN: 1
; COMPUTE_PGM_RSRC2:TGID_Z_EN: 1
; COMPUTE_PGM_RSRC2:TIDIG_COMP_CNT: 0
; COMPUTE_PGM_RSRC3_GFX90A:ACCUM_OFFSET: 10
; COMPUTE_PGM_RSRC3_GFX90A:TG_SPLIT: 0
	.section	.text._ZN4vllm25paged_attention_v1_kernelI14__hip_bfloat16hLi96ELi8ELi128ELNS_18Fp8KVCacheDataTypeE1ELb0EEEvPT_PKS3_PKT0_S9_ifPKiSB_iPKfiiiSD_SD_iiiii,"axG",@progbits,_ZN4vllm25paged_attention_v1_kernelI14__hip_bfloat16hLi96ELi8ELi128ELNS_18Fp8KVCacheDataTypeE1ELb0EEEvPT_PKS3_PKT0_S9_ifPKiSB_iPKfiiiSD_SD_iiiii,comdat
	.protected	_ZN4vllm25paged_attention_v1_kernelI14__hip_bfloat16hLi96ELi8ELi128ELNS_18Fp8KVCacheDataTypeE1ELb0EEEvPT_PKS3_PKT0_S9_ifPKiSB_iPKfiiiSD_SD_iiiii ; -- Begin function _ZN4vllm25paged_attention_v1_kernelI14__hip_bfloat16hLi96ELi8ELi128ELNS_18Fp8KVCacheDataTypeE1ELb0EEEvPT_PKS3_PKT0_S9_ifPKiSB_iPKfiiiSD_SD_iiiii
	.globl	_ZN4vllm25paged_attention_v1_kernelI14__hip_bfloat16hLi96ELi8ELi128ELNS_18Fp8KVCacheDataTypeE1ELb0EEEvPT_PKS3_PKT0_S9_ifPKiSB_iPKfiiiSD_SD_iiiii
	.p2align	8
	.type	_ZN4vllm25paged_attention_v1_kernelI14__hip_bfloat16hLi96ELi8ELi128ELNS_18Fp8KVCacheDataTypeE1ELb0EEEvPT_PKS3_PKT0_S9_ifPKiSB_iPKfiiiSD_SD_iiiii,@function
_ZN4vllm25paged_attention_v1_kernelI14__hip_bfloat16hLi96ELi8ELi128ELNS_18Fp8KVCacheDataTypeE1ELb0EEEvPT_PKS3_PKT0_S9_ifPKiSB_iPKfiiiSD_SD_iiiii: ; @_ZN4vllm25paged_attention_v1_kernelI14__hip_bfloat16hLi96ELi8ELi128ELNS_18Fp8KVCacheDataTypeE1ELb0EEEvPT_PKS3_PKT0_S9_ifPKiSB_iPKfiiiSD_SD_iiiii
; %bb.0:
	s_load_dword s5, s[0:1], 0x80
	s_load_dwordx2 s[6:7], s[0:1], 0x30
	s_load_dwordx2 s[10:11], s[0:1], 0x20
	s_mov_b32 s20, s3
	s_ashr_i32 s21, s3, 31
	s_lshl_b64 s[8:9], s[20:21], 2
	s_waitcnt lgkmcnt(0)
	s_add_u32 s6, s6, s8
	s_addc_u32 s7, s7, s9
	s_abs_i32 s3, s10
	v_cvt_f32_u32_e32 v1, s3
	s_xor_b32 s8, s5, s10
	s_sub_i32 s10, 0, s3
	s_abs_i32 s9, s5
	v_rcp_iflag_f32_e32 v1, v1
	s_ashr_i32 s8, s8, 31
	v_mul_f32_e32 v1, 0x4f7ffffe, v1
	v_cvt_u32_f32_e32 v1, v1
	s_nop 0
	v_readfirstlane_b32 s12, v1
	s_mul_i32 s10, s10, s12
	s_mul_hi_u32 s10, s12, s10
	s_add_i32 s12, s12, s10
	s_mul_hi_u32 s10, s9, s12
	s_mul_i32 s12, s10, s3
	s_sub_i32 s9, s9, s12
	s_add_i32 s12, s10, 1
	s_sub_i32 s13, s9, s3
	s_cmp_ge_u32 s9, s3
	s_cselect_b32 s10, s12, s10
	s_cselect_b32 s9, s13, s9
	s_add_i32 s12, s10, 1
	s_cmp_ge_u32 s9, s3
	s_cselect_b32 s3, s12, s10
	s_xor_b32 s3, s3, s8
	s_sub_i32 s12, s3, s8
	s_abs_i32 s16, s12
	v_cvt_f32_u32_e32 v1, s16
	s_load_dwordx2 s[8:9], s[0:1], 0x40
	s_sub_i32 s3, 0, s16
	s_abs_i32 s17, s2
	v_rcp_iflag_f32_e32 v1, v1
	s_mov_b32 s10, 0
	v_mul_f32_e32 v1, 0x4f7ffffe, v1
	v_cvt_u32_f32_e32 v1, v1
	s_nop 0
	v_readfirstlane_b32 s13, v1
	s_mul_i32 s3, s3, s13
	s_mul_hi_u32 s3, s13, s3
	s_add_i32 s13, s13, s3
	s_waitcnt lgkmcnt(0)
	s_cmp_eq_u64 s[8:9], 0
	s_mul_hi_u32 s18, s17, s13
	s_cbranch_scc1 .LBB300_2
; %bb.1:
	s_ashr_i32 s3, s2, 31
	s_lshl_b64 s[14:15], s[2:3], 2
	s_add_u32 s8, s8, s14
	s_addc_u32 s9, s9, s15
	s_load_dword s10, s[8:9], 0x0
.LBB300_2:
	s_load_dword s33, s[6:7], 0x0
	s_ashr_i32 s9, s12, 31
	s_load_dwordx4 s[12:15], s[0:1], 0x48
	s_movk_i32 s3, 0x60
	s_ashr_i32 s8, s2, 31
	v_and_b32_e32 v2, 7, v0
	s_mul_i32 s22, s2, 0x60
	v_cmp_gt_u32_e64 s[6:7], s3, v0
	v_lshlrev_b32_e32 v10, 1, v0
	s_and_saveexec_b64 s[2:3], s[6:7]
	s_cbranch_execz .LBB300_4
; %bb.3:
	s_load_dwordx2 s[24:25], s[0:1], 0x8
	s_waitcnt lgkmcnt(0)
	s_mul_i32 s26, s20, s12
	s_ashr_i32 s27, s26, 31
	s_lshl_b64 s[26:27], s[26:27], 1
	v_lshrrev_b32_e32 v3, 2, v0
	s_add_u32 s12, s24, s26
	s_addc_u32 s15, s25, s27
	s_ashr_i32 s23, s22, 31
	s_lshl_b64 s[24:25], s[22:23], 1
	s_add_u32 s24, s12, s24
	s_addc_u32 s25, s15, s25
	global_load_ushort v1, v10, s[24:25]
	v_and_b32_e32 v3, 0xfe, v3
	v_mad_u32_u24 v3, v2, 24, v3
	s_waitcnt vmcnt(0)
	ds_write_b16 v3, v1
.LBB300_4:
	s_or_b64 exec, exec, s[2:3]
	s_waitcnt lgkmcnt(0)
	s_add_i32 s3, s33, 7
	s_ashr_i32 s12, s3, 31
	s_lshr_b32 s12, s12, 29
	s_add_i32 s3, s3, s12
	s_ashr_i32 s23, s3, 3
	s_xor_b32 s3, s8, s9
	s_mul_i32 s8, s18, s16
	s_sub_i32 s8, s17, s8
	s_add_i32 s9, s18, 1
	s_sub_i32 s12, s8, s16
	s_load_dwordx2 s[26:27], s[0:1], 0x28
	s_load_dword s2, s[0:1], 0x38
	s_cmp_ge_u32 s8, s16
	s_cselect_b32 s9, s9, s18
	s_cselect_b32 s8, s12, s8
	s_add_i32 s12, s9, 1
	s_cmp_ge_u32 s8, s16
	s_cselect_b32 s8, s12, s9
	v_lshrrev_b32_e32 v1, 6, v0
	s_xor_b32 s8, s8, s3
	s_waitcnt lgkmcnt(0)
	s_mul_i32 s28, s20, s2
	s_sub_i32 s12, s8, s3
	s_ashr_i32 s29, s28, 31
	v_cmp_gt_i32_e64 s[2:3], s23, v1
	v_cmp_le_i32_e32 vcc, s23, v1
	v_mbcnt_lo_u32_b32 v6, -1, 0
	s_barrier
	s_waitcnt lgkmcnt(0)
                                        ; implicit-def: $sgpr15
                                        ; implicit-def: $vgpr13
                                        ; implicit-def: $vgpr14
	s_and_saveexec_b64 s[8:9], vcc
	s_xor_b64 s[8:9], exec, s[8:9]
; %bb.5:
	v_mbcnt_hi_u32_b32 v13, -1, v6
	v_and_b32_e32 v2, 64, v13
	v_add_u32_e32 v14, 64, v2
	s_mov_b32 s15, 0xff7fffff
                                        ; implicit-def: $vgpr2
                                        ; implicit-def: $vgpr6
; %bb.6:
	s_or_saveexec_b64 s[34:35], s[8:9]
	s_load_dwordx2 s[24:25], s[0:1], 0x0
	s_load_dwordx2 s[30:31], s[0:1], 0x18
	s_load_dword s21, s[0:1], 0x88
	s_load_dwordx4 s[16:19], s[0:1], 0x58
	v_mov_b32_e32 v26, s15
	s_mul_i32 s12, s12, s14
	v_lshrrev_b32_e32 v12, 4, v0
	s_xor_b64 exec, exec, s[34:35]
	s_cbranch_execz .LBB300_60
; %bb.7:
	v_mbcnt_hi_u32_b32 v13, -1, v6
	v_and_b32_e32 v6, 64, v13
	v_add_u32_e32 v14, 64, v6
	v_xor_b32_e32 v6, 4, v13
	v_cmp_lt_i32_e32 vcc, v6, v14
	s_load_dwordx2 s[0:1], s[0:1], 0x10
	v_mul_u32_u24_e32 v8, 24, v2
	v_cndmask_b32_e32 v6, v13, v6, vcc
	v_lshlrev_b32_e32 v27, 2, v6
	v_xor_b32_e32 v6, 2, v13
	v_cmp_lt_i32_e32 vcc, v6, v14
	s_ashr_i32 s8, s12, 31
	ds_read2_b64 v[18:21], v8 offset1:1
	v_cndmask_b32_e32 v6, v13, v6, vcc
	v_lshlrev_b32_e32 v28, 2, v6
	v_xor_b32_e32 v6, 1, v13
	ds_read_b64 v[8:9], v8 offset:16
	v_cmp_lt_i32_e32 vcc, v6, v14
	v_bfe_u32 v7, v0, 3, 3
	s_waitcnt lgkmcnt(0)
	s_add_u32 s0, s0, s12
	v_cndmask_b32_e32 v6, v13, v6, vcc
	s_load_dword s37, s[16:17], 0x0
	s_addc_u32 s1, s1, s8
	v_lshlrev_b32_e32 v29, 2, v6
	s_sub_i32 s38, 1, s33
	v_lshlrev_b32_e32 v6, 2, v7
	s_lshl_b64 s[8:9], s[28:29], 2
	v_mov_b32_e32 v3, 0
	v_lshl_or_b32 v6, v1, 5, v6
	s_add_u32 s8, s26, s8
	v_lshlrev_b32_e32 v4, 4, v7
	v_mov_b32_e32 v5, v3
	v_lshl_or_b32 v30, v1, 3, v7
	v_add_u32_e32 v31, 0xd0, v6
	v_and_b32_e32 v6, 60, v12
	v_mov_b32_e32 v7, v3
	s_addc_u32 s9, s27, s9
	s_mov_b32 s36, s13
	v_lshl_add_u64 v[4:5], s[0:1], 0, v[4:5]
	v_lshlrev_b32_e32 v11, 16, v18
	v_and_b32_e32 v15, 0xffff0000, v18
	v_lshlrev_b32_e32 v16, 16, v19
	v_and_b32_e32 v17, 0xffff0000, v19
	;; [unrolled: 2-line block ×6, first 2 shown]
	v_cmp_eq_u32_e32 vcc, 0, v2
	v_cmp_neq_f32_e64 s[0:1], s10, 0
	v_lshl_add_u64 v[6:7], s[8:9], 0, v[6:7]
	s_mov_b64 s[14:15], 0
	v_mov_b32_e32 v26, 0xff7fffff
	s_mov_b32 s39, 0x7f800000
	s_movk_i32 s40, 0x7fff
	v_mov_b32_e32 v32, v1
	s_branch .LBB300_9
.LBB300_8:                              ;   in Loop: Header=BB300_9 Depth=1
	s_or_b64 exec, exec, s[16:17]
	v_add_u32_e32 v32, 2, v32
	v_cmp_le_i32_e64 s[8:9], s23, v32
	v_add_u32_e32 v30, 16, v30
	v_add_u32_e32 v31, 64, v31
	s_or_b64 s[14:15], s[8:9], s[14:15]
	v_lshl_add_u64 v[6:7], v[6:7], 0, 8
	s_andn2_b64 exec, exec, s[14:15]
	s_cbranch_execz .LBB300_59
.LBB300_9:                              ; =>This Inner Loop Header: Depth=1
	global_load_dword v8, v[6:7], off
	s_waitcnt vmcnt(0) lgkmcnt(0)
	v_mad_i64_i32 v[8:9], s[8:9], v8, s36, v[4:5]
	v_lshl_add_u64 v[8:9], v[8:9], 0, v[2:3]
	global_load_ubyte v33, v[8:9], off
	s_waitcnt vmcnt(0)
	v_cvt_f32_fp8_sdwa v33, v33 src0_sel:BYTE_0
	s_waitcnt lgkmcnt(0)
	v_mul_f32_e32 v34, s37, v33
	v_and_b32_e32 v33, 0x7f800000, v34
	v_cmp_ne_u32_e64 s[8:9], s39, v33
                                        ; implicit-def: $vgpr33
	s_and_saveexec_b64 s[16:17], s[8:9]
	s_xor_b64 s[8:9], exec, s[16:17]
; %bb.10:                               ;   in Loop: Header=BB300_9 Depth=1
	v_bfe_u32 v33, v34, 16, 1
	v_add3_u32 v33, v34, v33, s40
                                        ; implicit-def: $vgpr34
; %bb.11:                               ;   in Loop: Header=BB300_9 Depth=1
	s_andn2_saveexec_b64 s[16:17], s[8:9]
; %bb.12:                               ;   in Loop: Header=BB300_9 Depth=1
	v_or_b32_e32 v33, 0x10000, v34
	v_cmp_eq_u32_sdwa s[8:9], v34, v3 src0_sel:WORD_0 src1_sel:DWORD
	s_nop 1
	v_cndmask_b32_e64 v33, v33, v34, s[8:9]
; %bb.13:                               ;   in Loop: Header=BB300_9 Depth=1
	s_or_b64 exec, exec, s[16:17]
	global_load_ubyte v34, v[8:9], off offset:8
	s_waitcnt vmcnt(0)
	v_cvt_f32_fp8_sdwa v34, v34 src0_sel:BYTE_0
	s_nop 0
	v_mul_f32_e32 v35, s37, v34
	v_and_b32_e32 v34, 0x7f800000, v35
	v_cmp_ne_u32_e64 s[8:9], s39, v34
                                        ; implicit-def: $vgpr34
	s_and_saveexec_b64 s[16:17], s[8:9]
	s_xor_b64 s[8:9], exec, s[16:17]
; %bb.14:                               ;   in Loop: Header=BB300_9 Depth=1
	v_bfe_u32 v34, v35, 16, 1
	v_add3_u32 v34, v35, v34, s40
                                        ; implicit-def: $vgpr35
; %bb.15:                               ;   in Loop: Header=BB300_9 Depth=1
	s_andn2_saveexec_b64 s[16:17], s[8:9]
; %bb.16:                               ;   in Loop: Header=BB300_9 Depth=1
	v_or_b32_e32 v34, 0x10000, v35
	v_cmp_eq_u32_sdwa s[8:9], v35, v3 src0_sel:WORD_0 src1_sel:DWORD
	s_nop 1
	v_cndmask_b32_e64 v34, v34, v35, s[8:9]
; %bb.17:                               ;   in Loop: Header=BB300_9 Depth=1
	s_or_b64 exec, exec, s[16:17]
	global_load_ubyte v35, v[8:9], off offset:128
	s_waitcnt vmcnt(0)
	v_cvt_f32_fp8_sdwa v35, v35 src0_sel:BYTE_0
	s_nop 0
	v_mul_f32_e32 v36, s37, v35
	v_and_b32_e32 v35, 0x7f800000, v36
	v_cmp_ne_u32_e64 s[8:9], s39, v35
                                        ; implicit-def: $vgpr35
	s_and_saveexec_b64 s[16:17], s[8:9]
	s_xor_b64 s[8:9], exec, s[16:17]
; %bb.18:                               ;   in Loop: Header=BB300_9 Depth=1
	v_bfe_u32 v35, v36, 16, 1
	v_add3_u32 v35, v36, v35, s40
                                        ; implicit-def: $vgpr36
; %bb.19:                               ;   in Loop: Header=BB300_9 Depth=1
	s_andn2_saveexec_b64 s[16:17], s[8:9]
; %bb.20:                               ;   in Loop: Header=BB300_9 Depth=1
	v_or_b32_e32 v35, 0x10000, v36
	v_cmp_eq_u32_sdwa s[8:9], v36, v3 src0_sel:WORD_0 src1_sel:DWORD
	s_nop 1
	v_cndmask_b32_e64 v35, v35, v36, s[8:9]
; %bb.21:                               ;   in Loop: Header=BB300_9 Depth=1
	s_or_b64 exec, exec, s[16:17]
	global_load_ubyte v36, v[8:9], off offset:136
	s_waitcnt vmcnt(0)
	v_cvt_f32_fp8_sdwa v36, v36 src0_sel:BYTE_0
	s_nop 0
	v_mul_f32_e32 v37, s37, v36
	v_and_b32_e32 v36, 0x7f800000, v37
	v_cmp_ne_u32_e64 s[8:9], s39, v36
                                        ; implicit-def: $vgpr36
	s_and_saveexec_b64 s[16:17], s[8:9]
	s_xor_b64 s[8:9], exec, s[16:17]
; %bb.22:                               ;   in Loop: Header=BB300_9 Depth=1
	v_bfe_u32 v36, v37, 16, 1
	v_add3_u32 v36, v37, v36, s40
                                        ; implicit-def: $vgpr37
; %bb.23:                               ;   in Loop: Header=BB300_9 Depth=1
	s_andn2_saveexec_b64 s[16:17], s[8:9]
; %bb.24:                               ;   in Loop: Header=BB300_9 Depth=1
	v_or_b32_e32 v36, 0x10000, v37
	v_cmp_eq_u32_sdwa s[8:9], v37, v3 src0_sel:WORD_0 src1_sel:DWORD
	s_nop 1
	v_cndmask_b32_e64 v36, v36, v37, s[8:9]
; %bb.25:                               ;   in Loop: Header=BB300_9 Depth=1
	s_or_b64 exec, exec, s[16:17]
	global_load_ubyte v37, v[8:9], off offset:256
	s_waitcnt vmcnt(0)
	v_cvt_f32_fp8_sdwa v37, v37 src0_sel:BYTE_0
	s_nop 0
	v_mul_f32_e32 v38, s37, v37
	v_and_b32_e32 v37, 0x7f800000, v38
	v_cmp_ne_u32_e64 s[8:9], s39, v37
                                        ; implicit-def: $vgpr37
	s_and_saveexec_b64 s[16:17], s[8:9]
	s_xor_b64 s[8:9], exec, s[16:17]
; %bb.26:                               ;   in Loop: Header=BB300_9 Depth=1
	v_bfe_u32 v37, v38, 16, 1
	v_add3_u32 v37, v38, v37, s40
                                        ; implicit-def: $vgpr38
; %bb.27:                               ;   in Loop: Header=BB300_9 Depth=1
	s_andn2_saveexec_b64 s[16:17], s[8:9]
; %bb.28:                               ;   in Loop: Header=BB300_9 Depth=1
	v_or_b32_e32 v37, 0x10000, v38
	v_cmp_eq_u32_sdwa s[8:9], v38, v3 src0_sel:WORD_0 src1_sel:DWORD
	s_nop 1
	v_cndmask_b32_e64 v37, v37, v38, s[8:9]
; %bb.29:                               ;   in Loop: Header=BB300_9 Depth=1
	s_or_b64 exec, exec, s[16:17]
	global_load_ubyte v38, v[8:9], off offset:264
	s_waitcnt vmcnt(0)
	v_cvt_f32_fp8_sdwa v38, v38 src0_sel:BYTE_0
	s_nop 0
	v_mul_f32_e32 v39, s37, v38
	v_and_b32_e32 v38, 0x7f800000, v39
	v_cmp_ne_u32_e64 s[8:9], s39, v38
                                        ; implicit-def: $vgpr38
	s_and_saveexec_b64 s[16:17], s[8:9]
	s_xor_b64 s[8:9], exec, s[16:17]
; %bb.30:                               ;   in Loop: Header=BB300_9 Depth=1
	v_bfe_u32 v38, v39, 16, 1
	v_add3_u32 v38, v39, v38, s40
                                        ; implicit-def: $vgpr39
; %bb.31:                               ;   in Loop: Header=BB300_9 Depth=1
	s_andn2_saveexec_b64 s[16:17], s[8:9]
; %bb.32:                               ;   in Loop: Header=BB300_9 Depth=1
	v_or_b32_e32 v38, 0x10000, v39
	v_cmp_eq_u32_sdwa s[8:9], v39, v3 src0_sel:WORD_0 src1_sel:DWORD
	s_nop 1
	v_cndmask_b32_e64 v38, v38, v39, s[8:9]
; %bb.33:                               ;   in Loop: Header=BB300_9 Depth=1
	s_or_b64 exec, exec, s[16:17]
	global_load_ubyte v39, v[8:9], off offset:384
	s_waitcnt vmcnt(0)
	v_cvt_f32_fp8_sdwa v39, v39 src0_sel:BYTE_0
	s_nop 0
	v_mul_f32_e32 v40, s37, v39
	v_and_b32_e32 v39, 0x7f800000, v40
	v_cmp_ne_u32_e64 s[8:9], s39, v39
                                        ; implicit-def: $vgpr39
	s_and_saveexec_b64 s[16:17], s[8:9]
	s_xor_b64 s[8:9], exec, s[16:17]
; %bb.34:                               ;   in Loop: Header=BB300_9 Depth=1
	v_bfe_u32 v39, v40, 16, 1
	v_add3_u32 v39, v40, v39, s40
                                        ; implicit-def: $vgpr40
; %bb.35:                               ;   in Loop: Header=BB300_9 Depth=1
	s_andn2_saveexec_b64 s[16:17], s[8:9]
; %bb.36:                               ;   in Loop: Header=BB300_9 Depth=1
	v_or_b32_e32 v39, 0x10000, v40
	v_cmp_eq_u32_sdwa s[8:9], v40, v3 src0_sel:WORD_0 src1_sel:DWORD
	s_nop 1
	v_cndmask_b32_e64 v39, v39, v40, s[8:9]
; %bb.37:                               ;   in Loop: Header=BB300_9 Depth=1
	s_or_b64 exec, exec, s[16:17]
	global_load_ubyte v40, v[8:9], off offset:392
	s_waitcnt vmcnt(0)
	v_cvt_f32_fp8_sdwa v40, v40 src0_sel:BYTE_0
	s_nop 0
	v_mul_f32_e32 v41, s37, v40
	v_and_b32_e32 v40, 0x7f800000, v41
	v_cmp_ne_u32_e64 s[8:9], s39, v40
                                        ; implicit-def: $vgpr40
	s_and_saveexec_b64 s[16:17], s[8:9]
	s_xor_b64 s[8:9], exec, s[16:17]
; %bb.38:                               ;   in Loop: Header=BB300_9 Depth=1
	v_bfe_u32 v40, v41, 16, 1
	v_add3_u32 v40, v41, v40, s40
                                        ; implicit-def: $vgpr41
; %bb.39:                               ;   in Loop: Header=BB300_9 Depth=1
	s_andn2_saveexec_b64 s[16:17], s[8:9]
; %bb.40:                               ;   in Loop: Header=BB300_9 Depth=1
	v_or_b32_e32 v40, 0x10000, v41
	v_cmp_eq_u32_sdwa s[8:9], v41, v3 src0_sel:WORD_0 src1_sel:DWORD
	s_nop 1
	v_cndmask_b32_e64 v40, v40, v41, s[8:9]
; %bb.41:                               ;   in Loop: Header=BB300_9 Depth=1
	s_or_b64 exec, exec, s[16:17]
	global_load_ubyte v41, v[8:9], off offset:512
	s_waitcnt vmcnt(0)
	v_cvt_f32_fp8_sdwa v41, v41 src0_sel:BYTE_0
	s_nop 0
	v_mul_f32_e32 v42, s37, v41
	v_and_b32_e32 v41, 0x7f800000, v42
	v_cmp_ne_u32_e64 s[8:9], s39, v41
                                        ; implicit-def: $vgpr41
	s_and_saveexec_b64 s[16:17], s[8:9]
	s_xor_b64 s[8:9], exec, s[16:17]
; %bb.42:                               ;   in Loop: Header=BB300_9 Depth=1
	v_bfe_u32 v41, v42, 16, 1
	v_add3_u32 v41, v42, v41, s40
                                        ; implicit-def: $vgpr42
; %bb.43:                               ;   in Loop: Header=BB300_9 Depth=1
	s_andn2_saveexec_b64 s[16:17], s[8:9]
; %bb.44:                               ;   in Loop: Header=BB300_9 Depth=1
	v_or_b32_e32 v41, 0x10000, v42
	v_cmp_eq_u32_sdwa s[8:9], v42, v3 src0_sel:WORD_0 src1_sel:DWORD
	s_nop 1
	v_cndmask_b32_e64 v41, v41, v42, s[8:9]
; %bb.45:                               ;   in Loop: Header=BB300_9 Depth=1
	s_or_b64 exec, exec, s[16:17]
	global_load_ubyte v42, v[8:9], off offset:520
	s_waitcnt vmcnt(0)
	v_cvt_f32_fp8_sdwa v42, v42 src0_sel:BYTE_0
	s_nop 0
	v_mul_f32_e32 v43, s37, v42
	v_and_b32_e32 v42, 0x7f800000, v43
	v_cmp_ne_u32_e64 s[8:9], s39, v42
                                        ; implicit-def: $vgpr42
	s_and_saveexec_b64 s[16:17], s[8:9]
	s_xor_b64 s[8:9], exec, s[16:17]
; %bb.46:                               ;   in Loop: Header=BB300_9 Depth=1
	v_bfe_u32 v42, v43, 16, 1
	v_add3_u32 v42, v43, v42, s40
                                        ; implicit-def: $vgpr43
; %bb.47:                               ;   in Loop: Header=BB300_9 Depth=1
	s_andn2_saveexec_b64 s[16:17], s[8:9]
; %bb.48:                               ;   in Loop: Header=BB300_9 Depth=1
	v_or_b32_e32 v42, 0x10000, v43
	v_cmp_eq_u32_sdwa s[8:9], v43, v3 src0_sel:WORD_0 src1_sel:DWORD
	s_nop 1
	v_cndmask_b32_e64 v42, v42, v43, s[8:9]
; %bb.49:                               ;   in Loop: Header=BB300_9 Depth=1
	s_or_b64 exec, exec, s[16:17]
	global_load_ubyte v43, v[8:9], off offset:640
	s_waitcnt vmcnt(0)
	v_cvt_f32_fp8_sdwa v43, v43 src0_sel:BYTE_0
	s_nop 0
	v_mul_f32_e32 v44, s37, v43
	v_and_b32_e32 v43, 0x7f800000, v44
	v_cmp_ne_u32_e64 s[8:9], s39, v43
                                        ; implicit-def: $vgpr43
	s_and_saveexec_b64 s[16:17], s[8:9]
	s_xor_b64 s[8:9], exec, s[16:17]
; %bb.50:                               ;   in Loop: Header=BB300_9 Depth=1
	v_bfe_u32 v43, v44, 16, 1
	v_add3_u32 v43, v44, v43, s40
                                        ; implicit-def: $vgpr44
; %bb.51:                               ;   in Loop: Header=BB300_9 Depth=1
	s_andn2_saveexec_b64 s[16:17], s[8:9]
; %bb.52:                               ;   in Loop: Header=BB300_9 Depth=1
	v_or_b32_e32 v43, 0x10000, v44
	v_cmp_eq_u32_sdwa s[8:9], v44, v3 src0_sel:WORD_0 src1_sel:DWORD
	s_nop 1
	v_cndmask_b32_e64 v43, v43, v44, s[8:9]
; %bb.53:                               ;   in Loop: Header=BB300_9 Depth=1
	s_or_b64 exec, exec, s[16:17]
	global_load_ubyte v8, v[8:9], off offset:648
	s_waitcnt vmcnt(0)
	v_cvt_f32_fp8_sdwa v8, v8 src0_sel:BYTE_0
	s_nop 0
	v_mul_f32_e32 v9, s37, v8
	v_and_b32_e32 v8, 0x7f800000, v9
	v_cmp_ne_u32_e64 s[8:9], s39, v8
                                        ; implicit-def: $vgpr8
	s_and_saveexec_b64 s[16:17], s[8:9]
	s_xor_b64 s[8:9], exec, s[16:17]
; %bb.54:                               ;   in Loop: Header=BB300_9 Depth=1
	v_bfe_u32 v8, v9, 16, 1
	v_add3_u32 v8, v9, v8, s40
                                        ; implicit-def: $vgpr9
; %bb.55:                               ;   in Loop: Header=BB300_9 Depth=1
	s_andn2_saveexec_b64 s[16:17], s[8:9]
; %bb.56:                               ;   in Loop: Header=BB300_9 Depth=1
	v_or_b32_e32 v8, 0x10000, v9
	v_cmp_eq_u32_sdwa s[8:9], v9, v3 src0_sel:WORD_0 src1_sel:DWORD
	s_nop 1
	v_cndmask_b32_e64 v8, v8, v9, s[8:9]
; %bb.57:                               ;   in Loop: Header=BB300_9 Depth=1
	s_or_b64 exec, exec, s[16:17]
	v_and_b32_e32 v34, 0xffff0000, v34
	v_and_b32_e32 v33, 0xffff0000, v33
	v_mul_f32_e32 v34, v15, v34
	v_and_b32_e32 v35, 0xffff0000, v35
	v_fmac_f32_e32 v34, v11, v33
	v_and_b32_e32 v36, 0xffff0000, v36
	v_fmac_f32_e32 v34, v16, v35
	;; [unrolled: 2-line block ×10, first 2 shown]
	v_fmac_f32_e32 v34, v25, v8
	ds_bpermute_b32 v8, v27, v34
	s_waitcnt lgkmcnt(0)
	v_add_f32_e32 v8, v34, v8
	ds_bpermute_b32 v9, v28, v8
	s_waitcnt lgkmcnt(0)
	v_add_f32_e32 v8, v8, v9
	ds_bpermute_b32 v9, v29, v8
	s_and_saveexec_b64 s[16:17], vcc
	s_cbranch_execz .LBB300_8
; %bb.58:                               ;   in Loop: Header=BB300_9 Depth=1
	v_add_u32_e32 v33, s38, v30
	v_cvt_f32_i32_e32 v33, v33
	s_waitcnt lgkmcnt(0)
	v_add_f32_e32 v8, v8, v9
	v_cmp_gt_i32_e64 s[8:9], s33, v30
	v_max_f32_e32 v9, v26, v26
	v_mul_f32_e32 v33, s10, v33
	v_cndmask_b32_e64 v33, 0, v33, s[0:1]
	v_fmac_f32_e32 v33, s11, v8
	v_cndmask_b32_e64 v8, 0, v33, s[8:9]
	ds_write_b32 v31, v8
	v_max_f32_e32 v8, v9, v33
	v_cndmask_b32_e64 v26, v26, v8, s[8:9]
	s_branch .LBB300_8
.LBB300_59:
	s_or_b64 exec, exec, s[14:15]
.LBB300_60:
	s_or_b64 exec, exec, s[34:35]
	v_xor_b32_e32 v2, 32, v13
	v_cmp_lt_i32_e32 vcc, v2, v14
	v_xor_b32_e32 v5, 16, v13
	v_max_f32_e32 v4, v26, v26
	v_cndmask_b32_e32 v2, v13, v2, vcc
	v_lshlrev_b32_e32 v3, 2, v2
	ds_bpermute_b32 v2, v3, v26
	v_cmp_lt_i32_e32 vcc, v5, v14
	v_xor_b32_e32 v6, 8, v13
	v_and_b32_e32 v11, 63, v0
	s_waitcnt lgkmcnt(0)
	v_max_f32_e32 v2, v2, v2
	v_max_f32_e32 v2, v4, v2
	v_cndmask_b32_e32 v4, v13, v5, vcc
	v_lshlrev_b32_e32 v5, 2, v4
	ds_bpermute_b32 v4, v5, v2
	v_cmp_lt_i32_e32 vcc, v6, v14
	s_waitcnt lgkmcnt(0)
	v_max_f32_e32 v4, v4, v4
	v_max_f32_e32 v4, v2, v4
	v_cndmask_b32_e32 v2, v13, v6, vcc
	v_lshlrev_b32_e32 v7, 2, v2
	ds_bpermute_b32 v6, v7, v4
	v_cmp_eq_u32_e32 vcc, 0, v11
	v_lshlrev_b32_e32 v2, 2, v1
	s_and_saveexec_b64 s[0:1], vcc
	s_cbranch_execz .LBB300_62
; %bb.61:
	s_waitcnt lgkmcnt(0)
	v_max_f32_e32 v6, v6, v6
	v_max_f32_e32 v4, v4, v4
	;; [unrolled: 1-line block ×3, first 2 shown]
	ds_write_b32 v2, v4 offset:192
.LBB300_62:
	s_or_b64 exec, exec, s[0:1]
	v_cmp_gt_u32_e64 s[0:1], 2, v11
	v_mov_b32_e32 v8, 0xff7fffff
	v_lshlrev_b32_e32 v4, 2, v11
	s_waitcnt lgkmcnt(0)
	s_barrier
	s_and_saveexec_b64 s[8:9], s[0:1]
	s_cbranch_execz .LBB300_64
; %bb.63:
	ds_read_b32 v8, v4 offset:192
.LBB300_64:
	s_or_b64 exec, exec, s[8:9]
	v_xor_b32_e32 v6, 1, v13
	v_cmp_lt_i32_e64 s[8:9], v6, v14
	v_lshlrev_b32_e32 v15, 2, v13
	s_nop 0
	v_cndmask_b32_e64 v6, v13, v6, s[8:9]
	v_lshlrev_b32_e32 v6, 2, v6
	s_waitcnt lgkmcnt(0)
	ds_bpermute_b32 v9, v6, v8
	v_max_f32_e32 v8, v8, v8
	s_lshl_b32 s8, s23, 3
	s_min_i32 s34, s8, s33
	v_cmp_gt_i32_e64 s[8:9], s34, v0
	s_waitcnt lgkmcnt(0)
	v_max_f32_e32 v9, v9, v9
	v_max_f32_e32 v9, v8, v9
	v_and_b32_e32 v8, 0xffffff00, v15
	ds_bpermute_b32 v15, v8, v9
	v_mov_b32_e32 v9, 0
	s_and_saveexec_b64 s[14:15], s[8:9]
	s_cbranch_execz .LBB300_68
; %bb.65:
	v_mov_b32_e32 v9, 0xd0
	v_lshl_add_u32 v16, v0, 2, v9
	s_mov_b64 s[16:17], 0
	v_mov_b32_e32 v9, 0
	v_mov_b32_e32 v17, v0
.LBB300_66:                             ; =>This Inner Loop Header: Depth=1
	ds_read_b32 v18, v16
	v_add_u32_e32 v17, 0x80, v17
	v_cmp_le_i32_e64 s[10:11], s34, v17
	s_or_b64 s[16:17], s[10:11], s[16:17]
	s_waitcnt lgkmcnt(0)
	v_sub_f32_e32 v18, v18, v15
	v_mul_f32_e32 v18, 0x3fb8aa3b, v18
	v_exp_f32_e32 v18, v18
	ds_write_b32 v16, v18
	v_add_f32_e32 v9, v9, v18
	v_add_u32_e32 v16, 0x200, v16
	s_andn2_b64 exec, exec, s[16:17]
	s_cbranch_execnz .LBB300_66
; %bb.67:
	s_or_b64 exec, exec, s[16:17]
.LBB300_68:
	s_or_b64 exec, exec, s[14:15]
	ds_bpermute_b32 v3, v3, v9
	s_waitcnt lgkmcnt(0)
	v_add_f32_e32 v3, v9, v3
	ds_bpermute_b32 v5, v5, v3
	s_waitcnt lgkmcnt(0)
	v_add_f32_e32 v3, v3, v5
	ds_bpermute_b32 v5, v7, v3
	v_xor_b32_e32 v7, 4, v13
	v_cmp_lt_i32_e64 s[10:11], v7, v14
	s_waitcnt lgkmcnt(0)
	v_add_f32_e32 v3, v3, v5
	v_cndmask_b32_e64 v7, v13, v7, s[10:11]
	v_lshlrev_b32_e32 v7, 2, v7
	ds_bpermute_b32 v5, v7, v3
	v_xor_b32_e32 v7, 2, v13
	v_cmp_lt_i32_e64 s[10:11], v7, v14
	s_waitcnt lgkmcnt(0)
	v_add_f32_e32 v3, v3, v5
	v_cndmask_b32_e64 v7, v13, v7, s[10:11]
	v_lshlrev_b32_e32 v5, 2, v7
	ds_bpermute_b32 v5, v5, v3
	s_waitcnt lgkmcnt(0)
	v_add_f32_e32 v3, v3, v5
	ds_bpermute_b32 v5, v6, v3
	s_waitcnt lgkmcnt(0)
	v_add_f32_e32 v3, v3, v5
	s_and_saveexec_b64 s[10:11], vcc
	s_cbranch_execz .LBB300_70
; %bb.69:
	ds_write_b32 v2, v3 offset:200
.LBB300_70:
	s_or_b64 exec, exec, s[10:11]
	s_waitcnt lgkmcnt(0)
	s_barrier
	s_and_saveexec_b64 s[10:11], s[0:1]
	s_cbranch_execz .LBB300_72
; %bb.71:
	ds_read_b32 v3, v4 offset:200
.LBB300_72:
	s_or_b64 exec, exec, s[10:11]
	s_waitcnt lgkmcnt(0)
	ds_bpermute_b32 v2, v6, v3
	s_waitcnt lgkmcnt(0)
	v_add_f32_e32 v2, v3, v2
	ds_bpermute_b32 v2, v8, v2
	s_and_saveexec_b64 s[0:1], s[8:9]
	s_cbranch_execz .LBB300_85
; %bb.73:
	s_waitcnt lgkmcnt(0)
	v_add_f32_e32 v2, 0x358637bd, v2
	v_div_scale_f32 v3, s[8:9], v2, v2, 1.0
	v_rcp_f32_e32 v4, v3
	v_div_scale_f32 v5, vcc, 1.0, v2, 1.0
	s_movk_i32 s8, 0x7f
	v_fma_f32 v6, -v3, v4, 1.0
	v_fmac_f32_e32 v4, v6, v4
	v_mul_f32_e32 v6, v5, v4
	v_fma_f32 v7, -v3, v6, v5
	v_fmac_f32_e32 v6, v7, v4
	v_fma_f32 v3, -v3, v6, v5
	v_div_fmas_f32 v3, v3, v4, v6
	v_xad_u32 v4, v0, -1, s34
	v_div_fixup_f32 v2, v3, v2, 1.0
	v_cmp_lt_u32_e32 vcc, s8, v4
	s_mov_b64 s[10:11], -1
	v_mov_b32_e32 v3, v0
	s_and_saveexec_b64 s[8:9], vcc
	s_cbranch_execz .LBB300_82
; %bb.74:
	v_lshrrev_b32_e32 v4, 7, v4
	v_add_u32_e32 v6, -1, v4
	v_lshrrev_b32_e32 v5, 1, v6
	v_mov_b32_e32 v3, v2
	v_add_u32_e32 v5, 1, v5
	v_cmp_lt_u32_e32 vcc, 13, v6
	v_mov_b32_e32 v8, 0
	s_and_saveexec_b64 s[10:11], vcc
	s_cbranch_execz .LBB300_78
; %bb.75:
	v_mov_b32_e32 v7, 0xd0
	v_and_b32_e32 v6, -8, v5
	v_lshl_add_u32 v7, v0, 2, v7
	s_mov_b32 s16, 0
	s_mov_b64 s[14:15], 0
.LBB300_76:                             ; =>This Inner Loop Header: Depth=1
	ds_read2st64_b32 v[8:9], v7 offset1:2
	ds_read2st64_b32 v[14:15], v7 offset0:4 offset1:6
	ds_read2st64_b32 v[16:17], v7 offset0:8 offset1:10
	ds_read2st64_b32 v[18:19], v7 offset0:12 offset1:14
	v_add_u32_e32 v6, -8, v6
	s_waitcnt lgkmcnt(3)
	v_pk_mul_f32 v[8:9], v[2:3], v[8:9]
	s_waitcnt lgkmcnt(2)
	v_pk_mul_f32 v[14:15], v[2:3], v[14:15]
	ds_write2st64_b32 v7, v8, v9 offset1:2
	ds_write2st64_b32 v7, v14, v15 offset0:4 offset1:6
	ds_read2st64_b32 v[14:15], v7 offset0:16 offset1:18
	s_waitcnt lgkmcnt(4)
	v_pk_mul_f32 v[8:9], v[2:3], v[16:17]
	ds_write2st64_b32 v7, v8, v9 offset0:8 offset1:10
	s_waitcnt lgkmcnt(4)
	v_pk_mul_f32 v[8:9], v[2:3], v[18:19]
	ds_write2st64_b32 v7, v8, v9 offset0:12 offset1:14
	ds_read2st64_b32 v[8:9], v7 offset0:20 offset1:22
	s_waitcnt lgkmcnt(3)
	v_pk_mul_f32 v[14:15], v[2:3], v[14:15]
	ds_read2st64_b32 v[16:17], v7 offset0:24 offset1:26
	ds_write2st64_b32 v7, v14, v15 offset0:16 offset1:18
	ds_read2st64_b32 v[14:15], v7 offset0:28 offset1:30
	s_waitcnt lgkmcnt(3)
	v_pk_mul_f32 v[8:9], v[2:3], v[8:9]
	ds_write2st64_b32 v7, v8, v9 offset0:20 offset1:22
	s_waitcnt lgkmcnt(3)
	v_pk_mul_f32 v[8:9], v[2:3], v[16:17]
	ds_write2st64_b32 v7, v8, v9 offset0:24 offset1:26
	s_waitcnt lgkmcnt(2)
	v_pk_mul_f32 v[8:9], v[2:3], v[14:15]
	s_add_i32 s16, s16, 16
	v_cmp_eq_u32_e32 vcc, 0, v6
	ds_write2st64_b32 v7, v8, v9 offset0:28 offset1:30
	v_add_u32_e32 v7, 0x2000, v7
	s_or_b64 s[14:15], vcc, s[14:15]
	v_mov_b32_e32 v8, s16
	s_andn2_b64 exec, exec, s[14:15]
	s_cbranch_execnz .LBB300_76
; %bb.77:
	s_or_b64 exec, exec, s[14:15]
.LBB300_78:
	s_or_b64 exec, exec, s[10:11]
	v_and_b32_e32 v5, 7, v5
	v_cmp_ne_u32_e32 vcc, 0, v5
	s_and_saveexec_b64 s[10:11], vcc
	s_cbranch_execz .LBB300_81
; %bb.79:
	v_lshlrev_b32_e32 v6, 9, v8
	v_lshlrev_b32_e32 v7, 2, v0
	s_movk_i32 s14, 0xd0
	v_add3_u32 v6, v6, v7, s14
	s_mov_b64 s[14:15], 0
.LBB300_80:                             ; =>This Inner Loop Header: Depth=1
	ds_read2st64_b32 v[8:9], v6 offset1:2
	v_add_u32_e32 v5, -1, v5
	v_cmp_eq_u32_e32 vcc, 0, v5
	s_or_b64 s[14:15], vcc, s[14:15]
	s_waitcnt lgkmcnt(0)
	v_pk_mul_f32 v[8:9], v[2:3], v[8:9]
	ds_write2st64_b32 v6, v8, v9 offset1:2
	v_add_u32_e32 v6, 0x400, v6
	s_andn2_b64 exec, exec, s[14:15]
	s_cbranch_execnz .LBB300_80
.LBB300_81:
	s_or_b64 exec, exec, s[10:11]
	v_add_u32_e32 v4, 1, v4
	v_and_b32_e32 v5, 0x3fffffe, v4
	v_cmp_ne_u32_e32 vcc, v4, v5
	v_lshl_add_u32 v3, v5, 7, v0
	s_orn2_b64 s[10:11], vcc, exec
.LBB300_82:
	s_or_b64 exec, exec, s[8:9]
	s_and_b64 exec, exec, s[10:11]
	s_cbranch_execz .LBB300_85
; %bb.83:
	v_mov_b32_e32 v4, 0xd0
	v_lshl_add_u32 v4, v3, 2, v4
	s_mov_b64 s[8:9], 0
.LBB300_84:                             ; =>This Inner Loop Header: Depth=1
	ds_read_b32 v5, v4
	v_add_u32_e32 v3, 0x80, v3
	v_cmp_le_i32_e32 vcc, s34, v3
	s_or_b64 s[8:9], vcc, s[8:9]
	s_waitcnt lgkmcnt(0)
	v_mul_f32_e32 v5, v2, v5
	ds_write_b32 v4, v5
	v_add_u32_e32 v4, 0x200, v4
	s_andn2_b64 exec, exec, s[8:9]
	s_cbranch_execnz .LBB300_84
.LBB300_85:
	s_or_b64 exec, exec, s[0:1]
	v_mov_b32_e32 v13, 0
	s_waitcnt lgkmcnt(0)
	v_mov_b32_e32 v2, v13
	s_barrier
	s_and_saveexec_b64 s[8:9], s[2:3]
	s_cbranch_execz .LBB300_255
; %bb.86:
	s_ashr_i32 s0, s12, 31
	s_add_u32 s10, s30, s12
	s_addc_u32 s11, s31, s0
	s_load_dword s18, s[18:19], 0x0
	v_or_b32_e32 v2, 64, v11
	s_movk_i32 s0, 0x60
	s_add_i32 s30, s23, -1
	v_cmp_gt_u32_e32 vcc, s0, v2
	s_lshl_b64 s[0:1], s[28:29], 2
	v_mov_b32_e32 v15, 0
	v_lshlrev_b32_e32 v16, 3, v2
	v_mov_b32_e32 v2, 0xd0
	s_add_u32 s0, s26, s0
	v_lshl_add_u32 v21, v1, 5, v2
	v_and_b32_e32 v2, 60, v12
	v_mov_b32_e32 v3, v15
	s_addc_u32 s1, s27, s1
	s_mov_b32 s34, s13
	v_lshlrev_b32_e32 v14, 3, v11
	v_mov_b32_e32 v17, v15
	v_lshl_or_b32 v20, v1, 3, 7
	v_lshl_add_u64 v[18:19], s[0:1], 0, v[2:3]
	s_mov_b64 s[12:13], 0
	s_mov_b32 s19, 0x7f800000
	s_movk_i32 s26, 0x7fff
	v_mov_b32_e32 v12, v15
	v_mov_b32_e32 v13, v15
	s_branch .LBB300_89
.LBB300_87:                             ;   in Loop: Header=BB300_89 Depth=1
	s_or_b64 exec, exec, s[2:3]
	v_and_b32_e32 v25, 0xffff0000, v5
	v_and_b32_e32 v24, 0xffff0000, v9
	;; [unrolled: 1-line block ×6, first 2 shown]
	v_pk_add_f32 v[4:5], v[4:5], v[8:9]
	v_and_b32_e32 v23, 0xffff0000, v23
	v_and_b32_e32 v22, 0xffff0000, v22
	v_mov_b32_e32 v6, v5
	v_pk_add_f32 v[4:5], v[4:5], v[6:7]
	v_pk_add_f32 v[6:7], v[24:25], v[22:23]
	s_nop 0
	v_pk_add_f32 v[4:5], v[4:5], v[6:7]
	v_mov_b32_e32 v6, v7
	v_pk_add_f32 v[4:5], v[4:5], v[6:7]
	s_nop 0
	v_mov_b32_e32 v3, v4
	v_pk_add_f32 v[12:13], v[12:13], v[2:3]
.LBB300_88:                             ;   in Loop: Header=BB300_89 Depth=1
	s_or_b64 exec, exec, s[14:15]
	v_add_u32_e32 v1, 2, v1
	v_cmp_le_i32_e64 s[0:1], s23, v1
	v_add_u32_e32 v20, 16, v20
	v_add_u32_e32 v21, 64, v21
	v_lshl_add_u64 v[18:19], v[18:19], 0, 8
	s_or_b64 s[12:13], s[0:1], s[12:13]
	v_mov_b32_e32 v12, v2
	s_andn2_b64 exec, exec, s[12:13]
	s_cbranch_execz .LBB300_254
.LBB300_89:                             ; =>This Inner Loop Header: Depth=1
	global_load_dword v30, v[18:19], off
	ds_read2_b64 v[6:9], v21 offset1:1
	ds_read2_b64 v[2:5], v21 offset0:2 offset1:3
                                        ; implicit-def: $vgpr29
	s_waitcnt lgkmcnt(0)
	v_and_b32_e32 v22, 0x7f800000, v6
	v_cmp_ne_u32_e64 s[0:1], s19, v22
	s_and_saveexec_b64 s[2:3], s[0:1]
	s_xor_b64 s[0:1], exec, s[2:3]
; %bb.90:                               ;   in Loop: Header=BB300_89 Depth=1
	v_bfe_u32 v22, v6, 16, 1
	v_add3_u32 v29, v6, v22, s26
; %bb.91:                               ;   in Loop: Header=BB300_89 Depth=1
	s_andn2_saveexec_b64 s[2:3], s[0:1]
; %bb.92:                               ;   in Loop: Header=BB300_89 Depth=1
	v_or_b32_e32 v22, 0x10000, v6
	v_cmp_eq_u32_sdwa s[0:1], v6, v15 src0_sel:WORD_0 src1_sel:DWORD
	s_nop 1
	v_cndmask_b32_e64 v29, v22, v6, s[0:1]
; %bb.93:                               ;   in Loop: Header=BB300_89 Depth=1
	s_or_b64 exec, exec, s[2:3]
	v_and_b32_e32 v6, 0x7f800000, v7
	v_cmp_ne_u32_e64 s[0:1], s19, v6
                                        ; implicit-def: $vgpr28
	s_and_saveexec_b64 s[2:3], s[0:1]
	s_xor_b64 s[0:1], exec, s[2:3]
; %bb.94:                               ;   in Loop: Header=BB300_89 Depth=1
	v_bfe_u32 v6, v7, 16, 1
	v_add3_u32 v28, v7, v6, s26
; %bb.95:                               ;   in Loop: Header=BB300_89 Depth=1
	s_andn2_saveexec_b64 s[2:3], s[0:1]
; %bb.96:                               ;   in Loop: Header=BB300_89 Depth=1
	v_or_b32_e32 v6, 0x10000, v7
	v_cmp_eq_u32_sdwa s[0:1], v7, v15 src0_sel:WORD_0 src1_sel:DWORD
	s_nop 1
	v_cndmask_b32_e64 v28, v6, v7, s[0:1]
; %bb.97:                               ;   in Loop: Header=BB300_89 Depth=1
	s_or_b64 exec, exec, s[2:3]
	v_and_b32_e32 v6, 0x7f800000, v8
	v_cmp_ne_u32_e64 s[0:1], s19, v6
                                        ; implicit-def: $vgpr27
	s_and_saveexec_b64 s[2:3], s[0:1]
	s_xor_b64 s[0:1], exec, s[2:3]
; %bb.98:                               ;   in Loop: Header=BB300_89 Depth=1
	v_bfe_u32 v6, v8, 16, 1
	v_add3_u32 v27, v8, v6, s26
; %bb.99:                               ;   in Loop: Header=BB300_89 Depth=1
	s_andn2_saveexec_b64 s[2:3], s[0:1]
; %bb.100:                              ;   in Loop: Header=BB300_89 Depth=1
	v_or_b32_e32 v6, 0x10000, v8
	v_cmp_eq_u32_sdwa s[0:1], v8, v15 src0_sel:WORD_0 src1_sel:DWORD
	s_nop 1
	v_cndmask_b32_e64 v27, v6, v8, s[0:1]
; %bb.101:                              ;   in Loop: Header=BB300_89 Depth=1
	s_or_b64 exec, exec, s[2:3]
	v_and_b32_e32 v6, 0x7f800000, v9
	v_cmp_ne_u32_e64 s[0:1], s19, v6
                                        ; implicit-def: $vgpr22
	s_and_saveexec_b64 s[2:3], s[0:1]
	s_xor_b64 s[0:1], exec, s[2:3]
; %bb.102:                              ;   in Loop: Header=BB300_89 Depth=1
	v_bfe_u32 v6, v9, 16, 1
	v_add3_u32 v22, v9, v6, s26
                                        ; implicit-def: $vgpr6_vgpr7_vgpr8_vgpr9
; %bb.103:                              ;   in Loop: Header=BB300_89 Depth=1
	s_andn2_saveexec_b64 s[2:3], s[0:1]
; %bb.104:                              ;   in Loop: Header=BB300_89 Depth=1
	v_or_b32_e32 v6, 0x10000, v9
	v_cmp_eq_u32_sdwa s[0:1], v9, v15 src0_sel:WORD_0 src1_sel:DWORD
	s_nop 1
	v_cndmask_b32_e64 v22, v6, v9, s[0:1]
; %bb.105:                              ;   in Loop: Header=BB300_89 Depth=1
	s_or_b64 exec, exec, s[2:3]
	v_and_b32_e32 v6, 0x7f800000, v2
	v_cmp_ne_u32_e64 s[0:1], s19, v6
                                        ; implicit-def: $vgpr23
	s_and_saveexec_b64 s[2:3], s[0:1]
	s_xor_b64 s[0:1], exec, s[2:3]
; %bb.106:                              ;   in Loop: Header=BB300_89 Depth=1
	v_bfe_u32 v6, v2, 16, 1
	v_add3_u32 v23, v2, v6, s26
; %bb.107:                              ;   in Loop: Header=BB300_89 Depth=1
	s_andn2_saveexec_b64 s[2:3], s[0:1]
; %bb.108:                              ;   in Loop: Header=BB300_89 Depth=1
	v_or_b32_e32 v6, 0x10000, v2
	v_cmp_eq_u32_sdwa s[0:1], v2, v15 src0_sel:WORD_0 src1_sel:DWORD
	s_nop 1
	v_cndmask_b32_e64 v23, v6, v2, s[0:1]
; %bb.109:                              ;   in Loop: Header=BB300_89 Depth=1
	s_or_b64 exec, exec, s[2:3]
	v_and_b32_e32 v2, 0x7f800000, v3
	v_cmp_ne_u32_e64 s[0:1], s19, v2
                                        ; implicit-def: $vgpr24
	s_and_saveexec_b64 s[2:3], s[0:1]
	s_xor_b64 s[0:1], exec, s[2:3]
; %bb.110:                              ;   in Loop: Header=BB300_89 Depth=1
	v_bfe_u32 v2, v3, 16, 1
	v_add3_u32 v24, v3, v2, s26
; %bb.111:                              ;   in Loop: Header=BB300_89 Depth=1
	s_andn2_saveexec_b64 s[2:3], s[0:1]
; %bb.112:                              ;   in Loop: Header=BB300_89 Depth=1
	v_or_b32_e32 v2, 0x10000, v3
	v_cmp_eq_u32_sdwa s[0:1], v3, v15 src0_sel:WORD_0 src1_sel:DWORD
	s_nop 1
	v_cndmask_b32_e64 v24, v2, v3, s[0:1]
; %bb.113:                              ;   in Loop: Header=BB300_89 Depth=1
	s_or_b64 exec, exec, s[2:3]
	v_and_b32_e32 v2, 0x7f800000, v4
	v_cmp_ne_u32_e64 s[0:1], s19, v2
                                        ; implicit-def: $vgpr25
	s_and_saveexec_b64 s[2:3], s[0:1]
	s_xor_b64 s[0:1], exec, s[2:3]
; %bb.114:                              ;   in Loop: Header=BB300_89 Depth=1
	v_bfe_u32 v2, v4, 16, 1
	v_add3_u32 v25, v4, v2, s26
; %bb.115:                              ;   in Loop: Header=BB300_89 Depth=1
	s_andn2_saveexec_b64 s[2:3], s[0:1]
; %bb.116:                              ;   in Loop: Header=BB300_89 Depth=1
	v_or_b32_e32 v2, 0x10000, v4
	v_cmp_eq_u32_sdwa s[0:1], v4, v15 src0_sel:WORD_0 src1_sel:DWORD
	s_nop 1
	v_cndmask_b32_e64 v25, v2, v4, s[0:1]
; %bb.117:                              ;   in Loop: Header=BB300_89 Depth=1
	s_or_b64 exec, exec, s[2:3]
	v_and_b32_e32 v2, 0x7f800000, v5
	v_cmp_ne_u32_e64 s[0:1], s19, v2
                                        ; implicit-def: $vgpr26
	s_and_saveexec_b64 s[2:3], s[0:1]
	s_xor_b64 s[0:1], exec, s[2:3]
; %bb.118:                              ;   in Loop: Header=BB300_89 Depth=1
	v_bfe_u32 v2, v5, 16, 1
	v_add3_u32 v26, v5, v2, s26
                                        ; implicit-def: $vgpr2_vgpr3_vgpr4_vgpr5
; %bb.119:                              ;   in Loop: Header=BB300_89 Depth=1
	s_andn2_saveexec_b64 s[2:3], s[0:1]
; %bb.120:                              ;   in Loop: Header=BB300_89 Depth=1
	v_or_b32_e32 v2, 0x10000, v5
	v_cmp_eq_u32_sdwa s[0:1], v5, v15 src0_sel:WORD_0 src1_sel:DWORD
	s_nop 1
	v_cndmask_b32_e64 v26, v2, v5, s[0:1]
; %bb.121:                              ;   in Loop: Header=BB300_89 Depth=1
	s_or_b64 exec, exec, s[2:3]
	v_mov_b64_e32 v[2:3], s[10:11]
	s_waitcnt vmcnt(0)
	v_mad_i64_i32 v[4:5], s[0:1], v30, s34, v[2:3]
	v_lshl_add_u64 v[2:3], v[4:5], 0, v[14:15]
	global_load_dwordx2 v[2:3], v[2:3], off
	s_waitcnt vmcnt(0)
	v_and_b32_e32 v6, 0xff, v2
	v_cvt_f32_fp8_sdwa v6, v6 src0_sel:BYTE_0
	s_nop 0
	v_mul_f32_e32 v6, s18, v6
	v_and_b32_e32 v7, 0x7f800000, v6
	v_cmp_ne_u32_e64 s[0:1], s19, v7
                                        ; implicit-def: $vgpr7
	s_and_saveexec_b64 s[2:3], s[0:1]
	s_xor_b64 s[0:1], exec, s[2:3]
; %bb.122:                              ;   in Loop: Header=BB300_89 Depth=1
	v_bfe_u32 v7, v6, 16, 1
	v_add3_u32 v7, v6, v7, s26
                                        ; implicit-def: $vgpr6
; %bb.123:                              ;   in Loop: Header=BB300_89 Depth=1
	s_andn2_saveexec_b64 s[2:3], s[0:1]
; %bb.124:                              ;   in Loop: Header=BB300_89 Depth=1
	v_or_b32_e32 v7, 0x10000, v6
	v_cmp_eq_u32_sdwa s[0:1], v6, v15 src0_sel:WORD_0 src1_sel:DWORD
	s_nop 1
	v_cndmask_b32_e64 v7, v7, v6, s[0:1]
; %bb.125:                              ;   in Loop: Header=BB300_89 Depth=1
	s_or_b64 exec, exec, s[2:3]
	v_bfe_u32 v6, v2, 8, 8
	v_cvt_f32_fp8_sdwa v6, v6 src0_sel:BYTE_0
	s_nop 0
	v_mul_f32_e32 v6, s18, v6
	v_and_b32_e32 v8, 0x7f800000, v6
	v_cmp_ne_u32_e64 s[0:1], s19, v8
                                        ; implicit-def: $vgpr8
	s_and_saveexec_b64 s[2:3], s[0:1]
	s_xor_b64 s[0:1], exec, s[2:3]
; %bb.126:                              ;   in Loop: Header=BB300_89 Depth=1
	v_bfe_u32 v8, v6, 16, 1
	v_add3_u32 v8, v6, v8, s26
                                        ; implicit-def: $vgpr6
; %bb.127:                              ;   in Loop: Header=BB300_89 Depth=1
	s_andn2_saveexec_b64 s[2:3], s[0:1]
; %bb.128:                              ;   in Loop: Header=BB300_89 Depth=1
	v_or_b32_e32 v8, 0x10000, v6
	v_cmp_eq_u32_sdwa s[0:1], v6, v15 src0_sel:WORD_0 src1_sel:DWORD
	s_nop 1
	v_cndmask_b32_e64 v8, v8, v6, s[0:1]
; %bb.129:                              ;   in Loop: Header=BB300_89 Depth=1
	s_or_b64 exec, exec, s[2:3]
	v_bfe_u32 v6, v2, 16, 8
	v_cvt_f32_fp8_sdwa v6, v6 src0_sel:BYTE_0
	s_nop 0
	v_mul_f32_e32 v6, s18, v6
	v_and_b32_e32 v9, 0x7f800000, v6
	v_cmp_ne_u32_e64 s[0:1], s19, v9
                                        ; implicit-def: $vgpr9
	s_and_saveexec_b64 s[2:3], s[0:1]
	s_xor_b64 s[0:1], exec, s[2:3]
; %bb.130:                              ;   in Loop: Header=BB300_89 Depth=1
	v_bfe_u32 v9, v6, 16, 1
	v_add3_u32 v9, v6, v9, s26
                                        ; implicit-def: $vgpr6
; %bb.131:                              ;   in Loop: Header=BB300_89 Depth=1
	s_andn2_saveexec_b64 s[2:3], s[0:1]
; %bb.132:                              ;   in Loop: Header=BB300_89 Depth=1
	v_or_b32_e32 v9, 0x10000, v6
	v_cmp_eq_u32_sdwa s[0:1], v6, v15 src0_sel:WORD_0 src1_sel:DWORD
	s_nop 1
	v_cndmask_b32_e64 v9, v9, v6, s[0:1]
; %bb.133:                              ;   in Loop: Header=BB300_89 Depth=1
	s_or_b64 exec, exec, s[2:3]
	v_lshrrev_b32_e32 v2, 24, v2
	v_cvt_f32_fp8_sdwa v2, v2 src0_sel:BYTE_0
	s_nop 0
	v_mul_f32_e32 v6, s18, v2
	v_and_b32_e32 v2, 0x7f800000, v6
	v_cmp_ne_u32_e64 s[0:1], s19, v2
                                        ; implicit-def: $vgpr2
	s_and_saveexec_b64 s[2:3], s[0:1]
	s_xor_b64 s[0:1], exec, s[2:3]
; %bb.134:                              ;   in Loop: Header=BB300_89 Depth=1
	v_bfe_u32 v2, v6, 16, 1
	v_add3_u32 v2, v6, v2, s26
                                        ; implicit-def: $vgpr6
; %bb.135:                              ;   in Loop: Header=BB300_89 Depth=1
	s_andn2_saveexec_b64 s[2:3], s[0:1]
; %bb.136:                              ;   in Loop: Header=BB300_89 Depth=1
	v_or_b32_e32 v2, 0x10000, v6
	v_cmp_eq_u32_sdwa s[0:1], v6, v15 src0_sel:WORD_0 src1_sel:DWORD
	s_nop 1
	v_cndmask_b32_e64 v2, v2, v6, s[0:1]
; %bb.137:                              ;   in Loop: Header=BB300_89 Depth=1
	s_or_b64 exec, exec, s[2:3]
	v_and_b32_e32 v6, 0xff, v3
	v_cvt_f32_fp8_sdwa v6, v6 src0_sel:BYTE_0
	s_nop 0
	v_mul_f32_e32 v6, s18, v6
	v_and_b32_e32 v30, 0x7f800000, v6
	v_cmp_ne_u32_e64 s[0:1], s19, v30
                                        ; implicit-def: $vgpr30
	s_and_saveexec_b64 s[2:3], s[0:1]
	s_xor_b64 s[0:1], exec, s[2:3]
; %bb.138:                              ;   in Loop: Header=BB300_89 Depth=1
	v_bfe_u32 v30, v6, 16, 1
	v_add3_u32 v30, v6, v30, s26
                                        ; implicit-def: $vgpr6
; %bb.139:                              ;   in Loop: Header=BB300_89 Depth=1
	s_andn2_saveexec_b64 s[2:3], s[0:1]
; %bb.140:                              ;   in Loop: Header=BB300_89 Depth=1
	v_or_b32_e32 v30, 0x10000, v6
	v_cmp_eq_u32_sdwa s[0:1], v6, v15 src0_sel:WORD_0 src1_sel:DWORD
	s_nop 1
	v_cndmask_b32_e64 v30, v30, v6, s[0:1]
; %bb.141:                              ;   in Loop: Header=BB300_89 Depth=1
	s_or_b64 exec, exec, s[2:3]
	v_bfe_u32 v6, v3, 8, 8
	v_cvt_f32_fp8_sdwa v6, v6 src0_sel:BYTE_0
	s_nop 0
	v_mul_f32_e32 v6, s18, v6
	v_and_b32_e32 v31, 0x7f800000, v6
	v_cmp_ne_u32_e64 s[0:1], s19, v31
                                        ; implicit-def: $vgpr31
	s_and_saveexec_b64 s[2:3], s[0:1]
	s_xor_b64 s[0:1], exec, s[2:3]
; %bb.142:                              ;   in Loop: Header=BB300_89 Depth=1
	v_bfe_u32 v31, v6, 16, 1
	v_add3_u32 v31, v6, v31, s26
                                        ; implicit-def: $vgpr6
; %bb.143:                              ;   in Loop: Header=BB300_89 Depth=1
	s_andn2_saveexec_b64 s[2:3], s[0:1]
; %bb.144:                              ;   in Loop: Header=BB300_89 Depth=1
	v_or_b32_e32 v31, 0x10000, v6
	v_cmp_eq_u32_sdwa s[0:1], v6, v15 src0_sel:WORD_0 src1_sel:DWORD
	s_nop 1
	v_cndmask_b32_e64 v31, v31, v6, s[0:1]
; %bb.145:                              ;   in Loop: Header=BB300_89 Depth=1
	s_or_b64 exec, exec, s[2:3]
	v_bfe_u32 v6, v3, 16, 8
	v_cvt_f32_fp8_sdwa v6, v6 src0_sel:BYTE_0
                                        ; implicit-def: $vgpr35
	s_nop 0
	v_mul_f32_e32 v6, s18, v6
	v_and_b32_e32 v32, 0x7f800000, v6
	v_cmp_ne_u32_e64 s[0:1], s19, v32
	s_and_saveexec_b64 s[2:3], s[0:1]
	s_xor_b64 s[0:1], exec, s[2:3]
; %bb.146:                              ;   in Loop: Header=BB300_89 Depth=1
	v_bfe_u32 v32, v6, 16, 1
	v_add3_u32 v35, v6, v32, s26
                                        ; implicit-def: $vgpr6
; %bb.147:                              ;   in Loop: Header=BB300_89 Depth=1
	s_andn2_saveexec_b64 s[2:3], s[0:1]
; %bb.148:                              ;   in Loop: Header=BB300_89 Depth=1
	v_or_b32_e32 v32, 0x10000, v6
	v_cmp_eq_u32_sdwa s[0:1], v6, v15 src0_sel:WORD_0 src1_sel:DWORD
	s_nop 1
	v_cndmask_b32_e64 v35, v32, v6, s[0:1]
; %bb.149:                              ;   in Loop: Header=BB300_89 Depth=1
	s_or_b64 exec, exec, s[2:3]
	v_lshrrev_b32_e32 v3, 24, v3
	v_cvt_f32_fp8_sdwa v3, v3 src0_sel:BYTE_0
                                        ; implicit-def: $vgpr36
	s_nop 0
	v_mul_f32_e32 v3, s18, v3
	v_and_b32_e32 v6, 0x7f800000, v3
	v_cmp_ne_u32_e64 s[0:1], s19, v6
	s_and_saveexec_b64 s[2:3], s[0:1]
	s_xor_b64 s[0:1], exec, s[2:3]
; %bb.150:                              ;   in Loop: Header=BB300_89 Depth=1
	v_bfe_u32 v6, v3, 16, 1
	v_add3_u32 v36, v3, v6, s26
                                        ; implicit-def: $vgpr3
; %bb.151:                              ;   in Loop: Header=BB300_89 Depth=1
	s_andn2_saveexec_b64 s[2:3], s[0:1]
; %bb.152:                              ;   in Loop: Header=BB300_89 Depth=1
	v_or_b32_e32 v6, 0x10000, v3
	v_cmp_eq_u32_sdwa s[0:1], v3, v15 src0_sel:WORD_0 src1_sel:DWORD
	s_nop 1
	v_cndmask_b32_e64 v36, v6, v3, s[0:1]
; %bb.153:                              ;   in Loop: Header=BB300_89 Depth=1
	s_or_b64 exec, exec, s[2:3]
	v_cmp_eq_u32_e64 s[2:3], s30, v1
	v_add_u32_e32 v6, -7, v20
	v_lshrrev_b32_e32 v31, 16, v31
	v_lshrrev_b32_e32 v32, 16, v30
	;; [unrolled: 1-line block ×8, first 2 shown]
	s_and_saveexec_b64 s[14:15], s[2:3]
	s_cbranch_execz .LBB300_155
; %bb.154:                              ;   in Loop: Header=BB300_89 Depth=1
	v_cmp_gt_i32_e64 s[0:1], s33, v6
	v_add_u32_e32 v7, -6, v20
	s_nop 0
	v_cndmask_b32_e64 v3, 0, v3, s[0:1]
	v_cmp_gt_i32_e64 s[0:1], s33, v7
	v_add_u32_e32 v7, -5, v20
	s_nop 0
	v_cndmask_b32_e64 v9, 0, v9, s[0:1]
	;; [unrolled: 4-line block ×6, first 2 shown]
	v_cmp_gt_i32_e64 s[0:1], s33, v7
	s_nop 1
	v_cndmask_b32_e64 v30, 0, v30, s[0:1]
	v_cmp_gt_i32_e64 s[0:1], s33, v20
	s_nop 1
	v_cndmask_b32_e64 v2, 0, v2, s[0:1]
.LBB300_155:                            ;   in Loop: Header=BB300_89 Depth=1
	s_or_b64 exec, exec, s[14:15]
	v_and_b32_e32 v7, 0xffff0000, v29
	v_lshlrev_b32_e32 v3, 16, v3
	v_mul_f32_e32 v8, v7, v3
	v_and_b32_e32 v3, 0x7f800000, v8
	v_cmp_ne_u32_e64 s[0:1], s19, v3
                                        ; implicit-def: $vgpr3
	s_and_saveexec_b64 s[14:15], s[0:1]
	s_xor_b64 s[0:1], exec, s[14:15]
; %bb.156:                              ;   in Loop: Header=BB300_89 Depth=1
	v_bfe_u32 v3, v8, 16, 1
	v_add3_u32 v3, v8, v3, s26
                                        ; implicit-def: $vgpr8
; %bb.157:                              ;   in Loop: Header=BB300_89 Depth=1
	s_andn2_saveexec_b64 s[14:15], s[0:1]
; %bb.158:                              ;   in Loop: Header=BB300_89 Depth=1
	v_or_b32_e32 v3, 0x10000, v8
	v_cmp_eq_u32_sdwa s[0:1], v8, v15 src0_sel:WORD_0 src1_sel:DWORD
	s_nop 1
	v_cndmask_b32_e64 v3, v3, v8, s[0:1]
; %bb.159:                              ;   in Loop: Header=BB300_89 Depth=1
	s_or_b64 exec, exec, s[14:15]
	v_and_b32_e32 v8, 0xffff0000, v28
	v_lshlrev_b32_e32 v9, 16, v9
	v_mul_f32_e32 v9, v8, v9
	v_and_b32_e32 v28, 0x7f800000, v9
	v_cmp_ne_u32_e64 s[0:1], s19, v28
                                        ; implicit-def: $vgpr28
	s_and_saveexec_b64 s[14:15], s[0:1]
	s_xor_b64 s[0:1], exec, s[14:15]
; %bb.160:                              ;   in Loop: Header=BB300_89 Depth=1
	v_bfe_u32 v28, v9, 16, 1
	v_add3_u32 v28, v9, v28, s26
                                        ; implicit-def: $vgpr9
; %bb.161:                              ;   in Loop: Header=BB300_89 Depth=1
	s_andn2_saveexec_b64 s[14:15], s[0:1]
; %bb.162:                              ;   in Loop: Header=BB300_89 Depth=1
	v_or_b32_e32 v28, 0x10000, v9
	v_cmp_eq_u32_sdwa s[0:1], v9, v15 src0_sel:WORD_0 src1_sel:DWORD
	s_nop 1
	v_cndmask_b32_e64 v28, v28, v9, s[0:1]
; %bb.163:                              ;   in Loop: Header=BB300_89 Depth=1
	s_or_b64 exec, exec, s[14:15]
	v_and_b32_e32 v9, 0xffff0000, v27
	v_lshlrev_b32_e32 v27, 16, v34
	v_mul_f32_e32 v29, v9, v27
	v_and_b32_e32 v27, 0x7f800000, v29
	v_cmp_ne_u32_e64 s[0:1], s19, v27
                                        ; implicit-def: $vgpr27
	s_and_saveexec_b64 s[14:15], s[0:1]
	s_xor_b64 s[0:1], exec, s[14:15]
; %bb.164:                              ;   in Loop: Header=BB300_89 Depth=1
	v_bfe_u32 v27, v29, 16, 1
	v_add3_u32 v27, v29, v27, s26
                                        ; implicit-def: $vgpr29
; %bb.165:                              ;   in Loop: Header=BB300_89 Depth=1
	s_andn2_saveexec_b64 s[14:15], s[0:1]
; %bb.166:                              ;   in Loop: Header=BB300_89 Depth=1
	v_or_b32_e32 v27, 0x10000, v29
	v_cmp_eq_u32_sdwa s[0:1], v29, v15 src0_sel:WORD_0 src1_sel:DWORD
	s_nop 1
	v_cndmask_b32_e64 v27, v27, v29, s[0:1]
; %bb.167:                              ;   in Loop: Header=BB300_89 Depth=1
	s_or_b64 exec, exec, s[14:15]
	v_and_b32_e32 v22, 0xffff0000, v22
	v_lshlrev_b32_e32 v29, 16, v33
	v_mul_f32_e32 v33, v22, v29
	v_and_b32_e32 v29, 0x7f800000, v33
	v_cmp_ne_u32_e64 s[0:1], s19, v29
                                        ; implicit-def: $vgpr29
	s_and_saveexec_b64 s[14:15], s[0:1]
	s_xor_b64 s[0:1], exec, s[14:15]
; %bb.168:                              ;   in Loop: Header=BB300_89 Depth=1
	v_bfe_u32 v29, v33, 16, 1
	v_add3_u32 v29, v33, v29, s26
                                        ; implicit-def: $vgpr33
; %bb.169:                              ;   in Loop: Header=BB300_89 Depth=1
	s_andn2_saveexec_b64 s[14:15], s[0:1]
; %bb.170:                              ;   in Loop: Header=BB300_89 Depth=1
	v_or_b32_e32 v29, 0x10000, v33
	v_cmp_eq_u32_sdwa s[0:1], v33, v15 src0_sel:WORD_0 src1_sel:DWORD
	s_nop 1
	v_cndmask_b32_e64 v29, v29, v33, s[0:1]
; %bb.171:                              ;   in Loop: Header=BB300_89 Depth=1
	s_or_b64 exec, exec, s[14:15]
	v_and_b32_e32 v23, 0xffff0000, v23
	v_lshlrev_b32_e32 v32, 16, v32
	v_mul_f32_e32 v33, v23, v32
	v_and_b32_e32 v32, 0x7f800000, v33
	v_cmp_ne_u32_e64 s[0:1], s19, v32
                                        ; implicit-def: $vgpr32
	s_and_saveexec_b64 s[14:15], s[0:1]
	s_xor_b64 s[0:1], exec, s[14:15]
; %bb.172:                              ;   in Loop: Header=BB300_89 Depth=1
	v_bfe_u32 v32, v33, 16, 1
	v_add3_u32 v32, v33, v32, s26
                                        ; implicit-def: $vgpr33
; %bb.173:                              ;   in Loop: Header=BB300_89 Depth=1
	s_andn2_saveexec_b64 s[14:15], s[0:1]
; %bb.174:                              ;   in Loop: Header=BB300_89 Depth=1
	v_or_b32_e32 v32, 0x10000, v33
	v_cmp_eq_u32_sdwa s[0:1], v33, v15 src0_sel:WORD_0 src1_sel:DWORD
	s_nop 1
	v_cndmask_b32_e64 v32, v32, v33, s[0:1]
; %bb.175:                              ;   in Loop: Header=BB300_89 Depth=1
	s_or_b64 exec, exec, s[14:15]
	v_and_b32_e32 v24, 0xffff0000, v24
	v_lshlrev_b32_e32 v31, 16, v31
	v_mul_f32_e32 v33, v24, v31
	v_and_b32_e32 v31, 0x7f800000, v33
	v_cmp_ne_u32_e64 s[0:1], s19, v31
                                        ; implicit-def: $vgpr31
	s_and_saveexec_b64 s[14:15], s[0:1]
	s_xor_b64 s[0:1], exec, s[14:15]
; %bb.176:                              ;   in Loop: Header=BB300_89 Depth=1
	v_bfe_u32 v31, v33, 16, 1
	v_add3_u32 v31, v33, v31, s26
                                        ; implicit-def: $vgpr33
; %bb.177:                              ;   in Loop: Header=BB300_89 Depth=1
	s_andn2_saveexec_b64 s[14:15], s[0:1]
; %bb.178:                              ;   in Loop: Header=BB300_89 Depth=1
	v_or_b32_e32 v31, 0x10000, v33
	v_cmp_eq_u32_sdwa s[0:1], v33, v15 src0_sel:WORD_0 src1_sel:DWORD
	s_nop 1
	v_cndmask_b32_e64 v31, v31, v33, s[0:1]
; %bb.179:                              ;   in Loop: Header=BB300_89 Depth=1
	s_or_b64 exec, exec, s[14:15]
	v_and_b32_e32 v25, 0xffff0000, v25
	v_lshlrev_b32_e32 v30, 16, v30
	v_mul_f32_e32 v33, v25, v30
	v_and_b32_e32 v30, 0x7f800000, v33
	v_cmp_ne_u32_e64 s[0:1], s19, v30
                                        ; implicit-def: $vgpr30
	s_and_saveexec_b64 s[14:15], s[0:1]
	s_xor_b64 s[0:1], exec, s[14:15]
; %bb.180:                              ;   in Loop: Header=BB300_89 Depth=1
	v_bfe_u32 v30, v33, 16, 1
	v_add3_u32 v30, v33, v30, s26
                                        ; implicit-def: $vgpr33
; %bb.181:                              ;   in Loop: Header=BB300_89 Depth=1
	s_andn2_saveexec_b64 s[14:15], s[0:1]
; %bb.182:                              ;   in Loop: Header=BB300_89 Depth=1
	v_or_b32_e32 v30, 0x10000, v33
	v_cmp_eq_u32_sdwa s[0:1], v33, v15 src0_sel:WORD_0 src1_sel:DWORD
	s_nop 1
	v_cndmask_b32_e64 v30, v30, v33, s[0:1]
; %bb.183:                              ;   in Loop: Header=BB300_89 Depth=1
	s_or_b64 exec, exec, s[14:15]
	v_and_b32_e32 v26, 0xffff0000, v26
	v_lshlrev_b32_e32 v2, 16, v2
	v_mul_f32_e32 v2, v26, v2
	v_and_b32_e32 v33, 0x7f800000, v2
	v_cmp_ne_u32_e64 s[0:1], s19, v33
                                        ; implicit-def: $vgpr33
	s_and_saveexec_b64 s[14:15], s[0:1]
	s_xor_b64 s[0:1], exec, s[14:15]
; %bb.184:                              ;   in Loop: Header=BB300_89 Depth=1
	v_bfe_u32 v33, v2, 16, 1
	v_add3_u32 v33, v2, v33, s26
                                        ; implicit-def: $vgpr2
; %bb.185:                              ;   in Loop: Header=BB300_89 Depth=1
	s_andn2_saveexec_b64 s[14:15], s[0:1]
; %bb.186:                              ;   in Loop: Header=BB300_89 Depth=1
	v_or_b32_e32 v33, 0x10000, v2
	v_cmp_eq_u32_sdwa s[0:1], v2, v15 src0_sel:WORD_0 src1_sel:DWORD
	s_nop 1
	v_cndmask_b32_e64 v33, v33, v2, s[0:1]
; %bb.187:                              ;   in Loop: Header=BB300_89 Depth=1
	s_or_b64 exec, exec, s[14:15]
	v_and_b32_e32 v35, 0xffff0000, v33
	v_and_b32_e32 v34, 0xffff0000, v31
	;; [unrolled: 1-line block ×8, first 2 shown]
	v_pk_add_f32 v[2:3], v[32:33], v[28:29]
	s_nop 0
	v_mov_b32_e32 v28, v3
	v_pk_add_f32 v[2:3], v[2:3], v[28:29]
	v_pk_add_f32 v[28:29], v[30:31], v[34:35]
	s_nop 0
	v_pk_add_f32 v[2:3], v[2:3], v[28:29]
	v_mov_b32_e32 v28, v29
	v_pk_add_f32 v[2:3], v[2:3], v[28:29]
	s_nop 0
	v_pk_add_f32 v[2:3], v[12:13], v[2:3]
	s_and_saveexec_b64 s[14:15], vcc
	s_cbranch_execz .LBB300_88
; %bb.188:                              ;   in Loop: Header=BB300_89 Depth=1
	v_lshl_add_u64 v[4:5], v[4:5], 0, v[16:17]
	global_load_dwordx2 v[4:5], v[4:5], off
	s_waitcnt vmcnt(0)
	v_and_b32_e32 v3, 0xff, v4
	v_cvt_f32_fp8_sdwa v3, v3 src0_sel:BYTE_0
	s_nop 0
	v_mul_f32_e32 v27, s18, v3
	v_and_b32_e32 v3, 0x7f800000, v27
	v_cmp_ne_u32_e64 s[0:1], s19, v3
                                        ; implicit-def: $vgpr3
	s_and_saveexec_b64 s[16:17], s[0:1]
	s_xor_b64 s[0:1], exec, s[16:17]
; %bb.189:                              ;   in Loop: Header=BB300_89 Depth=1
	v_bfe_u32 v3, v27, 16, 1
	v_add3_u32 v3, v27, v3, s26
                                        ; implicit-def: $vgpr27
; %bb.190:                              ;   in Loop: Header=BB300_89 Depth=1
	s_andn2_saveexec_b64 s[16:17], s[0:1]
; %bb.191:                              ;   in Loop: Header=BB300_89 Depth=1
	v_or_b32_e32 v3, 0x10000, v27
	v_cmp_eq_u32_sdwa s[0:1], v27, v15 src0_sel:WORD_0 src1_sel:DWORD
	s_nop 1
	v_cndmask_b32_e64 v3, v3, v27, s[0:1]
; %bb.192:                              ;   in Loop: Header=BB300_89 Depth=1
	s_or_b64 exec, exec, s[16:17]
	v_bfe_u32 v27, v4, 8, 8
	v_cvt_f32_fp8_sdwa v27, v27 src0_sel:BYTE_0
	s_nop 0
	v_mul_f32_e32 v28, s18, v27
	v_and_b32_e32 v27, 0x7f800000, v28
	v_cmp_ne_u32_e64 s[0:1], s19, v27
                                        ; implicit-def: $vgpr27
	s_and_saveexec_b64 s[16:17], s[0:1]
	s_xor_b64 s[0:1], exec, s[16:17]
; %bb.193:                              ;   in Loop: Header=BB300_89 Depth=1
	v_bfe_u32 v27, v28, 16, 1
	v_add3_u32 v27, v28, v27, s26
                                        ; implicit-def: $vgpr28
; %bb.194:                              ;   in Loop: Header=BB300_89 Depth=1
	s_andn2_saveexec_b64 s[16:17], s[0:1]
; %bb.195:                              ;   in Loop: Header=BB300_89 Depth=1
	v_or_b32_e32 v27, 0x10000, v28
	v_cmp_eq_u32_sdwa s[0:1], v28, v15 src0_sel:WORD_0 src1_sel:DWORD
	s_nop 1
	v_cndmask_b32_e64 v27, v27, v28, s[0:1]
; %bb.196:                              ;   in Loop: Header=BB300_89 Depth=1
	s_or_b64 exec, exec, s[16:17]
	v_bfe_u32 v28, v4, 16, 8
	v_cvt_f32_fp8_sdwa v28, v28 src0_sel:BYTE_0
	s_nop 0
	v_mul_f32_e32 v28, s18, v28
	v_and_b32_e32 v29, 0x7f800000, v28
	v_cmp_ne_u32_e64 s[0:1], s19, v29
                                        ; implicit-def: $vgpr29
	s_and_saveexec_b64 s[16:17], s[0:1]
	s_xor_b64 s[0:1], exec, s[16:17]
; %bb.197:                              ;   in Loop: Header=BB300_89 Depth=1
	v_bfe_u32 v29, v28, 16, 1
	v_add3_u32 v29, v28, v29, s26
                                        ; implicit-def: $vgpr28
; %bb.198:                              ;   in Loop: Header=BB300_89 Depth=1
	s_andn2_saveexec_b64 s[16:17], s[0:1]
; %bb.199:                              ;   in Loop: Header=BB300_89 Depth=1
	v_or_b32_e32 v29, 0x10000, v28
	v_cmp_eq_u32_sdwa s[0:1], v28, v15 src0_sel:WORD_0 src1_sel:DWORD
	s_nop 1
	v_cndmask_b32_e64 v29, v29, v28, s[0:1]
; %bb.200:                              ;   in Loop: Header=BB300_89 Depth=1
	s_or_b64 exec, exec, s[16:17]
	v_lshrrev_b32_e32 v4, 24, v4
	v_cvt_f32_fp8_sdwa v4, v4 src0_sel:BYTE_0
	s_nop 0
	v_mul_f32_e32 v28, s18, v4
	v_and_b32_e32 v4, 0x7f800000, v28
	v_cmp_ne_u32_e64 s[0:1], s19, v4
                                        ; implicit-def: $vgpr4
	s_and_saveexec_b64 s[16:17], s[0:1]
	s_xor_b64 s[0:1], exec, s[16:17]
; %bb.201:                              ;   in Loop: Header=BB300_89 Depth=1
	v_bfe_u32 v4, v28, 16, 1
	v_add3_u32 v4, v28, v4, s26
                                        ; implicit-def: $vgpr28
; %bb.202:                              ;   in Loop: Header=BB300_89 Depth=1
	s_andn2_saveexec_b64 s[16:17], s[0:1]
; %bb.203:                              ;   in Loop: Header=BB300_89 Depth=1
	v_or_b32_e32 v4, 0x10000, v28
	v_cmp_eq_u32_sdwa s[0:1], v28, v15 src0_sel:WORD_0 src1_sel:DWORD
	s_nop 1
	v_cndmask_b32_e64 v4, v4, v28, s[0:1]
; %bb.204:                              ;   in Loop: Header=BB300_89 Depth=1
	s_or_b64 exec, exec, s[16:17]
	v_and_b32_e32 v28, 0xff, v5
	v_cvt_f32_fp8_sdwa v28, v28 src0_sel:BYTE_0
	s_nop 0
	v_mul_f32_e32 v28, s18, v28
	v_and_b32_e32 v30, 0x7f800000, v28
	v_cmp_ne_u32_e64 s[0:1], s19, v30
                                        ; implicit-def: $vgpr30
	s_and_saveexec_b64 s[16:17], s[0:1]
	s_xor_b64 s[0:1], exec, s[16:17]
; %bb.205:                              ;   in Loop: Header=BB300_89 Depth=1
	v_bfe_u32 v30, v28, 16, 1
	v_add3_u32 v30, v28, v30, s26
                                        ; implicit-def: $vgpr28
; %bb.206:                              ;   in Loop: Header=BB300_89 Depth=1
	s_andn2_saveexec_b64 s[16:17], s[0:1]
; %bb.207:                              ;   in Loop: Header=BB300_89 Depth=1
	v_or_b32_e32 v30, 0x10000, v28
	v_cmp_eq_u32_sdwa s[0:1], v28, v15 src0_sel:WORD_0 src1_sel:DWORD
	s_nop 1
	v_cndmask_b32_e64 v30, v30, v28, s[0:1]
; %bb.208:                              ;   in Loop: Header=BB300_89 Depth=1
	s_or_b64 exec, exec, s[16:17]
	v_bfe_u32 v28, v5, 8, 8
	v_cvt_f32_fp8_sdwa v28, v28 src0_sel:BYTE_0
	s_nop 0
	v_mul_f32_e32 v31, s18, v28
	v_and_b32_e32 v28, 0x7f800000, v31
	v_cmp_ne_u32_e64 s[0:1], s19, v28
                                        ; implicit-def: $vgpr28
	s_and_saveexec_b64 s[16:17], s[0:1]
	s_xor_b64 s[0:1], exec, s[16:17]
; %bb.209:                              ;   in Loop: Header=BB300_89 Depth=1
	v_bfe_u32 v28, v31, 16, 1
	v_add3_u32 v28, v31, v28, s26
                                        ; implicit-def: $vgpr31
; %bb.210:                              ;   in Loop: Header=BB300_89 Depth=1
	s_andn2_saveexec_b64 s[16:17], s[0:1]
; %bb.211:                              ;   in Loop: Header=BB300_89 Depth=1
	v_or_b32_e32 v28, 0x10000, v31
	v_cmp_eq_u32_sdwa s[0:1], v31, v15 src0_sel:WORD_0 src1_sel:DWORD
	s_nop 1
	v_cndmask_b32_e64 v28, v28, v31, s[0:1]
; %bb.212:                              ;   in Loop: Header=BB300_89 Depth=1
	s_or_b64 exec, exec, s[16:17]
	v_bfe_u32 v31, v5, 16, 8
	v_cvt_f32_fp8_sdwa v31, v31 src0_sel:BYTE_0
	s_nop 0
	v_mul_f32_e32 v31, s18, v31
	v_and_b32_e32 v32, 0x7f800000, v31
	v_cmp_ne_u32_e64 s[0:1], s19, v32
                                        ; implicit-def: $vgpr32
	s_and_saveexec_b64 s[16:17], s[0:1]
	s_xor_b64 s[0:1], exec, s[16:17]
; %bb.213:                              ;   in Loop: Header=BB300_89 Depth=1
	v_bfe_u32 v32, v31, 16, 1
	v_add3_u32 v32, v31, v32, s26
                                        ; implicit-def: $vgpr31
; %bb.214:                              ;   in Loop: Header=BB300_89 Depth=1
	s_andn2_saveexec_b64 s[16:17], s[0:1]
; %bb.215:                              ;   in Loop: Header=BB300_89 Depth=1
	v_or_b32_e32 v32, 0x10000, v31
	v_cmp_eq_u32_sdwa s[0:1], v31, v15 src0_sel:WORD_0 src1_sel:DWORD
	s_nop 1
	v_cndmask_b32_e64 v32, v32, v31, s[0:1]
; %bb.216:                              ;   in Loop: Header=BB300_89 Depth=1
	s_or_b64 exec, exec, s[16:17]
	v_lshrrev_b32_e32 v5, 24, v5
	v_cvt_f32_fp8_sdwa v5, v5 src0_sel:BYTE_0
                                        ; implicit-def: $vgpr33
	s_nop 0
	v_mul_f32_e32 v5, s18, v5
	v_and_b32_e32 v31, 0x7f800000, v5
	v_cmp_ne_u32_e64 s[0:1], s19, v31
	s_and_saveexec_b64 s[16:17], s[0:1]
	s_xor_b64 s[0:1], exec, s[16:17]
; %bb.217:                              ;   in Loop: Header=BB300_89 Depth=1
	v_bfe_u32 v31, v5, 16, 1
	v_add3_u32 v33, v5, v31, s26
                                        ; implicit-def: $vgpr5
; %bb.218:                              ;   in Loop: Header=BB300_89 Depth=1
	s_andn2_saveexec_b64 s[16:17], s[0:1]
; %bb.219:                              ;   in Loop: Header=BB300_89 Depth=1
	v_or_b32_e32 v31, 0x10000, v5
	v_cmp_eq_u32_sdwa s[0:1], v5, v15 src0_sel:WORD_0 src1_sel:DWORD
	s_nop 1
	v_cndmask_b32_e64 v33, v31, v5, s[0:1]
; %bb.220:                              ;   in Loop: Header=BB300_89 Depth=1
	s_or_b64 exec, exec, s[16:17]
	v_lshrrev_b32_e32 v28, 16, v28
	v_lshrrev_b32_e32 v30, 16, v30
	;; [unrolled: 1-line block ×8, first 2 shown]
	s_and_saveexec_b64 s[16:17], s[2:3]
	s_cbranch_execz .LBB300_222
; %bb.221:                              ;   in Loop: Header=BB300_89 Depth=1
	v_cmp_gt_i32_e64 s[0:1], s33, v6
	v_add_u32_e32 v6, -6, v20
	s_nop 0
	v_cndmask_b32_e64 v4, 0, v4, s[0:1]
	v_cmp_gt_i32_e64 s[0:1], s33, v6
	v_add_u32_e32 v6, -5, v20
	s_nop 0
	v_cndmask_b32_e64 v27, 0, v27, s[0:1]
	;; [unrolled: 4-line block ×6, first 2 shown]
	v_cmp_gt_i32_e64 s[0:1], s33, v6
	s_nop 1
	v_cndmask_b32_e64 v5, 0, v5, s[0:1]
	v_cmp_gt_i32_e64 s[0:1], s33, v20
	s_nop 1
	v_cndmask_b32_e64 v3, 0, v3, s[0:1]
.LBB300_222:                            ;   in Loop: Header=BB300_89 Depth=1
	s_or_b64 exec, exec, s[16:17]
	v_lshlrev_b32_e32 v4, 16, v4
	v_mul_f32_e32 v6, v7, v4
	v_and_b32_e32 v4, 0x7f800000, v6
	v_cmp_ne_u32_e64 s[0:1], s19, v4
                                        ; implicit-def: $vgpr4
	s_and_saveexec_b64 s[2:3], s[0:1]
	s_xor_b64 s[0:1], exec, s[2:3]
; %bb.223:                              ;   in Loop: Header=BB300_89 Depth=1
	v_bfe_u32 v4, v6, 16, 1
	v_add3_u32 v4, v6, v4, s26
                                        ; implicit-def: $vgpr6
; %bb.224:                              ;   in Loop: Header=BB300_89 Depth=1
	s_andn2_saveexec_b64 s[2:3], s[0:1]
; %bb.225:                              ;   in Loop: Header=BB300_89 Depth=1
	v_or_b32_e32 v4, 0x10000, v6
	v_cmp_eq_u32_sdwa s[0:1], v6, v15 src0_sel:WORD_0 src1_sel:DWORD
	s_nop 1
	v_cndmask_b32_e64 v4, v4, v6, s[0:1]
; %bb.226:                              ;   in Loop: Header=BB300_89 Depth=1
	s_or_b64 exec, exec, s[2:3]
	v_lshlrev_b32_e32 v6, 16, v27
	v_mul_f32_e32 v7, v8, v6
	v_and_b32_e32 v6, 0x7f800000, v7
	v_cmp_ne_u32_e64 s[0:1], s19, v6
                                        ; implicit-def: $vgpr6
	s_and_saveexec_b64 s[2:3], s[0:1]
	s_xor_b64 s[0:1], exec, s[2:3]
; %bb.227:                              ;   in Loop: Header=BB300_89 Depth=1
	v_bfe_u32 v6, v7, 16, 1
	v_add3_u32 v6, v7, v6, s26
                                        ; implicit-def: $vgpr7
; %bb.228:                              ;   in Loop: Header=BB300_89 Depth=1
	s_andn2_saveexec_b64 s[2:3], s[0:1]
; %bb.229:                              ;   in Loop: Header=BB300_89 Depth=1
	v_or_b32_e32 v6, 0x10000, v7
	v_cmp_eq_u32_sdwa s[0:1], v7, v15 src0_sel:WORD_0 src1_sel:DWORD
	s_nop 1
	v_cndmask_b32_e64 v6, v6, v7, s[0:1]
; %bb.230:                              ;   in Loop: Header=BB300_89 Depth=1
	s_or_b64 exec, exec, s[2:3]
	v_lshlrev_b32_e32 v7, 16, v29
	v_mul_f32_e32 v8, v9, v7
	v_and_b32_e32 v7, 0x7f800000, v8
	v_cmp_ne_u32_e64 s[0:1], s19, v7
                                        ; implicit-def: $vgpr7
	s_and_saveexec_b64 s[2:3], s[0:1]
	s_xor_b64 s[0:1], exec, s[2:3]
; %bb.231:                              ;   in Loop: Header=BB300_89 Depth=1
	v_bfe_u32 v7, v8, 16, 1
	v_add3_u32 v7, v8, v7, s26
                                        ; implicit-def: $vgpr8
; %bb.232:                              ;   in Loop: Header=BB300_89 Depth=1
	s_andn2_saveexec_b64 s[2:3], s[0:1]
; %bb.233:                              ;   in Loop: Header=BB300_89 Depth=1
	v_or_b32_e32 v7, 0x10000, v8
	v_cmp_eq_u32_sdwa s[0:1], v8, v15 src0_sel:WORD_0 src1_sel:DWORD
	s_nop 1
	v_cndmask_b32_e64 v7, v7, v8, s[0:1]
; %bb.234:                              ;   in Loop: Header=BB300_89 Depth=1
	s_or_b64 exec, exec, s[2:3]
	v_lshlrev_b32_e32 v8, 16, v31
	v_mul_f32_e32 v9, v22, v8
	v_and_b32_e32 v8, 0x7f800000, v9
	v_cmp_ne_u32_e64 s[0:1], s19, v8
                                        ; implicit-def: $vgpr8
	s_and_saveexec_b64 s[2:3], s[0:1]
	s_xor_b64 s[0:1], exec, s[2:3]
; %bb.235:                              ;   in Loop: Header=BB300_89 Depth=1
	v_bfe_u32 v8, v9, 16, 1
	v_add3_u32 v8, v9, v8, s26
                                        ; implicit-def: $vgpr9
; %bb.236:                              ;   in Loop: Header=BB300_89 Depth=1
	s_andn2_saveexec_b64 s[2:3], s[0:1]
; %bb.237:                              ;   in Loop: Header=BB300_89 Depth=1
	v_or_b32_e32 v8, 0x10000, v9
	v_cmp_eq_u32_sdwa s[0:1], v9, v15 src0_sel:WORD_0 src1_sel:DWORD
	s_nop 1
	v_cndmask_b32_e64 v8, v8, v9, s[0:1]
; %bb.238:                              ;   in Loop: Header=BB300_89 Depth=1
	s_or_b64 exec, exec, s[2:3]
	v_lshlrev_b32_e32 v9, 16, v30
	v_mul_f32_e32 v22, v23, v9
	v_and_b32_e32 v9, 0x7f800000, v22
	v_cmp_ne_u32_e64 s[0:1], s19, v9
                                        ; implicit-def: $vgpr9
	s_and_saveexec_b64 s[2:3], s[0:1]
	s_xor_b64 s[0:1], exec, s[2:3]
; %bb.239:                              ;   in Loop: Header=BB300_89 Depth=1
	v_bfe_u32 v9, v22, 16, 1
	v_add3_u32 v9, v22, v9, s26
                                        ; implicit-def: $vgpr22
; %bb.240:                              ;   in Loop: Header=BB300_89 Depth=1
	s_andn2_saveexec_b64 s[2:3], s[0:1]
; %bb.241:                              ;   in Loop: Header=BB300_89 Depth=1
	v_or_b32_e32 v9, 0x10000, v22
	v_cmp_eq_u32_sdwa s[0:1], v22, v15 src0_sel:WORD_0 src1_sel:DWORD
	s_nop 1
	v_cndmask_b32_e64 v9, v9, v22, s[0:1]
; %bb.242:                              ;   in Loop: Header=BB300_89 Depth=1
	s_or_b64 exec, exec, s[2:3]
	v_lshlrev_b32_e32 v22, 16, v28
	v_mul_f32_e32 v23, v24, v22
	v_and_b32_e32 v22, 0x7f800000, v23
	v_cmp_ne_u32_e64 s[0:1], s19, v22
                                        ; implicit-def: $vgpr22
	s_and_saveexec_b64 s[2:3], s[0:1]
	s_xor_b64 s[0:1], exec, s[2:3]
; %bb.243:                              ;   in Loop: Header=BB300_89 Depth=1
	v_bfe_u32 v22, v23, 16, 1
	v_add3_u32 v22, v23, v22, s26
                                        ; implicit-def: $vgpr23
; %bb.244:                              ;   in Loop: Header=BB300_89 Depth=1
	s_andn2_saveexec_b64 s[2:3], s[0:1]
; %bb.245:                              ;   in Loop: Header=BB300_89 Depth=1
	v_or_b32_e32 v22, 0x10000, v23
	v_cmp_eq_u32_sdwa s[0:1], v23, v15 src0_sel:WORD_0 src1_sel:DWORD
	s_nop 1
	v_cndmask_b32_e64 v22, v22, v23, s[0:1]
; %bb.246:                              ;   in Loop: Header=BB300_89 Depth=1
	s_or_b64 exec, exec, s[2:3]
	v_lshlrev_b32_e32 v5, 16, v5
	v_mul_f32_e32 v23, v25, v5
	v_and_b32_e32 v5, 0x7f800000, v23
	v_cmp_ne_u32_e64 s[0:1], s19, v5
                                        ; implicit-def: $vgpr5
	s_and_saveexec_b64 s[2:3], s[0:1]
	s_xor_b64 s[0:1], exec, s[2:3]
; %bb.247:                              ;   in Loop: Header=BB300_89 Depth=1
	v_bfe_u32 v5, v23, 16, 1
	v_add3_u32 v5, v23, v5, s26
                                        ; implicit-def: $vgpr23
; %bb.248:                              ;   in Loop: Header=BB300_89 Depth=1
	s_andn2_saveexec_b64 s[2:3], s[0:1]
; %bb.249:                              ;   in Loop: Header=BB300_89 Depth=1
	v_or_b32_e32 v5, 0x10000, v23
	v_cmp_eq_u32_sdwa s[0:1], v23, v15 src0_sel:WORD_0 src1_sel:DWORD
	s_nop 1
	v_cndmask_b32_e64 v5, v5, v23, s[0:1]
; %bb.250:                              ;   in Loop: Header=BB300_89 Depth=1
	s_or_b64 exec, exec, s[2:3]
	v_lshlrev_b32_e32 v3, 16, v3
	v_mul_f32_e32 v3, v26, v3
	v_and_b32_e32 v23, 0x7f800000, v3
	v_cmp_ne_u32_e64 s[0:1], s19, v23
                                        ; implicit-def: $vgpr23
	s_and_saveexec_b64 s[2:3], s[0:1]
	s_xor_b64 s[0:1], exec, s[2:3]
; %bb.251:                              ;   in Loop: Header=BB300_89 Depth=1
	v_bfe_u32 v23, v3, 16, 1
	v_add3_u32 v23, v3, v23, s26
                                        ; implicit-def: $vgpr3
; %bb.252:                              ;   in Loop: Header=BB300_89 Depth=1
	s_andn2_saveexec_b64 s[2:3], s[0:1]
	s_cbranch_execz .LBB300_87
; %bb.253:                              ;   in Loop: Header=BB300_89 Depth=1
	v_or_b32_e32 v23, 0x10000, v3
	v_cmp_eq_u32_sdwa s[0:1], v3, v15 src0_sel:WORD_0 src1_sel:DWORD
	s_nop 1
	v_cndmask_b32_e64 v23, v23, v3, s[0:1]
	s_branch .LBB300_87
.LBB300_254:
	s_or_b64 exec, exec, s[12:13]
.LBB300_255:
	s_or_b64 exec, exec, s[8:9]
	v_and_b32_e32 v1, 0x3c0, v0
	v_cmp_eq_u32_e32 vcc, 64, v1
	s_barrier
	s_and_saveexec_b64 s[0:1], vcc
	s_cbranch_execz .LBB300_258
; %bb.256:
	v_mov_b32_e32 v1, 0xd0
	v_lshl_add_u32 v3, v11, 2, v1
	ds_write_b32 v3, v2
	s_and_b64 exec, exec, s[6:7]
	s_cbranch_execz .LBB300_258
; %bb.257:
	v_lshl_add_u32 v1, v0, 2, v1
	ds_write_b32 v1, v13
.LBB300_258:
	s_or_b64 exec, exec, s[0:1]
	v_cmp_gt_u32_e32 vcc, 64, v0
	v_or_b32_e32 v1, 64, v0
	s_waitcnt lgkmcnt(0)
	s_barrier
	s_and_saveexec_b64 s[2:3], vcc
	s_cbranch_execz .LBB300_262
; %bb.259:
	v_mov_b32_e32 v3, 0xd0
	v_lshl_add_u32 v3, v0, 2, v3
	ds_read_b32 v0, v3
	s_movk_i32 s0, 0x60
	v_cmp_gt_u32_e64 s[0:1], s0, v1
	s_and_saveexec_b64 s[6:7], s[0:1]
	s_cbranch_execz .LBB300_261
; %bb.260:
	ds_read_b32 v3, v3 offset:256
	s_waitcnt lgkmcnt(0)
	v_add_f32_e32 v13, v13, v3
.LBB300_261:
	s_or_b64 exec, exec, s[6:7]
	s_waitcnt lgkmcnt(0)
	v_add_f32_e32 v2, v2, v0
.LBB300_262:
	s_or_b64 exec, exec, s[2:3]
	s_barrier
	s_and_saveexec_b64 s[0:1], vcc
	s_cbranch_execz .LBB300_273
; %bb.263:
	s_mov_b32 s0, 0x7f800000
	v_and_b32_e32 v0, 0x7f800000, v2
	v_cmp_ne_u32_e32 vcc, s0, v0
                                        ; implicit-def: $vgpr0
	s_and_saveexec_b64 s[0:1], vcc
	s_xor_b64 s[0:1], exec, s[0:1]
; %bb.264:
	v_bfe_u32 v0, v2, 16, 1
	s_movk_i32 s2, 0x7fff
	v_add3_u32 v0, v2, v0, s2
                                        ; implicit-def: $vgpr2
; %bb.265:
	s_andn2_saveexec_b64 s[0:1], s[0:1]
; %bb.266:
	v_mov_b32_e32 v0, 0
	v_or_b32_e32 v3, 0x10000, v2
	v_cmp_eq_u32_sdwa vcc, v2, v0 src0_sel:WORD_0 src1_sel:DWORD
	s_nop 1
	v_cndmask_b32_e32 v0, v3, v2, vcc
; %bb.267:
	s_or_b64 exec, exec, s[0:1]
	s_mul_i32 s0, s20, s21
	s_mul_i32 s0, s0, s5
	s_mulk_i32 s0, 0x60
	s_ashr_i32 s1, s0, 31
	s_lshl_b64 s[0:1], s[0:1], 1
	s_add_u32 s3, s24, s0
	s_mul_i32 s0, s21, s22
	s_addc_u32 s5, s25, s1
	s_ashr_i32 s1, s0, 31
	s_lshl_b64 s[0:1], s[0:1], 1
	s_add_u32 s3, s3, s0
	s_mul_i32 s0, s4, 0x60
	s_addc_u32 s5, s5, s1
	s_ashr_i32 s1, s0, 31
	s_lshl_b64 s[0:1], s[0:1], 1
	s_movk_i32 s2, 0x60
	s_add_u32 s0, s3, s0
	s_addc_u32 s1, s5, s1
	v_cmp_gt_u32_e32 vcc, s2, v1
	global_store_short_d16_hi v10, v0, s[0:1]
	s_and_b64 exec, exec, vcc
	s_cbranch_execz .LBB300_273
; %bb.268:
	s_mov_b32 s2, 0x7f800000
	v_and_b32_e32 v0, 0x7f800000, v13
	v_mov_b32_e32 v11, 0
	v_cmp_ne_u32_e32 vcc, s2, v0
                                        ; implicit-def: $vgpr2
	s_and_saveexec_b64 s[2:3], vcc
	s_xor_b64 s[2:3], exec, s[2:3]
; %bb.269:
	v_bfe_u32 v0, v13, 16, 1
	s_movk_i32 s4, 0x7fff
	v_add3_u32 v2, v13, v0, s4
                                        ; implicit-def: $vgpr13
; %bb.270:
	s_or_saveexec_b64 s[2:3], s[2:3]
	v_lshl_add_u64 v[0:1], s[0:1], 0, v[10:11]
	s_xor_b64 exec, exec, s[2:3]
; %bb.271:
	v_mov_b32_e32 v2, 0
	v_or_b32_e32 v3, 0x10000, v13
	v_cmp_eq_u32_sdwa vcc, v13, v2 src0_sel:WORD_0 src1_sel:DWORD
	s_nop 1
	v_cndmask_b32_e32 v2, v3, v13, vcc
; %bb.272:
	s_or_b64 exec, exec, s[2:3]
	global_store_short_d16_hi v[0:1], v2, off offset:128
.LBB300_273:
	s_endpgm
	.section	.rodata,"a",@progbits
	.p2align	6, 0x0
	.amdhsa_kernel _ZN4vllm25paged_attention_v1_kernelI14__hip_bfloat16hLi96ELi8ELi128ELNS_18Fp8KVCacheDataTypeE1ELb0EEEvPT_PKS3_PKT0_S9_ifPKiSB_iPKfiiiSD_SD_iiiii
		.amdhsa_group_segment_fixed_size 208
		.amdhsa_private_segment_fixed_size 0
		.amdhsa_kernarg_size 384
		.amdhsa_user_sgpr_count 2
		.amdhsa_user_sgpr_dispatch_ptr 0
		.amdhsa_user_sgpr_queue_ptr 0
		.amdhsa_user_sgpr_kernarg_segment_ptr 1
		.amdhsa_user_sgpr_dispatch_id 0
		.amdhsa_user_sgpr_kernarg_preload_length 0
		.amdhsa_user_sgpr_kernarg_preload_offset 0
		.amdhsa_user_sgpr_private_segment_size 0
		.amdhsa_uses_dynamic_stack 0
		.amdhsa_enable_private_segment 0
		.amdhsa_system_sgpr_workgroup_id_x 1
		.amdhsa_system_sgpr_workgroup_id_y 1
		.amdhsa_system_sgpr_workgroup_id_z 1
		.amdhsa_system_sgpr_workgroup_info 0
		.amdhsa_system_vgpr_workitem_id 0
		.amdhsa_next_free_vgpr 45
		.amdhsa_next_free_sgpr 41
		.amdhsa_accum_offset 48
		.amdhsa_reserve_vcc 1
		.amdhsa_float_round_mode_32 0
		.amdhsa_float_round_mode_16_64 0
		.amdhsa_float_denorm_mode_32 3
		.amdhsa_float_denorm_mode_16_64 3
		.amdhsa_dx10_clamp 1
		.amdhsa_ieee_mode 1
		.amdhsa_fp16_overflow 0
		.amdhsa_tg_split 0
		.amdhsa_exception_fp_ieee_invalid_op 0
		.amdhsa_exception_fp_denorm_src 0
		.amdhsa_exception_fp_ieee_div_zero 0
		.amdhsa_exception_fp_ieee_overflow 0
		.amdhsa_exception_fp_ieee_underflow 0
		.amdhsa_exception_fp_ieee_inexact 0
		.amdhsa_exception_int_div_zero 0
	.end_amdhsa_kernel
	.section	.text._ZN4vllm25paged_attention_v1_kernelI14__hip_bfloat16hLi96ELi8ELi128ELNS_18Fp8KVCacheDataTypeE1ELb0EEEvPT_PKS3_PKT0_S9_ifPKiSB_iPKfiiiSD_SD_iiiii,"axG",@progbits,_ZN4vllm25paged_attention_v1_kernelI14__hip_bfloat16hLi96ELi8ELi128ELNS_18Fp8KVCacheDataTypeE1ELb0EEEvPT_PKS3_PKT0_S9_ifPKiSB_iPKfiiiSD_SD_iiiii,comdat
.Lfunc_end300:
	.size	_ZN4vllm25paged_attention_v1_kernelI14__hip_bfloat16hLi96ELi8ELi128ELNS_18Fp8KVCacheDataTypeE1ELb0EEEvPT_PKS3_PKT0_S9_ifPKiSB_iPKfiiiSD_SD_iiiii, .Lfunc_end300-_ZN4vllm25paged_attention_v1_kernelI14__hip_bfloat16hLi96ELi8ELi128ELNS_18Fp8KVCacheDataTypeE1ELb0EEEvPT_PKS3_PKT0_S9_ifPKiSB_iPKfiiiSD_SD_iiiii
                                        ; -- End function
	.section	.AMDGPU.csdata,"",@progbits
; Kernel info:
; codeLenInByte = 8996
; NumSgprs: 47
; NumVgprs: 45
; NumAgprs: 0
; TotalNumVgprs: 45
; ScratchSize: 0
; MemoryBound: 0
; FloatMode: 240
; IeeeMode: 1
; LDSByteSize: 208 bytes/workgroup (compile time only)
; SGPRBlocks: 5
; VGPRBlocks: 5
; NumSGPRsForWavesPerEU: 47
; NumVGPRsForWavesPerEU: 45
; AccumOffset: 48
; Occupancy: 8
; WaveLimiterHint : 1
; COMPUTE_PGM_RSRC2:SCRATCH_EN: 0
; COMPUTE_PGM_RSRC2:USER_SGPR: 2
; COMPUTE_PGM_RSRC2:TRAP_HANDLER: 0
; COMPUTE_PGM_RSRC2:TGID_X_EN: 1
; COMPUTE_PGM_RSRC2:TGID_Y_EN: 1
; COMPUTE_PGM_RSRC2:TGID_Z_EN: 1
; COMPUTE_PGM_RSRC2:TIDIG_COMP_CNT: 0
; COMPUTE_PGM_RSRC3_GFX90A:ACCUM_OFFSET: 11
; COMPUTE_PGM_RSRC3_GFX90A:TG_SPLIT: 0
	.section	.text._ZN4vllm25paged_attention_v1_kernelI14__hip_bfloat16hLi112ELi8ELi128ELNS_18Fp8KVCacheDataTypeE1ELb0EEEvPT_PKS3_PKT0_S9_ifPKiSB_iPKfiiiSD_SD_iiiii,"axG",@progbits,_ZN4vllm25paged_attention_v1_kernelI14__hip_bfloat16hLi112ELi8ELi128ELNS_18Fp8KVCacheDataTypeE1ELb0EEEvPT_PKS3_PKT0_S9_ifPKiSB_iPKfiiiSD_SD_iiiii,comdat
	.protected	_ZN4vllm25paged_attention_v1_kernelI14__hip_bfloat16hLi112ELi8ELi128ELNS_18Fp8KVCacheDataTypeE1ELb0EEEvPT_PKS3_PKT0_S9_ifPKiSB_iPKfiiiSD_SD_iiiii ; -- Begin function _ZN4vllm25paged_attention_v1_kernelI14__hip_bfloat16hLi112ELi8ELi128ELNS_18Fp8KVCacheDataTypeE1ELb0EEEvPT_PKS3_PKT0_S9_ifPKiSB_iPKfiiiSD_SD_iiiii
	.globl	_ZN4vllm25paged_attention_v1_kernelI14__hip_bfloat16hLi112ELi8ELi128ELNS_18Fp8KVCacheDataTypeE1ELb0EEEvPT_PKS3_PKT0_S9_ifPKiSB_iPKfiiiSD_SD_iiiii
	.p2align	8
	.type	_ZN4vllm25paged_attention_v1_kernelI14__hip_bfloat16hLi112ELi8ELi128ELNS_18Fp8KVCacheDataTypeE1ELb0EEEvPT_PKS3_PKT0_S9_ifPKiSB_iPKfiiiSD_SD_iiiii,@function
_ZN4vllm25paged_attention_v1_kernelI14__hip_bfloat16hLi112ELi8ELi128ELNS_18Fp8KVCacheDataTypeE1ELb0EEEvPT_PKS3_PKT0_S9_ifPKiSB_iPKfiiiSD_SD_iiiii: ; @_ZN4vllm25paged_attention_v1_kernelI14__hip_bfloat16hLi112ELi8ELi128ELNS_18Fp8KVCacheDataTypeE1ELb0EEEvPT_PKS3_PKT0_S9_ifPKiSB_iPKfiiiSD_SD_iiiii
; %bb.0:
	s_load_dword s5, s[0:1], 0x80
	s_load_dwordx2 s[6:7], s[0:1], 0x30
	s_load_dwordx2 s[10:11], s[0:1], 0x20
	s_mov_b32 s20, s3
	s_ashr_i32 s21, s3, 31
	s_lshl_b64 s[8:9], s[20:21], 2
	s_waitcnt lgkmcnt(0)
	s_add_u32 s6, s6, s8
	s_addc_u32 s7, s7, s9
	s_abs_i32 s3, s10
	v_cvt_f32_u32_e32 v1, s3
	s_xor_b32 s8, s5, s10
	s_sub_i32 s10, 0, s3
	s_abs_i32 s9, s5
	v_rcp_iflag_f32_e32 v1, v1
	s_ashr_i32 s8, s8, 31
	v_mul_f32_e32 v1, 0x4f7ffffe, v1
	v_cvt_u32_f32_e32 v1, v1
	s_nop 0
	v_readfirstlane_b32 s12, v1
	s_mul_i32 s10, s10, s12
	s_mul_hi_u32 s10, s12, s10
	s_add_i32 s12, s12, s10
	s_mul_hi_u32 s10, s9, s12
	s_mul_i32 s12, s10, s3
	s_sub_i32 s9, s9, s12
	s_add_i32 s12, s10, 1
	s_sub_i32 s13, s9, s3
	s_cmp_ge_u32 s9, s3
	s_cselect_b32 s10, s12, s10
	s_cselect_b32 s9, s13, s9
	s_add_i32 s12, s10, 1
	s_cmp_ge_u32 s9, s3
	s_cselect_b32 s3, s12, s10
	s_xor_b32 s3, s3, s8
	s_sub_i32 s12, s3, s8
	s_abs_i32 s16, s12
	v_cvt_f32_u32_e32 v1, s16
	s_load_dwordx2 s[8:9], s[0:1], 0x40
	s_sub_i32 s3, 0, s16
	s_abs_i32 s17, s2
	v_rcp_iflag_f32_e32 v1, v1
	s_mov_b32 s10, 0
	v_mul_f32_e32 v1, 0x4f7ffffe, v1
	v_cvt_u32_f32_e32 v1, v1
	s_nop 0
	v_readfirstlane_b32 s13, v1
	s_mul_i32 s3, s3, s13
	s_mul_hi_u32 s3, s13, s3
	s_add_i32 s13, s13, s3
	s_waitcnt lgkmcnt(0)
	s_cmp_eq_u64 s[8:9], 0
	s_mul_hi_u32 s18, s17, s13
	s_cbranch_scc1 .LBB301_2
; %bb.1:
	s_ashr_i32 s3, s2, 31
	s_lshl_b64 s[14:15], s[2:3], 2
	s_add_u32 s8, s8, s14
	s_addc_u32 s9, s9, s15
	s_load_dword s10, s[8:9], 0x0
.LBB301_2:
	s_load_dword s33, s[6:7], 0x0
	s_ashr_i32 s9, s12, 31
	s_load_dwordx4 s[12:15], s[0:1], 0x48
	s_movk_i32 s3, 0x70
	s_ashr_i32 s8, s2, 31
	v_and_b32_e32 v2, 7, v0
	s_mul_i32 s22, s2, 0x70
	v_cmp_gt_u32_e64 s[6:7], s3, v0
	v_lshlrev_b32_e32 v10, 1, v0
	s_and_saveexec_b64 s[2:3], s[6:7]
	s_cbranch_execz .LBB301_4
; %bb.3:
	s_load_dwordx2 s[24:25], s[0:1], 0x8
	s_waitcnt lgkmcnt(0)
	s_mul_i32 s26, s20, s12
	s_ashr_i32 s27, s26, 31
	s_lshl_b64 s[26:27], s[26:27], 1
	v_lshrrev_b32_e32 v3, 2, v0
	s_add_u32 s12, s24, s26
	s_addc_u32 s15, s25, s27
	s_ashr_i32 s23, s22, 31
	s_lshl_b64 s[24:25], s[22:23], 1
	s_add_u32 s24, s12, s24
	s_addc_u32 s25, s15, s25
	global_load_ushort v1, v10, s[24:25]
	v_and_b32_e32 v3, 0xfe, v3
	v_mad_u32_u24 v3, v2, 28, v3
	s_waitcnt vmcnt(0)
	ds_write_b16 v3, v1
.LBB301_4:
	s_or_b64 exec, exec, s[2:3]
	s_waitcnt lgkmcnt(0)
	s_add_i32 s3, s33, 7
	s_ashr_i32 s12, s3, 31
	s_lshr_b32 s12, s12, 29
	s_add_i32 s3, s3, s12
	s_ashr_i32 s23, s3, 3
	s_xor_b32 s3, s8, s9
	s_mul_i32 s8, s18, s16
	s_sub_i32 s8, s17, s8
	s_add_i32 s9, s18, 1
	s_sub_i32 s12, s8, s16
	s_load_dwordx2 s[26:27], s[0:1], 0x28
	s_load_dword s2, s[0:1], 0x38
	s_cmp_ge_u32 s8, s16
	s_cselect_b32 s9, s9, s18
	s_cselect_b32 s8, s12, s8
	s_add_i32 s12, s9, 1
	s_cmp_ge_u32 s8, s16
	s_cselect_b32 s8, s12, s9
	v_lshrrev_b32_e32 v1, 6, v0
	s_xor_b32 s8, s8, s3
	s_waitcnt lgkmcnt(0)
	s_mul_i32 s28, s20, s2
	s_sub_i32 s12, s8, s3
	s_ashr_i32 s29, s28, 31
	v_cmp_gt_i32_e64 s[2:3], s23, v1
	v_cmp_le_i32_e32 vcc, s23, v1
	v_mbcnt_lo_u32_b32 v6, -1, 0
	s_barrier
	s_waitcnt lgkmcnt(0)
                                        ; implicit-def: $sgpr15
                                        ; implicit-def: $vgpr13
                                        ; implicit-def: $vgpr14
	s_and_saveexec_b64 s[8:9], vcc
	s_xor_b64 s[8:9], exec, s[8:9]
; %bb.5:
	v_mbcnt_hi_u32_b32 v13, -1, v6
	v_and_b32_e32 v2, 64, v13
	v_add_u32_e32 v14, 64, v2
	s_mov_b32 s15, 0xff7fffff
                                        ; implicit-def: $vgpr2
                                        ; implicit-def: $vgpr6
; %bb.6:
	s_or_saveexec_b64 s[34:35], s[8:9]
	s_load_dwordx2 s[24:25], s[0:1], 0x0
	s_load_dwordx2 s[30:31], s[0:1], 0x18
	s_load_dword s21, s[0:1], 0x88
	s_load_dwordx4 s[16:19], s[0:1], 0x58
	v_mov_b32_e32 v28, s15
	s_mul_i32 s12, s12, s14
	v_lshrrev_b32_e32 v12, 4, v0
	s_xor_b64 exec, exec, s[34:35]
	s_cbranch_execz .LBB301_68
; %bb.7:
	v_mul_u32_u24_e32 v11, 28, v2
	ds_read2_b32 v[8:9], v11 offset1:1
	ds_read2_b32 v[20:21], v11 offset0:2 offset1:3
	ds_read2_b32 v[24:25], v11 offset0:4 offset1:5
	ds_read_b32 v13, v11 offset:24
	s_load_dwordx2 s[0:1], s[0:1], 0x10
	s_ashr_i32 s8, s12, 31
	v_bfe_u32 v7, v0, 3, 3
	s_waitcnt lgkmcnt(0)
	s_load_dword s37, s[16:17], 0x0
	v_lshlrev_b32_e32 v26, 16, v13
	v_and_b32_e32 v27, 0xffff0000, v13
	v_mbcnt_hi_u32_b32 v13, -1, v6
	v_and_b32_e32 v6, 64, v13
	v_add_u32_e32 v14, 64, v6
	v_xor_b32_e32 v6, 4, v13
	v_cmp_lt_i32_e32 vcc, v6, v14
	s_add_u32 s0, s0, s12
	s_addc_u32 s1, s1, s8
	v_cndmask_b32_e32 v6, v13, v6, vcc
	v_lshlrev_b32_e32 v29, 2, v6
	v_xor_b32_e32 v6, 2, v13
	v_cmp_lt_i32_e32 vcc, v6, v14
	s_sub_i32 s38, 1, s33
	s_lshl_b64 s[8:9], s[28:29], 2
	v_cndmask_b32_e32 v6, v13, v6, vcc
	v_lshlrev_b32_e32 v30, 2, v6
	v_xor_b32_e32 v6, 1, v13
	v_cmp_lt_i32_e32 vcc, v6, v14
	v_mov_b32_e32 v3, 0
	s_add_u32 s8, s26, s8
	v_cndmask_b32_e32 v6, v13, v6, vcc
	v_lshlrev_b32_e32 v31, 2, v6
	v_lshlrev_b32_e32 v6, 2, v7
	v_lshl_or_b32 v6, v1, 5, v6
	v_lshlrev_b32_e32 v4, 4, v7
	v_mov_b32_e32 v5, v3
	v_lshl_or_b32 v32, v1, 3, v7
	v_add_u32_e32 v33, 0xf0, v6
	v_and_b32_e32 v6, 60, v12
	v_mov_b32_e32 v7, v3
	s_addc_u32 s9, s27, s9
	s_mov_b32 s36, s13
	v_lshl_add_u64 v[4:5], s[0:1], 0, v[4:5]
	v_lshlrev_b32_e32 v11, 16, v8
	v_and_b32_e32 v15, 0xffff0000, v8
	v_lshlrev_b32_e32 v16, 16, v9
	v_and_b32_e32 v17, 0xffff0000, v9
	;; [unrolled: 2-line block ×6, first 2 shown]
	v_cmp_eq_u32_e32 vcc, 0, v2
	v_cmp_neq_f32_e64 s[0:1], s10, 0
	v_lshl_add_u64 v[6:7], s[8:9], 0, v[6:7]
	s_mov_b64 s[14:15], 0
	v_mov_b32_e32 v28, 0xff7fffff
	s_mov_b32 s39, 0x7f800000
	s_movk_i32 s40, 0x7fff
	v_mov_b32_e32 v34, v1
	s_branch .LBB301_9
.LBB301_8:                              ;   in Loop: Header=BB301_9 Depth=1
	s_or_b64 exec, exec, s[16:17]
	v_add_u32_e32 v34, 2, v34
	v_cmp_le_i32_e64 s[8:9], s23, v34
	v_add_u32_e32 v32, 16, v32
	v_add_u32_e32 v33, 64, v33
	s_or_b64 s[14:15], s[8:9], s[14:15]
	v_lshl_add_u64 v[6:7], v[6:7], 0, 8
	s_andn2_b64 exec, exec, s[14:15]
	s_cbranch_execz .LBB301_67
.LBB301_9:                              ; =>This Inner Loop Header: Depth=1
	global_load_dword v8, v[6:7], off
	s_waitcnt vmcnt(0) lgkmcnt(0)
	v_mad_i64_i32 v[8:9], s[8:9], v8, s36, v[4:5]
	v_lshl_add_u64 v[8:9], v[8:9], 0, v[2:3]
	global_load_ubyte v35, v[8:9], off
	s_waitcnt vmcnt(0)
	v_cvt_f32_fp8_sdwa v35, v35 src0_sel:BYTE_0
	s_waitcnt lgkmcnt(0)
	v_mul_f32_e32 v36, s37, v35
	v_and_b32_e32 v35, 0x7f800000, v36
	v_cmp_ne_u32_e64 s[8:9], s39, v35
                                        ; implicit-def: $vgpr35
	s_and_saveexec_b64 s[16:17], s[8:9]
	s_xor_b64 s[8:9], exec, s[16:17]
; %bb.10:                               ;   in Loop: Header=BB301_9 Depth=1
	v_bfe_u32 v35, v36, 16, 1
	v_add3_u32 v35, v36, v35, s40
                                        ; implicit-def: $vgpr36
; %bb.11:                               ;   in Loop: Header=BB301_9 Depth=1
	s_andn2_saveexec_b64 s[16:17], s[8:9]
; %bb.12:                               ;   in Loop: Header=BB301_9 Depth=1
	v_or_b32_e32 v35, 0x10000, v36
	v_cmp_eq_u32_sdwa s[8:9], v36, v3 src0_sel:WORD_0 src1_sel:DWORD
	s_nop 1
	v_cndmask_b32_e64 v35, v35, v36, s[8:9]
; %bb.13:                               ;   in Loop: Header=BB301_9 Depth=1
	s_or_b64 exec, exec, s[16:17]
	global_load_ubyte v36, v[8:9], off offset:8
	s_waitcnt vmcnt(0)
	v_cvt_f32_fp8_sdwa v36, v36 src0_sel:BYTE_0
	s_nop 0
	v_mul_f32_e32 v37, s37, v36
	v_and_b32_e32 v36, 0x7f800000, v37
	v_cmp_ne_u32_e64 s[8:9], s39, v36
                                        ; implicit-def: $vgpr36
	s_and_saveexec_b64 s[16:17], s[8:9]
	s_xor_b64 s[8:9], exec, s[16:17]
; %bb.14:                               ;   in Loop: Header=BB301_9 Depth=1
	v_bfe_u32 v36, v37, 16, 1
	v_add3_u32 v36, v37, v36, s40
                                        ; implicit-def: $vgpr37
; %bb.15:                               ;   in Loop: Header=BB301_9 Depth=1
	s_andn2_saveexec_b64 s[16:17], s[8:9]
; %bb.16:                               ;   in Loop: Header=BB301_9 Depth=1
	v_or_b32_e32 v36, 0x10000, v37
	v_cmp_eq_u32_sdwa s[8:9], v37, v3 src0_sel:WORD_0 src1_sel:DWORD
	s_nop 1
	v_cndmask_b32_e64 v36, v36, v37, s[8:9]
; %bb.17:                               ;   in Loop: Header=BB301_9 Depth=1
	s_or_b64 exec, exec, s[16:17]
	global_load_ubyte v37, v[8:9], off offset:128
	s_waitcnt vmcnt(0)
	v_cvt_f32_fp8_sdwa v37, v37 src0_sel:BYTE_0
	s_nop 0
	v_mul_f32_e32 v38, s37, v37
	v_and_b32_e32 v37, 0x7f800000, v38
	v_cmp_ne_u32_e64 s[8:9], s39, v37
                                        ; implicit-def: $vgpr37
	s_and_saveexec_b64 s[16:17], s[8:9]
	s_xor_b64 s[8:9], exec, s[16:17]
; %bb.18:                               ;   in Loop: Header=BB301_9 Depth=1
	v_bfe_u32 v37, v38, 16, 1
	v_add3_u32 v37, v38, v37, s40
                                        ; implicit-def: $vgpr38
; %bb.19:                               ;   in Loop: Header=BB301_9 Depth=1
	s_andn2_saveexec_b64 s[16:17], s[8:9]
; %bb.20:                               ;   in Loop: Header=BB301_9 Depth=1
	v_or_b32_e32 v37, 0x10000, v38
	v_cmp_eq_u32_sdwa s[8:9], v38, v3 src0_sel:WORD_0 src1_sel:DWORD
	s_nop 1
	v_cndmask_b32_e64 v37, v37, v38, s[8:9]
; %bb.21:                               ;   in Loop: Header=BB301_9 Depth=1
	s_or_b64 exec, exec, s[16:17]
	global_load_ubyte v38, v[8:9], off offset:136
	s_waitcnt vmcnt(0)
	v_cvt_f32_fp8_sdwa v38, v38 src0_sel:BYTE_0
	s_nop 0
	v_mul_f32_e32 v39, s37, v38
	v_and_b32_e32 v38, 0x7f800000, v39
	v_cmp_ne_u32_e64 s[8:9], s39, v38
                                        ; implicit-def: $vgpr38
	s_and_saveexec_b64 s[16:17], s[8:9]
	s_xor_b64 s[8:9], exec, s[16:17]
; %bb.22:                               ;   in Loop: Header=BB301_9 Depth=1
	v_bfe_u32 v38, v39, 16, 1
	v_add3_u32 v38, v39, v38, s40
                                        ; implicit-def: $vgpr39
; %bb.23:                               ;   in Loop: Header=BB301_9 Depth=1
	s_andn2_saveexec_b64 s[16:17], s[8:9]
; %bb.24:                               ;   in Loop: Header=BB301_9 Depth=1
	v_or_b32_e32 v38, 0x10000, v39
	v_cmp_eq_u32_sdwa s[8:9], v39, v3 src0_sel:WORD_0 src1_sel:DWORD
	s_nop 1
	v_cndmask_b32_e64 v38, v38, v39, s[8:9]
; %bb.25:                               ;   in Loop: Header=BB301_9 Depth=1
	s_or_b64 exec, exec, s[16:17]
	global_load_ubyte v39, v[8:9], off offset:256
	s_waitcnt vmcnt(0)
	v_cvt_f32_fp8_sdwa v39, v39 src0_sel:BYTE_0
	s_nop 0
	v_mul_f32_e32 v40, s37, v39
	v_and_b32_e32 v39, 0x7f800000, v40
	v_cmp_ne_u32_e64 s[8:9], s39, v39
                                        ; implicit-def: $vgpr39
	s_and_saveexec_b64 s[16:17], s[8:9]
	s_xor_b64 s[8:9], exec, s[16:17]
; %bb.26:                               ;   in Loop: Header=BB301_9 Depth=1
	v_bfe_u32 v39, v40, 16, 1
	v_add3_u32 v39, v40, v39, s40
                                        ; implicit-def: $vgpr40
; %bb.27:                               ;   in Loop: Header=BB301_9 Depth=1
	s_andn2_saveexec_b64 s[16:17], s[8:9]
; %bb.28:                               ;   in Loop: Header=BB301_9 Depth=1
	v_or_b32_e32 v39, 0x10000, v40
	v_cmp_eq_u32_sdwa s[8:9], v40, v3 src0_sel:WORD_0 src1_sel:DWORD
	s_nop 1
	v_cndmask_b32_e64 v39, v39, v40, s[8:9]
; %bb.29:                               ;   in Loop: Header=BB301_9 Depth=1
	s_or_b64 exec, exec, s[16:17]
	global_load_ubyte v40, v[8:9], off offset:264
	s_waitcnt vmcnt(0)
	v_cvt_f32_fp8_sdwa v40, v40 src0_sel:BYTE_0
	s_nop 0
	v_mul_f32_e32 v41, s37, v40
	v_and_b32_e32 v40, 0x7f800000, v41
	v_cmp_ne_u32_e64 s[8:9], s39, v40
                                        ; implicit-def: $vgpr40
	s_and_saveexec_b64 s[16:17], s[8:9]
	s_xor_b64 s[8:9], exec, s[16:17]
; %bb.30:                               ;   in Loop: Header=BB301_9 Depth=1
	v_bfe_u32 v40, v41, 16, 1
	v_add3_u32 v40, v41, v40, s40
                                        ; implicit-def: $vgpr41
; %bb.31:                               ;   in Loop: Header=BB301_9 Depth=1
	s_andn2_saveexec_b64 s[16:17], s[8:9]
; %bb.32:                               ;   in Loop: Header=BB301_9 Depth=1
	v_or_b32_e32 v40, 0x10000, v41
	v_cmp_eq_u32_sdwa s[8:9], v41, v3 src0_sel:WORD_0 src1_sel:DWORD
	s_nop 1
	v_cndmask_b32_e64 v40, v40, v41, s[8:9]
; %bb.33:                               ;   in Loop: Header=BB301_9 Depth=1
	s_or_b64 exec, exec, s[16:17]
	global_load_ubyte v41, v[8:9], off offset:384
	s_waitcnt vmcnt(0)
	v_cvt_f32_fp8_sdwa v41, v41 src0_sel:BYTE_0
	s_nop 0
	v_mul_f32_e32 v42, s37, v41
	v_and_b32_e32 v41, 0x7f800000, v42
	v_cmp_ne_u32_e64 s[8:9], s39, v41
                                        ; implicit-def: $vgpr41
	s_and_saveexec_b64 s[16:17], s[8:9]
	s_xor_b64 s[8:9], exec, s[16:17]
; %bb.34:                               ;   in Loop: Header=BB301_9 Depth=1
	v_bfe_u32 v41, v42, 16, 1
	v_add3_u32 v41, v42, v41, s40
                                        ; implicit-def: $vgpr42
; %bb.35:                               ;   in Loop: Header=BB301_9 Depth=1
	s_andn2_saveexec_b64 s[16:17], s[8:9]
; %bb.36:                               ;   in Loop: Header=BB301_9 Depth=1
	v_or_b32_e32 v41, 0x10000, v42
	v_cmp_eq_u32_sdwa s[8:9], v42, v3 src0_sel:WORD_0 src1_sel:DWORD
	s_nop 1
	v_cndmask_b32_e64 v41, v41, v42, s[8:9]
; %bb.37:                               ;   in Loop: Header=BB301_9 Depth=1
	s_or_b64 exec, exec, s[16:17]
	global_load_ubyte v42, v[8:9], off offset:392
	s_waitcnt vmcnt(0)
	v_cvt_f32_fp8_sdwa v42, v42 src0_sel:BYTE_0
	s_nop 0
	v_mul_f32_e32 v43, s37, v42
	v_and_b32_e32 v42, 0x7f800000, v43
	v_cmp_ne_u32_e64 s[8:9], s39, v42
                                        ; implicit-def: $vgpr42
	s_and_saveexec_b64 s[16:17], s[8:9]
	s_xor_b64 s[8:9], exec, s[16:17]
; %bb.38:                               ;   in Loop: Header=BB301_9 Depth=1
	v_bfe_u32 v42, v43, 16, 1
	v_add3_u32 v42, v43, v42, s40
                                        ; implicit-def: $vgpr43
; %bb.39:                               ;   in Loop: Header=BB301_9 Depth=1
	s_andn2_saveexec_b64 s[16:17], s[8:9]
; %bb.40:                               ;   in Loop: Header=BB301_9 Depth=1
	v_or_b32_e32 v42, 0x10000, v43
	v_cmp_eq_u32_sdwa s[8:9], v43, v3 src0_sel:WORD_0 src1_sel:DWORD
	s_nop 1
	v_cndmask_b32_e64 v42, v42, v43, s[8:9]
; %bb.41:                               ;   in Loop: Header=BB301_9 Depth=1
	s_or_b64 exec, exec, s[16:17]
	global_load_ubyte v43, v[8:9], off offset:512
	s_waitcnt vmcnt(0)
	v_cvt_f32_fp8_sdwa v43, v43 src0_sel:BYTE_0
	s_nop 0
	v_mul_f32_e32 v44, s37, v43
	v_and_b32_e32 v43, 0x7f800000, v44
	v_cmp_ne_u32_e64 s[8:9], s39, v43
                                        ; implicit-def: $vgpr43
	s_and_saveexec_b64 s[16:17], s[8:9]
	s_xor_b64 s[8:9], exec, s[16:17]
; %bb.42:                               ;   in Loop: Header=BB301_9 Depth=1
	v_bfe_u32 v43, v44, 16, 1
	v_add3_u32 v43, v44, v43, s40
                                        ; implicit-def: $vgpr44
; %bb.43:                               ;   in Loop: Header=BB301_9 Depth=1
	s_andn2_saveexec_b64 s[16:17], s[8:9]
; %bb.44:                               ;   in Loop: Header=BB301_9 Depth=1
	v_or_b32_e32 v43, 0x10000, v44
	v_cmp_eq_u32_sdwa s[8:9], v44, v3 src0_sel:WORD_0 src1_sel:DWORD
	s_nop 1
	v_cndmask_b32_e64 v43, v43, v44, s[8:9]
; %bb.45:                               ;   in Loop: Header=BB301_9 Depth=1
	s_or_b64 exec, exec, s[16:17]
	global_load_ubyte v44, v[8:9], off offset:520
	s_waitcnt vmcnt(0)
	v_cvt_f32_fp8_sdwa v44, v44 src0_sel:BYTE_0
	s_nop 0
	v_mul_f32_e32 v45, s37, v44
	v_and_b32_e32 v44, 0x7f800000, v45
	v_cmp_ne_u32_e64 s[8:9], s39, v44
                                        ; implicit-def: $vgpr44
	s_and_saveexec_b64 s[16:17], s[8:9]
	s_xor_b64 s[8:9], exec, s[16:17]
; %bb.46:                               ;   in Loop: Header=BB301_9 Depth=1
	v_bfe_u32 v44, v45, 16, 1
	v_add3_u32 v44, v45, v44, s40
                                        ; implicit-def: $vgpr45
; %bb.47:                               ;   in Loop: Header=BB301_9 Depth=1
	s_andn2_saveexec_b64 s[16:17], s[8:9]
; %bb.48:                               ;   in Loop: Header=BB301_9 Depth=1
	v_or_b32_e32 v44, 0x10000, v45
	v_cmp_eq_u32_sdwa s[8:9], v45, v3 src0_sel:WORD_0 src1_sel:DWORD
	s_nop 1
	v_cndmask_b32_e64 v44, v44, v45, s[8:9]
; %bb.49:                               ;   in Loop: Header=BB301_9 Depth=1
	s_or_b64 exec, exec, s[16:17]
	global_load_ubyte v45, v[8:9], off offset:640
	s_waitcnt vmcnt(0)
	v_cvt_f32_fp8_sdwa v45, v45 src0_sel:BYTE_0
	s_nop 0
	v_mul_f32_e32 v46, s37, v45
	v_and_b32_e32 v45, 0x7f800000, v46
	v_cmp_ne_u32_e64 s[8:9], s39, v45
                                        ; implicit-def: $vgpr45
	s_and_saveexec_b64 s[16:17], s[8:9]
	s_xor_b64 s[8:9], exec, s[16:17]
; %bb.50:                               ;   in Loop: Header=BB301_9 Depth=1
	v_bfe_u32 v45, v46, 16, 1
	v_add3_u32 v45, v46, v45, s40
                                        ; implicit-def: $vgpr46
; %bb.51:                               ;   in Loop: Header=BB301_9 Depth=1
	s_andn2_saveexec_b64 s[16:17], s[8:9]
; %bb.52:                               ;   in Loop: Header=BB301_9 Depth=1
	v_or_b32_e32 v45, 0x10000, v46
	v_cmp_eq_u32_sdwa s[8:9], v46, v3 src0_sel:WORD_0 src1_sel:DWORD
	s_nop 1
	v_cndmask_b32_e64 v45, v45, v46, s[8:9]
; %bb.53:                               ;   in Loop: Header=BB301_9 Depth=1
	s_or_b64 exec, exec, s[16:17]
	global_load_ubyte v46, v[8:9], off offset:648
	s_waitcnt vmcnt(0)
	v_cvt_f32_fp8_sdwa v46, v46 src0_sel:BYTE_0
	s_nop 0
	v_mul_f32_e32 v47, s37, v46
	v_and_b32_e32 v46, 0x7f800000, v47
	v_cmp_ne_u32_e64 s[8:9], s39, v46
                                        ; implicit-def: $vgpr46
	s_and_saveexec_b64 s[16:17], s[8:9]
	s_xor_b64 s[8:9], exec, s[16:17]
; %bb.54:                               ;   in Loop: Header=BB301_9 Depth=1
	v_bfe_u32 v46, v47, 16, 1
	v_add3_u32 v46, v47, v46, s40
                                        ; implicit-def: $vgpr47
; %bb.55:                               ;   in Loop: Header=BB301_9 Depth=1
	s_andn2_saveexec_b64 s[16:17], s[8:9]
; %bb.56:                               ;   in Loop: Header=BB301_9 Depth=1
	v_or_b32_e32 v46, 0x10000, v47
	v_cmp_eq_u32_sdwa s[8:9], v47, v3 src0_sel:WORD_0 src1_sel:DWORD
	s_nop 1
	v_cndmask_b32_e64 v46, v46, v47, s[8:9]
; %bb.57:                               ;   in Loop: Header=BB301_9 Depth=1
	s_or_b64 exec, exec, s[16:17]
	global_load_ubyte v47, v[8:9], off offset:768
	s_waitcnt vmcnt(0)
	v_cvt_f32_fp8_sdwa v47, v47 src0_sel:BYTE_0
	s_nop 0
	v_mul_f32_e32 v48, s37, v47
	v_and_b32_e32 v47, 0x7f800000, v48
	v_cmp_ne_u32_e64 s[8:9], s39, v47
                                        ; implicit-def: $vgpr47
	s_and_saveexec_b64 s[16:17], s[8:9]
	s_xor_b64 s[8:9], exec, s[16:17]
; %bb.58:                               ;   in Loop: Header=BB301_9 Depth=1
	v_bfe_u32 v47, v48, 16, 1
	v_add3_u32 v47, v48, v47, s40
                                        ; implicit-def: $vgpr48
; %bb.59:                               ;   in Loop: Header=BB301_9 Depth=1
	s_andn2_saveexec_b64 s[16:17], s[8:9]
; %bb.60:                               ;   in Loop: Header=BB301_9 Depth=1
	v_or_b32_e32 v47, 0x10000, v48
	v_cmp_eq_u32_sdwa s[8:9], v48, v3 src0_sel:WORD_0 src1_sel:DWORD
	s_nop 1
	v_cndmask_b32_e64 v47, v47, v48, s[8:9]
; %bb.61:                               ;   in Loop: Header=BB301_9 Depth=1
	s_or_b64 exec, exec, s[16:17]
	global_load_ubyte v8, v[8:9], off offset:776
	s_waitcnt vmcnt(0)
	v_cvt_f32_fp8_sdwa v8, v8 src0_sel:BYTE_0
	s_nop 0
	v_mul_f32_e32 v9, s37, v8
	v_and_b32_e32 v8, 0x7f800000, v9
	v_cmp_ne_u32_e64 s[8:9], s39, v8
                                        ; implicit-def: $vgpr8
	s_and_saveexec_b64 s[16:17], s[8:9]
	s_xor_b64 s[8:9], exec, s[16:17]
; %bb.62:                               ;   in Loop: Header=BB301_9 Depth=1
	v_bfe_u32 v8, v9, 16, 1
	v_add3_u32 v8, v9, v8, s40
                                        ; implicit-def: $vgpr9
; %bb.63:                               ;   in Loop: Header=BB301_9 Depth=1
	s_andn2_saveexec_b64 s[16:17], s[8:9]
; %bb.64:                               ;   in Loop: Header=BB301_9 Depth=1
	v_or_b32_e32 v8, 0x10000, v9
	v_cmp_eq_u32_sdwa s[8:9], v9, v3 src0_sel:WORD_0 src1_sel:DWORD
	s_nop 1
	v_cndmask_b32_e64 v8, v8, v9, s[8:9]
; %bb.65:                               ;   in Loop: Header=BB301_9 Depth=1
	s_or_b64 exec, exec, s[16:17]
	v_and_b32_e32 v36, 0xffff0000, v36
	v_and_b32_e32 v35, 0xffff0000, v35
	v_mul_f32_e32 v36, v15, v36
	v_and_b32_e32 v37, 0xffff0000, v37
	v_fmac_f32_e32 v36, v11, v35
	v_and_b32_e32 v38, 0xffff0000, v38
	v_fmac_f32_e32 v36, v16, v37
	;; [unrolled: 2-line block ×12, first 2 shown]
	v_fmac_f32_e32 v36, v27, v8
	ds_bpermute_b32 v8, v29, v36
	s_waitcnt lgkmcnt(0)
	v_add_f32_e32 v8, v36, v8
	ds_bpermute_b32 v9, v30, v8
	s_waitcnt lgkmcnt(0)
	v_add_f32_e32 v8, v8, v9
	ds_bpermute_b32 v9, v31, v8
	s_and_saveexec_b64 s[16:17], vcc
	s_cbranch_execz .LBB301_8
; %bb.66:                               ;   in Loop: Header=BB301_9 Depth=1
	v_add_u32_e32 v35, s38, v32
	v_cvt_f32_i32_e32 v35, v35
	s_waitcnt lgkmcnt(0)
	v_add_f32_e32 v8, v8, v9
	v_cmp_gt_i32_e64 s[8:9], s33, v32
	v_max_f32_e32 v9, v28, v28
	v_mul_f32_e32 v35, s10, v35
	v_cndmask_b32_e64 v35, 0, v35, s[0:1]
	v_fmac_f32_e32 v35, s11, v8
	v_cndmask_b32_e64 v8, 0, v35, s[8:9]
	ds_write_b32 v33, v8
	v_max_f32_e32 v8, v9, v35
	v_cndmask_b32_e64 v28, v28, v8, s[8:9]
	s_branch .LBB301_8
.LBB301_67:
	s_or_b64 exec, exec, s[14:15]
.LBB301_68:
	s_or_b64 exec, exec, s[34:35]
	v_xor_b32_e32 v2, 32, v13
	v_cmp_lt_i32_e32 vcc, v2, v14
	v_xor_b32_e32 v5, 16, v13
	v_max_f32_e32 v4, v28, v28
	v_cndmask_b32_e32 v2, v13, v2, vcc
	v_lshlrev_b32_e32 v3, 2, v2
	ds_bpermute_b32 v2, v3, v28
	v_cmp_lt_i32_e32 vcc, v5, v14
	v_xor_b32_e32 v6, 8, v13
	v_and_b32_e32 v11, 63, v0
	s_waitcnt lgkmcnt(0)
	v_max_f32_e32 v2, v2, v2
	v_max_f32_e32 v2, v4, v2
	v_cndmask_b32_e32 v4, v13, v5, vcc
	v_lshlrev_b32_e32 v5, 2, v4
	ds_bpermute_b32 v4, v5, v2
	v_cmp_lt_i32_e32 vcc, v6, v14
	s_waitcnt lgkmcnt(0)
	v_max_f32_e32 v4, v4, v4
	v_max_f32_e32 v4, v2, v4
	v_cndmask_b32_e32 v2, v13, v6, vcc
	v_lshlrev_b32_e32 v7, 2, v2
	ds_bpermute_b32 v6, v7, v4
	v_cmp_eq_u32_e32 vcc, 0, v11
	v_lshlrev_b32_e32 v2, 2, v1
	s_and_saveexec_b64 s[0:1], vcc
	s_cbranch_execz .LBB301_70
; %bb.69:
	s_waitcnt lgkmcnt(0)
	v_max_f32_e32 v6, v6, v6
	v_max_f32_e32 v4, v4, v4
	;; [unrolled: 1-line block ×3, first 2 shown]
	ds_write_b32 v2, v4 offset:224
.LBB301_70:
	s_or_b64 exec, exec, s[0:1]
	v_cmp_gt_u32_e64 s[0:1], 2, v11
	v_mov_b32_e32 v8, 0xff7fffff
	v_lshlrev_b32_e32 v4, 2, v11
	s_waitcnt lgkmcnt(0)
	s_barrier
	s_and_saveexec_b64 s[8:9], s[0:1]
	s_cbranch_execz .LBB301_72
; %bb.71:
	ds_read_b32 v8, v4 offset:224
.LBB301_72:
	s_or_b64 exec, exec, s[8:9]
	v_xor_b32_e32 v6, 1, v13
	v_cmp_lt_i32_e64 s[8:9], v6, v14
	v_lshlrev_b32_e32 v15, 2, v13
	s_nop 0
	v_cndmask_b32_e64 v6, v13, v6, s[8:9]
	v_lshlrev_b32_e32 v6, 2, v6
	s_waitcnt lgkmcnt(0)
	ds_bpermute_b32 v9, v6, v8
	v_max_f32_e32 v8, v8, v8
	s_lshl_b32 s8, s23, 3
	s_min_i32 s34, s8, s33
	v_cmp_gt_i32_e64 s[8:9], s34, v0
	s_waitcnt lgkmcnt(0)
	v_max_f32_e32 v9, v9, v9
	v_max_f32_e32 v9, v8, v9
	v_and_b32_e32 v8, 0xffffff00, v15
	ds_bpermute_b32 v15, v8, v9
	v_mov_b32_e32 v9, 0
	s_and_saveexec_b64 s[14:15], s[8:9]
	s_cbranch_execz .LBB301_76
; %bb.73:
	v_mov_b32_e32 v9, 0xf0
	v_lshl_add_u32 v16, v0, 2, v9
	s_mov_b64 s[16:17], 0
	v_mov_b32_e32 v9, 0
	v_mov_b32_e32 v17, v0
.LBB301_74:                             ; =>This Inner Loop Header: Depth=1
	ds_read_b32 v18, v16
	v_add_u32_e32 v17, 0x80, v17
	v_cmp_le_i32_e64 s[10:11], s34, v17
	s_or_b64 s[16:17], s[10:11], s[16:17]
	s_waitcnt lgkmcnt(0)
	v_sub_f32_e32 v18, v18, v15
	v_mul_f32_e32 v18, 0x3fb8aa3b, v18
	v_exp_f32_e32 v18, v18
	ds_write_b32 v16, v18
	v_add_f32_e32 v9, v9, v18
	v_add_u32_e32 v16, 0x200, v16
	s_andn2_b64 exec, exec, s[16:17]
	s_cbranch_execnz .LBB301_74
; %bb.75:
	s_or_b64 exec, exec, s[16:17]
.LBB301_76:
	s_or_b64 exec, exec, s[14:15]
	ds_bpermute_b32 v3, v3, v9
	s_waitcnt lgkmcnt(0)
	v_add_f32_e32 v3, v9, v3
	ds_bpermute_b32 v5, v5, v3
	s_waitcnt lgkmcnt(0)
	v_add_f32_e32 v3, v3, v5
	ds_bpermute_b32 v5, v7, v3
	v_xor_b32_e32 v7, 4, v13
	v_cmp_lt_i32_e64 s[10:11], v7, v14
	s_waitcnt lgkmcnt(0)
	v_add_f32_e32 v3, v3, v5
	v_cndmask_b32_e64 v7, v13, v7, s[10:11]
	v_lshlrev_b32_e32 v7, 2, v7
	ds_bpermute_b32 v5, v7, v3
	v_xor_b32_e32 v7, 2, v13
	v_cmp_lt_i32_e64 s[10:11], v7, v14
	s_waitcnt lgkmcnt(0)
	v_add_f32_e32 v3, v3, v5
	v_cndmask_b32_e64 v7, v13, v7, s[10:11]
	v_lshlrev_b32_e32 v5, 2, v7
	ds_bpermute_b32 v5, v5, v3
	s_waitcnt lgkmcnt(0)
	v_add_f32_e32 v3, v3, v5
	ds_bpermute_b32 v5, v6, v3
	s_waitcnt lgkmcnt(0)
	v_add_f32_e32 v3, v3, v5
	s_and_saveexec_b64 s[10:11], vcc
	s_cbranch_execz .LBB301_78
; %bb.77:
	ds_write_b32 v2, v3 offset:232
.LBB301_78:
	s_or_b64 exec, exec, s[10:11]
	s_waitcnt lgkmcnt(0)
	s_barrier
	s_and_saveexec_b64 s[10:11], s[0:1]
	s_cbranch_execz .LBB301_80
; %bb.79:
	ds_read_b32 v3, v4 offset:232
.LBB301_80:
	s_or_b64 exec, exec, s[10:11]
	s_waitcnt lgkmcnt(0)
	ds_bpermute_b32 v2, v6, v3
	s_waitcnt lgkmcnt(0)
	v_add_f32_e32 v2, v3, v2
	ds_bpermute_b32 v2, v8, v2
	s_and_saveexec_b64 s[0:1], s[8:9]
	s_cbranch_execz .LBB301_93
; %bb.81:
	s_waitcnt lgkmcnt(0)
	v_add_f32_e32 v2, 0x358637bd, v2
	v_div_scale_f32 v3, s[8:9], v2, v2, 1.0
	v_rcp_f32_e32 v4, v3
	v_div_scale_f32 v5, vcc, 1.0, v2, 1.0
	s_movk_i32 s8, 0x7f
	v_fma_f32 v6, -v3, v4, 1.0
	v_fmac_f32_e32 v4, v6, v4
	v_mul_f32_e32 v6, v5, v4
	v_fma_f32 v7, -v3, v6, v5
	v_fmac_f32_e32 v6, v7, v4
	v_fma_f32 v3, -v3, v6, v5
	v_div_fmas_f32 v3, v3, v4, v6
	v_xad_u32 v4, v0, -1, s34
	v_div_fixup_f32 v2, v3, v2, 1.0
	v_cmp_lt_u32_e32 vcc, s8, v4
	s_mov_b64 s[10:11], -1
	v_mov_b32_e32 v3, v0
	s_and_saveexec_b64 s[8:9], vcc
	s_cbranch_execz .LBB301_90
; %bb.82:
	v_lshrrev_b32_e32 v4, 7, v4
	v_add_u32_e32 v6, -1, v4
	v_lshrrev_b32_e32 v5, 1, v6
	v_mov_b32_e32 v3, v2
	v_add_u32_e32 v5, 1, v5
	v_cmp_lt_u32_e32 vcc, 13, v6
	v_mov_b32_e32 v8, 0
	s_and_saveexec_b64 s[10:11], vcc
	s_cbranch_execz .LBB301_86
; %bb.83:
	v_mov_b32_e32 v7, 0xf0
	v_and_b32_e32 v6, -8, v5
	v_lshl_add_u32 v7, v0, 2, v7
	s_mov_b32 s16, 0
	s_mov_b64 s[14:15], 0
.LBB301_84:                             ; =>This Inner Loop Header: Depth=1
	ds_read2st64_b32 v[8:9], v7 offset1:2
	ds_read2st64_b32 v[14:15], v7 offset0:4 offset1:6
	ds_read2st64_b32 v[16:17], v7 offset0:8 offset1:10
	;; [unrolled: 1-line block ×3, first 2 shown]
	v_add_u32_e32 v6, -8, v6
	s_waitcnt lgkmcnt(3)
	v_pk_mul_f32 v[8:9], v[2:3], v[8:9]
	s_waitcnt lgkmcnt(2)
	v_pk_mul_f32 v[14:15], v[2:3], v[14:15]
	ds_write2st64_b32 v7, v8, v9 offset1:2
	ds_write2st64_b32 v7, v14, v15 offset0:4 offset1:6
	ds_read2st64_b32 v[14:15], v7 offset0:16 offset1:18
	s_waitcnt lgkmcnt(4)
	v_pk_mul_f32 v[8:9], v[2:3], v[16:17]
	ds_write2st64_b32 v7, v8, v9 offset0:8 offset1:10
	s_waitcnt lgkmcnt(4)
	v_pk_mul_f32 v[8:9], v[2:3], v[18:19]
	ds_write2st64_b32 v7, v8, v9 offset0:12 offset1:14
	ds_read2st64_b32 v[8:9], v7 offset0:20 offset1:22
	s_waitcnt lgkmcnt(3)
	v_pk_mul_f32 v[14:15], v[2:3], v[14:15]
	ds_read2st64_b32 v[16:17], v7 offset0:24 offset1:26
	ds_write2st64_b32 v7, v14, v15 offset0:16 offset1:18
	ds_read2st64_b32 v[14:15], v7 offset0:28 offset1:30
	s_waitcnt lgkmcnt(3)
	v_pk_mul_f32 v[8:9], v[2:3], v[8:9]
	ds_write2st64_b32 v7, v8, v9 offset0:20 offset1:22
	s_waitcnt lgkmcnt(3)
	v_pk_mul_f32 v[8:9], v[2:3], v[16:17]
	ds_write2st64_b32 v7, v8, v9 offset0:24 offset1:26
	s_waitcnt lgkmcnt(2)
	v_pk_mul_f32 v[8:9], v[2:3], v[14:15]
	s_add_i32 s16, s16, 16
	v_cmp_eq_u32_e32 vcc, 0, v6
	ds_write2st64_b32 v7, v8, v9 offset0:28 offset1:30
	v_add_u32_e32 v7, 0x2000, v7
	s_or_b64 s[14:15], vcc, s[14:15]
	v_mov_b32_e32 v8, s16
	s_andn2_b64 exec, exec, s[14:15]
	s_cbranch_execnz .LBB301_84
; %bb.85:
	s_or_b64 exec, exec, s[14:15]
.LBB301_86:
	s_or_b64 exec, exec, s[10:11]
	v_and_b32_e32 v5, 7, v5
	v_cmp_ne_u32_e32 vcc, 0, v5
	s_and_saveexec_b64 s[10:11], vcc
	s_cbranch_execz .LBB301_89
; %bb.87:
	v_lshlrev_b32_e32 v6, 9, v8
	v_lshlrev_b32_e32 v7, 2, v0
	s_movk_i32 s14, 0xf0
	v_add3_u32 v6, v6, v7, s14
	s_mov_b64 s[14:15], 0
.LBB301_88:                             ; =>This Inner Loop Header: Depth=1
	ds_read2st64_b32 v[8:9], v6 offset1:2
	v_add_u32_e32 v5, -1, v5
	v_cmp_eq_u32_e32 vcc, 0, v5
	s_or_b64 s[14:15], vcc, s[14:15]
	s_waitcnt lgkmcnt(0)
	v_pk_mul_f32 v[8:9], v[2:3], v[8:9]
	ds_write2st64_b32 v6, v8, v9 offset1:2
	v_add_u32_e32 v6, 0x400, v6
	s_andn2_b64 exec, exec, s[14:15]
	s_cbranch_execnz .LBB301_88
.LBB301_89:
	s_or_b64 exec, exec, s[10:11]
	v_add_u32_e32 v4, 1, v4
	v_and_b32_e32 v5, 0x3fffffe, v4
	v_cmp_ne_u32_e32 vcc, v4, v5
	v_lshl_add_u32 v3, v5, 7, v0
	s_orn2_b64 s[10:11], vcc, exec
.LBB301_90:
	s_or_b64 exec, exec, s[8:9]
	s_and_b64 exec, exec, s[10:11]
	s_cbranch_execz .LBB301_93
; %bb.91:
	v_mov_b32_e32 v4, 0xf0
	v_lshl_add_u32 v4, v3, 2, v4
	s_mov_b64 s[8:9], 0
.LBB301_92:                             ; =>This Inner Loop Header: Depth=1
	ds_read_b32 v5, v4
	v_add_u32_e32 v3, 0x80, v3
	v_cmp_le_i32_e32 vcc, s34, v3
	s_or_b64 s[8:9], vcc, s[8:9]
	s_waitcnt lgkmcnt(0)
	v_mul_f32_e32 v5, v2, v5
	ds_write_b32 v4, v5
	v_add_u32_e32 v4, 0x200, v4
	s_andn2_b64 exec, exec, s[8:9]
	s_cbranch_execnz .LBB301_92
.LBB301_93:
	s_or_b64 exec, exec, s[0:1]
	v_mov_b32_e32 v13, 0
	s_waitcnt lgkmcnt(0)
	v_mov_b32_e32 v2, v13
	s_barrier
	s_and_saveexec_b64 s[8:9], s[2:3]
	s_cbranch_execz .LBB301_263
; %bb.94:
	s_ashr_i32 s0, s12, 31
	s_add_u32 s10, s30, s12
	s_addc_u32 s11, s31, s0
	s_load_dword s18, s[18:19], 0x0
	v_or_b32_e32 v2, 64, v11
	s_movk_i32 s0, 0x70
	s_add_i32 s30, s23, -1
	v_cmp_gt_u32_e32 vcc, s0, v2
	s_lshl_b64 s[0:1], s[28:29], 2
	v_mov_b32_e32 v15, 0
	v_lshlrev_b32_e32 v16, 3, v2
	v_mov_b32_e32 v2, 0xf0
	s_add_u32 s0, s26, s0
	v_lshl_add_u32 v21, v1, 5, v2
	v_and_b32_e32 v2, 60, v12
	v_mov_b32_e32 v3, v15
	s_addc_u32 s1, s27, s1
	s_mov_b32 s34, s13
	v_lshlrev_b32_e32 v14, 3, v11
	v_mov_b32_e32 v17, v15
	v_lshl_or_b32 v20, v1, 3, 7
	v_lshl_add_u64 v[18:19], s[0:1], 0, v[2:3]
	s_mov_b64 s[12:13], 0
	s_mov_b32 s19, 0x7f800000
	s_movk_i32 s26, 0x7fff
	v_mov_b32_e32 v12, v15
	v_mov_b32_e32 v13, v15
	s_branch .LBB301_97
.LBB301_95:                             ;   in Loop: Header=BB301_97 Depth=1
	s_or_b64 exec, exec, s[2:3]
	v_and_b32_e32 v25, 0xffff0000, v5
	v_and_b32_e32 v24, 0xffff0000, v9
	;; [unrolled: 1-line block ×6, first 2 shown]
	v_pk_add_f32 v[4:5], v[4:5], v[8:9]
	v_and_b32_e32 v23, 0xffff0000, v23
	v_and_b32_e32 v22, 0xffff0000, v22
	v_mov_b32_e32 v6, v5
	v_pk_add_f32 v[4:5], v[4:5], v[6:7]
	v_pk_add_f32 v[6:7], v[24:25], v[22:23]
	s_nop 0
	v_pk_add_f32 v[4:5], v[4:5], v[6:7]
	v_mov_b32_e32 v6, v7
	v_pk_add_f32 v[4:5], v[4:5], v[6:7]
	s_nop 0
	v_mov_b32_e32 v3, v4
	v_pk_add_f32 v[12:13], v[12:13], v[2:3]
.LBB301_96:                             ;   in Loop: Header=BB301_97 Depth=1
	s_or_b64 exec, exec, s[14:15]
	v_add_u32_e32 v1, 2, v1
	v_cmp_le_i32_e64 s[0:1], s23, v1
	v_add_u32_e32 v20, 16, v20
	v_add_u32_e32 v21, 64, v21
	v_lshl_add_u64 v[18:19], v[18:19], 0, 8
	s_or_b64 s[12:13], s[0:1], s[12:13]
	v_mov_b32_e32 v12, v2
	s_andn2_b64 exec, exec, s[12:13]
	s_cbranch_execz .LBB301_262
.LBB301_97:                             ; =>This Inner Loop Header: Depth=1
	global_load_dword v30, v[18:19], off
	ds_read2_b64 v[6:9], v21 offset1:1
	ds_read2_b64 v[2:5], v21 offset0:2 offset1:3
                                        ; implicit-def: $vgpr29
	s_waitcnt lgkmcnt(0)
	v_and_b32_e32 v22, 0x7f800000, v6
	v_cmp_ne_u32_e64 s[0:1], s19, v22
	s_and_saveexec_b64 s[2:3], s[0:1]
	s_xor_b64 s[0:1], exec, s[2:3]
; %bb.98:                               ;   in Loop: Header=BB301_97 Depth=1
	v_bfe_u32 v22, v6, 16, 1
	v_add3_u32 v29, v6, v22, s26
; %bb.99:                               ;   in Loop: Header=BB301_97 Depth=1
	s_andn2_saveexec_b64 s[2:3], s[0:1]
; %bb.100:                              ;   in Loop: Header=BB301_97 Depth=1
	v_or_b32_e32 v22, 0x10000, v6
	v_cmp_eq_u32_sdwa s[0:1], v6, v15 src0_sel:WORD_0 src1_sel:DWORD
	s_nop 1
	v_cndmask_b32_e64 v29, v22, v6, s[0:1]
; %bb.101:                              ;   in Loop: Header=BB301_97 Depth=1
	s_or_b64 exec, exec, s[2:3]
	v_and_b32_e32 v6, 0x7f800000, v7
	v_cmp_ne_u32_e64 s[0:1], s19, v6
                                        ; implicit-def: $vgpr28
	s_and_saveexec_b64 s[2:3], s[0:1]
	s_xor_b64 s[0:1], exec, s[2:3]
; %bb.102:                              ;   in Loop: Header=BB301_97 Depth=1
	v_bfe_u32 v6, v7, 16, 1
	v_add3_u32 v28, v7, v6, s26
; %bb.103:                              ;   in Loop: Header=BB301_97 Depth=1
	s_andn2_saveexec_b64 s[2:3], s[0:1]
; %bb.104:                              ;   in Loop: Header=BB301_97 Depth=1
	v_or_b32_e32 v6, 0x10000, v7
	v_cmp_eq_u32_sdwa s[0:1], v7, v15 src0_sel:WORD_0 src1_sel:DWORD
	s_nop 1
	v_cndmask_b32_e64 v28, v6, v7, s[0:1]
; %bb.105:                              ;   in Loop: Header=BB301_97 Depth=1
	s_or_b64 exec, exec, s[2:3]
	v_and_b32_e32 v6, 0x7f800000, v8
	v_cmp_ne_u32_e64 s[0:1], s19, v6
                                        ; implicit-def: $vgpr27
	s_and_saveexec_b64 s[2:3], s[0:1]
	s_xor_b64 s[0:1], exec, s[2:3]
; %bb.106:                              ;   in Loop: Header=BB301_97 Depth=1
	v_bfe_u32 v6, v8, 16, 1
	v_add3_u32 v27, v8, v6, s26
; %bb.107:                              ;   in Loop: Header=BB301_97 Depth=1
	s_andn2_saveexec_b64 s[2:3], s[0:1]
; %bb.108:                              ;   in Loop: Header=BB301_97 Depth=1
	v_or_b32_e32 v6, 0x10000, v8
	v_cmp_eq_u32_sdwa s[0:1], v8, v15 src0_sel:WORD_0 src1_sel:DWORD
	s_nop 1
	v_cndmask_b32_e64 v27, v6, v8, s[0:1]
; %bb.109:                              ;   in Loop: Header=BB301_97 Depth=1
	s_or_b64 exec, exec, s[2:3]
	v_and_b32_e32 v6, 0x7f800000, v9
	v_cmp_ne_u32_e64 s[0:1], s19, v6
                                        ; implicit-def: $vgpr22
	s_and_saveexec_b64 s[2:3], s[0:1]
	s_xor_b64 s[0:1], exec, s[2:3]
; %bb.110:                              ;   in Loop: Header=BB301_97 Depth=1
	v_bfe_u32 v6, v9, 16, 1
	v_add3_u32 v22, v9, v6, s26
                                        ; implicit-def: $vgpr6_vgpr7_vgpr8_vgpr9
; %bb.111:                              ;   in Loop: Header=BB301_97 Depth=1
	s_andn2_saveexec_b64 s[2:3], s[0:1]
; %bb.112:                              ;   in Loop: Header=BB301_97 Depth=1
	v_or_b32_e32 v6, 0x10000, v9
	v_cmp_eq_u32_sdwa s[0:1], v9, v15 src0_sel:WORD_0 src1_sel:DWORD
	s_nop 1
	v_cndmask_b32_e64 v22, v6, v9, s[0:1]
; %bb.113:                              ;   in Loop: Header=BB301_97 Depth=1
	s_or_b64 exec, exec, s[2:3]
	v_and_b32_e32 v6, 0x7f800000, v2
	v_cmp_ne_u32_e64 s[0:1], s19, v6
                                        ; implicit-def: $vgpr23
	s_and_saveexec_b64 s[2:3], s[0:1]
	s_xor_b64 s[0:1], exec, s[2:3]
; %bb.114:                              ;   in Loop: Header=BB301_97 Depth=1
	v_bfe_u32 v6, v2, 16, 1
	v_add3_u32 v23, v2, v6, s26
; %bb.115:                              ;   in Loop: Header=BB301_97 Depth=1
	s_andn2_saveexec_b64 s[2:3], s[0:1]
; %bb.116:                              ;   in Loop: Header=BB301_97 Depth=1
	v_or_b32_e32 v6, 0x10000, v2
	v_cmp_eq_u32_sdwa s[0:1], v2, v15 src0_sel:WORD_0 src1_sel:DWORD
	s_nop 1
	v_cndmask_b32_e64 v23, v6, v2, s[0:1]
; %bb.117:                              ;   in Loop: Header=BB301_97 Depth=1
	s_or_b64 exec, exec, s[2:3]
	v_and_b32_e32 v2, 0x7f800000, v3
	v_cmp_ne_u32_e64 s[0:1], s19, v2
                                        ; implicit-def: $vgpr24
	s_and_saveexec_b64 s[2:3], s[0:1]
	s_xor_b64 s[0:1], exec, s[2:3]
; %bb.118:                              ;   in Loop: Header=BB301_97 Depth=1
	v_bfe_u32 v2, v3, 16, 1
	v_add3_u32 v24, v3, v2, s26
; %bb.119:                              ;   in Loop: Header=BB301_97 Depth=1
	s_andn2_saveexec_b64 s[2:3], s[0:1]
; %bb.120:                              ;   in Loop: Header=BB301_97 Depth=1
	v_or_b32_e32 v2, 0x10000, v3
	v_cmp_eq_u32_sdwa s[0:1], v3, v15 src0_sel:WORD_0 src1_sel:DWORD
	s_nop 1
	v_cndmask_b32_e64 v24, v2, v3, s[0:1]
; %bb.121:                              ;   in Loop: Header=BB301_97 Depth=1
	s_or_b64 exec, exec, s[2:3]
	v_and_b32_e32 v2, 0x7f800000, v4
	v_cmp_ne_u32_e64 s[0:1], s19, v2
                                        ; implicit-def: $vgpr25
	s_and_saveexec_b64 s[2:3], s[0:1]
	s_xor_b64 s[0:1], exec, s[2:3]
; %bb.122:                              ;   in Loop: Header=BB301_97 Depth=1
	v_bfe_u32 v2, v4, 16, 1
	v_add3_u32 v25, v4, v2, s26
; %bb.123:                              ;   in Loop: Header=BB301_97 Depth=1
	s_andn2_saveexec_b64 s[2:3], s[0:1]
; %bb.124:                              ;   in Loop: Header=BB301_97 Depth=1
	v_or_b32_e32 v2, 0x10000, v4
	v_cmp_eq_u32_sdwa s[0:1], v4, v15 src0_sel:WORD_0 src1_sel:DWORD
	s_nop 1
	v_cndmask_b32_e64 v25, v2, v4, s[0:1]
; %bb.125:                              ;   in Loop: Header=BB301_97 Depth=1
	s_or_b64 exec, exec, s[2:3]
	v_and_b32_e32 v2, 0x7f800000, v5
	v_cmp_ne_u32_e64 s[0:1], s19, v2
                                        ; implicit-def: $vgpr26
	s_and_saveexec_b64 s[2:3], s[0:1]
	s_xor_b64 s[0:1], exec, s[2:3]
; %bb.126:                              ;   in Loop: Header=BB301_97 Depth=1
	v_bfe_u32 v2, v5, 16, 1
	v_add3_u32 v26, v5, v2, s26
                                        ; implicit-def: $vgpr2_vgpr3_vgpr4_vgpr5
; %bb.127:                              ;   in Loop: Header=BB301_97 Depth=1
	s_andn2_saveexec_b64 s[2:3], s[0:1]
; %bb.128:                              ;   in Loop: Header=BB301_97 Depth=1
	v_or_b32_e32 v2, 0x10000, v5
	v_cmp_eq_u32_sdwa s[0:1], v5, v15 src0_sel:WORD_0 src1_sel:DWORD
	s_nop 1
	v_cndmask_b32_e64 v26, v2, v5, s[0:1]
; %bb.129:                              ;   in Loop: Header=BB301_97 Depth=1
	s_or_b64 exec, exec, s[2:3]
	v_mov_b64_e32 v[2:3], s[10:11]
	s_waitcnt vmcnt(0)
	v_mad_i64_i32 v[4:5], s[0:1], v30, s34, v[2:3]
	v_lshl_add_u64 v[2:3], v[4:5], 0, v[14:15]
	global_load_dwordx2 v[2:3], v[2:3], off
	s_waitcnt vmcnt(0)
	v_and_b32_e32 v6, 0xff, v2
	v_cvt_f32_fp8_sdwa v6, v6 src0_sel:BYTE_0
	s_nop 0
	v_mul_f32_e32 v6, s18, v6
	v_and_b32_e32 v7, 0x7f800000, v6
	v_cmp_ne_u32_e64 s[0:1], s19, v7
                                        ; implicit-def: $vgpr7
	s_and_saveexec_b64 s[2:3], s[0:1]
	s_xor_b64 s[0:1], exec, s[2:3]
; %bb.130:                              ;   in Loop: Header=BB301_97 Depth=1
	v_bfe_u32 v7, v6, 16, 1
	v_add3_u32 v7, v6, v7, s26
                                        ; implicit-def: $vgpr6
; %bb.131:                              ;   in Loop: Header=BB301_97 Depth=1
	s_andn2_saveexec_b64 s[2:3], s[0:1]
; %bb.132:                              ;   in Loop: Header=BB301_97 Depth=1
	v_or_b32_e32 v7, 0x10000, v6
	v_cmp_eq_u32_sdwa s[0:1], v6, v15 src0_sel:WORD_0 src1_sel:DWORD
	s_nop 1
	v_cndmask_b32_e64 v7, v7, v6, s[0:1]
; %bb.133:                              ;   in Loop: Header=BB301_97 Depth=1
	s_or_b64 exec, exec, s[2:3]
	v_bfe_u32 v6, v2, 8, 8
	v_cvt_f32_fp8_sdwa v6, v6 src0_sel:BYTE_0
	s_nop 0
	v_mul_f32_e32 v6, s18, v6
	v_and_b32_e32 v8, 0x7f800000, v6
	v_cmp_ne_u32_e64 s[0:1], s19, v8
                                        ; implicit-def: $vgpr8
	s_and_saveexec_b64 s[2:3], s[0:1]
	s_xor_b64 s[0:1], exec, s[2:3]
; %bb.134:                              ;   in Loop: Header=BB301_97 Depth=1
	v_bfe_u32 v8, v6, 16, 1
	v_add3_u32 v8, v6, v8, s26
                                        ; implicit-def: $vgpr6
; %bb.135:                              ;   in Loop: Header=BB301_97 Depth=1
	s_andn2_saveexec_b64 s[2:3], s[0:1]
; %bb.136:                              ;   in Loop: Header=BB301_97 Depth=1
	v_or_b32_e32 v8, 0x10000, v6
	v_cmp_eq_u32_sdwa s[0:1], v6, v15 src0_sel:WORD_0 src1_sel:DWORD
	s_nop 1
	v_cndmask_b32_e64 v8, v8, v6, s[0:1]
; %bb.137:                              ;   in Loop: Header=BB301_97 Depth=1
	s_or_b64 exec, exec, s[2:3]
	v_bfe_u32 v6, v2, 16, 8
	v_cvt_f32_fp8_sdwa v6, v6 src0_sel:BYTE_0
	s_nop 0
	v_mul_f32_e32 v6, s18, v6
	v_and_b32_e32 v9, 0x7f800000, v6
	v_cmp_ne_u32_e64 s[0:1], s19, v9
                                        ; implicit-def: $vgpr9
	s_and_saveexec_b64 s[2:3], s[0:1]
	s_xor_b64 s[0:1], exec, s[2:3]
; %bb.138:                              ;   in Loop: Header=BB301_97 Depth=1
	v_bfe_u32 v9, v6, 16, 1
	v_add3_u32 v9, v6, v9, s26
                                        ; implicit-def: $vgpr6
; %bb.139:                              ;   in Loop: Header=BB301_97 Depth=1
	s_andn2_saveexec_b64 s[2:3], s[0:1]
; %bb.140:                              ;   in Loop: Header=BB301_97 Depth=1
	v_or_b32_e32 v9, 0x10000, v6
	v_cmp_eq_u32_sdwa s[0:1], v6, v15 src0_sel:WORD_0 src1_sel:DWORD
	s_nop 1
	v_cndmask_b32_e64 v9, v9, v6, s[0:1]
; %bb.141:                              ;   in Loop: Header=BB301_97 Depth=1
	s_or_b64 exec, exec, s[2:3]
	v_lshrrev_b32_e32 v2, 24, v2
	v_cvt_f32_fp8_sdwa v2, v2 src0_sel:BYTE_0
	s_nop 0
	v_mul_f32_e32 v6, s18, v2
	v_and_b32_e32 v2, 0x7f800000, v6
	v_cmp_ne_u32_e64 s[0:1], s19, v2
                                        ; implicit-def: $vgpr2
	s_and_saveexec_b64 s[2:3], s[0:1]
	s_xor_b64 s[0:1], exec, s[2:3]
; %bb.142:                              ;   in Loop: Header=BB301_97 Depth=1
	v_bfe_u32 v2, v6, 16, 1
	v_add3_u32 v2, v6, v2, s26
                                        ; implicit-def: $vgpr6
; %bb.143:                              ;   in Loop: Header=BB301_97 Depth=1
	s_andn2_saveexec_b64 s[2:3], s[0:1]
; %bb.144:                              ;   in Loop: Header=BB301_97 Depth=1
	v_or_b32_e32 v2, 0x10000, v6
	v_cmp_eq_u32_sdwa s[0:1], v6, v15 src0_sel:WORD_0 src1_sel:DWORD
	s_nop 1
	v_cndmask_b32_e64 v2, v2, v6, s[0:1]
; %bb.145:                              ;   in Loop: Header=BB301_97 Depth=1
	s_or_b64 exec, exec, s[2:3]
	v_and_b32_e32 v6, 0xff, v3
	v_cvt_f32_fp8_sdwa v6, v6 src0_sel:BYTE_0
	s_nop 0
	v_mul_f32_e32 v6, s18, v6
	v_and_b32_e32 v30, 0x7f800000, v6
	v_cmp_ne_u32_e64 s[0:1], s19, v30
                                        ; implicit-def: $vgpr30
	s_and_saveexec_b64 s[2:3], s[0:1]
	s_xor_b64 s[0:1], exec, s[2:3]
; %bb.146:                              ;   in Loop: Header=BB301_97 Depth=1
	v_bfe_u32 v30, v6, 16, 1
	v_add3_u32 v30, v6, v30, s26
                                        ; implicit-def: $vgpr6
; %bb.147:                              ;   in Loop: Header=BB301_97 Depth=1
	s_andn2_saveexec_b64 s[2:3], s[0:1]
; %bb.148:                              ;   in Loop: Header=BB301_97 Depth=1
	v_or_b32_e32 v30, 0x10000, v6
	v_cmp_eq_u32_sdwa s[0:1], v6, v15 src0_sel:WORD_0 src1_sel:DWORD
	s_nop 1
	v_cndmask_b32_e64 v30, v30, v6, s[0:1]
; %bb.149:                              ;   in Loop: Header=BB301_97 Depth=1
	s_or_b64 exec, exec, s[2:3]
	v_bfe_u32 v6, v3, 8, 8
	v_cvt_f32_fp8_sdwa v6, v6 src0_sel:BYTE_0
	s_nop 0
	v_mul_f32_e32 v6, s18, v6
	v_and_b32_e32 v31, 0x7f800000, v6
	v_cmp_ne_u32_e64 s[0:1], s19, v31
                                        ; implicit-def: $vgpr31
	s_and_saveexec_b64 s[2:3], s[0:1]
	s_xor_b64 s[0:1], exec, s[2:3]
; %bb.150:                              ;   in Loop: Header=BB301_97 Depth=1
	v_bfe_u32 v31, v6, 16, 1
	v_add3_u32 v31, v6, v31, s26
                                        ; implicit-def: $vgpr6
; %bb.151:                              ;   in Loop: Header=BB301_97 Depth=1
	s_andn2_saveexec_b64 s[2:3], s[0:1]
; %bb.152:                              ;   in Loop: Header=BB301_97 Depth=1
	v_or_b32_e32 v31, 0x10000, v6
	v_cmp_eq_u32_sdwa s[0:1], v6, v15 src0_sel:WORD_0 src1_sel:DWORD
	s_nop 1
	v_cndmask_b32_e64 v31, v31, v6, s[0:1]
; %bb.153:                              ;   in Loop: Header=BB301_97 Depth=1
	s_or_b64 exec, exec, s[2:3]
	v_bfe_u32 v6, v3, 16, 8
	v_cvt_f32_fp8_sdwa v6, v6 src0_sel:BYTE_0
                                        ; implicit-def: $vgpr35
	s_nop 0
	v_mul_f32_e32 v6, s18, v6
	v_and_b32_e32 v32, 0x7f800000, v6
	v_cmp_ne_u32_e64 s[0:1], s19, v32
	s_and_saveexec_b64 s[2:3], s[0:1]
	s_xor_b64 s[0:1], exec, s[2:3]
; %bb.154:                              ;   in Loop: Header=BB301_97 Depth=1
	v_bfe_u32 v32, v6, 16, 1
	v_add3_u32 v35, v6, v32, s26
                                        ; implicit-def: $vgpr6
; %bb.155:                              ;   in Loop: Header=BB301_97 Depth=1
	s_andn2_saveexec_b64 s[2:3], s[0:1]
; %bb.156:                              ;   in Loop: Header=BB301_97 Depth=1
	v_or_b32_e32 v32, 0x10000, v6
	v_cmp_eq_u32_sdwa s[0:1], v6, v15 src0_sel:WORD_0 src1_sel:DWORD
	s_nop 1
	v_cndmask_b32_e64 v35, v32, v6, s[0:1]
; %bb.157:                              ;   in Loop: Header=BB301_97 Depth=1
	s_or_b64 exec, exec, s[2:3]
	v_lshrrev_b32_e32 v3, 24, v3
	v_cvt_f32_fp8_sdwa v3, v3 src0_sel:BYTE_0
                                        ; implicit-def: $vgpr36
	s_nop 0
	v_mul_f32_e32 v3, s18, v3
	v_and_b32_e32 v6, 0x7f800000, v3
	v_cmp_ne_u32_e64 s[0:1], s19, v6
	s_and_saveexec_b64 s[2:3], s[0:1]
	s_xor_b64 s[0:1], exec, s[2:3]
; %bb.158:                              ;   in Loop: Header=BB301_97 Depth=1
	v_bfe_u32 v6, v3, 16, 1
	v_add3_u32 v36, v3, v6, s26
                                        ; implicit-def: $vgpr3
; %bb.159:                              ;   in Loop: Header=BB301_97 Depth=1
	s_andn2_saveexec_b64 s[2:3], s[0:1]
; %bb.160:                              ;   in Loop: Header=BB301_97 Depth=1
	v_or_b32_e32 v6, 0x10000, v3
	v_cmp_eq_u32_sdwa s[0:1], v3, v15 src0_sel:WORD_0 src1_sel:DWORD
	s_nop 1
	v_cndmask_b32_e64 v36, v6, v3, s[0:1]
; %bb.161:                              ;   in Loop: Header=BB301_97 Depth=1
	s_or_b64 exec, exec, s[2:3]
	v_cmp_eq_u32_e64 s[2:3], s30, v1
	v_add_u32_e32 v6, -7, v20
	v_lshrrev_b32_e32 v31, 16, v31
	v_lshrrev_b32_e32 v32, 16, v30
	;; [unrolled: 1-line block ×8, first 2 shown]
	s_and_saveexec_b64 s[14:15], s[2:3]
	s_cbranch_execz .LBB301_163
; %bb.162:                              ;   in Loop: Header=BB301_97 Depth=1
	v_cmp_gt_i32_e64 s[0:1], s33, v6
	v_add_u32_e32 v7, -6, v20
	s_nop 0
	v_cndmask_b32_e64 v3, 0, v3, s[0:1]
	v_cmp_gt_i32_e64 s[0:1], s33, v7
	v_add_u32_e32 v7, -5, v20
	s_nop 0
	v_cndmask_b32_e64 v9, 0, v9, s[0:1]
	;; [unrolled: 4-line block ×6, first 2 shown]
	v_cmp_gt_i32_e64 s[0:1], s33, v7
	s_nop 1
	v_cndmask_b32_e64 v30, 0, v30, s[0:1]
	v_cmp_gt_i32_e64 s[0:1], s33, v20
	s_nop 1
	v_cndmask_b32_e64 v2, 0, v2, s[0:1]
.LBB301_163:                            ;   in Loop: Header=BB301_97 Depth=1
	s_or_b64 exec, exec, s[14:15]
	v_and_b32_e32 v7, 0xffff0000, v29
	v_lshlrev_b32_e32 v3, 16, v3
	v_mul_f32_e32 v8, v7, v3
	v_and_b32_e32 v3, 0x7f800000, v8
	v_cmp_ne_u32_e64 s[0:1], s19, v3
                                        ; implicit-def: $vgpr3
	s_and_saveexec_b64 s[14:15], s[0:1]
	s_xor_b64 s[0:1], exec, s[14:15]
; %bb.164:                              ;   in Loop: Header=BB301_97 Depth=1
	v_bfe_u32 v3, v8, 16, 1
	v_add3_u32 v3, v8, v3, s26
                                        ; implicit-def: $vgpr8
; %bb.165:                              ;   in Loop: Header=BB301_97 Depth=1
	s_andn2_saveexec_b64 s[14:15], s[0:1]
; %bb.166:                              ;   in Loop: Header=BB301_97 Depth=1
	v_or_b32_e32 v3, 0x10000, v8
	v_cmp_eq_u32_sdwa s[0:1], v8, v15 src0_sel:WORD_0 src1_sel:DWORD
	s_nop 1
	v_cndmask_b32_e64 v3, v3, v8, s[0:1]
; %bb.167:                              ;   in Loop: Header=BB301_97 Depth=1
	s_or_b64 exec, exec, s[14:15]
	v_and_b32_e32 v8, 0xffff0000, v28
	v_lshlrev_b32_e32 v9, 16, v9
	v_mul_f32_e32 v9, v8, v9
	v_and_b32_e32 v28, 0x7f800000, v9
	v_cmp_ne_u32_e64 s[0:1], s19, v28
                                        ; implicit-def: $vgpr28
	s_and_saveexec_b64 s[14:15], s[0:1]
	s_xor_b64 s[0:1], exec, s[14:15]
; %bb.168:                              ;   in Loop: Header=BB301_97 Depth=1
	v_bfe_u32 v28, v9, 16, 1
	v_add3_u32 v28, v9, v28, s26
                                        ; implicit-def: $vgpr9
; %bb.169:                              ;   in Loop: Header=BB301_97 Depth=1
	s_andn2_saveexec_b64 s[14:15], s[0:1]
; %bb.170:                              ;   in Loop: Header=BB301_97 Depth=1
	v_or_b32_e32 v28, 0x10000, v9
	v_cmp_eq_u32_sdwa s[0:1], v9, v15 src0_sel:WORD_0 src1_sel:DWORD
	s_nop 1
	v_cndmask_b32_e64 v28, v28, v9, s[0:1]
; %bb.171:                              ;   in Loop: Header=BB301_97 Depth=1
	s_or_b64 exec, exec, s[14:15]
	v_and_b32_e32 v9, 0xffff0000, v27
	v_lshlrev_b32_e32 v27, 16, v34
	v_mul_f32_e32 v29, v9, v27
	v_and_b32_e32 v27, 0x7f800000, v29
	v_cmp_ne_u32_e64 s[0:1], s19, v27
                                        ; implicit-def: $vgpr27
	s_and_saveexec_b64 s[14:15], s[0:1]
	s_xor_b64 s[0:1], exec, s[14:15]
; %bb.172:                              ;   in Loop: Header=BB301_97 Depth=1
	v_bfe_u32 v27, v29, 16, 1
	v_add3_u32 v27, v29, v27, s26
                                        ; implicit-def: $vgpr29
; %bb.173:                              ;   in Loop: Header=BB301_97 Depth=1
	s_andn2_saveexec_b64 s[14:15], s[0:1]
; %bb.174:                              ;   in Loop: Header=BB301_97 Depth=1
	v_or_b32_e32 v27, 0x10000, v29
	v_cmp_eq_u32_sdwa s[0:1], v29, v15 src0_sel:WORD_0 src1_sel:DWORD
	s_nop 1
	v_cndmask_b32_e64 v27, v27, v29, s[0:1]
; %bb.175:                              ;   in Loop: Header=BB301_97 Depth=1
	s_or_b64 exec, exec, s[14:15]
	v_and_b32_e32 v22, 0xffff0000, v22
	v_lshlrev_b32_e32 v29, 16, v33
	v_mul_f32_e32 v33, v22, v29
	v_and_b32_e32 v29, 0x7f800000, v33
	v_cmp_ne_u32_e64 s[0:1], s19, v29
                                        ; implicit-def: $vgpr29
	s_and_saveexec_b64 s[14:15], s[0:1]
	s_xor_b64 s[0:1], exec, s[14:15]
; %bb.176:                              ;   in Loop: Header=BB301_97 Depth=1
	v_bfe_u32 v29, v33, 16, 1
	v_add3_u32 v29, v33, v29, s26
                                        ; implicit-def: $vgpr33
; %bb.177:                              ;   in Loop: Header=BB301_97 Depth=1
	s_andn2_saveexec_b64 s[14:15], s[0:1]
; %bb.178:                              ;   in Loop: Header=BB301_97 Depth=1
	v_or_b32_e32 v29, 0x10000, v33
	v_cmp_eq_u32_sdwa s[0:1], v33, v15 src0_sel:WORD_0 src1_sel:DWORD
	s_nop 1
	v_cndmask_b32_e64 v29, v29, v33, s[0:1]
; %bb.179:                              ;   in Loop: Header=BB301_97 Depth=1
	s_or_b64 exec, exec, s[14:15]
	v_and_b32_e32 v23, 0xffff0000, v23
	v_lshlrev_b32_e32 v32, 16, v32
	v_mul_f32_e32 v33, v23, v32
	v_and_b32_e32 v32, 0x7f800000, v33
	v_cmp_ne_u32_e64 s[0:1], s19, v32
                                        ; implicit-def: $vgpr32
	s_and_saveexec_b64 s[14:15], s[0:1]
	s_xor_b64 s[0:1], exec, s[14:15]
; %bb.180:                              ;   in Loop: Header=BB301_97 Depth=1
	v_bfe_u32 v32, v33, 16, 1
	v_add3_u32 v32, v33, v32, s26
                                        ; implicit-def: $vgpr33
; %bb.181:                              ;   in Loop: Header=BB301_97 Depth=1
	s_andn2_saveexec_b64 s[14:15], s[0:1]
; %bb.182:                              ;   in Loop: Header=BB301_97 Depth=1
	v_or_b32_e32 v32, 0x10000, v33
	v_cmp_eq_u32_sdwa s[0:1], v33, v15 src0_sel:WORD_0 src1_sel:DWORD
	s_nop 1
	v_cndmask_b32_e64 v32, v32, v33, s[0:1]
; %bb.183:                              ;   in Loop: Header=BB301_97 Depth=1
	s_or_b64 exec, exec, s[14:15]
	v_and_b32_e32 v24, 0xffff0000, v24
	v_lshlrev_b32_e32 v31, 16, v31
	v_mul_f32_e32 v33, v24, v31
	v_and_b32_e32 v31, 0x7f800000, v33
	v_cmp_ne_u32_e64 s[0:1], s19, v31
                                        ; implicit-def: $vgpr31
	s_and_saveexec_b64 s[14:15], s[0:1]
	s_xor_b64 s[0:1], exec, s[14:15]
; %bb.184:                              ;   in Loop: Header=BB301_97 Depth=1
	v_bfe_u32 v31, v33, 16, 1
	v_add3_u32 v31, v33, v31, s26
                                        ; implicit-def: $vgpr33
; %bb.185:                              ;   in Loop: Header=BB301_97 Depth=1
	s_andn2_saveexec_b64 s[14:15], s[0:1]
; %bb.186:                              ;   in Loop: Header=BB301_97 Depth=1
	v_or_b32_e32 v31, 0x10000, v33
	v_cmp_eq_u32_sdwa s[0:1], v33, v15 src0_sel:WORD_0 src1_sel:DWORD
	s_nop 1
	v_cndmask_b32_e64 v31, v31, v33, s[0:1]
; %bb.187:                              ;   in Loop: Header=BB301_97 Depth=1
	s_or_b64 exec, exec, s[14:15]
	v_and_b32_e32 v25, 0xffff0000, v25
	v_lshlrev_b32_e32 v30, 16, v30
	v_mul_f32_e32 v33, v25, v30
	v_and_b32_e32 v30, 0x7f800000, v33
	v_cmp_ne_u32_e64 s[0:1], s19, v30
                                        ; implicit-def: $vgpr30
	s_and_saveexec_b64 s[14:15], s[0:1]
	s_xor_b64 s[0:1], exec, s[14:15]
; %bb.188:                              ;   in Loop: Header=BB301_97 Depth=1
	v_bfe_u32 v30, v33, 16, 1
	v_add3_u32 v30, v33, v30, s26
                                        ; implicit-def: $vgpr33
; %bb.189:                              ;   in Loop: Header=BB301_97 Depth=1
	s_andn2_saveexec_b64 s[14:15], s[0:1]
; %bb.190:                              ;   in Loop: Header=BB301_97 Depth=1
	v_or_b32_e32 v30, 0x10000, v33
	v_cmp_eq_u32_sdwa s[0:1], v33, v15 src0_sel:WORD_0 src1_sel:DWORD
	s_nop 1
	v_cndmask_b32_e64 v30, v30, v33, s[0:1]
; %bb.191:                              ;   in Loop: Header=BB301_97 Depth=1
	s_or_b64 exec, exec, s[14:15]
	v_and_b32_e32 v26, 0xffff0000, v26
	v_lshlrev_b32_e32 v2, 16, v2
	v_mul_f32_e32 v2, v26, v2
	v_and_b32_e32 v33, 0x7f800000, v2
	v_cmp_ne_u32_e64 s[0:1], s19, v33
                                        ; implicit-def: $vgpr33
	s_and_saveexec_b64 s[14:15], s[0:1]
	s_xor_b64 s[0:1], exec, s[14:15]
; %bb.192:                              ;   in Loop: Header=BB301_97 Depth=1
	v_bfe_u32 v33, v2, 16, 1
	v_add3_u32 v33, v2, v33, s26
                                        ; implicit-def: $vgpr2
; %bb.193:                              ;   in Loop: Header=BB301_97 Depth=1
	s_andn2_saveexec_b64 s[14:15], s[0:1]
; %bb.194:                              ;   in Loop: Header=BB301_97 Depth=1
	v_or_b32_e32 v33, 0x10000, v2
	v_cmp_eq_u32_sdwa s[0:1], v2, v15 src0_sel:WORD_0 src1_sel:DWORD
	s_nop 1
	v_cndmask_b32_e64 v33, v33, v2, s[0:1]
; %bb.195:                              ;   in Loop: Header=BB301_97 Depth=1
	s_or_b64 exec, exec, s[14:15]
	v_and_b32_e32 v35, 0xffff0000, v33
	v_and_b32_e32 v34, 0xffff0000, v31
	;; [unrolled: 1-line block ×8, first 2 shown]
	v_pk_add_f32 v[2:3], v[32:33], v[28:29]
	s_nop 0
	v_mov_b32_e32 v28, v3
	v_pk_add_f32 v[2:3], v[2:3], v[28:29]
	v_pk_add_f32 v[28:29], v[30:31], v[34:35]
	s_nop 0
	v_pk_add_f32 v[2:3], v[2:3], v[28:29]
	v_mov_b32_e32 v28, v29
	v_pk_add_f32 v[2:3], v[2:3], v[28:29]
	s_nop 0
	v_pk_add_f32 v[2:3], v[12:13], v[2:3]
	s_and_saveexec_b64 s[14:15], vcc
	s_cbranch_execz .LBB301_96
; %bb.196:                              ;   in Loop: Header=BB301_97 Depth=1
	v_lshl_add_u64 v[4:5], v[4:5], 0, v[16:17]
	global_load_dwordx2 v[4:5], v[4:5], off
	s_waitcnt vmcnt(0)
	v_and_b32_e32 v3, 0xff, v4
	v_cvt_f32_fp8_sdwa v3, v3 src0_sel:BYTE_0
	s_nop 0
	v_mul_f32_e32 v27, s18, v3
	v_and_b32_e32 v3, 0x7f800000, v27
	v_cmp_ne_u32_e64 s[0:1], s19, v3
                                        ; implicit-def: $vgpr3
	s_and_saveexec_b64 s[16:17], s[0:1]
	s_xor_b64 s[0:1], exec, s[16:17]
; %bb.197:                              ;   in Loop: Header=BB301_97 Depth=1
	v_bfe_u32 v3, v27, 16, 1
	v_add3_u32 v3, v27, v3, s26
                                        ; implicit-def: $vgpr27
; %bb.198:                              ;   in Loop: Header=BB301_97 Depth=1
	s_andn2_saveexec_b64 s[16:17], s[0:1]
; %bb.199:                              ;   in Loop: Header=BB301_97 Depth=1
	v_or_b32_e32 v3, 0x10000, v27
	v_cmp_eq_u32_sdwa s[0:1], v27, v15 src0_sel:WORD_0 src1_sel:DWORD
	s_nop 1
	v_cndmask_b32_e64 v3, v3, v27, s[0:1]
; %bb.200:                              ;   in Loop: Header=BB301_97 Depth=1
	s_or_b64 exec, exec, s[16:17]
	v_bfe_u32 v27, v4, 8, 8
	v_cvt_f32_fp8_sdwa v27, v27 src0_sel:BYTE_0
	s_nop 0
	v_mul_f32_e32 v28, s18, v27
	v_and_b32_e32 v27, 0x7f800000, v28
	v_cmp_ne_u32_e64 s[0:1], s19, v27
                                        ; implicit-def: $vgpr27
	s_and_saveexec_b64 s[16:17], s[0:1]
	s_xor_b64 s[0:1], exec, s[16:17]
; %bb.201:                              ;   in Loop: Header=BB301_97 Depth=1
	v_bfe_u32 v27, v28, 16, 1
	v_add3_u32 v27, v28, v27, s26
                                        ; implicit-def: $vgpr28
; %bb.202:                              ;   in Loop: Header=BB301_97 Depth=1
	s_andn2_saveexec_b64 s[16:17], s[0:1]
; %bb.203:                              ;   in Loop: Header=BB301_97 Depth=1
	v_or_b32_e32 v27, 0x10000, v28
	v_cmp_eq_u32_sdwa s[0:1], v28, v15 src0_sel:WORD_0 src1_sel:DWORD
	s_nop 1
	v_cndmask_b32_e64 v27, v27, v28, s[0:1]
; %bb.204:                              ;   in Loop: Header=BB301_97 Depth=1
	s_or_b64 exec, exec, s[16:17]
	v_bfe_u32 v28, v4, 16, 8
	v_cvt_f32_fp8_sdwa v28, v28 src0_sel:BYTE_0
	s_nop 0
	v_mul_f32_e32 v28, s18, v28
	v_and_b32_e32 v29, 0x7f800000, v28
	v_cmp_ne_u32_e64 s[0:1], s19, v29
                                        ; implicit-def: $vgpr29
	s_and_saveexec_b64 s[16:17], s[0:1]
	s_xor_b64 s[0:1], exec, s[16:17]
; %bb.205:                              ;   in Loop: Header=BB301_97 Depth=1
	v_bfe_u32 v29, v28, 16, 1
	v_add3_u32 v29, v28, v29, s26
                                        ; implicit-def: $vgpr28
; %bb.206:                              ;   in Loop: Header=BB301_97 Depth=1
	s_andn2_saveexec_b64 s[16:17], s[0:1]
; %bb.207:                              ;   in Loop: Header=BB301_97 Depth=1
	v_or_b32_e32 v29, 0x10000, v28
	v_cmp_eq_u32_sdwa s[0:1], v28, v15 src0_sel:WORD_0 src1_sel:DWORD
	s_nop 1
	v_cndmask_b32_e64 v29, v29, v28, s[0:1]
; %bb.208:                              ;   in Loop: Header=BB301_97 Depth=1
	s_or_b64 exec, exec, s[16:17]
	v_lshrrev_b32_e32 v4, 24, v4
	v_cvt_f32_fp8_sdwa v4, v4 src0_sel:BYTE_0
	s_nop 0
	v_mul_f32_e32 v28, s18, v4
	v_and_b32_e32 v4, 0x7f800000, v28
	v_cmp_ne_u32_e64 s[0:1], s19, v4
                                        ; implicit-def: $vgpr4
	s_and_saveexec_b64 s[16:17], s[0:1]
	s_xor_b64 s[0:1], exec, s[16:17]
; %bb.209:                              ;   in Loop: Header=BB301_97 Depth=1
	v_bfe_u32 v4, v28, 16, 1
	v_add3_u32 v4, v28, v4, s26
                                        ; implicit-def: $vgpr28
; %bb.210:                              ;   in Loop: Header=BB301_97 Depth=1
	s_andn2_saveexec_b64 s[16:17], s[0:1]
; %bb.211:                              ;   in Loop: Header=BB301_97 Depth=1
	v_or_b32_e32 v4, 0x10000, v28
	v_cmp_eq_u32_sdwa s[0:1], v28, v15 src0_sel:WORD_0 src1_sel:DWORD
	s_nop 1
	v_cndmask_b32_e64 v4, v4, v28, s[0:1]
; %bb.212:                              ;   in Loop: Header=BB301_97 Depth=1
	s_or_b64 exec, exec, s[16:17]
	v_and_b32_e32 v28, 0xff, v5
	v_cvt_f32_fp8_sdwa v28, v28 src0_sel:BYTE_0
	s_nop 0
	v_mul_f32_e32 v28, s18, v28
	v_and_b32_e32 v30, 0x7f800000, v28
	v_cmp_ne_u32_e64 s[0:1], s19, v30
                                        ; implicit-def: $vgpr30
	s_and_saveexec_b64 s[16:17], s[0:1]
	s_xor_b64 s[0:1], exec, s[16:17]
; %bb.213:                              ;   in Loop: Header=BB301_97 Depth=1
	v_bfe_u32 v30, v28, 16, 1
	v_add3_u32 v30, v28, v30, s26
                                        ; implicit-def: $vgpr28
; %bb.214:                              ;   in Loop: Header=BB301_97 Depth=1
	s_andn2_saveexec_b64 s[16:17], s[0:1]
; %bb.215:                              ;   in Loop: Header=BB301_97 Depth=1
	v_or_b32_e32 v30, 0x10000, v28
	v_cmp_eq_u32_sdwa s[0:1], v28, v15 src0_sel:WORD_0 src1_sel:DWORD
	s_nop 1
	v_cndmask_b32_e64 v30, v30, v28, s[0:1]
; %bb.216:                              ;   in Loop: Header=BB301_97 Depth=1
	s_or_b64 exec, exec, s[16:17]
	v_bfe_u32 v28, v5, 8, 8
	v_cvt_f32_fp8_sdwa v28, v28 src0_sel:BYTE_0
	s_nop 0
	v_mul_f32_e32 v31, s18, v28
	v_and_b32_e32 v28, 0x7f800000, v31
	v_cmp_ne_u32_e64 s[0:1], s19, v28
                                        ; implicit-def: $vgpr28
	s_and_saveexec_b64 s[16:17], s[0:1]
	s_xor_b64 s[0:1], exec, s[16:17]
; %bb.217:                              ;   in Loop: Header=BB301_97 Depth=1
	v_bfe_u32 v28, v31, 16, 1
	v_add3_u32 v28, v31, v28, s26
                                        ; implicit-def: $vgpr31
; %bb.218:                              ;   in Loop: Header=BB301_97 Depth=1
	s_andn2_saveexec_b64 s[16:17], s[0:1]
; %bb.219:                              ;   in Loop: Header=BB301_97 Depth=1
	v_or_b32_e32 v28, 0x10000, v31
	v_cmp_eq_u32_sdwa s[0:1], v31, v15 src0_sel:WORD_0 src1_sel:DWORD
	s_nop 1
	v_cndmask_b32_e64 v28, v28, v31, s[0:1]
; %bb.220:                              ;   in Loop: Header=BB301_97 Depth=1
	s_or_b64 exec, exec, s[16:17]
	v_bfe_u32 v31, v5, 16, 8
	v_cvt_f32_fp8_sdwa v31, v31 src0_sel:BYTE_0
	s_nop 0
	v_mul_f32_e32 v31, s18, v31
	v_and_b32_e32 v32, 0x7f800000, v31
	v_cmp_ne_u32_e64 s[0:1], s19, v32
                                        ; implicit-def: $vgpr32
	s_and_saveexec_b64 s[16:17], s[0:1]
	s_xor_b64 s[0:1], exec, s[16:17]
; %bb.221:                              ;   in Loop: Header=BB301_97 Depth=1
	v_bfe_u32 v32, v31, 16, 1
	v_add3_u32 v32, v31, v32, s26
                                        ; implicit-def: $vgpr31
; %bb.222:                              ;   in Loop: Header=BB301_97 Depth=1
	s_andn2_saveexec_b64 s[16:17], s[0:1]
; %bb.223:                              ;   in Loop: Header=BB301_97 Depth=1
	v_or_b32_e32 v32, 0x10000, v31
	v_cmp_eq_u32_sdwa s[0:1], v31, v15 src0_sel:WORD_0 src1_sel:DWORD
	s_nop 1
	v_cndmask_b32_e64 v32, v32, v31, s[0:1]
; %bb.224:                              ;   in Loop: Header=BB301_97 Depth=1
	s_or_b64 exec, exec, s[16:17]
	v_lshrrev_b32_e32 v5, 24, v5
	v_cvt_f32_fp8_sdwa v5, v5 src0_sel:BYTE_0
                                        ; implicit-def: $vgpr33
	s_nop 0
	v_mul_f32_e32 v5, s18, v5
	v_and_b32_e32 v31, 0x7f800000, v5
	v_cmp_ne_u32_e64 s[0:1], s19, v31
	s_and_saveexec_b64 s[16:17], s[0:1]
	s_xor_b64 s[0:1], exec, s[16:17]
; %bb.225:                              ;   in Loop: Header=BB301_97 Depth=1
	v_bfe_u32 v31, v5, 16, 1
	v_add3_u32 v33, v5, v31, s26
                                        ; implicit-def: $vgpr5
; %bb.226:                              ;   in Loop: Header=BB301_97 Depth=1
	s_andn2_saveexec_b64 s[16:17], s[0:1]
; %bb.227:                              ;   in Loop: Header=BB301_97 Depth=1
	v_or_b32_e32 v31, 0x10000, v5
	v_cmp_eq_u32_sdwa s[0:1], v5, v15 src0_sel:WORD_0 src1_sel:DWORD
	s_nop 1
	v_cndmask_b32_e64 v33, v31, v5, s[0:1]
; %bb.228:                              ;   in Loop: Header=BB301_97 Depth=1
	s_or_b64 exec, exec, s[16:17]
	v_lshrrev_b32_e32 v28, 16, v28
	v_lshrrev_b32_e32 v30, 16, v30
	;; [unrolled: 1-line block ×8, first 2 shown]
	s_and_saveexec_b64 s[16:17], s[2:3]
	s_cbranch_execz .LBB301_230
; %bb.229:                              ;   in Loop: Header=BB301_97 Depth=1
	v_cmp_gt_i32_e64 s[0:1], s33, v6
	v_add_u32_e32 v6, -6, v20
	s_nop 0
	v_cndmask_b32_e64 v4, 0, v4, s[0:1]
	v_cmp_gt_i32_e64 s[0:1], s33, v6
	v_add_u32_e32 v6, -5, v20
	s_nop 0
	v_cndmask_b32_e64 v27, 0, v27, s[0:1]
	;; [unrolled: 4-line block ×6, first 2 shown]
	v_cmp_gt_i32_e64 s[0:1], s33, v6
	s_nop 1
	v_cndmask_b32_e64 v5, 0, v5, s[0:1]
	v_cmp_gt_i32_e64 s[0:1], s33, v20
	s_nop 1
	v_cndmask_b32_e64 v3, 0, v3, s[0:1]
.LBB301_230:                            ;   in Loop: Header=BB301_97 Depth=1
	s_or_b64 exec, exec, s[16:17]
	v_lshlrev_b32_e32 v4, 16, v4
	v_mul_f32_e32 v6, v7, v4
	v_and_b32_e32 v4, 0x7f800000, v6
	v_cmp_ne_u32_e64 s[0:1], s19, v4
                                        ; implicit-def: $vgpr4
	s_and_saveexec_b64 s[2:3], s[0:1]
	s_xor_b64 s[0:1], exec, s[2:3]
; %bb.231:                              ;   in Loop: Header=BB301_97 Depth=1
	v_bfe_u32 v4, v6, 16, 1
	v_add3_u32 v4, v6, v4, s26
                                        ; implicit-def: $vgpr6
; %bb.232:                              ;   in Loop: Header=BB301_97 Depth=1
	s_andn2_saveexec_b64 s[2:3], s[0:1]
; %bb.233:                              ;   in Loop: Header=BB301_97 Depth=1
	v_or_b32_e32 v4, 0x10000, v6
	v_cmp_eq_u32_sdwa s[0:1], v6, v15 src0_sel:WORD_0 src1_sel:DWORD
	s_nop 1
	v_cndmask_b32_e64 v4, v4, v6, s[0:1]
; %bb.234:                              ;   in Loop: Header=BB301_97 Depth=1
	s_or_b64 exec, exec, s[2:3]
	v_lshlrev_b32_e32 v6, 16, v27
	v_mul_f32_e32 v7, v8, v6
	v_and_b32_e32 v6, 0x7f800000, v7
	v_cmp_ne_u32_e64 s[0:1], s19, v6
                                        ; implicit-def: $vgpr6
	s_and_saveexec_b64 s[2:3], s[0:1]
	s_xor_b64 s[0:1], exec, s[2:3]
; %bb.235:                              ;   in Loop: Header=BB301_97 Depth=1
	v_bfe_u32 v6, v7, 16, 1
	v_add3_u32 v6, v7, v6, s26
                                        ; implicit-def: $vgpr7
; %bb.236:                              ;   in Loop: Header=BB301_97 Depth=1
	s_andn2_saveexec_b64 s[2:3], s[0:1]
; %bb.237:                              ;   in Loop: Header=BB301_97 Depth=1
	v_or_b32_e32 v6, 0x10000, v7
	v_cmp_eq_u32_sdwa s[0:1], v7, v15 src0_sel:WORD_0 src1_sel:DWORD
	s_nop 1
	v_cndmask_b32_e64 v6, v6, v7, s[0:1]
; %bb.238:                              ;   in Loop: Header=BB301_97 Depth=1
	s_or_b64 exec, exec, s[2:3]
	v_lshlrev_b32_e32 v7, 16, v29
	v_mul_f32_e32 v8, v9, v7
	v_and_b32_e32 v7, 0x7f800000, v8
	v_cmp_ne_u32_e64 s[0:1], s19, v7
                                        ; implicit-def: $vgpr7
	s_and_saveexec_b64 s[2:3], s[0:1]
	s_xor_b64 s[0:1], exec, s[2:3]
; %bb.239:                              ;   in Loop: Header=BB301_97 Depth=1
	v_bfe_u32 v7, v8, 16, 1
	v_add3_u32 v7, v8, v7, s26
                                        ; implicit-def: $vgpr8
; %bb.240:                              ;   in Loop: Header=BB301_97 Depth=1
	s_andn2_saveexec_b64 s[2:3], s[0:1]
; %bb.241:                              ;   in Loop: Header=BB301_97 Depth=1
	v_or_b32_e32 v7, 0x10000, v8
	v_cmp_eq_u32_sdwa s[0:1], v8, v15 src0_sel:WORD_0 src1_sel:DWORD
	s_nop 1
	v_cndmask_b32_e64 v7, v7, v8, s[0:1]
; %bb.242:                              ;   in Loop: Header=BB301_97 Depth=1
	s_or_b64 exec, exec, s[2:3]
	v_lshlrev_b32_e32 v8, 16, v31
	v_mul_f32_e32 v9, v22, v8
	v_and_b32_e32 v8, 0x7f800000, v9
	v_cmp_ne_u32_e64 s[0:1], s19, v8
                                        ; implicit-def: $vgpr8
	s_and_saveexec_b64 s[2:3], s[0:1]
	s_xor_b64 s[0:1], exec, s[2:3]
; %bb.243:                              ;   in Loop: Header=BB301_97 Depth=1
	v_bfe_u32 v8, v9, 16, 1
	v_add3_u32 v8, v9, v8, s26
                                        ; implicit-def: $vgpr9
; %bb.244:                              ;   in Loop: Header=BB301_97 Depth=1
	s_andn2_saveexec_b64 s[2:3], s[0:1]
; %bb.245:                              ;   in Loop: Header=BB301_97 Depth=1
	v_or_b32_e32 v8, 0x10000, v9
	v_cmp_eq_u32_sdwa s[0:1], v9, v15 src0_sel:WORD_0 src1_sel:DWORD
	s_nop 1
	v_cndmask_b32_e64 v8, v8, v9, s[0:1]
; %bb.246:                              ;   in Loop: Header=BB301_97 Depth=1
	s_or_b64 exec, exec, s[2:3]
	v_lshlrev_b32_e32 v9, 16, v30
	v_mul_f32_e32 v22, v23, v9
	v_and_b32_e32 v9, 0x7f800000, v22
	v_cmp_ne_u32_e64 s[0:1], s19, v9
                                        ; implicit-def: $vgpr9
	s_and_saveexec_b64 s[2:3], s[0:1]
	s_xor_b64 s[0:1], exec, s[2:3]
; %bb.247:                              ;   in Loop: Header=BB301_97 Depth=1
	v_bfe_u32 v9, v22, 16, 1
	v_add3_u32 v9, v22, v9, s26
                                        ; implicit-def: $vgpr22
; %bb.248:                              ;   in Loop: Header=BB301_97 Depth=1
	s_andn2_saveexec_b64 s[2:3], s[0:1]
; %bb.249:                              ;   in Loop: Header=BB301_97 Depth=1
	v_or_b32_e32 v9, 0x10000, v22
	v_cmp_eq_u32_sdwa s[0:1], v22, v15 src0_sel:WORD_0 src1_sel:DWORD
	s_nop 1
	v_cndmask_b32_e64 v9, v9, v22, s[0:1]
; %bb.250:                              ;   in Loop: Header=BB301_97 Depth=1
	s_or_b64 exec, exec, s[2:3]
	v_lshlrev_b32_e32 v22, 16, v28
	v_mul_f32_e32 v23, v24, v22
	v_and_b32_e32 v22, 0x7f800000, v23
	v_cmp_ne_u32_e64 s[0:1], s19, v22
                                        ; implicit-def: $vgpr22
	s_and_saveexec_b64 s[2:3], s[0:1]
	s_xor_b64 s[0:1], exec, s[2:3]
; %bb.251:                              ;   in Loop: Header=BB301_97 Depth=1
	v_bfe_u32 v22, v23, 16, 1
	v_add3_u32 v22, v23, v22, s26
                                        ; implicit-def: $vgpr23
; %bb.252:                              ;   in Loop: Header=BB301_97 Depth=1
	s_andn2_saveexec_b64 s[2:3], s[0:1]
; %bb.253:                              ;   in Loop: Header=BB301_97 Depth=1
	v_or_b32_e32 v22, 0x10000, v23
	v_cmp_eq_u32_sdwa s[0:1], v23, v15 src0_sel:WORD_0 src1_sel:DWORD
	s_nop 1
	v_cndmask_b32_e64 v22, v22, v23, s[0:1]
; %bb.254:                              ;   in Loop: Header=BB301_97 Depth=1
	s_or_b64 exec, exec, s[2:3]
	v_lshlrev_b32_e32 v5, 16, v5
	v_mul_f32_e32 v23, v25, v5
	v_and_b32_e32 v5, 0x7f800000, v23
	v_cmp_ne_u32_e64 s[0:1], s19, v5
                                        ; implicit-def: $vgpr5
	s_and_saveexec_b64 s[2:3], s[0:1]
	s_xor_b64 s[0:1], exec, s[2:3]
; %bb.255:                              ;   in Loop: Header=BB301_97 Depth=1
	v_bfe_u32 v5, v23, 16, 1
	v_add3_u32 v5, v23, v5, s26
                                        ; implicit-def: $vgpr23
; %bb.256:                              ;   in Loop: Header=BB301_97 Depth=1
	s_andn2_saveexec_b64 s[2:3], s[0:1]
; %bb.257:                              ;   in Loop: Header=BB301_97 Depth=1
	v_or_b32_e32 v5, 0x10000, v23
	v_cmp_eq_u32_sdwa s[0:1], v23, v15 src0_sel:WORD_0 src1_sel:DWORD
	s_nop 1
	v_cndmask_b32_e64 v5, v5, v23, s[0:1]
; %bb.258:                              ;   in Loop: Header=BB301_97 Depth=1
	s_or_b64 exec, exec, s[2:3]
	v_lshlrev_b32_e32 v3, 16, v3
	v_mul_f32_e32 v3, v26, v3
	v_and_b32_e32 v23, 0x7f800000, v3
	v_cmp_ne_u32_e64 s[0:1], s19, v23
                                        ; implicit-def: $vgpr23
	s_and_saveexec_b64 s[2:3], s[0:1]
	s_xor_b64 s[0:1], exec, s[2:3]
; %bb.259:                              ;   in Loop: Header=BB301_97 Depth=1
	v_bfe_u32 v23, v3, 16, 1
	v_add3_u32 v23, v3, v23, s26
                                        ; implicit-def: $vgpr3
; %bb.260:                              ;   in Loop: Header=BB301_97 Depth=1
	s_andn2_saveexec_b64 s[2:3], s[0:1]
	s_cbranch_execz .LBB301_95
; %bb.261:                              ;   in Loop: Header=BB301_97 Depth=1
	v_or_b32_e32 v23, 0x10000, v3
	v_cmp_eq_u32_sdwa s[0:1], v3, v15 src0_sel:WORD_0 src1_sel:DWORD
	s_nop 1
	v_cndmask_b32_e64 v23, v23, v3, s[0:1]
	s_branch .LBB301_95
.LBB301_262:
	s_or_b64 exec, exec, s[12:13]
.LBB301_263:
	s_or_b64 exec, exec, s[8:9]
	v_and_b32_e32 v1, 0x3c0, v0
	v_cmp_eq_u32_e32 vcc, 64, v1
	s_barrier
	s_and_saveexec_b64 s[0:1], vcc
	s_cbranch_execz .LBB301_266
; %bb.264:
	v_mov_b32_e32 v1, 0xf0
	v_lshl_add_u32 v3, v11, 2, v1
	ds_write_b32 v3, v2
	s_and_b64 exec, exec, s[6:7]
	s_cbranch_execz .LBB301_266
; %bb.265:
	v_lshl_add_u32 v1, v0, 2, v1
	ds_write_b32 v1, v13
.LBB301_266:
	s_or_b64 exec, exec, s[0:1]
	v_cmp_gt_u32_e32 vcc, 64, v0
	v_or_b32_e32 v1, 64, v0
	s_waitcnt lgkmcnt(0)
	s_barrier
	s_and_saveexec_b64 s[2:3], vcc
	s_cbranch_execz .LBB301_270
; %bb.267:
	v_mov_b32_e32 v3, 0xf0
	v_lshl_add_u32 v3, v0, 2, v3
	ds_read_b32 v0, v3
	s_movk_i32 s0, 0x70
	v_cmp_gt_u32_e64 s[0:1], s0, v1
	s_and_saveexec_b64 s[6:7], s[0:1]
	s_cbranch_execz .LBB301_269
; %bb.268:
	ds_read_b32 v3, v3 offset:256
	s_waitcnt lgkmcnt(0)
	v_add_f32_e32 v13, v13, v3
.LBB301_269:
	s_or_b64 exec, exec, s[6:7]
	s_waitcnt lgkmcnt(0)
	v_add_f32_e32 v2, v2, v0
.LBB301_270:
	s_or_b64 exec, exec, s[2:3]
	s_barrier
	s_and_saveexec_b64 s[0:1], vcc
	s_cbranch_execz .LBB301_281
; %bb.271:
	s_mov_b32 s0, 0x7f800000
	v_and_b32_e32 v0, 0x7f800000, v2
	v_cmp_ne_u32_e32 vcc, s0, v0
                                        ; implicit-def: $vgpr0
	s_and_saveexec_b64 s[0:1], vcc
	s_xor_b64 s[0:1], exec, s[0:1]
; %bb.272:
	v_bfe_u32 v0, v2, 16, 1
	s_movk_i32 s2, 0x7fff
	v_add3_u32 v0, v2, v0, s2
                                        ; implicit-def: $vgpr2
; %bb.273:
	s_andn2_saveexec_b64 s[0:1], s[0:1]
; %bb.274:
	v_mov_b32_e32 v0, 0
	v_or_b32_e32 v3, 0x10000, v2
	v_cmp_eq_u32_sdwa vcc, v2, v0 src0_sel:WORD_0 src1_sel:DWORD
	s_nop 1
	v_cndmask_b32_e32 v0, v3, v2, vcc
; %bb.275:
	s_or_b64 exec, exec, s[0:1]
	s_mul_i32 s0, s20, s21
	s_mul_i32 s0, s0, s5
	s_mulk_i32 s0, 0x70
	s_ashr_i32 s1, s0, 31
	s_lshl_b64 s[0:1], s[0:1], 1
	s_add_u32 s3, s24, s0
	s_mul_i32 s0, s21, s22
	s_addc_u32 s5, s25, s1
	s_ashr_i32 s1, s0, 31
	s_lshl_b64 s[0:1], s[0:1], 1
	s_add_u32 s3, s3, s0
	s_mul_i32 s0, s4, 0x70
	s_addc_u32 s5, s5, s1
	s_ashr_i32 s1, s0, 31
	s_lshl_b64 s[0:1], s[0:1], 1
	s_movk_i32 s2, 0x70
	s_add_u32 s0, s3, s0
	s_addc_u32 s1, s5, s1
	v_cmp_gt_u32_e32 vcc, s2, v1
	global_store_short_d16_hi v10, v0, s[0:1]
	s_and_b64 exec, exec, vcc
	s_cbranch_execz .LBB301_281
; %bb.276:
	s_mov_b32 s2, 0x7f800000
	v_and_b32_e32 v0, 0x7f800000, v13
	v_mov_b32_e32 v11, 0
	v_cmp_ne_u32_e32 vcc, s2, v0
                                        ; implicit-def: $vgpr2
	s_and_saveexec_b64 s[2:3], vcc
	s_xor_b64 s[2:3], exec, s[2:3]
; %bb.277:
	v_bfe_u32 v0, v13, 16, 1
	s_movk_i32 s4, 0x7fff
	v_add3_u32 v2, v13, v0, s4
                                        ; implicit-def: $vgpr13
; %bb.278:
	s_or_saveexec_b64 s[2:3], s[2:3]
	v_lshl_add_u64 v[0:1], s[0:1], 0, v[10:11]
	s_xor_b64 exec, exec, s[2:3]
; %bb.279:
	v_mov_b32_e32 v2, 0
	v_or_b32_e32 v3, 0x10000, v13
	v_cmp_eq_u32_sdwa vcc, v13, v2 src0_sel:WORD_0 src1_sel:DWORD
	s_nop 1
	v_cndmask_b32_e32 v2, v3, v13, vcc
; %bb.280:
	s_or_b64 exec, exec, s[2:3]
	global_store_short_d16_hi v[0:1], v2, off offset:128
.LBB301_281:
	s_endpgm
	.section	.rodata,"a",@progbits
	.p2align	6, 0x0
	.amdhsa_kernel _ZN4vllm25paged_attention_v1_kernelI14__hip_bfloat16hLi112ELi8ELi128ELNS_18Fp8KVCacheDataTypeE1ELb0EEEvPT_PKS3_PKT0_S9_ifPKiSB_iPKfiiiSD_SD_iiiii
		.amdhsa_group_segment_fixed_size 240
		.amdhsa_private_segment_fixed_size 0
		.amdhsa_kernarg_size 384
		.amdhsa_user_sgpr_count 2
		.amdhsa_user_sgpr_dispatch_ptr 0
		.amdhsa_user_sgpr_queue_ptr 0
		.amdhsa_user_sgpr_kernarg_segment_ptr 1
		.amdhsa_user_sgpr_dispatch_id 0
		.amdhsa_user_sgpr_kernarg_preload_length 0
		.amdhsa_user_sgpr_kernarg_preload_offset 0
		.amdhsa_user_sgpr_private_segment_size 0
		.amdhsa_uses_dynamic_stack 0
		.amdhsa_enable_private_segment 0
		.amdhsa_system_sgpr_workgroup_id_x 1
		.amdhsa_system_sgpr_workgroup_id_y 1
		.amdhsa_system_sgpr_workgroup_id_z 1
		.amdhsa_system_sgpr_workgroup_info 0
		.amdhsa_system_vgpr_workitem_id 0
		.amdhsa_next_free_vgpr 49
		.amdhsa_next_free_sgpr 41
		.amdhsa_accum_offset 52
		.amdhsa_reserve_vcc 1
		.amdhsa_float_round_mode_32 0
		.amdhsa_float_round_mode_16_64 0
		.amdhsa_float_denorm_mode_32 3
		.amdhsa_float_denorm_mode_16_64 3
		.amdhsa_dx10_clamp 1
		.amdhsa_ieee_mode 1
		.amdhsa_fp16_overflow 0
		.amdhsa_tg_split 0
		.amdhsa_exception_fp_ieee_invalid_op 0
		.amdhsa_exception_fp_denorm_src 0
		.amdhsa_exception_fp_ieee_div_zero 0
		.amdhsa_exception_fp_ieee_overflow 0
		.amdhsa_exception_fp_ieee_underflow 0
		.amdhsa_exception_fp_ieee_inexact 0
		.amdhsa_exception_int_div_zero 0
	.end_amdhsa_kernel
	.section	.text._ZN4vllm25paged_attention_v1_kernelI14__hip_bfloat16hLi112ELi8ELi128ELNS_18Fp8KVCacheDataTypeE1ELb0EEEvPT_PKS3_PKT0_S9_ifPKiSB_iPKfiiiSD_SD_iiiii,"axG",@progbits,_ZN4vllm25paged_attention_v1_kernelI14__hip_bfloat16hLi112ELi8ELi128ELNS_18Fp8KVCacheDataTypeE1ELb0EEEvPT_PKS3_PKT0_S9_ifPKiSB_iPKfiiiSD_SD_iiiii,comdat
.Lfunc_end301:
	.size	_ZN4vllm25paged_attention_v1_kernelI14__hip_bfloat16hLi112ELi8ELi128ELNS_18Fp8KVCacheDataTypeE1ELb0EEEvPT_PKS3_PKT0_S9_ifPKiSB_iPKfiiiSD_SD_iiiii, .Lfunc_end301-_ZN4vllm25paged_attention_v1_kernelI14__hip_bfloat16hLi112ELi8ELi128ELNS_18Fp8KVCacheDataTypeE1ELb0EEEvPT_PKS3_PKT0_S9_ifPKiSB_iPKfiiiSD_SD_iiiii
                                        ; -- End function
	.section	.AMDGPU.csdata,"",@progbits
; Kernel info:
; codeLenInByte = 9256
; NumSgprs: 47
; NumVgprs: 49
; NumAgprs: 0
; TotalNumVgprs: 49
; ScratchSize: 0
; MemoryBound: 0
; FloatMode: 240
; IeeeMode: 1
; LDSByteSize: 240 bytes/workgroup (compile time only)
; SGPRBlocks: 5
; VGPRBlocks: 6
; NumSGPRsForWavesPerEU: 47
; NumVGPRsForWavesPerEU: 49
; AccumOffset: 52
; Occupancy: 8
; WaveLimiterHint : 1
; COMPUTE_PGM_RSRC2:SCRATCH_EN: 0
; COMPUTE_PGM_RSRC2:USER_SGPR: 2
; COMPUTE_PGM_RSRC2:TRAP_HANDLER: 0
; COMPUTE_PGM_RSRC2:TGID_X_EN: 1
; COMPUTE_PGM_RSRC2:TGID_Y_EN: 1
; COMPUTE_PGM_RSRC2:TGID_Z_EN: 1
; COMPUTE_PGM_RSRC2:TIDIG_COMP_CNT: 0
; COMPUTE_PGM_RSRC3_GFX90A:ACCUM_OFFSET: 12
; COMPUTE_PGM_RSRC3_GFX90A:TG_SPLIT: 0
	.section	.text._ZN4vllm25paged_attention_v1_kernelI14__hip_bfloat16hLi120ELi8ELi128ELNS_18Fp8KVCacheDataTypeE1ELb0EEEvPT_PKS3_PKT0_S9_ifPKiSB_iPKfiiiSD_SD_iiiii,"axG",@progbits,_ZN4vllm25paged_attention_v1_kernelI14__hip_bfloat16hLi120ELi8ELi128ELNS_18Fp8KVCacheDataTypeE1ELb0EEEvPT_PKS3_PKT0_S9_ifPKiSB_iPKfiiiSD_SD_iiiii,comdat
	.protected	_ZN4vllm25paged_attention_v1_kernelI14__hip_bfloat16hLi120ELi8ELi128ELNS_18Fp8KVCacheDataTypeE1ELb0EEEvPT_PKS3_PKT0_S9_ifPKiSB_iPKfiiiSD_SD_iiiii ; -- Begin function _ZN4vllm25paged_attention_v1_kernelI14__hip_bfloat16hLi120ELi8ELi128ELNS_18Fp8KVCacheDataTypeE1ELb0EEEvPT_PKS3_PKT0_S9_ifPKiSB_iPKfiiiSD_SD_iiiii
	.globl	_ZN4vllm25paged_attention_v1_kernelI14__hip_bfloat16hLi120ELi8ELi128ELNS_18Fp8KVCacheDataTypeE1ELb0EEEvPT_PKS3_PKT0_S9_ifPKiSB_iPKfiiiSD_SD_iiiii
	.p2align	8
	.type	_ZN4vllm25paged_attention_v1_kernelI14__hip_bfloat16hLi120ELi8ELi128ELNS_18Fp8KVCacheDataTypeE1ELb0EEEvPT_PKS3_PKT0_S9_ifPKiSB_iPKfiiiSD_SD_iiiii,@function
_ZN4vllm25paged_attention_v1_kernelI14__hip_bfloat16hLi120ELi8ELi128ELNS_18Fp8KVCacheDataTypeE1ELb0EEEvPT_PKS3_PKT0_S9_ifPKiSB_iPKfiiiSD_SD_iiiii: ; @_ZN4vllm25paged_attention_v1_kernelI14__hip_bfloat16hLi120ELi8ELi128ELNS_18Fp8KVCacheDataTypeE1ELb0EEEvPT_PKS3_PKT0_S9_ifPKiSB_iPKfiiiSD_SD_iiiii
; %bb.0:
	s_load_dword s5, s[0:1], 0x80
	s_load_dwordx2 s[6:7], s[0:1], 0x30
	s_load_dwordx2 s[10:11], s[0:1], 0x20
	s_mov_b32 s20, s3
	s_ashr_i32 s21, s3, 31
	s_lshl_b64 s[8:9], s[20:21], 2
	s_waitcnt lgkmcnt(0)
	s_add_u32 s6, s6, s8
	s_addc_u32 s7, s7, s9
	s_abs_i32 s3, s10
	v_cvt_f32_u32_e32 v1, s3
	s_xor_b32 s8, s5, s10
	s_sub_i32 s10, 0, s3
	s_abs_i32 s9, s5
	v_rcp_iflag_f32_e32 v1, v1
	s_ashr_i32 s8, s8, 31
	v_mul_f32_e32 v1, 0x4f7ffffe, v1
	v_cvt_u32_f32_e32 v1, v1
	s_nop 0
	v_readfirstlane_b32 s12, v1
	s_mul_i32 s10, s10, s12
	s_mul_hi_u32 s10, s12, s10
	s_add_i32 s12, s12, s10
	s_mul_hi_u32 s10, s9, s12
	s_mul_i32 s12, s10, s3
	s_sub_i32 s9, s9, s12
	s_add_i32 s12, s10, 1
	s_sub_i32 s13, s9, s3
	s_cmp_ge_u32 s9, s3
	s_cselect_b32 s10, s12, s10
	s_cselect_b32 s9, s13, s9
	s_add_i32 s12, s10, 1
	s_cmp_ge_u32 s9, s3
	s_cselect_b32 s3, s12, s10
	s_xor_b32 s3, s3, s8
	s_sub_i32 s12, s3, s8
	s_abs_i32 s16, s12
	v_cvt_f32_u32_e32 v1, s16
	s_load_dwordx2 s[8:9], s[0:1], 0x40
	s_sub_i32 s3, 0, s16
	s_abs_i32 s17, s2
	v_rcp_iflag_f32_e32 v1, v1
	s_mov_b32 s10, 0
	v_mul_f32_e32 v1, 0x4f7ffffe, v1
	v_cvt_u32_f32_e32 v1, v1
	s_nop 0
	v_readfirstlane_b32 s13, v1
	s_mul_i32 s3, s3, s13
	s_mul_hi_u32 s3, s13, s3
	s_add_i32 s13, s13, s3
	s_waitcnt lgkmcnt(0)
	s_cmp_eq_u64 s[8:9], 0
	s_mul_hi_u32 s18, s17, s13
	s_cbranch_scc1 .LBB302_2
; %bb.1:
	s_ashr_i32 s3, s2, 31
	s_lshl_b64 s[14:15], s[2:3], 2
	s_add_u32 s8, s8, s14
	s_addc_u32 s9, s9, s15
	s_load_dword s10, s[8:9], 0x0
.LBB302_2:
	s_load_dword s33, s[6:7], 0x0
	s_ashr_i32 s9, s12, 31
	s_load_dwordx4 s[12:15], s[0:1], 0x48
	s_movk_i32 s3, 0x78
	s_ashr_i32 s8, s2, 31
	v_and_b32_e32 v2, 7, v0
	s_mul_i32 s22, s2, 0x78
	v_cmp_gt_u32_e64 s[6:7], s3, v0
	v_lshlrev_b32_e32 v10, 1, v0
	s_and_saveexec_b64 s[2:3], s[6:7]
	s_cbranch_execz .LBB302_4
; %bb.3:
	s_load_dwordx2 s[24:25], s[0:1], 0x8
	s_waitcnt lgkmcnt(0)
	s_mul_i32 s26, s20, s12
	s_ashr_i32 s27, s26, 31
	s_lshl_b64 s[26:27], s[26:27], 1
	v_lshrrev_b32_e32 v3, 2, v0
	s_add_u32 s12, s24, s26
	s_addc_u32 s15, s25, s27
	s_ashr_i32 s23, s22, 31
	s_lshl_b64 s[24:25], s[22:23], 1
	s_add_u32 s24, s12, s24
	s_addc_u32 s25, s15, s25
	global_load_ushort v1, v10, s[24:25]
	v_and_b32_e32 v3, 0xfe, v3
	v_mad_u32_u24 v3, v2, 30, v3
	s_waitcnt vmcnt(0)
	ds_write_b16 v3, v1
.LBB302_4:
	s_or_b64 exec, exec, s[2:3]
	s_waitcnt lgkmcnt(0)
	s_add_i32 s3, s33, 7
	s_ashr_i32 s12, s3, 31
	s_lshr_b32 s12, s12, 29
	s_add_i32 s3, s3, s12
	s_ashr_i32 s23, s3, 3
	s_xor_b32 s3, s8, s9
	s_mul_i32 s8, s18, s16
	s_sub_i32 s8, s17, s8
	s_add_i32 s9, s18, 1
	s_sub_i32 s12, s8, s16
	s_load_dwordx2 s[26:27], s[0:1], 0x28
	s_load_dword s2, s[0:1], 0x38
	s_cmp_ge_u32 s8, s16
	s_cselect_b32 s9, s9, s18
	s_cselect_b32 s8, s12, s8
	s_add_i32 s12, s9, 1
	s_cmp_ge_u32 s8, s16
	s_cselect_b32 s8, s12, s9
	v_lshrrev_b32_e32 v1, 6, v0
	s_xor_b32 s8, s8, s3
	s_waitcnt lgkmcnt(0)
	s_mul_i32 s28, s20, s2
	s_sub_i32 s12, s8, s3
	s_ashr_i32 s29, s28, 31
	v_cmp_gt_i32_e64 s[2:3], s23, v1
	v_cmp_le_i32_e32 vcc, s23, v1
	v_mbcnt_lo_u32_b32 v6, -1, 0
	s_barrier
	s_waitcnt lgkmcnt(0)
                                        ; implicit-def: $sgpr15
                                        ; implicit-def: $vgpr13
                                        ; implicit-def: $vgpr14
	s_and_saveexec_b64 s[8:9], vcc
	s_xor_b64 s[8:9], exec, s[8:9]
; %bb.5:
	v_mbcnt_hi_u32_b32 v13, -1, v6
	v_and_b32_e32 v2, 64, v13
	v_add_u32_e32 v14, 64, v2
	s_mov_b32 s15, 0xff7fffff
                                        ; implicit-def: $vgpr2
                                        ; implicit-def: $vgpr6
; %bb.6:
	s_or_saveexec_b64 s[34:35], s[8:9]
	s_load_dwordx2 s[24:25], s[0:1], 0x0
	s_load_dwordx2 s[30:31], s[0:1], 0x18
	s_load_dword s21, s[0:1], 0x88
	s_load_dwordx4 s[16:19], s[0:1], 0x58
	v_mov_b32_e32 v29, s15
	s_mul_i32 s12, s12, s14
	v_lshrrev_b32_e32 v12, 4, v0
	s_xor_b64 exec, exec, s[34:35]
	s_cbranch_execz .LBB302_72
; %bb.7:
	v_mbcnt_hi_u32_b32 v13, -1, v6
	v_and_b32_e32 v6, 64, v13
	v_add_u32_e32 v14, 64, v6
	v_xor_b32_e32 v6, 4, v13
	v_cmp_lt_i32_e32 vcc, v6, v14
	s_load_dwordx2 s[0:1], s[0:1], 0x10
	v_mul_u32_u24_e32 v8, 30, v2
	v_cndmask_b32_e32 v6, v13, v6, vcc
	v_lshlrev_b32_e32 v30, 2, v6
	v_xor_b32_e32 v6, 2, v13
	v_cmp_lt_i32_e32 vcc, v6, v14
	s_ashr_i32 s8, s12, 31
	ds_read_b128 v[18:21], v8
	v_cndmask_b32_e32 v6, v13, v6, vcc
	v_lshlrev_b32_e32 v31, 2, v6
	v_xor_b32_e32 v6, 1, v13
	ds_read_b96 v[26:28], v8 offset:16
	ds_read_u16 v8, v8 offset:28
	v_cmp_lt_i32_e32 vcc, v6, v14
	v_bfe_u32 v7, v0, 3, 3
	s_waitcnt lgkmcnt(0)
	s_add_u32 s0, s0, s12
	v_cndmask_b32_e32 v6, v13, v6, vcc
	s_load_dword s37, s[16:17], 0x0
	s_addc_u32 s1, s1, s8
	v_lshlrev_b32_e32 v32, 2, v6
	s_sub_i32 s38, 1, s33
	v_lshlrev_b32_e32 v6, 2, v7
	s_lshl_b64 s[8:9], s[28:29], 2
	v_mov_b32_e32 v3, 0
	v_lshl_or_b32 v6, v1, 5, v6
	s_add_u32 s8, s26, s8
	v_lshlrev_b32_e32 v4, 4, v7
	v_mov_b32_e32 v5, v3
	v_lshl_or_b32 v33, v1, 3, v7
	v_add_u32_e32 v34, 0x100, v6
	v_and_b32_e32 v6, 60, v12
	v_mov_b32_e32 v7, v3
	s_addc_u32 s9, s27, s9
	s_mov_b32 s36, s13
	v_lshl_add_u64 v[4:5], s[0:1], 0, v[4:5]
	v_lshlrev_b32_e32 v11, 16, v18
	v_and_b32_e32 v15, 0xffff0000, v18
	v_lshlrev_b32_e32 v16, 16, v19
	v_and_b32_e32 v17, 0xffff0000, v19
	;; [unrolled: 2-line block ×7, first 2 shown]
	v_lshlrev_b32_e32 v28, 16, v8
	v_cmp_eq_u32_e32 vcc, 0, v2
	v_cmp_neq_f32_e64 s[0:1], s10, 0
	v_lshl_add_u64 v[6:7], s[8:9], 0, v[6:7]
	s_mov_b64 s[14:15], 0
	v_mov_b32_e32 v29, 0xff7fffff
	s_mov_b32 s39, 0x7f800000
	s_movk_i32 s40, 0x7fff
	v_mov_b32_e32 v35, v1
	s_branch .LBB302_9
.LBB302_8:                              ;   in Loop: Header=BB302_9 Depth=1
	s_or_b64 exec, exec, s[16:17]
	v_add_u32_e32 v35, 2, v35
	v_cmp_le_i32_e64 s[8:9], s23, v35
	v_add_u32_e32 v33, 16, v33
	v_add_u32_e32 v34, 64, v34
	s_or_b64 s[14:15], s[8:9], s[14:15]
	v_lshl_add_u64 v[6:7], v[6:7], 0, 8
	s_andn2_b64 exec, exec, s[14:15]
	s_cbranch_execz .LBB302_71
.LBB302_9:                              ; =>This Inner Loop Header: Depth=1
	global_load_dword v8, v[6:7], off
	s_waitcnt vmcnt(0) lgkmcnt(0)
	v_mad_i64_i32 v[8:9], s[8:9], v8, s36, v[4:5]
	v_lshl_add_u64 v[8:9], v[8:9], 0, v[2:3]
	global_load_ubyte v36, v[8:9], off
	s_waitcnt vmcnt(0)
	v_cvt_f32_fp8_sdwa v36, v36 src0_sel:BYTE_0
	s_waitcnt lgkmcnt(0)
	v_mul_f32_e32 v37, s37, v36
	v_and_b32_e32 v36, 0x7f800000, v37
	v_cmp_ne_u32_e64 s[8:9], s39, v36
                                        ; implicit-def: $vgpr36
	s_and_saveexec_b64 s[16:17], s[8:9]
	s_xor_b64 s[8:9], exec, s[16:17]
; %bb.10:                               ;   in Loop: Header=BB302_9 Depth=1
	v_bfe_u32 v36, v37, 16, 1
	v_add3_u32 v36, v37, v36, s40
                                        ; implicit-def: $vgpr37
; %bb.11:                               ;   in Loop: Header=BB302_9 Depth=1
	s_andn2_saveexec_b64 s[16:17], s[8:9]
; %bb.12:                               ;   in Loop: Header=BB302_9 Depth=1
	v_or_b32_e32 v36, 0x10000, v37
	v_cmp_eq_u32_sdwa s[8:9], v37, v3 src0_sel:WORD_0 src1_sel:DWORD
	s_nop 1
	v_cndmask_b32_e64 v36, v36, v37, s[8:9]
; %bb.13:                               ;   in Loop: Header=BB302_9 Depth=1
	s_or_b64 exec, exec, s[16:17]
	global_load_ubyte v37, v[8:9], off offset:8
	s_waitcnt vmcnt(0)
	v_cvt_f32_fp8_sdwa v37, v37 src0_sel:BYTE_0
	s_nop 0
	v_mul_f32_e32 v38, s37, v37
	v_and_b32_e32 v37, 0x7f800000, v38
	v_cmp_ne_u32_e64 s[8:9], s39, v37
                                        ; implicit-def: $vgpr37
	s_and_saveexec_b64 s[16:17], s[8:9]
	s_xor_b64 s[8:9], exec, s[16:17]
; %bb.14:                               ;   in Loop: Header=BB302_9 Depth=1
	v_bfe_u32 v37, v38, 16, 1
	v_add3_u32 v37, v38, v37, s40
                                        ; implicit-def: $vgpr38
; %bb.15:                               ;   in Loop: Header=BB302_9 Depth=1
	s_andn2_saveexec_b64 s[16:17], s[8:9]
; %bb.16:                               ;   in Loop: Header=BB302_9 Depth=1
	v_or_b32_e32 v37, 0x10000, v38
	v_cmp_eq_u32_sdwa s[8:9], v38, v3 src0_sel:WORD_0 src1_sel:DWORD
	s_nop 1
	v_cndmask_b32_e64 v37, v37, v38, s[8:9]
; %bb.17:                               ;   in Loop: Header=BB302_9 Depth=1
	s_or_b64 exec, exec, s[16:17]
	global_load_ubyte v38, v[8:9], off offset:128
	s_waitcnt vmcnt(0)
	v_cvt_f32_fp8_sdwa v38, v38 src0_sel:BYTE_0
	s_nop 0
	v_mul_f32_e32 v39, s37, v38
	v_and_b32_e32 v38, 0x7f800000, v39
	v_cmp_ne_u32_e64 s[8:9], s39, v38
                                        ; implicit-def: $vgpr38
	s_and_saveexec_b64 s[16:17], s[8:9]
	s_xor_b64 s[8:9], exec, s[16:17]
; %bb.18:                               ;   in Loop: Header=BB302_9 Depth=1
	v_bfe_u32 v38, v39, 16, 1
	v_add3_u32 v38, v39, v38, s40
                                        ; implicit-def: $vgpr39
; %bb.19:                               ;   in Loop: Header=BB302_9 Depth=1
	s_andn2_saveexec_b64 s[16:17], s[8:9]
; %bb.20:                               ;   in Loop: Header=BB302_9 Depth=1
	v_or_b32_e32 v38, 0x10000, v39
	v_cmp_eq_u32_sdwa s[8:9], v39, v3 src0_sel:WORD_0 src1_sel:DWORD
	s_nop 1
	v_cndmask_b32_e64 v38, v38, v39, s[8:9]
; %bb.21:                               ;   in Loop: Header=BB302_9 Depth=1
	s_or_b64 exec, exec, s[16:17]
	global_load_ubyte v39, v[8:9], off offset:136
	s_waitcnt vmcnt(0)
	v_cvt_f32_fp8_sdwa v39, v39 src0_sel:BYTE_0
	s_nop 0
	v_mul_f32_e32 v40, s37, v39
	v_and_b32_e32 v39, 0x7f800000, v40
	v_cmp_ne_u32_e64 s[8:9], s39, v39
                                        ; implicit-def: $vgpr39
	s_and_saveexec_b64 s[16:17], s[8:9]
	s_xor_b64 s[8:9], exec, s[16:17]
; %bb.22:                               ;   in Loop: Header=BB302_9 Depth=1
	v_bfe_u32 v39, v40, 16, 1
	v_add3_u32 v39, v40, v39, s40
                                        ; implicit-def: $vgpr40
; %bb.23:                               ;   in Loop: Header=BB302_9 Depth=1
	s_andn2_saveexec_b64 s[16:17], s[8:9]
; %bb.24:                               ;   in Loop: Header=BB302_9 Depth=1
	v_or_b32_e32 v39, 0x10000, v40
	v_cmp_eq_u32_sdwa s[8:9], v40, v3 src0_sel:WORD_0 src1_sel:DWORD
	s_nop 1
	v_cndmask_b32_e64 v39, v39, v40, s[8:9]
; %bb.25:                               ;   in Loop: Header=BB302_9 Depth=1
	s_or_b64 exec, exec, s[16:17]
	global_load_ubyte v40, v[8:9], off offset:256
	s_waitcnt vmcnt(0)
	v_cvt_f32_fp8_sdwa v40, v40 src0_sel:BYTE_0
	s_nop 0
	v_mul_f32_e32 v41, s37, v40
	v_and_b32_e32 v40, 0x7f800000, v41
	v_cmp_ne_u32_e64 s[8:9], s39, v40
                                        ; implicit-def: $vgpr40
	s_and_saveexec_b64 s[16:17], s[8:9]
	s_xor_b64 s[8:9], exec, s[16:17]
; %bb.26:                               ;   in Loop: Header=BB302_9 Depth=1
	v_bfe_u32 v40, v41, 16, 1
	v_add3_u32 v40, v41, v40, s40
                                        ; implicit-def: $vgpr41
; %bb.27:                               ;   in Loop: Header=BB302_9 Depth=1
	s_andn2_saveexec_b64 s[16:17], s[8:9]
; %bb.28:                               ;   in Loop: Header=BB302_9 Depth=1
	v_or_b32_e32 v40, 0x10000, v41
	v_cmp_eq_u32_sdwa s[8:9], v41, v3 src0_sel:WORD_0 src1_sel:DWORD
	s_nop 1
	v_cndmask_b32_e64 v40, v40, v41, s[8:9]
; %bb.29:                               ;   in Loop: Header=BB302_9 Depth=1
	s_or_b64 exec, exec, s[16:17]
	global_load_ubyte v41, v[8:9], off offset:264
	s_waitcnt vmcnt(0)
	v_cvt_f32_fp8_sdwa v41, v41 src0_sel:BYTE_0
	s_nop 0
	v_mul_f32_e32 v42, s37, v41
	v_and_b32_e32 v41, 0x7f800000, v42
	v_cmp_ne_u32_e64 s[8:9], s39, v41
                                        ; implicit-def: $vgpr41
	s_and_saveexec_b64 s[16:17], s[8:9]
	s_xor_b64 s[8:9], exec, s[16:17]
; %bb.30:                               ;   in Loop: Header=BB302_9 Depth=1
	v_bfe_u32 v41, v42, 16, 1
	v_add3_u32 v41, v42, v41, s40
                                        ; implicit-def: $vgpr42
; %bb.31:                               ;   in Loop: Header=BB302_9 Depth=1
	s_andn2_saveexec_b64 s[16:17], s[8:9]
; %bb.32:                               ;   in Loop: Header=BB302_9 Depth=1
	v_or_b32_e32 v41, 0x10000, v42
	v_cmp_eq_u32_sdwa s[8:9], v42, v3 src0_sel:WORD_0 src1_sel:DWORD
	s_nop 1
	v_cndmask_b32_e64 v41, v41, v42, s[8:9]
; %bb.33:                               ;   in Loop: Header=BB302_9 Depth=1
	s_or_b64 exec, exec, s[16:17]
	global_load_ubyte v42, v[8:9], off offset:384
	s_waitcnt vmcnt(0)
	v_cvt_f32_fp8_sdwa v42, v42 src0_sel:BYTE_0
	s_nop 0
	v_mul_f32_e32 v43, s37, v42
	v_and_b32_e32 v42, 0x7f800000, v43
	v_cmp_ne_u32_e64 s[8:9], s39, v42
                                        ; implicit-def: $vgpr42
	s_and_saveexec_b64 s[16:17], s[8:9]
	s_xor_b64 s[8:9], exec, s[16:17]
; %bb.34:                               ;   in Loop: Header=BB302_9 Depth=1
	v_bfe_u32 v42, v43, 16, 1
	v_add3_u32 v42, v43, v42, s40
                                        ; implicit-def: $vgpr43
; %bb.35:                               ;   in Loop: Header=BB302_9 Depth=1
	s_andn2_saveexec_b64 s[16:17], s[8:9]
; %bb.36:                               ;   in Loop: Header=BB302_9 Depth=1
	v_or_b32_e32 v42, 0x10000, v43
	v_cmp_eq_u32_sdwa s[8:9], v43, v3 src0_sel:WORD_0 src1_sel:DWORD
	s_nop 1
	v_cndmask_b32_e64 v42, v42, v43, s[8:9]
; %bb.37:                               ;   in Loop: Header=BB302_9 Depth=1
	s_or_b64 exec, exec, s[16:17]
	global_load_ubyte v43, v[8:9], off offset:392
	s_waitcnt vmcnt(0)
	v_cvt_f32_fp8_sdwa v43, v43 src0_sel:BYTE_0
	s_nop 0
	v_mul_f32_e32 v44, s37, v43
	v_and_b32_e32 v43, 0x7f800000, v44
	v_cmp_ne_u32_e64 s[8:9], s39, v43
                                        ; implicit-def: $vgpr43
	s_and_saveexec_b64 s[16:17], s[8:9]
	s_xor_b64 s[8:9], exec, s[16:17]
; %bb.38:                               ;   in Loop: Header=BB302_9 Depth=1
	v_bfe_u32 v43, v44, 16, 1
	v_add3_u32 v43, v44, v43, s40
                                        ; implicit-def: $vgpr44
; %bb.39:                               ;   in Loop: Header=BB302_9 Depth=1
	s_andn2_saveexec_b64 s[16:17], s[8:9]
; %bb.40:                               ;   in Loop: Header=BB302_9 Depth=1
	v_or_b32_e32 v43, 0x10000, v44
	v_cmp_eq_u32_sdwa s[8:9], v44, v3 src0_sel:WORD_0 src1_sel:DWORD
	s_nop 1
	v_cndmask_b32_e64 v43, v43, v44, s[8:9]
; %bb.41:                               ;   in Loop: Header=BB302_9 Depth=1
	s_or_b64 exec, exec, s[16:17]
	global_load_ubyte v44, v[8:9], off offset:512
	s_waitcnt vmcnt(0)
	v_cvt_f32_fp8_sdwa v44, v44 src0_sel:BYTE_0
	s_nop 0
	v_mul_f32_e32 v45, s37, v44
	v_and_b32_e32 v44, 0x7f800000, v45
	v_cmp_ne_u32_e64 s[8:9], s39, v44
                                        ; implicit-def: $vgpr44
	s_and_saveexec_b64 s[16:17], s[8:9]
	s_xor_b64 s[8:9], exec, s[16:17]
; %bb.42:                               ;   in Loop: Header=BB302_9 Depth=1
	v_bfe_u32 v44, v45, 16, 1
	v_add3_u32 v44, v45, v44, s40
                                        ; implicit-def: $vgpr45
; %bb.43:                               ;   in Loop: Header=BB302_9 Depth=1
	s_andn2_saveexec_b64 s[16:17], s[8:9]
; %bb.44:                               ;   in Loop: Header=BB302_9 Depth=1
	v_or_b32_e32 v44, 0x10000, v45
	v_cmp_eq_u32_sdwa s[8:9], v45, v3 src0_sel:WORD_0 src1_sel:DWORD
	s_nop 1
	v_cndmask_b32_e64 v44, v44, v45, s[8:9]
; %bb.45:                               ;   in Loop: Header=BB302_9 Depth=1
	s_or_b64 exec, exec, s[16:17]
	global_load_ubyte v45, v[8:9], off offset:520
	s_waitcnt vmcnt(0)
	v_cvt_f32_fp8_sdwa v45, v45 src0_sel:BYTE_0
	s_nop 0
	v_mul_f32_e32 v46, s37, v45
	v_and_b32_e32 v45, 0x7f800000, v46
	v_cmp_ne_u32_e64 s[8:9], s39, v45
                                        ; implicit-def: $vgpr45
	s_and_saveexec_b64 s[16:17], s[8:9]
	s_xor_b64 s[8:9], exec, s[16:17]
; %bb.46:                               ;   in Loop: Header=BB302_9 Depth=1
	v_bfe_u32 v45, v46, 16, 1
	v_add3_u32 v45, v46, v45, s40
                                        ; implicit-def: $vgpr46
; %bb.47:                               ;   in Loop: Header=BB302_9 Depth=1
	s_andn2_saveexec_b64 s[16:17], s[8:9]
; %bb.48:                               ;   in Loop: Header=BB302_9 Depth=1
	v_or_b32_e32 v45, 0x10000, v46
	v_cmp_eq_u32_sdwa s[8:9], v46, v3 src0_sel:WORD_0 src1_sel:DWORD
	s_nop 1
	v_cndmask_b32_e64 v45, v45, v46, s[8:9]
; %bb.49:                               ;   in Loop: Header=BB302_9 Depth=1
	s_or_b64 exec, exec, s[16:17]
	global_load_ubyte v46, v[8:9], off offset:640
	s_waitcnt vmcnt(0)
	v_cvt_f32_fp8_sdwa v46, v46 src0_sel:BYTE_0
	s_nop 0
	v_mul_f32_e32 v47, s37, v46
	v_and_b32_e32 v46, 0x7f800000, v47
	v_cmp_ne_u32_e64 s[8:9], s39, v46
                                        ; implicit-def: $vgpr46
	s_and_saveexec_b64 s[16:17], s[8:9]
	s_xor_b64 s[8:9], exec, s[16:17]
; %bb.50:                               ;   in Loop: Header=BB302_9 Depth=1
	v_bfe_u32 v46, v47, 16, 1
	v_add3_u32 v46, v47, v46, s40
                                        ; implicit-def: $vgpr47
; %bb.51:                               ;   in Loop: Header=BB302_9 Depth=1
	s_andn2_saveexec_b64 s[16:17], s[8:9]
; %bb.52:                               ;   in Loop: Header=BB302_9 Depth=1
	v_or_b32_e32 v46, 0x10000, v47
	v_cmp_eq_u32_sdwa s[8:9], v47, v3 src0_sel:WORD_0 src1_sel:DWORD
	s_nop 1
	v_cndmask_b32_e64 v46, v46, v47, s[8:9]
; %bb.53:                               ;   in Loop: Header=BB302_9 Depth=1
	s_or_b64 exec, exec, s[16:17]
	global_load_ubyte v47, v[8:9], off offset:648
	s_waitcnt vmcnt(0)
	v_cvt_f32_fp8_sdwa v47, v47 src0_sel:BYTE_0
	s_nop 0
	v_mul_f32_e32 v48, s37, v47
	v_and_b32_e32 v47, 0x7f800000, v48
	v_cmp_ne_u32_e64 s[8:9], s39, v47
                                        ; implicit-def: $vgpr47
	s_and_saveexec_b64 s[16:17], s[8:9]
	s_xor_b64 s[8:9], exec, s[16:17]
; %bb.54:                               ;   in Loop: Header=BB302_9 Depth=1
	v_bfe_u32 v47, v48, 16, 1
	v_add3_u32 v47, v48, v47, s40
                                        ; implicit-def: $vgpr48
; %bb.55:                               ;   in Loop: Header=BB302_9 Depth=1
	s_andn2_saveexec_b64 s[16:17], s[8:9]
; %bb.56:                               ;   in Loop: Header=BB302_9 Depth=1
	v_or_b32_e32 v47, 0x10000, v48
	v_cmp_eq_u32_sdwa s[8:9], v48, v3 src0_sel:WORD_0 src1_sel:DWORD
	s_nop 1
	v_cndmask_b32_e64 v47, v47, v48, s[8:9]
; %bb.57:                               ;   in Loop: Header=BB302_9 Depth=1
	s_or_b64 exec, exec, s[16:17]
	global_load_ubyte v48, v[8:9], off offset:768
	s_waitcnt vmcnt(0)
	v_cvt_f32_fp8_sdwa v48, v48 src0_sel:BYTE_0
	s_nop 0
	v_mul_f32_e32 v49, s37, v48
	v_and_b32_e32 v48, 0x7f800000, v49
	v_cmp_ne_u32_e64 s[8:9], s39, v48
                                        ; implicit-def: $vgpr48
	s_and_saveexec_b64 s[16:17], s[8:9]
	s_xor_b64 s[8:9], exec, s[16:17]
; %bb.58:                               ;   in Loop: Header=BB302_9 Depth=1
	v_bfe_u32 v48, v49, 16, 1
	v_add3_u32 v48, v49, v48, s40
                                        ; implicit-def: $vgpr49
; %bb.59:                               ;   in Loop: Header=BB302_9 Depth=1
	s_andn2_saveexec_b64 s[16:17], s[8:9]
; %bb.60:                               ;   in Loop: Header=BB302_9 Depth=1
	v_or_b32_e32 v48, 0x10000, v49
	v_cmp_eq_u32_sdwa s[8:9], v49, v3 src0_sel:WORD_0 src1_sel:DWORD
	s_nop 1
	v_cndmask_b32_e64 v48, v48, v49, s[8:9]
; %bb.61:                               ;   in Loop: Header=BB302_9 Depth=1
	s_or_b64 exec, exec, s[16:17]
	global_load_ubyte v49, v[8:9], off offset:776
	s_waitcnt vmcnt(0)
	v_cvt_f32_fp8_sdwa v49, v49 src0_sel:BYTE_0
	s_nop 0
	v_mul_f32_e32 v50, s37, v49
	v_and_b32_e32 v49, 0x7f800000, v50
	v_cmp_ne_u32_e64 s[8:9], s39, v49
                                        ; implicit-def: $vgpr49
	s_and_saveexec_b64 s[16:17], s[8:9]
	s_xor_b64 s[8:9], exec, s[16:17]
; %bb.62:                               ;   in Loop: Header=BB302_9 Depth=1
	v_bfe_u32 v49, v50, 16, 1
	v_add3_u32 v49, v50, v49, s40
                                        ; implicit-def: $vgpr50
; %bb.63:                               ;   in Loop: Header=BB302_9 Depth=1
	s_andn2_saveexec_b64 s[16:17], s[8:9]
; %bb.64:                               ;   in Loop: Header=BB302_9 Depth=1
	v_or_b32_e32 v49, 0x10000, v50
	v_cmp_eq_u32_sdwa s[8:9], v50, v3 src0_sel:WORD_0 src1_sel:DWORD
	s_nop 1
	v_cndmask_b32_e64 v49, v49, v50, s[8:9]
; %bb.65:                               ;   in Loop: Header=BB302_9 Depth=1
	s_or_b64 exec, exec, s[16:17]
	global_load_ubyte v8, v[8:9], off offset:896
	s_waitcnt vmcnt(0)
	v_cvt_f32_fp8_sdwa v8, v8 src0_sel:BYTE_0
	s_nop 0
	v_mul_f32_e32 v9, s37, v8
	v_and_b32_e32 v8, 0x7f800000, v9
	v_cmp_ne_u32_e64 s[8:9], s39, v8
                                        ; implicit-def: $vgpr8
	s_and_saveexec_b64 s[16:17], s[8:9]
	s_xor_b64 s[8:9], exec, s[16:17]
; %bb.66:                               ;   in Loop: Header=BB302_9 Depth=1
	v_bfe_u32 v8, v9, 16, 1
	v_add3_u32 v8, v9, v8, s40
                                        ; implicit-def: $vgpr9
; %bb.67:                               ;   in Loop: Header=BB302_9 Depth=1
	s_andn2_saveexec_b64 s[16:17], s[8:9]
; %bb.68:                               ;   in Loop: Header=BB302_9 Depth=1
	v_or_b32_e32 v8, 0x10000, v9
	v_cmp_eq_u32_sdwa s[8:9], v9, v3 src0_sel:WORD_0 src1_sel:DWORD
	s_nop 1
	v_cndmask_b32_e64 v8, v8, v9, s[8:9]
; %bb.69:                               ;   in Loop: Header=BB302_9 Depth=1
	s_or_b64 exec, exec, s[16:17]
	v_and_b32_e32 v37, 0xffff0000, v37
	v_and_b32_e32 v36, 0xffff0000, v36
	v_mul_f32_e32 v37, v15, v37
	v_and_b32_e32 v38, 0xffff0000, v38
	v_fmac_f32_e32 v37, v11, v36
	v_and_b32_e32 v39, 0xffff0000, v39
	v_fmac_f32_e32 v37, v16, v38
	;; [unrolled: 2-line block ×13, first 2 shown]
	v_fmac_f32_e32 v37, v28, v8
	ds_bpermute_b32 v8, v30, v37
	s_waitcnt lgkmcnt(0)
	v_add_f32_e32 v8, v37, v8
	ds_bpermute_b32 v9, v31, v8
	s_waitcnt lgkmcnt(0)
	v_add_f32_e32 v8, v8, v9
	ds_bpermute_b32 v9, v32, v8
	s_and_saveexec_b64 s[16:17], vcc
	s_cbranch_execz .LBB302_8
; %bb.70:                               ;   in Loop: Header=BB302_9 Depth=1
	v_add_u32_e32 v36, s38, v33
	v_cvt_f32_i32_e32 v36, v36
	s_waitcnt lgkmcnt(0)
	v_add_f32_e32 v8, v8, v9
	v_cmp_gt_i32_e64 s[8:9], s33, v33
	v_max_f32_e32 v9, v29, v29
	v_mul_f32_e32 v36, s10, v36
	v_cndmask_b32_e64 v36, 0, v36, s[0:1]
	v_fmac_f32_e32 v36, s11, v8
	v_cndmask_b32_e64 v8, 0, v36, s[8:9]
	ds_write_b32 v34, v8
	v_max_f32_e32 v8, v9, v36
	v_cndmask_b32_e64 v29, v29, v8, s[8:9]
	s_branch .LBB302_8
.LBB302_71:
	s_or_b64 exec, exec, s[14:15]
.LBB302_72:
	s_or_b64 exec, exec, s[34:35]
	v_xor_b32_e32 v2, 32, v13
	v_cmp_lt_i32_e32 vcc, v2, v14
	v_xor_b32_e32 v5, 16, v13
	v_max_f32_e32 v4, v29, v29
	v_cndmask_b32_e32 v2, v13, v2, vcc
	v_lshlrev_b32_e32 v3, 2, v2
	ds_bpermute_b32 v2, v3, v29
	v_cmp_lt_i32_e32 vcc, v5, v14
	v_xor_b32_e32 v6, 8, v13
	v_and_b32_e32 v11, 63, v0
	s_waitcnt lgkmcnt(0)
	v_max_f32_e32 v2, v2, v2
	v_max_f32_e32 v2, v4, v2
	v_cndmask_b32_e32 v4, v13, v5, vcc
	v_lshlrev_b32_e32 v5, 2, v4
	ds_bpermute_b32 v4, v5, v2
	v_cmp_lt_i32_e32 vcc, v6, v14
	s_waitcnt lgkmcnt(0)
	v_max_f32_e32 v4, v4, v4
	v_max_f32_e32 v4, v2, v4
	v_cndmask_b32_e32 v2, v13, v6, vcc
	v_lshlrev_b32_e32 v7, 2, v2
	ds_bpermute_b32 v6, v7, v4
	v_cmp_eq_u32_e32 vcc, 0, v11
	v_lshlrev_b32_e32 v2, 2, v1
	s_and_saveexec_b64 s[0:1], vcc
	s_cbranch_execz .LBB302_74
; %bb.73:
	s_waitcnt lgkmcnt(0)
	v_max_f32_e32 v6, v6, v6
	v_max_f32_e32 v4, v4, v4
	;; [unrolled: 1-line block ×3, first 2 shown]
	ds_write_b32 v2, v4 offset:240
.LBB302_74:
	s_or_b64 exec, exec, s[0:1]
	v_cmp_gt_u32_e64 s[0:1], 2, v11
	v_mov_b32_e32 v8, 0xff7fffff
	v_lshlrev_b32_e32 v4, 2, v11
	s_waitcnt lgkmcnt(0)
	s_barrier
	s_and_saveexec_b64 s[8:9], s[0:1]
	s_cbranch_execz .LBB302_76
; %bb.75:
	ds_read_b32 v8, v4 offset:240
.LBB302_76:
	s_or_b64 exec, exec, s[8:9]
	v_xor_b32_e32 v6, 1, v13
	v_cmp_lt_i32_e64 s[8:9], v6, v14
	v_lshlrev_b32_e32 v15, 2, v13
	s_nop 0
	v_cndmask_b32_e64 v6, v13, v6, s[8:9]
	v_lshlrev_b32_e32 v6, 2, v6
	s_waitcnt lgkmcnt(0)
	ds_bpermute_b32 v9, v6, v8
	v_max_f32_e32 v8, v8, v8
	s_lshl_b32 s8, s23, 3
	s_min_i32 s34, s8, s33
	v_cmp_gt_i32_e64 s[8:9], s34, v0
	s_waitcnt lgkmcnt(0)
	v_max_f32_e32 v9, v9, v9
	v_max_f32_e32 v9, v8, v9
	v_and_b32_e32 v8, 0xffffff00, v15
	ds_bpermute_b32 v15, v8, v9
	v_mov_b32_e32 v9, 0
	s_and_saveexec_b64 s[14:15], s[8:9]
	s_cbranch_execz .LBB302_80
; %bb.77:
	v_mov_b32_e32 v9, 0x100
	v_lshl_add_u32 v16, v0, 2, v9
	s_mov_b64 s[16:17], 0
	v_mov_b32_e32 v9, 0
	v_mov_b32_e32 v17, v0
.LBB302_78:                             ; =>This Inner Loop Header: Depth=1
	ds_read_b32 v18, v16
	v_add_u32_e32 v17, 0x80, v17
	v_cmp_le_i32_e64 s[10:11], s34, v17
	s_or_b64 s[16:17], s[10:11], s[16:17]
	s_waitcnt lgkmcnt(0)
	v_sub_f32_e32 v18, v18, v15
	v_mul_f32_e32 v18, 0x3fb8aa3b, v18
	v_exp_f32_e32 v18, v18
	ds_write_b32 v16, v18
	v_add_f32_e32 v9, v9, v18
	v_add_u32_e32 v16, 0x200, v16
	s_andn2_b64 exec, exec, s[16:17]
	s_cbranch_execnz .LBB302_78
; %bb.79:
	s_or_b64 exec, exec, s[16:17]
.LBB302_80:
	s_or_b64 exec, exec, s[14:15]
	ds_bpermute_b32 v3, v3, v9
	s_waitcnt lgkmcnt(0)
	v_add_f32_e32 v3, v9, v3
	ds_bpermute_b32 v5, v5, v3
	s_waitcnt lgkmcnt(0)
	v_add_f32_e32 v3, v3, v5
	ds_bpermute_b32 v5, v7, v3
	v_xor_b32_e32 v7, 4, v13
	v_cmp_lt_i32_e64 s[10:11], v7, v14
	s_waitcnt lgkmcnt(0)
	v_add_f32_e32 v3, v3, v5
	v_cndmask_b32_e64 v7, v13, v7, s[10:11]
	v_lshlrev_b32_e32 v7, 2, v7
	ds_bpermute_b32 v5, v7, v3
	v_xor_b32_e32 v7, 2, v13
	v_cmp_lt_i32_e64 s[10:11], v7, v14
	s_waitcnt lgkmcnt(0)
	v_add_f32_e32 v3, v3, v5
	v_cndmask_b32_e64 v7, v13, v7, s[10:11]
	v_lshlrev_b32_e32 v5, 2, v7
	ds_bpermute_b32 v5, v5, v3
	s_waitcnt lgkmcnt(0)
	v_add_f32_e32 v3, v3, v5
	ds_bpermute_b32 v5, v6, v3
	s_waitcnt lgkmcnt(0)
	v_add_f32_e32 v3, v3, v5
	s_and_saveexec_b64 s[10:11], vcc
	s_cbranch_execz .LBB302_82
; %bb.81:
	ds_write_b32 v2, v3 offset:248
.LBB302_82:
	s_or_b64 exec, exec, s[10:11]
	s_waitcnt lgkmcnt(0)
	s_barrier
	s_and_saveexec_b64 s[10:11], s[0:1]
	s_cbranch_execz .LBB302_84
; %bb.83:
	ds_read_b32 v3, v4 offset:248
.LBB302_84:
	s_or_b64 exec, exec, s[10:11]
	s_waitcnt lgkmcnt(0)
	ds_bpermute_b32 v2, v6, v3
	s_waitcnt lgkmcnt(0)
	v_add_f32_e32 v2, v3, v2
	ds_bpermute_b32 v2, v8, v2
	s_and_saveexec_b64 s[0:1], s[8:9]
	s_cbranch_execz .LBB302_97
; %bb.85:
	s_waitcnt lgkmcnt(0)
	v_add_f32_e32 v2, 0x358637bd, v2
	v_div_scale_f32 v3, s[8:9], v2, v2, 1.0
	v_rcp_f32_e32 v4, v3
	v_div_scale_f32 v5, vcc, 1.0, v2, 1.0
	s_movk_i32 s8, 0x7f
	v_fma_f32 v6, -v3, v4, 1.0
	v_fmac_f32_e32 v4, v6, v4
	v_mul_f32_e32 v6, v5, v4
	v_fma_f32 v7, -v3, v6, v5
	v_fmac_f32_e32 v6, v7, v4
	v_fma_f32 v3, -v3, v6, v5
	v_div_fmas_f32 v3, v3, v4, v6
	v_xad_u32 v4, v0, -1, s34
	v_div_fixup_f32 v2, v3, v2, 1.0
	v_cmp_lt_u32_e32 vcc, s8, v4
	s_mov_b64 s[10:11], -1
	v_mov_b32_e32 v3, v0
	s_and_saveexec_b64 s[8:9], vcc
	s_cbranch_execz .LBB302_94
; %bb.86:
	v_lshrrev_b32_e32 v4, 7, v4
	v_add_u32_e32 v6, -1, v4
	v_lshrrev_b32_e32 v5, 1, v6
	v_mov_b32_e32 v3, v2
	v_add_u32_e32 v5, 1, v5
	v_cmp_lt_u32_e32 vcc, 13, v6
	v_mov_b32_e32 v8, 0
	s_and_saveexec_b64 s[10:11], vcc
	s_cbranch_execz .LBB302_90
; %bb.87:
	v_mov_b32_e32 v7, 0x100
	v_and_b32_e32 v6, -8, v5
	v_lshl_add_u32 v7, v0, 2, v7
	s_mov_b32 s16, 0
	s_mov_b64 s[14:15], 0
.LBB302_88:                             ; =>This Inner Loop Header: Depth=1
	ds_read2st64_b32 v[8:9], v7 offset1:2
	ds_read2st64_b32 v[14:15], v7 offset0:4 offset1:6
	ds_read2st64_b32 v[16:17], v7 offset0:8 offset1:10
	;; [unrolled: 1-line block ×3, first 2 shown]
	v_add_u32_e32 v6, -8, v6
	s_waitcnt lgkmcnt(3)
	v_pk_mul_f32 v[8:9], v[2:3], v[8:9]
	s_waitcnt lgkmcnt(2)
	v_pk_mul_f32 v[14:15], v[2:3], v[14:15]
	ds_write2st64_b32 v7, v8, v9 offset1:2
	ds_write2st64_b32 v7, v14, v15 offset0:4 offset1:6
	ds_read2st64_b32 v[14:15], v7 offset0:16 offset1:18
	s_waitcnt lgkmcnt(4)
	v_pk_mul_f32 v[8:9], v[2:3], v[16:17]
	ds_write2st64_b32 v7, v8, v9 offset0:8 offset1:10
	s_waitcnt lgkmcnt(4)
	v_pk_mul_f32 v[8:9], v[2:3], v[18:19]
	ds_write2st64_b32 v7, v8, v9 offset0:12 offset1:14
	ds_read2st64_b32 v[8:9], v7 offset0:20 offset1:22
	s_waitcnt lgkmcnt(3)
	v_pk_mul_f32 v[14:15], v[2:3], v[14:15]
	ds_read2st64_b32 v[16:17], v7 offset0:24 offset1:26
	ds_write2st64_b32 v7, v14, v15 offset0:16 offset1:18
	ds_read2st64_b32 v[14:15], v7 offset0:28 offset1:30
	s_waitcnt lgkmcnt(3)
	v_pk_mul_f32 v[8:9], v[2:3], v[8:9]
	ds_write2st64_b32 v7, v8, v9 offset0:20 offset1:22
	s_waitcnt lgkmcnt(3)
	v_pk_mul_f32 v[8:9], v[2:3], v[16:17]
	ds_write2st64_b32 v7, v8, v9 offset0:24 offset1:26
	s_waitcnt lgkmcnt(2)
	v_pk_mul_f32 v[8:9], v[2:3], v[14:15]
	s_add_i32 s16, s16, 16
	v_cmp_eq_u32_e32 vcc, 0, v6
	ds_write2st64_b32 v7, v8, v9 offset0:28 offset1:30
	v_add_u32_e32 v7, 0x2000, v7
	s_or_b64 s[14:15], vcc, s[14:15]
	v_mov_b32_e32 v8, s16
	s_andn2_b64 exec, exec, s[14:15]
	s_cbranch_execnz .LBB302_88
; %bb.89:
	s_or_b64 exec, exec, s[14:15]
.LBB302_90:
	s_or_b64 exec, exec, s[10:11]
	v_and_b32_e32 v5, 7, v5
	v_cmp_ne_u32_e32 vcc, 0, v5
	s_and_saveexec_b64 s[10:11], vcc
	s_cbranch_execz .LBB302_93
; %bb.91:
	v_lshlrev_b32_e32 v6, 9, v8
	v_lshlrev_b32_e32 v7, 2, v0
	s_movk_i32 s14, 0x100
	v_add3_u32 v6, v6, v7, s14
	s_mov_b64 s[14:15], 0
.LBB302_92:                             ; =>This Inner Loop Header: Depth=1
	ds_read2st64_b32 v[8:9], v6 offset1:2
	v_add_u32_e32 v5, -1, v5
	v_cmp_eq_u32_e32 vcc, 0, v5
	s_or_b64 s[14:15], vcc, s[14:15]
	s_waitcnt lgkmcnt(0)
	v_pk_mul_f32 v[8:9], v[2:3], v[8:9]
	ds_write2st64_b32 v6, v8, v9 offset1:2
	v_add_u32_e32 v6, 0x400, v6
	s_andn2_b64 exec, exec, s[14:15]
	s_cbranch_execnz .LBB302_92
.LBB302_93:
	s_or_b64 exec, exec, s[10:11]
	v_add_u32_e32 v4, 1, v4
	v_and_b32_e32 v5, 0x3fffffe, v4
	v_cmp_ne_u32_e32 vcc, v4, v5
	v_lshl_add_u32 v3, v5, 7, v0
	s_orn2_b64 s[10:11], vcc, exec
.LBB302_94:
	s_or_b64 exec, exec, s[8:9]
	s_and_b64 exec, exec, s[10:11]
	s_cbranch_execz .LBB302_97
; %bb.95:
	v_mov_b32_e32 v4, 0x100
	v_lshl_add_u32 v4, v3, 2, v4
	s_mov_b64 s[8:9], 0
.LBB302_96:                             ; =>This Inner Loop Header: Depth=1
	ds_read_b32 v5, v4
	v_add_u32_e32 v3, 0x80, v3
	v_cmp_le_i32_e32 vcc, s34, v3
	s_or_b64 s[8:9], vcc, s[8:9]
	s_waitcnt lgkmcnt(0)
	v_mul_f32_e32 v5, v2, v5
	ds_write_b32 v4, v5
	v_add_u32_e32 v4, 0x200, v4
	s_andn2_b64 exec, exec, s[8:9]
	s_cbranch_execnz .LBB302_96
.LBB302_97:
	s_or_b64 exec, exec, s[0:1]
	v_mov_b32_e32 v13, 0
	s_waitcnt lgkmcnt(0)
	v_mov_b32_e32 v2, v13
	s_barrier
	s_and_saveexec_b64 s[8:9], s[2:3]
	s_cbranch_execz .LBB302_267
; %bb.98:
	s_ashr_i32 s0, s12, 31
	s_add_u32 s10, s30, s12
	s_addc_u32 s11, s31, s0
	s_load_dword s18, s[18:19], 0x0
	v_or_b32_e32 v2, 64, v11
	s_movk_i32 s0, 0x78
	s_add_i32 s30, s23, -1
	v_cmp_gt_u32_e32 vcc, s0, v2
	s_lshl_b64 s[0:1], s[28:29], 2
	v_mov_b32_e32 v15, 0
	v_lshlrev_b32_e32 v16, 3, v2
	v_mov_b32_e32 v2, 0x100
	s_add_u32 s0, s26, s0
	v_lshl_add_u32 v21, v1, 5, v2
	v_and_b32_e32 v2, 60, v12
	v_mov_b32_e32 v3, v15
	s_addc_u32 s1, s27, s1
	s_mov_b32 s34, s13
	v_lshlrev_b32_e32 v14, 3, v11
	v_mov_b32_e32 v17, v15
	v_lshl_or_b32 v20, v1, 3, 7
	v_lshl_add_u64 v[18:19], s[0:1], 0, v[2:3]
	s_mov_b64 s[12:13], 0
	s_mov_b32 s19, 0x7f800000
	s_movk_i32 s26, 0x7fff
	v_mov_b32_e32 v12, v15
	v_mov_b32_e32 v13, v15
	s_branch .LBB302_101
.LBB302_99:                             ;   in Loop: Header=BB302_101 Depth=1
	s_or_b64 exec, exec, s[2:3]
	v_and_b32_e32 v25, 0xffff0000, v5
	v_and_b32_e32 v24, 0xffff0000, v9
	;; [unrolled: 1-line block ×6, first 2 shown]
	v_pk_add_f32 v[4:5], v[4:5], v[8:9]
	v_and_b32_e32 v23, 0xffff0000, v23
	v_and_b32_e32 v22, 0xffff0000, v22
	v_mov_b32_e32 v6, v5
	v_pk_add_f32 v[4:5], v[4:5], v[6:7]
	v_pk_add_f32 v[6:7], v[24:25], v[22:23]
	s_nop 0
	v_pk_add_f32 v[4:5], v[4:5], v[6:7]
	v_mov_b32_e32 v6, v7
	v_pk_add_f32 v[4:5], v[4:5], v[6:7]
	s_nop 0
	v_mov_b32_e32 v3, v4
	v_pk_add_f32 v[12:13], v[12:13], v[2:3]
.LBB302_100:                            ;   in Loop: Header=BB302_101 Depth=1
	s_or_b64 exec, exec, s[14:15]
	v_add_u32_e32 v1, 2, v1
	v_cmp_le_i32_e64 s[0:1], s23, v1
	v_add_u32_e32 v20, 16, v20
	v_add_u32_e32 v21, 64, v21
	v_lshl_add_u64 v[18:19], v[18:19], 0, 8
	s_or_b64 s[12:13], s[0:1], s[12:13]
	v_mov_b32_e32 v12, v2
	s_andn2_b64 exec, exec, s[12:13]
	s_cbranch_execz .LBB302_266
.LBB302_101:                            ; =>This Inner Loop Header: Depth=1
	global_load_dword v30, v[18:19], off
	ds_read2_b64 v[6:9], v21 offset1:1
	ds_read2_b64 v[2:5], v21 offset0:2 offset1:3
                                        ; implicit-def: $vgpr29
	s_waitcnt lgkmcnt(0)
	v_and_b32_e32 v22, 0x7f800000, v6
	v_cmp_ne_u32_e64 s[0:1], s19, v22
	s_and_saveexec_b64 s[2:3], s[0:1]
	s_xor_b64 s[0:1], exec, s[2:3]
; %bb.102:                              ;   in Loop: Header=BB302_101 Depth=1
	v_bfe_u32 v22, v6, 16, 1
	v_add3_u32 v29, v6, v22, s26
; %bb.103:                              ;   in Loop: Header=BB302_101 Depth=1
	s_andn2_saveexec_b64 s[2:3], s[0:1]
; %bb.104:                              ;   in Loop: Header=BB302_101 Depth=1
	v_or_b32_e32 v22, 0x10000, v6
	v_cmp_eq_u32_sdwa s[0:1], v6, v15 src0_sel:WORD_0 src1_sel:DWORD
	s_nop 1
	v_cndmask_b32_e64 v29, v22, v6, s[0:1]
; %bb.105:                              ;   in Loop: Header=BB302_101 Depth=1
	s_or_b64 exec, exec, s[2:3]
	v_and_b32_e32 v6, 0x7f800000, v7
	v_cmp_ne_u32_e64 s[0:1], s19, v6
                                        ; implicit-def: $vgpr28
	s_and_saveexec_b64 s[2:3], s[0:1]
	s_xor_b64 s[0:1], exec, s[2:3]
; %bb.106:                              ;   in Loop: Header=BB302_101 Depth=1
	v_bfe_u32 v6, v7, 16, 1
	v_add3_u32 v28, v7, v6, s26
; %bb.107:                              ;   in Loop: Header=BB302_101 Depth=1
	s_andn2_saveexec_b64 s[2:3], s[0:1]
; %bb.108:                              ;   in Loop: Header=BB302_101 Depth=1
	v_or_b32_e32 v6, 0x10000, v7
	v_cmp_eq_u32_sdwa s[0:1], v7, v15 src0_sel:WORD_0 src1_sel:DWORD
	s_nop 1
	v_cndmask_b32_e64 v28, v6, v7, s[0:1]
; %bb.109:                              ;   in Loop: Header=BB302_101 Depth=1
	s_or_b64 exec, exec, s[2:3]
	v_and_b32_e32 v6, 0x7f800000, v8
	v_cmp_ne_u32_e64 s[0:1], s19, v6
                                        ; implicit-def: $vgpr27
	s_and_saveexec_b64 s[2:3], s[0:1]
	s_xor_b64 s[0:1], exec, s[2:3]
; %bb.110:                              ;   in Loop: Header=BB302_101 Depth=1
	v_bfe_u32 v6, v8, 16, 1
	v_add3_u32 v27, v8, v6, s26
; %bb.111:                              ;   in Loop: Header=BB302_101 Depth=1
	s_andn2_saveexec_b64 s[2:3], s[0:1]
; %bb.112:                              ;   in Loop: Header=BB302_101 Depth=1
	v_or_b32_e32 v6, 0x10000, v8
	v_cmp_eq_u32_sdwa s[0:1], v8, v15 src0_sel:WORD_0 src1_sel:DWORD
	s_nop 1
	v_cndmask_b32_e64 v27, v6, v8, s[0:1]
; %bb.113:                              ;   in Loop: Header=BB302_101 Depth=1
	s_or_b64 exec, exec, s[2:3]
	v_and_b32_e32 v6, 0x7f800000, v9
	v_cmp_ne_u32_e64 s[0:1], s19, v6
                                        ; implicit-def: $vgpr22
	s_and_saveexec_b64 s[2:3], s[0:1]
	s_xor_b64 s[0:1], exec, s[2:3]
; %bb.114:                              ;   in Loop: Header=BB302_101 Depth=1
	v_bfe_u32 v6, v9, 16, 1
	v_add3_u32 v22, v9, v6, s26
                                        ; implicit-def: $vgpr6_vgpr7_vgpr8_vgpr9
; %bb.115:                              ;   in Loop: Header=BB302_101 Depth=1
	s_andn2_saveexec_b64 s[2:3], s[0:1]
; %bb.116:                              ;   in Loop: Header=BB302_101 Depth=1
	v_or_b32_e32 v6, 0x10000, v9
	v_cmp_eq_u32_sdwa s[0:1], v9, v15 src0_sel:WORD_0 src1_sel:DWORD
	s_nop 1
	v_cndmask_b32_e64 v22, v6, v9, s[0:1]
; %bb.117:                              ;   in Loop: Header=BB302_101 Depth=1
	s_or_b64 exec, exec, s[2:3]
	v_and_b32_e32 v6, 0x7f800000, v2
	v_cmp_ne_u32_e64 s[0:1], s19, v6
                                        ; implicit-def: $vgpr23
	s_and_saveexec_b64 s[2:3], s[0:1]
	s_xor_b64 s[0:1], exec, s[2:3]
; %bb.118:                              ;   in Loop: Header=BB302_101 Depth=1
	v_bfe_u32 v6, v2, 16, 1
	v_add3_u32 v23, v2, v6, s26
; %bb.119:                              ;   in Loop: Header=BB302_101 Depth=1
	s_andn2_saveexec_b64 s[2:3], s[0:1]
; %bb.120:                              ;   in Loop: Header=BB302_101 Depth=1
	v_or_b32_e32 v6, 0x10000, v2
	v_cmp_eq_u32_sdwa s[0:1], v2, v15 src0_sel:WORD_0 src1_sel:DWORD
	s_nop 1
	v_cndmask_b32_e64 v23, v6, v2, s[0:1]
; %bb.121:                              ;   in Loop: Header=BB302_101 Depth=1
	s_or_b64 exec, exec, s[2:3]
	v_and_b32_e32 v2, 0x7f800000, v3
	v_cmp_ne_u32_e64 s[0:1], s19, v2
                                        ; implicit-def: $vgpr24
	s_and_saveexec_b64 s[2:3], s[0:1]
	s_xor_b64 s[0:1], exec, s[2:3]
; %bb.122:                              ;   in Loop: Header=BB302_101 Depth=1
	v_bfe_u32 v2, v3, 16, 1
	v_add3_u32 v24, v3, v2, s26
; %bb.123:                              ;   in Loop: Header=BB302_101 Depth=1
	s_andn2_saveexec_b64 s[2:3], s[0:1]
; %bb.124:                              ;   in Loop: Header=BB302_101 Depth=1
	v_or_b32_e32 v2, 0x10000, v3
	v_cmp_eq_u32_sdwa s[0:1], v3, v15 src0_sel:WORD_0 src1_sel:DWORD
	s_nop 1
	v_cndmask_b32_e64 v24, v2, v3, s[0:1]
; %bb.125:                              ;   in Loop: Header=BB302_101 Depth=1
	s_or_b64 exec, exec, s[2:3]
	v_and_b32_e32 v2, 0x7f800000, v4
	v_cmp_ne_u32_e64 s[0:1], s19, v2
                                        ; implicit-def: $vgpr25
	s_and_saveexec_b64 s[2:3], s[0:1]
	s_xor_b64 s[0:1], exec, s[2:3]
; %bb.126:                              ;   in Loop: Header=BB302_101 Depth=1
	v_bfe_u32 v2, v4, 16, 1
	v_add3_u32 v25, v4, v2, s26
; %bb.127:                              ;   in Loop: Header=BB302_101 Depth=1
	s_andn2_saveexec_b64 s[2:3], s[0:1]
; %bb.128:                              ;   in Loop: Header=BB302_101 Depth=1
	v_or_b32_e32 v2, 0x10000, v4
	v_cmp_eq_u32_sdwa s[0:1], v4, v15 src0_sel:WORD_0 src1_sel:DWORD
	s_nop 1
	v_cndmask_b32_e64 v25, v2, v4, s[0:1]
; %bb.129:                              ;   in Loop: Header=BB302_101 Depth=1
	s_or_b64 exec, exec, s[2:3]
	v_and_b32_e32 v2, 0x7f800000, v5
	v_cmp_ne_u32_e64 s[0:1], s19, v2
                                        ; implicit-def: $vgpr26
	s_and_saveexec_b64 s[2:3], s[0:1]
	s_xor_b64 s[0:1], exec, s[2:3]
; %bb.130:                              ;   in Loop: Header=BB302_101 Depth=1
	v_bfe_u32 v2, v5, 16, 1
	v_add3_u32 v26, v5, v2, s26
                                        ; implicit-def: $vgpr2_vgpr3_vgpr4_vgpr5
; %bb.131:                              ;   in Loop: Header=BB302_101 Depth=1
	s_andn2_saveexec_b64 s[2:3], s[0:1]
; %bb.132:                              ;   in Loop: Header=BB302_101 Depth=1
	v_or_b32_e32 v2, 0x10000, v5
	v_cmp_eq_u32_sdwa s[0:1], v5, v15 src0_sel:WORD_0 src1_sel:DWORD
	s_nop 1
	v_cndmask_b32_e64 v26, v2, v5, s[0:1]
; %bb.133:                              ;   in Loop: Header=BB302_101 Depth=1
	s_or_b64 exec, exec, s[2:3]
	v_mov_b64_e32 v[2:3], s[10:11]
	s_waitcnt vmcnt(0)
	v_mad_i64_i32 v[4:5], s[0:1], v30, s34, v[2:3]
	v_lshl_add_u64 v[2:3], v[4:5], 0, v[14:15]
	global_load_dwordx2 v[2:3], v[2:3], off
	s_waitcnt vmcnt(0)
	v_and_b32_e32 v6, 0xff, v2
	v_cvt_f32_fp8_sdwa v6, v6 src0_sel:BYTE_0
	s_nop 0
	v_mul_f32_e32 v6, s18, v6
	v_and_b32_e32 v7, 0x7f800000, v6
	v_cmp_ne_u32_e64 s[0:1], s19, v7
                                        ; implicit-def: $vgpr7
	s_and_saveexec_b64 s[2:3], s[0:1]
	s_xor_b64 s[0:1], exec, s[2:3]
; %bb.134:                              ;   in Loop: Header=BB302_101 Depth=1
	v_bfe_u32 v7, v6, 16, 1
	v_add3_u32 v7, v6, v7, s26
                                        ; implicit-def: $vgpr6
; %bb.135:                              ;   in Loop: Header=BB302_101 Depth=1
	s_andn2_saveexec_b64 s[2:3], s[0:1]
; %bb.136:                              ;   in Loop: Header=BB302_101 Depth=1
	v_or_b32_e32 v7, 0x10000, v6
	v_cmp_eq_u32_sdwa s[0:1], v6, v15 src0_sel:WORD_0 src1_sel:DWORD
	s_nop 1
	v_cndmask_b32_e64 v7, v7, v6, s[0:1]
; %bb.137:                              ;   in Loop: Header=BB302_101 Depth=1
	s_or_b64 exec, exec, s[2:3]
	v_bfe_u32 v6, v2, 8, 8
	v_cvt_f32_fp8_sdwa v6, v6 src0_sel:BYTE_0
	s_nop 0
	v_mul_f32_e32 v6, s18, v6
	v_and_b32_e32 v8, 0x7f800000, v6
	v_cmp_ne_u32_e64 s[0:1], s19, v8
                                        ; implicit-def: $vgpr8
	s_and_saveexec_b64 s[2:3], s[0:1]
	s_xor_b64 s[0:1], exec, s[2:3]
; %bb.138:                              ;   in Loop: Header=BB302_101 Depth=1
	v_bfe_u32 v8, v6, 16, 1
	v_add3_u32 v8, v6, v8, s26
                                        ; implicit-def: $vgpr6
; %bb.139:                              ;   in Loop: Header=BB302_101 Depth=1
	s_andn2_saveexec_b64 s[2:3], s[0:1]
; %bb.140:                              ;   in Loop: Header=BB302_101 Depth=1
	v_or_b32_e32 v8, 0x10000, v6
	v_cmp_eq_u32_sdwa s[0:1], v6, v15 src0_sel:WORD_0 src1_sel:DWORD
	s_nop 1
	v_cndmask_b32_e64 v8, v8, v6, s[0:1]
; %bb.141:                              ;   in Loop: Header=BB302_101 Depth=1
	s_or_b64 exec, exec, s[2:3]
	v_bfe_u32 v6, v2, 16, 8
	v_cvt_f32_fp8_sdwa v6, v6 src0_sel:BYTE_0
	s_nop 0
	v_mul_f32_e32 v6, s18, v6
	v_and_b32_e32 v9, 0x7f800000, v6
	v_cmp_ne_u32_e64 s[0:1], s19, v9
                                        ; implicit-def: $vgpr9
	s_and_saveexec_b64 s[2:3], s[0:1]
	s_xor_b64 s[0:1], exec, s[2:3]
; %bb.142:                              ;   in Loop: Header=BB302_101 Depth=1
	v_bfe_u32 v9, v6, 16, 1
	v_add3_u32 v9, v6, v9, s26
                                        ; implicit-def: $vgpr6
; %bb.143:                              ;   in Loop: Header=BB302_101 Depth=1
	s_andn2_saveexec_b64 s[2:3], s[0:1]
; %bb.144:                              ;   in Loop: Header=BB302_101 Depth=1
	v_or_b32_e32 v9, 0x10000, v6
	v_cmp_eq_u32_sdwa s[0:1], v6, v15 src0_sel:WORD_0 src1_sel:DWORD
	s_nop 1
	v_cndmask_b32_e64 v9, v9, v6, s[0:1]
; %bb.145:                              ;   in Loop: Header=BB302_101 Depth=1
	s_or_b64 exec, exec, s[2:3]
	v_lshrrev_b32_e32 v2, 24, v2
	v_cvt_f32_fp8_sdwa v2, v2 src0_sel:BYTE_0
	s_nop 0
	v_mul_f32_e32 v6, s18, v2
	v_and_b32_e32 v2, 0x7f800000, v6
	v_cmp_ne_u32_e64 s[0:1], s19, v2
                                        ; implicit-def: $vgpr2
	s_and_saveexec_b64 s[2:3], s[0:1]
	s_xor_b64 s[0:1], exec, s[2:3]
; %bb.146:                              ;   in Loop: Header=BB302_101 Depth=1
	v_bfe_u32 v2, v6, 16, 1
	v_add3_u32 v2, v6, v2, s26
                                        ; implicit-def: $vgpr6
; %bb.147:                              ;   in Loop: Header=BB302_101 Depth=1
	s_andn2_saveexec_b64 s[2:3], s[0:1]
; %bb.148:                              ;   in Loop: Header=BB302_101 Depth=1
	v_or_b32_e32 v2, 0x10000, v6
	v_cmp_eq_u32_sdwa s[0:1], v6, v15 src0_sel:WORD_0 src1_sel:DWORD
	s_nop 1
	v_cndmask_b32_e64 v2, v2, v6, s[0:1]
; %bb.149:                              ;   in Loop: Header=BB302_101 Depth=1
	s_or_b64 exec, exec, s[2:3]
	v_and_b32_e32 v6, 0xff, v3
	v_cvt_f32_fp8_sdwa v6, v6 src0_sel:BYTE_0
	s_nop 0
	v_mul_f32_e32 v6, s18, v6
	v_and_b32_e32 v30, 0x7f800000, v6
	v_cmp_ne_u32_e64 s[0:1], s19, v30
                                        ; implicit-def: $vgpr30
	s_and_saveexec_b64 s[2:3], s[0:1]
	s_xor_b64 s[0:1], exec, s[2:3]
; %bb.150:                              ;   in Loop: Header=BB302_101 Depth=1
	v_bfe_u32 v30, v6, 16, 1
	v_add3_u32 v30, v6, v30, s26
                                        ; implicit-def: $vgpr6
; %bb.151:                              ;   in Loop: Header=BB302_101 Depth=1
	s_andn2_saveexec_b64 s[2:3], s[0:1]
; %bb.152:                              ;   in Loop: Header=BB302_101 Depth=1
	v_or_b32_e32 v30, 0x10000, v6
	v_cmp_eq_u32_sdwa s[0:1], v6, v15 src0_sel:WORD_0 src1_sel:DWORD
	s_nop 1
	v_cndmask_b32_e64 v30, v30, v6, s[0:1]
; %bb.153:                              ;   in Loop: Header=BB302_101 Depth=1
	s_or_b64 exec, exec, s[2:3]
	v_bfe_u32 v6, v3, 8, 8
	v_cvt_f32_fp8_sdwa v6, v6 src0_sel:BYTE_0
	s_nop 0
	v_mul_f32_e32 v6, s18, v6
	v_and_b32_e32 v31, 0x7f800000, v6
	v_cmp_ne_u32_e64 s[0:1], s19, v31
                                        ; implicit-def: $vgpr31
	s_and_saveexec_b64 s[2:3], s[0:1]
	s_xor_b64 s[0:1], exec, s[2:3]
; %bb.154:                              ;   in Loop: Header=BB302_101 Depth=1
	v_bfe_u32 v31, v6, 16, 1
	v_add3_u32 v31, v6, v31, s26
                                        ; implicit-def: $vgpr6
; %bb.155:                              ;   in Loop: Header=BB302_101 Depth=1
	s_andn2_saveexec_b64 s[2:3], s[0:1]
; %bb.156:                              ;   in Loop: Header=BB302_101 Depth=1
	v_or_b32_e32 v31, 0x10000, v6
	v_cmp_eq_u32_sdwa s[0:1], v6, v15 src0_sel:WORD_0 src1_sel:DWORD
	s_nop 1
	v_cndmask_b32_e64 v31, v31, v6, s[0:1]
; %bb.157:                              ;   in Loop: Header=BB302_101 Depth=1
	s_or_b64 exec, exec, s[2:3]
	v_bfe_u32 v6, v3, 16, 8
	v_cvt_f32_fp8_sdwa v6, v6 src0_sel:BYTE_0
                                        ; implicit-def: $vgpr35
	s_nop 0
	v_mul_f32_e32 v6, s18, v6
	v_and_b32_e32 v32, 0x7f800000, v6
	v_cmp_ne_u32_e64 s[0:1], s19, v32
	s_and_saveexec_b64 s[2:3], s[0:1]
	s_xor_b64 s[0:1], exec, s[2:3]
; %bb.158:                              ;   in Loop: Header=BB302_101 Depth=1
	v_bfe_u32 v32, v6, 16, 1
	v_add3_u32 v35, v6, v32, s26
                                        ; implicit-def: $vgpr6
; %bb.159:                              ;   in Loop: Header=BB302_101 Depth=1
	s_andn2_saveexec_b64 s[2:3], s[0:1]
; %bb.160:                              ;   in Loop: Header=BB302_101 Depth=1
	v_or_b32_e32 v32, 0x10000, v6
	v_cmp_eq_u32_sdwa s[0:1], v6, v15 src0_sel:WORD_0 src1_sel:DWORD
	s_nop 1
	v_cndmask_b32_e64 v35, v32, v6, s[0:1]
; %bb.161:                              ;   in Loop: Header=BB302_101 Depth=1
	s_or_b64 exec, exec, s[2:3]
	v_lshrrev_b32_e32 v3, 24, v3
	v_cvt_f32_fp8_sdwa v3, v3 src0_sel:BYTE_0
                                        ; implicit-def: $vgpr36
	s_nop 0
	v_mul_f32_e32 v3, s18, v3
	v_and_b32_e32 v6, 0x7f800000, v3
	v_cmp_ne_u32_e64 s[0:1], s19, v6
	s_and_saveexec_b64 s[2:3], s[0:1]
	s_xor_b64 s[0:1], exec, s[2:3]
; %bb.162:                              ;   in Loop: Header=BB302_101 Depth=1
	v_bfe_u32 v6, v3, 16, 1
	v_add3_u32 v36, v3, v6, s26
                                        ; implicit-def: $vgpr3
; %bb.163:                              ;   in Loop: Header=BB302_101 Depth=1
	s_andn2_saveexec_b64 s[2:3], s[0:1]
; %bb.164:                              ;   in Loop: Header=BB302_101 Depth=1
	v_or_b32_e32 v6, 0x10000, v3
	v_cmp_eq_u32_sdwa s[0:1], v3, v15 src0_sel:WORD_0 src1_sel:DWORD
	s_nop 1
	v_cndmask_b32_e64 v36, v6, v3, s[0:1]
; %bb.165:                              ;   in Loop: Header=BB302_101 Depth=1
	s_or_b64 exec, exec, s[2:3]
	v_cmp_eq_u32_e64 s[2:3], s30, v1
	v_add_u32_e32 v6, -7, v20
	v_lshrrev_b32_e32 v31, 16, v31
	v_lshrrev_b32_e32 v32, 16, v30
	;; [unrolled: 1-line block ×8, first 2 shown]
	s_and_saveexec_b64 s[14:15], s[2:3]
	s_cbranch_execz .LBB302_167
; %bb.166:                              ;   in Loop: Header=BB302_101 Depth=1
	v_cmp_gt_i32_e64 s[0:1], s33, v6
	v_add_u32_e32 v7, -6, v20
	s_nop 0
	v_cndmask_b32_e64 v3, 0, v3, s[0:1]
	v_cmp_gt_i32_e64 s[0:1], s33, v7
	v_add_u32_e32 v7, -5, v20
	s_nop 0
	v_cndmask_b32_e64 v9, 0, v9, s[0:1]
	v_cmp_gt_i32_e64 s[0:1], s33, v7
	v_add_u32_e32 v7, -4, v20
	s_nop 0
	v_cndmask_b32_e64 v34, 0, v34, s[0:1]
	v_cmp_gt_i32_e64 s[0:1], s33, v7
	v_add_u32_e32 v7, -3, v20
	s_nop 0
	v_cndmask_b32_e64 v33, 0, v33, s[0:1]
	v_cmp_gt_i32_e64 s[0:1], s33, v7
	v_add_u32_e32 v7, -2, v20
	s_nop 0
	v_cndmask_b32_e64 v32, 0, v32, s[0:1]
	v_cmp_gt_i32_e64 s[0:1], s33, v7
	v_add_u32_e32 v7, -1, v20
	s_nop 0
	v_cndmask_b32_e64 v31, 0, v31, s[0:1]
	v_cmp_gt_i32_e64 s[0:1], s33, v7
	s_nop 1
	v_cndmask_b32_e64 v30, 0, v30, s[0:1]
	v_cmp_gt_i32_e64 s[0:1], s33, v20
	s_nop 1
	v_cndmask_b32_e64 v2, 0, v2, s[0:1]
.LBB302_167:                            ;   in Loop: Header=BB302_101 Depth=1
	s_or_b64 exec, exec, s[14:15]
	v_and_b32_e32 v7, 0xffff0000, v29
	v_lshlrev_b32_e32 v3, 16, v3
	v_mul_f32_e32 v8, v7, v3
	v_and_b32_e32 v3, 0x7f800000, v8
	v_cmp_ne_u32_e64 s[0:1], s19, v3
                                        ; implicit-def: $vgpr3
	s_and_saveexec_b64 s[14:15], s[0:1]
	s_xor_b64 s[0:1], exec, s[14:15]
; %bb.168:                              ;   in Loop: Header=BB302_101 Depth=1
	v_bfe_u32 v3, v8, 16, 1
	v_add3_u32 v3, v8, v3, s26
                                        ; implicit-def: $vgpr8
; %bb.169:                              ;   in Loop: Header=BB302_101 Depth=1
	s_andn2_saveexec_b64 s[14:15], s[0:1]
; %bb.170:                              ;   in Loop: Header=BB302_101 Depth=1
	v_or_b32_e32 v3, 0x10000, v8
	v_cmp_eq_u32_sdwa s[0:1], v8, v15 src0_sel:WORD_0 src1_sel:DWORD
	s_nop 1
	v_cndmask_b32_e64 v3, v3, v8, s[0:1]
; %bb.171:                              ;   in Loop: Header=BB302_101 Depth=1
	s_or_b64 exec, exec, s[14:15]
	v_and_b32_e32 v8, 0xffff0000, v28
	v_lshlrev_b32_e32 v9, 16, v9
	v_mul_f32_e32 v9, v8, v9
	v_and_b32_e32 v28, 0x7f800000, v9
	v_cmp_ne_u32_e64 s[0:1], s19, v28
                                        ; implicit-def: $vgpr28
	s_and_saveexec_b64 s[14:15], s[0:1]
	s_xor_b64 s[0:1], exec, s[14:15]
; %bb.172:                              ;   in Loop: Header=BB302_101 Depth=1
	v_bfe_u32 v28, v9, 16, 1
	v_add3_u32 v28, v9, v28, s26
                                        ; implicit-def: $vgpr9
; %bb.173:                              ;   in Loop: Header=BB302_101 Depth=1
	s_andn2_saveexec_b64 s[14:15], s[0:1]
; %bb.174:                              ;   in Loop: Header=BB302_101 Depth=1
	v_or_b32_e32 v28, 0x10000, v9
	v_cmp_eq_u32_sdwa s[0:1], v9, v15 src0_sel:WORD_0 src1_sel:DWORD
	s_nop 1
	v_cndmask_b32_e64 v28, v28, v9, s[0:1]
; %bb.175:                              ;   in Loop: Header=BB302_101 Depth=1
	s_or_b64 exec, exec, s[14:15]
	v_and_b32_e32 v9, 0xffff0000, v27
	v_lshlrev_b32_e32 v27, 16, v34
	v_mul_f32_e32 v29, v9, v27
	v_and_b32_e32 v27, 0x7f800000, v29
	v_cmp_ne_u32_e64 s[0:1], s19, v27
                                        ; implicit-def: $vgpr27
	s_and_saveexec_b64 s[14:15], s[0:1]
	s_xor_b64 s[0:1], exec, s[14:15]
; %bb.176:                              ;   in Loop: Header=BB302_101 Depth=1
	v_bfe_u32 v27, v29, 16, 1
	v_add3_u32 v27, v29, v27, s26
                                        ; implicit-def: $vgpr29
; %bb.177:                              ;   in Loop: Header=BB302_101 Depth=1
	s_andn2_saveexec_b64 s[14:15], s[0:1]
; %bb.178:                              ;   in Loop: Header=BB302_101 Depth=1
	v_or_b32_e32 v27, 0x10000, v29
	v_cmp_eq_u32_sdwa s[0:1], v29, v15 src0_sel:WORD_0 src1_sel:DWORD
	s_nop 1
	v_cndmask_b32_e64 v27, v27, v29, s[0:1]
; %bb.179:                              ;   in Loop: Header=BB302_101 Depth=1
	s_or_b64 exec, exec, s[14:15]
	v_and_b32_e32 v22, 0xffff0000, v22
	v_lshlrev_b32_e32 v29, 16, v33
	v_mul_f32_e32 v33, v22, v29
	v_and_b32_e32 v29, 0x7f800000, v33
	v_cmp_ne_u32_e64 s[0:1], s19, v29
                                        ; implicit-def: $vgpr29
	s_and_saveexec_b64 s[14:15], s[0:1]
	s_xor_b64 s[0:1], exec, s[14:15]
; %bb.180:                              ;   in Loop: Header=BB302_101 Depth=1
	v_bfe_u32 v29, v33, 16, 1
	v_add3_u32 v29, v33, v29, s26
                                        ; implicit-def: $vgpr33
; %bb.181:                              ;   in Loop: Header=BB302_101 Depth=1
	s_andn2_saveexec_b64 s[14:15], s[0:1]
; %bb.182:                              ;   in Loop: Header=BB302_101 Depth=1
	v_or_b32_e32 v29, 0x10000, v33
	v_cmp_eq_u32_sdwa s[0:1], v33, v15 src0_sel:WORD_0 src1_sel:DWORD
	s_nop 1
	v_cndmask_b32_e64 v29, v29, v33, s[0:1]
; %bb.183:                              ;   in Loop: Header=BB302_101 Depth=1
	s_or_b64 exec, exec, s[14:15]
	v_and_b32_e32 v23, 0xffff0000, v23
	v_lshlrev_b32_e32 v32, 16, v32
	v_mul_f32_e32 v33, v23, v32
	v_and_b32_e32 v32, 0x7f800000, v33
	v_cmp_ne_u32_e64 s[0:1], s19, v32
                                        ; implicit-def: $vgpr32
	s_and_saveexec_b64 s[14:15], s[0:1]
	s_xor_b64 s[0:1], exec, s[14:15]
; %bb.184:                              ;   in Loop: Header=BB302_101 Depth=1
	v_bfe_u32 v32, v33, 16, 1
	v_add3_u32 v32, v33, v32, s26
                                        ; implicit-def: $vgpr33
; %bb.185:                              ;   in Loop: Header=BB302_101 Depth=1
	s_andn2_saveexec_b64 s[14:15], s[0:1]
; %bb.186:                              ;   in Loop: Header=BB302_101 Depth=1
	v_or_b32_e32 v32, 0x10000, v33
	v_cmp_eq_u32_sdwa s[0:1], v33, v15 src0_sel:WORD_0 src1_sel:DWORD
	s_nop 1
	v_cndmask_b32_e64 v32, v32, v33, s[0:1]
; %bb.187:                              ;   in Loop: Header=BB302_101 Depth=1
	s_or_b64 exec, exec, s[14:15]
	v_and_b32_e32 v24, 0xffff0000, v24
	v_lshlrev_b32_e32 v31, 16, v31
	v_mul_f32_e32 v33, v24, v31
	v_and_b32_e32 v31, 0x7f800000, v33
	v_cmp_ne_u32_e64 s[0:1], s19, v31
                                        ; implicit-def: $vgpr31
	s_and_saveexec_b64 s[14:15], s[0:1]
	s_xor_b64 s[0:1], exec, s[14:15]
; %bb.188:                              ;   in Loop: Header=BB302_101 Depth=1
	v_bfe_u32 v31, v33, 16, 1
	v_add3_u32 v31, v33, v31, s26
                                        ; implicit-def: $vgpr33
; %bb.189:                              ;   in Loop: Header=BB302_101 Depth=1
	s_andn2_saveexec_b64 s[14:15], s[0:1]
; %bb.190:                              ;   in Loop: Header=BB302_101 Depth=1
	v_or_b32_e32 v31, 0x10000, v33
	v_cmp_eq_u32_sdwa s[0:1], v33, v15 src0_sel:WORD_0 src1_sel:DWORD
	s_nop 1
	v_cndmask_b32_e64 v31, v31, v33, s[0:1]
; %bb.191:                              ;   in Loop: Header=BB302_101 Depth=1
	s_or_b64 exec, exec, s[14:15]
	v_and_b32_e32 v25, 0xffff0000, v25
	v_lshlrev_b32_e32 v30, 16, v30
	v_mul_f32_e32 v33, v25, v30
	v_and_b32_e32 v30, 0x7f800000, v33
	v_cmp_ne_u32_e64 s[0:1], s19, v30
                                        ; implicit-def: $vgpr30
	s_and_saveexec_b64 s[14:15], s[0:1]
	s_xor_b64 s[0:1], exec, s[14:15]
; %bb.192:                              ;   in Loop: Header=BB302_101 Depth=1
	v_bfe_u32 v30, v33, 16, 1
	v_add3_u32 v30, v33, v30, s26
                                        ; implicit-def: $vgpr33
; %bb.193:                              ;   in Loop: Header=BB302_101 Depth=1
	s_andn2_saveexec_b64 s[14:15], s[0:1]
; %bb.194:                              ;   in Loop: Header=BB302_101 Depth=1
	v_or_b32_e32 v30, 0x10000, v33
	v_cmp_eq_u32_sdwa s[0:1], v33, v15 src0_sel:WORD_0 src1_sel:DWORD
	s_nop 1
	v_cndmask_b32_e64 v30, v30, v33, s[0:1]
; %bb.195:                              ;   in Loop: Header=BB302_101 Depth=1
	s_or_b64 exec, exec, s[14:15]
	v_and_b32_e32 v26, 0xffff0000, v26
	v_lshlrev_b32_e32 v2, 16, v2
	v_mul_f32_e32 v2, v26, v2
	v_and_b32_e32 v33, 0x7f800000, v2
	v_cmp_ne_u32_e64 s[0:1], s19, v33
                                        ; implicit-def: $vgpr33
	s_and_saveexec_b64 s[14:15], s[0:1]
	s_xor_b64 s[0:1], exec, s[14:15]
; %bb.196:                              ;   in Loop: Header=BB302_101 Depth=1
	v_bfe_u32 v33, v2, 16, 1
	v_add3_u32 v33, v2, v33, s26
                                        ; implicit-def: $vgpr2
; %bb.197:                              ;   in Loop: Header=BB302_101 Depth=1
	s_andn2_saveexec_b64 s[14:15], s[0:1]
; %bb.198:                              ;   in Loop: Header=BB302_101 Depth=1
	v_or_b32_e32 v33, 0x10000, v2
	v_cmp_eq_u32_sdwa s[0:1], v2, v15 src0_sel:WORD_0 src1_sel:DWORD
	s_nop 1
	v_cndmask_b32_e64 v33, v33, v2, s[0:1]
; %bb.199:                              ;   in Loop: Header=BB302_101 Depth=1
	s_or_b64 exec, exec, s[14:15]
	v_and_b32_e32 v35, 0xffff0000, v33
	v_and_b32_e32 v34, 0xffff0000, v31
	;; [unrolled: 1-line block ×8, first 2 shown]
	v_pk_add_f32 v[2:3], v[32:33], v[28:29]
	s_nop 0
	v_mov_b32_e32 v28, v3
	v_pk_add_f32 v[2:3], v[2:3], v[28:29]
	v_pk_add_f32 v[28:29], v[30:31], v[34:35]
	s_nop 0
	v_pk_add_f32 v[2:3], v[2:3], v[28:29]
	v_mov_b32_e32 v28, v29
	v_pk_add_f32 v[2:3], v[2:3], v[28:29]
	s_nop 0
	v_pk_add_f32 v[2:3], v[12:13], v[2:3]
	s_and_saveexec_b64 s[14:15], vcc
	s_cbranch_execz .LBB302_100
; %bb.200:                              ;   in Loop: Header=BB302_101 Depth=1
	v_lshl_add_u64 v[4:5], v[4:5], 0, v[16:17]
	global_load_dwordx2 v[4:5], v[4:5], off
	s_waitcnt vmcnt(0)
	v_and_b32_e32 v3, 0xff, v4
	v_cvt_f32_fp8_sdwa v3, v3 src0_sel:BYTE_0
	s_nop 0
	v_mul_f32_e32 v27, s18, v3
	v_and_b32_e32 v3, 0x7f800000, v27
	v_cmp_ne_u32_e64 s[0:1], s19, v3
                                        ; implicit-def: $vgpr3
	s_and_saveexec_b64 s[16:17], s[0:1]
	s_xor_b64 s[0:1], exec, s[16:17]
; %bb.201:                              ;   in Loop: Header=BB302_101 Depth=1
	v_bfe_u32 v3, v27, 16, 1
	v_add3_u32 v3, v27, v3, s26
                                        ; implicit-def: $vgpr27
; %bb.202:                              ;   in Loop: Header=BB302_101 Depth=1
	s_andn2_saveexec_b64 s[16:17], s[0:1]
; %bb.203:                              ;   in Loop: Header=BB302_101 Depth=1
	v_or_b32_e32 v3, 0x10000, v27
	v_cmp_eq_u32_sdwa s[0:1], v27, v15 src0_sel:WORD_0 src1_sel:DWORD
	s_nop 1
	v_cndmask_b32_e64 v3, v3, v27, s[0:1]
; %bb.204:                              ;   in Loop: Header=BB302_101 Depth=1
	s_or_b64 exec, exec, s[16:17]
	v_bfe_u32 v27, v4, 8, 8
	v_cvt_f32_fp8_sdwa v27, v27 src0_sel:BYTE_0
	s_nop 0
	v_mul_f32_e32 v28, s18, v27
	v_and_b32_e32 v27, 0x7f800000, v28
	v_cmp_ne_u32_e64 s[0:1], s19, v27
                                        ; implicit-def: $vgpr27
	s_and_saveexec_b64 s[16:17], s[0:1]
	s_xor_b64 s[0:1], exec, s[16:17]
; %bb.205:                              ;   in Loop: Header=BB302_101 Depth=1
	v_bfe_u32 v27, v28, 16, 1
	v_add3_u32 v27, v28, v27, s26
                                        ; implicit-def: $vgpr28
; %bb.206:                              ;   in Loop: Header=BB302_101 Depth=1
	s_andn2_saveexec_b64 s[16:17], s[0:1]
; %bb.207:                              ;   in Loop: Header=BB302_101 Depth=1
	v_or_b32_e32 v27, 0x10000, v28
	v_cmp_eq_u32_sdwa s[0:1], v28, v15 src0_sel:WORD_0 src1_sel:DWORD
	s_nop 1
	v_cndmask_b32_e64 v27, v27, v28, s[0:1]
; %bb.208:                              ;   in Loop: Header=BB302_101 Depth=1
	s_or_b64 exec, exec, s[16:17]
	v_bfe_u32 v28, v4, 16, 8
	v_cvt_f32_fp8_sdwa v28, v28 src0_sel:BYTE_0
	s_nop 0
	v_mul_f32_e32 v28, s18, v28
	v_and_b32_e32 v29, 0x7f800000, v28
	v_cmp_ne_u32_e64 s[0:1], s19, v29
                                        ; implicit-def: $vgpr29
	s_and_saveexec_b64 s[16:17], s[0:1]
	s_xor_b64 s[0:1], exec, s[16:17]
; %bb.209:                              ;   in Loop: Header=BB302_101 Depth=1
	v_bfe_u32 v29, v28, 16, 1
	v_add3_u32 v29, v28, v29, s26
                                        ; implicit-def: $vgpr28
; %bb.210:                              ;   in Loop: Header=BB302_101 Depth=1
	s_andn2_saveexec_b64 s[16:17], s[0:1]
; %bb.211:                              ;   in Loop: Header=BB302_101 Depth=1
	v_or_b32_e32 v29, 0x10000, v28
	v_cmp_eq_u32_sdwa s[0:1], v28, v15 src0_sel:WORD_0 src1_sel:DWORD
	s_nop 1
	v_cndmask_b32_e64 v29, v29, v28, s[0:1]
; %bb.212:                              ;   in Loop: Header=BB302_101 Depth=1
	s_or_b64 exec, exec, s[16:17]
	v_lshrrev_b32_e32 v4, 24, v4
	v_cvt_f32_fp8_sdwa v4, v4 src0_sel:BYTE_0
	s_nop 0
	v_mul_f32_e32 v28, s18, v4
	v_and_b32_e32 v4, 0x7f800000, v28
	v_cmp_ne_u32_e64 s[0:1], s19, v4
                                        ; implicit-def: $vgpr4
	s_and_saveexec_b64 s[16:17], s[0:1]
	s_xor_b64 s[0:1], exec, s[16:17]
; %bb.213:                              ;   in Loop: Header=BB302_101 Depth=1
	v_bfe_u32 v4, v28, 16, 1
	v_add3_u32 v4, v28, v4, s26
                                        ; implicit-def: $vgpr28
; %bb.214:                              ;   in Loop: Header=BB302_101 Depth=1
	s_andn2_saveexec_b64 s[16:17], s[0:1]
; %bb.215:                              ;   in Loop: Header=BB302_101 Depth=1
	v_or_b32_e32 v4, 0x10000, v28
	v_cmp_eq_u32_sdwa s[0:1], v28, v15 src0_sel:WORD_0 src1_sel:DWORD
	s_nop 1
	v_cndmask_b32_e64 v4, v4, v28, s[0:1]
; %bb.216:                              ;   in Loop: Header=BB302_101 Depth=1
	s_or_b64 exec, exec, s[16:17]
	v_and_b32_e32 v28, 0xff, v5
	v_cvt_f32_fp8_sdwa v28, v28 src0_sel:BYTE_0
	s_nop 0
	v_mul_f32_e32 v28, s18, v28
	v_and_b32_e32 v30, 0x7f800000, v28
	v_cmp_ne_u32_e64 s[0:1], s19, v30
                                        ; implicit-def: $vgpr30
	s_and_saveexec_b64 s[16:17], s[0:1]
	s_xor_b64 s[0:1], exec, s[16:17]
; %bb.217:                              ;   in Loop: Header=BB302_101 Depth=1
	v_bfe_u32 v30, v28, 16, 1
	v_add3_u32 v30, v28, v30, s26
                                        ; implicit-def: $vgpr28
; %bb.218:                              ;   in Loop: Header=BB302_101 Depth=1
	s_andn2_saveexec_b64 s[16:17], s[0:1]
; %bb.219:                              ;   in Loop: Header=BB302_101 Depth=1
	v_or_b32_e32 v30, 0x10000, v28
	v_cmp_eq_u32_sdwa s[0:1], v28, v15 src0_sel:WORD_0 src1_sel:DWORD
	s_nop 1
	v_cndmask_b32_e64 v30, v30, v28, s[0:1]
; %bb.220:                              ;   in Loop: Header=BB302_101 Depth=1
	s_or_b64 exec, exec, s[16:17]
	v_bfe_u32 v28, v5, 8, 8
	v_cvt_f32_fp8_sdwa v28, v28 src0_sel:BYTE_0
	s_nop 0
	v_mul_f32_e32 v31, s18, v28
	v_and_b32_e32 v28, 0x7f800000, v31
	v_cmp_ne_u32_e64 s[0:1], s19, v28
                                        ; implicit-def: $vgpr28
	s_and_saveexec_b64 s[16:17], s[0:1]
	s_xor_b64 s[0:1], exec, s[16:17]
; %bb.221:                              ;   in Loop: Header=BB302_101 Depth=1
	v_bfe_u32 v28, v31, 16, 1
	v_add3_u32 v28, v31, v28, s26
                                        ; implicit-def: $vgpr31
; %bb.222:                              ;   in Loop: Header=BB302_101 Depth=1
	s_andn2_saveexec_b64 s[16:17], s[0:1]
; %bb.223:                              ;   in Loop: Header=BB302_101 Depth=1
	v_or_b32_e32 v28, 0x10000, v31
	v_cmp_eq_u32_sdwa s[0:1], v31, v15 src0_sel:WORD_0 src1_sel:DWORD
	s_nop 1
	v_cndmask_b32_e64 v28, v28, v31, s[0:1]
; %bb.224:                              ;   in Loop: Header=BB302_101 Depth=1
	s_or_b64 exec, exec, s[16:17]
	v_bfe_u32 v31, v5, 16, 8
	v_cvt_f32_fp8_sdwa v31, v31 src0_sel:BYTE_0
	s_nop 0
	v_mul_f32_e32 v31, s18, v31
	v_and_b32_e32 v32, 0x7f800000, v31
	v_cmp_ne_u32_e64 s[0:1], s19, v32
                                        ; implicit-def: $vgpr32
	s_and_saveexec_b64 s[16:17], s[0:1]
	s_xor_b64 s[0:1], exec, s[16:17]
; %bb.225:                              ;   in Loop: Header=BB302_101 Depth=1
	v_bfe_u32 v32, v31, 16, 1
	v_add3_u32 v32, v31, v32, s26
                                        ; implicit-def: $vgpr31
; %bb.226:                              ;   in Loop: Header=BB302_101 Depth=1
	s_andn2_saveexec_b64 s[16:17], s[0:1]
; %bb.227:                              ;   in Loop: Header=BB302_101 Depth=1
	v_or_b32_e32 v32, 0x10000, v31
	v_cmp_eq_u32_sdwa s[0:1], v31, v15 src0_sel:WORD_0 src1_sel:DWORD
	s_nop 1
	v_cndmask_b32_e64 v32, v32, v31, s[0:1]
; %bb.228:                              ;   in Loop: Header=BB302_101 Depth=1
	s_or_b64 exec, exec, s[16:17]
	v_lshrrev_b32_e32 v5, 24, v5
	v_cvt_f32_fp8_sdwa v5, v5 src0_sel:BYTE_0
                                        ; implicit-def: $vgpr33
	s_nop 0
	v_mul_f32_e32 v5, s18, v5
	v_and_b32_e32 v31, 0x7f800000, v5
	v_cmp_ne_u32_e64 s[0:1], s19, v31
	s_and_saveexec_b64 s[16:17], s[0:1]
	s_xor_b64 s[0:1], exec, s[16:17]
; %bb.229:                              ;   in Loop: Header=BB302_101 Depth=1
	v_bfe_u32 v31, v5, 16, 1
	v_add3_u32 v33, v5, v31, s26
                                        ; implicit-def: $vgpr5
; %bb.230:                              ;   in Loop: Header=BB302_101 Depth=1
	s_andn2_saveexec_b64 s[16:17], s[0:1]
; %bb.231:                              ;   in Loop: Header=BB302_101 Depth=1
	v_or_b32_e32 v31, 0x10000, v5
	v_cmp_eq_u32_sdwa s[0:1], v5, v15 src0_sel:WORD_0 src1_sel:DWORD
	s_nop 1
	v_cndmask_b32_e64 v33, v31, v5, s[0:1]
; %bb.232:                              ;   in Loop: Header=BB302_101 Depth=1
	s_or_b64 exec, exec, s[16:17]
	v_lshrrev_b32_e32 v28, 16, v28
	v_lshrrev_b32_e32 v30, 16, v30
	;; [unrolled: 1-line block ×8, first 2 shown]
	s_and_saveexec_b64 s[16:17], s[2:3]
	s_cbranch_execz .LBB302_234
; %bb.233:                              ;   in Loop: Header=BB302_101 Depth=1
	v_cmp_gt_i32_e64 s[0:1], s33, v6
	v_add_u32_e32 v6, -6, v20
	s_nop 0
	v_cndmask_b32_e64 v4, 0, v4, s[0:1]
	v_cmp_gt_i32_e64 s[0:1], s33, v6
	v_add_u32_e32 v6, -5, v20
	s_nop 0
	v_cndmask_b32_e64 v27, 0, v27, s[0:1]
	;; [unrolled: 4-line block ×6, first 2 shown]
	v_cmp_gt_i32_e64 s[0:1], s33, v6
	s_nop 1
	v_cndmask_b32_e64 v5, 0, v5, s[0:1]
	v_cmp_gt_i32_e64 s[0:1], s33, v20
	s_nop 1
	v_cndmask_b32_e64 v3, 0, v3, s[0:1]
.LBB302_234:                            ;   in Loop: Header=BB302_101 Depth=1
	s_or_b64 exec, exec, s[16:17]
	v_lshlrev_b32_e32 v4, 16, v4
	v_mul_f32_e32 v6, v7, v4
	v_and_b32_e32 v4, 0x7f800000, v6
	v_cmp_ne_u32_e64 s[0:1], s19, v4
                                        ; implicit-def: $vgpr4
	s_and_saveexec_b64 s[2:3], s[0:1]
	s_xor_b64 s[0:1], exec, s[2:3]
; %bb.235:                              ;   in Loop: Header=BB302_101 Depth=1
	v_bfe_u32 v4, v6, 16, 1
	v_add3_u32 v4, v6, v4, s26
                                        ; implicit-def: $vgpr6
; %bb.236:                              ;   in Loop: Header=BB302_101 Depth=1
	s_andn2_saveexec_b64 s[2:3], s[0:1]
; %bb.237:                              ;   in Loop: Header=BB302_101 Depth=1
	v_or_b32_e32 v4, 0x10000, v6
	v_cmp_eq_u32_sdwa s[0:1], v6, v15 src0_sel:WORD_0 src1_sel:DWORD
	s_nop 1
	v_cndmask_b32_e64 v4, v4, v6, s[0:1]
; %bb.238:                              ;   in Loop: Header=BB302_101 Depth=1
	s_or_b64 exec, exec, s[2:3]
	v_lshlrev_b32_e32 v6, 16, v27
	v_mul_f32_e32 v7, v8, v6
	v_and_b32_e32 v6, 0x7f800000, v7
	v_cmp_ne_u32_e64 s[0:1], s19, v6
                                        ; implicit-def: $vgpr6
	s_and_saveexec_b64 s[2:3], s[0:1]
	s_xor_b64 s[0:1], exec, s[2:3]
; %bb.239:                              ;   in Loop: Header=BB302_101 Depth=1
	v_bfe_u32 v6, v7, 16, 1
	v_add3_u32 v6, v7, v6, s26
                                        ; implicit-def: $vgpr7
; %bb.240:                              ;   in Loop: Header=BB302_101 Depth=1
	s_andn2_saveexec_b64 s[2:3], s[0:1]
; %bb.241:                              ;   in Loop: Header=BB302_101 Depth=1
	v_or_b32_e32 v6, 0x10000, v7
	v_cmp_eq_u32_sdwa s[0:1], v7, v15 src0_sel:WORD_0 src1_sel:DWORD
	s_nop 1
	v_cndmask_b32_e64 v6, v6, v7, s[0:1]
; %bb.242:                              ;   in Loop: Header=BB302_101 Depth=1
	s_or_b64 exec, exec, s[2:3]
	v_lshlrev_b32_e32 v7, 16, v29
	v_mul_f32_e32 v8, v9, v7
	v_and_b32_e32 v7, 0x7f800000, v8
	v_cmp_ne_u32_e64 s[0:1], s19, v7
                                        ; implicit-def: $vgpr7
	s_and_saveexec_b64 s[2:3], s[0:1]
	s_xor_b64 s[0:1], exec, s[2:3]
; %bb.243:                              ;   in Loop: Header=BB302_101 Depth=1
	v_bfe_u32 v7, v8, 16, 1
	v_add3_u32 v7, v8, v7, s26
                                        ; implicit-def: $vgpr8
; %bb.244:                              ;   in Loop: Header=BB302_101 Depth=1
	s_andn2_saveexec_b64 s[2:3], s[0:1]
; %bb.245:                              ;   in Loop: Header=BB302_101 Depth=1
	v_or_b32_e32 v7, 0x10000, v8
	v_cmp_eq_u32_sdwa s[0:1], v8, v15 src0_sel:WORD_0 src1_sel:DWORD
	s_nop 1
	v_cndmask_b32_e64 v7, v7, v8, s[0:1]
; %bb.246:                              ;   in Loop: Header=BB302_101 Depth=1
	s_or_b64 exec, exec, s[2:3]
	v_lshlrev_b32_e32 v8, 16, v31
	v_mul_f32_e32 v9, v22, v8
	v_and_b32_e32 v8, 0x7f800000, v9
	v_cmp_ne_u32_e64 s[0:1], s19, v8
                                        ; implicit-def: $vgpr8
	s_and_saveexec_b64 s[2:3], s[0:1]
	s_xor_b64 s[0:1], exec, s[2:3]
; %bb.247:                              ;   in Loop: Header=BB302_101 Depth=1
	v_bfe_u32 v8, v9, 16, 1
	v_add3_u32 v8, v9, v8, s26
                                        ; implicit-def: $vgpr9
; %bb.248:                              ;   in Loop: Header=BB302_101 Depth=1
	s_andn2_saveexec_b64 s[2:3], s[0:1]
; %bb.249:                              ;   in Loop: Header=BB302_101 Depth=1
	v_or_b32_e32 v8, 0x10000, v9
	v_cmp_eq_u32_sdwa s[0:1], v9, v15 src0_sel:WORD_0 src1_sel:DWORD
	s_nop 1
	v_cndmask_b32_e64 v8, v8, v9, s[0:1]
; %bb.250:                              ;   in Loop: Header=BB302_101 Depth=1
	s_or_b64 exec, exec, s[2:3]
	v_lshlrev_b32_e32 v9, 16, v30
	v_mul_f32_e32 v22, v23, v9
	v_and_b32_e32 v9, 0x7f800000, v22
	v_cmp_ne_u32_e64 s[0:1], s19, v9
                                        ; implicit-def: $vgpr9
	s_and_saveexec_b64 s[2:3], s[0:1]
	s_xor_b64 s[0:1], exec, s[2:3]
; %bb.251:                              ;   in Loop: Header=BB302_101 Depth=1
	v_bfe_u32 v9, v22, 16, 1
	v_add3_u32 v9, v22, v9, s26
                                        ; implicit-def: $vgpr22
; %bb.252:                              ;   in Loop: Header=BB302_101 Depth=1
	s_andn2_saveexec_b64 s[2:3], s[0:1]
; %bb.253:                              ;   in Loop: Header=BB302_101 Depth=1
	v_or_b32_e32 v9, 0x10000, v22
	v_cmp_eq_u32_sdwa s[0:1], v22, v15 src0_sel:WORD_0 src1_sel:DWORD
	s_nop 1
	v_cndmask_b32_e64 v9, v9, v22, s[0:1]
; %bb.254:                              ;   in Loop: Header=BB302_101 Depth=1
	s_or_b64 exec, exec, s[2:3]
	v_lshlrev_b32_e32 v22, 16, v28
	v_mul_f32_e32 v23, v24, v22
	v_and_b32_e32 v22, 0x7f800000, v23
	v_cmp_ne_u32_e64 s[0:1], s19, v22
                                        ; implicit-def: $vgpr22
	s_and_saveexec_b64 s[2:3], s[0:1]
	s_xor_b64 s[0:1], exec, s[2:3]
; %bb.255:                              ;   in Loop: Header=BB302_101 Depth=1
	v_bfe_u32 v22, v23, 16, 1
	v_add3_u32 v22, v23, v22, s26
                                        ; implicit-def: $vgpr23
; %bb.256:                              ;   in Loop: Header=BB302_101 Depth=1
	s_andn2_saveexec_b64 s[2:3], s[0:1]
; %bb.257:                              ;   in Loop: Header=BB302_101 Depth=1
	v_or_b32_e32 v22, 0x10000, v23
	v_cmp_eq_u32_sdwa s[0:1], v23, v15 src0_sel:WORD_0 src1_sel:DWORD
	s_nop 1
	v_cndmask_b32_e64 v22, v22, v23, s[0:1]
; %bb.258:                              ;   in Loop: Header=BB302_101 Depth=1
	s_or_b64 exec, exec, s[2:3]
	v_lshlrev_b32_e32 v5, 16, v5
	v_mul_f32_e32 v23, v25, v5
	v_and_b32_e32 v5, 0x7f800000, v23
	v_cmp_ne_u32_e64 s[0:1], s19, v5
                                        ; implicit-def: $vgpr5
	s_and_saveexec_b64 s[2:3], s[0:1]
	s_xor_b64 s[0:1], exec, s[2:3]
; %bb.259:                              ;   in Loop: Header=BB302_101 Depth=1
	v_bfe_u32 v5, v23, 16, 1
	v_add3_u32 v5, v23, v5, s26
                                        ; implicit-def: $vgpr23
; %bb.260:                              ;   in Loop: Header=BB302_101 Depth=1
	s_andn2_saveexec_b64 s[2:3], s[0:1]
; %bb.261:                              ;   in Loop: Header=BB302_101 Depth=1
	v_or_b32_e32 v5, 0x10000, v23
	v_cmp_eq_u32_sdwa s[0:1], v23, v15 src0_sel:WORD_0 src1_sel:DWORD
	s_nop 1
	v_cndmask_b32_e64 v5, v5, v23, s[0:1]
; %bb.262:                              ;   in Loop: Header=BB302_101 Depth=1
	s_or_b64 exec, exec, s[2:3]
	v_lshlrev_b32_e32 v3, 16, v3
	v_mul_f32_e32 v3, v26, v3
	v_and_b32_e32 v23, 0x7f800000, v3
	v_cmp_ne_u32_e64 s[0:1], s19, v23
                                        ; implicit-def: $vgpr23
	s_and_saveexec_b64 s[2:3], s[0:1]
	s_xor_b64 s[0:1], exec, s[2:3]
; %bb.263:                              ;   in Loop: Header=BB302_101 Depth=1
	v_bfe_u32 v23, v3, 16, 1
	v_add3_u32 v23, v3, v23, s26
                                        ; implicit-def: $vgpr3
; %bb.264:                              ;   in Loop: Header=BB302_101 Depth=1
	s_andn2_saveexec_b64 s[2:3], s[0:1]
	s_cbranch_execz .LBB302_99
; %bb.265:                              ;   in Loop: Header=BB302_101 Depth=1
	v_or_b32_e32 v23, 0x10000, v3
	v_cmp_eq_u32_sdwa s[0:1], v3, v15 src0_sel:WORD_0 src1_sel:DWORD
	s_nop 1
	v_cndmask_b32_e64 v23, v23, v3, s[0:1]
	s_branch .LBB302_99
.LBB302_266:
	s_or_b64 exec, exec, s[12:13]
.LBB302_267:
	s_or_b64 exec, exec, s[8:9]
	v_and_b32_e32 v1, 0x3c0, v0
	v_cmp_eq_u32_e32 vcc, 64, v1
	s_barrier
	s_and_saveexec_b64 s[0:1], vcc
	s_cbranch_execz .LBB302_270
; %bb.268:
	v_mov_b32_e32 v1, 0x100
	v_lshl_add_u32 v3, v11, 2, v1
	ds_write_b32 v3, v2
	s_and_b64 exec, exec, s[6:7]
	s_cbranch_execz .LBB302_270
; %bb.269:
	v_lshl_add_u32 v1, v0, 2, v1
	ds_write_b32 v1, v13
.LBB302_270:
	s_or_b64 exec, exec, s[0:1]
	v_cmp_gt_u32_e32 vcc, 64, v0
	v_or_b32_e32 v1, 64, v0
	s_waitcnt lgkmcnt(0)
	s_barrier
	s_and_saveexec_b64 s[2:3], vcc
	s_cbranch_execz .LBB302_274
; %bb.271:
	v_mov_b32_e32 v3, 0x100
	v_lshl_add_u32 v3, v0, 2, v3
	ds_read_b32 v0, v3
	s_movk_i32 s0, 0x78
	v_cmp_gt_u32_e64 s[0:1], s0, v1
	s_and_saveexec_b64 s[6:7], s[0:1]
	s_cbranch_execz .LBB302_273
; %bb.272:
	ds_read_b32 v3, v3 offset:256
	s_waitcnt lgkmcnt(0)
	v_add_f32_e32 v13, v13, v3
.LBB302_273:
	s_or_b64 exec, exec, s[6:7]
	s_waitcnt lgkmcnt(0)
	v_add_f32_e32 v2, v2, v0
.LBB302_274:
	s_or_b64 exec, exec, s[2:3]
	s_barrier
	s_and_saveexec_b64 s[0:1], vcc
	s_cbranch_execz .LBB302_285
; %bb.275:
	s_mov_b32 s0, 0x7f800000
	v_and_b32_e32 v0, 0x7f800000, v2
	v_cmp_ne_u32_e32 vcc, s0, v0
                                        ; implicit-def: $vgpr0
	s_and_saveexec_b64 s[0:1], vcc
	s_xor_b64 s[0:1], exec, s[0:1]
; %bb.276:
	v_bfe_u32 v0, v2, 16, 1
	s_movk_i32 s2, 0x7fff
	v_add3_u32 v0, v2, v0, s2
                                        ; implicit-def: $vgpr2
; %bb.277:
	s_andn2_saveexec_b64 s[0:1], s[0:1]
; %bb.278:
	v_mov_b32_e32 v0, 0
	v_or_b32_e32 v3, 0x10000, v2
	v_cmp_eq_u32_sdwa vcc, v2, v0 src0_sel:WORD_0 src1_sel:DWORD
	s_nop 1
	v_cndmask_b32_e32 v0, v3, v2, vcc
; %bb.279:
	s_or_b64 exec, exec, s[0:1]
	s_mul_i32 s0, s20, s21
	s_mul_i32 s0, s0, s5
	s_mulk_i32 s0, 0x78
	s_ashr_i32 s1, s0, 31
	s_lshl_b64 s[0:1], s[0:1], 1
	s_add_u32 s3, s24, s0
	s_mul_i32 s0, s21, s22
	s_addc_u32 s5, s25, s1
	s_ashr_i32 s1, s0, 31
	s_lshl_b64 s[0:1], s[0:1], 1
	s_add_u32 s3, s3, s0
	s_mul_i32 s0, s4, 0x78
	s_addc_u32 s5, s5, s1
	s_ashr_i32 s1, s0, 31
	s_lshl_b64 s[0:1], s[0:1], 1
	s_movk_i32 s2, 0x78
	s_add_u32 s0, s3, s0
	s_addc_u32 s1, s5, s1
	v_cmp_gt_u32_e32 vcc, s2, v1
	global_store_short_d16_hi v10, v0, s[0:1]
	s_and_b64 exec, exec, vcc
	s_cbranch_execz .LBB302_285
; %bb.280:
	s_mov_b32 s2, 0x7f800000
	v_and_b32_e32 v0, 0x7f800000, v13
	v_mov_b32_e32 v11, 0
	v_cmp_ne_u32_e32 vcc, s2, v0
                                        ; implicit-def: $vgpr2
	s_and_saveexec_b64 s[2:3], vcc
	s_xor_b64 s[2:3], exec, s[2:3]
; %bb.281:
	v_bfe_u32 v0, v13, 16, 1
	s_movk_i32 s4, 0x7fff
	v_add3_u32 v2, v13, v0, s4
                                        ; implicit-def: $vgpr13
; %bb.282:
	s_or_saveexec_b64 s[2:3], s[2:3]
	v_lshl_add_u64 v[0:1], s[0:1], 0, v[10:11]
	s_xor_b64 exec, exec, s[2:3]
; %bb.283:
	v_mov_b32_e32 v2, 0
	v_or_b32_e32 v3, 0x10000, v13
	v_cmp_eq_u32_sdwa vcc, v13, v2 src0_sel:WORD_0 src1_sel:DWORD
	s_nop 1
	v_cndmask_b32_e32 v2, v3, v13, vcc
; %bb.284:
	s_or_b64 exec, exec, s[2:3]
	global_store_short_d16_hi v[0:1], v2, off offset:128
.LBB302_285:
	s_endpgm
	.section	.rodata,"a",@progbits
	.p2align	6, 0x0
	.amdhsa_kernel _ZN4vllm25paged_attention_v1_kernelI14__hip_bfloat16hLi120ELi8ELi128ELNS_18Fp8KVCacheDataTypeE1ELb0EEEvPT_PKS3_PKT0_S9_ifPKiSB_iPKfiiiSD_SD_iiiii
		.amdhsa_group_segment_fixed_size 256
		.amdhsa_private_segment_fixed_size 0
		.amdhsa_kernarg_size 384
		.amdhsa_user_sgpr_count 2
		.amdhsa_user_sgpr_dispatch_ptr 0
		.amdhsa_user_sgpr_queue_ptr 0
		.amdhsa_user_sgpr_kernarg_segment_ptr 1
		.amdhsa_user_sgpr_dispatch_id 0
		.amdhsa_user_sgpr_kernarg_preload_length 0
		.amdhsa_user_sgpr_kernarg_preload_offset 0
		.amdhsa_user_sgpr_private_segment_size 0
		.amdhsa_uses_dynamic_stack 0
		.amdhsa_enable_private_segment 0
		.amdhsa_system_sgpr_workgroup_id_x 1
		.amdhsa_system_sgpr_workgroup_id_y 1
		.amdhsa_system_sgpr_workgroup_id_z 1
		.amdhsa_system_sgpr_workgroup_info 0
		.amdhsa_system_vgpr_workitem_id 0
		.amdhsa_next_free_vgpr 51
		.amdhsa_next_free_sgpr 41
		.amdhsa_accum_offset 52
		.amdhsa_reserve_vcc 1
		.amdhsa_float_round_mode_32 0
		.amdhsa_float_round_mode_16_64 0
		.amdhsa_float_denorm_mode_32 3
		.amdhsa_float_denorm_mode_16_64 3
		.amdhsa_dx10_clamp 1
		.amdhsa_ieee_mode 1
		.amdhsa_fp16_overflow 0
		.amdhsa_tg_split 0
		.amdhsa_exception_fp_ieee_invalid_op 0
		.amdhsa_exception_fp_denorm_src 0
		.amdhsa_exception_fp_ieee_div_zero 0
		.amdhsa_exception_fp_ieee_overflow 0
		.amdhsa_exception_fp_ieee_underflow 0
		.amdhsa_exception_fp_ieee_inexact 0
		.amdhsa_exception_int_div_zero 0
	.end_amdhsa_kernel
	.section	.text._ZN4vllm25paged_attention_v1_kernelI14__hip_bfloat16hLi120ELi8ELi128ELNS_18Fp8KVCacheDataTypeE1ELb0EEEvPT_PKS3_PKT0_S9_ifPKiSB_iPKfiiiSD_SD_iiiii,"axG",@progbits,_ZN4vllm25paged_attention_v1_kernelI14__hip_bfloat16hLi120ELi8ELi128ELNS_18Fp8KVCacheDataTypeE1ELb0EEEvPT_PKS3_PKT0_S9_ifPKiSB_iPKfiiiSD_SD_iiiii,comdat
.Lfunc_end302:
	.size	_ZN4vllm25paged_attention_v1_kernelI14__hip_bfloat16hLi120ELi8ELi128ELNS_18Fp8KVCacheDataTypeE1ELb0EEEvPT_PKS3_PKT0_S9_ifPKiSB_iPKfiiiSD_SD_iiiii, .Lfunc_end302-_ZN4vllm25paged_attention_v1_kernelI14__hip_bfloat16hLi120ELi8ELi128ELNS_18Fp8KVCacheDataTypeE1ELb0EEEvPT_PKS3_PKT0_S9_ifPKiSB_iPKfiiiSD_SD_iiiii
                                        ; -- End function
	.section	.AMDGPU.csdata,"",@progbits
; Kernel info:
; codeLenInByte = 9368
; NumSgprs: 47
; NumVgprs: 51
; NumAgprs: 0
; TotalNumVgprs: 51
; ScratchSize: 0
; MemoryBound: 0
; FloatMode: 240
; IeeeMode: 1
; LDSByteSize: 256 bytes/workgroup (compile time only)
; SGPRBlocks: 5
; VGPRBlocks: 6
; NumSGPRsForWavesPerEU: 47
; NumVGPRsForWavesPerEU: 51
; AccumOffset: 52
; Occupancy: 8
; WaveLimiterHint : 1
; COMPUTE_PGM_RSRC2:SCRATCH_EN: 0
; COMPUTE_PGM_RSRC2:USER_SGPR: 2
; COMPUTE_PGM_RSRC2:TRAP_HANDLER: 0
; COMPUTE_PGM_RSRC2:TGID_X_EN: 1
; COMPUTE_PGM_RSRC2:TGID_Y_EN: 1
; COMPUTE_PGM_RSRC2:TGID_Z_EN: 1
; COMPUTE_PGM_RSRC2:TIDIG_COMP_CNT: 0
; COMPUTE_PGM_RSRC3_GFX90A:ACCUM_OFFSET: 12
; COMPUTE_PGM_RSRC3_GFX90A:TG_SPLIT: 0
	.section	.text._ZN4vllm25paged_attention_v1_kernelI14__hip_bfloat16hLi128ELi8ELi128ELNS_18Fp8KVCacheDataTypeE1ELb0EEEvPT_PKS3_PKT0_S9_ifPKiSB_iPKfiiiSD_SD_iiiii,"axG",@progbits,_ZN4vllm25paged_attention_v1_kernelI14__hip_bfloat16hLi128ELi8ELi128ELNS_18Fp8KVCacheDataTypeE1ELb0EEEvPT_PKS3_PKT0_S9_ifPKiSB_iPKfiiiSD_SD_iiiii,comdat
	.protected	_ZN4vllm25paged_attention_v1_kernelI14__hip_bfloat16hLi128ELi8ELi128ELNS_18Fp8KVCacheDataTypeE1ELb0EEEvPT_PKS3_PKT0_S9_ifPKiSB_iPKfiiiSD_SD_iiiii ; -- Begin function _ZN4vllm25paged_attention_v1_kernelI14__hip_bfloat16hLi128ELi8ELi128ELNS_18Fp8KVCacheDataTypeE1ELb0EEEvPT_PKS3_PKT0_S9_ifPKiSB_iPKfiiiSD_SD_iiiii
	.globl	_ZN4vllm25paged_attention_v1_kernelI14__hip_bfloat16hLi128ELi8ELi128ELNS_18Fp8KVCacheDataTypeE1ELb0EEEvPT_PKS3_PKT0_S9_ifPKiSB_iPKfiiiSD_SD_iiiii
	.p2align	8
	.type	_ZN4vllm25paged_attention_v1_kernelI14__hip_bfloat16hLi128ELi8ELi128ELNS_18Fp8KVCacheDataTypeE1ELb0EEEvPT_PKS3_PKT0_S9_ifPKiSB_iPKfiiiSD_SD_iiiii,@function
_ZN4vllm25paged_attention_v1_kernelI14__hip_bfloat16hLi128ELi8ELi128ELNS_18Fp8KVCacheDataTypeE1ELb0EEEvPT_PKS3_PKT0_S9_ifPKiSB_iPKfiiiSD_SD_iiiii: ; @_ZN4vllm25paged_attention_v1_kernelI14__hip_bfloat16hLi128ELi8ELi128ELNS_18Fp8KVCacheDataTypeE1ELb0EEEvPT_PKS3_PKT0_S9_ifPKiSB_iPKfiiiSD_SD_iiiii
; %bb.0:
	s_load_dword s5, s[0:1], 0x80
	s_load_dwordx2 s[6:7], s[0:1], 0x30
	s_load_dwordx2 s[28:29], s[0:1], 0x20
	s_mov_b32 s16, s3
	s_ashr_i32 s17, s3, 31
	s_lshl_b64 s[8:9], s[16:17], 2
	s_waitcnt lgkmcnt(0)
	s_add_u32 s6, s6, s8
	s_addc_u32 s7, s7, s9
	s_abs_i32 s3, s28
	v_cvt_f32_u32_e32 v1, s3
	s_sub_i32 s10, 0, s3
	s_abs_i32 s9, s5
	s_xor_b32 s8, s5, s28
	v_rcp_iflag_f32_e32 v1, v1
	s_ashr_i32 s8, s8, 31
	s_mov_b32 s28, 0
	v_mul_f32_e32 v1, 0x4f7ffffe, v1
	v_cvt_u32_f32_e32 v1, v1
	s_nop 0
	v_readfirstlane_b32 s11, v1
	s_mul_i32 s10, s10, s11
	s_mul_hi_u32 s10, s11, s10
	s_add_i32 s11, s11, s10
	s_mul_hi_u32 s10, s9, s11
	s_mul_i32 s11, s10, s3
	s_sub_i32 s9, s9, s11
	s_add_i32 s11, s10, 1
	s_sub_i32 s12, s9, s3
	s_cmp_ge_u32 s9, s3
	s_cselect_b32 s10, s11, s10
	s_cselect_b32 s9, s12, s9
	s_add_i32 s11, s10, 1
	s_cmp_ge_u32 s9, s3
	s_cselect_b32 s3, s11, s10
	s_xor_b32 s3, s3, s8
	s_sub_i32 s12, s3, s8
	s_abs_i32 s10, s12
	v_cvt_f32_u32_e32 v1, s10
	s_load_dwordx2 s[8:9], s[0:1], 0x40
	s_sub_i32 s3, 0, s10
	s_abs_i32 s11, s2
	v_rcp_iflag_f32_e32 v1, v1
	s_nop 0
	v_mul_f32_e32 v1, 0x4f7ffffe, v1
	v_cvt_u32_f32_e32 v1, v1
	s_nop 0
	v_readfirstlane_b32 s13, v1
	s_mul_i32 s3, s3, s13
	s_mul_hi_u32 s3, s13, s3
	s_add_i32 s13, s13, s3
	s_waitcnt lgkmcnt(0)
	s_cmp_eq_u64 s[8:9], 0
	s_mul_hi_u32 s20, s11, s13
	s_cbranch_scc1 .LBB303_2
; %bb.1:
	s_ashr_i32 s3, s2, 31
	s_lshl_b64 s[14:15], s[2:3], 2
	s_add_u32 s8, s8, s14
	s_addc_u32 s9, s9, s15
	s_load_dword s28, s[8:9], 0x0
.LBB303_2:
	s_load_dword s17, s[6:7], 0x0
	s_ashr_i32 s7, s12, 31
	s_load_dwordx4 s[12:15], s[0:1], 0x48
	s_ashr_i32 s6, s2, 31
	s_lshl_b32 s18, s2, 7
	s_movk_i32 s2, 0x80
	v_and_b32_e32 v2, 7, v0
	v_cmp_gt_u32_e32 vcc, s2, v0
	v_lshlrev_b32_e32 v10, 1, v0
	s_and_saveexec_b64 s[2:3], vcc
	s_cbranch_execz .LBB303_4
; %bb.3:
	s_load_dwordx2 s[8:9], s[0:1], 0x8
	s_waitcnt lgkmcnt(0)
	s_mul_i32 s22, s16, s12
	s_ashr_i32 s23, s22, 31
	s_lshl_b64 s[22:23], s[22:23], 1
	v_lshrrev_b32_e32 v3, 2, v0
	s_add_u32 s12, s8, s22
	s_addc_u32 s15, s9, s23
	s_ashr_i32 s19, s18, 31
	s_lshl_b64 s[8:9], s[18:19], 1
	s_add_u32 s8, s12, s8
	s_addc_u32 s9, s15, s9
	global_load_ushort v1, v10, s[8:9]
	v_and_b32_e32 v3, 0xfe, v3
	v_lshl_add_u32 v3, v2, 5, v3
	s_waitcnt vmcnt(0)
	ds_write_b16 v3, v1
.LBB303_4:
	s_or_b64 exec, exec, s[2:3]
	s_waitcnt lgkmcnt(0)
	s_add_i32 s3, s17, 7
	s_ashr_i32 s8, s3, 31
	s_lshr_b32 s8, s8, 29
	s_add_i32 s3, s3, s8
	s_ashr_i32 s19, s3, 3
	s_xor_b32 s3, s6, s7
	s_mul_i32 s6, s20, s10
	s_sub_i32 s6, s11, s6
	s_add_i32 s7, s20, 1
	s_sub_i32 s8, s6, s10
	s_load_dwordx2 s[22:23], s[0:1], 0x28
	s_load_dword s2, s[0:1], 0x38
	s_cmp_ge_u32 s6, s10
	s_cselect_b32 s7, s7, s20
	s_cselect_b32 s6, s8, s6
	s_add_i32 s8, s7, 1
	s_cmp_ge_u32 s6, s10
	s_cselect_b32 s6, s8, s7
	v_lshrrev_b32_e32 v1, 6, v0
	s_xor_b32 s6, s6, s3
	s_waitcnt lgkmcnt(0)
	s_mul_i32 s24, s16, s2
	s_sub_i32 s33, s6, s3
	s_ashr_i32 s25, s24, 31
	v_cmp_gt_i32_e64 s[6:7], s19, v1
	v_cmp_le_i32_e32 vcc, s19, v1
	v_mbcnt_lo_u32_b32 v6, -1, 0
	s_barrier
	s_waitcnt lgkmcnt(0)
                                        ; implicit-def: $sgpr15
                                        ; implicit-def: $vgpr12
                                        ; implicit-def: $vgpr13
	s_and_saveexec_b64 s[2:3], vcc
	s_xor_b64 s[2:3], exec, s[2:3]
; %bb.5:
	v_mbcnt_hi_u32_b32 v12, -1, v6
	v_and_b32_e32 v2, 64, v12
	v_add_u32_e32 v13, 64, v2
	s_mov_b32 s15, 0xff7fffff
                                        ; implicit-def: $vgpr2
                                        ; implicit-def: $vgpr6
; %bb.6:
	s_or_saveexec_b64 s[30:31], s[2:3]
	s_load_dwordx2 s[20:21], s[0:1], 0x0
	s_load_dwordx2 s[26:27], s[0:1], 0x18
	s_load_dword s12, s[0:1], 0x88
	s_load_dwordx4 s[8:11], s[0:1], 0x58
	v_mov_b32_e32 v30, s15
	s_mul_i32 s33, s33, s14
	v_lshrrev_b32_e32 v16, 4, v0
	s_xor_b64 exec, exec, s[30:31]
	s_cbranch_execz .LBB303_76
; %bb.7:
	v_mbcnt_hi_u32_b32 v12, -1, v6
	v_and_b32_e32 v6, 64, v12
	v_add_u32_e32 v13, 64, v6
	v_xor_b32_e32 v6, 4, v12
	v_cmp_lt_i32_e32 vcc, v6, v13
	s_load_dwordx2 s[0:1], s[0:1], 0x10
	s_ashr_i32 s2, s33, 31
	v_cndmask_b32_e32 v6, v12, v6, vcc
	v_lshlrev_b32_e32 v31, 2, v6
	v_xor_b32_e32 v6, 2, v12
	v_cmp_lt_i32_e32 vcc, v6, v13
	v_lshlrev_b32_e32 v8, 5, v2
	v_bfe_u32 v7, v0, 3, 3
	v_cndmask_b32_e32 v6, v12, v6, vcc
	v_lshlrev_b32_e32 v32, 2, v6
	v_xor_b32_e32 v6, 1, v12
	s_waitcnt lgkmcnt(0)
	s_add_u32 s0, s0, s33
	ds_read_b128 v[18:21], v8
	ds_read_b128 v[26:29], v8 offset:16
	v_mov_b32_e32 v3, 0
	v_cmp_lt_i32_e32 vcc, v6, v13
	v_lshlrev_b32_e32 v4, 4, v7
	s_addc_u32 s1, s1, s2
	v_mov_b32_e32 v5, v3
	v_cndmask_b32_e32 v6, v12, v6, vcc
	s_load_dword s35, s[8:9], 0x0
	v_lshl_add_u64 v[4:5], s[0:1], 0, v[4:5]
	v_lshlrev_b32_e32 v33, 2, v6
	s_sub_i32 s36, 1, s17
	v_lshlrev_b32_e32 v6, 2, v7
	s_lshl_b64 s[0:1], s[24:25], 2
	v_lshl_or_b32 v6, v1, 5, v6
	s_add_u32 s0, s22, s0
	v_lshl_or_b32 v34, v1, 3, v7
	v_add_u32_e32 v35, 0x110, v6
	v_and_b32_e32 v6, 60, v16
	v_mov_b32_e32 v7, v3
	s_addc_u32 s1, s23, s1
	s_mov_b32 s34, s13
	s_waitcnt lgkmcnt(0)
	v_lshlrev_b32_e32 v11, 16, v18
	v_and_b32_e32 v14, 0xffff0000, v18
	v_lshlrev_b32_e32 v15, 16, v19
	v_and_b32_e32 v17, 0xffff0000, v19
	;; [unrolled: 2-line block ×8, first 2 shown]
	v_cmp_eq_u32_e32 vcc, 0, v2
	v_cmp_neq_f32_e64 s[2:3], s28, 0
	v_lshl_add_u64 v[6:7], s[0:1], 0, v[6:7]
	s_mov_b64 s[8:9], 0
	v_mov_b32_e32 v30, 0xff7fffff
	s_mov_b32 s37, 0x7f800000
	s_movk_i32 s38, 0x7fff
	v_mov_b32_e32 v36, v1
	s_branch .LBB303_9
.LBB303_8:                              ;   in Loop: Header=BB303_9 Depth=1
	s_or_b64 exec, exec, s[14:15]
	v_add_u32_e32 v36, 2, v36
	v_cmp_le_i32_e64 s[0:1], s19, v36
	v_add_u32_e32 v34, 16, v34
	v_add_u32_e32 v35, 64, v35
	s_or_b64 s[8:9], s[0:1], s[8:9]
	v_lshl_add_u64 v[6:7], v[6:7], 0, 8
	s_andn2_b64 exec, exec, s[8:9]
	s_cbranch_execz .LBB303_75
.LBB303_9:                              ; =>This Inner Loop Header: Depth=1
	global_load_dword v8, v[6:7], off
	s_waitcnt vmcnt(0) lgkmcnt(0)
	v_mad_i64_i32 v[8:9], s[0:1], v8, s34, v[4:5]
	v_lshl_add_u64 v[8:9], v[8:9], 0, v[2:3]
	global_load_ubyte v37, v[8:9], off
	s_waitcnt vmcnt(0)
	v_cvt_f32_fp8_sdwa v37, v37 src0_sel:BYTE_0
	s_nop 0
	v_mul_f32_e32 v38, s35, v37
	v_and_b32_e32 v37, 0x7f800000, v38
	v_cmp_ne_u32_e64 s[0:1], s37, v37
                                        ; implicit-def: $vgpr37
	s_and_saveexec_b64 s[14:15], s[0:1]
	s_xor_b64 s[0:1], exec, s[14:15]
; %bb.10:                               ;   in Loop: Header=BB303_9 Depth=1
	v_bfe_u32 v37, v38, 16, 1
	v_add3_u32 v37, v38, v37, s38
                                        ; implicit-def: $vgpr38
; %bb.11:                               ;   in Loop: Header=BB303_9 Depth=1
	s_andn2_saveexec_b64 s[14:15], s[0:1]
; %bb.12:                               ;   in Loop: Header=BB303_9 Depth=1
	v_or_b32_e32 v37, 0x10000, v38
	v_cmp_eq_u32_sdwa s[0:1], v38, v3 src0_sel:WORD_0 src1_sel:DWORD
	s_nop 1
	v_cndmask_b32_e64 v37, v37, v38, s[0:1]
; %bb.13:                               ;   in Loop: Header=BB303_9 Depth=1
	s_or_b64 exec, exec, s[14:15]
	global_load_ubyte v38, v[8:9], off offset:8
	s_waitcnt vmcnt(0)
	v_cvt_f32_fp8_sdwa v38, v38 src0_sel:BYTE_0
	s_nop 0
	v_mul_f32_e32 v39, s35, v38
	v_and_b32_e32 v38, 0x7f800000, v39
	v_cmp_ne_u32_e64 s[0:1], s37, v38
                                        ; implicit-def: $vgpr38
	s_and_saveexec_b64 s[14:15], s[0:1]
	s_xor_b64 s[0:1], exec, s[14:15]
; %bb.14:                               ;   in Loop: Header=BB303_9 Depth=1
	v_bfe_u32 v38, v39, 16, 1
	v_add3_u32 v38, v39, v38, s38
                                        ; implicit-def: $vgpr39
; %bb.15:                               ;   in Loop: Header=BB303_9 Depth=1
	s_andn2_saveexec_b64 s[14:15], s[0:1]
; %bb.16:                               ;   in Loop: Header=BB303_9 Depth=1
	v_or_b32_e32 v38, 0x10000, v39
	v_cmp_eq_u32_sdwa s[0:1], v39, v3 src0_sel:WORD_0 src1_sel:DWORD
	s_nop 1
	v_cndmask_b32_e64 v38, v38, v39, s[0:1]
; %bb.17:                               ;   in Loop: Header=BB303_9 Depth=1
	s_or_b64 exec, exec, s[14:15]
	global_load_ubyte v39, v[8:9], off offset:128
	s_waitcnt vmcnt(0)
	v_cvt_f32_fp8_sdwa v39, v39 src0_sel:BYTE_0
	s_nop 0
	v_mul_f32_e32 v40, s35, v39
	v_and_b32_e32 v39, 0x7f800000, v40
	v_cmp_ne_u32_e64 s[0:1], s37, v39
                                        ; implicit-def: $vgpr39
	s_and_saveexec_b64 s[14:15], s[0:1]
	s_xor_b64 s[0:1], exec, s[14:15]
; %bb.18:                               ;   in Loop: Header=BB303_9 Depth=1
	v_bfe_u32 v39, v40, 16, 1
	v_add3_u32 v39, v40, v39, s38
                                        ; implicit-def: $vgpr40
; %bb.19:                               ;   in Loop: Header=BB303_9 Depth=1
	s_andn2_saveexec_b64 s[14:15], s[0:1]
; %bb.20:                               ;   in Loop: Header=BB303_9 Depth=1
	v_or_b32_e32 v39, 0x10000, v40
	v_cmp_eq_u32_sdwa s[0:1], v40, v3 src0_sel:WORD_0 src1_sel:DWORD
	s_nop 1
	v_cndmask_b32_e64 v39, v39, v40, s[0:1]
; %bb.21:                               ;   in Loop: Header=BB303_9 Depth=1
	s_or_b64 exec, exec, s[14:15]
	global_load_ubyte v40, v[8:9], off offset:136
	s_waitcnt vmcnt(0)
	v_cvt_f32_fp8_sdwa v40, v40 src0_sel:BYTE_0
	s_nop 0
	v_mul_f32_e32 v41, s35, v40
	v_and_b32_e32 v40, 0x7f800000, v41
	v_cmp_ne_u32_e64 s[0:1], s37, v40
                                        ; implicit-def: $vgpr40
	s_and_saveexec_b64 s[14:15], s[0:1]
	s_xor_b64 s[0:1], exec, s[14:15]
; %bb.22:                               ;   in Loop: Header=BB303_9 Depth=1
	v_bfe_u32 v40, v41, 16, 1
	v_add3_u32 v40, v41, v40, s38
                                        ; implicit-def: $vgpr41
; %bb.23:                               ;   in Loop: Header=BB303_9 Depth=1
	s_andn2_saveexec_b64 s[14:15], s[0:1]
; %bb.24:                               ;   in Loop: Header=BB303_9 Depth=1
	v_or_b32_e32 v40, 0x10000, v41
	v_cmp_eq_u32_sdwa s[0:1], v41, v3 src0_sel:WORD_0 src1_sel:DWORD
	s_nop 1
	v_cndmask_b32_e64 v40, v40, v41, s[0:1]
; %bb.25:                               ;   in Loop: Header=BB303_9 Depth=1
	s_or_b64 exec, exec, s[14:15]
	global_load_ubyte v41, v[8:9], off offset:256
	s_waitcnt vmcnt(0)
	v_cvt_f32_fp8_sdwa v41, v41 src0_sel:BYTE_0
	s_nop 0
	v_mul_f32_e32 v42, s35, v41
	v_and_b32_e32 v41, 0x7f800000, v42
	v_cmp_ne_u32_e64 s[0:1], s37, v41
                                        ; implicit-def: $vgpr41
	s_and_saveexec_b64 s[14:15], s[0:1]
	s_xor_b64 s[0:1], exec, s[14:15]
; %bb.26:                               ;   in Loop: Header=BB303_9 Depth=1
	v_bfe_u32 v41, v42, 16, 1
	v_add3_u32 v41, v42, v41, s38
                                        ; implicit-def: $vgpr42
; %bb.27:                               ;   in Loop: Header=BB303_9 Depth=1
	s_andn2_saveexec_b64 s[14:15], s[0:1]
; %bb.28:                               ;   in Loop: Header=BB303_9 Depth=1
	v_or_b32_e32 v41, 0x10000, v42
	v_cmp_eq_u32_sdwa s[0:1], v42, v3 src0_sel:WORD_0 src1_sel:DWORD
	s_nop 1
	v_cndmask_b32_e64 v41, v41, v42, s[0:1]
; %bb.29:                               ;   in Loop: Header=BB303_9 Depth=1
	s_or_b64 exec, exec, s[14:15]
	global_load_ubyte v42, v[8:9], off offset:264
	s_waitcnt vmcnt(0)
	v_cvt_f32_fp8_sdwa v42, v42 src0_sel:BYTE_0
	s_nop 0
	v_mul_f32_e32 v43, s35, v42
	v_and_b32_e32 v42, 0x7f800000, v43
	v_cmp_ne_u32_e64 s[0:1], s37, v42
                                        ; implicit-def: $vgpr42
	s_and_saveexec_b64 s[14:15], s[0:1]
	s_xor_b64 s[0:1], exec, s[14:15]
; %bb.30:                               ;   in Loop: Header=BB303_9 Depth=1
	v_bfe_u32 v42, v43, 16, 1
	v_add3_u32 v42, v43, v42, s38
                                        ; implicit-def: $vgpr43
; %bb.31:                               ;   in Loop: Header=BB303_9 Depth=1
	s_andn2_saveexec_b64 s[14:15], s[0:1]
; %bb.32:                               ;   in Loop: Header=BB303_9 Depth=1
	v_or_b32_e32 v42, 0x10000, v43
	v_cmp_eq_u32_sdwa s[0:1], v43, v3 src0_sel:WORD_0 src1_sel:DWORD
	s_nop 1
	v_cndmask_b32_e64 v42, v42, v43, s[0:1]
; %bb.33:                               ;   in Loop: Header=BB303_9 Depth=1
	s_or_b64 exec, exec, s[14:15]
	global_load_ubyte v43, v[8:9], off offset:384
	s_waitcnt vmcnt(0)
	v_cvt_f32_fp8_sdwa v43, v43 src0_sel:BYTE_0
	s_nop 0
	v_mul_f32_e32 v44, s35, v43
	v_and_b32_e32 v43, 0x7f800000, v44
	v_cmp_ne_u32_e64 s[0:1], s37, v43
                                        ; implicit-def: $vgpr43
	s_and_saveexec_b64 s[14:15], s[0:1]
	s_xor_b64 s[0:1], exec, s[14:15]
; %bb.34:                               ;   in Loop: Header=BB303_9 Depth=1
	v_bfe_u32 v43, v44, 16, 1
	v_add3_u32 v43, v44, v43, s38
                                        ; implicit-def: $vgpr44
; %bb.35:                               ;   in Loop: Header=BB303_9 Depth=1
	s_andn2_saveexec_b64 s[14:15], s[0:1]
; %bb.36:                               ;   in Loop: Header=BB303_9 Depth=1
	v_or_b32_e32 v43, 0x10000, v44
	v_cmp_eq_u32_sdwa s[0:1], v44, v3 src0_sel:WORD_0 src1_sel:DWORD
	s_nop 1
	v_cndmask_b32_e64 v43, v43, v44, s[0:1]
; %bb.37:                               ;   in Loop: Header=BB303_9 Depth=1
	s_or_b64 exec, exec, s[14:15]
	global_load_ubyte v44, v[8:9], off offset:392
	s_waitcnt vmcnt(0)
	v_cvt_f32_fp8_sdwa v44, v44 src0_sel:BYTE_0
	s_nop 0
	v_mul_f32_e32 v45, s35, v44
	v_and_b32_e32 v44, 0x7f800000, v45
	v_cmp_ne_u32_e64 s[0:1], s37, v44
                                        ; implicit-def: $vgpr44
	s_and_saveexec_b64 s[14:15], s[0:1]
	s_xor_b64 s[0:1], exec, s[14:15]
; %bb.38:                               ;   in Loop: Header=BB303_9 Depth=1
	v_bfe_u32 v44, v45, 16, 1
	v_add3_u32 v44, v45, v44, s38
                                        ; implicit-def: $vgpr45
; %bb.39:                               ;   in Loop: Header=BB303_9 Depth=1
	s_andn2_saveexec_b64 s[14:15], s[0:1]
; %bb.40:                               ;   in Loop: Header=BB303_9 Depth=1
	v_or_b32_e32 v44, 0x10000, v45
	v_cmp_eq_u32_sdwa s[0:1], v45, v3 src0_sel:WORD_0 src1_sel:DWORD
	s_nop 1
	v_cndmask_b32_e64 v44, v44, v45, s[0:1]
; %bb.41:                               ;   in Loop: Header=BB303_9 Depth=1
	s_or_b64 exec, exec, s[14:15]
	global_load_ubyte v45, v[8:9], off offset:512
	s_waitcnt vmcnt(0)
	v_cvt_f32_fp8_sdwa v45, v45 src0_sel:BYTE_0
	s_nop 0
	v_mul_f32_e32 v46, s35, v45
	v_and_b32_e32 v45, 0x7f800000, v46
	v_cmp_ne_u32_e64 s[0:1], s37, v45
                                        ; implicit-def: $vgpr45
	s_and_saveexec_b64 s[14:15], s[0:1]
	s_xor_b64 s[0:1], exec, s[14:15]
; %bb.42:                               ;   in Loop: Header=BB303_9 Depth=1
	v_bfe_u32 v45, v46, 16, 1
	v_add3_u32 v45, v46, v45, s38
                                        ; implicit-def: $vgpr46
; %bb.43:                               ;   in Loop: Header=BB303_9 Depth=1
	s_andn2_saveexec_b64 s[14:15], s[0:1]
; %bb.44:                               ;   in Loop: Header=BB303_9 Depth=1
	v_or_b32_e32 v45, 0x10000, v46
	v_cmp_eq_u32_sdwa s[0:1], v46, v3 src0_sel:WORD_0 src1_sel:DWORD
	s_nop 1
	v_cndmask_b32_e64 v45, v45, v46, s[0:1]
; %bb.45:                               ;   in Loop: Header=BB303_9 Depth=1
	s_or_b64 exec, exec, s[14:15]
	global_load_ubyte v46, v[8:9], off offset:520
	s_waitcnt vmcnt(0)
	v_cvt_f32_fp8_sdwa v46, v46 src0_sel:BYTE_0
	s_nop 0
	v_mul_f32_e32 v47, s35, v46
	v_and_b32_e32 v46, 0x7f800000, v47
	v_cmp_ne_u32_e64 s[0:1], s37, v46
                                        ; implicit-def: $vgpr46
	s_and_saveexec_b64 s[14:15], s[0:1]
	s_xor_b64 s[0:1], exec, s[14:15]
; %bb.46:                               ;   in Loop: Header=BB303_9 Depth=1
	v_bfe_u32 v46, v47, 16, 1
	v_add3_u32 v46, v47, v46, s38
                                        ; implicit-def: $vgpr47
; %bb.47:                               ;   in Loop: Header=BB303_9 Depth=1
	s_andn2_saveexec_b64 s[14:15], s[0:1]
; %bb.48:                               ;   in Loop: Header=BB303_9 Depth=1
	v_or_b32_e32 v46, 0x10000, v47
	v_cmp_eq_u32_sdwa s[0:1], v47, v3 src0_sel:WORD_0 src1_sel:DWORD
	s_nop 1
	v_cndmask_b32_e64 v46, v46, v47, s[0:1]
; %bb.49:                               ;   in Loop: Header=BB303_9 Depth=1
	s_or_b64 exec, exec, s[14:15]
	global_load_ubyte v47, v[8:9], off offset:640
	s_waitcnt vmcnt(0)
	v_cvt_f32_fp8_sdwa v47, v47 src0_sel:BYTE_0
	s_nop 0
	v_mul_f32_e32 v48, s35, v47
	v_and_b32_e32 v47, 0x7f800000, v48
	v_cmp_ne_u32_e64 s[0:1], s37, v47
                                        ; implicit-def: $vgpr47
	s_and_saveexec_b64 s[14:15], s[0:1]
	s_xor_b64 s[0:1], exec, s[14:15]
; %bb.50:                               ;   in Loop: Header=BB303_9 Depth=1
	v_bfe_u32 v47, v48, 16, 1
	v_add3_u32 v47, v48, v47, s38
                                        ; implicit-def: $vgpr48
; %bb.51:                               ;   in Loop: Header=BB303_9 Depth=1
	s_andn2_saveexec_b64 s[14:15], s[0:1]
; %bb.52:                               ;   in Loop: Header=BB303_9 Depth=1
	v_or_b32_e32 v47, 0x10000, v48
	v_cmp_eq_u32_sdwa s[0:1], v48, v3 src0_sel:WORD_0 src1_sel:DWORD
	s_nop 1
	v_cndmask_b32_e64 v47, v47, v48, s[0:1]
; %bb.53:                               ;   in Loop: Header=BB303_9 Depth=1
	s_or_b64 exec, exec, s[14:15]
	global_load_ubyte v48, v[8:9], off offset:648
	s_waitcnt vmcnt(0)
	v_cvt_f32_fp8_sdwa v48, v48 src0_sel:BYTE_0
	s_nop 0
	v_mul_f32_e32 v49, s35, v48
	v_and_b32_e32 v48, 0x7f800000, v49
	v_cmp_ne_u32_e64 s[0:1], s37, v48
                                        ; implicit-def: $vgpr48
	s_and_saveexec_b64 s[14:15], s[0:1]
	s_xor_b64 s[0:1], exec, s[14:15]
; %bb.54:                               ;   in Loop: Header=BB303_9 Depth=1
	v_bfe_u32 v48, v49, 16, 1
	v_add3_u32 v48, v49, v48, s38
                                        ; implicit-def: $vgpr49
; %bb.55:                               ;   in Loop: Header=BB303_9 Depth=1
	s_andn2_saveexec_b64 s[14:15], s[0:1]
; %bb.56:                               ;   in Loop: Header=BB303_9 Depth=1
	v_or_b32_e32 v48, 0x10000, v49
	v_cmp_eq_u32_sdwa s[0:1], v49, v3 src0_sel:WORD_0 src1_sel:DWORD
	s_nop 1
	v_cndmask_b32_e64 v48, v48, v49, s[0:1]
; %bb.57:                               ;   in Loop: Header=BB303_9 Depth=1
	s_or_b64 exec, exec, s[14:15]
	global_load_ubyte v49, v[8:9], off offset:768
	s_waitcnt vmcnt(0)
	v_cvt_f32_fp8_sdwa v49, v49 src0_sel:BYTE_0
	s_nop 0
	v_mul_f32_e32 v50, s35, v49
	v_and_b32_e32 v49, 0x7f800000, v50
	v_cmp_ne_u32_e64 s[0:1], s37, v49
                                        ; implicit-def: $vgpr49
	s_and_saveexec_b64 s[14:15], s[0:1]
	s_xor_b64 s[0:1], exec, s[14:15]
; %bb.58:                               ;   in Loop: Header=BB303_9 Depth=1
	v_bfe_u32 v49, v50, 16, 1
	v_add3_u32 v49, v50, v49, s38
                                        ; implicit-def: $vgpr50
; %bb.59:                               ;   in Loop: Header=BB303_9 Depth=1
	s_andn2_saveexec_b64 s[14:15], s[0:1]
; %bb.60:                               ;   in Loop: Header=BB303_9 Depth=1
	v_or_b32_e32 v49, 0x10000, v50
	v_cmp_eq_u32_sdwa s[0:1], v50, v3 src0_sel:WORD_0 src1_sel:DWORD
	s_nop 1
	v_cndmask_b32_e64 v49, v49, v50, s[0:1]
; %bb.61:                               ;   in Loop: Header=BB303_9 Depth=1
	s_or_b64 exec, exec, s[14:15]
	global_load_ubyte v50, v[8:9], off offset:776
	s_waitcnt vmcnt(0)
	v_cvt_f32_fp8_sdwa v50, v50 src0_sel:BYTE_0
	s_nop 0
	v_mul_f32_e32 v51, s35, v50
	v_and_b32_e32 v50, 0x7f800000, v51
	v_cmp_ne_u32_e64 s[0:1], s37, v50
                                        ; implicit-def: $vgpr50
	s_and_saveexec_b64 s[14:15], s[0:1]
	s_xor_b64 s[0:1], exec, s[14:15]
; %bb.62:                               ;   in Loop: Header=BB303_9 Depth=1
	v_bfe_u32 v50, v51, 16, 1
	v_add3_u32 v50, v51, v50, s38
                                        ; implicit-def: $vgpr51
; %bb.63:                               ;   in Loop: Header=BB303_9 Depth=1
	s_andn2_saveexec_b64 s[14:15], s[0:1]
; %bb.64:                               ;   in Loop: Header=BB303_9 Depth=1
	v_or_b32_e32 v50, 0x10000, v51
	v_cmp_eq_u32_sdwa s[0:1], v51, v3 src0_sel:WORD_0 src1_sel:DWORD
	s_nop 1
	v_cndmask_b32_e64 v50, v50, v51, s[0:1]
; %bb.65:                               ;   in Loop: Header=BB303_9 Depth=1
	s_or_b64 exec, exec, s[14:15]
	global_load_ubyte v51, v[8:9], off offset:896
	s_waitcnt vmcnt(0)
	v_cvt_f32_fp8_sdwa v51, v51 src0_sel:BYTE_0
	s_nop 0
	v_mul_f32_e32 v52, s35, v51
	v_and_b32_e32 v51, 0x7f800000, v52
	v_cmp_ne_u32_e64 s[0:1], s37, v51
                                        ; implicit-def: $vgpr51
	s_and_saveexec_b64 s[14:15], s[0:1]
	s_xor_b64 s[0:1], exec, s[14:15]
; %bb.66:                               ;   in Loop: Header=BB303_9 Depth=1
	v_bfe_u32 v51, v52, 16, 1
	v_add3_u32 v51, v52, v51, s38
                                        ; implicit-def: $vgpr52
; %bb.67:                               ;   in Loop: Header=BB303_9 Depth=1
	s_andn2_saveexec_b64 s[14:15], s[0:1]
; %bb.68:                               ;   in Loop: Header=BB303_9 Depth=1
	v_or_b32_e32 v51, 0x10000, v52
	v_cmp_eq_u32_sdwa s[0:1], v52, v3 src0_sel:WORD_0 src1_sel:DWORD
	s_nop 1
	v_cndmask_b32_e64 v51, v51, v52, s[0:1]
; %bb.69:                               ;   in Loop: Header=BB303_9 Depth=1
	s_or_b64 exec, exec, s[14:15]
	global_load_ubyte v8, v[8:9], off offset:904
	s_waitcnt vmcnt(0)
	v_cvt_f32_fp8_sdwa v8, v8 src0_sel:BYTE_0
	s_nop 0
	v_mul_f32_e32 v9, s35, v8
	v_and_b32_e32 v8, 0x7f800000, v9
	v_cmp_ne_u32_e64 s[0:1], s37, v8
                                        ; implicit-def: $vgpr8
	s_and_saveexec_b64 s[14:15], s[0:1]
	s_xor_b64 s[0:1], exec, s[14:15]
; %bb.70:                               ;   in Loop: Header=BB303_9 Depth=1
	v_bfe_u32 v8, v9, 16, 1
	v_add3_u32 v8, v9, v8, s38
                                        ; implicit-def: $vgpr9
; %bb.71:                               ;   in Loop: Header=BB303_9 Depth=1
	s_andn2_saveexec_b64 s[14:15], s[0:1]
; %bb.72:                               ;   in Loop: Header=BB303_9 Depth=1
	v_or_b32_e32 v8, 0x10000, v9
	v_cmp_eq_u32_sdwa s[0:1], v9, v3 src0_sel:WORD_0 src1_sel:DWORD
	s_nop 1
	v_cndmask_b32_e64 v8, v8, v9, s[0:1]
; %bb.73:                               ;   in Loop: Header=BB303_9 Depth=1
	s_or_b64 exec, exec, s[14:15]
	v_and_b32_e32 v38, 0xffff0000, v38
	v_and_b32_e32 v37, 0xffff0000, v37
	v_mul_f32_e32 v38, v14, v38
	v_and_b32_e32 v39, 0xffff0000, v39
	v_fmac_f32_e32 v38, v11, v37
	v_and_b32_e32 v40, 0xffff0000, v40
	v_fmac_f32_e32 v38, v15, v39
	;; [unrolled: 2-line block ×14, first 2 shown]
	v_fmac_f32_e32 v38, v29, v8
	ds_bpermute_b32 v8, v31, v38
	s_waitcnt lgkmcnt(0)
	v_add_f32_e32 v8, v38, v8
	ds_bpermute_b32 v9, v32, v8
	s_waitcnt lgkmcnt(0)
	v_add_f32_e32 v8, v8, v9
	ds_bpermute_b32 v9, v33, v8
	s_and_saveexec_b64 s[14:15], vcc
	s_cbranch_execz .LBB303_8
; %bb.74:                               ;   in Loop: Header=BB303_9 Depth=1
	v_add_u32_e32 v37, s36, v34
	v_cvt_f32_i32_e32 v37, v37
	s_waitcnt lgkmcnt(0)
	v_add_f32_e32 v8, v8, v9
	v_cmp_gt_i32_e64 s[0:1], s17, v34
	v_max_f32_e32 v9, v30, v30
	v_mul_f32_e32 v37, s28, v37
	v_cndmask_b32_e64 v37, 0, v37, s[2:3]
	v_fmac_f32_e32 v37, s29, v8
	v_cndmask_b32_e64 v8, 0, v37, s[0:1]
	ds_write_b32 v35, v8
	v_max_f32_e32 v8, v9, v37
	v_cndmask_b32_e64 v30, v30, v8, s[0:1]
	s_branch .LBB303_8
.LBB303_75:
	s_or_b64 exec, exec, s[8:9]
.LBB303_76:
	s_or_b64 exec, exec, s[30:31]
	v_xor_b32_e32 v2, 32, v12
	v_cmp_lt_i32_e32 vcc, v2, v13
	v_xor_b32_e32 v5, 16, v12
	v_max_f32_e32 v4, v30, v30
	v_cndmask_b32_e32 v2, v12, v2, vcc
	v_lshlrev_b32_e32 v3, 2, v2
	ds_bpermute_b32 v2, v3, v30
	v_cmp_lt_i32_e32 vcc, v5, v13
	v_xor_b32_e32 v6, 8, v12
	v_and_b32_e32 v11, 63, v0
	s_waitcnt lgkmcnt(0)
	v_max_f32_e32 v2, v2, v2
	v_max_f32_e32 v2, v4, v2
	v_cndmask_b32_e32 v4, v12, v5, vcc
	v_lshlrev_b32_e32 v5, 2, v4
	ds_bpermute_b32 v4, v5, v2
	v_cmp_lt_i32_e32 vcc, v6, v13
	s_waitcnt lgkmcnt(0)
	v_max_f32_e32 v4, v4, v4
	v_max_f32_e32 v4, v2, v4
	v_cndmask_b32_e32 v2, v12, v6, vcc
	v_lshlrev_b32_e32 v7, 2, v2
	ds_bpermute_b32 v6, v7, v4
	v_cmp_eq_u32_e32 vcc, 0, v11
	v_lshlrev_b32_e32 v2, 2, v1
	s_and_saveexec_b64 s[0:1], vcc
	s_cbranch_execz .LBB303_78
; %bb.77:
	s_waitcnt lgkmcnt(0)
	v_max_f32_e32 v6, v6, v6
	v_max_f32_e32 v4, v4, v4
	;; [unrolled: 1-line block ×3, first 2 shown]
	ds_write_b32 v2, v4 offset:256
.LBB303_78:
	s_or_b64 exec, exec, s[0:1]
	v_cmp_gt_u32_e64 s[0:1], 2, v11
	v_mov_b32_e32 v8, 0xff7fffff
	v_lshlrev_b32_e32 v4, 2, v11
	s_waitcnt lgkmcnt(0)
	s_barrier
	s_and_saveexec_b64 s[2:3], s[0:1]
	s_cbranch_execz .LBB303_80
; %bb.79:
	ds_read_b32 v8, v4 offset:256
.LBB303_80:
	s_or_b64 exec, exec, s[2:3]
	v_xor_b32_e32 v6, 1, v12
	v_cmp_lt_i32_e64 s[2:3], v6, v13
	v_lshlrev_b32_e32 v14, 2, v12
	s_nop 0
	v_cndmask_b32_e64 v6, v12, v6, s[2:3]
	v_lshlrev_b32_e32 v6, 2, v6
	s_waitcnt lgkmcnt(0)
	ds_bpermute_b32 v9, v6, v8
	v_max_f32_e32 v8, v8, v8
	s_lshl_b32 s2, s19, 3
	s_min_i32 s30, s2, s17
	v_cmp_gt_i32_e64 s[2:3], s30, v0
	s_waitcnt lgkmcnt(0)
	v_max_f32_e32 v9, v9, v9
	v_max_f32_e32 v9, v8, v9
	v_and_b32_e32 v8, 0xffffff00, v14
	ds_bpermute_b32 v14, v8, v9
	v_mov_b32_e32 v9, 0
	s_and_saveexec_b64 s[14:15], s[2:3]
	s_cbranch_execz .LBB303_84
; %bb.81:
	v_mov_b32_e32 v9, 0x110
	v_lshl_add_u32 v15, v0, 2, v9
	s_mov_b64 s[28:29], 0
	v_mov_b32_e32 v9, 0
	v_mov_b32_e32 v17, v0
.LBB303_82:                             ; =>This Inner Loop Header: Depth=1
	ds_read_b32 v18, v15
	v_add_u32_e32 v17, 0x80, v17
	v_cmp_le_i32_e64 s[8:9], s30, v17
	s_or_b64 s[28:29], s[8:9], s[28:29]
	s_waitcnt lgkmcnt(0)
	v_sub_f32_e32 v18, v18, v14
	v_mul_f32_e32 v18, 0x3fb8aa3b, v18
	v_exp_f32_e32 v18, v18
	ds_write_b32 v15, v18
	v_add_f32_e32 v9, v9, v18
	v_add_u32_e32 v15, 0x200, v15
	s_andn2_b64 exec, exec, s[28:29]
	s_cbranch_execnz .LBB303_82
; %bb.83:
	s_or_b64 exec, exec, s[28:29]
.LBB303_84:
	s_or_b64 exec, exec, s[14:15]
	ds_bpermute_b32 v3, v3, v9
	s_waitcnt lgkmcnt(0)
	v_add_f32_e32 v3, v9, v3
	ds_bpermute_b32 v5, v5, v3
	s_waitcnt lgkmcnt(0)
	v_add_f32_e32 v3, v3, v5
	ds_bpermute_b32 v5, v7, v3
	v_xor_b32_e32 v7, 4, v12
	v_cmp_lt_i32_e64 s[8:9], v7, v13
	s_waitcnt lgkmcnt(0)
	v_add_f32_e32 v3, v3, v5
	v_cndmask_b32_e64 v7, v12, v7, s[8:9]
	v_lshlrev_b32_e32 v7, 2, v7
	ds_bpermute_b32 v5, v7, v3
	v_xor_b32_e32 v7, 2, v12
	v_cmp_lt_i32_e64 s[8:9], v7, v13
	s_waitcnt lgkmcnt(0)
	v_add_f32_e32 v3, v3, v5
	v_cndmask_b32_e64 v7, v12, v7, s[8:9]
	v_lshlrev_b32_e32 v5, 2, v7
	ds_bpermute_b32 v5, v5, v3
	s_waitcnt lgkmcnt(0)
	v_add_f32_e32 v3, v3, v5
	ds_bpermute_b32 v5, v6, v3
	s_waitcnt lgkmcnt(0)
	v_add_f32_e32 v3, v3, v5
	s_and_saveexec_b64 s[8:9], vcc
	s_cbranch_execz .LBB303_86
; %bb.85:
	ds_write_b32 v2, v3 offset:264
.LBB303_86:
	s_or_b64 exec, exec, s[8:9]
	s_waitcnt lgkmcnt(0)
	s_barrier
	s_and_saveexec_b64 s[8:9], s[0:1]
	s_cbranch_execz .LBB303_88
; %bb.87:
	ds_read_b32 v3, v4 offset:264
.LBB303_88:
	s_or_b64 exec, exec, s[8:9]
	s_waitcnt lgkmcnt(0)
	ds_bpermute_b32 v2, v6, v3
	s_waitcnt lgkmcnt(0)
	v_add_f32_e32 v2, v3, v2
	ds_bpermute_b32 v2, v8, v2
	s_and_saveexec_b64 s[0:1], s[2:3]
	s_cbranch_execz .LBB303_101
; %bb.89:
	s_waitcnt lgkmcnt(0)
	v_add_f32_e32 v2, 0x358637bd, v2
	v_div_scale_f32 v3, s[2:3], v2, v2, 1.0
	v_rcp_f32_e32 v4, v3
	v_div_scale_f32 v5, vcc, 1.0, v2, 1.0
	s_movk_i32 s2, 0x7f
	v_fma_f32 v6, -v3, v4, 1.0
	v_fmac_f32_e32 v4, v6, v4
	v_mul_f32_e32 v6, v5, v4
	v_fma_f32 v7, -v3, v6, v5
	v_fmac_f32_e32 v6, v7, v4
	v_fma_f32 v3, -v3, v6, v5
	v_div_fmas_f32 v3, v3, v4, v6
	v_xad_u32 v4, v0, -1, s30
	v_div_fixup_f32 v2, v3, v2, 1.0
	v_cmp_lt_u32_e32 vcc, s2, v4
	s_mov_b64 s[8:9], -1
	v_mov_b32_e32 v3, v0
	s_and_saveexec_b64 s[2:3], vcc
	s_cbranch_execz .LBB303_98
; %bb.90:
	v_lshrrev_b32_e32 v4, 7, v4
	v_add_u32_e32 v6, -1, v4
	v_lshrrev_b32_e32 v5, 1, v6
	v_mov_b32_e32 v3, v2
	v_add_u32_e32 v5, 1, v5
	v_cmp_lt_u32_e32 vcc, 13, v6
	v_mov_b32_e32 v8, 0
	s_and_saveexec_b64 s[8:9], vcc
	s_cbranch_execz .LBB303_94
; %bb.91:
	v_mov_b32_e32 v7, 0x110
	v_and_b32_e32 v6, -8, v5
	v_lshl_add_u32 v7, v0, 2, v7
	s_mov_b32 s28, 0
	s_mov_b64 s[14:15], 0
.LBB303_92:                             ; =>This Inner Loop Header: Depth=1
	ds_read2st64_b32 v[8:9], v7 offset1:2
	ds_read2st64_b32 v[12:13], v7 offset0:4 offset1:6
	ds_read2st64_b32 v[14:15], v7 offset0:8 offset1:10
	;; [unrolled: 1-line block ×3, first 2 shown]
	v_add_u32_e32 v6, -8, v6
	s_waitcnt lgkmcnt(3)
	v_pk_mul_f32 v[8:9], v[2:3], v[8:9]
	s_waitcnt lgkmcnt(2)
	v_pk_mul_f32 v[12:13], v[2:3], v[12:13]
	ds_write2st64_b32 v7, v8, v9 offset1:2
	ds_write2st64_b32 v7, v12, v13 offset0:4 offset1:6
	ds_read2st64_b32 v[12:13], v7 offset0:16 offset1:18
	s_waitcnt lgkmcnt(4)
	v_pk_mul_f32 v[8:9], v[2:3], v[14:15]
	ds_write2st64_b32 v7, v8, v9 offset0:8 offset1:10
	s_waitcnt lgkmcnt(4)
	v_pk_mul_f32 v[8:9], v[2:3], v[18:19]
	ds_write2st64_b32 v7, v8, v9 offset0:12 offset1:14
	ds_read2st64_b32 v[8:9], v7 offset0:20 offset1:22
	s_waitcnt lgkmcnt(3)
	v_pk_mul_f32 v[12:13], v[2:3], v[12:13]
	ds_read2st64_b32 v[14:15], v7 offset0:24 offset1:26
	ds_write2st64_b32 v7, v12, v13 offset0:16 offset1:18
	ds_read2st64_b32 v[12:13], v7 offset0:28 offset1:30
	s_waitcnt lgkmcnt(3)
	v_pk_mul_f32 v[8:9], v[2:3], v[8:9]
	ds_write2st64_b32 v7, v8, v9 offset0:20 offset1:22
	s_waitcnt lgkmcnt(3)
	v_pk_mul_f32 v[8:9], v[2:3], v[14:15]
	ds_write2st64_b32 v7, v8, v9 offset0:24 offset1:26
	s_waitcnt lgkmcnt(2)
	v_pk_mul_f32 v[8:9], v[2:3], v[12:13]
	s_add_i32 s28, s28, 16
	v_cmp_eq_u32_e32 vcc, 0, v6
	ds_write2st64_b32 v7, v8, v9 offset0:28 offset1:30
	v_add_u32_e32 v7, 0x2000, v7
	s_or_b64 s[14:15], vcc, s[14:15]
	v_mov_b32_e32 v8, s28
	s_andn2_b64 exec, exec, s[14:15]
	s_cbranch_execnz .LBB303_92
; %bb.93:
	s_or_b64 exec, exec, s[14:15]
.LBB303_94:
	s_or_b64 exec, exec, s[8:9]
	v_and_b32_e32 v5, 7, v5
	v_cmp_ne_u32_e32 vcc, 0, v5
	s_and_saveexec_b64 s[8:9], vcc
	s_cbranch_execz .LBB303_97
; %bb.95:
	v_lshlrev_b32_e32 v6, 9, v8
	v_lshlrev_b32_e32 v7, 2, v0
	s_movk_i32 s14, 0x110
	v_add3_u32 v6, v6, v7, s14
	s_mov_b64 s[14:15], 0
.LBB303_96:                             ; =>This Inner Loop Header: Depth=1
	ds_read2st64_b32 v[8:9], v6 offset1:2
	v_add_u32_e32 v5, -1, v5
	v_cmp_eq_u32_e32 vcc, 0, v5
	s_or_b64 s[14:15], vcc, s[14:15]
	s_waitcnt lgkmcnt(0)
	v_pk_mul_f32 v[8:9], v[2:3], v[8:9]
	ds_write2st64_b32 v6, v8, v9 offset1:2
	v_add_u32_e32 v6, 0x400, v6
	s_andn2_b64 exec, exec, s[14:15]
	s_cbranch_execnz .LBB303_96
.LBB303_97:
	s_or_b64 exec, exec, s[8:9]
	v_add_u32_e32 v4, 1, v4
	v_and_b32_e32 v5, 0x3fffffe, v4
	v_cmp_ne_u32_e32 vcc, v4, v5
	v_lshl_add_u32 v3, v5, 7, v0
	s_orn2_b64 s[8:9], vcc, exec
.LBB303_98:
	s_or_b64 exec, exec, s[2:3]
	s_and_b64 exec, exec, s[8:9]
	s_cbranch_execz .LBB303_101
; %bb.99:
	v_mov_b32_e32 v4, 0x110
	v_lshl_add_u32 v4, v3, 2, v4
	s_mov_b64 s[2:3], 0
.LBB303_100:                            ; =>This Inner Loop Header: Depth=1
	ds_read_b32 v5, v4
	v_add_u32_e32 v3, 0x80, v3
	v_cmp_le_i32_e32 vcc, s30, v3
	s_or_b64 s[2:3], vcc, s[2:3]
	s_waitcnt lgkmcnt(0)
	v_mul_f32_e32 v5, v2, v5
	ds_write_b32 v4, v5
	v_add_u32_e32 v4, 0x200, v4
	s_andn2_b64 exec, exec, s[2:3]
	s_cbranch_execnz .LBB303_100
.LBB303_101:
	s_or_b64 exec, exec, s[0:1]
	s_mov_b32 s0, 0
	s_mov_b32 s1, s0
	s_waitcnt lgkmcnt(0)
	v_mov_b64_e32 v[2:3], s[0:1]
	s_barrier
	s_and_saveexec_b64 s[2:3], s[6:7]
	s_cbranch_execz .LBB303_269
; %bb.102:
	s_ashr_i32 s1, s33, 31
	s_add_u32 s0, s26, s33
	s_addc_u32 s1, s27, s1
	v_lshlrev_b32_e32 v12, 3, v11
	s_load_dword s10, s[10:11], 0x0
	v_mov_b32_e32 v13, 0
	s_add_i32 s11, s19, -1
	v_lshl_add_u64 v[14:15], s[0:1], 0, v[12:13]
	s_lshl_b64 s[0:1], s[24:25], 2
	s_add_u32 s0, s22, s0
	v_mov_b32_e32 v2, 0x110
	v_and_b32_e32 v12, 60, v16
	s_addc_u32 s1, s23, s1
	v_lshl_or_b32 v20, v1, 3, 7
	v_lshl_add_u32 v21, v1, 5, v2
	v_lshl_add_u64 v[16:17], s[0:1], 0, v[12:13]
	s_mov_b64 s[6:7], 0
	s_mov_b32 s14, 0x7f800000
	s_movk_i32 s15, 0x7fff
	v_mov_b32_e32 v18, 0
	v_mov_b32_e32 v19, v13
	s_branch .LBB303_104
.LBB303_103:                            ;   in Loop: Header=BB303_104 Depth=1
	s_or_b64 exec, exec, s[0:1]
	v_and_b32_e32 v33, 0xffff0000, v7
	v_and_b32_e32 v32, 0xffff0000, v5
	;; [unrolled: 1-line block ×4, first 2 shown]
	v_pk_add_f32 v[4:5], v[4:5], v[32:33]
	v_and_b32_e32 v3, 0xffff0000, v29
	v_and_b32_e32 v2, 0xffff0000, v9
	;; [unrolled: 1-line block ×4, first 2 shown]
	v_mov_b32_e32 v6, v5
	v_pk_add_f32 v[4:5], v[4:5], v[6:7]
	v_pk_add_f32 v[2:3], v[8:9], v[2:3]
	v_and_b32_e32 v9, 0xffff0000, v25
	v_and_b32_e32 v8, 0xffff0000, v23
	;; [unrolled: 1-line block ×4, first 2 shown]
	v_pk_add_f32 v[4:5], v[4:5], v[2:3]
	v_mov_b32_e32 v2, v3
	v_pk_add_f32 v[8:9], v[22:23], v[8:9]
	v_pk_add_f32 v[2:3], v[4:5], v[2:3]
	v_and_b32_e32 v5, 0xffff0000, v30
	v_and_b32_e32 v4, 0xffff0000, v27
	;; [unrolled: 1-line block ×4, first 2 shown]
	v_mov_b32_e32 v12, v9
	v_pk_add_f32 v[8:9], v[8:9], v[12:13]
	v_pk_add_f32 v[4:5], v[6:7], v[4:5]
	;; [unrolled: 1-line block ×4, first 2 shown]
	v_mov_b32_e32 v4, v5
	v_pk_add_f32 v[4:5], v[6:7], v[4:5]
	v_add_u32_e32 v1, 2, v1
	v_mov_b32_e32 v3, v4
	v_pk_add_f32 v[18:19], v[18:19], v[2:3]
	v_cmp_le_i32_e32 vcc, s19, v1
	v_add_u32_e32 v20, 16, v20
	v_add_u32_e32 v21, 64, v21
	v_lshl_add_u64 v[16:17], v[16:17], 0, 8
	s_or_b64 s[6:7], vcc, s[6:7]
	v_mov_b32_e32 v18, v2
	s_andn2_b64 exec, exec, s[6:7]
	s_cbranch_execz .LBB303_268
.LBB303_104:                            ; =>This Inner Loop Header: Depth=1
	global_load_dword v22, v[16:17], off
	ds_read2_b64 v[6:9], v21 offset1:1
	ds_read2_b64 v[2:5], v21 offset0:2 offset1:3
                                        ; implicit-def: $vgpr30
	s_waitcnt lgkmcnt(0)
	v_and_b32_e32 v12, 0x7f800000, v6
	v_cmp_ne_u32_e32 vcc, s14, v12
	s_and_saveexec_b64 s[0:1], vcc
	s_xor_b64 s[0:1], exec, s[0:1]
; %bb.105:                              ;   in Loop: Header=BB303_104 Depth=1
	v_bfe_u32 v12, v6, 16, 1
	v_add3_u32 v30, v6, v12, s15
; %bb.106:                              ;   in Loop: Header=BB303_104 Depth=1
	s_andn2_saveexec_b64 s[0:1], s[0:1]
; %bb.107:                              ;   in Loop: Header=BB303_104 Depth=1
	v_or_b32_e32 v12, 0x10000, v6
	v_cmp_eq_u32_sdwa vcc, v6, v13 src0_sel:WORD_0 src1_sel:DWORD
	s_nop 1
	v_cndmask_b32_e32 v30, v12, v6, vcc
; %bb.108:                              ;   in Loop: Header=BB303_104 Depth=1
	s_or_b64 exec, exec, s[0:1]
	v_and_b32_e32 v6, 0x7f800000, v7
	v_cmp_ne_u32_e32 vcc, s14, v6
                                        ; implicit-def: $vgpr31
	s_and_saveexec_b64 s[0:1], vcc
	s_xor_b64 s[0:1], exec, s[0:1]
; %bb.109:                              ;   in Loop: Header=BB303_104 Depth=1
	v_bfe_u32 v6, v7, 16, 1
	v_add3_u32 v31, v7, v6, s15
; %bb.110:                              ;   in Loop: Header=BB303_104 Depth=1
	s_andn2_saveexec_b64 s[0:1], s[0:1]
; %bb.111:                              ;   in Loop: Header=BB303_104 Depth=1
	v_or_b32_e32 v6, 0x10000, v7
	v_cmp_eq_u32_sdwa vcc, v7, v13 src0_sel:WORD_0 src1_sel:DWORD
	s_nop 1
	v_cndmask_b32_e32 v31, v6, v7, vcc
; %bb.112:                              ;   in Loop: Header=BB303_104 Depth=1
	s_or_b64 exec, exec, s[0:1]
	v_and_b32_e32 v6, 0x7f800000, v8
	v_cmp_ne_u32_e32 vcc, s14, v6
                                        ; implicit-def: $vgpr32
	s_and_saveexec_b64 s[0:1], vcc
	s_xor_b64 s[0:1], exec, s[0:1]
; %bb.113:                              ;   in Loop: Header=BB303_104 Depth=1
	v_bfe_u32 v6, v8, 16, 1
	v_add3_u32 v32, v8, v6, s15
; %bb.114:                              ;   in Loop: Header=BB303_104 Depth=1
	s_andn2_saveexec_b64 s[0:1], s[0:1]
; %bb.115:                              ;   in Loop: Header=BB303_104 Depth=1
	v_or_b32_e32 v6, 0x10000, v8
	v_cmp_eq_u32_sdwa vcc, v8, v13 src0_sel:WORD_0 src1_sel:DWORD
	s_nop 1
	v_cndmask_b32_e32 v32, v6, v8, vcc
; %bb.116:                              ;   in Loop: Header=BB303_104 Depth=1
	s_or_b64 exec, exec, s[0:1]
	v_and_b32_e32 v6, 0x7f800000, v9
	v_cmp_ne_u32_e32 vcc, s14, v6
                                        ; implicit-def: $vgpr33
	s_and_saveexec_b64 s[0:1], vcc
	s_xor_b64 s[0:1], exec, s[0:1]
; %bb.117:                              ;   in Loop: Header=BB303_104 Depth=1
	v_bfe_u32 v6, v9, 16, 1
	v_add3_u32 v33, v9, v6, s15
                                        ; implicit-def: $vgpr6_vgpr7_vgpr8_vgpr9
; %bb.118:                              ;   in Loop: Header=BB303_104 Depth=1
	s_andn2_saveexec_b64 s[0:1], s[0:1]
; %bb.119:                              ;   in Loop: Header=BB303_104 Depth=1
	v_or_b32_e32 v6, 0x10000, v9
	v_cmp_eq_u32_sdwa vcc, v9, v13 src0_sel:WORD_0 src1_sel:DWORD
	s_nop 1
	v_cndmask_b32_e32 v33, v6, v9, vcc
; %bb.120:                              ;   in Loop: Header=BB303_104 Depth=1
	s_or_b64 exec, exec, s[0:1]
	v_and_b32_e32 v6, 0x7f800000, v2
	v_cmp_ne_u32_e32 vcc, s14, v6
                                        ; implicit-def: $vgpr8
	s_and_saveexec_b64 s[0:1], vcc
	s_xor_b64 s[0:1], exec, s[0:1]
; %bb.121:                              ;   in Loop: Header=BB303_104 Depth=1
	v_bfe_u32 v6, v2, 16, 1
	v_add3_u32 v8, v2, v6, s15
; %bb.122:                              ;   in Loop: Header=BB303_104 Depth=1
	s_andn2_saveexec_b64 s[0:1], s[0:1]
; %bb.123:                              ;   in Loop: Header=BB303_104 Depth=1
	v_or_b32_e32 v6, 0x10000, v2
	v_cmp_eq_u32_sdwa vcc, v2, v13 src0_sel:WORD_0 src1_sel:DWORD
	s_nop 1
	v_cndmask_b32_e32 v8, v6, v2, vcc
; %bb.124:                              ;   in Loop: Header=BB303_104 Depth=1
	s_or_b64 exec, exec, s[0:1]
	v_and_b32_e32 v2, 0x7f800000, v3
	v_cmp_ne_u32_e32 vcc, s14, v2
                                        ; implicit-def: $vgpr9
	s_and_saveexec_b64 s[0:1], vcc
	s_xor_b64 s[0:1], exec, s[0:1]
; %bb.125:                              ;   in Loop: Header=BB303_104 Depth=1
	v_bfe_u32 v2, v3, 16, 1
	v_add3_u32 v9, v3, v2, s15
; %bb.126:                              ;   in Loop: Header=BB303_104 Depth=1
	s_andn2_saveexec_b64 s[0:1], s[0:1]
; %bb.127:                              ;   in Loop: Header=BB303_104 Depth=1
	v_or_b32_e32 v2, 0x10000, v3
	v_cmp_eq_u32_sdwa vcc, v3, v13 src0_sel:WORD_0 src1_sel:DWORD
	s_nop 1
	v_cndmask_b32_e32 v9, v2, v3, vcc
; %bb.128:                              ;   in Loop: Header=BB303_104 Depth=1
	s_or_b64 exec, exec, s[0:1]
	v_and_b32_e32 v2, 0x7f800000, v4
	v_cmp_ne_u32_e32 vcc, s14, v2
                                        ; implicit-def: $vgpr12
	s_and_saveexec_b64 s[0:1], vcc
	s_xor_b64 s[0:1], exec, s[0:1]
; %bb.129:                              ;   in Loop: Header=BB303_104 Depth=1
	v_bfe_u32 v2, v4, 16, 1
	v_add3_u32 v12, v4, v2, s15
; %bb.130:                              ;   in Loop: Header=BB303_104 Depth=1
	s_andn2_saveexec_b64 s[0:1], s[0:1]
; %bb.131:                              ;   in Loop: Header=BB303_104 Depth=1
	v_or_b32_e32 v2, 0x10000, v4
	v_cmp_eq_u32_sdwa vcc, v4, v13 src0_sel:WORD_0 src1_sel:DWORD
	s_nop 1
	v_cndmask_b32_e32 v12, v2, v4, vcc
; %bb.132:                              ;   in Loop: Header=BB303_104 Depth=1
	s_or_b64 exec, exec, s[0:1]
	v_and_b32_e32 v2, 0x7f800000, v5
	v_cmp_ne_u32_e32 vcc, s14, v2
                                        ; implicit-def: $vgpr29
	s_and_saveexec_b64 s[0:1], vcc
	s_xor_b64 s[0:1], exec, s[0:1]
; %bb.133:                              ;   in Loop: Header=BB303_104 Depth=1
	v_bfe_u32 v2, v5, 16, 1
	v_add3_u32 v29, v5, v2, s15
                                        ; implicit-def: $vgpr2_vgpr3_vgpr4_vgpr5
; %bb.134:                              ;   in Loop: Header=BB303_104 Depth=1
	s_andn2_saveexec_b64 s[0:1], s[0:1]
; %bb.135:                              ;   in Loop: Header=BB303_104 Depth=1
	v_or_b32_e32 v2, 0x10000, v5
	v_cmp_eq_u32_sdwa vcc, v5, v13 src0_sel:WORD_0 src1_sel:DWORD
	s_nop 1
	v_cndmask_b32_e32 v29, v2, v5, vcc
; %bb.136:                              ;   in Loop: Header=BB303_104 Depth=1
	s_or_b64 exec, exec, s[0:1]
	s_waitcnt vmcnt(0)
	v_mad_i64_i32 v[2:3], s[0:1], v22, s13, v[14:15]
	global_load_dwordx2 v[4:5], v[2:3], off
	s_waitcnt vmcnt(0)
	v_and_b32_e32 v6, 0xff, v4
	v_cvt_f32_fp8_sdwa v6, v6 src0_sel:BYTE_0
	s_nop 0
	v_mul_f32_e32 v7, s10, v6
	v_and_b32_e32 v6, 0x7f800000, v7
	v_cmp_ne_u32_e32 vcc, s14, v6
                                        ; implicit-def: $vgpr6
	s_and_saveexec_b64 s[0:1], vcc
	s_xor_b64 s[0:1], exec, s[0:1]
; %bb.137:                              ;   in Loop: Header=BB303_104 Depth=1
	v_bfe_u32 v6, v7, 16, 1
	v_add3_u32 v6, v7, v6, s15
                                        ; implicit-def: $vgpr7
; %bb.138:                              ;   in Loop: Header=BB303_104 Depth=1
	s_andn2_saveexec_b64 s[0:1], s[0:1]
; %bb.139:                              ;   in Loop: Header=BB303_104 Depth=1
	v_or_b32_e32 v6, 0x10000, v7
	v_cmp_eq_u32_sdwa vcc, v7, v13 src0_sel:WORD_0 src1_sel:DWORD
	s_nop 1
	v_cndmask_b32_e32 v6, v6, v7, vcc
; %bb.140:                              ;   in Loop: Header=BB303_104 Depth=1
	s_or_b64 exec, exec, s[0:1]
	v_bfe_u32 v7, v4, 8, 8
	v_cvt_f32_fp8_sdwa v7, v7 src0_sel:BYTE_0
	s_nop 0
	v_mul_f32_e32 v22, s10, v7
	v_and_b32_e32 v7, 0x7f800000, v22
	v_cmp_ne_u32_e32 vcc, s14, v7
                                        ; implicit-def: $vgpr7
	s_and_saveexec_b64 s[0:1], vcc
	s_xor_b64 s[0:1], exec, s[0:1]
; %bb.141:                              ;   in Loop: Header=BB303_104 Depth=1
	v_bfe_u32 v7, v22, 16, 1
	v_add3_u32 v7, v22, v7, s15
                                        ; implicit-def: $vgpr22
; %bb.142:                              ;   in Loop: Header=BB303_104 Depth=1
	s_andn2_saveexec_b64 s[0:1], s[0:1]
; %bb.143:                              ;   in Loop: Header=BB303_104 Depth=1
	v_or_b32_e32 v7, 0x10000, v22
	v_cmp_eq_u32_sdwa vcc, v22, v13 src0_sel:WORD_0 src1_sel:DWORD
	s_nop 1
	v_cndmask_b32_e32 v7, v7, v22, vcc
; %bb.144:                              ;   in Loop: Header=BB303_104 Depth=1
	s_or_b64 exec, exec, s[0:1]
	v_bfe_u32 v22, v4, 16, 8
	v_cvt_f32_fp8_sdwa v22, v22 src0_sel:BYTE_0
	s_nop 0
	v_mul_f32_e32 v22, s10, v22
	v_and_b32_e32 v23, 0x7f800000, v22
	v_cmp_ne_u32_e32 vcc, s14, v23
                                        ; implicit-def: $vgpr23
	s_and_saveexec_b64 s[0:1], vcc
	s_xor_b64 s[0:1], exec, s[0:1]
; %bb.145:                              ;   in Loop: Header=BB303_104 Depth=1
	v_bfe_u32 v23, v22, 16, 1
	v_add3_u32 v23, v22, v23, s15
                                        ; implicit-def: $vgpr22
; %bb.146:                              ;   in Loop: Header=BB303_104 Depth=1
	s_andn2_saveexec_b64 s[0:1], s[0:1]
; %bb.147:                              ;   in Loop: Header=BB303_104 Depth=1
	v_or_b32_e32 v23, 0x10000, v22
	v_cmp_eq_u32_sdwa vcc, v22, v13 src0_sel:WORD_0 src1_sel:DWORD
	s_nop 1
	v_cndmask_b32_e32 v23, v23, v22, vcc
; %bb.148:                              ;   in Loop: Header=BB303_104 Depth=1
	s_or_b64 exec, exec, s[0:1]
	v_lshrrev_b32_e32 v4, 24, v4
	v_cvt_f32_fp8_sdwa v4, v4 src0_sel:BYTE_0
	s_nop 0
	v_mul_f32_e32 v22, s10, v4
	v_and_b32_e32 v4, 0x7f800000, v22
	v_cmp_ne_u32_e32 vcc, s14, v4
                                        ; implicit-def: $vgpr4
	s_and_saveexec_b64 s[0:1], vcc
	s_xor_b64 s[0:1], exec, s[0:1]
; %bb.149:                              ;   in Loop: Header=BB303_104 Depth=1
	v_bfe_u32 v4, v22, 16, 1
	v_add3_u32 v4, v22, v4, s15
                                        ; implicit-def: $vgpr22
; %bb.150:                              ;   in Loop: Header=BB303_104 Depth=1
	s_andn2_saveexec_b64 s[0:1], s[0:1]
; %bb.151:                              ;   in Loop: Header=BB303_104 Depth=1
	v_or_b32_e32 v4, 0x10000, v22
	v_cmp_eq_u32_sdwa vcc, v22, v13 src0_sel:WORD_0 src1_sel:DWORD
	s_nop 1
	v_cndmask_b32_e32 v4, v4, v22, vcc
; %bb.152:                              ;   in Loop: Header=BB303_104 Depth=1
	s_or_b64 exec, exec, s[0:1]
	v_and_b32_e32 v22, 0xff, v5
	v_cvt_f32_fp8_sdwa v22, v22 src0_sel:BYTE_0
	s_nop 0
	v_mul_f32_e32 v22, s10, v22
	v_and_b32_e32 v24, 0x7f800000, v22
	v_cmp_ne_u32_e32 vcc, s14, v24
                                        ; implicit-def: $vgpr24
	s_and_saveexec_b64 s[0:1], vcc
	s_xor_b64 s[0:1], exec, s[0:1]
; %bb.153:                              ;   in Loop: Header=BB303_104 Depth=1
	v_bfe_u32 v24, v22, 16, 1
	v_add3_u32 v24, v22, v24, s15
                                        ; implicit-def: $vgpr22
; %bb.154:                              ;   in Loop: Header=BB303_104 Depth=1
	s_andn2_saveexec_b64 s[0:1], s[0:1]
; %bb.155:                              ;   in Loop: Header=BB303_104 Depth=1
	v_or_b32_e32 v24, 0x10000, v22
	v_cmp_eq_u32_sdwa vcc, v22, v13 src0_sel:WORD_0 src1_sel:DWORD
	s_nop 1
	v_cndmask_b32_e32 v24, v24, v22, vcc
; %bb.156:                              ;   in Loop: Header=BB303_104 Depth=1
	s_or_b64 exec, exec, s[0:1]
	v_bfe_u32 v22, v5, 8, 8
	v_cvt_f32_fp8_sdwa v22, v22 src0_sel:BYTE_0
	s_nop 0
	v_mul_f32_e32 v22, s10, v22
	v_and_b32_e32 v25, 0x7f800000, v22
	v_cmp_ne_u32_e32 vcc, s14, v25
                                        ; implicit-def: $vgpr25
	s_and_saveexec_b64 s[0:1], vcc
	s_xor_b64 s[0:1], exec, s[0:1]
; %bb.157:                              ;   in Loop: Header=BB303_104 Depth=1
	v_bfe_u32 v25, v22, 16, 1
	v_add3_u32 v25, v22, v25, s15
                                        ; implicit-def: $vgpr22
; %bb.158:                              ;   in Loop: Header=BB303_104 Depth=1
	s_andn2_saveexec_b64 s[0:1], s[0:1]
; %bb.159:                              ;   in Loop: Header=BB303_104 Depth=1
	v_or_b32_e32 v25, 0x10000, v22
	v_cmp_eq_u32_sdwa vcc, v22, v13 src0_sel:WORD_0 src1_sel:DWORD
	s_nop 1
	v_cndmask_b32_e32 v25, v25, v22, vcc
; %bb.160:                              ;   in Loop: Header=BB303_104 Depth=1
	s_or_b64 exec, exec, s[0:1]
	v_bfe_u32 v22, v5, 16, 8
	v_cvt_f32_fp8_sdwa v22, v22 src0_sel:BYTE_0
	s_nop 0
	v_mul_f32_e32 v22, s10, v22
	v_and_b32_e32 v26, 0x7f800000, v22
	v_cmp_ne_u32_e32 vcc, s14, v26
                                        ; implicit-def: $vgpr26
	s_and_saveexec_b64 s[0:1], vcc
	s_xor_b64 s[0:1], exec, s[0:1]
; %bb.161:                              ;   in Loop: Header=BB303_104 Depth=1
	v_bfe_u32 v26, v22, 16, 1
	v_add3_u32 v26, v22, v26, s15
                                        ; implicit-def: $vgpr22
; %bb.162:                              ;   in Loop: Header=BB303_104 Depth=1
	s_andn2_saveexec_b64 s[0:1], s[0:1]
; %bb.163:                              ;   in Loop: Header=BB303_104 Depth=1
	v_or_b32_e32 v26, 0x10000, v22
	v_cmp_eq_u32_sdwa vcc, v22, v13 src0_sel:WORD_0 src1_sel:DWORD
	s_nop 1
	v_cndmask_b32_e32 v26, v26, v22, vcc
; %bb.164:                              ;   in Loop: Header=BB303_104 Depth=1
	s_or_b64 exec, exec, s[0:1]
	v_lshrrev_b32_e32 v5, 24, v5
	v_cvt_f32_fp8_sdwa v5, v5 src0_sel:BYTE_0
                                        ; implicit-def: $vgpr27
	s_nop 0
	v_mul_f32_e32 v5, s10, v5
	v_and_b32_e32 v22, 0x7f800000, v5
	v_cmp_ne_u32_e32 vcc, s14, v22
	s_and_saveexec_b64 s[0:1], vcc
	s_xor_b64 s[0:1], exec, s[0:1]
; %bb.165:                              ;   in Loop: Header=BB303_104 Depth=1
	v_bfe_u32 v22, v5, 16, 1
	v_add3_u32 v27, v5, v22, s15
                                        ; implicit-def: $vgpr5
; %bb.166:                              ;   in Loop: Header=BB303_104 Depth=1
	s_andn2_saveexec_b64 s[0:1], s[0:1]
; %bb.167:                              ;   in Loop: Header=BB303_104 Depth=1
	v_or_b32_e32 v22, 0x10000, v5
	v_cmp_eq_u32_sdwa vcc, v5, v13 src0_sel:WORD_0 src1_sel:DWORD
	s_nop 1
	v_cndmask_b32_e32 v27, v22, v5, vcc
; %bb.168:                              ;   in Loop: Header=BB303_104 Depth=1
	s_or_b64 exec, exec, s[0:1]
	v_cmp_eq_u32_e32 vcc, s11, v1
	v_add_u32_e32 v22, -7, v20
	v_lshrrev_b32_e32 v36, 16, v25
	v_lshrrev_b32_e32 v35, 16, v24
	;; [unrolled: 1-line block ×8, first 2 shown]
	v_add_u32_e32 v28, -6, v20
	v_add_u32_e32 v27, -5, v20
	;; [unrolled: 1-line block ×6, first 2 shown]
	s_and_saveexec_b64 s[8:9], vcc
	s_cbranch_execz .LBB303_170
; %bb.169:                              ;   in Loop: Header=BB303_104 Depth=1
	v_cmp_gt_i32_e64 s[0:1], s17, v22
	s_nop 1
	v_cndmask_b32_e64 v4, 0, v4, s[0:1]
	v_cmp_gt_i32_e64 s[0:1], s17, v28
	s_nop 1
	v_cndmask_b32_e64 v5, 0, v5, s[0:1]
	v_cmp_gt_i32_e64 s[0:1], s17, v27
	s_nop 1
	v_cndmask_b32_e64 v39, 0, v39, s[0:1]
	v_cmp_gt_i32_e64 s[0:1], s17, v26
	s_nop 1
	v_cndmask_b32_e64 v34, 0, v34, s[0:1]
	v_cmp_gt_i32_e64 s[0:1], s17, v25
	s_nop 1
	v_cndmask_b32_e64 v35, 0, v35, s[0:1]
	v_cmp_gt_i32_e64 s[0:1], s17, v24
	s_nop 1
	v_cndmask_b32_e64 v36, 0, v36, s[0:1]
	v_cmp_gt_i32_e64 s[0:1], s17, v23
	s_nop 1
	v_cndmask_b32_e64 v37, 0, v37, s[0:1]
	v_cmp_gt_i32_e64 s[0:1], s17, v20
	s_nop 1
	v_cndmask_b32_e64 v38, 0, v38, s[0:1]
.LBB303_170:                            ;   in Loop: Header=BB303_104 Depth=1
	s_or_b64 exec, exec, s[8:9]
	v_and_b32_e32 v30, 0xffff0000, v30
	v_lshlrev_b32_e32 v4, 16, v4
	v_mul_f32_e32 v6, v30, v4
	v_and_b32_e32 v4, 0x7f800000, v6
	v_cmp_ne_u32_e64 s[0:1], s14, v4
                                        ; implicit-def: $vgpr4
	s_and_saveexec_b64 s[8:9], s[0:1]
	s_xor_b64 s[0:1], exec, s[8:9]
; %bb.171:                              ;   in Loop: Header=BB303_104 Depth=1
	v_bfe_u32 v4, v6, 16, 1
	v_add3_u32 v4, v6, v4, s15
                                        ; implicit-def: $vgpr6
; %bb.172:                              ;   in Loop: Header=BB303_104 Depth=1
	s_andn2_saveexec_b64 s[8:9], s[0:1]
; %bb.173:                              ;   in Loop: Header=BB303_104 Depth=1
	v_or_b32_e32 v4, 0x10000, v6
	v_cmp_eq_u32_sdwa s[0:1], v6, v13 src0_sel:WORD_0 src1_sel:DWORD
	s_nop 1
	v_cndmask_b32_e64 v4, v4, v6, s[0:1]
; %bb.174:                              ;   in Loop: Header=BB303_104 Depth=1
	s_or_b64 exec, exec, s[8:9]
	v_and_b32_e32 v31, 0xffff0000, v31
	v_lshlrev_b32_e32 v5, 16, v5
	v_mul_f32_e32 v6, v31, v5
	v_and_b32_e32 v5, 0x7f800000, v6
	v_cmp_ne_u32_e64 s[0:1], s14, v5
                                        ; implicit-def: $vgpr5
	s_and_saveexec_b64 s[8:9], s[0:1]
	s_xor_b64 s[0:1], exec, s[8:9]
; %bb.175:                              ;   in Loop: Header=BB303_104 Depth=1
	v_bfe_u32 v5, v6, 16, 1
	v_add3_u32 v5, v6, v5, s15
                                        ; implicit-def: $vgpr6
; %bb.176:                              ;   in Loop: Header=BB303_104 Depth=1
	s_andn2_saveexec_b64 s[8:9], s[0:1]
; %bb.177:                              ;   in Loop: Header=BB303_104 Depth=1
	v_or_b32_e32 v5, 0x10000, v6
	v_cmp_eq_u32_sdwa s[0:1], v6, v13 src0_sel:WORD_0 src1_sel:DWORD
	s_nop 1
	v_cndmask_b32_e64 v5, v5, v6, s[0:1]
; %bb.178:                              ;   in Loop: Header=BB303_104 Depth=1
	s_or_b64 exec, exec, s[8:9]
	v_and_b32_e32 v32, 0xffff0000, v32
	v_lshlrev_b32_e32 v6, 16, v39
	v_mul_f32_e32 v7, v32, v6
	v_and_b32_e32 v6, 0x7f800000, v7
	v_cmp_ne_u32_e64 s[0:1], s14, v6
                                        ; implicit-def: $vgpr6
	s_and_saveexec_b64 s[8:9], s[0:1]
	s_xor_b64 s[0:1], exec, s[8:9]
; %bb.179:                              ;   in Loop: Header=BB303_104 Depth=1
	v_bfe_u32 v6, v7, 16, 1
	v_add3_u32 v6, v7, v6, s15
                                        ; implicit-def: $vgpr7
; %bb.180:                              ;   in Loop: Header=BB303_104 Depth=1
	s_andn2_saveexec_b64 s[8:9], s[0:1]
; %bb.181:                              ;   in Loop: Header=BB303_104 Depth=1
	v_or_b32_e32 v6, 0x10000, v7
	v_cmp_eq_u32_sdwa s[0:1], v7, v13 src0_sel:WORD_0 src1_sel:DWORD
	s_nop 1
	v_cndmask_b32_e64 v6, v6, v7, s[0:1]
; %bb.182:                              ;   in Loop: Header=BB303_104 Depth=1
	s_or_b64 exec, exec, s[8:9]
	v_and_b32_e32 v33, 0xffff0000, v33
	v_lshlrev_b32_e32 v7, 16, v34
	v_mul_f32_e32 v34, v33, v7
	v_and_b32_e32 v7, 0x7f800000, v34
	v_cmp_ne_u32_e64 s[0:1], s14, v7
                                        ; implicit-def: $vgpr7
	s_and_saveexec_b64 s[8:9], s[0:1]
	s_xor_b64 s[0:1], exec, s[8:9]
; %bb.183:                              ;   in Loop: Header=BB303_104 Depth=1
	v_bfe_u32 v7, v34, 16, 1
	v_add3_u32 v7, v34, v7, s15
                                        ; implicit-def: $vgpr34
; %bb.184:                              ;   in Loop: Header=BB303_104 Depth=1
	s_andn2_saveexec_b64 s[8:9], s[0:1]
; %bb.185:                              ;   in Loop: Header=BB303_104 Depth=1
	v_or_b32_e32 v7, 0x10000, v34
	v_cmp_eq_u32_sdwa s[0:1], v34, v13 src0_sel:WORD_0 src1_sel:DWORD
	s_nop 1
	v_cndmask_b32_e64 v7, v7, v34, s[0:1]
; %bb.186:                              ;   in Loop: Header=BB303_104 Depth=1
	s_or_b64 exec, exec, s[8:9]
	v_and_b32_e32 v34, 0xffff0000, v8
	v_lshlrev_b32_e32 v8, 16, v35
	v_mul_f32_e32 v35, v34, v8
	v_and_b32_e32 v8, 0x7f800000, v35
	v_cmp_ne_u32_e64 s[0:1], s14, v8
                                        ; implicit-def: $vgpr8
	s_and_saveexec_b64 s[8:9], s[0:1]
	s_xor_b64 s[0:1], exec, s[8:9]
; %bb.187:                              ;   in Loop: Header=BB303_104 Depth=1
	v_bfe_u32 v8, v35, 16, 1
	v_add3_u32 v8, v35, v8, s15
                                        ; implicit-def: $vgpr35
; %bb.188:                              ;   in Loop: Header=BB303_104 Depth=1
	s_andn2_saveexec_b64 s[8:9], s[0:1]
; %bb.189:                              ;   in Loop: Header=BB303_104 Depth=1
	v_or_b32_e32 v8, 0x10000, v35
	v_cmp_eq_u32_sdwa s[0:1], v35, v13 src0_sel:WORD_0 src1_sel:DWORD
	s_nop 1
	v_cndmask_b32_e64 v8, v8, v35, s[0:1]
; %bb.190:                              ;   in Loop: Header=BB303_104 Depth=1
	s_or_b64 exec, exec, s[8:9]
	v_and_b32_e32 v35, 0xffff0000, v9
	v_lshlrev_b32_e32 v9, 16, v36
	v_mul_f32_e32 v36, v35, v9
	v_and_b32_e32 v9, 0x7f800000, v36
	v_cmp_ne_u32_e64 s[0:1], s14, v9
                                        ; implicit-def: $vgpr9
	s_and_saveexec_b64 s[8:9], s[0:1]
	s_xor_b64 s[0:1], exec, s[8:9]
; %bb.191:                              ;   in Loop: Header=BB303_104 Depth=1
	v_bfe_u32 v9, v36, 16, 1
	v_add3_u32 v9, v36, v9, s15
                                        ; implicit-def: $vgpr36
; %bb.192:                              ;   in Loop: Header=BB303_104 Depth=1
	s_andn2_saveexec_b64 s[8:9], s[0:1]
; %bb.193:                              ;   in Loop: Header=BB303_104 Depth=1
	v_or_b32_e32 v9, 0x10000, v36
	v_cmp_eq_u32_sdwa s[0:1], v36, v13 src0_sel:WORD_0 src1_sel:DWORD
	s_nop 1
	v_cndmask_b32_e64 v9, v9, v36, s[0:1]
; %bb.194:                              ;   in Loop: Header=BB303_104 Depth=1
	s_or_b64 exec, exec, s[8:9]
	v_and_b32_e32 v36, 0xffff0000, v12
	v_lshlrev_b32_e32 v12, 16, v37
	v_mul_f32_e32 v37, v36, v12
	v_and_b32_e32 v12, 0x7f800000, v37
	v_cmp_ne_u32_e64 s[0:1], s14, v12
                                        ; implicit-def: $vgpr12
	s_and_saveexec_b64 s[8:9], s[0:1]
	s_xor_b64 s[0:1], exec, s[8:9]
; %bb.195:                              ;   in Loop: Header=BB303_104 Depth=1
	v_bfe_u32 v12, v37, 16, 1
	v_add3_u32 v12, v37, v12, s15
                                        ; implicit-def: $vgpr37
; %bb.196:                              ;   in Loop: Header=BB303_104 Depth=1
	s_andn2_saveexec_b64 s[8:9], s[0:1]
; %bb.197:                              ;   in Loop: Header=BB303_104 Depth=1
	v_or_b32_e32 v12, 0x10000, v37
	v_cmp_eq_u32_sdwa s[0:1], v37, v13 src0_sel:WORD_0 src1_sel:DWORD
	s_nop 1
	v_cndmask_b32_e64 v12, v12, v37, s[0:1]
; %bb.198:                              ;   in Loop: Header=BB303_104 Depth=1
	s_or_b64 exec, exec, s[8:9]
	v_and_b32_e32 v37, 0xffff0000, v29
	v_lshlrev_b32_e32 v29, 16, v38
	v_mul_f32_e32 v38, v37, v29
	v_and_b32_e32 v29, 0x7f800000, v38
	v_cmp_ne_u32_e64 s[0:1], s14, v29
                                        ; implicit-def: $vgpr29
	s_and_saveexec_b64 s[8:9], s[0:1]
	s_xor_b64 s[0:1], exec, s[8:9]
; %bb.199:                              ;   in Loop: Header=BB303_104 Depth=1
	v_bfe_u32 v29, v38, 16, 1
	v_add3_u32 v29, v38, v29, s15
                                        ; implicit-def: $vgpr38
; %bb.200:                              ;   in Loop: Header=BB303_104 Depth=1
	s_andn2_saveexec_b64 s[8:9], s[0:1]
; %bb.201:                              ;   in Loop: Header=BB303_104 Depth=1
	v_or_b32_e32 v29, 0x10000, v38
	v_cmp_eq_u32_sdwa s[0:1], v38, v13 src0_sel:WORD_0 src1_sel:DWORD
	s_nop 1
	v_cndmask_b32_e64 v29, v29, v38, s[0:1]
; %bb.202:                              ;   in Loop: Header=BB303_104 Depth=1
	s_or_b64 exec, exec, s[8:9]
	global_load_dwordx2 v[2:3], v[2:3], off offset:512
	s_waitcnt vmcnt(0)
	v_and_b32_e32 v38, 0xff, v2
	v_cvt_f32_fp8_sdwa v38, v38 src0_sel:BYTE_0
	s_nop 0
	v_mul_f32_e32 v39, s10, v38
	v_and_b32_e32 v38, 0x7f800000, v39
	v_cmp_ne_u32_e64 s[0:1], s14, v38
                                        ; implicit-def: $vgpr38
	s_and_saveexec_b64 s[8:9], s[0:1]
	s_xor_b64 s[0:1], exec, s[8:9]
; %bb.203:                              ;   in Loop: Header=BB303_104 Depth=1
	v_bfe_u32 v38, v39, 16, 1
	v_add3_u32 v38, v39, v38, s15
                                        ; implicit-def: $vgpr39
; %bb.204:                              ;   in Loop: Header=BB303_104 Depth=1
	s_andn2_saveexec_b64 s[8:9], s[0:1]
; %bb.205:                              ;   in Loop: Header=BB303_104 Depth=1
	v_or_b32_e32 v38, 0x10000, v39
	v_cmp_eq_u32_sdwa s[0:1], v39, v13 src0_sel:WORD_0 src1_sel:DWORD
	s_nop 1
	v_cndmask_b32_e64 v38, v38, v39, s[0:1]
; %bb.206:                              ;   in Loop: Header=BB303_104 Depth=1
	s_or_b64 exec, exec, s[8:9]
	v_bfe_u32 v39, v2, 8, 8
	v_cvt_f32_fp8_sdwa v39, v39 src0_sel:BYTE_0
	s_nop 0
	v_mul_f32_e32 v40, s10, v39
	v_and_b32_e32 v39, 0x7f800000, v40
	v_cmp_ne_u32_e64 s[0:1], s14, v39
                                        ; implicit-def: $vgpr39
	s_and_saveexec_b64 s[8:9], s[0:1]
	s_xor_b64 s[0:1], exec, s[8:9]
; %bb.207:                              ;   in Loop: Header=BB303_104 Depth=1
	v_bfe_u32 v39, v40, 16, 1
	v_add3_u32 v39, v40, v39, s15
                                        ; implicit-def: $vgpr40
; %bb.208:                              ;   in Loop: Header=BB303_104 Depth=1
	s_andn2_saveexec_b64 s[8:9], s[0:1]
; %bb.209:                              ;   in Loop: Header=BB303_104 Depth=1
	v_or_b32_e32 v39, 0x10000, v40
	v_cmp_eq_u32_sdwa s[0:1], v40, v13 src0_sel:WORD_0 src1_sel:DWORD
	s_nop 1
	v_cndmask_b32_e64 v39, v39, v40, s[0:1]
; %bb.210:                              ;   in Loop: Header=BB303_104 Depth=1
	s_or_b64 exec, exec, s[8:9]
	v_bfe_u32 v40, v2, 16, 8
	v_cvt_f32_fp8_sdwa v40, v40 src0_sel:BYTE_0
	s_nop 0
	v_mul_f32_e32 v40, s10, v40
	v_and_b32_e32 v41, 0x7f800000, v40
	v_cmp_ne_u32_e64 s[0:1], s14, v41
                                        ; implicit-def: $vgpr41
	s_and_saveexec_b64 s[8:9], s[0:1]
	s_xor_b64 s[0:1], exec, s[8:9]
; %bb.211:                              ;   in Loop: Header=BB303_104 Depth=1
	v_bfe_u32 v41, v40, 16, 1
	v_add3_u32 v41, v40, v41, s15
                                        ; implicit-def: $vgpr40
; %bb.212:                              ;   in Loop: Header=BB303_104 Depth=1
	s_andn2_saveexec_b64 s[8:9], s[0:1]
; %bb.213:                              ;   in Loop: Header=BB303_104 Depth=1
	v_or_b32_e32 v41, 0x10000, v40
	v_cmp_eq_u32_sdwa s[0:1], v40, v13 src0_sel:WORD_0 src1_sel:DWORD
	s_nop 1
	v_cndmask_b32_e64 v41, v41, v40, s[0:1]
; %bb.214:                              ;   in Loop: Header=BB303_104 Depth=1
	s_or_b64 exec, exec, s[8:9]
	v_lshrrev_b32_e32 v2, 24, v2
	v_cvt_f32_fp8_sdwa v2, v2 src0_sel:BYTE_0
	s_nop 0
	v_mul_f32_e32 v40, s10, v2
	v_and_b32_e32 v2, 0x7f800000, v40
	v_cmp_ne_u32_e64 s[0:1], s14, v2
                                        ; implicit-def: $vgpr2
	s_and_saveexec_b64 s[8:9], s[0:1]
	s_xor_b64 s[0:1], exec, s[8:9]
; %bb.215:                              ;   in Loop: Header=BB303_104 Depth=1
	v_bfe_u32 v2, v40, 16, 1
	v_add3_u32 v2, v40, v2, s15
                                        ; implicit-def: $vgpr40
; %bb.216:                              ;   in Loop: Header=BB303_104 Depth=1
	s_andn2_saveexec_b64 s[8:9], s[0:1]
; %bb.217:                              ;   in Loop: Header=BB303_104 Depth=1
	v_or_b32_e32 v2, 0x10000, v40
	v_cmp_eq_u32_sdwa s[0:1], v40, v13 src0_sel:WORD_0 src1_sel:DWORD
	s_nop 1
	v_cndmask_b32_e64 v2, v2, v40, s[0:1]
; %bb.218:                              ;   in Loop: Header=BB303_104 Depth=1
	s_or_b64 exec, exec, s[8:9]
	v_and_b32_e32 v40, 0xff, v3
	v_cvt_f32_fp8_sdwa v40, v40 src0_sel:BYTE_0
	s_nop 0
	v_mul_f32_e32 v40, s10, v40
	v_and_b32_e32 v42, 0x7f800000, v40
	v_cmp_ne_u32_e64 s[0:1], s14, v42
                                        ; implicit-def: $vgpr42
	s_and_saveexec_b64 s[8:9], s[0:1]
	s_xor_b64 s[0:1], exec, s[8:9]
; %bb.219:                              ;   in Loop: Header=BB303_104 Depth=1
	v_bfe_u32 v42, v40, 16, 1
	v_add3_u32 v42, v40, v42, s15
                                        ; implicit-def: $vgpr40
; %bb.220:                              ;   in Loop: Header=BB303_104 Depth=1
	s_andn2_saveexec_b64 s[8:9], s[0:1]
; %bb.221:                              ;   in Loop: Header=BB303_104 Depth=1
	v_or_b32_e32 v42, 0x10000, v40
	v_cmp_eq_u32_sdwa s[0:1], v40, v13 src0_sel:WORD_0 src1_sel:DWORD
	s_nop 1
	v_cndmask_b32_e64 v42, v42, v40, s[0:1]
; %bb.222:                              ;   in Loop: Header=BB303_104 Depth=1
	s_or_b64 exec, exec, s[8:9]
	v_bfe_u32 v40, v3, 8, 8
	v_cvt_f32_fp8_sdwa v40, v40 src0_sel:BYTE_0
	s_nop 0
	v_mul_f32_e32 v43, s10, v40
	v_and_b32_e32 v40, 0x7f800000, v43
	v_cmp_ne_u32_e64 s[0:1], s14, v40
                                        ; implicit-def: $vgpr40
	s_and_saveexec_b64 s[8:9], s[0:1]
	s_xor_b64 s[0:1], exec, s[8:9]
; %bb.223:                              ;   in Loop: Header=BB303_104 Depth=1
	v_bfe_u32 v40, v43, 16, 1
	v_add3_u32 v40, v43, v40, s15
                                        ; implicit-def: $vgpr43
; %bb.224:                              ;   in Loop: Header=BB303_104 Depth=1
	s_andn2_saveexec_b64 s[8:9], s[0:1]
; %bb.225:                              ;   in Loop: Header=BB303_104 Depth=1
	v_or_b32_e32 v40, 0x10000, v43
	v_cmp_eq_u32_sdwa s[0:1], v43, v13 src0_sel:WORD_0 src1_sel:DWORD
	s_nop 1
	v_cndmask_b32_e64 v40, v40, v43, s[0:1]
; %bb.226:                              ;   in Loop: Header=BB303_104 Depth=1
	s_or_b64 exec, exec, s[8:9]
	v_bfe_u32 v43, v3, 16, 8
	v_cvt_f32_fp8_sdwa v43, v43 src0_sel:BYTE_0
	s_nop 0
	v_mul_f32_e32 v43, s10, v43
	v_and_b32_e32 v44, 0x7f800000, v43
	v_cmp_ne_u32_e64 s[0:1], s14, v44
                                        ; implicit-def: $vgpr44
	s_and_saveexec_b64 s[8:9], s[0:1]
	s_xor_b64 s[0:1], exec, s[8:9]
; %bb.227:                              ;   in Loop: Header=BB303_104 Depth=1
	v_bfe_u32 v44, v43, 16, 1
	v_add3_u32 v44, v43, v44, s15
                                        ; implicit-def: $vgpr43
; %bb.228:                              ;   in Loop: Header=BB303_104 Depth=1
	s_andn2_saveexec_b64 s[8:9], s[0:1]
; %bb.229:                              ;   in Loop: Header=BB303_104 Depth=1
	v_or_b32_e32 v44, 0x10000, v43
	v_cmp_eq_u32_sdwa s[0:1], v43, v13 src0_sel:WORD_0 src1_sel:DWORD
	s_nop 1
	v_cndmask_b32_e64 v44, v44, v43, s[0:1]
; %bb.230:                              ;   in Loop: Header=BB303_104 Depth=1
	s_or_b64 exec, exec, s[8:9]
	v_lshrrev_b32_e32 v3, 24, v3
	v_cvt_f32_fp8_sdwa v3, v3 src0_sel:BYTE_0
                                        ; implicit-def: $vgpr45
	s_nop 0
	v_mul_f32_e32 v3, s10, v3
	v_and_b32_e32 v43, 0x7f800000, v3
	v_cmp_ne_u32_e64 s[0:1], s14, v43
	s_and_saveexec_b64 s[8:9], s[0:1]
	s_xor_b64 s[0:1], exec, s[8:9]
; %bb.231:                              ;   in Loop: Header=BB303_104 Depth=1
	v_bfe_u32 v43, v3, 16, 1
	v_add3_u32 v45, v3, v43, s15
                                        ; implicit-def: $vgpr3
; %bb.232:                              ;   in Loop: Header=BB303_104 Depth=1
	s_andn2_saveexec_b64 s[8:9], s[0:1]
; %bb.233:                              ;   in Loop: Header=BB303_104 Depth=1
	v_or_b32_e32 v43, 0x10000, v3
	v_cmp_eq_u32_sdwa s[0:1], v3, v13 src0_sel:WORD_0 src1_sel:DWORD
	s_nop 1
	v_cndmask_b32_e64 v45, v43, v3, s[0:1]
; %bb.234:                              ;   in Loop: Header=BB303_104 Depth=1
	s_or_b64 exec, exec, s[8:9]
	v_lshrrev_b32_e32 v40, 16, v40
	v_lshrrev_b32_e32 v42, 16, v42
	;; [unrolled: 1-line block ×8, first 2 shown]
	s_and_saveexec_b64 s[0:1], vcc
	s_cbranch_execz .LBB303_236
; %bb.235:                              ;   in Loop: Header=BB303_104 Depth=1
	v_cmp_gt_i32_e32 vcc, s17, v22
	s_nop 1
	v_cndmask_b32_e32 v38, 0, v38, vcc
	v_cmp_gt_i32_e32 vcc, s17, v28
	s_nop 1
	v_cndmask_b32_e32 v39, 0, v39, vcc
	;; [unrolled: 3-line block ×8, first 2 shown]
.LBB303_236:                            ;   in Loop: Header=BB303_104 Depth=1
	s_or_b64 exec, exec, s[0:1]
	v_lshlrev_b32_e32 v22, 16, v38
	v_mul_f32_e32 v23, v30, v22
	v_and_b32_e32 v22, 0x7f800000, v23
	v_cmp_ne_u32_e32 vcc, s14, v22
                                        ; implicit-def: $vgpr22
	s_and_saveexec_b64 s[0:1], vcc
	s_xor_b64 s[0:1], exec, s[0:1]
; %bb.237:                              ;   in Loop: Header=BB303_104 Depth=1
	v_bfe_u32 v22, v23, 16, 1
	v_add3_u32 v22, v23, v22, s15
                                        ; implicit-def: $vgpr23
; %bb.238:                              ;   in Loop: Header=BB303_104 Depth=1
	s_andn2_saveexec_b64 s[0:1], s[0:1]
; %bb.239:                              ;   in Loop: Header=BB303_104 Depth=1
	v_or_b32_e32 v22, 0x10000, v23
	v_cmp_eq_u32_sdwa vcc, v23, v13 src0_sel:WORD_0 src1_sel:DWORD
	s_nop 1
	v_cndmask_b32_e32 v22, v22, v23, vcc
; %bb.240:                              ;   in Loop: Header=BB303_104 Depth=1
	s_or_b64 exec, exec, s[0:1]
	v_lshlrev_b32_e32 v23, 16, v39
	v_mul_f32_e32 v24, v31, v23
	v_and_b32_e32 v23, 0x7f800000, v24
	v_cmp_ne_u32_e32 vcc, s14, v23
                                        ; implicit-def: $vgpr23
	s_and_saveexec_b64 s[0:1], vcc
	s_xor_b64 s[0:1], exec, s[0:1]
; %bb.241:                              ;   in Loop: Header=BB303_104 Depth=1
	v_bfe_u32 v23, v24, 16, 1
	v_add3_u32 v23, v24, v23, s15
                                        ; implicit-def: $vgpr24
; %bb.242:                              ;   in Loop: Header=BB303_104 Depth=1
	s_andn2_saveexec_b64 s[0:1], s[0:1]
; %bb.243:                              ;   in Loop: Header=BB303_104 Depth=1
	v_or_b32_e32 v23, 0x10000, v24
	v_cmp_eq_u32_sdwa vcc, v24, v13 src0_sel:WORD_0 src1_sel:DWORD
	s_nop 1
	v_cndmask_b32_e32 v23, v23, v24, vcc
; %bb.244:                              ;   in Loop: Header=BB303_104 Depth=1
	s_or_b64 exec, exec, s[0:1]
	v_lshlrev_b32_e32 v24, 16, v41
	v_mul_f32_e32 v25, v32, v24
	v_and_b32_e32 v24, 0x7f800000, v25
	v_cmp_ne_u32_e32 vcc, s14, v24
                                        ; implicit-def: $vgpr24
	s_and_saveexec_b64 s[0:1], vcc
	s_xor_b64 s[0:1], exec, s[0:1]
; %bb.245:                              ;   in Loop: Header=BB303_104 Depth=1
	v_bfe_u32 v24, v25, 16, 1
	v_add3_u32 v24, v25, v24, s15
                                        ; implicit-def: $vgpr25
; %bb.246:                              ;   in Loop: Header=BB303_104 Depth=1
	s_andn2_saveexec_b64 s[0:1], s[0:1]
; %bb.247:                              ;   in Loop: Header=BB303_104 Depth=1
	v_or_b32_e32 v24, 0x10000, v25
	v_cmp_eq_u32_sdwa vcc, v25, v13 src0_sel:WORD_0 src1_sel:DWORD
	s_nop 1
	v_cndmask_b32_e32 v24, v24, v25, vcc
; %bb.248:                              ;   in Loop: Header=BB303_104 Depth=1
	s_or_b64 exec, exec, s[0:1]
	v_lshlrev_b32_e32 v25, 16, v43
	v_mul_f32_e32 v26, v33, v25
	v_and_b32_e32 v25, 0x7f800000, v26
	v_cmp_ne_u32_e32 vcc, s14, v25
                                        ; implicit-def: $vgpr25
	s_and_saveexec_b64 s[0:1], vcc
	s_xor_b64 s[0:1], exec, s[0:1]
; %bb.249:                              ;   in Loop: Header=BB303_104 Depth=1
	v_bfe_u32 v25, v26, 16, 1
	v_add3_u32 v25, v26, v25, s15
                                        ; implicit-def: $vgpr26
; %bb.250:                              ;   in Loop: Header=BB303_104 Depth=1
	s_andn2_saveexec_b64 s[0:1], s[0:1]
; %bb.251:                              ;   in Loop: Header=BB303_104 Depth=1
	v_or_b32_e32 v25, 0x10000, v26
	v_cmp_eq_u32_sdwa vcc, v26, v13 src0_sel:WORD_0 src1_sel:DWORD
	s_nop 1
	v_cndmask_b32_e32 v25, v25, v26, vcc
; %bb.252:                              ;   in Loop: Header=BB303_104 Depth=1
	s_or_b64 exec, exec, s[0:1]
	v_lshlrev_b32_e32 v26, 16, v42
	v_mul_f32_e32 v27, v34, v26
	v_and_b32_e32 v26, 0x7f800000, v27
	v_cmp_ne_u32_e32 vcc, s14, v26
                                        ; implicit-def: $vgpr26
	s_and_saveexec_b64 s[0:1], vcc
	s_xor_b64 s[0:1], exec, s[0:1]
; %bb.253:                              ;   in Loop: Header=BB303_104 Depth=1
	v_bfe_u32 v26, v27, 16, 1
	v_add3_u32 v26, v27, v26, s15
                                        ; implicit-def: $vgpr27
; %bb.254:                              ;   in Loop: Header=BB303_104 Depth=1
	s_andn2_saveexec_b64 s[0:1], s[0:1]
; %bb.255:                              ;   in Loop: Header=BB303_104 Depth=1
	v_or_b32_e32 v26, 0x10000, v27
	v_cmp_eq_u32_sdwa vcc, v27, v13 src0_sel:WORD_0 src1_sel:DWORD
	s_nop 1
	v_cndmask_b32_e32 v26, v26, v27, vcc
; %bb.256:                              ;   in Loop: Header=BB303_104 Depth=1
	s_or_b64 exec, exec, s[0:1]
	v_lshlrev_b32_e32 v27, 16, v40
	v_mul_f32_e32 v28, v35, v27
	v_and_b32_e32 v27, 0x7f800000, v28
	v_cmp_ne_u32_e32 vcc, s14, v27
                                        ; implicit-def: $vgpr27
	s_and_saveexec_b64 s[0:1], vcc
	s_xor_b64 s[0:1], exec, s[0:1]
; %bb.257:                              ;   in Loop: Header=BB303_104 Depth=1
	v_bfe_u32 v27, v28, 16, 1
	v_add3_u32 v27, v28, v27, s15
                                        ; implicit-def: $vgpr28
; %bb.258:                              ;   in Loop: Header=BB303_104 Depth=1
	s_andn2_saveexec_b64 s[0:1], s[0:1]
; %bb.259:                              ;   in Loop: Header=BB303_104 Depth=1
	v_or_b32_e32 v27, 0x10000, v28
	v_cmp_eq_u32_sdwa vcc, v28, v13 src0_sel:WORD_0 src1_sel:DWORD
	s_nop 1
	v_cndmask_b32_e32 v27, v27, v28, vcc
; %bb.260:                              ;   in Loop: Header=BB303_104 Depth=1
	s_or_b64 exec, exec, s[0:1]
	v_lshlrev_b32_e32 v3, 16, v3
	v_mul_f32_e32 v3, v36, v3
	v_and_b32_e32 v28, 0x7f800000, v3
	v_cmp_ne_u32_e32 vcc, s14, v28
                                        ; implicit-def: $vgpr28
	s_and_saveexec_b64 s[0:1], vcc
	s_xor_b64 s[0:1], exec, s[0:1]
; %bb.261:                              ;   in Loop: Header=BB303_104 Depth=1
	v_bfe_u32 v28, v3, 16, 1
	v_add3_u32 v28, v3, v28, s15
                                        ; implicit-def: $vgpr3
; %bb.262:                              ;   in Loop: Header=BB303_104 Depth=1
	s_andn2_saveexec_b64 s[0:1], s[0:1]
; %bb.263:                              ;   in Loop: Header=BB303_104 Depth=1
	v_or_b32_e32 v28, 0x10000, v3
	v_cmp_eq_u32_sdwa vcc, v3, v13 src0_sel:WORD_0 src1_sel:DWORD
	s_nop 1
	v_cndmask_b32_e32 v28, v28, v3, vcc
; %bb.264:                              ;   in Loop: Header=BB303_104 Depth=1
	s_or_b64 exec, exec, s[0:1]
	v_lshlrev_b32_e32 v2, 16, v2
	v_mul_f32_e32 v2, v37, v2
	v_and_b32_e32 v3, 0x7f800000, v2
	v_cmp_ne_u32_e32 vcc, s14, v3
                                        ; implicit-def: $vgpr30
	s_and_saveexec_b64 s[0:1], vcc
	s_xor_b64 s[0:1], exec, s[0:1]
; %bb.265:                              ;   in Loop: Header=BB303_104 Depth=1
	v_bfe_u32 v3, v2, 16, 1
	v_add3_u32 v30, v2, v3, s15
                                        ; implicit-def: $vgpr2
; %bb.266:                              ;   in Loop: Header=BB303_104 Depth=1
	s_andn2_saveexec_b64 s[0:1], s[0:1]
	s_cbranch_execz .LBB303_103
; %bb.267:                              ;   in Loop: Header=BB303_104 Depth=1
	v_or_b32_e32 v3, 0x10000, v2
	v_cmp_eq_u32_sdwa vcc, v2, v13 src0_sel:WORD_0 src1_sel:DWORD
	s_nop 1
	v_cndmask_b32_e32 v30, v3, v2, vcc
	s_branch .LBB303_103
.LBB303_268:
	s_or_b64 exec, exec, s[6:7]
	v_mov_b32_e32 v3, v19
.LBB303_269:
	s_or_b64 exec, exec, s[2:3]
	v_and_b32_e32 v1, 0x3c0, v0
	v_cmp_eq_u32_e32 vcc, 64, v1
	s_barrier
	s_and_saveexec_b64 s[0:1], vcc
	s_cbranch_execz .LBB303_271
; %bb.270:
	v_mov_b32_e32 v1, 0x110
	v_lshl_add_u32 v4, v0, 2, v1
	v_lshl_add_u32 v1, v11, 2, v1
	ds_write_b32 v1, v2
	ds_write_b32 v4, v3
.LBB303_271:
	s_or_b64 exec, exec, s[0:1]
	v_cmp_gt_u32_e32 vcc, 64, v0
	s_waitcnt lgkmcnt(0)
	s_barrier
	s_and_saveexec_b64 s[0:1], vcc
	s_cbranch_execz .LBB303_273
; %bb.272:
	v_mov_b32_e32 v1, 0x110
	v_lshl_add_u32 v0, v0, 2, v1
	ds_read2st64_b32 v[0:1], v0 offset1:1
	s_waitcnt lgkmcnt(0)
	v_pk_add_f32 v[2:3], v[2:3], v[0:1]
.LBB303_273:
	s_or_b64 exec, exec, s[0:1]
	s_barrier
	s_and_saveexec_b64 s[0:1], vcc
	s_cbranch_execz .LBB303_283
; %bb.274:
	s_mov_b32 s0, 0x7f800000
	v_and_b32_e32 v0, 0x7f800000, v2
	v_cmp_ne_u32_e32 vcc, s0, v0
                                        ; implicit-def: $vgpr0
	s_and_saveexec_b64 s[0:1], vcc
	s_xor_b64 s[0:1], exec, s[0:1]
; %bb.275:
	v_bfe_u32 v0, v2, 16, 1
	s_movk_i32 s2, 0x7fff
	v_add3_u32 v0, v2, v0, s2
; %bb.276:
	s_andn2_saveexec_b64 s[0:1], s[0:1]
; %bb.277:
	v_mov_b32_e32 v0, 0
	v_or_b32_e32 v1, 0x10000, v2
	v_cmp_eq_u32_sdwa vcc, v2, v0 src0_sel:WORD_0 src1_sel:DWORD
	s_nop 1
	v_cndmask_b32_e32 v0, v1, v2, vcc
; %bb.278:
	s_or_b64 exec, exec, s[0:1]
	s_mul_i32 s0, s16, s12
	s_mul_i32 s0, s0, s5
	s_lshl_b32 s0, s0, 7
	s_ashr_i32 s1, s0, 31
	s_lshl_b64 s[0:1], s[0:1], 1
	s_add_u32 s2, s20, s0
	s_mul_i32 s0, s12, s18
	s_addc_u32 s3, s21, s1
	s_ashr_i32 s1, s0, 31
	s_lshl_b64 s[0:1], s[0:1], 1
	s_add_u32 s2, s2, s0
	s_addc_u32 s3, s3, s1
	s_lshl_b32 s0, s4, 7
	s_ashr_i32 s1, s0, 31
	s_lshl_b64 s[0:1], s[0:1], 1
	s_add_u32 s0, s2, s0
	s_addc_u32 s1, s3, s1
	global_store_short_d16_hi v10, v0, s[0:1]
	s_mov_b32 s2, 0x7f800000
	v_and_b32_e32 v0, 0x7f800000, v3
	v_mov_b32_e32 v11, 0
	v_cmp_ne_u32_e32 vcc, s2, v0
                                        ; implicit-def: $vgpr4
	s_and_saveexec_b64 s[2:3], vcc
	s_xor_b64 s[2:3], exec, s[2:3]
; %bb.279:
	v_bfe_u32 v0, v3, 16, 1
	s_movk_i32 s4, 0x7fff
	v_add3_u32 v4, v3, v0, s4
                                        ; implicit-def: $vgpr2_vgpr3
; %bb.280:
	s_or_saveexec_b64 s[2:3], s[2:3]
	v_lshl_add_u64 v[0:1], s[0:1], 0, v[10:11]
	s_xor_b64 exec, exec, s[2:3]
; %bb.281:
	v_mov_b32_e32 v2, 0
	v_or_b32_e32 v4, 0x10000, v3
	v_cmp_eq_u32_sdwa vcc, v3, v2 src0_sel:WORD_0 src1_sel:DWORD
	s_nop 1
	v_cndmask_b32_e32 v4, v4, v3, vcc
; %bb.282:
	s_or_b64 exec, exec, s[2:3]
	global_store_short_d16_hi v[0:1], v4, off offset:128
.LBB303_283:
	s_endpgm
	.section	.rodata,"a",@progbits
	.p2align	6, 0x0
	.amdhsa_kernel _ZN4vllm25paged_attention_v1_kernelI14__hip_bfloat16hLi128ELi8ELi128ELNS_18Fp8KVCacheDataTypeE1ELb0EEEvPT_PKS3_PKT0_S9_ifPKiSB_iPKfiiiSD_SD_iiiii
		.amdhsa_group_segment_fixed_size 272
		.amdhsa_private_segment_fixed_size 0
		.amdhsa_kernarg_size 384
		.amdhsa_user_sgpr_count 2
		.amdhsa_user_sgpr_dispatch_ptr 0
		.amdhsa_user_sgpr_queue_ptr 0
		.amdhsa_user_sgpr_kernarg_segment_ptr 1
		.amdhsa_user_sgpr_dispatch_id 0
		.amdhsa_user_sgpr_kernarg_preload_length 0
		.amdhsa_user_sgpr_kernarg_preload_offset 0
		.amdhsa_user_sgpr_private_segment_size 0
		.amdhsa_uses_dynamic_stack 0
		.amdhsa_enable_private_segment 0
		.amdhsa_system_sgpr_workgroup_id_x 1
		.amdhsa_system_sgpr_workgroup_id_y 1
		.amdhsa_system_sgpr_workgroup_id_z 1
		.amdhsa_system_sgpr_workgroup_info 0
		.amdhsa_system_vgpr_workitem_id 0
		.amdhsa_next_free_vgpr 53
		.amdhsa_next_free_sgpr 39
		.amdhsa_accum_offset 56
		.amdhsa_reserve_vcc 1
		.amdhsa_float_round_mode_32 0
		.amdhsa_float_round_mode_16_64 0
		.amdhsa_float_denorm_mode_32 3
		.amdhsa_float_denorm_mode_16_64 3
		.amdhsa_dx10_clamp 1
		.amdhsa_ieee_mode 1
		.amdhsa_fp16_overflow 0
		.amdhsa_tg_split 0
		.amdhsa_exception_fp_ieee_invalid_op 0
		.amdhsa_exception_fp_denorm_src 0
		.amdhsa_exception_fp_ieee_div_zero 0
		.amdhsa_exception_fp_ieee_overflow 0
		.amdhsa_exception_fp_ieee_underflow 0
		.amdhsa_exception_fp_ieee_inexact 0
		.amdhsa_exception_int_div_zero 0
	.end_amdhsa_kernel
	.section	.text._ZN4vllm25paged_attention_v1_kernelI14__hip_bfloat16hLi128ELi8ELi128ELNS_18Fp8KVCacheDataTypeE1ELb0EEEvPT_PKS3_PKT0_S9_ifPKiSB_iPKfiiiSD_SD_iiiii,"axG",@progbits,_ZN4vllm25paged_attention_v1_kernelI14__hip_bfloat16hLi128ELi8ELi128ELNS_18Fp8KVCacheDataTypeE1ELb0EEEvPT_PKS3_PKT0_S9_ifPKiSB_iPKfiiiSD_SD_iiiii,comdat
.Lfunc_end303:
	.size	_ZN4vllm25paged_attention_v1_kernelI14__hip_bfloat16hLi128ELi8ELi128ELNS_18Fp8KVCacheDataTypeE1ELb0EEEvPT_PKS3_PKT0_S9_ifPKiSB_iPKfiiiSD_SD_iiiii, .Lfunc_end303-_ZN4vllm25paged_attention_v1_kernelI14__hip_bfloat16hLi128ELi8ELi128ELNS_18Fp8KVCacheDataTypeE1ELb0EEEvPT_PKS3_PKT0_S9_ifPKiSB_iPKfiiiSD_SD_iiiii
                                        ; -- End function
	.section	.AMDGPU.csdata,"",@progbits
; Kernel info:
; codeLenInByte = 9064
; NumSgprs: 45
; NumVgprs: 53
; NumAgprs: 0
; TotalNumVgprs: 53
; ScratchSize: 0
; MemoryBound: 0
; FloatMode: 240
; IeeeMode: 1
; LDSByteSize: 272 bytes/workgroup (compile time only)
; SGPRBlocks: 5
; VGPRBlocks: 6
; NumSGPRsForWavesPerEU: 45
; NumVGPRsForWavesPerEU: 53
; AccumOffset: 56
; Occupancy: 8
; WaveLimiterHint : 1
; COMPUTE_PGM_RSRC2:SCRATCH_EN: 0
; COMPUTE_PGM_RSRC2:USER_SGPR: 2
; COMPUTE_PGM_RSRC2:TRAP_HANDLER: 0
; COMPUTE_PGM_RSRC2:TGID_X_EN: 1
; COMPUTE_PGM_RSRC2:TGID_Y_EN: 1
; COMPUTE_PGM_RSRC2:TGID_Z_EN: 1
; COMPUTE_PGM_RSRC2:TIDIG_COMP_CNT: 0
; COMPUTE_PGM_RSRC3_GFX90A:ACCUM_OFFSET: 13
; COMPUTE_PGM_RSRC3_GFX90A:TG_SPLIT: 0
	.section	.text._ZN4vllm25paged_attention_v1_kernelI14__hip_bfloat16hLi192ELi8ELi128ELNS_18Fp8KVCacheDataTypeE1ELb0EEEvPT_PKS3_PKT0_S9_ifPKiSB_iPKfiiiSD_SD_iiiii,"axG",@progbits,_ZN4vllm25paged_attention_v1_kernelI14__hip_bfloat16hLi192ELi8ELi128ELNS_18Fp8KVCacheDataTypeE1ELb0EEEvPT_PKS3_PKT0_S9_ifPKiSB_iPKfiiiSD_SD_iiiii,comdat
	.protected	_ZN4vllm25paged_attention_v1_kernelI14__hip_bfloat16hLi192ELi8ELi128ELNS_18Fp8KVCacheDataTypeE1ELb0EEEvPT_PKS3_PKT0_S9_ifPKiSB_iPKfiiiSD_SD_iiiii ; -- Begin function _ZN4vllm25paged_attention_v1_kernelI14__hip_bfloat16hLi192ELi8ELi128ELNS_18Fp8KVCacheDataTypeE1ELb0EEEvPT_PKS3_PKT0_S9_ifPKiSB_iPKfiiiSD_SD_iiiii
	.globl	_ZN4vllm25paged_attention_v1_kernelI14__hip_bfloat16hLi192ELi8ELi128ELNS_18Fp8KVCacheDataTypeE1ELb0EEEvPT_PKS3_PKT0_S9_ifPKiSB_iPKfiiiSD_SD_iiiii
	.p2align	8
	.type	_ZN4vllm25paged_attention_v1_kernelI14__hip_bfloat16hLi192ELi8ELi128ELNS_18Fp8KVCacheDataTypeE1ELb0EEEvPT_PKS3_PKT0_S9_ifPKiSB_iPKfiiiSD_SD_iiiii,@function
_ZN4vllm25paged_attention_v1_kernelI14__hip_bfloat16hLi192ELi8ELi128ELNS_18Fp8KVCacheDataTypeE1ELb0EEEvPT_PKS3_PKT0_S9_ifPKiSB_iPKfiiiSD_SD_iiiii: ; @_ZN4vllm25paged_attention_v1_kernelI14__hip_bfloat16hLi192ELi8ELi128ELNS_18Fp8KVCacheDataTypeE1ELb0EEEvPT_PKS3_PKT0_S9_ifPKiSB_iPKfiiiSD_SD_iiiii
; %bb.0:
	s_load_dword s5, s[0:1], 0x80
	s_load_dwordx2 s[6:7], s[0:1], 0x30
	s_load_dwordx2 s[30:31], s[0:1], 0x20
	s_mov_b32 s20, s3
	s_ashr_i32 s21, s3, 31
	s_lshl_b64 s[8:9], s[20:21], 2
	s_waitcnt lgkmcnt(0)
	s_add_u32 s6, s6, s8
	s_addc_u32 s7, s7, s9
	s_abs_i32 s3, s30
	v_cvt_f32_u32_e32 v1, s3
	s_sub_i32 s10, 0, s3
	s_abs_i32 s9, s5
	s_xor_b32 s8, s5, s30
	v_rcp_iflag_f32_e32 v1, v1
	s_ashr_i32 s8, s8, 31
	s_mov_b32 s33, 0
	v_mul_f32_e32 v1, 0x4f7ffffe, v1
	v_cvt_u32_f32_e32 v1, v1
	s_nop 0
	v_readfirstlane_b32 s11, v1
	s_mul_i32 s10, s10, s11
	s_mul_hi_u32 s10, s11, s10
	s_add_i32 s11, s11, s10
	s_mul_hi_u32 s10, s9, s11
	s_mul_i32 s11, s10, s3
	s_sub_i32 s9, s9, s11
	s_add_i32 s11, s10, 1
	s_sub_i32 s12, s9, s3
	s_cmp_ge_u32 s9, s3
	s_cselect_b32 s10, s11, s10
	s_cselect_b32 s9, s12, s9
	s_add_i32 s11, s10, 1
	s_cmp_ge_u32 s9, s3
	s_cselect_b32 s3, s11, s10
	s_xor_b32 s3, s3, s8
	s_sub_i32 s34, s3, s8
	s_abs_i32 s28, s34
	v_cvt_f32_u32_e32 v1, s28
	s_load_dwordx2 s[8:9], s[0:1], 0x40
	s_sub_i32 s3, 0, s28
	s_abs_i32 s29, s2
	v_rcp_iflag_f32_e32 v1, v1
	s_nop 0
	v_mul_f32_e32 v1, 0x4f7ffffe, v1
	v_cvt_u32_f32_e32 v1, v1
	s_nop 0
	v_readfirstlane_b32 s12, v1
	s_mul_i32 s3, s3, s12
	s_mul_hi_u32 s3, s12, s3
	s_add_i32 s12, s12, s3
	s_waitcnt lgkmcnt(0)
	s_cmp_eq_u64 s[8:9], 0
	s_cbranch_scc1 .LBB304_2
; %bb.1:
	s_ashr_i32 s3, s2, 31
	s_lshl_b64 s[10:11], s[2:3], 2
	s_add_u32 s8, s8, s10
	s_addc_u32 s9, s9, s11
	s_load_dword s33, s[8:9], 0x0
.LBB304_2:
	s_load_dwordx2 s[22:23], s[0:1], 0x0
	s_nop 0
	s_load_dwordx4 s[8:11], s[0:1], 0x10
	s_mul_hi_u32 s3, s29, s12
	s_load_dword s21, s[0:1], 0x88
	s_load_dword s30, s[6:7], 0x0
	s_load_dwordx2 s[26:27], s[0:1], 0x28
	s_load_dwordx4 s[12:15], s[0:1], 0x48
	s_movk_i32 s6, 0xc0
	s_mul_i32 s24, s2, 0xc0
	v_and_b32_e32 v2, 7, v0
	s_ashr_i32 s25, s24, 31
	v_cmp_gt_u32_e32 vcc, s6, v0
	s_and_saveexec_b64 s[6:7], vcc
	s_cbranch_execz .LBB304_5
; %bb.3:
	s_load_dwordx2 s[16:17], s[0:1], 0x8
	s_waitcnt lgkmcnt(0)
	s_mul_i32 s18, s20, s12
	s_ashr_i32 s19, s18, 31
	s_lshl_b64 s[18:19], s[18:19], 1
	s_lshl_b64 s[36:37], s[24:25], 1
	s_add_u32 s12, s18, s36
	s_addc_u32 s15, s19, s37
	v_lshrrev_b32_e32 v4, 3, v0
	v_lshlrev_b32_e32 v5, 1, v2
	s_add_u32 s16, s16, s12
	v_add_u32_e32 v1, -16, v4
	v_lshlrev_b32_e32 v3, 1, v4
	v_lshl_or_b32 v4, v4, 4, v5
	v_mov_b32_e32 v5, 0
	s_addc_u32 s17, s17, s15
	v_mad_u32_u24 v3, v2, 48, v3
	v_lshl_add_u64 v[4:5], s[16:17], 0, v[4:5]
	s_mov_b64 s[16:17], 0
	s_mov_b64 s[18:19], 0x100
.LBB304_4:                              ; =>This Inner Loop Header: Depth=1
	global_load_ushort v6, v[4:5], off
	v_add_u32_e32 v1, 16, v1
	v_cmp_lt_u32_e32 vcc, 7, v1
	v_lshl_add_u64 v[4:5], v[4:5], 0, s[18:19]
	s_or_b64 s[16:17], vcc, s[16:17]
	s_waitcnt vmcnt(0)
	ds_write_b16 v3, v6
	v_add_u32_e32 v3, 32, v3
	s_andn2_b64 exec, exec, s[16:17]
	s_cbranch_execnz .LBB304_4
.LBB304_5:
	s_or_b64 exec, exec, s[6:7]
	s_waitcnt lgkmcnt(0)
	s_add_i32 s12, s30, 7
	s_ashr_i32 s2, s2, 31
	s_ashr_i32 s6, s34, 31
	;; [unrolled: 1-line block ×3, first 2 shown]
	s_lshr_b32 s15, s15, 29
	s_xor_b32 s2, s2, s6
	s_mul_i32 s6, s3, s28
	s_add_i32 s12, s12, s15
	s_sub_i32 s6, s29, s6
	s_ashr_i32 s12, s12, 3
	s_add_i32 s15, s3, 1
	s_sub_i32 s16, s6, s28
	s_load_dword s7, s[0:1], 0x38
	s_cmp_ge_u32 s6, s28
	s_cselect_b32 s3, s15, s3
	s_cselect_b32 s6, s16, s6
	s_add_i32 s15, s3, 1
	s_cmp_ge_u32 s6, s28
	s_cselect_b32 s3, s15, s3
	v_lshrrev_b32_e32 v1, 6, v0
	s_xor_b32 s3, s3, s2
	s_waitcnt lgkmcnt(0)
	s_mul_i32 s28, s20, s7
	s_sub_i32 s25, s3, s2
	s_ashr_i32 s29, s28, 31
	v_cmp_gt_i32_e64 s[6:7], s12, v1
	v_cmp_le_i32_e32 vcc, s12, v1
	v_mbcnt_lo_u32_b32 v6, -1, 0
	s_barrier
	s_waitcnt lgkmcnt(0)
                                        ; implicit-def: $sgpr15
                                        ; implicit-def: $vgpr10
                                        ; implicit-def: $vgpr11
	s_and_saveexec_b64 s[2:3], vcc
	s_xor_b64 s[2:3], exec, s[2:3]
; %bb.6:
	v_mbcnt_hi_u32_b32 v10, -1, v6
	v_and_b32_e32 v2, 64, v10
	v_add_u32_e32 v11, 64, v2
	s_mov_b32 s15, 0xff7fffff
                                        ; implicit-def: $vgpr2
                                        ; implicit-def: $vgpr6
; %bb.7:
	s_or_saveexec_b64 s[34:35], s[2:3]
	s_load_dwordx4 s[16:19], s[0:1], 0x58
	v_mov_b32_e32 v37, s15
	s_mul_i32 s25, s25, s14
	v_lshrrev_b32_e32 v16, 4, v0
	s_xor_b64 exec, exec, s[34:35]
	s_cbranch_execz .LBB304_109
; %bb.8:
	v_mul_u32_u24_e32 v12, 48, v2
	ds_read_b128 v[8:11], v12
	s_ashr_i32 s1, s25, 31
	v_bfe_u32 v7, v0, 3, 3
	s_add_u32 s0, s8, s25
	v_mov_b32_e32 v3, 0
	s_waitcnt lgkmcnt(0)
	v_lshlrev_b32_e32 v17, 16, v10
	v_and_b32_e32 v18, 0xffff0000, v10
	v_mbcnt_hi_u32_b32 v10, -1, v6
	v_and_b32_e32 v6, 64, v10
	v_lshlrev_b32_e32 v19, 16, v11
	v_and_b32_e32 v20, 0xffff0000, v11
	v_add_u32_e32 v11, 64, v6
	v_xor_b32_e32 v6, 4, v10
	v_cmp_lt_i32_e32 vcc, v6, v11
	ds_read_b128 v[26:29], v12 offset:16
	ds_read_b128 v[34:37], v12 offset:32
	v_cndmask_b32_e32 v6, v10, v6, vcc
	v_lshlrev_b32_e32 v38, 2, v6
	v_xor_b32_e32 v6, 2, v10
	v_cmp_lt_i32_e32 vcc, v6, v11
	s_addc_u32 s1, s9, s1
	v_lshlrev_b32_e32 v4, 4, v7
	v_cndmask_b32_e32 v6, v10, v6, vcc
	v_lshlrev_b32_e32 v39, 2, v6
	v_xor_b32_e32 v6, 1, v10
	v_cmp_lt_i32_e32 vcc, v6, v11
	v_mov_b32_e32 v5, v3
	s_load_dword s16, s[16:17], 0x0
	v_cndmask_b32_e32 v6, v10, v6, vcc
	v_lshl_add_u64 v[4:5], s[0:1], 0, v[4:5]
	v_lshlrev_b32_e32 v40, 2, v6
	s_sub_i32 s17, 1, s30
	v_lshlrev_b32_e32 v6, 2, v7
	s_lshl_b64 s[0:1], s[28:29], 2
	v_lshl_or_b32 v6, v1, 5, v6
	s_add_u32 s0, s26, s0
	v_lshl_or_b32 v41, v1, 3, v7
	v_add_u32_e32 v42, 0x190, v6
	v_and_b32_e32 v6, 60, v16
	v_mov_b32_e32 v7, v3
	s_addc_u32 s1, s27, s1
	s_mov_b32 s36, s13
	v_lshlrev_b32_e32 v12, 16, v8
	v_and_b32_e32 v13, 0xffff0000, v8
	v_lshlrev_b32_e32 v14, 16, v9
	v_and_b32_e32 v15, 0xffff0000, v9
	s_waitcnt lgkmcnt(0)
	v_lshlrev_b32_e32 v21, 16, v26
	v_and_b32_e32 v22, 0xffff0000, v26
	v_lshlrev_b32_e32 v23, 16, v27
	v_and_b32_e32 v24, 0xffff0000, v27
	;; [unrolled: 2-line block ×8, first 2 shown]
	v_cmp_eq_u32_e32 vcc, 0, v2
	v_cmp_neq_f32_e64 s[2:3], s33, 0
	v_lshl_add_u64 v[6:7], s[0:1], 0, v[6:7]
	s_mov_b64 s[8:9], 0
	v_mov_b32_e32 v37, 0xff7fffff
	s_mov_b32 s37, 0x7f800000
	s_movk_i32 s38, 0x7fff
	v_mov_b32_e32 v43, v1
	s_branch .LBB304_10
.LBB304_9:                              ;   in Loop: Header=BB304_10 Depth=1
	s_or_b64 exec, exec, s[14:15]
	v_add_u32_e32 v43, 2, v43
	v_cmp_le_i32_e64 s[0:1], s12, v43
	v_add_u32_e32 v41, 16, v41
	v_add_u32_e32 v42, 64, v42
	s_or_b64 s[8:9], s[0:1], s[8:9]
	v_lshl_add_u64 v[6:7], v[6:7], 0, 8
	s_andn2_b64 exec, exec, s[8:9]
	s_cbranch_execz .LBB304_108
.LBB304_10:                             ; =>This Inner Loop Header: Depth=1
	global_load_dword v8, v[6:7], off
	s_waitcnt vmcnt(0) lgkmcnt(0)
	v_mad_i64_i32 v[8:9], s[0:1], v8, s36, v[4:5]
	v_lshl_add_u64 v[8:9], v[8:9], 0, v[2:3]
	global_load_ubyte v44, v[8:9], off
	s_waitcnt vmcnt(0)
	v_cvt_f32_fp8_sdwa v44, v44 src0_sel:BYTE_0
	s_nop 0
	v_mul_f32_e32 v45, s16, v44
	v_and_b32_e32 v44, 0x7f800000, v45
	v_cmp_ne_u32_e64 s[0:1], s37, v44
                                        ; implicit-def: $vgpr44
	s_and_saveexec_b64 s[14:15], s[0:1]
	s_xor_b64 s[0:1], exec, s[14:15]
; %bb.11:                               ;   in Loop: Header=BB304_10 Depth=1
	v_bfe_u32 v44, v45, 16, 1
	v_add3_u32 v44, v45, v44, s38
                                        ; implicit-def: $vgpr45
; %bb.12:                               ;   in Loop: Header=BB304_10 Depth=1
	s_andn2_saveexec_b64 s[14:15], s[0:1]
; %bb.13:                               ;   in Loop: Header=BB304_10 Depth=1
	v_or_b32_e32 v44, 0x10000, v45
	v_cmp_eq_u32_sdwa s[0:1], v45, v3 src0_sel:WORD_0 src1_sel:DWORD
	s_nop 1
	v_cndmask_b32_e64 v44, v44, v45, s[0:1]
; %bb.14:                               ;   in Loop: Header=BB304_10 Depth=1
	s_or_b64 exec, exec, s[14:15]
	global_load_ubyte v45, v[8:9], off offset:8
	s_waitcnt vmcnt(0)
	v_cvt_f32_fp8_sdwa v45, v45 src0_sel:BYTE_0
	s_nop 0
	v_mul_f32_e32 v46, s16, v45
	v_and_b32_e32 v45, 0x7f800000, v46
	v_cmp_ne_u32_e64 s[0:1], s37, v45
                                        ; implicit-def: $vgpr45
	s_and_saveexec_b64 s[14:15], s[0:1]
	s_xor_b64 s[0:1], exec, s[14:15]
; %bb.15:                               ;   in Loop: Header=BB304_10 Depth=1
	v_bfe_u32 v45, v46, 16, 1
	v_add3_u32 v45, v46, v45, s38
                                        ; implicit-def: $vgpr46
; %bb.16:                               ;   in Loop: Header=BB304_10 Depth=1
	s_andn2_saveexec_b64 s[14:15], s[0:1]
; %bb.17:                               ;   in Loop: Header=BB304_10 Depth=1
	v_or_b32_e32 v45, 0x10000, v46
	v_cmp_eq_u32_sdwa s[0:1], v46, v3 src0_sel:WORD_0 src1_sel:DWORD
	s_nop 1
	v_cndmask_b32_e64 v45, v45, v46, s[0:1]
; %bb.18:                               ;   in Loop: Header=BB304_10 Depth=1
	s_or_b64 exec, exec, s[14:15]
	global_load_ubyte v46, v[8:9], off offset:128
	s_waitcnt vmcnt(0)
	v_cvt_f32_fp8_sdwa v46, v46 src0_sel:BYTE_0
	s_nop 0
	v_mul_f32_e32 v47, s16, v46
	v_and_b32_e32 v46, 0x7f800000, v47
	v_cmp_ne_u32_e64 s[0:1], s37, v46
                                        ; implicit-def: $vgpr46
	s_and_saveexec_b64 s[14:15], s[0:1]
	s_xor_b64 s[0:1], exec, s[14:15]
; %bb.19:                               ;   in Loop: Header=BB304_10 Depth=1
	v_bfe_u32 v46, v47, 16, 1
	v_add3_u32 v46, v47, v46, s38
                                        ; implicit-def: $vgpr47
; %bb.20:                               ;   in Loop: Header=BB304_10 Depth=1
	s_andn2_saveexec_b64 s[14:15], s[0:1]
; %bb.21:                               ;   in Loop: Header=BB304_10 Depth=1
	v_or_b32_e32 v46, 0x10000, v47
	v_cmp_eq_u32_sdwa s[0:1], v47, v3 src0_sel:WORD_0 src1_sel:DWORD
	s_nop 1
	v_cndmask_b32_e64 v46, v46, v47, s[0:1]
; %bb.22:                               ;   in Loop: Header=BB304_10 Depth=1
	s_or_b64 exec, exec, s[14:15]
	global_load_ubyte v47, v[8:9], off offset:136
	s_waitcnt vmcnt(0)
	v_cvt_f32_fp8_sdwa v47, v47 src0_sel:BYTE_0
	s_nop 0
	v_mul_f32_e32 v48, s16, v47
	v_and_b32_e32 v47, 0x7f800000, v48
	v_cmp_ne_u32_e64 s[0:1], s37, v47
                                        ; implicit-def: $vgpr47
	s_and_saveexec_b64 s[14:15], s[0:1]
	s_xor_b64 s[0:1], exec, s[14:15]
; %bb.23:                               ;   in Loop: Header=BB304_10 Depth=1
	v_bfe_u32 v47, v48, 16, 1
	v_add3_u32 v47, v48, v47, s38
                                        ; implicit-def: $vgpr48
; %bb.24:                               ;   in Loop: Header=BB304_10 Depth=1
	s_andn2_saveexec_b64 s[14:15], s[0:1]
; %bb.25:                               ;   in Loop: Header=BB304_10 Depth=1
	v_or_b32_e32 v47, 0x10000, v48
	v_cmp_eq_u32_sdwa s[0:1], v48, v3 src0_sel:WORD_0 src1_sel:DWORD
	s_nop 1
	v_cndmask_b32_e64 v47, v47, v48, s[0:1]
; %bb.26:                               ;   in Loop: Header=BB304_10 Depth=1
	s_or_b64 exec, exec, s[14:15]
	global_load_ubyte v48, v[8:9], off offset:256
	s_waitcnt vmcnt(0)
	v_cvt_f32_fp8_sdwa v48, v48 src0_sel:BYTE_0
	s_nop 0
	v_mul_f32_e32 v49, s16, v48
	v_and_b32_e32 v48, 0x7f800000, v49
	v_cmp_ne_u32_e64 s[0:1], s37, v48
                                        ; implicit-def: $vgpr48
	s_and_saveexec_b64 s[14:15], s[0:1]
	s_xor_b64 s[0:1], exec, s[14:15]
; %bb.27:                               ;   in Loop: Header=BB304_10 Depth=1
	v_bfe_u32 v48, v49, 16, 1
	v_add3_u32 v48, v49, v48, s38
                                        ; implicit-def: $vgpr49
; %bb.28:                               ;   in Loop: Header=BB304_10 Depth=1
	s_andn2_saveexec_b64 s[14:15], s[0:1]
; %bb.29:                               ;   in Loop: Header=BB304_10 Depth=1
	v_or_b32_e32 v48, 0x10000, v49
	v_cmp_eq_u32_sdwa s[0:1], v49, v3 src0_sel:WORD_0 src1_sel:DWORD
	s_nop 1
	v_cndmask_b32_e64 v48, v48, v49, s[0:1]
; %bb.30:                               ;   in Loop: Header=BB304_10 Depth=1
	s_or_b64 exec, exec, s[14:15]
	global_load_ubyte v49, v[8:9], off offset:264
	s_waitcnt vmcnt(0)
	v_cvt_f32_fp8_sdwa v49, v49 src0_sel:BYTE_0
	s_nop 0
	v_mul_f32_e32 v50, s16, v49
	v_and_b32_e32 v49, 0x7f800000, v50
	v_cmp_ne_u32_e64 s[0:1], s37, v49
                                        ; implicit-def: $vgpr49
	s_and_saveexec_b64 s[14:15], s[0:1]
	s_xor_b64 s[0:1], exec, s[14:15]
; %bb.31:                               ;   in Loop: Header=BB304_10 Depth=1
	v_bfe_u32 v49, v50, 16, 1
	v_add3_u32 v49, v50, v49, s38
                                        ; implicit-def: $vgpr50
; %bb.32:                               ;   in Loop: Header=BB304_10 Depth=1
	s_andn2_saveexec_b64 s[14:15], s[0:1]
; %bb.33:                               ;   in Loop: Header=BB304_10 Depth=1
	v_or_b32_e32 v49, 0x10000, v50
	v_cmp_eq_u32_sdwa s[0:1], v50, v3 src0_sel:WORD_0 src1_sel:DWORD
	s_nop 1
	v_cndmask_b32_e64 v49, v49, v50, s[0:1]
; %bb.34:                               ;   in Loop: Header=BB304_10 Depth=1
	s_or_b64 exec, exec, s[14:15]
	global_load_ubyte v50, v[8:9], off offset:384
	s_waitcnt vmcnt(0)
	v_cvt_f32_fp8_sdwa v50, v50 src0_sel:BYTE_0
	s_nop 0
	v_mul_f32_e32 v51, s16, v50
	v_and_b32_e32 v50, 0x7f800000, v51
	v_cmp_ne_u32_e64 s[0:1], s37, v50
                                        ; implicit-def: $vgpr50
	s_and_saveexec_b64 s[14:15], s[0:1]
	s_xor_b64 s[0:1], exec, s[14:15]
; %bb.35:                               ;   in Loop: Header=BB304_10 Depth=1
	v_bfe_u32 v50, v51, 16, 1
	v_add3_u32 v50, v51, v50, s38
                                        ; implicit-def: $vgpr51
; %bb.36:                               ;   in Loop: Header=BB304_10 Depth=1
	s_andn2_saveexec_b64 s[14:15], s[0:1]
; %bb.37:                               ;   in Loop: Header=BB304_10 Depth=1
	v_or_b32_e32 v50, 0x10000, v51
	v_cmp_eq_u32_sdwa s[0:1], v51, v3 src0_sel:WORD_0 src1_sel:DWORD
	s_nop 1
	v_cndmask_b32_e64 v50, v50, v51, s[0:1]
; %bb.38:                               ;   in Loop: Header=BB304_10 Depth=1
	s_or_b64 exec, exec, s[14:15]
	global_load_ubyte v51, v[8:9], off offset:392
	s_waitcnt vmcnt(0)
	v_cvt_f32_fp8_sdwa v51, v51 src0_sel:BYTE_0
	s_nop 0
	v_mul_f32_e32 v52, s16, v51
	v_and_b32_e32 v51, 0x7f800000, v52
	v_cmp_ne_u32_e64 s[0:1], s37, v51
                                        ; implicit-def: $vgpr51
	s_and_saveexec_b64 s[14:15], s[0:1]
	s_xor_b64 s[0:1], exec, s[14:15]
; %bb.39:                               ;   in Loop: Header=BB304_10 Depth=1
	v_bfe_u32 v51, v52, 16, 1
	v_add3_u32 v51, v52, v51, s38
                                        ; implicit-def: $vgpr52
; %bb.40:                               ;   in Loop: Header=BB304_10 Depth=1
	s_andn2_saveexec_b64 s[14:15], s[0:1]
; %bb.41:                               ;   in Loop: Header=BB304_10 Depth=1
	v_or_b32_e32 v51, 0x10000, v52
	v_cmp_eq_u32_sdwa s[0:1], v52, v3 src0_sel:WORD_0 src1_sel:DWORD
	s_nop 1
	v_cndmask_b32_e64 v51, v51, v52, s[0:1]
; %bb.42:                               ;   in Loop: Header=BB304_10 Depth=1
	s_or_b64 exec, exec, s[14:15]
	global_load_ubyte v52, v[8:9], off offset:512
	s_waitcnt vmcnt(0)
	v_cvt_f32_fp8_sdwa v52, v52 src0_sel:BYTE_0
	s_nop 0
	v_mul_f32_e32 v53, s16, v52
	v_and_b32_e32 v52, 0x7f800000, v53
	v_cmp_ne_u32_e64 s[0:1], s37, v52
                                        ; implicit-def: $vgpr52
	s_and_saveexec_b64 s[14:15], s[0:1]
	s_xor_b64 s[0:1], exec, s[14:15]
; %bb.43:                               ;   in Loop: Header=BB304_10 Depth=1
	v_bfe_u32 v52, v53, 16, 1
	v_add3_u32 v52, v53, v52, s38
                                        ; implicit-def: $vgpr53
; %bb.44:                               ;   in Loop: Header=BB304_10 Depth=1
	s_andn2_saveexec_b64 s[14:15], s[0:1]
; %bb.45:                               ;   in Loop: Header=BB304_10 Depth=1
	v_or_b32_e32 v52, 0x10000, v53
	v_cmp_eq_u32_sdwa s[0:1], v53, v3 src0_sel:WORD_0 src1_sel:DWORD
	s_nop 1
	v_cndmask_b32_e64 v52, v52, v53, s[0:1]
; %bb.46:                               ;   in Loop: Header=BB304_10 Depth=1
	s_or_b64 exec, exec, s[14:15]
	global_load_ubyte v53, v[8:9], off offset:520
	s_waitcnt vmcnt(0)
	v_cvt_f32_fp8_sdwa v53, v53 src0_sel:BYTE_0
	s_nop 0
	v_mul_f32_e32 v54, s16, v53
	v_and_b32_e32 v53, 0x7f800000, v54
	v_cmp_ne_u32_e64 s[0:1], s37, v53
                                        ; implicit-def: $vgpr53
	s_and_saveexec_b64 s[14:15], s[0:1]
	s_xor_b64 s[0:1], exec, s[14:15]
; %bb.47:                               ;   in Loop: Header=BB304_10 Depth=1
	v_bfe_u32 v53, v54, 16, 1
	v_add3_u32 v53, v54, v53, s38
                                        ; implicit-def: $vgpr54
; %bb.48:                               ;   in Loop: Header=BB304_10 Depth=1
	s_andn2_saveexec_b64 s[14:15], s[0:1]
; %bb.49:                               ;   in Loop: Header=BB304_10 Depth=1
	v_or_b32_e32 v53, 0x10000, v54
	v_cmp_eq_u32_sdwa s[0:1], v54, v3 src0_sel:WORD_0 src1_sel:DWORD
	s_nop 1
	v_cndmask_b32_e64 v53, v53, v54, s[0:1]
; %bb.50:                               ;   in Loop: Header=BB304_10 Depth=1
	s_or_b64 exec, exec, s[14:15]
	global_load_ubyte v54, v[8:9], off offset:640
	s_waitcnt vmcnt(0)
	v_cvt_f32_fp8_sdwa v54, v54 src0_sel:BYTE_0
	s_nop 0
	v_mul_f32_e32 v55, s16, v54
	v_and_b32_e32 v54, 0x7f800000, v55
	v_cmp_ne_u32_e64 s[0:1], s37, v54
                                        ; implicit-def: $vgpr54
	s_and_saveexec_b64 s[14:15], s[0:1]
	s_xor_b64 s[0:1], exec, s[14:15]
; %bb.51:                               ;   in Loop: Header=BB304_10 Depth=1
	v_bfe_u32 v54, v55, 16, 1
	v_add3_u32 v54, v55, v54, s38
                                        ; implicit-def: $vgpr55
; %bb.52:                               ;   in Loop: Header=BB304_10 Depth=1
	s_andn2_saveexec_b64 s[14:15], s[0:1]
; %bb.53:                               ;   in Loop: Header=BB304_10 Depth=1
	v_or_b32_e32 v54, 0x10000, v55
	v_cmp_eq_u32_sdwa s[0:1], v55, v3 src0_sel:WORD_0 src1_sel:DWORD
	s_nop 1
	v_cndmask_b32_e64 v54, v54, v55, s[0:1]
; %bb.54:                               ;   in Loop: Header=BB304_10 Depth=1
	s_or_b64 exec, exec, s[14:15]
	global_load_ubyte v55, v[8:9], off offset:648
	s_waitcnt vmcnt(0)
	v_cvt_f32_fp8_sdwa v55, v55 src0_sel:BYTE_0
	s_nop 0
	v_mul_f32_e32 v56, s16, v55
	v_and_b32_e32 v55, 0x7f800000, v56
	v_cmp_ne_u32_e64 s[0:1], s37, v55
                                        ; implicit-def: $vgpr55
	s_and_saveexec_b64 s[14:15], s[0:1]
	s_xor_b64 s[0:1], exec, s[14:15]
; %bb.55:                               ;   in Loop: Header=BB304_10 Depth=1
	v_bfe_u32 v55, v56, 16, 1
	v_add3_u32 v55, v56, v55, s38
                                        ; implicit-def: $vgpr56
; %bb.56:                               ;   in Loop: Header=BB304_10 Depth=1
	s_andn2_saveexec_b64 s[14:15], s[0:1]
; %bb.57:                               ;   in Loop: Header=BB304_10 Depth=1
	v_or_b32_e32 v55, 0x10000, v56
	v_cmp_eq_u32_sdwa s[0:1], v56, v3 src0_sel:WORD_0 src1_sel:DWORD
	s_nop 1
	v_cndmask_b32_e64 v55, v55, v56, s[0:1]
; %bb.58:                               ;   in Loop: Header=BB304_10 Depth=1
	s_or_b64 exec, exec, s[14:15]
	global_load_ubyte v56, v[8:9], off offset:768
	s_waitcnt vmcnt(0)
	v_cvt_f32_fp8_sdwa v56, v56 src0_sel:BYTE_0
	s_nop 0
	v_mul_f32_e32 v57, s16, v56
	v_and_b32_e32 v56, 0x7f800000, v57
	v_cmp_ne_u32_e64 s[0:1], s37, v56
                                        ; implicit-def: $vgpr56
	s_and_saveexec_b64 s[14:15], s[0:1]
	s_xor_b64 s[0:1], exec, s[14:15]
; %bb.59:                               ;   in Loop: Header=BB304_10 Depth=1
	v_bfe_u32 v56, v57, 16, 1
	v_add3_u32 v56, v57, v56, s38
                                        ; implicit-def: $vgpr57
; %bb.60:                               ;   in Loop: Header=BB304_10 Depth=1
	s_andn2_saveexec_b64 s[14:15], s[0:1]
; %bb.61:                               ;   in Loop: Header=BB304_10 Depth=1
	v_or_b32_e32 v56, 0x10000, v57
	v_cmp_eq_u32_sdwa s[0:1], v57, v3 src0_sel:WORD_0 src1_sel:DWORD
	s_nop 1
	v_cndmask_b32_e64 v56, v56, v57, s[0:1]
; %bb.62:                               ;   in Loop: Header=BB304_10 Depth=1
	s_or_b64 exec, exec, s[14:15]
	global_load_ubyte v57, v[8:9], off offset:776
	s_waitcnt vmcnt(0)
	v_cvt_f32_fp8_sdwa v57, v57 src0_sel:BYTE_0
	s_nop 0
	v_mul_f32_e32 v58, s16, v57
	v_and_b32_e32 v57, 0x7f800000, v58
	v_cmp_ne_u32_e64 s[0:1], s37, v57
                                        ; implicit-def: $vgpr57
	s_and_saveexec_b64 s[14:15], s[0:1]
	s_xor_b64 s[0:1], exec, s[14:15]
; %bb.63:                               ;   in Loop: Header=BB304_10 Depth=1
	v_bfe_u32 v57, v58, 16, 1
	v_add3_u32 v57, v58, v57, s38
                                        ; implicit-def: $vgpr58
; %bb.64:                               ;   in Loop: Header=BB304_10 Depth=1
	s_andn2_saveexec_b64 s[14:15], s[0:1]
; %bb.65:                               ;   in Loop: Header=BB304_10 Depth=1
	v_or_b32_e32 v57, 0x10000, v58
	v_cmp_eq_u32_sdwa s[0:1], v58, v3 src0_sel:WORD_0 src1_sel:DWORD
	s_nop 1
	v_cndmask_b32_e64 v57, v57, v58, s[0:1]
; %bb.66:                               ;   in Loop: Header=BB304_10 Depth=1
	s_or_b64 exec, exec, s[14:15]
	global_load_ubyte v58, v[8:9], off offset:896
	s_waitcnt vmcnt(0)
	v_cvt_f32_fp8_sdwa v58, v58 src0_sel:BYTE_0
	s_nop 0
	v_mul_f32_e32 v59, s16, v58
	v_and_b32_e32 v58, 0x7f800000, v59
	v_cmp_ne_u32_e64 s[0:1], s37, v58
                                        ; implicit-def: $vgpr58
	s_and_saveexec_b64 s[14:15], s[0:1]
	s_xor_b64 s[0:1], exec, s[14:15]
; %bb.67:                               ;   in Loop: Header=BB304_10 Depth=1
	v_bfe_u32 v58, v59, 16, 1
	v_add3_u32 v58, v59, v58, s38
                                        ; implicit-def: $vgpr59
; %bb.68:                               ;   in Loop: Header=BB304_10 Depth=1
	s_andn2_saveexec_b64 s[14:15], s[0:1]
; %bb.69:                               ;   in Loop: Header=BB304_10 Depth=1
	v_or_b32_e32 v58, 0x10000, v59
	v_cmp_eq_u32_sdwa s[0:1], v59, v3 src0_sel:WORD_0 src1_sel:DWORD
	s_nop 1
	v_cndmask_b32_e64 v58, v58, v59, s[0:1]
; %bb.70:                               ;   in Loop: Header=BB304_10 Depth=1
	s_or_b64 exec, exec, s[14:15]
	global_load_ubyte v59, v[8:9], off offset:904
	s_waitcnt vmcnt(0)
	v_cvt_f32_fp8_sdwa v59, v59 src0_sel:BYTE_0
	s_nop 0
	v_mul_f32_e32 v60, s16, v59
	v_and_b32_e32 v59, 0x7f800000, v60
	v_cmp_ne_u32_e64 s[0:1], s37, v59
                                        ; implicit-def: $vgpr59
	s_and_saveexec_b64 s[14:15], s[0:1]
	s_xor_b64 s[0:1], exec, s[14:15]
; %bb.71:                               ;   in Loop: Header=BB304_10 Depth=1
	v_bfe_u32 v59, v60, 16, 1
	v_add3_u32 v59, v60, v59, s38
                                        ; implicit-def: $vgpr60
; %bb.72:                               ;   in Loop: Header=BB304_10 Depth=1
	s_andn2_saveexec_b64 s[14:15], s[0:1]
; %bb.73:                               ;   in Loop: Header=BB304_10 Depth=1
	v_or_b32_e32 v59, 0x10000, v60
	v_cmp_eq_u32_sdwa s[0:1], v60, v3 src0_sel:WORD_0 src1_sel:DWORD
	s_nop 1
	v_cndmask_b32_e64 v59, v59, v60, s[0:1]
; %bb.74:                               ;   in Loop: Header=BB304_10 Depth=1
	s_or_b64 exec, exec, s[14:15]
	global_load_ubyte v60, v[8:9], off offset:1024
	s_waitcnt vmcnt(0)
	v_cvt_f32_fp8_sdwa v60, v60 src0_sel:BYTE_0
	s_nop 0
	v_mul_f32_e32 v61, s16, v60
	v_and_b32_e32 v60, 0x7f800000, v61
	v_cmp_ne_u32_e64 s[0:1], s37, v60
                                        ; implicit-def: $vgpr60
	s_and_saveexec_b64 s[14:15], s[0:1]
	s_xor_b64 s[0:1], exec, s[14:15]
; %bb.75:                               ;   in Loop: Header=BB304_10 Depth=1
	v_bfe_u32 v60, v61, 16, 1
	v_add3_u32 v60, v61, v60, s38
                                        ; implicit-def: $vgpr61
; %bb.76:                               ;   in Loop: Header=BB304_10 Depth=1
	s_andn2_saveexec_b64 s[14:15], s[0:1]
; %bb.77:                               ;   in Loop: Header=BB304_10 Depth=1
	v_or_b32_e32 v60, 0x10000, v61
	v_cmp_eq_u32_sdwa s[0:1], v61, v3 src0_sel:WORD_0 src1_sel:DWORD
	s_nop 1
	v_cndmask_b32_e64 v60, v60, v61, s[0:1]
; %bb.78:                               ;   in Loop: Header=BB304_10 Depth=1
	s_or_b64 exec, exec, s[14:15]
	global_load_ubyte v61, v[8:9], off offset:1032
	s_waitcnt vmcnt(0)
	v_cvt_f32_fp8_sdwa v61, v61 src0_sel:BYTE_0
	s_nop 0
	v_mul_f32_e32 v62, s16, v61
	v_and_b32_e32 v61, 0x7f800000, v62
	v_cmp_ne_u32_e64 s[0:1], s37, v61
                                        ; implicit-def: $vgpr61
	s_and_saveexec_b64 s[14:15], s[0:1]
	s_xor_b64 s[0:1], exec, s[14:15]
; %bb.79:                               ;   in Loop: Header=BB304_10 Depth=1
	v_bfe_u32 v61, v62, 16, 1
	v_add3_u32 v61, v62, v61, s38
                                        ; implicit-def: $vgpr62
; %bb.80:                               ;   in Loop: Header=BB304_10 Depth=1
	s_andn2_saveexec_b64 s[14:15], s[0:1]
; %bb.81:                               ;   in Loop: Header=BB304_10 Depth=1
	v_or_b32_e32 v61, 0x10000, v62
	v_cmp_eq_u32_sdwa s[0:1], v62, v3 src0_sel:WORD_0 src1_sel:DWORD
	s_nop 1
	v_cndmask_b32_e64 v61, v61, v62, s[0:1]
; %bb.82:                               ;   in Loop: Header=BB304_10 Depth=1
	s_or_b64 exec, exec, s[14:15]
	global_load_ubyte v62, v[8:9], off offset:1152
	s_waitcnt vmcnt(0)
	v_cvt_f32_fp8_sdwa v62, v62 src0_sel:BYTE_0
	s_nop 0
	v_mul_f32_e32 v63, s16, v62
	v_and_b32_e32 v62, 0x7f800000, v63
	v_cmp_ne_u32_e64 s[0:1], s37, v62
                                        ; implicit-def: $vgpr62
	s_and_saveexec_b64 s[14:15], s[0:1]
	s_xor_b64 s[0:1], exec, s[14:15]
; %bb.83:                               ;   in Loop: Header=BB304_10 Depth=1
	v_bfe_u32 v62, v63, 16, 1
	v_add3_u32 v62, v63, v62, s38
                                        ; implicit-def: $vgpr63
; %bb.84:                               ;   in Loop: Header=BB304_10 Depth=1
	s_andn2_saveexec_b64 s[14:15], s[0:1]
; %bb.85:                               ;   in Loop: Header=BB304_10 Depth=1
	v_or_b32_e32 v62, 0x10000, v63
	v_cmp_eq_u32_sdwa s[0:1], v63, v3 src0_sel:WORD_0 src1_sel:DWORD
	s_nop 1
	v_cndmask_b32_e64 v62, v62, v63, s[0:1]
; %bb.86:                               ;   in Loop: Header=BB304_10 Depth=1
	s_or_b64 exec, exec, s[14:15]
	global_load_ubyte v63, v[8:9], off offset:1160
	s_waitcnt vmcnt(0)
	v_cvt_f32_fp8_sdwa v63, v63 src0_sel:BYTE_0
	s_nop 0
	v_mul_f32_e32 v64, s16, v63
	v_and_b32_e32 v63, 0x7f800000, v64
	v_cmp_ne_u32_e64 s[0:1], s37, v63
                                        ; implicit-def: $vgpr63
	s_and_saveexec_b64 s[14:15], s[0:1]
	s_xor_b64 s[0:1], exec, s[14:15]
; %bb.87:                               ;   in Loop: Header=BB304_10 Depth=1
	v_bfe_u32 v63, v64, 16, 1
	v_add3_u32 v63, v64, v63, s38
                                        ; implicit-def: $vgpr64
; %bb.88:                               ;   in Loop: Header=BB304_10 Depth=1
	s_andn2_saveexec_b64 s[14:15], s[0:1]
; %bb.89:                               ;   in Loop: Header=BB304_10 Depth=1
	v_or_b32_e32 v63, 0x10000, v64
	v_cmp_eq_u32_sdwa s[0:1], v64, v3 src0_sel:WORD_0 src1_sel:DWORD
	s_nop 1
	v_cndmask_b32_e64 v63, v63, v64, s[0:1]
; %bb.90:                               ;   in Loop: Header=BB304_10 Depth=1
	s_or_b64 exec, exec, s[14:15]
	global_load_ubyte v64, v[8:9], off offset:1280
	s_waitcnt vmcnt(0)
	v_cvt_f32_fp8_sdwa v64, v64 src0_sel:BYTE_0
	s_nop 0
	v_mul_f32_e32 v65, s16, v64
	v_and_b32_e32 v64, 0x7f800000, v65
	v_cmp_ne_u32_e64 s[0:1], s37, v64
                                        ; implicit-def: $vgpr64
	s_and_saveexec_b64 s[14:15], s[0:1]
	s_xor_b64 s[0:1], exec, s[14:15]
; %bb.91:                               ;   in Loop: Header=BB304_10 Depth=1
	v_bfe_u32 v64, v65, 16, 1
	v_add3_u32 v64, v65, v64, s38
                                        ; implicit-def: $vgpr65
; %bb.92:                               ;   in Loop: Header=BB304_10 Depth=1
	s_andn2_saveexec_b64 s[14:15], s[0:1]
; %bb.93:                               ;   in Loop: Header=BB304_10 Depth=1
	v_or_b32_e32 v64, 0x10000, v65
	v_cmp_eq_u32_sdwa s[0:1], v65, v3 src0_sel:WORD_0 src1_sel:DWORD
	s_nop 1
	v_cndmask_b32_e64 v64, v64, v65, s[0:1]
; %bb.94:                               ;   in Loop: Header=BB304_10 Depth=1
	s_or_b64 exec, exec, s[14:15]
	global_load_ubyte v65, v[8:9], off offset:1288
	s_waitcnt vmcnt(0)
	v_cvt_f32_fp8_sdwa v65, v65 src0_sel:BYTE_0
	s_nop 0
	v_mul_f32_e32 v66, s16, v65
	v_and_b32_e32 v65, 0x7f800000, v66
	v_cmp_ne_u32_e64 s[0:1], s37, v65
                                        ; implicit-def: $vgpr65
	s_and_saveexec_b64 s[14:15], s[0:1]
	s_xor_b64 s[0:1], exec, s[14:15]
; %bb.95:                               ;   in Loop: Header=BB304_10 Depth=1
	v_bfe_u32 v65, v66, 16, 1
	v_add3_u32 v65, v66, v65, s38
                                        ; implicit-def: $vgpr66
; %bb.96:                               ;   in Loop: Header=BB304_10 Depth=1
	s_andn2_saveexec_b64 s[14:15], s[0:1]
; %bb.97:                               ;   in Loop: Header=BB304_10 Depth=1
	v_or_b32_e32 v65, 0x10000, v66
	v_cmp_eq_u32_sdwa s[0:1], v66, v3 src0_sel:WORD_0 src1_sel:DWORD
	s_nop 1
	v_cndmask_b32_e64 v65, v65, v66, s[0:1]
; %bb.98:                               ;   in Loop: Header=BB304_10 Depth=1
	s_or_b64 exec, exec, s[14:15]
	global_load_ubyte v66, v[8:9], off offset:1408
	s_waitcnt vmcnt(0)
	v_cvt_f32_fp8_sdwa v66, v66 src0_sel:BYTE_0
	s_nop 0
	v_mul_f32_e32 v67, s16, v66
	v_and_b32_e32 v66, 0x7f800000, v67
	v_cmp_ne_u32_e64 s[0:1], s37, v66
                                        ; implicit-def: $vgpr66
	s_and_saveexec_b64 s[14:15], s[0:1]
	s_xor_b64 s[0:1], exec, s[14:15]
; %bb.99:                               ;   in Loop: Header=BB304_10 Depth=1
	v_bfe_u32 v66, v67, 16, 1
	v_add3_u32 v66, v67, v66, s38
                                        ; implicit-def: $vgpr67
; %bb.100:                              ;   in Loop: Header=BB304_10 Depth=1
	s_andn2_saveexec_b64 s[14:15], s[0:1]
; %bb.101:                              ;   in Loop: Header=BB304_10 Depth=1
	v_or_b32_e32 v66, 0x10000, v67
	v_cmp_eq_u32_sdwa s[0:1], v67, v3 src0_sel:WORD_0 src1_sel:DWORD
	s_nop 1
	v_cndmask_b32_e64 v66, v66, v67, s[0:1]
; %bb.102:                              ;   in Loop: Header=BB304_10 Depth=1
	s_or_b64 exec, exec, s[14:15]
	global_load_ubyte v8, v[8:9], off offset:1416
	s_waitcnt vmcnt(0)
	v_cvt_f32_fp8_sdwa v8, v8 src0_sel:BYTE_0
	s_nop 0
	v_mul_f32_e32 v9, s16, v8
	v_and_b32_e32 v8, 0x7f800000, v9
	v_cmp_ne_u32_e64 s[0:1], s37, v8
                                        ; implicit-def: $vgpr8
	s_and_saveexec_b64 s[14:15], s[0:1]
	s_xor_b64 s[0:1], exec, s[14:15]
; %bb.103:                              ;   in Loop: Header=BB304_10 Depth=1
	v_bfe_u32 v8, v9, 16, 1
	v_add3_u32 v8, v9, v8, s38
                                        ; implicit-def: $vgpr9
; %bb.104:                              ;   in Loop: Header=BB304_10 Depth=1
	s_andn2_saveexec_b64 s[14:15], s[0:1]
; %bb.105:                              ;   in Loop: Header=BB304_10 Depth=1
	v_or_b32_e32 v8, 0x10000, v9
	v_cmp_eq_u32_sdwa s[0:1], v9, v3 src0_sel:WORD_0 src1_sel:DWORD
	s_nop 1
	v_cndmask_b32_e64 v8, v8, v9, s[0:1]
; %bb.106:                              ;   in Loop: Header=BB304_10 Depth=1
	s_or_b64 exec, exec, s[14:15]
	v_and_b32_e32 v45, 0xffff0000, v45
	v_and_b32_e32 v44, 0xffff0000, v44
	v_mul_f32_e32 v45, v13, v45
	v_and_b32_e32 v46, 0xffff0000, v46
	v_fmac_f32_e32 v45, v12, v44
	v_and_b32_e32 v47, 0xffff0000, v47
	v_fmac_f32_e32 v45, v14, v46
	;; [unrolled: 2-line block ×22, first 2 shown]
	v_fmac_f32_e32 v45, v36, v8
	ds_bpermute_b32 v8, v38, v45
	s_waitcnt lgkmcnt(0)
	v_add_f32_e32 v8, v45, v8
	ds_bpermute_b32 v9, v39, v8
	s_waitcnt lgkmcnt(0)
	v_add_f32_e32 v8, v8, v9
	ds_bpermute_b32 v9, v40, v8
	s_and_saveexec_b64 s[14:15], vcc
	s_cbranch_execz .LBB304_9
; %bb.107:                              ;   in Loop: Header=BB304_10 Depth=1
	v_add_u32_e32 v44, s17, v41
	v_cvt_f32_i32_e32 v44, v44
	s_waitcnt lgkmcnt(0)
	v_add_f32_e32 v8, v8, v9
	v_cmp_gt_i32_e64 s[0:1], s30, v41
	v_max_f32_e32 v9, v37, v37
	v_mul_f32_e32 v44, s33, v44
	v_cndmask_b32_e64 v44, 0, v44, s[2:3]
	v_fmac_f32_e32 v44, s31, v8
	v_cndmask_b32_e64 v8, 0, v44, s[0:1]
	ds_write_b32 v42, v8
	v_max_f32_e32 v8, v9, v44
	v_cndmask_b32_e64 v37, v37, v8, s[0:1]
	s_branch .LBB304_9
.LBB304_108:
	s_or_b64 exec, exec, s[8:9]
.LBB304_109:
	s_or_b64 exec, exec, s[34:35]
	v_xor_b32_e32 v2, 32, v10
	v_cmp_lt_i32_e32 vcc, v2, v11
	v_xor_b32_e32 v5, 16, v10
	v_max_f32_e32 v4, v37, v37
	v_cndmask_b32_e32 v2, v10, v2, vcc
	v_lshlrev_b32_e32 v3, 2, v2
	ds_bpermute_b32 v2, v3, v37
	v_cmp_lt_i32_e32 vcc, v5, v11
	v_xor_b32_e32 v6, 8, v10
	v_and_b32_e32 v18, 63, v0
	s_waitcnt lgkmcnt(0)
	v_max_f32_e32 v2, v2, v2
	v_max_f32_e32 v2, v4, v2
	v_cndmask_b32_e32 v4, v10, v5, vcc
	v_lshlrev_b32_e32 v5, 2, v4
	ds_bpermute_b32 v4, v5, v2
	v_cmp_lt_i32_e32 vcc, v6, v11
	s_waitcnt lgkmcnt(0)
	v_max_f32_e32 v4, v4, v4
	v_max_f32_e32 v4, v2, v4
	v_cndmask_b32_e32 v2, v10, v6, vcc
	v_lshlrev_b32_e32 v7, 2, v2
	ds_bpermute_b32 v6, v7, v4
	v_cmp_eq_u32_e32 vcc, 0, v18
	v_lshlrev_b32_e32 v2, 2, v1
	s_and_saveexec_b64 s[0:1], vcc
	s_cbranch_execz .LBB304_111
; %bb.110:
	s_waitcnt lgkmcnt(0)
	v_max_f32_e32 v6, v6, v6
	v_max_f32_e32 v4, v4, v4
	;; [unrolled: 1-line block ×3, first 2 shown]
	ds_write_b32 v2, v4 offset:384
.LBB304_111:
	s_or_b64 exec, exec, s[0:1]
	v_cmp_gt_u32_e64 s[0:1], 2, v18
	v_mov_b32_e32 v8, 0xff7fffff
	v_lshlrev_b32_e32 v4, 2, v18
	s_waitcnt lgkmcnt(0)
	s_barrier
	s_and_saveexec_b64 s[2:3], s[0:1]
	s_cbranch_execz .LBB304_113
; %bb.112:
	ds_read_b32 v8, v4 offset:384
.LBB304_113:
	s_or_b64 exec, exec, s[2:3]
	v_xor_b32_e32 v6, 1, v10
	v_cmp_lt_i32_e64 s[2:3], v6, v11
	v_lshlrev_b32_e32 v12, 2, v10
	s_nop 0
	v_cndmask_b32_e64 v6, v10, v6, s[2:3]
	v_lshlrev_b32_e32 v6, 2, v6
	s_waitcnt lgkmcnt(0)
	ds_bpermute_b32 v9, v6, v8
	v_max_f32_e32 v8, v8, v8
	s_lshl_b32 s2, s12, 3
	s_min_i32 s31, s2, s30
	v_cmp_gt_i32_e64 s[2:3], s31, v0
	s_waitcnt lgkmcnt(0)
	v_max_f32_e32 v9, v9, v9
	v_max_f32_e32 v9, v8, v9
	v_and_b32_e32 v8, 0xffffff00, v12
	ds_bpermute_b32 v12, v8, v9
	v_mov_b32_e32 v9, 0
	s_and_saveexec_b64 s[14:15], s[2:3]
	s_cbranch_execz .LBB304_117
; %bb.114:
	v_mov_b32_e32 v9, 0x190
	v_lshl_add_u32 v13, v0, 2, v9
	s_mov_b64 s[16:17], 0
	v_mov_b32_e32 v9, 0
	v_mov_b32_e32 v14, v0
.LBB304_115:                            ; =>This Inner Loop Header: Depth=1
	ds_read_b32 v15, v13
	v_add_u32_e32 v14, 0x80, v14
	v_cmp_le_i32_e64 s[8:9], s31, v14
	s_or_b64 s[16:17], s[8:9], s[16:17]
	s_waitcnt lgkmcnt(0)
	v_sub_f32_e32 v15, v15, v12
	v_mul_f32_e32 v15, 0x3fb8aa3b, v15
	v_exp_f32_e32 v15, v15
	ds_write_b32 v13, v15
	v_add_f32_e32 v9, v9, v15
	v_add_u32_e32 v13, 0x200, v13
	s_andn2_b64 exec, exec, s[16:17]
	s_cbranch_execnz .LBB304_115
; %bb.116:
	s_or_b64 exec, exec, s[16:17]
.LBB304_117:
	s_or_b64 exec, exec, s[14:15]
	ds_bpermute_b32 v3, v3, v9
	s_waitcnt lgkmcnt(0)
	v_add_f32_e32 v3, v9, v3
	ds_bpermute_b32 v5, v5, v3
	s_waitcnt lgkmcnt(0)
	v_add_f32_e32 v3, v3, v5
	ds_bpermute_b32 v5, v7, v3
	v_xor_b32_e32 v7, 4, v10
	v_cmp_lt_i32_e64 s[8:9], v7, v11
	s_waitcnt lgkmcnt(0)
	v_add_f32_e32 v3, v3, v5
	v_cndmask_b32_e64 v7, v10, v7, s[8:9]
	v_lshlrev_b32_e32 v7, 2, v7
	ds_bpermute_b32 v5, v7, v3
	v_xor_b32_e32 v7, 2, v10
	v_cmp_lt_i32_e64 s[8:9], v7, v11
	s_waitcnt lgkmcnt(0)
	v_add_f32_e32 v3, v3, v5
	v_cndmask_b32_e64 v7, v10, v7, s[8:9]
	v_lshlrev_b32_e32 v5, 2, v7
	ds_bpermute_b32 v5, v5, v3
	s_waitcnt lgkmcnt(0)
	v_add_f32_e32 v3, v3, v5
	ds_bpermute_b32 v5, v6, v3
	s_waitcnt lgkmcnt(0)
	v_add_f32_e32 v3, v3, v5
	s_and_saveexec_b64 s[8:9], vcc
	s_cbranch_execz .LBB304_119
; %bb.118:
	ds_write_b32 v2, v3 offset:392
.LBB304_119:
	s_or_b64 exec, exec, s[8:9]
	s_waitcnt lgkmcnt(0)
	s_barrier
	s_and_saveexec_b64 s[8:9], s[0:1]
	s_cbranch_execz .LBB304_121
; %bb.120:
	ds_read_b32 v3, v4 offset:392
.LBB304_121:
	s_or_b64 exec, exec, s[8:9]
	s_waitcnt lgkmcnt(0)
	ds_bpermute_b32 v2, v6, v3
	s_waitcnt lgkmcnt(0)
	v_add_f32_e32 v2, v3, v2
	ds_bpermute_b32 v2, v8, v2
	s_and_saveexec_b64 s[0:1], s[2:3]
	s_cbranch_execz .LBB304_134
; %bb.122:
	s_waitcnt lgkmcnt(0)
	v_add_f32_e32 v2, 0x358637bd, v2
	v_div_scale_f32 v3, s[2:3], v2, v2, 1.0
	v_rcp_f32_e32 v4, v3
	v_div_scale_f32 v5, vcc, 1.0, v2, 1.0
	s_movk_i32 s2, 0x7f
	v_fma_f32 v6, -v3, v4, 1.0
	v_fmac_f32_e32 v4, v6, v4
	v_mul_f32_e32 v6, v5, v4
	v_fma_f32 v7, -v3, v6, v5
	v_fmac_f32_e32 v6, v7, v4
	v_fma_f32 v3, -v3, v6, v5
	v_div_fmas_f32 v3, v3, v4, v6
	v_xad_u32 v4, v0, -1, s31
	v_div_fixup_f32 v2, v3, v2, 1.0
	v_cmp_lt_u32_e32 vcc, s2, v4
	s_mov_b64 s[8:9], -1
	v_mov_b32_e32 v3, v0
	s_and_saveexec_b64 s[2:3], vcc
	s_cbranch_execz .LBB304_131
; %bb.123:
	v_lshrrev_b32_e32 v4, 7, v4
	v_add_u32_e32 v6, -1, v4
	v_lshrrev_b32_e32 v5, 1, v6
	v_mov_b32_e32 v3, v2
	v_add_u32_e32 v5, 1, v5
	v_cmp_lt_u32_e32 vcc, 13, v6
	v_mov_b32_e32 v8, 0
	s_and_saveexec_b64 s[8:9], vcc
	s_cbranch_execz .LBB304_127
; %bb.124:
	v_mov_b32_e32 v7, 0x190
	v_and_b32_e32 v6, -8, v5
	v_lshl_add_u32 v7, v0, 2, v7
	s_mov_b32 s16, 0
	s_mov_b64 s[14:15], 0
.LBB304_125:                            ; =>This Inner Loop Header: Depth=1
	ds_read2st64_b32 v[8:9], v7 offset1:2
	ds_read2st64_b32 v[10:11], v7 offset0:4 offset1:6
	ds_read2st64_b32 v[12:13], v7 offset0:8 offset1:10
	;; [unrolled: 1-line block ×3, first 2 shown]
	v_add_u32_e32 v6, -8, v6
	s_waitcnt lgkmcnt(3)
	v_pk_mul_f32 v[8:9], v[2:3], v[8:9]
	s_waitcnt lgkmcnt(2)
	v_pk_mul_f32 v[10:11], v[2:3], v[10:11]
	ds_write2st64_b32 v7, v8, v9 offset1:2
	ds_write2st64_b32 v7, v10, v11 offset0:4 offset1:6
	ds_read2st64_b32 v[10:11], v7 offset0:16 offset1:18
	s_waitcnt lgkmcnt(4)
	v_pk_mul_f32 v[8:9], v[2:3], v[12:13]
	ds_write2st64_b32 v7, v8, v9 offset0:8 offset1:10
	s_waitcnt lgkmcnt(4)
	v_pk_mul_f32 v[8:9], v[2:3], v[14:15]
	ds_write2st64_b32 v7, v8, v9 offset0:12 offset1:14
	ds_read2st64_b32 v[8:9], v7 offset0:20 offset1:22
	s_waitcnt lgkmcnt(3)
	v_pk_mul_f32 v[10:11], v[2:3], v[10:11]
	ds_read2st64_b32 v[12:13], v7 offset0:24 offset1:26
	ds_write2st64_b32 v7, v10, v11 offset0:16 offset1:18
	ds_read2st64_b32 v[10:11], v7 offset0:28 offset1:30
	s_waitcnt lgkmcnt(3)
	v_pk_mul_f32 v[8:9], v[2:3], v[8:9]
	ds_write2st64_b32 v7, v8, v9 offset0:20 offset1:22
	s_waitcnt lgkmcnt(3)
	v_pk_mul_f32 v[8:9], v[2:3], v[12:13]
	ds_write2st64_b32 v7, v8, v9 offset0:24 offset1:26
	s_waitcnt lgkmcnt(2)
	v_pk_mul_f32 v[8:9], v[2:3], v[10:11]
	s_add_i32 s16, s16, 16
	v_cmp_eq_u32_e32 vcc, 0, v6
	ds_write2st64_b32 v7, v8, v9 offset0:28 offset1:30
	v_add_u32_e32 v7, 0x2000, v7
	s_or_b64 s[14:15], vcc, s[14:15]
	v_mov_b32_e32 v8, s16
	s_andn2_b64 exec, exec, s[14:15]
	s_cbranch_execnz .LBB304_125
; %bb.126:
	s_or_b64 exec, exec, s[14:15]
.LBB304_127:
	s_or_b64 exec, exec, s[8:9]
	v_and_b32_e32 v5, 7, v5
	v_cmp_ne_u32_e32 vcc, 0, v5
	s_and_saveexec_b64 s[8:9], vcc
	s_cbranch_execz .LBB304_130
; %bb.128:
	v_lshlrev_b32_e32 v6, 9, v8
	v_lshlrev_b32_e32 v7, 2, v0
	s_movk_i32 s14, 0x190
	v_add3_u32 v6, v6, v7, s14
	s_mov_b64 s[14:15], 0
.LBB304_129:                            ; =>This Inner Loop Header: Depth=1
	ds_read2st64_b32 v[8:9], v6 offset1:2
	v_add_u32_e32 v5, -1, v5
	v_cmp_eq_u32_e32 vcc, 0, v5
	s_or_b64 s[14:15], vcc, s[14:15]
	s_waitcnt lgkmcnt(0)
	v_pk_mul_f32 v[8:9], v[2:3], v[8:9]
	ds_write2st64_b32 v6, v8, v9 offset1:2
	v_add_u32_e32 v6, 0x400, v6
	s_andn2_b64 exec, exec, s[14:15]
	s_cbranch_execnz .LBB304_129
.LBB304_130:
	s_or_b64 exec, exec, s[8:9]
	v_add_u32_e32 v4, 1, v4
	v_and_b32_e32 v5, 0x3fffffe, v4
	v_cmp_ne_u32_e32 vcc, v4, v5
	v_lshl_add_u32 v3, v5, 7, v0
	s_orn2_b64 s[8:9], vcc, exec
.LBB304_131:
	s_or_b64 exec, exec, s[2:3]
	s_and_b64 exec, exec, s[8:9]
	s_cbranch_execz .LBB304_134
; %bb.132:
	v_mov_b32_e32 v4, 0x190
	v_lshl_add_u32 v4, v3, 2, v4
	s_mov_b64 s[2:3], 0
.LBB304_133:                            ; =>This Inner Loop Header: Depth=1
	ds_read_b32 v5, v4
	v_add_u32_e32 v3, 0x80, v3
	v_cmp_le_i32_e32 vcc, s31, v3
	s_or_b64 s[2:3], vcc, s[2:3]
	s_waitcnt lgkmcnt(0)
	v_mul_f32_e32 v5, v2, v5
	ds_write_b32 v4, v5
	v_add_u32_e32 v4, 0x200, v4
	s_andn2_b64 exec, exec, s[2:3]
	s_cbranch_execnz .LBB304_133
.LBB304_134:
	s_or_b64 exec, exec, s[0:1]
	v_mov_b32_e32 v10, 0
	v_mov_b32_e32 v13, v10
	;; [unrolled: 1-line block ×3, first 2 shown]
	s_waitcnt lgkmcnt(0)
	s_barrier
	s_and_saveexec_b64 s[2:3], s[6:7]
	s_cbranch_execz .LBB304_368
; %bb.135:
	s_ashr_i32 s1, s25, 31
	s_add_u32 s0, s10, s25
	s_addc_u32 s1, s11, s1
	v_lshlrev_b32_e32 v10, 3, v18
	s_load_dword s10, s[18:19], 0x0
	v_mov_b32_e32 v11, 0
	s_add_i32 s11, s12, -1
	v_lshl_add_u64 v[14:15], s[0:1], 0, v[10:11]
	s_lshl_b64 s[0:1], s[28:29], 2
	s_add_u32 s0, s26, s0
	v_mov_b32_e32 v2, 0x190
	v_and_b32_e32 v10, 60, v16
	s_addc_u32 s1, s27, s1
	v_lshl_or_b32 v19, v1, 3, 7
	v_lshl_add_u32 v20, v1, 5, v2
	v_lshl_add_u64 v[16:17], s[0:1], 0, v[10:11]
	s_mov_b64 s[6:7], 0
	s_mov_b32 s14, 0x7f800000
	s_movk_i32 s15, 0x7fff
	v_mov_b32_e32 v12, 0
	v_mov_b32_e32 v13, 0
	;; [unrolled: 1-line block ×3, first 2 shown]
	s_branch .LBB304_137
.LBB304_136:                            ;   in Loop: Header=BB304_137 Depth=1
	s_or_b64 exec, exec, s[0:1]
	v_and_b32_e32 v33, 0xffff0000, v9
	v_and_b32_e32 v32, 0xffff0000, v7
	;; [unrolled: 1-line block ×8, first 2 shown]
	v_pk_add_f32 v[6:7], v[6:7], v[32:33]
	v_pk_add_f32 v[8:9], v[22:23], v[30:31]
	v_add_f32_e32 v6, v6, v7
	v_add_f32_e32 v6, v6, v8
	;; [unrolled: 1-line block ×3, first 2 shown]
	v_and_b32_e32 v23, 0xffff0000, v41
	v_and_b32_e32 v22, 0xffff0000, v5
	;; [unrolled: 1-line block ×4, first 2 shown]
	v_add_f32_e32 v12, v12, v6
	v_and_b32_e32 v7, 0xffff0000, v45
	v_and_b32_e32 v6, 0xffff0000, v43
	;; [unrolled: 1-line block ×4, first 2 shown]
	v_pk_add_f32 v[4:5], v[4:5], v[22:23]
	v_pk_add_f32 v[6:7], v[8:9], v[6:7]
	v_add_f32_e32 v4, v4, v5
	v_add_f32_e32 v4, v4, v6
	v_add_f32_e32 v4, v4, v7
	v_and_b32_e32 v5, 0xffff0000, v3
	v_and_b32_e32 v9, 0xffff0000, v26
	;; [unrolled: 1-line block ×5, first 2 shown]
	v_add_f32_e32 v13, v13, v4
	v_and_b32_e32 v4, 0xffff0000, v28
	v_and_b32_e32 v7, 0xffff0000, v29
	;; [unrolled: 1-line block ×3, first 2 shown]
	v_pk_add_f32 v[2:3], v[2:3], v[8:9]
	v_pk_add_f32 v[4:5], v[6:7], v[4:5]
	v_add_f32_e32 v2, v2, v3
	v_add_f32_e32 v2, v2, v4
	v_add_u32_e32 v1, 2, v1
	v_add_f32_e32 v2, v2, v5
	v_cmp_le_i32_e32 vcc, s12, v1
	v_add_f32_e32 v10, v10, v2
	v_add_u32_e32 v19, 16, v19
	v_add_u32_e32 v20, 64, v20
	s_or_b64 s[6:7], vcc, s[6:7]
	v_lshl_add_u64 v[16:17], v[16:17], 0, 8
	s_andn2_b64 exec, exec, s[6:7]
	s_cbranch_execz .LBB304_367
.LBB304_137:                            ; =>This Inner Loop Header: Depth=1
	global_load_dword v24, v[16:17], off
	ds_read2_b64 v[6:9], v20 offset1:1
	ds_read2_b64 v[2:5], v20 offset0:2 offset1:3
                                        ; implicit-def: $vgpr32
	s_waitcnt lgkmcnt(0)
	v_and_b32_e32 v21, 0x7f800000, v6
	v_cmp_ne_u32_e32 vcc, s14, v21
	s_and_saveexec_b64 s[0:1], vcc
	s_xor_b64 s[0:1], exec, s[0:1]
; %bb.138:                              ;   in Loop: Header=BB304_137 Depth=1
	v_bfe_u32 v21, v6, 16, 1
	v_add3_u32 v32, v6, v21, s15
; %bb.139:                              ;   in Loop: Header=BB304_137 Depth=1
	s_andn2_saveexec_b64 s[0:1], s[0:1]
; %bb.140:                              ;   in Loop: Header=BB304_137 Depth=1
	v_or_b32_e32 v21, 0x10000, v6
	v_cmp_eq_u32_sdwa vcc, v6, v11 src0_sel:WORD_0 src1_sel:DWORD
	s_nop 1
	v_cndmask_b32_e32 v32, v21, v6, vcc
; %bb.141:                              ;   in Loop: Header=BB304_137 Depth=1
	s_or_b64 exec, exec, s[0:1]
	v_and_b32_e32 v6, 0x7f800000, v7
	v_cmp_ne_u32_e32 vcc, s14, v6
                                        ; implicit-def: $vgpr33
	s_and_saveexec_b64 s[0:1], vcc
	s_xor_b64 s[0:1], exec, s[0:1]
; %bb.142:                              ;   in Loop: Header=BB304_137 Depth=1
	v_bfe_u32 v6, v7, 16, 1
	v_add3_u32 v33, v7, v6, s15
; %bb.143:                              ;   in Loop: Header=BB304_137 Depth=1
	s_andn2_saveexec_b64 s[0:1], s[0:1]
; %bb.144:                              ;   in Loop: Header=BB304_137 Depth=1
	v_or_b32_e32 v6, 0x10000, v7
	v_cmp_eq_u32_sdwa vcc, v7, v11 src0_sel:WORD_0 src1_sel:DWORD
	s_nop 1
	v_cndmask_b32_e32 v33, v6, v7, vcc
; %bb.145:                              ;   in Loop: Header=BB304_137 Depth=1
	s_or_b64 exec, exec, s[0:1]
	v_and_b32_e32 v6, 0x7f800000, v8
	v_cmp_ne_u32_e32 vcc, s14, v6
                                        ; implicit-def: $vgpr34
	s_and_saveexec_b64 s[0:1], vcc
	s_xor_b64 s[0:1], exec, s[0:1]
; %bb.146:                              ;   in Loop: Header=BB304_137 Depth=1
	v_bfe_u32 v6, v8, 16, 1
	v_add3_u32 v34, v8, v6, s15
; %bb.147:                              ;   in Loop: Header=BB304_137 Depth=1
	s_andn2_saveexec_b64 s[0:1], s[0:1]
; %bb.148:                              ;   in Loop: Header=BB304_137 Depth=1
	v_or_b32_e32 v6, 0x10000, v8
	v_cmp_eq_u32_sdwa vcc, v8, v11 src0_sel:WORD_0 src1_sel:DWORD
	s_nop 1
	v_cndmask_b32_e32 v34, v6, v8, vcc
; %bb.149:                              ;   in Loop: Header=BB304_137 Depth=1
	s_or_b64 exec, exec, s[0:1]
	v_and_b32_e32 v6, 0x7f800000, v9
	v_cmp_ne_u32_e32 vcc, s14, v6
                                        ; implicit-def: $vgpr35
	s_and_saveexec_b64 s[0:1], vcc
	s_xor_b64 s[0:1], exec, s[0:1]
; %bb.150:                              ;   in Loop: Header=BB304_137 Depth=1
	v_bfe_u32 v6, v9, 16, 1
	v_add3_u32 v35, v9, v6, s15
                                        ; implicit-def: $vgpr6_vgpr7_vgpr8_vgpr9
; %bb.151:                              ;   in Loop: Header=BB304_137 Depth=1
	s_andn2_saveexec_b64 s[0:1], s[0:1]
; %bb.152:                              ;   in Loop: Header=BB304_137 Depth=1
	v_or_b32_e32 v6, 0x10000, v9
	v_cmp_eq_u32_sdwa vcc, v9, v11 src0_sel:WORD_0 src1_sel:DWORD
	s_nop 1
	v_cndmask_b32_e32 v35, v6, v9, vcc
; %bb.153:                              ;   in Loop: Header=BB304_137 Depth=1
	s_or_b64 exec, exec, s[0:1]
	v_and_b32_e32 v6, 0x7f800000, v2
	v_cmp_ne_u32_e32 vcc, s14, v6
                                        ; implicit-def: $vgpr21
	s_and_saveexec_b64 s[0:1], vcc
	s_xor_b64 s[0:1], exec, s[0:1]
; %bb.154:                              ;   in Loop: Header=BB304_137 Depth=1
	v_bfe_u32 v6, v2, 16, 1
	v_add3_u32 v21, v2, v6, s15
; %bb.155:                              ;   in Loop: Header=BB304_137 Depth=1
	s_andn2_saveexec_b64 s[0:1], s[0:1]
; %bb.156:                              ;   in Loop: Header=BB304_137 Depth=1
	v_or_b32_e32 v6, 0x10000, v2
	v_cmp_eq_u32_sdwa vcc, v2, v11 src0_sel:WORD_0 src1_sel:DWORD
	s_nop 1
	v_cndmask_b32_e32 v21, v6, v2, vcc
; %bb.157:                              ;   in Loop: Header=BB304_137 Depth=1
	s_or_b64 exec, exec, s[0:1]
	v_and_b32_e32 v2, 0x7f800000, v3
	v_cmp_ne_u32_e32 vcc, s14, v2
                                        ; implicit-def: $vgpr22
	s_and_saveexec_b64 s[0:1], vcc
	s_xor_b64 s[0:1], exec, s[0:1]
; %bb.158:                              ;   in Loop: Header=BB304_137 Depth=1
	v_bfe_u32 v2, v3, 16, 1
	v_add3_u32 v22, v3, v2, s15
; %bb.159:                              ;   in Loop: Header=BB304_137 Depth=1
	s_andn2_saveexec_b64 s[0:1], s[0:1]
; %bb.160:                              ;   in Loop: Header=BB304_137 Depth=1
	v_or_b32_e32 v2, 0x10000, v3
	v_cmp_eq_u32_sdwa vcc, v3, v11 src0_sel:WORD_0 src1_sel:DWORD
	s_nop 1
	v_cndmask_b32_e32 v22, v2, v3, vcc
; %bb.161:                              ;   in Loop: Header=BB304_137 Depth=1
	s_or_b64 exec, exec, s[0:1]
	v_and_b32_e32 v2, 0x7f800000, v4
	v_cmp_ne_u32_e32 vcc, s14, v2
                                        ; implicit-def: $vgpr23
	s_and_saveexec_b64 s[0:1], vcc
	s_xor_b64 s[0:1], exec, s[0:1]
; %bb.162:                              ;   in Loop: Header=BB304_137 Depth=1
	v_bfe_u32 v2, v4, 16, 1
	v_add3_u32 v23, v4, v2, s15
; %bb.163:                              ;   in Loop: Header=BB304_137 Depth=1
	s_andn2_saveexec_b64 s[0:1], s[0:1]
; %bb.164:                              ;   in Loop: Header=BB304_137 Depth=1
	v_or_b32_e32 v2, 0x10000, v4
	v_cmp_eq_u32_sdwa vcc, v4, v11 src0_sel:WORD_0 src1_sel:DWORD
	s_nop 1
	v_cndmask_b32_e32 v23, v2, v4, vcc
; %bb.165:                              ;   in Loop: Header=BB304_137 Depth=1
	s_or_b64 exec, exec, s[0:1]
	v_and_b32_e32 v2, 0x7f800000, v5
	v_cmp_ne_u32_e32 vcc, s14, v2
                                        ; implicit-def: $vgpr31
	s_and_saveexec_b64 s[0:1], vcc
	s_xor_b64 s[0:1], exec, s[0:1]
; %bb.166:                              ;   in Loop: Header=BB304_137 Depth=1
	v_bfe_u32 v2, v5, 16, 1
	v_add3_u32 v31, v5, v2, s15
                                        ; implicit-def: $vgpr2_vgpr3_vgpr4_vgpr5
; %bb.167:                              ;   in Loop: Header=BB304_137 Depth=1
	s_andn2_saveexec_b64 s[0:1], s[0:1]
; %bb.168:                              ;   in Loop: Header=BB304_137 Depth=1
	v_or_b32_e32 v2, 0x10000, v5
	v_cmp_eq_u32_sdwa vcc, v5, v11 src0_sel:WORD_0 src1_sel:DWORD
	s_nop 1
	v_cndmask_b32_e32 v31, v2, v5, vcc
; %bb.169:                              ;   in Loop: Header=BB304_137 Depth=1
	s_or_b64 exec, exec, s[0:1]
	s_waitcnt vmcnt(0)
	v_mad_i64_i32 v[2:3], s[0:1], v24, s13, v[14:15]
	global_load_dwordx2 v[4:5], v[2:3], off
	s_waitcnt vmcnt(0)
	v_and_b32_e32 v6, 0xff, v4
	v_cvt_f32_fp8_sdwa v6, v6 src0_sel:BYTE_0
	s_nop 0
	v_mul_f32_e32 v7, s10, v6
	v_and_b32_e32 v6, 0x7f800000, v7
	v_cmp_ne_u32_e32 vcc, s14, v6
                                        ; implicit-def: $vgpr6
	s_and_saveexec_b64 s[0:1], vcc
	s_xor_b64 s[0:1], exec, s[0:1]
; %bb.170:                              ;   in Loop: Header=BB304_137 Depth=1
	v_bfe_u32 v6, v7, 16, 1
	v_add3_u32 v6, v7, v6, s15
                                        ; implicit-def: $vgpr7
; %bb.171:                              ;   in Loop: Header=BB304_137 Depth=1
	s_andn2_saveexec_b64 s[0:1], s[0:1]
; %bb.172:                              ;   in Loop: Header=BB304_137 Depth=1
	v_or_b32_e32 v6, 0x10000, v7
	v_cmp_eq_u32_sdwa vcc, v7, v11 src0_sel:WORD_0 src1_sel:DWORD
	s_nop 1
	v_cndmask_b32_e32 v6, v6, v7, vcc
; %bb.173:                              ;   in Loop: Header=BB304_137 Depth=1
	s_or_b64 exec, exec, s[0:1]
	v_bfe_u32 v7, v4, 8, 8
	v_cvt_f32_fp8_sdwa v7, v7 src0_sel:BYTE_0
	s_nop 0
	v_mul_f32_e32 v8, s10, v7
	v_and_b32_e32 v7, 0x7f800000, v8
	v_cmp_ne_u32_e32 vcc, s14, v7
                                        ; implicit-def: $vgpr7
	s_and_saveexec_b64 s[0:1], vcc
	s_xor_b64 s[0:1], exec, s[0:1]
; %bb.174:                              ;   in Loop: Header=BB304_137 Depth=1
	v_bfe_u32 v7, v8, 16, 1
	v_add3_u32 v7, v8, v7, s15
                                        ; implicit-def: $vgpr8
; %bb.175:                              ;   in Loop: Header=BB304_137 Depth=1
	s_andn2_saveexec_b64 s[0:1], s[0:1]
; %bb.176:                              ;   in Loop: Header=BB304_137 Depth=1
	v_or_b32_e32 v7, 0x10000, v8
	v_cmp_eq_u32_sdwa vcc, v8, v11 src0_sel:WORD_0 src1_sel:DWORD
	s_nop 1
	v_cndmask_b32_e32 v7, v7, v8, vcc
; %bb.177:                              ;   in Loop: Header=BB304_137 Depth=1
	s_or_b64 exec, exec, s[0:1]
	v_bfe_u32 v8, v4, 16, 8
	v_cvt_f32_fp8_sdwa v8, v8 src0_sel:BYTE_0
	s_nop 0
	v_mul_f32_e32 v9, s10, v8
	v_and_b32_e32 v8, 0x7f800000, v9
	v_cmp_ne_u32_e32 vcc, s14, v8
                                        ; implicit-def: $vgpr8
	s_and_saveexec_b64 s[0:1], vcc
	s_xor_b64 s[0:1], exec, s[0:1]
; %bb.178:                              ;   in Loop: Header=BB304_137 Depth=1
	v_bfe_u32 v8, v9, 16, 1
	v_add3_u32 v8, v9, v8, s15
                                        ; implicit-def: $vgpr9
; %bb.179:                              ;   in Loop: Header=BB304_137 Depth=1
	s_andn2_saveexec_b64 s[0:1], s[0:1]
; %bb.180:                              ;   in Loop: Header=BB304_137 Depth=1
	v_or_b32_e32 v8, 0x10000, v9
	v_cmp_eq_u32_sdwa vcc, v9, v11 src0_sel:WORD_0 src1_sel:DWORD
	s_nop 1
	v_cndmask_b32_e32 v8, v8, v9, vcc
; %bb.181:                              ;   in Loop: Header=BB304_137 Depth=1
	s_or_b64 exec, exec, s[0:1]
	v_lshrrev_b32_e32 v4, 24, v4
	v_cvt_f32_fp8_sdwa v4, v4 src0_sel:BYTE_0
	s_nop 0
	v_mul_f32_e32 v9, s10, v4
	v_and_b32_e32 v4, 0x7f800000, v9
	v_cmp_ne_u32_e32 vcc, s14, v4
                                        ; implicit-def: $vgpr4
	s_and_saveexec_b64 s[0:1], vcc
	s_xor_b64 s[0:1], exec, s[0:1]
; %bb.182:                              ;   in Loop: Header=BB304_137 Depth=1
	v_bfe_u32 v4, v9, 16, 1
	v_add3_u32 v4, v9, v4, s15
                                        ; implicit-def: $vgpr9
; %bb.183:                              ;   in Loop: Header=BB304_137 Depth=1
	s_andn2_saveexec_b64 s[0:1], s[0:1]
; %bb.184:                              ;   in Loop: Header=BB304_137 Depth=1
	v_or_b32_e32 v4, 0x10000, v9
	v_cmp_eq_u32_sdwa vcc, v9, v11 src0_sel:WORD_0 src1_sel:DWORD
	s_nop 1
	v_cndmask_b32_e32 v4, v4, v9, vcc
; %bb.185:                              ;   in Loop: Header=BB304_137 Depth=1
	s_or_b64 exec, exec, s[0:1]
	v_and_b32_e32 v9, 0xff, v5
	v_cvt_f32_fp8_sdwa v9, v9 src0_sel:BYTE_0
	s_nop 0
	v_mul_f32_e32 v24, s10, v9
	v_and_b32_e32 v9, 0x7f800000, v24
	v_cmp_ne_u32_e32 vcc, s14, v9
                                        ; implicit-def: $vgpr9
	s_and_saveexec_b64 s[0:1], vcc
	s_xor_b64 s[0:1], exec, s[0:1]
; %bb.186:                              ;   in Loop: Header=BB304_137 Depth=1
	v_bfe_u32 v9, v24, 16, 1
	v_add3_u32 v9, v24, v9, s15
                                        ; implicit-def: $vgpr24
; %bb.187:                              ;   in Loop: Header=BB304_137 Depth=1
	s_andn2_saveexec_b64 s[0:1], s[0:1]
; %bb.188:                              ;   in Loop: Header=BB304_137 Depth=1
	v_or_b32_e32 v9, 0x10000, v24
	v_cmp_eq_u32_sdwa vcc, v24, v11 src0_sel:WORD_0 src1_sel:DWORD
	s_nop 1
	v_cndmask_b32_e32 v9, v9, v24, vcc
; %bb.189:                              ;   in Loop: Header=BB304_137 Depth=1
	s_or_b64 exec, exec, s[0:1]
	v_bfe_u32 v24, v5, 8, 8
	v_cvt_f32_fp8_sdwa v24, v24 src0_sel:BYTE_0
	s_nop 0
	v_mul_f32_e32 v24, s10, v24
	v_and_b32_e32 v25, 0x7f800000, v24
	v_cmp_ne_u32_e32 vcc, s14, v25
                                        ; implicit-def: $vgpr25
	s_and_saveexec_b64 s[0:1], vcc
	s_xor_b64 s[0:1], exec, s[0:1]
; %bb.190:                              ;   in Loop: Header=BB304_137 Depth=1
	v_bfe_u32 v25, v24, 16, 1
	v_add3_u32 v25, v24, v25, s15
                                        ; implicit-def: $vgpr24
; %bb.191:                              ;   in Loop: Header=BB304_137 Depth=1
	s_andn2_saveexec_b64 s[0:1], s[0:1]
; %bb.192:                              ;   in Loop: Header=BB304_137 Depth=1
	v_or_b32_e32 v25, 0x10000, v24
	v_cmp_eq_u32_sdwa vcc, v24, v11 src0_sel:WORD_0 src1_sel:DWORD
	s_nop 1
	v_cndmask_b32_e32 v25, v25, v24, vcc
; %bb.193:                              ;   in Loop: Header=BB304_137 Depth=1
	s_or_b64 exec, exec, s[0:1]
	v_bfe_u32 v24, v5, 16, 8
	v_cvt_f32_fp8_sdwa v24, v24 src0_sel:BYTE_0
	s_nop 0
	v_mul_f32_e32 v24, s10, v24
	v_and_b32_e32 v26, 0x7f800000, v24
	v_cmp_ne_u32_e32 vcc, s14, v26
                                        ; implicit-def: $vgpr26
	s_and_saveexec_b64 s[0:1], vcc
	s_xor_b64 s[0:1], exec, s[0:1]
; %bb.194:                              ;   in Loop: Header=BB304_137 Depth=1
	v_bfe_u32 v26, v24, 16, 1
	v_add3_u32 v26, v24, v26, s15
                                        ; implicit-def: $vgpr24
; %bb.195:                              ;   in Loop: Header=BB304_137 Depth=1
	s_andn2_saveexec_b64 s[0:1], s[0:1]
; %bb.196:                              ;   in Loop: Header=BB304_137 Depth=1
	v_or_b32_e32 v26, 0x10000, v24
	v_cmp_eq_u32_sdwa vcc, v24, v11 src0_sel:WORD_0 src1_sel:DWORD
	s_nop 1
	v_cndmask_b32_e32 v26, v26, v24, vcc
; %bb.197:                              ;   in Loop: Header=BB304_137 Depth=1
	s_or_b64 exec, exec, s[0:1]
	v_lshrrev_b32_e32 v5, 24, v5
	v_cvt_f32_fp8_sdwa v5, v5 src0_sel:BYTE_0
                                        ; implicit-def: $vgpr27
	s_nop 0
	v_mul_f32_e32 v5, s10, v5
	v_and_b32_e32 v24, 0x7f800000, v5
	v_cmp_ne_u32_e32 vcc, s14, v24
	s_and_saveexec_b64 s[0:1], vcc
	s_xor_b64 s[0:1], exec, s[0:1]
; %bb.198:                              ;   in Loop: Header=BB304_137 Depth=1
	v_bfe_u32 v24, v5, 16, 1
	v_add3_u32 v27, v5, v24, s15
                                        ; implicit-def: $vgpr5
; %bb.199:                              ;   in Loop: Header=BB304_137 Depth=1
	s_andn2_saveexec_b64 s[0:1], s[0:1]
; %bb.200:                              ;   in Loop: Header=BB304_137 Depth=1
	v_or_b32_e32 v24, 0x10000, v5
	v_cmp_eq_u32_sdwa vcc, v5, v11 src0_sel:WORD_0 src1_sel:DWORD
	s_nop 1
	v_cndmask_b32_e32 v27, v24, v5, vcc
; %bb.201:                              ;   in Loop: Header=BB304_137 Depth=1
	s_or_b64 exec, exec, s[0:1]
	v_cmp_eq_u32_e32 vcc, s11, v1
	v_add_u32_e32 v24, -7, v19
	v_lshrrev_b32_e32 v38, 16, v25
	v_lshrrev_b32_e32 v37, 16, v9
	;; [unrolled: 1-line block ×8, first 2 shown]
	v_add_u32_e32 v30, -6, v19
	v_add_u32_e32 v29, -5, v19
	;; [unrolled: 1-line block ×6, first 2 shown]
	s_and_saveexec_b64 s[8:9], vcc
	s_cbranch_execz .LBB304_203
; %bb.202:                              ;   in Loop: Header=BB304_137 Depth=1
	v_cmp_gt_i32_e64 s[0:1], s30, v24
	s_nop 1
	v_cndmask_b32_e64 v6, 0, v6, s[0:1]
	v_cmp_gt_i32_e64 s[0:1], s30, v30
	s_nop 1
	v_cndmask_b32_e64 v7, 0, v7, s[0:1]
	;; [unrolled: 3-line block ×8, first 2 shown]
.LBB304_203:                            ;   in Loop: Header=BB304_137 Depth=1
	s_or_b64 exec, exec, s[8:9]
	v_and_b32_e32 v32, 0xffff0000, v32
	v_lshlrev_b32_e32 v6, 16, v6
	v_mul_f32_e32 v36, v32, v6
	v_and_b32_e32 v6, 0x7f800000, v36
	v_cmp_ne_u32_e64 s[0:1], s14, v6
                                        ; implicit-def: $vgpr6
	s_and_saveexec_b64 s[8:9], s[0:1]
	s_xor_b64 s[0:1], exec, s[8:9]
; %bb.204:                              ;   in Loop: Header=BB304_137 Depth=1
	v_bfe_u32 v6, v36, 16, 1
	v_add3_u32 v6, v36, v6, s15
                                        ; implicit-def: $vgpr36
; %bb.205:                              ;   in Loop: Header=BB304_137 Depth=1
	s_andn2_saveexec_b64 s[8:9], s[0:1]
; %bb.206:                              ;   in Loop: Header=BB304_137 Depth=1
	v_or_b32_e32 v6, 0x10000, v36
	v_cmp_eq_u32_sdwa s[0:1], v36, v11 src0_sel:WORD_0 src1_sel:DWORD
	s_nop 1
	v_cndmask_b32_e64 v6, v6, v36, s[0:1]
; %bb.207:                              ;   in Loop: Header=BB304_137 Depth=1
	s_or_b64 exec, exec, s[8:9]
	v_and_b32_e32 v33, 0xffff0000, v33
	v_lshlrev_b32_e32 v7, 16, v7
	v_mul_f32_e32 v36, v33, v7
	v_and_b32_e32 v7, 0x7f800000, v36
	v_cmp_ne_u32_e64 s[0:1], s14, v7
                                        ; implicit-def: $vgpr7
	s_and_saveexec_b64 s[8:9], s[0:1]
	s_xor_b64 s[0:1], exec, s[8:9]
; %bb.208:                              ;   in Loop: Header=BB304_137 Depth=1
	v_bfe_u32 v7, v36, 16, 1
	v_add3_u32 v7, v36, v7, s15
                                        ; implicit-def: $vgpr36
; %bb.209:                              ;   in Loop: Header=BB304_137 Depth=1
	s_andn2_saveexec_b64 s[8:9], s[0:1]
; %bb.210:                              ;   in Loop: Header=BB304_137 Depth=1
	v_or_b32_e32 v7, 0x10000, v36
	v_cmp_eq_u32_sdwa s[0:1], v36, v11 src0_sel:WORD_0 src1_sel:DWORD
	s_nop 1
	v_cndmask_b32_e64 v7, v7, v36, s[0:1]
; %bb.211:                              ;   in Loop: Header=BB304_137 Depth=1
	s_or_b64 exec, exec, s[8:9]
	v_and_b32_e32 v34, 0xffff0000, v34
	v_lshlrev_b32_e32 v8, 16, v8
	v_mul_f32_e32 v36, v34, v8
	v_and_b32_e32 v8, 0x7f800000, v36
	v_cmp_ne_u32_e64 s[0:1], s14, v8
                                        ; implicit-def: $vgpr8
	s_and_saveexec_b64 s[8:9], s[0:1]
	s_xor_b64 s[0:1], exec, s[8:9]
; %bb.212:                              ;   in Loop: Header=BB304_137 Depth=1
	v_bfe_u32 v8, v36, 16, 1
	v_add3_u32 v8, v36, v8, s15
                                        ; implicit-def: $vgpr36
; %bb.213:                              ;   in Loop: Header=BB304_137 Depth=1
	s_andn2_saveexec_b64 s[8:9], s[0:1]
; %bb.214:                              ;   in Loop: Header=BB304_137 Depth=1
	v_or_b32_e32 v8, 0x10000, v36
	v_cmp_eq_u32_sdwa s[0:1], v36, v11 src0_sel:WORD_0 src1_sel:DWORD
	s_nop 1
	v_cndmask_b32_e64 v8, v8, v36, s[0:1]
; %bb.215:                              ;   in Loop: Header=BB304_137 Depth=1
	s_or_b64 exec, exec, s[8:9]
	v_and_b32_e32 v35, 0xffff0000, v35
	v_lshlrev_b32_e32 v9, 16, v9
	v_mul_f32_e32 v36, v35, v9
	v_and_b32_e32 v9, 0x7f800000, v36
	v_cmp_ne_u32_e64 s[0:1], s14, v9
                                        ; implicit-def: $vgpr9
	s_and_saveexec_b64 s[8:9], s[0:1]
	s_xor_b64 s[0:1], exec, s[8:9]
; %bb.216:                              ;   in Loop: Header=BB304_137 Depth=1
	v_bfe_u32 v9, v36, 16, 1
	v_add3_u32 v9, v36, v9, s15
                                        ; implicit-def: $vgpr36
; %bb.217:                              ;   in Loop: Header=BB304_137 Depth=1
	s_andn2_saveexec_b64 s[8:9], s[0:1]
; %bb.218:                              ;   in Loop: Header=BB304_137 Depth=1
	v_or_b32_e32 v9, 0x10000, v36
	v_cmp_eq_u32_sdwa s[0:1], v36, v11 src0_sel:WORD_0 src1_sel:DWORD
	s_nop 1
	v_cndmask_b32_e64 v9, v9, v36, s[0:1]
; %bb.219:                              ;   in Loop: Header=BB304_137 Depth=1
	s_or_b64 exec, exec, s[8:9]
	v_and_b32_e32 v36, 0xffff0000, v21
	v_lshlrev_b32_e32 v21, 16, v37
	v_mul_f32_e32 v37, v36, v21
	v_and_b32_e32 v21, 0x7f800000, v37
	v_cmp_ne_u32_e64 s[0:1], s14, v21
                                        ; implicit-def: $vgpr21
	s_and_saveexec_b64 s[8:9], s[0:1]
	s_xor_b64 s[0:1], exec, s[8:9]
; %bb.220:                              ;   in Loop: Header=BB304_137 Depth=1
	v_bfe_u32 v21, v37, 16, 1
	v_add3_u32 v21, v37, v21, s15
                                        ; implicit-def: $vgpr37
; %bb.221:                              ;   in Loop: Header=BB304_137 Depth=1
	s_andn2_saveexec_b64 s[8:9], s[0:1]
; %bb.222:                              ;   in Loop: Header=BB304_137 Depth=1
	v_or_b32_e32 v21, 0x10000, v37
	v_cmp_eq_u32_sdwa s[0:1], v37, v11 src0_sel:WORD_0 src1_sel:DWORD
	s_nop 1
	v_cndmask_b32_e64 v21, v21, v37, s[0:1]
; %bb.223:                              ;   in Loop: Header=BB304_137 Depth=1
	s_or_b64 exec, exec, s[8:9]
	v_and_b32_e32 v37, 0xffff0000, v22
	v_lshlrev_b32_e32 v22, 16, v38
	v_mul_f32_e32 v38, v37, v22
	v_and_b32_e32 v22, 0x7f800000, v38
	v_cmp_ne_u32_e64 s[0:1], s14, v22
                                        ; implicit-def: $vgpr22
	s_and_saveexec_b64 s[8:9], s[0:1]
	s_xor_b64 s[0:1], exec, s[8:9]
; %bb.224:                              ;   in Loop: Header=BB304_137 Depth=1
	v_bfe_u32 v22, v38, 16, 1
	v_add3_u32 v22, v38, v22, s15
                                        ; implicit-def: $vgpr38
; %bb.225:                              ;   in Loop: Header=BB304_137 Depth=1
	s_andn2_saveexec_b64 s[8:9], s[0:1]
; %bb.226:                              ;   in Loop: Header=BB304_137 Depth=1
	v_or_b32_e32 v22, 0x10000, v38
	v_cmp_eq_u32_sdwa s[0:1], v38, v11 src0_sel:WORD_0 src1_sel:DWORD
	s_nop 1
	v_cndmask_b32_e64 v22, v22, v38, s[0:1]
; %bb.227:                              ;   in Loop: Header=BB304_137 Depth=1
	s_or_b64 exec, exec, s[8:9]
	v_and_b32_e32 v38, 0xffff0000, v23
	v_lshlrev_b32_e32 v5, 16, v5
	v_mul_f32_e32 v5, v38, v5
	v_and_b32_e32 v23, 0x7f800000, v5
	v_cmp_ne_u32_e64 s[0:1], s14, v23
                                        ; implicit-def: $vgpr23
	s_and_saveexec_b64 s[8:9], s[0:1]
	s_xor_b64 s[0:1], exec, s[8:9]
; %bb.228:                              ;   in Loop: Header=BB304_137 Depth=1
	v_bfe_u32 v23, v5, 16, 1
	v_add3_u32 v23, v5, v23, s15
                                        ; implicit-def: $vgpr5
; %bb.229:                              ;   in Loop: Header=BB304_137 Depth=1
	s_andn2_saveexec_b64 s[8:9], s[0:1]
; %bb.230:                              ;   in Loop: Header=BB304_137 Depth=1
	v_or_b32_e32 v23, 0x10000, v5
	v_cmp_eq_u32_sdwa s[0:1], v5, v11 src0_sel:WORD_0 src1_sel:DWORD
	s_nop 1
	v_cndmask_b32_e64 v23, v23, v5, s[0:1]
; %bb.231:                              ;   in Loop: Header=BB304_137 Depth=1
	s_or_b64 exec, exec, s[8:9]
	v_and_b32_e32 v39, 0xffff0000, v31
	v_lshlrev_b32_e32 v4, 16, v4
	v_mul_f32_e32 v4, v39, v4
	v_and_b32_e32 v5, 0x7f800000, v4
	v_cmp_ne_u32_e64 s[0:1], s14, v5
                                        ; implicit-def: $vgpr31
	s_and_saveexec_b64 s[8:9], s[0:1]
	s_xor_b64 s[0:1], exec, s[8:9]
; %bb.232:                              ;   in Loop: Header=BB304_137 Depth=1
	v_bfe_u32 v5, v4, 16, 1
	v_add3_u32 v31, v4, v5, s15
                                        ; implicit-def: $vgpr4
; %bb.233:                              ;   in Loop: Header=BB304_137 Depth=1
	s_andn2_saveexec_b64 s[8:9], s[0:1]
; %bb.234:                              ;   in Loop: Header=BB304_137 Depth=1
	v_or_b32_e32 v5, 0x10000, v4
	v_cmp_eq_u32_sdwa s[0:1], v4, v11 src0_sel:WORD_0 src1_sel:DWORD
	s_nop 1
	v_cndmask_b32_e64 v31, v5, v4, s[0:1]
; %bb.235:                              ;   in Loop: Header=BB304_137 Depth=1
	s_or_b64 exec, exec, s[8:9]
	global_load_dwordx2 v[4:5], v[2:3], off offset:512
	s_waitcnt vmcnt(0)
	v_and_b32_e32 v40, 0xff, v4
	v_cvt_f32_fp8_sdwa v40, v40 src0_sel:BYTE_0
	s_nop 0
	v_mul_f32_e32 v41, s10, v40
	v_and_b32_e32 v40, 0x7f800000, v41
	v_cmp_ne_u32_e64 s[0:1], s14, v40
                                        ; implicit-def: $vgpr40
	s_and_saveexec_b64 s[8:9], s[0:1]
	s_xor_b64 s[0:1], exec, s[8:9]
; %bb.236:                              ;   in Loop: Header=BB304_137 Depth=1
	v_bfe_u32 v40, v41, 16, 1
	v_add3_u32 v40, v41, v40, s15
                                        ; implicit-def: $vgpr41
; %bb.237:                              ;   in Loop: Header=BB304_137 Depth=1
	s_andn2_saveexec_b64 s[8:9], s[0:1]
; %bb.238:                              ;   in Loop: Header=BB304_137 Depth=1
	v_or_b32_e32 v40, 0x10000, v41
	v_cmp_eq_u32_sdwa s[0:1], v41, v11 src0_sel:WORD_0 src1_sel:DWORD
	s_nop 1
	v_cndmask_b32_e64 v40, v40, v41, s[0:1]
; %bb.239:                              ;   in Loop: Header=BB304_137 Depth=1
	s_or_b64 exec, exec, s[8:9]
	v_bfe_u32 v41, v4, 8, 8
	v_cvt_f32_fp8_sdwa v41, v41 src0_sel:BYTE_0
	s_nop 0
	v_mul_f32_e32 v42, s10, v41
	v_and_b32_e32 v41, 0x7f800000, v42
	v_cmp_ne_u32_e64 s[0:1], s14, v41
                                        ; implicit-def: $vgpr41
	s_and_saveexec_b64 s[8:9], s[0:1]
	s_xor_b64 s[0:1], exec, s[8:9]
; %bb.240:                              ;   in Loop: Header=BB304_137 Depth=1
	v_bfe_u32 v41, v42, 16, 1
	v_add3_u32 v41, v42, v41, s15
                                        ; implicit-def: $vgpr42
; %bb.241:                              ;   in Loop: Header=BB304_137 Depth=1
	s_andn2_saveexec_b64 s[8:9], s[0:1]
; %bb.242:                              ;   in Loop: Header=BB304_137 Depth=1
	v_or_b32_e32 v41, 0x10000, v42
	v_cmp_eq_u32_sdwa s[0:1], v42, v11 src0_sel:WORD_0 src1_sel:DWORD
	s_nop 1
	v_cndmask_b32_e64 v41, v41, v42, s[0:1]
; %bb.243:                              ;   in Loop: Header=BB304_137 Depth=1
	s_or_b64 exec, exec, s[8:9]
	v_bfe_u32 v42, v4, 16, 8
	v_cvt_f32_fp8_sdwa v42, v42 src0_sel:BYTE_0
	s_nop 0
	v_mul_f32_e32 v43, s10, v42
	v_and_b32_e32 v42, 0x7f800000, v43
	v_cmp_ne_u32_e64 s[0:1], s14, v42
                                        ; implicit-def: $vgpr42
	s_and_saveexec_b64 s[8:9], s[0:1]
	s_xor_b64 s[0:1], exec, s[8:9]
; %bb.244:                              ;   in Loop: Header=BB304_137 Depth=1
	v_bfe_u32 v42, v43, 16, 1
	v_add3_u32 v42, v43, v42, s15
                                        ; implicit-def: $vgpr43
; %bb.245:                              ;   in Loop: Header=BB304_137 Depth=1
	s_andn2_saveexec_b64 s[8:9], s[0:1]
; %bb.246:                              ;   in Loop: Header=BB304_137 Depth=1
	v_or_b32_e32 v42, 0x10000, v43
	v_cmp_eq_u32_sdwa s[0:1], v43, v11 src0_sel:WORD_0 src1_sel:DWORD
	s_nop 1
	v_cndmask_b32_e64 v42, v42, v43, s[0:1]
; %bb.247:                              ;   in Loop: Header=BB304_137 Depth=1
	s_or_b64 exec, exec, s[8:9]
	v_lshrrev_b32_e32 v4, 24, v4
	v_cvt_f32_fp8_sdwa v4, v4 src0_sel:BYTE_0
	s_nop 0
	v_mul_f32_e32 v43, s10, v4
	v_and_b32_e32 v4, 0x7f800000, v43
	v_cmp_ne_u32_e64 s[0:1], s14, v4
                                        ; implicit-def: $vgpr4
	s_and_saveexec_b64 s[8:9], s[0:1]
	s_xor_b64 s[0:1], exec, s[8:9]
; %bb.248:                              ;   in Loop: Header=BB304_137 Depth=1
	v_bfe_u32 v4, v43, 16, 1
	v_add3_u32 v4, v43, v4, s15
                                        ; implicit-def: $vgpr43
; %bb.249:                              ;   in Loop: Header=BB304_137 Depth=1
	s_andn2_saveexec_b64 s[8:9], s[0:1]
; %bb.250:                              ;   in Loop: Header=BB304_137 Depth=1
	v_or_b32_e32 v4, 0x10000, v43
	v_cmp_eq_u32_sdwa s[0:1], v43, v11 src0_sel:WORD_0 src1_sel:DWORD
	s_nop 1
	v_cndmask_b32_e64 v4, v4, v43, s[0:1]
; %bb.251:                              ;   in Loop: Header=BB304_137 Depth=1
	s_or_b64 exec, exec, s[8:9]
	v_and_b32_e32 v43, 0xff, v5
	v_cvt_f32_fp8_sdwa v43, v43 src0_sel:BYTE_0
	s_nop 0
	v_mul_f32_e32 v43, s10, v43
	v_and_b32_e32 v44, 0x7f800000, v43
	v_cmp_ne_u32_e64 s[0:1], s14, v44
                                        ; implicit-def: $vgpr44
	s_and_saveexec_b64 s[8:9], s[0:1]
	s_xor_b64 s[0:1], exec, s[8:9]
; %bb.252:                              ;   in Loop: Header=BB304_137 Depth=1
	v_bfe_u32 v44, v43, 16, 1
	v_add3_u32 v44, v43, v44, s15
                                        ; implicit-def: $vgpr43
; %bb.253:                              ;   in Loop: Header=BB304_137 Depth=1
	s_andn2_saveexec_b64 s[8:9], s[0:1]
; %bb.254:                              ;   in Loop: Header=BB304_137 Depth=1
	v_or_b32_e32 v44, 0x10000, v43
	v_cmp_eq_u32_sdwa s[0:1], v43, v11 src0_sel:WORD_0 src1_sel:DWORD
	s_nop 1
	v_cndmask_b32_e64 v44, v44, v43, s[0:1]
; %bb.255:                              ;   in Loop: Header=BB304_137 Depth=1
	s_or_b64 exec, exec, s[8:9]
	v_bfe_u32 v43, v5, 8, 8
	v_cvt_f32_fp8_sdwa v43, v43 src0_sel:BYTE_0
	s_nop 0
	v_mul_f32_e32 v45, s10, v43
	v_and_b32_e32 v43, 0x7f800000, v45
	v_cmp_ne_u32_e64 s[0:1], s14, v43
                                        ; implicit-def: $vgpr43
	s_and_saveexec_b64 s[8:9], s[0:1]
	s_xor_b64 s[0:1], exec, s[8:9]
; %bb.256:                              ;   in Loop: Header=BB304_137 Depth=1
	v_bfe_u32 v43, v45, 16, 1
	v_add3_u32 v43, v45, v43, s15
                                        ; implicit-def: $vgpr45
; %bb.257:                              ;   in Loop: Header=BB304_137 Depth=1
	s_andn2_saveexec_b64 s[8:9], s[0:1]
; %bb.258:                              ;   in Loop: Header=BB304_137 Depth=1
	v_or_b32_e32 v43, 0x10000, v45
	v_cmp_eq_u32_sdwa s[0:1], v45, v11 src0_sel:WORD_0 src1_sel:DWORD
	s_nop 1
	v_cndmask_b32_e64 v43, v43, v45, s[0:1]
; %bb.259:                              ;   in Loop: Header=BB304_137 Depth=1
	s_or_b64 exec, exec, s[8:9]
	v_bfe_u32 v45, v5, 16, 8
	v_cvt_f32_fp8_sdwa v45, v45 src0_sel:BYTE_0
	s_nop 0
	v_mul_f32_e32 v46, s10, v45
	v_and_b32_e32 v45, 0x7f800000, v46
	v_cmp_ne_u32_e64 s[0:1], s14, v45
                                        ; implicit-def: $vgpr45
	s_and_saveexec_b64 s[8:9], s[0:1]
	s_xor_b64 s[0:1], exec, s[8:9]
; %bb.260:                              ;   in Loop: Header=BB304_137 Depth=1
	v_bfe_u32 v45, v46, 16, 1
	v_add3_u32 v45, v46, v45, s15
                                        ; implicit-def: $vgpr46
; %bb.261:                              ;   in Loop: Header=BB304_137 Depth=1
	s_andn2_saveexec_b64 s[8:9], s[0:1]
; %bb.262:                              ;   in Loop: Header=BB304_137 Depth=1
	v_or_b32_e32 v45, 0x10000, v46
	v_cmp_eq_u32_sdwa s[0:1], v46, v11 src0_sel:WORD_0 src1_sel:DWORD
	s_nop 1
	v_cndmask_b32_e64 v45, v45, v46, s[0:1]
; %bb.263:                              ;   in Loop: Header=BB304_137 Depth=1
	s_or_b64 exec, exec, s[8:9]
	v_lshrrev_b32_e32 v5, 24, v5
	v_cvt_f32_fp8_sdwa v5, v5 src0_sel:BYTE_0
                                        ; implicit-def: $vgpr48
	s_nop 0
	v_mul_f32_e32 v5, s10, v5
	v_and_b32_e32 v46, 0x7f800000, v5
	v_cmp_ne_u32_e64 s[0:1], s14, v46
	s_and_saveexec_b64 s[8:9], s[0:1]
	s_xor_b64 s[0:1], exec, s[8:9]
; %bb.264:                              ;   in Loop: Header=BB304_137 Depth=1
	v_bfe_u32 v46, v5, 16, 1
	v_add3_u32 v48, v5, v46, s15
                                        ; implicit-def: $vgpr5
; %bb.265:                              ;   in Loop: Header=BB304_137 Depth=1
	s_andn2_saveexec_b64 s[8:9], s[0:1]
; %bb.266:                              ;   in Loop: Header=BB304_137 Depth=1
	v_or_b32_e32 v46, 0x10000, v5
	v_cmp_eq_u32_sdwa s[0:1], v5, v11 src0_sel:WORD_0 src1_sel:DWORD
	s_nop 1
	v_cndmask_b32_e64 v48, v46, v5, s[0:1]
; %bb.267:                              ;   in Loop: Header=BB304_137 Depth=1
	s_or_b64 exec, exec, s[8:9]
	v_lshrrev_b32_e32 v43, 16, v43
	v_lshrrev_b32_e32 v46, 16, v44
	;; [unrolled: 1-line block ×8, first 2 shown]
	s_and_saveexec_b64 s[8:9], vcc
	s_cbranch_execz .LBB304_269
; %bb.268:                              ;   in Loop: Header=BB304_137 Depth=1
	v_cmp_gt_i32_e64 s[0:1], s30, v24
	s_nop 1
	v_cndmask_b32_e64 v4, 0, v4, s[0:1]
	v_cmp_gt_i32_e64 s[0:1], s30, v30
	s_nop 1
	v_cndmask_b32_e64 v5, 0, v5, s[0:1]
	;; [unrolled: 3-line block ×8, first 2 shown]
.LBB304_269:                            ;   in Loop: Header=BB304_137 Depth=1
	s_or_b64 exec, exec, s[8:9]
	v_lshlrev_b32_e32 v4, 16, v4
	v_mul_f32_e32 v40, v32, v4
	v_and_b32_e32 v4, 0x7f800000, v40
	v_cmp_ne_u32_e64 s[0:1], s14, v4
                                        ; implicit-def: $vgpr4
	s_and_saveexec_b64 s[8:9], s[0:1]
	s_xor_b64 s[0:1], exec, s[8:9]
; %bb.270:                              ;   in Loop: Header=BB304_137 Depth=1
	v_bfe_u32 v4, v40, 16, 1
	v_add3_u32 v4, v40, v4, s15
                                        ; implicit-def: $vgpr40
; %bb.271:                              ;   in Loop: Header=BB304_137 Depth=1
	s_andn2_saveexec_b64 s[8:9], s[0:1]
; %bb.272:                              ;   in Loop: Header=BB304_137 Depth=1
	v_or_b32_e32 v4, 0x10000, v40
	v_cmp_eq_u32_sdwa s[0:1], v40, v11 src0_sel:WORD_0 src1_sel:DWORD
	s_nop 1
	v_cndmask_b32_e64 v4, v4, v40, s[0:1]
; %bb.273:                              ;   in Loop: Header=BB304_137 Depth=1
	s_or_b64 exec, exec, s[8:9]
	v_lshlrev_b32_e32 v5, 16, v5
	v_mul_f32_e32 v40, v33, v5
	v_and_b32_e32 v5, 0x7f800000, v40
	v_cmp_ne_u32_e64 s[0:1], s14, v5
                                        ; implicit-def: $vgpr5
	s_and_saveexec_b64 s[8:9], s[0:1]
	s_xor_b64 s[0:1], exec, s[8:9]
; %bb.274:                              ;   in Loop: Header=BB304_137 Depth=1
	v_bfe_u32 v5, v40, 16, 1
	v_add3_u32 v5, v40, v5, s15
                                        ; implicit-def: $vgpr40
; %bb.275:                              ;   in Loop: Header=BB304_137 Depth=1
	s_andn2_saveexec_b64 s[8:9], s[0:1]
; %bb.276:                              ;   in Loop: Header=BB304_137 Depth=1
	v_or_b32_e32 v5, 0x10000, v40
	v_cmp_eq_u32_sdwa s[0:1], v40, v11 src0_sel:WORD_0 src1_sel:DWORD
	s_nop 1
	v_cndmask_b32_e64 v5, v5, v40, s[0:1]
; %bb.277:                              ;   in Loop: Header=BB304_137 Depth=1
	s_or_b64 exec, exec, s[8:9]
	v_lshlrev_b32_e32 v40, 16, v42
	v_mul_f32_e32 v41, v34, v40
	v_and_b32_e32 v40, 0x7f800000, v41
	v_cmp_ne_u32_e64 s[0:1], s14, v40
                                        ; implicit-def: $vgpr40
	s_and_saveexec_b64 s[8:9], s[0:1]
	s_xor_b64 s[0:1], exec, s[8:9]
; %bb.278:                              ;   in Loop: Header=BB304_137 Depth=1
	v_bfe_u32 v40, v41, 16, 1
	v_add3_u32 v40, v41, v40, s15
                                        ; implicit-def: $vgpr41
; %bb.279:                              ;   in Loop: Header=BB304_137 Depth=1
	s_andn2_saveexec_b64 s[8:9], s[0:1]
; %bb.280:                              ;   in Loop: Header=BB304_137 Depth=1
	v_or_b32_e32 v40, 0x10000, v41
	v_cmp_eq_u32_sdwa s[0:1], v41, v11 src0_sel:WORD_0 src1_sel:DWORD
	s_nop 1
	v_cndmask_b32_e64 v40, v40, v41, s[0:1]
; %bb.281:                              ;   in Loop: Header=BB304_137 Depth=1
	s_or_b64 exec, exec, s[8:9]
	v_lshlrev_b32_e32 v41, 16, v47
	v_mul_f32_e32 v42, v35, v41
	v_and_b32_e32 v41, 0x7f800000, v42
	v_cmp_ne_u32_e64 s[0:1], s14, v41
                                        ; implicit-def: $vgpr41
	s_and_saveexec_b64 s[8:9], s[0:1]
	s_xor_b64 s[0:1], exec, s[8:9]
; %bb.282:                              ;   in Loop: Header=BB304_137 Depth=1
	v_bfe_u32 v41, v42, 16, 1
	v_add3_u32 v41, v42, v41, s15
                                        ; implicit-def: $vgpr42
; %bb.283:                              ;   in Loop: Header=BB304_137 Depth=1
	s_andn2_saveexec_b64 s[8:9], s[0:1]
; %bb.284:                              ;   in Loop: Header=BB304_137 Depth=1
	v_or_b32_e32 v41, 0x10000, v42
	v_cmp_eq_u32_sdwa s[0:1], v42, v11 src0_sel:WORD_0 src1_sel:DWORD
	s_nop 1
	v_cndmask_b32_e64 v41, v41, v42, s[0:1]
; %bb.285:                              ;   in Loop: Header=BB304_137 Depth=1
	s_or_b64 exec, exec, s[8:9]
	v_lshlrev_b32_e32 v42, 16, v46
	v_mul_f32_e32 v46, v36, v42
	v_and_b32_e32 v42, 0x7f800000, v46
	v_cmp_ne_u32_e64 s[0:1], s14, v42
                                        ; implicit-def: $vgpr42
	s_and_saveexec_b64 s[8:9], s[0:1]
	s_xor_b64 s[0:1], exec, s[8:9]
; %bb.286:                              ;   in Loop: Header=BB304_137 Depth=1
	v_bfe_u32 v42, v46, 16, 1
	v_add3_u32 v42, v46, v42, s15
                                        ; implicit-def: $vgpr46
; %bb.287:                              ;   in Loop: Header=BB304_137 Depth=1
	s_andn2_saveexec_b64 s[8:9], s[0:1]
; %bb.288:                              ;   in Loop: Header=BB304_137 Depth=1
	v_or_b32_e32 v42, 0x10000, v46
	v_cmp_eq_u32_sdwa s[0:1], v46, v11 src0_sel:WORD_0 src1_sel:DWORD
	s_nop 1
	v_cndmask_b32_e64 v42, v42, v46, s[0:1]
; %bb.289:                              ;   in Loop: Header=BB304_137 Depth=1
	s_or_b64 exec, exec, s[8:9]
	v_lshlrev_b32_e32 v43, 16, v43
	v_mul_f32_e32 v46, v37, v43
	v_and_b32_e32 v43, 0x7f800000, v46
	v_cmp_ne_u32_e64 s[0:1], s14, v43
                                        ; implicit-def: $vgpr43
	s_and_saveexec_b64 s[8:9], s[0:1]
	s_xor_b64 s[0:1], exec, s[8:9]
; %bb.290:                              ;   in Loop: Header=BB304_137 Depth=1
	v_bfe_u32 v43, v46, 16, 1
	v_add3_u32 v43, v46, v43, s15
                                        ; implicit-def: $vgpr46
; %bb.291:                              ;   in Loop: Header=BB304_137 Depth=1
	s_andn2_saveexec_b64 s[8:9], s[0:1]
; %bb.292:                              ;   in Loop: Header=BB304_137 Depth=1
	v_or_b32_e32 v43, 0x10000, v46
	v_cmp_eq_u32_sdwa s[0:1], v46, v11 src0_sel:WORD_0 src1_sel:DWORD
	s_nop 1
	v_cndmask_b32_e64 v43, v43, v46, s[0:1]
; %bb.293:                              ;   in Loop: Header=BB304_137 Depth=1
	s_or_b64 exec, exec, s[8:9]
	v_lshlrev_b32_e32 v44, 16, v44
	v_mul_f32_e32 v46, v38, v44
	v_and_b32_e32 v44, 0x7f800000, v46
	v_cmp_ne_u32_e64 s[0:1], s14, v44
                                        ; implicit-def: $vgpr44
	s_and_saveexec_b64 s[8:9], s[0:1]
	s_xor_b64 s[0:1], exec, s[8:9]
; %bb.294:                              ;   in Loop: Header=BB304_137 Depth=1
	v_bfe_u32 v44, v46, 16, 1
	v_add3_u32 v44, v46, v44, s15
                                        ; implicit-def: $vgpr46
; %bb.295:                              ;   in Loop: Header=BB304_137 Depth=1
	s_andn2_saveexec_b64 s[8:9], s[0:1]
; %bb.296:                              ;   in Loop: Header=BB304_137 Depth=1
	v_or_b32_e32 v44, 0x10000, v46
	v_cmp_eq_u32_sdwa s[0:1], v46, v11 src0_sel:WORD_0 src1_sel:DWORD
	s_nop 1
	v_cndmask_b32_e64 v44, v44, v46, s[0:1]
; %bb.297:                              ;   in Loop: Header=BB304_137 Depth=1
	s_or_b64 exec, exec, s[8:9]
	v_lshlrev_b32_e32 v45, 16, v45
	v_mul_f32_e32 v46, v39, v45
	v_and_b32_e32 v45, 0x7f800000, v46
	v_cmp_ne_u32_e64 s[0:1], s14, v45
                                        ; implicit-def: $vgpr45
	s_and_saveexec_b64 s[8:9], s[0:1]
	s_xor_b64 s[0:1], exec, s[8:9]
; %bb.298:                              ;   in Loop: Header=BB304_137 Depth=1
	v_bfe_u32 v45, v46, 16, 1
	v_add3_u32 v45, v46, v45, s15
                                        ; implicit-def: $vgpr46
; %bb.299:                              ;   in Loop: Header=BB304_137 Depth=1
	s_andn2_saveexec_b64 s[8:9], s[0:1]
; %bb.300:                              ;   in Loop: Header=BB304_137 Depth=1
	v_or_b32_e32 v45, 0x10000, v46
	v_cmp_eq_u32_sdwa s[0:1], v46, v11 src0_sel:WORD_0 src1_sel:DWORD
	s_nop 1
	v_cndmask_b32_e64 v45, v45, v46, s[0:1]
; %bb.301:                              ;   in Loop: Header=BB304_137 Depth=1
	s_or_b64 exec, exec, s[8:9]
	global_load_dwordx2 v[2:3], v[2:3], off offset:1024
	s_waitcnt vmcnt(0)
	v_and_b32_e32 v46, 0xff, v2
	v_cvt_f32_fp8_sdwa v46, v46 src0_sel:BYTE_0
	s_nop 0
	v_mul_f32_e32 v47, s10, v46
	v_and_b32_e32 v46, 0x7f800000, v47
	v_cmp_ne_u32_e64 s[0:1], s14, v46
                                        ; implicit-def: $vgpr46
	s_and_saveexec_b64 s[8:9], s[0:1]
	s_xor_b64 s[0:1], exec, s[8:9]
; %bb.302:                              ;   in Loop: Header=BB304_137 Depth=1
	v_bfe_u32 v46, v47, 16, 1
	v_add3_u32 v46, v47, v46, s15
                                        ; implicit-def: $vgpr47
; %bb.303:                              ;   in Loop: Header=BB304_137 Depth=1
	s_andn2_saveexec_b64 s[8:9], s[0:1]
; %bb.304:                              ;   in Loop: Header=BB304_137 Depth=1
	v_or_b32_e32 v46, 0x10000, v47
	v_cmp_eq_u32_sdwa s[0:1], v47, v11 src0_sel:WORD_0 src1_sel:DWORD
	s_nop 1
	v_cndmask_b32_e64 v46, v46, v47, s[0:1]
; %bb.305:                              ;   in Loop: Header=BB304_137 Depth=1
	s_or_b64 exec, exec, s[8:9]
	v_bfe_u32 v47, v2, 8, 8
	v_cvt_f32_fp8_sdwa v47, v47 src0_sel:BYTE_0
	s_nop 0
	v_mul_f32_e32 v48, s10, v47
	v_and_b32_e32 v47, 0x7f800000, v48
	v_cmp_ne_u32_e64 s[0:1], s14, v47
                                        ; implicit-def: $vgpr47
	s_and_saveexec_b64 s[8:9], s[0:1]
	s_xor_b64 s[0:1], exec, s[8:9]
; %bb.306:                              ;   in Loop: Header=BB304_137 Depth=1
	v_bfe_u32 v47, v48, 16, 1
	v_add3_u32 v47, v48, v47, s15
                                        ; implicit-def: $vgpr48
; %bb.307:                              ;   in Loop: Header=BB304_137 Depth=1
	s_andn2_saveexec_b64 s[8:9], s[0:1]
; %bb.308:                              ;   in Loop: Header=BB304_137 Depth=1
	v_or_b32_e32 v47, 0x10000, v48
	v_cmp_eq_u32_sdwa s[0:1], v48, v11 src0_sel:WORD_0 src1_sel:DWORD
	s_nop 1
	v_cndmask_b32_e64 v47, v47, v48, s[0:1]
; %bb.309:                              ;   in Loop: Header=BB304_137 Depth=1
	s_or_b64 exec, exec, s[8:9]
	v_bfe_u32 v48, v2, 16, 8
	v_cvt_f32_fp8_sdwa v48, v48 src0_sel:BYTE_0
	s_nop 0
	v_mul_f32_e32 v48, s10, v48
	v_and_b32_e32 v49, 0x7f800000, v48
	v_cmp_ne_u32_e64 s[0:1], s14, v49
                                        ; implicit-def: $vgpr49
	s_and_saveexec_b64 s[8:9], s[0:1]
	s_xor_b64 s[0:1], exec, s[8:9]
; %bb.310:                              ;   in Loop: Header=BB304_137 Depth=1
	v_bfe_u32 v49, v48, 16, 1
	v_add3_u32 v49, v48, v49, s15
                                        ; implicit-def: $vgpr48
; %bb.311:                              ;   in Loop: Header=BB304_137 Depth=1
	s_andn2_saveexec_b64 s[8:9], s[0:1]
; %bb.312:                              ;   in Loop: Header=BB304_137 Depth=1
	v_or_b32_e32 v49, 0x10000, v48
	v_cmp_eq_u32_sdwa s[0:1], v48, v11 src0_sel:WORD_0 src1_sel:DWORD
	s_nop 1
	v_cndmask_b32_e64 v49, v49, v48, s[0:1]
; %bb.313:                              ;   in Loop: Header=BB304_137 Depth=1
	s_or_b64 exec, exec, s[8:9]
	v_lshrrev_b32_e32 v2, 24, v2
	v_cvt_f32_fp8_sdwa v2, v2 src0_sel:BYTE_0
	s_nop 0
	v_mul_f32_e32 v48, s10, v2
	v_and_b32_e32 v2, 0x7f800000, v48
	v_cmp_ne_u32_e64 s[0:1], s14, v2
                                        ; implicit-def: $vgpr2
	s_and_saveexec_b64 s[8:9], s[0:1]
	s_xor_b64 s[0:1], exec, s[8:9]
; %bb.314:                              ;   in Loop: Header=BB304_137 Depth=1
	v_bfe_u32 v2, v48, 16, 1
	v_add3_u32 v2, v48, v2, s15
                                        ; implicit-def: $vgpr48
; %bb.315:                              ;   in Loop: Header=BB304_137 Depth=1
	s_andn2_saveexec_b64 s[8:9], s[0:1]
; %bb.316:                              ;   in Loop: Header=BB304_137 Depth=1
	v_or_b32_e32 v2, 0x10000, v48
	v_cmp_eq_u32_sdwa s[0:1], v48, v11 src0_sel:WORD_0 src1_sel:DWORD
	s_nop 1
	v_cndmask_b32_e64 v2, v2, v48, s[0:1]
; %bb.317:                              ;   in Loop: Header=BB304_137 Depth=1
	s_or_b64 exec, exec, s[8:9]
	v_and_b32_e32 v48, 0xff, v3
	v_cvt_f32_fp8_sdwa v48, v48 src0_sel:BYTE_0
	s_nop 0
	v_mul_f32_e32 v48, s10, v48
	v_and_b32_e32 v50, 0x7f800000, v48
	v_cmp_ne_u32_e64 s[0:1], s14, v50
                                        ; implicit-def: $vgpr50
	s_and_saveexec_b64 s[8:9], s[0:1]
	s_xor_b64 s[0:1], exec, s[8:9]
; %bb.318:                              ;   in Loop: Header=BB304_137 Depth=1
	v_bfe_u32 v50, v48, 16, 1
	v_add3_u32 v50, v48, v50, s15
                                        ; implicit-def: $vgpr48
; %bb.319:                              ;   in Loop: Header=BB304_137 Depth=1
	s_andn2_saveexec_b64 s[8:9], s[0:1]
; %bb.320:                              ;   in Loop: Header=BB304_137 Depth=1
	v_or_b32_e32 v50, 0x10000, v48
	v_cmp_eq_u32_sdwa s[0:1], v48, v11 src0_sel:WORD_0 src1_sel:DWORD
	s_nop 1
	v_cndmask_b32_e64 v50, v50, v48, s[0:1]
; %bb.321:                              ;   in Loop: Header=BB304_137 Depth=1
	s_or_b64 exec, exec, s[8:9]
	v_bfe_u32 v48, v3, 8, 8
	v_cvt_f32_fp8_sdwa v48, v48 src0_sel:BYTE_0
	s_nop 0
	v_mul_f32_e32 v51, s10, v48
	v_and_b32_e32 v48, 0x7f800000, v51
	v_cmp_ne_u32_e64 s[0:1], s14, v48
                                        ; implicit-def: $vgpr48
	s_and_saveexec_b64 s[8:9], s[0:1]
	s_xor_b64 s[0:1], exec, s[8:9]
; %bb.322:                              ;   in Loop: Header=BB304_137 Depth=1
	v_bfe_u32 v48, v51, 16, 1
	v_add3_u32 v48, v51, v48, s15
                                        ; implicit-def: $vgpr51
; %bb.323:                              ;   in Loop: Header=BB304_137 Depth=1
	s_andn2_saveexec_b64 s[8:9], s[0:1]
; %bb.324:                              ;   in Loop: Header=BB304_137 Depth=1
	v_or_b32_e32 v48, 0x10000, v51
	v_cmp_eq_u32_sdwa s[0:1], v51, v11 src0_sel:WORD_0 src1_sel:DWORD
	s_nop 1
	v_cndmask_b32_e64 v48, v48, v51, s[0:1]
; %bb.325:                              ;   in Loop: Header=BB304_137 Depth=1
	s_or_b64 exec, exec, s[8:9]
	v_bfe_u32 v51, v3, 16, 8
	v_cvt_f32_fp8_sdwa v51, v51 src0_sel:BYTE_0
	s_nop 0
	v_mul_f32_e32 v51, s10, v51
	v_and_b32_e32 v52, 0x7f800000, v51
	v_cmp_ne_u32_e64 s[0:1], s14, v52
                                        ; implicit-def: $vgpr52
	s_and_saveexec_b64 s[8:9], s[0:1]
	s_xor_b64 s[0:1], exec, s[8:9]
; %bb.326:                              ;   in Loop: Header=BB304_137 Depth=1
	v_bfe_u32 v52, v51, 16, 1
	v_add3_u32 v52, v51, v52, s15
                                        ; implicit-def: $vgpr51
; %bb.327:                              ;   in Loop: Header=BB304_137 Depth=1
	s_andn2_saveexec_b64 s[8:9], s[0:1]
; %bb.328:                              ;   in Loop: Header=BB304_137 Depth=1
	v_or_b32_e32 v52, 0x10000, v51
	v_cmp_eq_u32_sdwa s[0:1], v51, v11 src0_sel:WORD_0 src1_sel:DWORD
	s_nop 1
	v_cndmask_b32_e64 v52, v52, v51, s[0:1]
; %bb.329:                              ;   in Loop: Header=BB304_137 Depth=1
	s_or_b64 exec, exec, s[8:9]
	v_lshrrev_b32_e32 v3, 24, v3
	v_cvt_f32_fp8_sdwa v3, v3 src0_sel:BYTE_0
	s_nop 0
	v_mul_f32_e32 v51, s10, v3
	v_and_b32_e32 v3, 0x7f800000, v51
	v_cmp_ne_u32_e64 s[0:1], s14, v3
                                        ; implicit-def: $vgpr3
	s_and_saveexec_b64 s[8:9], s[0:1]
	s_xor_b64 s[0:1], exec, s[8:9]
; %bb.330:                              ;   in Loop: Header=BB304_137 Depth=1
	v_bfe_u32 v3, v51, 16, 1
	v_add3_u32 v3, v51, v3, s15
                                        ; implicit-def: $vgpr51
; %bb.331:                              ;   in Loop: Header=BB304_137 Depth=1
	s_andn2_saveexec_b64 s[8:9], s[0:1]
; %bb.332:                              ;   in Loop: Header=BB304_137 Depth=1
	v_or_b32_e32 v3, 0x10000, v51
	v_cmp_eq_u32_sdwa s[0:1], v51, v11 src0_sel:WORD_0 src1_sel:DWORD
	s_nop 1
	v_cndmask_b32_e64 v3, v3, v51, s[0:1]
; %bb.333:                              ;   in Loop: Header=BB304_137 Depth=1
	s_or_b64 exec, exec, s[8:9]
	v_lshrrev_b32_e32 v48, 16, v48
	v_lshrrev_b32_e32 v50, 16, v50
	;; [unrolled: 1-line block ×8, first 2 shown]
	s_and_saveexec_b64 s[0:1], vcc
	s_cbranch_execz .LBB304_335
; %bb.334:                              ;   in Loop: Header=BB304_137 Depth=1
	v_cmp_gt_i32_e32 vcc, s30, v24
	s_nop 1
	v_cndmask_b32_e32 v2, 0, v2, vcc
	v_cmp_gt_i32_e32 vcc, s30, v30
	s_nop 1
	v_cndmask_b32_e32 v47, 0, v47, vcc
	;; [unrolled: 3-line block ×8, first 2 shown]
.LBB304_335:                            ;   in Loop: Header=BB304_137 Depth=1
	s_or_b64 exec, exec, s[0:1]
	v_lshlrev_b32_e32 v2, 16, v2
	v_mul_f32_e32 v24, v32, v2
	v_and_b32_e32 v2, 0x7f800000, v24
	v_cmp_ne_u32_e32 vcc, s14, v2
                                        ; implicit-def: $vgpr2
	s_and_saveexec_b64 s[0:1], vcc
	s_xor_b64 s[0:1], exec, s[0:1]
; %bb.336:                              ;   in Loop: Header=BB304_137 Depth=1
	v_bfe_u32 v2, v24, 16, 1
	v_add3_u32 v2, v24, v2, s15
                                        ; implicit-def: $vgpr24
; %bb.337:                              ;   in Loop: Header=BB304_137 Depth=1
	s_andn2_saveexec_b64 s[0:1], s[0:1]
; %bb.338:                              ;   in Loop: Header=BB304_137 Depth=1
	v_or_b32_e32 v2, 0x10000, v24
	v_cmp_eq_u32_sdwa vcc, v24, v11 src0_sel:WORD_0 src1_sel:DWORD
	s_nop 1
	v_cndmask_b32_e32 v2, v2, v24, vcc
; %bb.339:                              ;   in Loop: Header=BB304_137 Depth=1
	s_or_b64 exec, exec, s[0:1]
	v_lshlrev_b32_e32 v24, 16, v47
	v_mul_f32_e32 v25, v33, v24
	v_and_b32_e32 v24, 0x7f800000, v25
	v_cmp_ne_u32_e32 vcc, s14, v24
                                        ; implicit-def: $vgpr24
	s_and_saveexec_b64 s[0:1], vcc
	s_xor_b64 s[0:1], exec, s[0:1]
; %bb.340:                              ;   in Loop: Header=BB304_137 Depth=1
	v_bfe_u32 v24, v25, 16, 1
	v_add3_u32 v24, v25, v24, s15
                                        ; implicit-def: $vgpr25
; %bb.341:                              ;   in Loop: Header=BB304_137 Depth=1
	s_andn2_saveexec_b64 s[0:1], s[0:1]
; %bb.342:                              ;   in Loop: Header=BB304_137 Depth=1
	v_or_b32_e32 v24, 0x10000, v25
	v_cmp_eq_u32_sdwa vcc, v25, v11 src0_sel:WORD_0 src1_sel:DWORD
	s_nop 1
	v_cndmask_b32_e32 v24, v24, v25, vcc
; %bb.343:                              ;   in Loop: Header=BB304_137 Depth=1
	s_or_b64 exec, exec, s[0:1]
	v_lshlrev_b32_e32 v25, 16, v49
	v_mul_f32_e32 v26, v34, v25
	v_and_b32_e32 v25, 0x7f800000, v26
	v_cmp_ne_u32_e32 vcc, s14, v25
                                        ; implicit-def: $vgpr25
	s_and_saveexec_b64 s[0:1], vcc
	s_xor_b64 s[0:1], exec, s[0:1]
; %bb.344:                              ;   in Loop: Header=BB304_137 Depth=1
	v_bfe_u32 v25, v26, 16, 1
	v_add3_u32 v25, v26, v25, s15
                                        ; implicit-def: $vgpr26
; %bb.345:                              ;   in Loop: Header=BB304_137 Depth=1
	s_andn2_saveexec_b64 s[0:1], s[0:1]
; %bb.346:                              ;   in Loop: Header=BB304_137 Depth=1
	v_or_b32_e32 v25, 0x10000, v26
	v_cmp_eq_u32_sdwa vcc, v26, v11 src0_sel:WORD_0 src1_sel:DWORD
	s_nop 1
	v_cndmask_b32_e32 v25, v25, v26, vcc
; %bb.347:                              ;   in Loop: Header=BB304_137 Depth=1
	s_or_b64 exec, exec, s[0:1]
	v_lshlrev_b32_e32 v26, 16, v51
	v_mul_f32_e32 v27, v35, v26
	v_and_b32_e32 v26, 0x7f800000, v27
	v_cmp_ne_u32_e32 vcc, s14, v26
                                        ; implicit-def: $vgpr26
	s_and_saveexec_b64 s[0:1], vcc
	s_xor_b64 s[0:1], exec, s[0:1]
; %bb.348:                              ;   in Loop: Header=BB304_137 Depth=1
	v_bfe_u32 v26, v27, 16, 1
	v_add3_u32 v26, v27, v26, s15
                                        ; implicit-def: $vgpr27
; %bb.349:                              ;   in Loop: Header=BB304_137 Depth=1
	s_andn2_saveexec_b64 s[0:1], s[0:1]
; %bb.350:                              ;   in Loop: Header=BB304_137 Depth=1
	v_or_b32_e32 v26, 0x10000, v27
	v_cmp_eq_u32_sdwa vcc, v27, v11 src0_sel:WORD_0 src1_sel:DWORD
	s_nop 1
	v_cndmask_b32_e32 v26, v26, v27, vcc
; %bb.351:                              ;   in Loop: Header=BB304_137 Depth=1
	s_or_b64 exec, exec, s[0:1]
	v_lshlrev_b32_e32 v27, 16, v50
	v_mul_f32_e32 v28, v36, v27
	v_and_b32_e32 v27, 0x7f800000, v28
	v_cmp_ne_u32_e32 vcc, s14, v27
                                        ; implicit-def: $vgpr27
	s_and_saveexec_b64 s[0:1], vcc
	s_xor_b64 s[0:1], exec, s[0:1]
; %bb.352:                              ;   in Loop: Header=BB304_137 Depth=1
	v_bfe_u32 v27, v28, 16, 1
	v_add3_u32 v27, v28, v27, s15
                                        ; implicit-def: $vgpr28
; %bb.353:                              ;   in Loop: Header=BB304_137 Depth=1
	s_andn2_saveexec_b64 s[0:1], s[0:1]
; %bb.354:                              ;   in Loop: Header=BB304_137 Depth=1
	v_or_b32_e32 v27, 0x10000, v28
	v_cmp_eq_u32_sdwa vcc, v28, v11 src0_sel:WORD_0 src1_sel:DWORD
	s_nop 1
	v_cndmask_b32_e32 v27, v27, v28, vcc
; %bb.355:                              ;   in Loop: Header=BB304_137 Depth=1
	s_or_b64 exec, exec, s[0:1]
	v_lshlrev_b32_e32 v28, 16, v48
	v_mul_f32_e32 v29, v37, v28
	v_and_b32_e32 v28, 0x7f800000, v29
	v_cmp_ne_u32_e32 vcc, s14, v28
                                        ; implicit-def: $vgpr28
	s_and_saveexec_b64 s[0:1], vcc
	s_xor_b64 s[0:1], exec, s[0:1]
; %bb.356:                              ;   in Loop: Header=BB304_137 Depth=1
	v_bfe_u32 v28, v29, 16, 1
	v_add3_u32 v28, v29, v28, s15
                                        ; implicit-def: $vgpr29
; %bb.357:                              ;   in Loop: Header=BB304_137 Depth=1
	s_andn2_saveexec_b64 s[0:1], s[0:1]
; %bb.358:                              ;   in Loop: Header=BB304_137 Depth=1
	v_or_b32_e32 v28, 0x10000, v29
	v_cmp_eq_u32_sdwa vcc, v29, v11 src0_sel:WORD_0 src1_sel:DWORD
	s_nop 1
	v_cndmask_b32_e32 v28, v28, v29, vcc
; %bb.359:                              ;   in Loop: Header=BB304_137 Depth=1
	s_or_b64 exec, exec, s[0:1]
	v_lshlrev_b32_e32 v29, 16, v46
	v_mul_f32_e32 v30, v38, v29
	v_and_b32_e32 v29, 0x7f800000, v30
	v_cmp_ne_u32_e32 vcc, s14, v29
                                        ; implicit-def: $vgpr29
	s_and_saveexec_b64 s[0:1], vcc
	s_xor_b64 s[0:1], exec, s[0:1]
; %bb.360:                              ;   in Loop: Header=BB304_137 Depth=1
	v_bfe_u32 v29, v30, 16, 1
	v_add3_u32 v29, v30, v29, s15
                                        ; implicit-def: $vgpr30
; %bb.361:                              ;   in Loop: Header=BB304_137 Depth=1
	s_andn2_saveexec_b64 s[0:1], s[0:1]
; %bb.362:                              ;   in Loop: Header=BB304_137 Depth=1
	v_or_b32_e32 v29, 0x10000, v30
	v_cmp_eq_u32_sdwa vcc, v30, v11 src0_sel:WORD_0 src1_sel:DWORD
	s_nop 1
	v_cndmask_b32_e32 v29, v29, v30, vcc
; %bb.363:                              ;   in Loop: Header=BB304_137 Depth=1
	s_or_b64 exec, exec, s[0:1]
	v_lshlrev_b32_e32 v3, 16, v3
	v_mul_f32_e32 v30, v39, v3
	v_and_b32_e32 v3, 0x7f800000, v30
	v_cmp_ne_u32_e32 vcc, s14, v3
                                        ; implicit-def: $vgpr3
	s_and_saveexec_b64 s[0:1], vcc
	s_xor_b64 s[0:1], exec, s[0:1]
; %bb.364:                              ;   in Loop: Header=BB304_137 Depth=1
	v_bfe_u32 v3, v30, 16, 1
	v_add3_u32 v3, v30, v3, s15
                                        ; implicit-def: $vgpr30
; %bb.365:                              ;   in Loop: Header=BB304_137 Depth=1
	s_andn2_saveexec_b64 s[0:1], s[0:1]
	s_cbranch_execz .LBB304_136
; %bb.366:                              ;   in Loop: Header=BB304_137 Depth=1
	v_or_b32_e32 v3, 0x10000, v30
	v_cmp_eq_u32_sdwa vcc, v30, v11 src0_sel:WORD_0 src1_sel:DWORD
	s_nop 1
	v_cndmask_b32_e32 v3, v3, v30, vcc
	s_branch .LBB304_136
.LBB304_367:
	s_or_b64 exec, exec, s[6:7]
.LBB304_368:
	s_or_b64 exec, exec, s[2:3]
	v_and_b32_e32 v1, 0x3c0, v0
	v_cmp_eq_u32_e32 vcc, 64, v1
	s_barrier
	s_and_saveexec_b64 s[0:1], vcc
	s_cbranch_execz .LBB304_370
; %bb.369:
	v_mov_b32_e32 v1, 0x190
	v_lshl_add_u32 v2, v18, 2, v1
	v_lshl_add_u32 v1, v0, 2, v1
	ds_write_b32 v2, v12
	ds_write_b32 v1, v13
	ds_write_b32 v2, v10 offset:512
.LBB304_370:
	s_or_b64 exec, exec, s[0:1]
	v_cmp_gt_u32_e32 vcc, 64, v0
	s_waitcnt lgkmcnt(0)
	s_barrier
	s_and_saveexec_b64 s[0:1], vcc
	s_cbranch_execz .LBB304_372
; %bb.371:
	v_mov_b32_e32 v1, 0x190
	v_lshl_add_u32 v1, v0, 2, v1
	ds_read2st64_b32 v[2:3], v1 offset1:1
	ds_read_b32 v1, v1 offset:512
	s_waitcnt lgkmcnt(1)
	v_pk_add_f32 v[12:13], v[12:13], v[2:3]
	s_waitcnt lgkmcnt(0)
	v_add_f32_e32 v10, v10, v1
.LBB304_372:
	s_or_b64 exec, exec, s[0:1]
	s_barrier
	s_and_saveexec_b64 s[0:1], vcc
	s_cbranch_execz .LBB304_386
; %bb.373:
	s_mov_b32 s0, 0x7f800000
	v_and_b32_e32 v1, 0x7f800000, v12
	v_cmp_ne_u32_e32 vcc, s0, v1
                                        ; implicit-def: $vgpr2
	s_and_saveexec_b64 s[0:1], vcc
	s_xor_b64 s[0:1], exec, s[0:1]
; %bb.374:
	v_bfe_u32 v1, v12, 16, 1
	s_movk_i32 s2, 0x7fff
	v_add3_u32 v2, v12, v1, s2
; %bb.375:
	s_andn2_saveexec_b64 s[0:1], s[0:1]
; %bb.376:
	v_mov_b32_e32 v1, 0
	v_or_b32_e32 v2, 0x10000, v12
	v_cmp_eq_u32_sdwa vcc, v12, v1 src0_sel:WORD_0 src1_sel:DWORD
	s_nop 1
	v_cndmask_b32_e32 v2, v2, v12, vcc
; %bb.377:
	s_or_b64 exec, exec, s[0:1]
	s_mul_i32 s0, s20, s21
	s_mul_i32 s0, s0, s5
	s_mulk_i32 s0, 0xc0
	s_ashr_i32 s1, s0, 31
	s_lshl_b64 s[0:1], s[0:1], 1
	s_add_u32 s2, s22, s0
	s_mul_i32 s0, s21, s24
	s_addc_u32 s3, s23, s1
	s_ashr_i32 s1, s0, 31
	s_lshl_b64 s[0:1], s[0:1], 1
	s_add_u32 s2, s2, s0
	s_mul_i32 s0, s4, 0xc0
	s_addc_u32 s3, s3, s1
	s_ashr_i32 s1, s0, 31
	s_lshl_b64 s[0:1], s[0:1], 1
	s_add_u32 s0, s2, s0
	s_addc_u32 s1, s3, s1
	v_lshlrev_b32_e32 v0, 1, v0
	global_store_short_d16_hi v0, v2, s[0:1]
	s_mov_b32 s2, 0x7f800000
	v_and_b32_e32 v2, 0x7f800000, v13
	v_mov_b32_e32 v1, 0
	v_cmp_ne_u32_e32 vcc, s2, v2
                                        ; implicit-def: $vgpr2
	s_and_saveexec_b64 s[2:3], vcc
	s_xor_b64 s[2:3], exec, s[2:3]
; %bb.378:
	v_bfe_u32 v2, v13, 16, 1
	s_movk_i32 s4, 0x7fff
	v_add3_u32 v2, v13, v2, s4
; %bb.379:
	s_or_saveexec_b64 s[2:3], s[2:3]
	v_lshl_add_u64 v[0:1], s[0:1], 0, v[0:1]
	s_xor_b64 exec, exec, s[2:3]
; %bb.380:
	v_mov_b32_e32 v2, 0
	v_or_b32_e32 v3, 0x10000, v13
	v_cmp_eq_u32_sdwa vcc, v13, v2 src0_sel:WORD_0 src1_sel:DWORD
	s_nop 1
	v_cndmask_b32_e32 v2, v3, v13, vcc
; %bb.381:
	s_or_b64 exec, exec, s[2:3]
	global_store_short_d16_hi v[0:1], v2, off offset:128
	s_mov_b32 s0, 0x7f800000
	v_and_b32_e32 v2, 0x7f800000, v10
	v_cmp_ne_u32_e32 vcc, s0, v2
                                        ; implicit-def: $vgpr2
	s_and_saveexec_b64 s[0:1], vcc
	s_xor_b64 s[0:1], exec, s[0:1]
; %bb.382:
	v_bfe_u32 v2, v10, 16, 1
	s_movk_i32 s2, 0x7fff
	v_add3_u32 v2, v10, v2, s2
                                        ; implicit-def: $vgpr8_vgpr9_vgpr10
; %bb.383:
	s_andn2_saveexec_b64 s[0:1], s[0:1]
; %bb.384:
	v_mov_b32_e32 v2, 0
	v_or_b32_e32 v3, 0x10000, v10
	v_cmp_eq_u32_sdwa vcc, v10, v2 src0_sel:WORD_0 src1_sel:DWORD
	s_nop 1
	v_cndmask_b32_e32 v2, v3, v10, vcc
; %bb.385:
	s_or_b64 exec, exec, s[0:1]
	global_store_short_d16_hi v[0:1], v2, off offset:256
.LBB304_386:
	s_endpgm
	.section	.rodata,"a",@progbits
	.p2align	6, 0x0
	.amdhsa_kernel _ZN4vllm25paged_attention_v1_kernelI14__hip_bfloat16hLi192ELi8ELi128ELNS_18Fp8KVCacheDataTypeE1ELb0EEEvPT_PKS3_PKT0_S9_ifPKiSB_iPKfiiiSD_SD_iiiii
		.amdhsa_group_segment_fixed_size 400
		.amdhsa_private_segment_fixed_size 0
		.amdhsa_kernarg_size 384
		.amdhsa_user_sgpr_count 2
		.amdhsa_user_sgpr_dispatch_ptr 0
		.amdhsa_user_sgpr_queue_ptr 0
		.amdhsa_user_sgpr_kernarg_segment_ptr 1
		.amdhsa_user_sgpr_dispatch_id 0
		.amdhsa_user_sgpr_kernarg_preload_length 0
		.amdhsa_user_sgpr_kernarg_preload_offset 0
		.amdhsa_user_sgpr_private_segment_size 0
		.amdhsa_uses_dynamic_stack 0
		.amdhsa_enable_private_segment 0
		.amdhsa_system_sgpr_workgroup_id_x 1
		.amdhsa_system_sgpr_workgroup_id_y 1
		.amdhsa_system_sgpr_workgroup_id_z 1
		.amdhsa_system_sgpr_workgroup_info 0
		.amdhsa_system_vgpr_workitem_id 0
		.amdhsa_next_free_vgpr 68
		.amdhsa_next_free_sgpr 39
		.amdhsa_accum_offset 68
		.amdhsa_reserve_vcc 1
		.amdhsa_float_round_mode_32 0
		.amdhsa_float_round_mode_16_64 0
		.amdhsa_float_denorm_mode_32 3
		.amdhsa_float_denorm_mode_16_64 3
		.amdhsa_dx10_clamp 1
		.amdhsa_ieee_mode 1
		.amdhsa_fp16_overflow 0
		.amdhsa_tg_split 0
		.amdhsa_exception_fp_ieee_invalid_op 0
		.amdhsa_exception_fp_denorm_src 0
		.amdhsa_exception_fp_ieee_div_zero 0
		.amdhsa_exception_fp_ieee_overflow 0
		.amdhsa_exception_fp_ieee_underflow 0
		.amdhsa_exception_fp_ieee_inexact 0
		.amdhsa_exception_int_div_zero 0
	.end_amdhsa_kernel
	.section	.text._ZN4vllm25paged_attention_v1_kernelI14__hip_bfloat16hLi192ELi8ELi128ELNS_18Fp8KVCacheDataTypeE1ELb0EEEvPT_PKS3_PKT0_S9_ifPKiSB_iPKfiiiSD_SD_iiiii,"axG",@progbits,_ZN4vllm25paged_attention_v1_kernelI14__hip_bfloat16hLi192ELi8ELi128ELNS_18Fp8KVCacheDataTypeE1ELb0EEEvPT_PKS3_PKT0_S9_ifPKiSB_iPKfiiiSD_SD_iiiii,comdat
.Lfunc_end304:
	.size	_ZN4vllm25paged_attention_v1_kernelI14__hip_bfloat16hLi192ELi8ELi128ELNS_18Fp8KVCacheDataTypeE1ELb0EEEvPT_PKS3_PKT0_S9_ifPKiSB_iPKfiiiSD_SD_iiiii, .Lfunc_end304-_ZN4vllm25paged_attention_v1_kernelI14__hip_bfloat16hLi192ELi8ELi128ELNS_18Fp8KVCacheDataTypeE1ELb0EEEvPT_PKS3_PKT0_S9_ifPKiSB_iPKfiiiSD_SD_iiiii
                                        ; -- End function
	.section	.AMDGPU.csdata,"",@progbits
; Kernel info:
; codeLenInByte = 11956
; NumSgprs: 45
; NumVgprs: 68
; NumAgprs: 0
; TotalNumVgprs: 68
; ScratchSize: 0
; MemoryBound: 0
; FloatMode: 240
; IeeeMode: 1
; LDSByteSize: 400 bytes/workgroup (compile time only)
; SGPRBlocks: 5
; VGPRBlocks: 8
; NumSGPRsForWavesPerEU: 45
; NumVGPRsForWavesPerEU: 68
; AccumOffset: 68
; Occupancy: 7
; WaveLimiterHint : 1
; COMPUTE_PGM_RSRC2:SCRATCH_EN: 0
; COMPUTE_PGM_RSRC2:USER_SGPR: 2
; COMPUTE_PGM_RSRC2:TRAP_HANDLER: 0
; COMPUTE_PGM_RSRC2:TGID_X_EN: 1
; COMPUTE_PGM_RSRC2:TGID_Y_EN: 1
; COMPUTE_PGM_RSRC2:TGID_Z_EN: 1
; COMPUTE_PGM_RSRC2:TIDIG_COMP_CNT: 0
; COMPUTE_PGM_RSRC3_GFX90A:ACCUM_OFFSET: 16
; COMPUTE_PGM_RSRC3_GFX90A:TG_SPLIT: 0
	.section	.text._ZN4vllm25paged_attention_v1_kernelI14__hip_bfloat16hLi256ELi8ELi128ELNS_18Fp8KVCacheDataTypeE1ELb0EEEvPT_PKS3_PKT0_S9_ifPKiSB_iPKfiiiSD_SD_iiiii,"axG",@progbits,_ZN4vllm25paged_attention_v1_kernelI14__hip_bfloat16hLi256ELi8ELi128ELNS_18Fp8KVCacheDataTypeE1ELb0EEEvPT_PKS3_PKT0_S9_ifPKiSB_iPKfiiiSD_SD_iiiii,comdat
	.protected	_ZN4vllm25paged_attention_v1_kernelI14__hip_bfloat16hLi256ELi8ELi128ELNS_18Fp8KVCacheDataTypeE1ELb0EEEvPT_PKS3_PKT0_S9_ifPKiSB_iPKfiiiSD_SD_iiiii ; -- Begin function _ZN4vllm25paged_attention_v1_kernelI14__hip_bfloat16hLi256ELi8ELi128ELNS_18Fp8KVCacheDataTypeE1ELb0EEEvPT_PKS3_PKT0_S9_ifPKiSB_iPKfiiiSD_SD_iiiii
	.globl	_ZN4vllm25paged_attention_v1_kernelI14__hip_bfloat16hLi256ELi8ELi128ELNS_18Fp8KVCacheDataTypeE1ELb0EEEvPT_PKS3_PKT0_S9_ifPKiSB_iPKfiiiSD_SD_iiiii
	.p2align	8
	.type	_ZN4vllm25paged_attention_v1_kernelI14__hip_bfloat16hLi256ELi8ELi128ELNS_18Fp8KVCacheDataTypeE1ELb0EEEvPT_PKS3_PKT0_S9_ifPKiSB_iPKfiiiSD_SD_iiiii,@function
_ZN4vllm25paged_attention_v1_kernelI14__hip_bfloat16hLi256ELi8ELi128ELNS_18Fp8KVCacheDataTypeE1ELb0EEEvPT_PKS3_PKT0_S9_ifPKiSB_iPKfiiiSD_SD_iiiii: ; @_ZN4vllm25paged_attention_v1_kernelI14__hip_bfloat16hLi256ELi8ELi128ELNS_18Fp8KVCacheDataTypeE1ELb0EEEvPT_PKS3_PKT0_S9_ifPKiSB_iPKfiiiSD_SD_iiiii
; %bb.0:
	s_load_dword s5, s[0:1], 0x80
	s_load_dwordx2 s[6:7], s[0:1], 0x30
	s_load_dwordx2 s[30:31], s[0:1], 0x20
	s_mov_b32 s20, s3
	s_ashr_i32 s21, s3, 31
	s_lshl_b64 s[8:9], s[20:21], 2
	s_waitcnt lgkmcnt(0)
	s_add_u32 s6, s6, s8
	s_addc_u32 s7, s7, s9
	s_abs_i32 s3, s30
	v_cvt_f32_u32_e32 v1, s3
	s_sub_i32 s10, 0, s3
	s_abs_i32 s9, s5
	s_xor_b32 s8, s5, s30
	v_rcp_iflag_f32_e32 v1, v1
	s_ashr_i32 s8, s8, 31
	s_mov_b32 s33, 0
	v_mul_f32_e32 v1, 0x4f7ffffe, v1
	v_cvt_u32_f32_e32 v1, v1
	s_nop 0
	v_readfirstlane_b32 s11, v1
	s_mul_i32 s10, s10, s11
	s_mul_hi_u32 s10, s11, s10
	s_add_i32 s11, s11, s10
	s_mul_hi_u32 s10, s9, s11
	s_mul_i32 s11, s10, s3
	s_sub_i32 s9, s9, s11
	s_add_i32 s11, s10, 1
	s_sub_i32 s12, s9, s3
	s_cmp_ge_u32 s9, s3
	s_cselect_b32 s10, s11, s10
	s_cselect_b32 s9, s12, s9
	s_add_i32 s11, s10, 1
	s_cmp_ge_u32 s9, s3
	s_cselect_b32 s3, s11, s10
	s_xor_b32 s3, s3, s8
	s_sub_i32 s34, s3, s8
	s_abs_i32 s28, s34
	v_cvt_f32_u32_e32 v1, s28
	s_load_dwordx2 s[8:9], s[0:1], 0x40
	s_sub_i32 s3, 0, s28
	s_abs_i32 s29, s2
	v_rcp_iflag_f32_e32 v1, v1
	s_nop 0
	v_mul_f32_e32 v1, 0x4f7ffffe, v1
	v_cvt_u32_f32_e32 v1, v1
	s_nop 0
	v_readfirstlane_b32 s12, v1
	s_mul_i32 s3, s3, s12
	s_mul_hi_u32 s3, s12, s3
	s_add_i32 s12, s12, s3
	s_waitcnt lgkmcnt(0)
	s_cmp_eq_u64 s[8:9], 0
	s_cbranch_scc1 .LBB305_2
; %bb.1:
	s_ashr_i32 s3, s2, 31
	s_lshl_b64 s[10:11], s[2:3], 2
	s_add_u32 s8, s8, s10
	s_addc_u32 s9, s9, s11
	s_load_dword s33, s[8:9], 0x0
.LBB305_2:
	s_load_dwordx2 s[22:23], s[0:1], 0x0
	s_nop 0
	s_load_dwordx4 s[8:11], s[0:1], 0x10
	s_mul_hi_u32 s3, s29, s12
	s_load_dword s21, s[0:1], 0x88
	s_load_dword s30, s[6:7], 0x0
	s_load_dwordx2 s[26:27], s[0:1], 0x28
	s_load_dwordx4 s[12:15], s[0:1], 0x48
	s_lshl_b32 s24, s2, 8
	s_movk_i32 s6, 0x100
	v_and_b32_e32 v2, 7, v0
	s_ashr_i32 s25, s24, 31
	v_cmp_gt_u32_e32 vcc, s6, v0
	s_and_saveexec_b64 s[6:7], vcc
	s_cbranch_execz .LBB305_5
; %bb.3:
	s_load_dwordx2 s[16:17], s[0:1], 0x8
	s_waitcnt lgkmcnt(0)
	s_mul_i32 s18, s20, s12
	s_ashr_i32 s19, s18, 31
	s_lshl_b64 s[18:19], s[18:19], 1
	s_lshl_b64 s[36:37], s[24:25], 1
	s_add_u32 s12, s18, s36
	s_addc_u32 s15, s19, s37
	v_lshrrev_b32_e32 v4, 3, v0
	v_lshlrev_b32_e32 v5, 1, v2
	s_add_u32 s16, s16, s12
	v_add_u32_e32 v1, -16, v4
	v_lshlrev_b32_e32 v3, 1, v4
	v_lshl_or_b32 v4, v4, 4, v5
	v_mov_b32_e32 v5, 0
	s_addc_u32 s17, s17, s15
	v_lshl_add_u32 v3, v2, 6, v3
	v_lshl_add_u64 v[4:5], s[16:17], 0, v[4:5]
	s_mov_b64 s[16:17], 0
	s_mov_b64 s[18:19], 0x100
.LBB305_4:                              ; =>This Inner Loop Header: Depth=1
	global_load_ushort v6, v[4:5], off
	v_add_co_u32_e32 v1, vcc, 16, v1
	s_xor_b64 s[36:37], vcc, -1
	s_and_b64 s[36:37], exec, s[36:37]
	v_lshl_add_u64 v[4:5], v[4:5], 0, s[18:19]
	s_or_b64 s[16:17], s[36:37], s[16:17]
	s_waitcnt vmcnt(0)
	ds_write_b16 v3, v6
	v_add_u32_e32 v3, 32, v3
	s_andn2_b64 exec, exec, s[16:17]
	s_cbranch_execnz .LBB305_4
.LBB305_5:
	s_or_b64 exec, exec, s[6:7]
	s_waitcnt lgkmcnt(0)
	s_add_i32 s12, s30, 7
	s_ashr_i32 s2, s2, 31
	s_ashr_i32 s6, s34, 31
	;; [unrolled: 1-line block ×3, first 2 shown]
	s_lshr_b32 s15, s15, 29
	s_xor_b32 s2, s2, s6
	s_mul_i32 s6, s3, s28
	s_add_i32 s12, s12, s15
	s_sub_i32 s6, s29, s6
	s_ashr_i32 s12, s12, 3
	s_add_i32 s15, s3, 1
	s_sub_i32 s16, s6, s28
	s_load_dword s7, s[0:1], 0x38
	s_cmp_ge_u32 s6, s28
	s_cselect_b32 s3, s15, s3
	s_cselect_b32 s6, s16, s6
	s_add_i32 s15, s3, 1
	s_cmp_ge_u32 s6, s28
	s_cselect_b32 s3, s15, s3
	v_lshrrev_b32_e32 v1, 6, v0
	s_xor_b32 s3, s3, s2
	s_waitcnt lgkmcnt(0)
	s_mul_i32 s28, s20, s7
	s_sub_i32 s25, s3, s2
	s_ashr_i32 s29, s28, 31
	v_cmp_gt_i32_e64 s[6:7], s12, v1
	v_cmp_le_i32_e32 vcc, s12, v1
	v_mbcnt_lo_u32_b32 v6, -1, 0
	s_barrier
	s_waitcnt lgkmcnt(0)
                                        ; implicit-def: $sgpr15
                                        ; implicit-def: $vgpr11
                                        ; implicit-def: $vgpr12
	s_and_saveexec_b64 s[2:3], vcc
	s_xor_b64 s[2:3], exec, s[2:3]
; %bb.6:
	v_mbcnt_hi_u32_b32 v11, -1, v6
	v_and_b32_e32 v2, 64, v11
	v_add_u32_e32 v12, 64, v2
	s_mov_b32 s15, 0xff7fffff
                                        ; implicit-def: $vgpr2
                                        ; implicit-def: $vgpr6
; %bb.7:
	s_or_saveexec_b64 s[34:35], s[2:3]
	s_load_dwordx4 s[16:19], s[0:1], 0x58
	v_mov_b32_e32 v45, s15
	s_mul_i32 s25, s25, s14
	v_lshrrev_b32_e32 v10, 4, v0
	s_xor_b64 exec, exec, s[34:35]
	s_cbranch_execz .LBB305_141
; %bb.8:
	v_mbcnt_hi_u32_b32 v11, -1, v6
	v_and_b32_e32 v6, 64, v11
	v_add_u32_e32 v12, 64, v6
	v_xor_b32_e32 v6, 4, v11
	v_cmp_lt_i32_e32 vcc, v6, v12
	s_ashr_i32 s1, s25, 31
	v_lshlrev_b32_e32 v8, 6, v2
	v_cndmask_b32_e32 v6, v11, v6, vcc
	v_lshlrev_b32_e32 v46, 2, v6
	v_xor_b32_e32 v6, 2, v11
	v_cmp_lt_i32_e32 vcc, v6, v12
	v_bfe_u32 v7, v0, 3, 3
	s_add_u32 s0, s8, s25
	v_cndmask_b32_e32 v6, v11, v6, vcc
	v_lshlrev_b32_e32 v47, 2, v6
	v_xor_b32_e32 v6, 1, v11
	v_mov_b32_e32 v3, 0
	ds_read_b128 v[18:21], v8
	ds_read_b128 v[26:29], v8 offset:16
	ds_read_b128 v[34:37], v8 offset:32
	;; [unrolled: 1-line block ×3, first 2 shown]
	v_cmp_lt_i32_e32 vcc, v6, v12
	s_addc_u32 s1, s9, s1
	v_lshlrev_b32_e32 v4, 4, v7
	v_mov_b32_e32 v5, v3
	v_cndmask_b32_e32 v6, v11, v6, vcc
	s_waitcnt lgkmcnt(0)
	s_load_dword s16, s[16:17], 0x0
	v_lshl_add_u64 v[4:5], s[0:1], 0, v[4:5]
	v_lshlrev_b32_e32 v48, 2, v6
	s_sub_i32 s17, 1, s30
	v_lshlrev_b32_e32 v6, 2, v7
	s_lshl_b64 s[0:1], s[28:29], 2
	v_lshl_or_b32 v6, v1, 5, v6
	s_add_u32 s0, s26, s0
	v_lshl_or_b32 v49, v1, 3, v7
	v_add_u32_e32 v50, 0x210, v6
	v_and_b32_e32 v6, 60, v10
	v_mov_b32_e32 v7, v3
	s_addc_u32 s1, s27, s1
	s_mov_b32 s36, s13
	v_lshlrev_b32_e32 v13, 16, v18
	v_and_b32_e32 v14, 0xffff0000, v18
	v_lshlrev_b32_e32 v15, 16, v19
	v_and_b32_e32 v16, 0xffff0000, v19
	;; [unrolled: 2-line block ×16, first 2 shown]
	v_cmp_eq_u32_e32 vcc, 0, v2
	v_cmp_neq_f32_e64 s[2:3], s33, 0
	v_lshl_add_u64 v[6:7], s[0:1], 0, v[6:7]
	s_mov_b64 s[8:9], 0
	v_mov_b32_e32 v45, 0xff7fffff
	s_mov_b32 s37, 0x7f800000
	s_movk_i32 s38, 0x7fff
	v_mov_b32_e32 v51, v1
	s_branch .LBB305_10
.LBB305_9:                              ;   in Loop: Header=BB305_10 Depth=1
	s_or_b64 exec, exec, s[14:15]
	v_add_u32_e32 v51, 2, v51
	v_cmp_le_i32_e64 s[0:1], s12, v51
	v_add_u32_e32 v49, 16, v49
	v_add_u32_e32 v50, 64, v50
	s_or_b64 s[8:9], s[0:1], s[8:9]
	v_lshl_add_u64 v[6:7], v[6:7], 0, 8
	s_andn2_b64 exec, exec, s[8:9]
	s_cbranch_execz .LBB305_140
.LBB305_10:                             ; =>This Inner Loop Header: Depth=1
	global_load_dword v8, v[6:7], off
	s_waitcnt vmcnt(0) lgkmcnt(0)
	v_mad_i64_i32 v[8:9], s[0:1], v8, s36, v[4:5]
	v_lshl_add_u64 v[8:9], v[8:9], 0, v[2:3]
	global_load_ubyte v52, v[8:9], off
	s_waitcnt vmcnt(0)
	v_cvt_f32_fp8_sdwa v52, v52 src0_sel:BYTE_0
	s_waitcnt lgkmcnt(0)
	v_mul_f32_e32 v53, s16, v52
	v_and_b32_e32 v52, 0x7f800000, v53
	v_cmp_ne_u32_e64 s[0:1], s37, v52
                                        ; implicit-def: $vgpr52
	s_and_saveexec_b64 s[14:15], s[0:1]
	s_xor_b64 s[0:1], exec, s[14:15]
; %bb.11:                               ;   in Loop: Header=BB305_10 Depth=1
	v_bfe_u32 v52, v53, 16, 1
	v_add3_u32 v52, v53, v52, s38
                                        ; implicit-def: $vgpr53
; %bb.12:                               ;   in Loop: Header=BB305_10 Depth=1
	s_andn2_saveexec_b64 s[14:15], s[0:1]
; %bb.13:                               ;   in Loop: Header=BB305_10 Depth=1
	v_or_b32_e32 v52, 0x10000, v53
	v_cmp_eq_u32_sdwa s[0:1], v53, v3 src0_sel:WORD_0 src1_sel:DWORD
	s_nop 1
	v_cndmask_b32_e64 v52, v52, v53, s[0:1]
; %bb.14:                               ;   in Loop: Header=BB305_10 Depth=1
	s_or_b64 exec, exec, s[14:15]
	global_load_ubyte v53, v[8:9], off offset:8
	s_waitcnt vmcnt(0)
	v_cvt_f32_fp8_sdwa v53, v53 src0_sel:BYTE_0
	s_nop 0
	v_mul_f32_e32 v54, s16, v53
	v_and_b32_e32 v53, 0x7f800000, v54
	v_cmp_ne_u32_e64 s[0:1], s37, v53
                                        ; implicit-def: $vgpr53
	s_and_saveexec_b64 s[14:15], s[0:1]
	s_xor_b64 s[0:1], exec, s[14:15]
; %bb.15:                               ;   in Loop: Header=BB305_10 Depth=1
	v_bfe_u32 v53, v54, 16, 1
	v_add3_u32 v53, v54, v53, s38
                                        ; implicit-def: $vgpr54
; %bb.16:                               ;   in Loop: Header=BB305_10 Depth=1
	s_andn2_saveexec_b64 s[14:15], s[0:1]
; %bb.17:                               ;   in Loop: Header=BB305_10 Depth=1
	v_or_b32_e32 v53, 0x10000, v54
	v_cmp_eq_u32_sdwa s[0:1], v54, v3 src0_sel:WORD_0 src1_sel:DWORD
	s_nop 1
	v_cndmask_b32_e64 v53, v53, v54, s[0:1]
; %bb.18:                               ;   in Loop: Header=BB305_10 Depth=1
	s_or_b64 exec, exec, s[14:15]
	global_load_ubyte v54, v[8:9], off offset:128
	s_waitcnt vmcnt(0)
	v_cvt_f32_fp8_sdwa v54, v54 src0_sel:BYTE_0
	s_nop 0
	v_mul_f32_e32 v55, s16, v54
	v_and_b32_e32 v54, 0x7f800000, v55
	v_cmp_ne_u32_e64 s[0:1], s37, v54
                                        ; implicit-def: $vgpr54
	s_and_saveexec_b64 s[14:15], s[0:1]
	s_xor_b64 s[0:1], exec, s[14:15]
; %bb.19:                               ;   in Loop: Header=BB305_10 Depth=1
	v_bfe_u32 v54, v55, 16, 1
	v_add3_u32 v54, v55, v54, s38
                                        ; implicit-def: $vgpr55
; %bb.20:                               ;   in Loop: Header=BB305_10 Depth=1
	s_andn2_saveexec_b64 s[14:15], s[0:1]
; %bb.21:                               ;   in Loop: Header=BB305_10 Depth=1
	v_or_b32_e32 v54, 0x10000, v55
	v_cmp_eq_u32_sdwa s[0:1], v55, v3 src0_sel:WORD_0 src1_sel:DWORD
	s_nop 1
	v_cndmask_b32_e64 v54, v54, v55, s[0:1]
; %bb.22:                               ;   in Loop: Header=BB305_10 Depth=1
	s_or_b64 exec, exec, s[14:15]
	global_load_ubyte v55, v[8:9], off offset:136
	s_waitcnt vmcnt(0)
	v_cvt_f32_fp8_sdwa v55, v55 src0_sel:BYTE_0
	s_nop 0
	v_mul_f32_e32 v56, s16, v55
	v_and_b32_e32 v55, 0x7f800000, v56
	v_cmp_ne_u32_e64 s[0:1], s37, v55
                                        ; implicit-def: $vgpr55
	s_and_saveexec_b64 s[14:15], s[0:1]
	s_xor_b64 s[0:1], exec, s[14:15]
; %bb.23:                               ;   in Loop: Header=BB305_10 Depth=1
	v_bfe_u32 v55, v56, 16, 1
	v_add3_u32 v55, v56, v55, s38
                                        ; implicit-def: $vgpr56
; %bb.24:                               ;   in Loop: Header=BB305_10 Depth=1
	s_andn2_saveexec_b64 s[14:15], s[0:1]
; %bb.25:                               ;   in Loop: Header=BB305_10 Depth=1
	v_or_b32_e32 v55, 0x10000, v56
	v_cmp_eq_u32_sdwa s[0:1], v56, v3 src0_sel:WORD_0 src1_sel:DWORD
	s_nop 1
	v_cndmask_b32_e64 v55, v55, v56, s[0:1]
; %bb.26:                               ;   in Loop: Header=BB305_10 Depth=1
	s_or_b64 exec, exec, s[14:15]
	global_load_ubyte v56, v[8:9], off offset:256
	s_waitcnt vmcnt(0)
	v_cvt_f32_fp8_sdwa v56, v56 src0_sel:BYTE_0
	s_nop 0
	v_mul_f32_e32 v57, s16, v56
	v_and_b32_e32 v56, 0x7f800000, v57
	v_cmp_ne_u32_e64 s[0:1], s37, v56
                                        ; implicit-def: $vgpr56
	s_and_saveexec_b64 s[14:15], s[0:1]
	s_xor_b64 s[0:1], exec, s[14:15]
; %bb.27:                               ;   in Loop: Header=BB305_10 Depth=1
	v_bfe_u32 v56, v57, 16, 1
	v_add3_u32 v56, v57, v56, s38
                                        ; implicit-def: $vgpr57
; %bb.28:                               ;   in Loop: Header=BB305_10 Depth=1
	s_andn2_saveexec_b64 s[14:15], s[0:1]
; %bb.29:                               ;   in Loop: Header=BB305_10 Depth=1
	v_or_b32_e32 v56, 0x10000, v57
	v_cmp_eq_u32_sdwa s[0:1], v57, v3 src0_sel:WORD_0 src1_sel:DWORD
	s_nop 1
	v_cndmask_b32_e64 v56, v56, v57, s[0:1]
; %bb.30:                               ;   in Loop: Header=BB305_10 Depth=1
	s_or_b64 exec, exec, s[14:15]
	global_load_ubyte v57, v[8:9], off offset:264
	s_waitcnt vmcnt(0)
	v_cvt_f32_fp8_sdwa v57, v57 src0_sel:BYTE_0
	s_nop 0
	v_mul_f32_e32 v58, s16, v57
	v_and_b32_e32 v57, 0x7f800000, v58
	v_cmp_ne_u32_e64 s[0:1], s37, v57
                                        ; implicit-def: $vgpr57
	s_and_saveexec_b64 s[14:15], s[0:1]
	s_xor_b64 s[0:1], exec, s[14:15]
; %bb.31:                               ;   in Loop: Header=BB305_10 Depth=1
	v_bfe_u32 v57, v58, 16, 1
	v_add3_u32 v57, v58, v57, s38
                                        ; implicit-def: $vgpr58
; %bb.32:                               ;   in Loop: Header=BB305_10 Depth=1
	s_andn2_saveexec_b64 s[14:15], s[0:1]
; %bb.33:                               ;   in Loop: Header=BB305_10 Depth=1
	v_or_b32_e32 v57, 0x10000, v58
	v_cmp_eq_u32_sdwa s[0:1], v58, v3 src0_sel:WORD_0 src1_sel:DWORD
	s_nop 1
	v_cndmask_b32_e64 v57, v57, v58, s[0:1]
; %bb.34:                               ;   in Loop: Header=BB305_10 Depth=1
	s_or_b64 exec, exec, s[14:15]
	global_load_ubyte v58, v[8:9], off offset:384
	s_waitcnt vmcnt(0)
	v_cvt_f32_fp8_sdwa v58, v58 src0_sel:BYTE_0
	s_nop 0
	v_mul_f32_e32 v59, s16, v58
	v_and_b32_e32 v58, 0x7f800000, v59
	v_cmp_ne_u32_e64 s[0:1], s37, v58
                                        ; implicit-def: $vgpr58
	s_and_saveexec_b64 s[14:15], s[0:1]
	s_xor_b64 s[0:1], exec, s[14:15]
; %bb.35:                               ;   in Loop: Header=BB305_10 Depth=1
	v_bfe_u32 v58, v59, 16, 1
	v_add3_u32 v58, v59, v58, s38
                                        ; implicit-def: $vgpr59
; %bb.36:                               ;   in Loop: Header=BB305_10 Depth=1
	s_andn2_saveexec_b64 s[14:15], s[0:1]
; %bb.37:                               ;   in Loop: Header=BB305_10 Depth=1
	v_or_b32_e32 v58, 0x10000, v59
	v_cmp_eq_u32_sdwa s[0:1], v59, v3 src0_sel:WORD_0 src1_sel:DWORD
	s_nop 1
	v_cndmask_b32_e64 v58, v58, v59, s[0:1]
; %bb.38:                               ;   in Loop: Header=BB305_10 Depth=1
	s_or_b64 exec, exec, s[14:15]
	global_load_ubyte v59, v[8:9], off offset:392
	s_waitcnt vmcnt(0)
	v_cvt_f32_fp8_sdwa v59, v59 src0_sel:BYTE_0
	s_nop 0
	v_mul_f32_e32 v60, s16, v59
	v_and_b32_e32 v59, 0x7f800000, v60
	v_cmp_ne_u32_e64 s[0:1], s37, v59
                                        ; implicit-def: $vgpr59
	s_and_saveexec_b64 s[14:15], s[0:1]
	s_xor_b64 s[0:1], exec, s[14:15]
; %bb.39:                               ;   in Loop: Header=BB305_10 Depth=1
	v_bfe_u32 v59, v60, 16, 1
	v_add3_u32 v59, v60, v59, s38
                                        ; implicit-def: $vgpr60
; %bb.40:                               ;   in Loop: Header=BB305_10 Depth=1
	s_andn2_saveexec_b64 s[14:15], s[0:1]
; %bb.41:                               ;   in Loop: Header=BB305_10 Depth=1
	v_or_b32_e32 v59, 0x10000, v60
	v_cmp_eq_u32_sdwa s[0:1], v60, v3 src0_sel:WORD_0 src1_sel:DWORD
	s_nop 1
	v_cndmask_b32_e64 v59, v59, v60, s[0:1]
; %bb.42:                               ;   in Loop: Header=BB305_10 Depth=1
	s_or_b64 exec, exec, s[14:15]
	global_load_ubyte v60, v[8:9], off offset:512
	s_waitcnt vmcnt(0)
	v_cvt_f32_fp8_sdwa v60, v60 src0_sel:BYTE_0
	s_nop 0
	v_mul_f32_e32 v61, s16, v60
	v_and_b32_e32 v60, 0x7f800000, v61
	v_cmp_ne_u32_e64 s[0:1], s37, v60
                                        ; implicit-def: $vgpr60
	s_and_saveexec_b64 s[14:15], s[0:1]
	s_xor_b64 s[0:1], exec, s[14:15]
; %bb.43:                               ;   in Loop: Header=BB305_10 Depth=1
	v_bfe_u32 v60, v61, 16, 1
	v_add3_u32 v60, v61, v60, s38
                                        ; implicit-def: $vgpr61
; %bb.44:                               ;   in Loop: Header=BB305_10 Depth=1
	s_andn2_saveexec_b64 s[14:15], s[0:1]
; %bb.45:                               ;   in Loop: Header=BB305_10 Depth=1
	v_or_b32_e32 v60, 0x10000, v61
	v_cmp_eq_u32_sdwa s[0:1], v61, v3 src0_sel:WORD_0 src1_sel:DWORD
	s_nop 1
	v_cndmask_b32_e64 v60, v60, v61, s[0:1]
; %bb.46:                               ;   in Loop: Header=BB305_10 Depth=1
	s_or_b64 exec, exec, s[14:15]
	global_load_ubyte v61, v[8:9], off offset:520
	s_waitcnt vmcnt(0)
	v_cvt_f32_fp8_sdwa v61, v61 src0_sel:BYTE_0
	s_nop 0
	v_mul_f32_e32 v62, s16, v61
	v_and_b32_e32 v61, 0x7f800000, v62
	v_cmp_ne_u32_e64 s[0:1], s37, v61
                                        ; implicit-def: $vgpr61
	s_and_saveexec_b64 s[14:15], s[0:1]
	s_xor_b64 s[0:1], exec, s[14:15]
; %bb.47:                               ;   in Loop: Header=BB305_10 Depth=1
	v_bfe_u32 v61, v62, 16, 1
	v_add3_u32 v61, v62, v61, s38
                                        ; implicit-def: $vgpr62
; %bb.48:                               ;   in Loop: Header=BB305_10 Depth=1
	s_andn2_saveexec_b64 s[14:15], s[0:1]
; %bb.49:                               ;   in Loop: Header=BB305_10 Depth=1
	v_or_b32_e32 v61, 0x10000, v62
	v_cmp_eq_u32_sdwa s[0:1], v62, v3 src0_sel:WORD_0 src1_sel:DWORD
	s_nop 1
	v_cndmask_b32_e64 v61, v61, v62, s[0:1]
; %bb.50:                               ;   in Loop: Header=BB305_10 Depth=1
	s_or_b64 exec, exec, s[14:15]
	global_load_ubyte v62, v[8:9], off offset:640
	s_waitcnt vmcnt(0)
	v_cvt_f32_fp8_sdwa v62, v62 src0_sel:BYTE_0
	s_nop 0
	v_mul_f32_e32 v63, s16, v62
	v_and_b32_e32 v62, 0x7f800000, v63
	v_cmp_ne_u32_e64 s[0:1], s37, v62
                                        ; implicit-def: $vgpr62
	s_and_saveexec_b64 s[14:15], s[0:1]
	s_xor_b64 s[0:1], exec, s[14:15]
; %bb.51:                               ;   in Loop: Header=BB305_10 Depth=1
	v_bfe_u32 v62, v63, 16, 1
	v_add3_u32 v62, v63, v62, s38
                                        ; implicit-def: $vgpr63
; %bb.52:                               ;   in Loop: Header=BB305_10 Depth=1
	s_andn2_saveexec_b64 s[14:15], s[0:1]
; %bb.53:                               ;   in Loop: Header=BB305_10 Depth=1
	v_or_b32_e32 v62, 0x10000, v63
	v_cmp_eq_u32_sdwa s[0:1], v63, v3 src0_sel:WORD_0 src1_sel:DWORD
	s_nop 1
	v_cndmask_b32_e64 v62, v62, v63, s[0:1]
; %bb.54:                               ;   in Loop: Header=BB305_10 Depth=1
	s_or_b64 exec, exec, s[14:15]
	global_load_ubyte v63, v[8:9], off offset:648
	s_waitcnt vmcnt(0)
	v_cvt_f32_fp8_sdwa v63, v63 src0_sel:BYTE_0
	s_nop 0
	v_mul_f32_e32 v64, s16, v63
	v_and_b32_e32 v63, 0x7f800000, v64
	v_cmp_ne_u32_e64 s[0:1], s37, v63
                                        ; implicit-def: $vgpr63
	s_and_saveexec_b64 s[14:15], s[0:1]
	s_xor_b64 s[0:1], exec, s[14:15]
; %bb.55:                               ;   in Loop: Header=BB305_10 Depth=1
	v_bfe_u32 v63, v64, 16, 1
	v_add3_u32 v63, v64, v63, s38
                                        ; implicit-def: $vgpr64
; %bb.56:                               ;   in Loop: Header=BB305_10 Depth=1
	s_andn2_saveexec_b64 s[14:15], s[0:1]
; %bb.57:                               ;   in Loop: Header=BB305_10 Depth=1
	v_or_b32_e32 v63, 0x10000, v64
	v_cmp_eq_u32_sdwa s[0:1], v64, v3 src0_sel:WORD_0 src1_sel:DWORD
	s_nop 1
	v_cndmask_b32_e64 v63, v63, v64, s[0:1]
; %bb.58:                               ;   in Loop: Header=BB305_10 Depth=1
	s_or_b64 exec, exec, s[14:15]
	global_load_ubyte v64, v[8:9], off offset:768
	s_waitcnt vmcnt(0)
	v_cvt_f32_fp8_sdwa v64, v64 src0_sel:BYTE_0
	s_nop 0
	v_mul_f32_e32 v65, s16, v64
	v_and_b32_e32 v64, 0x7f800000, v65
	v_cmp_ne_u32_e64 s[0:1], s37, v64
                                        ; implicit-def: $vgpr64
	s_and_saveexec_b64 s[14:15], s[0:1]
	s_xor_b64 s[0:1], exec, s[14:15]
; %bb.59:                               ;   in Loop: Header=BB305_10 Depth=1
	v_bfe_u32 v64, v65, 16, 1
	v_add3_u32 v64, v65, v64, s38
                                        ; implicit-def: $vgpr65
; %bb.60:                               ;   in Loop: Header=BB305_10 Depth=1
	s_andn2_saveexec_b64 s[14:15], s[0:1]
; %bb.61:                               ;   in Loop: Header=BB305_10 Depth=1
	v_or_b32_e32 v64, 0x10000, v65
	v_cmp_eq_u32_sdwa s[0:1], v65, v3 src0_sel:WORD_0 src1_sel:DWORD
	s_nop 1
	v_cndmask_b32_e64 v64, v64, v65, s[0:1]
; %bb.62:                               ;   in Loop: Header=BB305_10 Depth=1
	s_or_b64 exec, exec, s[14:15]
	global_load_ubyte v65, v[8:9], off offset:776
	s_waitcnt vmcnt(0)
	v_cvt_f32_fp8_sdwa v65, v65 src0_sel:BYTE_0
	s_nop 0
	v_mul_f32_e32 v66, s16, v65
	v_and_b32_e32 v65, 0x7f800000, v66
	v_cmp_ne_u32_e64 s[0:1], s37, v65
                                        ; implicit-def: $vgpr65
	s_and_saveexec_b64 s[14:15], s[0:1]
	s_xor_b64 s[0:1], exec, s[14:15]
; %bb.63:                               ;   in Loop: Header=BB305_10 Depth=1
	v_bfe_u32 v65, v66, 16, 1
	v_add3_u32 v65, v66, v65, s38
                                        ; implicit-def: $vgpr66
; %bb.64:                               ;   in Loop: Header=BB305_10 Depth=1
	s_andn2_saveexec_b64 s[14:15], s[0:1]
; %bb.65:                               ;   in Loop: Header=BB305_10 Depth=1
	v_or_b32_e32 v65, 0x10000, v66
	v_cmp_eq_u32_sdwa s[0:1], v66, v3 src0_sel:WORD_0 src1_sel:DWORD
	s_nop 1
	v_cndmask_b32_e64 v65, v65, v66, s[0:1]
; %bb.66:                               ;   in Loop: Header=BB305_10 Depth=1
	s_or_b64 exec, exec, s[14:15]
	global_load_ubyte v66, v[8:9], off offset:896
	s_waitcnt vmcnt(0)
	v_cvt_f32_fp8_sdwa v66, v66 src0_sel:BYTE_0
	s_nop 0
	v_mul_f32_e32 v67, s16, v66
	v_and_b32_e32 v66, 0x7f800000, v67
	v_cmp_ne_u32_e64 s[0:1], s37, v66
                                        ; implicit-def: $vgpr66
	s_and_saveexec_b64 s[14:15], s[0:1]
	s_xor_b64 s[0:1], exec, s[14:15]
; %bb.67:                               ;   in Loop: Header=BB305_10 Depth=1
	v_bfe_u32 v66, v67, 16, 1
	v_add3_u32 v66, v67, v66, s38
                                        ; implicit-def: $vgpr67
; %bb.68:                               ;   in Loop: Header=BB305_10 Depth=1
	s_andn2_saveexec_b64 s[14:15], s[0:1]
; %bb.69:                               ;   in Loop: Header=BB305_10 Depth=1
	v_or_b32_e32 v66, 0x10000, v67
	v_cmp_eq_u32_sdwa s[0:1], v67, v3 src0_sel:WORD_0 src1_sel:DWORD
	s_nop 1
	v_cndmask_b32_e64 v66, v66, v67, s[0:1]
; %bb.70:                               ;   in Loop: Header=BB305_10 Depth=1
	s_or_b64 exec, exec, s[14:15]
	global_load_ubyte v67, v[8:9], off offset:904
	s_waitcnt vmcnt(0)
	v_cvt_f32_fp8_sdwa v67, v67 src0_sel:BYTE_0
	s_nop 0
	v_mul_f32_e32 v68, s16, v67
	v_and_b32_e32 v67, 0x7f800000, v68
	v_cmp_ne_u32_e64 s[0:1], s37, v67
                                        ; implicit-def: $vgpr67
	s_and_saveexec_b64 s[14:15], s[0:1]
	s_xor_b64 s[0:1], exec, s[14:15]
; %bb.71:                               ;   in Loop: Header=BB305_10 Depth=1
	v_bfe_u32 v67, v68, 16, 1
	v_add3_u32 v67, v68, v67, s38
                                        ; implicit-def: $vgpr68
; %bb.72:                               ;   in Loop: Header=BB305_10 Depth=1
	s_andn2_saveexec_b64 s[14:15], s[0:1]
; %bb.73:                               ;   in Loop: Header=BB305_10 Depth=1
	v_or_b32_e32 v67, 0x10000, v68
	v_cmp_eq_u32_sdwa s[0:1], v68, v3 src0_sel:WORD_0 src1_sel:DWORD
	s_nop 1
	v_cndmask_b32_e64 v67, v67, v68, s[0:1]
; %bb.74:                               ;   in Loop: Header=BB305_10 Depth=1
	s_or_b64 exec, exec, s[14:15]
	global_load_ubyte v68, v[8:9], off offset:1024
	s_waitcnt vmcnt(0)
	v_cvt_f32_fp8_sdwa v68, v68 src0_sel:BYTE_0
	s_nop 0
	v_mul_f32_e32 v69, s16, v68
	v_and_b32_e32 v68, 0x7f800000, v69
	v_cmp_ne_u32_e64 s[0:1], s37, v68
                                        ; implicit-def: $vgpr68
	s_and_saveexec_b64 s[14:15], s[0:1]
	s_xor_b64 s[0:1], exec, s[14:15]
; %bb.75:                               ;   in Loop: Header=BB305_10 Depth=1
	v_bfe_u32 v68, v69, 16, 1
	v_add3_u32 v68, v69, v68, s38
                                        ; implicit-def: $vgpr69
; %bb.76:                               ;   in Loop: Header=BB305_10 Depth=1
	s_andn2_saveexec_b64 s[14:15], s[0:1]
; %bb.77:                               ;   in Loop: Header=BB305_10 Depth=1
	v_or_b32_e32 v68, 0x10000, v69
	v_cmp_eq_u32_sdwa s[0:1], v69, v3 src0_sel:WORD_0 src1_sel:DWORD
	s_nop 1
	v_cndmask_b32_e64 v68, v68, v69, s[0:1]
; %bb.78:                               ;   in Loop: Header=BB305_10 Depth=1
	s_or_b64 exec, exec, s[14:15]
	global_load_ubyte v69, v[8:9], off offset:1032
	s_waitcnt vmcnt(0)
	v_cvt_f32_fp8_sdwa v69, v69 src0_sel:BYTE_0
	s_nop 0
	v_mul_f32_e32 v70, s16, v69
	v_and_b32_e32 v69, 0x7f800000, v70
	v_cmp_ne_u32_e64 s[0:1], s37, v69
                                        ; implicit-def: $vgpr69
	s_and_saveexec_b64 s[14:15], s[0:1]
	s_xor_b64 s[0:1], exec, s[14:15]
; %bb.79:                               ;   in Loop: Header=BB305_10 Depth=1
	v_bfe_u32 v69, v70, 16, 1
	v_add3_u32 v69, v70, v69, s38
                                        ; implicit-def: $vgpr70
; %bb.80:                               ;   in Loop: Header=BB305_10 Depth=1
	s_andn2_saveexec_b64 s[14:15], s[0:1]
; %bb.81:                               ;   in Loop: Header=BB305_10 Depth=1
	v_or_b32_e32 v69, 0x10000, v70
	v_cmp_eq_u32_sdwa s[0:1], v70, v3 src0_sel:WORD_0 src1_sel:DWORD
	s_nop 1
	v_cndmask_b32_e64 v69, v69, v70, s[0:1]
; %bb.82:                               ;   in Loop: Header=BB305_10 Depth=1
	s_or_b64 exec, exec, s[14:15]
	global_load_ubyte v70, v[8:9], off offset:1152
	s_waitcnt vmcnt(0)
	v_cvt_f32_fp8_sdwa v70, v70 src0_sel:BYTE_0
	s_nop 0
	v_mul_f32_e32 v71, s16, v70
	v_and_b32_e32 v70, 0x7f800000, v71
	v_cmp_ne_u32_e64 s[0:1], s37, v70
                                        ; implicit-def: $vgpr70
	s_and_saveexec_b64 s[14:15], s[0:1]
	s_xor_b64 s[0:1], exec, s[14:15]
; %bb.83:                               ;   in Loop: Header=BB305_10 Depth=1
	v_bfe_u32 v70, v71, 16, 1
	v_add3_u32 v70, v71, v70, s38
                                        ; implicit-def: $vgpr71
; %bb.84:                               ;   in Loop: Header=BB305_10 Depth=1
	s_andn2_saveexec_b64 s[14:15], s[0:1]
; %bb.85:                               ;   in Loop: Header=BB305_10 Depth=1
	v_or_b32_e32 v70, 0x10000, v71
	v_cmp_eq_u32_sdwa s[0:1], v71, v3 src0_sel:WORD_0 src1_sel:DWORD
	s_nop 1
	v_cndmask_b32_e64 v70, v70, v71, s[0:1]
; %bb.86:                               ;   in Loop: Header=BB305_10 Depth=1
	s_or_b64 exec, exec, s[14:15]
	global_load_ubyte v71, v[8:9], off offset:1160
	s_waitcnt vmcnt(0)
	v_cvt_f32_fp8_sdwa v71, v71 src0_sel:BYTE_0
	s_nop 0
	v_mul_f32_e32 v72, s16, v71
	v_and_b32_e32 v71, 0x7f800000, v72
	v_cmp_ne_u32_e64 s[0:1], s37, v71
                                        ; implicit-def: $vgpr71
	s_and_saveexec_b64 s[14:15], s[0:1]
	s_xor_b64 s[0:1], exec, s[14:15]
; %bb.87:                               ;   in Loop: Header=BB305_10 Depth=1
	v_bfe_u32 v71, v72, 16, 1
	v_add3_u32 v71, v72, v71, s38
                                        ; implicit-def: $vgpr72
; %bb.88:                               ;   in Loop: Header=BB305_10 Depth=1
	s_andn2_saveexec_b64 s[14:15], s[0:1]
; %bb.89:                               ;   in Loop: Header=BB305_10 Depth=1
	v_or_b32_e32 v71, 0x10000, v72
	v_cmp_eq_u32_sdwa s[0:1], v72, v3 src0_sel:WORD_0 src1_sel:DWORD
	s_nop 1
	v_cndmask_b32_e64 v71, v71, v72, s[0:1]
; %bb.90:                               ;   in Loop: Header=BB305_10 Depth=1
	s_or_b64 exec, exec, s[14:15]
	global_load_ubyte v72, v[8:9], off offset:1280
	s_waitcnt vmcnt(0)
	v_cvt_f32_fp8_sdwa v72, v72 src0_sel:BYTE_0
	s_nop 0
	v_mul_f32_e32 v73, s16, v72
	v_and_b32_e32 v72, 0x7f800000, v73
	v_cmp_ne_u32_e64 s[0:1], s37, v72
                                        ; implicit-def: $vgpr72
	s_and_saveexec_b64 s[14:15], s[0:1]
	s_xor_b64 s[0:1], exec, s[14:15]
; %bb.91:                               ;   in Loop: Header=BB305_10 Depth=1
	v_bfe_u32 v72, v73, 16, 1
	v_add3_u32 v72, v73, v72, s38
                                        ; implicit-def: $vgpr73
; %bb.92:                               ;   in Loop: Header=BB305_10 Depth=1
	s_andn2_saveexec_b64 s[14:15], s[0:1]
; %bb.93:                               ;   in Loop: Header=BB305_10 Depth=1
	v_or_b32_e32 v72, 0x10000, v73
	v_cmp_eq_u32_sdwa s[0:1], v73, v3 src0_sel:WORD_0 src1_sel:DWORD
	s_nop 1
	v_cndmask_b32_e64 v72, v72, v73, s[0:1]
; %bb.94:                               ;   in Loop: Header=BB305_10 Depth=1
	s_or_b64 exec, exec, s[14:15]
	global_load_ubyte v73, v[8:9], off offset:1288
	s_waitcnt vmcnt(0)
	v_cvt_f32_fp8_sdwa v73, v73 src0_sel:BYTE_0
	s_nop 0
	v_mul_f32_e32 v74, s16, v73
	v_and_b32_e32 v73, 0x7f800000, v74
	v_cmp_ne_u32_e64 s[0:1], s37, v73
                                        ; implicit-def: $vgpr73
	s_and_saveexec_b64 s[14:15], s[0:1]
	s_xor_b64 s[0:1], exec, s[14:15]
; %bb.95:                               ;   in Loop: Header=BB305_10 Depth=1
	v_bfe_u32 v73, v74, 16, 1
	v_add3_u32 v73, v74, v73, s38
                                        ; implicit-def: $vgpr74
; %bb.96:                               ;   in Loop: Header=BB305_10 Depth=1
	s_andn2_saveexec_b64 s[14:15], s[0:1]
; %bb.97:                               ;   in Loop: Header=BB305_10 Depth=1
	v_or_b32_e32 v73, 0x10000, v74
	v_cmp_eq_u32_sdwa s[0:1], v74, v3 src0_sel:WORD_0 src1_sel:DWORD
	s_nop 1
	v_cndmask_b32_e64 v73, v73, v74, s[0:1]
; %bb.98:                               ;   in Loop: Header=BB305_10 Depth=1
	s_or_b64 exec, exec, s[14:15]
	global_load_ubyte v74, v[8:9], off offset:1408
	s_waitcnt vmcnt(0)
	v_cvt_f32_fp8_sdwa v74, v74 src0_sel:BYTE_0
	s_nop 0
	v_mul_f32_e32 v75, s16, v74
	v_and_b32_e32 v74, 0x7f800000, v75
	v_cmp_ne_u32_e64 s[0:1], s37, v74
                                        ; implicit-def: $vgpr74
	s_and_saveexec_b64 s[14:15], s[0:1]
	s_xor_b64 s[0:1], exec, s[14:15]
; %bb.99:                               ;   in Loop: Header=BB305_10 Depth=1
	v_bfe_u32 v74, v75, 16, 1
	v_add3_u32 v74, v75, v74, s38
                                        ; implicit-def: $vgpr75
; %bb.100:                              ;   in Loop: Header=BB305_10 Depth=1
	s_andn2_saveexec_b64 s[14:15], s[0:1]
; %bb.101:                              ;   in Loop: Header=BB305_10 Depth=1
	v_or_b32_e32 v74, 0x10000, v75
	v_cmp_eq_u32_sdwa s[0:1], v75, v3 src0_sel:WORD_0 src1_sel:DWORD
	s_nop 1
	v_cndmask_b32_e64 v74, v74, v75, s[0:1]
; %bb.102:                              ;   in Loop: Header=BB305_10 Depth=1
	s_or_b64 exec, exec, s[14:15]
	global_load_ubyte v75, v[8:9], off offset:1416
	s_waitcnt vmcnt(0)
	v_cvt_f32_fp8_sdwa v75, v75 src0_sel:BYTE_0
	s_nop 0
	v_mul_f32_e32 v76, s16, v75
	v_and_b32_e32 v75, 0x7f800000, v76
	v_cmp_ne_u32_e64 s[0:1], s37, v75
                                        ; implicit-def: $vgpr75
	s_and_saveexec_b64 s[14:15], s[0:1]
	s_xor_b64 s[0:1], exec, s[14:15]
; %bb.103:                              ;   in Loop: Header=BB305_10 Depth=1
	v_bfe_u32 v75, v76, 16, 1
	v_add3_u32 v75, v76, v75, s38
                                        ; implicit-def: $vgpr76
; %bb.104:                              ;   in Loop: Header=BB305_10 Depth=1
	s_andn2_saveexec_b64 s[14:15], s[0:1]
; %bb.105:                              ;   in Loop: Header=BB305_10 Depth=1
	v_or_b32_e32 v75, 0x10000, v76
	v_cmp_eq_u32_sdwa s[0:1], v76, v3 src0_sel:WORD_0 src1_sel:DWORD
	s_nop 1
	v_cndmask_b32_e64 v75, v75, v76, s[0:1]
; %bb.106:                              ;   in Loop: Header=BB305_10 Depth=1
	s_or_b64 exec, exec, s[14:15]
	global_load_ubyte v76, v[8:9], off offset:1536
	s_waitcnt vmcnt(0)
	v_cvt_f32_fp8_sdwa v76, v76 src0_sel:BYTE_0
	s_nop 0
	v_mul_f32_e32 v77, s16, v76
	v_and_b32_e32 v76, 0x7f800000, v77
	v_cmp_ne_u32_e64 s[0:1], s37, v76
                                        ; implicit-def: $vgpr76
	s_and_saveexec_b64 s[14:15], s[0:1]
	s_xor_b64 s[0:1], exec, s[14:15]
; %bb.107:                              ;   in Loop: Header=BB305_10 Depth=1
	v_bfe_u32 v76, v77, 16, 1
	v_add3_u32 v76, v77, v76, s38
                                        ; implicit-def: $vgpr77
; %bb.108:                              ;   in Loop: Header=BB305_10 Depth=1
	s_andn2_saveexec_b64 s[14:15], s[0:1]
; %bb.109:                              ;   in Loop: Header=BB305_10 Depth=1
	v_or_b32_e32 v76, 0x10000, v77
	v_cmp_eq_u32_sdwa s[0:1], v77, v3 src0_sel:WORD_0 src1_sel:DWORD
	s_nop 1
	v_cndmask_b32_e64 v76, v76, v77, s[0:1]
; %bb.110:                              ;   in Loop: Header=BB305_10 Depth=1
	s_or_b64 exec, exec, s[14:15]
	global_load_ubyte v77, v[8:9], off offset:1544
	s_waitcnt vmcnt(0)
	v_cvt_f32_fp8_sdwa v77, v77 src0_sel:BYTE_0
	s_nop 0
	v_mul_f32_e32 v78, s16, v77
	v_and_b32_e32 v77, 0x7f800000, v78
	v_cmp_ne_u32_e64 s[0:1], s37, v77
                                        ; implicit-def: $vgpr77
	s_and_saveexec_b64 s[14:15], s[0:1]
	s_xor_b64 s[0:1], exec, s[14:15]
; %bb.111:                              ;   in Loop: Header=BB305_10 Depth=1
	v_bfe_u32 v77, v78, 16, 1
	v_add3_u32 v77, v78, v77, s38
                                        ; implicit-def: $vgpr78
; %bb.112:                              ;   in Loop: Header=BB305_10 Depth=1
	s_andn2_saveexec_b64 s[14:15], s[0:1]
; %bb.113:                              ;   in Loop: Header=BB305_10 Depth=1
	v_or_b32_e32 v77, 0x10000, v78
	v_cmp_eq_u32_sdwa s[0:1], v78, v3 src0_sel:WORD_0 src1_sel:DWORD
	s_nop 1
	v_cndmask_b32_e64 v77, v77, v78, s[0:1]
; %bb.114:                              ;   in Loop: Header=BB305_10 Depth=1
	s_or_b64 exec, exec, s[14:15]
	global_load_ubyte v78, v[8:9], off offset:1664
	s_waitcnt vmcnt(0)
	v_cvt_f32_fp8_sdwa v78, v78 src0_sel:BYTE_0
	s_nop 0
	v_mul_f32_e32 v79, s16, v78
	v_and_b32_e32 v78, 0x7f800000, v79
	v_cmp_ne_u32_e64 s[0:1], s37, v78
                                        ; implicit-def: $vgpr78
	s_and_saveexec_b64 s[14:15], s[0:1]
	s_xor_b64 s[0:1], exec, s[14:15]
; %bb.115:                              ;   in Loop: Header=BB305_10 Depth=1
	v_bfe_u32 v78, v79, 16, 1
	v_add3_u32 v78, v79, v78, s38
                                        ; implicit-def: $vgpr79
; %bb.116:                              ;   in Loop: Header=BB305_10 Depth=1
	s_andn2_saveexec_b64 s[14:15], s[0:1]
; %bb.117:                              ;   in Loop: Header=BB305_10 Depth=1
	v_or_b32_e32 v78, 0x10000, v79
	v_cmp_eq_u32_sdwa s[0:1], v79, v3 src0_sel:WORD_0 src1_sel:DWORD
	s_nop 1
	v_cndmask_b32_e64 v78, v78, v79, s[0:1]
; %bb.118:                              ;   in Loop: Header=BB305_10 Depth=1
	s_or_b64 exec, exec, s[14:15]
	global_load_ubyte v79, v[8:9], off offset:1672
	s_waitcnt vmcnt(0)
	v_cvt_f32_fp8_sdwa v79, v79 src0_sel:BYTE_0
	s_nop 0
	v_mul_f32_e32 v80, s16, v79
	v_and_b32_e32 v79, 0x7f800000, v80
	v_cmp_ne_u32_e64 s[0:1], s37, v79
                                        ; implicit-def: $vgpr79
	s_and_saveexec_b64 s[14:15], s[0:1]
	s_xor_b64 s[0:1], exec, s[14:15]
; %bb.119:                              ;   in Loop: Header=BB305_10 Depth=1
	v_bfe_u32 v79, v80, 16, 1
	v_add3_u32 v79, v80, v79, s38
                                        ; implicit-def: $vgpr80
; %bb.120:                              ;   in Loop: Header=BB305_10 Depth=1
	s_andn2_saveexec_b64 s[14:15], s[0:1]
; %bb.121:                              ;   in Loop: Header=BB305_10 Depth=1
	v_or_b32_e32 v79, 0x10000, v80
	v_cmp_eq_u32_sdwa s[0:1], v80, v3 src0_sel:WORD_0 src1_sel:DWORD
	s_nop 1
	v_cndmask_b32_e64 v79, v79, v80, s[0:1]
; %bb.122:                              ;   in Loop: Header=BB305_10 Depth=1
	s_or_b64 exec, exec, s[14:15]
	global_load_ubyte v80, v[8:9], off offset:1792
	s_waitcnt vmcnt(0)
	v_cvt_f32_fp8_sdwa v80, v80 src0_sel:BYTE_0
	s_nop 0
	v_mul_f32_e32 v81, s16, v80
	v_and_b32_e32 v80, 0x7f800000, v81
	v_cmp_ne_u32_e64 s[0:1], s37, v80
                                        ; implicit-def: $vgpr80
	s_and_saveexec_b64 s[14:15], s[0:1]
	s_xor_b64 s[0:1], exec, s[14:15]
; %bb.123:                              ;   in Loop: Header=BB305_10 Depth=1
	v_bfe_u32 v80, v81, 16, 1
	v_add3_u32 v80, v81, v80, s38
                                        ; implicit-def: $vgpr81
; %bb.124:                              ;   in Loop: Header=BB305_10 Depth=1
	s_andn2_saveexec_b64 s[14:15], s[0:1]
; %bb.125:                              ;   in Loop: Header=BB305_10 Depth=1
	v_or_b32_e32 v80, 0x10000, v81
	v_cmp_eq_u32_sdwa s[0:1], v81, v3 src0_sel:WORD_0 src1_sel:DWORD
	s_nop 1
	v_cndmask_b32_e64 v80, v80, v81, s[0:1]
; %bb.126:                              ;   in Loop: Header=BB305_10 Depth=1
	s_or_b64 exec, exec, s[14:15]
	global_load_ubyte v81, v[8:9], off offset:1800
	s_waitcnt vmcnt(0)
	v_cvt_f32_fp8_sdwa v81, v81 src0_sel:BYTE_0
	s_nop 0
	v_mul_f32_e32 v82, s16, v81
	v_and_b32_e32 v81, 0x7f800000, v82
	v_cmp_ne_u32_e64 s[0:1], s37, v81
                                        ; implicit-def: $vgpr81
	s_and_saveexec_b64 s[14:15], s[0:1]
	s_xor_b64 s[0:1], exec, s[14:15]
; %bb.127:                              ;   in Loop: Header=BB305_10 Depth=1
	v_bfe_u32 v81, v82, 16, 1
	v_add3_u32 v81, v82, v81, s38
                                        ; implicit-def: $vgpr82
; %bb.128:                              ;   in Loop: Header=BB305_10 Depth=1
	s_andn2_saveexec_b64 s[14:15], s[0:1]
; %bb.129:                              ;   in Loop: Header=BB305_10 Depth=1
	v_or_b32_e32 v81, 0x10000, v82
	v_cmp_eq_u32_sdwa s[0:1], v82, v3 src0_sel:WORD_0 src1_sel:DWORD
	s_nop 1
	v_cndmask_b32_e64 v81, v81, v82, s[0:1]
; %bb.130:                              ;   in Loop: Header=BB305_10 Depth=1
	s_or_b64 exec, exec, s[14:15]
	global_load_ubyte v82, v[8:9], off offset:1920
	s_waitcnt vmcnt(0)
	v_cvt_f32_fp8_sdwa v82, v82 src0_sel:BYTE_0
	s_nop 0
	v_mul_f32_e32 v83, s16, v82
	v_and_b32_e32 v82, 0x7f800000, v83
	v_cmp_ne_u32_e64 s[0:1], s37, v82
                                        ; implicit-def: $vgpr82
	s_and_saveexec_b64 s[14:15], s[0:1]
	s_xor_b64 s[0:1], exec, s[14:15]
; %bb.131:                              ;   in Loop: Header=BB305_10 Depth=1
	v_bfe_u32 v82, v83, 16, 1
	v_add3_u32 v82, v83, v82, s38
                                        ; implicit-def: $vgpr83
; %bb.132:                              ;   in Loop: Header=BB305_10 Depth=1
	s_andn2_saveexec_b64 s[14:15], s[0:1]
; %bb.133:                              ;   in Loop: Header=BB305_10 Depth=1
	v_or_b32_e32 v82, 0x10000, v83
	v_cmp_eq_u32_sdwa s[0:1], v83, v3 src0_sel:WORD_0 src1_sel:DWORD
	s_nop 1
	v_cndmask_b32_e64 v82, v82, v83, s[0:1]
; %bb.134:                              ;   in Loop: Header=BB305_10 Depth=1
	s_or_b64 exec, exec, s[14:15]
	global_load_ubyte v8, v[8:9], off offset:1928
	s_waitcnt vmcnt(0)
	v_cvt_f32_fp8_sdwa v8, v8 src0_sel:BYTE_0
	s_nop 0
	v_mul_f32_e32 v9, s16, v8
	v_and_b32_e32 v8, 0x7f800000, v9
	v_cmp_ne_u32_e64 s[0:1], s37, v8
                                        ; implicit-def: $vgpr8
	s_and_saveexec_b64 s[14:15], s[0:1]
	s_xor_b64 s[0:1], exec, s[14:15]
; %bb.135:                              ;   in Loop: Header=BB305_10 Depth=1
	v_bfe_u32 v8, v9, 16, 1
	v_add3_u32 v8, v9, v8, s38
                                        ; implicit-def: $vgpr9
; %bb.136:                              ;   in Loop: Header=BB305_10 Depth=1
	s_andn2_saveexec_b64 s[14:15], s[0:1]
; %bb.137:                              ;   in Loop: Header=BB305_10 Depth=1
	v_or_b32_e32 v8, 0x10000, v9
	v_cmp_eq_u32_sdwa s[0:1], v9, v3 src0_sel:WORD_0 src1_sel:DWORD
	s_nop 1
	v_cndmask_b32_e64 v8, v8, v9, s[0:1]
; %bb.138:                              ;   in Loop: Header=BB305_10 Depth=1
	s_or_b64 exec, exec, s[14:15]
	v_and_b32_e32 v53, 0xffff0000, v53
	v_and_b32_e32 v52, 0xffff0000, v52
	v_mul_f32_e32 v53, v14, v53
	v_and_b32_e32 v54, 0xffff0000, v54
	v_fmac_f32_e32 v53, v13, v52
	v_and_b32_e32 v55, 0xffff0000, v55
	v_fmac_f32_e32 v53, v15, v54
	;; [unrolled: 2-line block ×30, first 2 shown]
	v_fmac_f32_e32 v53, v44, v8
	ds_bpermute_b32 v8, v46, v53
	s_waitcnt lgkmcnt(0)
	v_add_f32_e32 v8, v53, v8
	ds_bpermute_b32 v9, v47, v8
	s_waitcnt lgkmcnt(0)
	v_add_f32_e32 v8, v8, v9
	ds_bpermute_b32 v9, v48, v8
	s_and_saveexec_b64 s[14:15], vcc
	s_cbranch_execz .LBB305_9
; %bb.139:                              ;   in Loop: Header=BB305_10 Depth=1
	v_add_u32_e32 v52, s17, v49
	v_cvt_f32_i32_e32 v52, v52
	s_waitcnt lgkmcnt(0)
	v_add_f32_e32 v8, v8, v9
	v_cmp_gt_i32_e64 s[0:1], s30, v49
	v_max_f32_e32 v9, v45, v45
	v_mul_f32_e32 v52, s33, v52
	v_cndmask_b32_e64 v52, 0, v52, s[2:3]
	v_fmac_f32_e32 v52, s31, v8
	v_cndmask_b32_e64 v8, 0, v52, s[0:1]
	ds_write_b32 v50, v8
	v_max_f32_e32 v8, v9, v52
	v_cndmask_b32_e64 v45, v45, v8, s[0:1]
	s_branch .LBB305_9
.LBB305_140:
	s_or_b64 exec, exec, s[8:9]
.LBB305_141:
	s_or_b64 exec, exec, s[34:35]
	v_xor_b32_e32 v2, 32, v11
	v_cmp_lt_i32_e32 vcc, v2, v12
	v_xor_b32_e32 v5, 16, v11
	v_max_f32_e32 v4, v45, v45
	v_cndmask_b32_e32 v2, v11, v2, vcc
	v_lshlrev_b32_e32 v3, 2, v2
	ds_bpermute_b32 v2, v3, v45
	v_cmp_lt_i32_e32 vcc, v5, v12
	v_xor_b32_e32 v6, 8, v11
	v_and_b32_e32 v20, 63, v0
	s_waitcnt lgkmcnt(0)
	v_max_f32_e32 v2, v2, v2
	v_max_f32_e32 v2, v4, v2
	v_cndmask_b32_e32 v4, v11, v5, vcc
	v_lshlrev_b32_e32 v5, 2, v4
	ds_bpermute_b32 v4, v5, v2
	v_cmp_lt_i32_e32 vcc, v6, v12
	s_waitcnt lgkmcnt(0)
	v_max_f32_e32 v4, v4, v4
	v_max_f32_e32 v4, v2, v4
	v_cndmask_b32_e32 v2, v11, v6, vcc
	v_lshlrev_b32_e32 v7, 2, v2
	ds_bpermute_b32 v6, v7, v4
	v_cmp_eq_u32_e32 vcc, 0, v20
	v_lshlrev_b32_e32 v2, 2, v1
	s_and_saveexec_b64 s[0:1], vcc
	s_cbranch_execz .LBB305_143
; %bb.142:
	s_waitcnt lgkmcnt(0)
	v_max_f32_e32 v6, v6, v6
	v_max_f32_e32 v4, v4, v4
	v_max_f32_e32 v4, v4, v6
	ds_write_b32 v2, v4 offset:512
.LBB305_143:
	s_or_b64 exec, exec, s[0:1]
	v_cmp_gt_u32_e64 s[0:1], 2, v20
	v_mov_b32_e32 v8, 0xff7fffff
	v_lshlrev_b32_e32 v4, 2, v20
	s_waitcnt lgkmcnt(0)
	s_barrier
	s_and_saveexec_b64 s[2:3], s[0:1]
	s_cbranch_execz .LBB305_145
; %bb.144:
	ds_read_b32 v8, v4 offset:512
.LBB305_145:
	s_or_b64 exec, exec, s[2:3]
	v_xor_b32_e32 v6, 1, v11
	v_cmp_lt_i32_e64 s[2:3], v6, v12
	v_lshlrev_b32_e32 v13, 2, v11
	s_nop 0
	v_cndmask_b32_e64 v6, v11, v6, s[2:3]
	v_lshlrev_b32_e32 v6, 2, v6
	s_waitcnt lgkmcnt(0)
	ds_bpermute_b32 v9, v6, v8
	v_max_f32_e32 v8, v8, v8
	s_lshl_b32 s2, s12, 3
	s_min_i32 s31, s2, s30
	v_cmp_gt_i32_e64 s[2:3], s31, v0
	s_waitcnt lgkmcnt(0)
	v_max_f32_e32 v9, v9, v9
	v_max_f32_e32 v9, v8, v9
	v_and_b32_e32 v8, 0xffffff00, v13
	ds_bpermute_b32 v13, v8, v9
	v_mov_b32_e32 v9, 0
	s_and_saveexec_b64 s[14:15], s[2:3]
	s_cbranch_execz .LBB305_149
; %bb.146:
	v_mov_b32_e32 v9, 0x210
	v_lshl_add_u32 v14, v0, 2, v9
	s_mov_b64 s[16:17], 0
	v_mov_b32_e32 v9, 0
	v_mov_b32_e32 v15, v0
.LBB305_147:                            ; =>This Inner Loop Header: Depth=1
	ds_read_b32 v16, v14
	v_add_u32_e32 v15, 0x80, v15
	v_cmp_le_i32_e64 s[8:9], s31, v15
	s_or_b64 s[16:17], s[8:9], s[16:17]
	s_waitcnt lgkmcnt(0)
	v_sub_f32_e32 v16, v16, v13
	v_mul_f32_e32 v16, 0x3fb8aa3b, v16
	v_exp_f32_e32 v16, v16
	ds_write_b32 v14, v16
	v_add_f32_e32 v9, v9, v16
	v_add_u32_e32 v14, 0x200, v14
	s_andn2_b64 exec, exec, s[16:17]
	s_cbranch_execnz .LBB305_147
; %bb.148:
	s_or_b64 exec, exec, s[16:17]
.LBB305_149:
	s_or_b64 exec, exec, s[14:15]
	ds_bpermute_b32 v3, v3, v9
	s_waitcnt lgkmcnt(0)
	v_add_f32_e32 v3, v9, v3
	ds_bpermute_b32 v5, v5, v3
	s_waitcnt lgkmcnt(0)
	v_add_f32_e32 v3, v3, v5
	ds_bpermute_b32 v5, v7, v3
	v_xor_b32_e32 v7, 4, v11
	v_cmp_lt_i32_e64 s[8:9], v7, v12
	s_waitcnt lgkmcnt(0)
	v_add_f32_e32 v3, v3, v5
	v_cndmask_b32_e64 v7, v11, v7, s[8:9]
	v_lshlrev_b32_e32 v7, 2, v7
	ds_bpermute_b32 v5, v7, v3
	v_xor_b32_e32 v7, 2, v11
	v_cmp_lt_i32_e64 s[8:9], v7, v12
	s_waitcnt lgkmcnt(0)
	v_add_f32_e32 v3, v3, v5
	v_cndmask_b32_e64 v7, v11, v7, s[8:9]
	v_lshlrev_b32_e32 v5, 2, v7
	ds_bpermute_b32 v5, v5, v3
	s_waitcnt lgkmcnt(0)
	v_add_f32_e32 v3, v3, v5
	ds_bpermute_b32 v5, v6, v3
	s_waitcnt lgkmcnt(0)
	v_add_f32_e32 v3, v3, v5
	s_and_saveexec_b64 s[8:9], vcc
	s_cbranch_execz .LBB305_151
; %bb.150:
	ds_write_b32 v2, v3 offset:520
.LBB305_151:
	s_or_b64 exec, exec, s[8:9]
	s_waitcnt lgkmcnt(0)
	s_barrier
	s_and_saveexec_b64 s[8:9], s[0:1]
	s_cbranch_execz .LBB305_153
; %bb.152:
	ds_read_b32 v3, v4 offset:520
.LBB305_153:
	s_or_b64 exec, exec, s[8:9]
	s_waitcnt lgkmcnt(0)
	ds_bpermute_b32 v2, v6, v3
	s_waitcnt lgkmcnt(0)
	v_add_f32_e32 v2, v3, v2
	ds_bpermute_b32 v2, v8, v2
	s_and_saveexec_b64 s[0:1], s[2:3]
	s_cbranch_execz .LBB305_166
; %bb.154:
	s_waitcnt lgkmcnt(0)
	v_add_f32_e32 v2, 0x358637bd, v2
	v_div_scale_f32 v3, s[2:3], v2, v2, 1.0
	v_rcp_f32_e32 v4, v3
	v_div_scale_f32 v5, vcc, 1.0, v2, 1.0
	s_movk_i32 s2, 0x7f
	v_fma_f32 v6, -v3, v4, 1.0
	v_fmac_f32_e32 v4, v6, v4
	v_mul_f32_e32 v6, v5, v4
	v_fma_f32 v7, -v3, v6, v5
	v_fmac_f32_e32 v6, v7, v4
	v_fma_f32 v3, -v3, v6, v5
	v_div_fmas_f32 v3, v3, v4, v6
	v_xad_u32 v4, v0, -1, s31
	v_div_fixup_f32 v2, v3, v2, 1.0
	v_cmp_lt_u32_e32 vcc, s2, v4
	s_mov_b64 s[8:9], -1
	v_mov_b32_e32 v3, v0
	s_and_saveexec_b64 s[2:3], vcc
	s_cbranch_execz .LBB305_163
; %bb.155:
	v_lshrrev_b32_e32 v4, 7, v4
	v_add_u32_e32 v6, -1, v4
	v_lshrrev_b32_e32 v5, 1, v6
	v_mov_b32_e32 v3, v2
	v_add_u32_e32 v5, 1, v5
	v_cmp_lt_u32_e32 vcc, 13, v6
	v_mov_b32_e32 v8, 0
	s_and_saveexec_b64 s[8:9], vcc
	s_cbranch_execz .LBB305_159
; %bb.156:
	v_mov_b32_e32 v7, 0x210
	v_and_b32_e32 v6, -8, v5
	v_lshl_add_u32 v7, v0, 2, v7
	s_mov_b32 s16, 0
	s_mov_b64 s[14:15], 0
.LBB305_157:                            ; =>This Inner Loop Header: Depth=1
	ds_read2st64_b32 v[8:9], v7 offset1:2
	ds_read2st64_b32 v[12:13], v7 offset0:4 offset1:6
	ds_read2st64_b32 v[14:15], v7 offset0:8 offset1:10
	;; [unrolled: 1-line block ×3, first 2 shown]
	v_add_u32_e32 v6, -8, v6
	s_waitcnt lgkmcnt(3)
	v_pk_mul_f32 v[8:9], v[2:3], v[8:9]
	s_waitcnt lgkmcnt(2)
	v_pk_mul_f32 v[12:13], v[2:3], v[12:13]
	ds_write2st64_b32 v7, v8, v9 offset1:2
	ds_write2st64_b32 v7, v12, v13 offset0:4 offset1:6
	ds_read2st64_b32 v[12:13], v7 offset0:16 offset1:18
	s_waitcnt lgkmcnt(4)
	v_pk_mul_f32 v[8:9], v[2:3], v[14:15]
	ds_write2st64_b32 v7, v8, v9 offset0:8 offset1:10
	s_waitcnt lgkmcnt(4)
	v_pk_mul_f32 v[8:9], v[2:3], v[16:17]
	ds_write2st64_b32 v7, v8, v9 offset0:12 offset1:14
	ds_read2st64_b32 v[8:9], v7 offset0:20 offset1:22
	s_waitcnt lgkmcnt(3)
	v_pk_mul_f32 v[12:13], v[2:3], v[12:13]
	ds_read2st64_b32 v[14:15], v7 offset0:24 offset1:26
	ds_write2st64_b32 v7, v12, v13 offset0:16 offset1:18
	ds_read2st64_b32 v[12:13], v7 offset0:28 offset1:30
	s_waitcnt lgkmcnt(3)
	v_pk_mul_f32 v[8:9], v[2:3], v[8:9]
	ds_write2st64_b32 v7, v8, v9 offset0:20 offset1:22
	s_waitcnt lgkmcnt(3)
	v_pk_mul_f32 v[8:9], v[2:3], v[14:15]
	ds_write2st64_b32 v7, v8, v9 offset0:24 offset1:26
	s_waitcnt lgkmcnt(2)
	v_pk_mul_f32 v[8:9], v[2:3], v[12:13]
	s_add_i32 s16, s16, 16
	v_cmp_eq_u32_e32 vcc, 0, v6
	ds_write2st64_b32 v7, v8, v9 offset0:28 offset1:30
	v_add_u32_e32 v7, 0x2000, v7
	s_or_b64 s[14:15], vcc, s[14:15]
	v_mov_b32_e32 v8, s16
	s_andn2_b64 exec, exec, s[14:15]
	s_cbranch_execnz .LBB305_157
; %bb.158:
	s_or_b64 exec, exec, s[14:15]
.LBB305_159:
	s_or_b64 exec, exec, s[8:9]
	v_and_b32_e32 v5, 7, v5
	v_cmp_ne_u32_e32 vcc, 0, v5
	s_and_saveexec_b64 s[8:9], vcc
	s_cbranch_execz .LBB305_162
; %bb.160:
	v_lshlrev_b32_e32 v6, 9, v8
	v_lshlrev_b32_e32 v7, 2, v0
	s_movk_i32 s14, 0x210
	v_add3_u32 v6, v6, v7, s14
	s_mov_b64 s[14:15], 0
.LBB305_161:                            ; =>This Inner Loop Header: Depth=1
	ds_read2st64_b32 v[8:9], v6 offset1:2
	v_add_u32_e32 v5, -1, v5
	v_cmp_eq_u32_e32 vcc, 0, v5
	s_or_b64 s[14:15], vcc, s[14:15]
	s_waitcnt lgkmcnt(0)
	v_pk_mul_f32 v[8:9], v[2:3], v[8:9]
	ds_write2st64_b32 v6, v8, v9 offset1:2
	v_add_u32_e32 v6, 0x400, v6
	s_andn2_b64 exec, exec, s[14:15]
	s_cbranch_execnz .LBB305_161
.LBB305_162:
	s_or_b64 exec, exec, s[8:9]
	v_add_u32_e32 v4, 1, v4
	v_and_b32_e32 v5, 0x3fffffe, v4
	v_cmp_ne_u32_e32 vcc, v4, v5
	v_lshl_add_u32 v3, v5, 7, v0
	s_orn2_b64 s[8:9], vcc, exec
.LBB305_163:
	s_or_b64 exec, exec, s[2:3]
	s_and_b64 exec, exec, s[8:9]
	s_cbranch_execz .LBB305_166
; %bb.164:
	v_mov_b32_e32 v4, 0x210
	v_lshl_add_u32 v4, v3, 2, v4
	s_mov_b64 s[2:3], 0
.LBB305_165:                            ; =>This Inner Loop Header: Depth=1
	ds_read_b32 v5, v4
	v_add_u32_e32 v3, 0x80, v3
	v_cmp_le_i32_e32 vcc, s31, v3
	s_or_b64 s[2:3], vcc, s[2:3]
	s_waitcnt lgkmcnt(0)
	v_mul_f32_e32 v5, v2, v5
	ds_write_b32 v4, v5
	v_add_u32_e32 v4, 0x200, v4
	s_andn2_b64 exec, exec, s[2:3]
	s_cbranch_execnz .LBB305_165
.LBB305_166:
	s_or_b64 exec, exec, s[0:1]
	s_mov_b32 s0, 0
	s_mov_b32 s2, s0
	;; [unrolled: 1-line block ×4, first 2 shown]
	s_waitcnt lgkmcnt(0)
	v_mov_b64_e32 v[4:5], s[2:3]
	v_mov_b64_e32 v[2:3], s[0:1]
	s_barrier
	s_and_saveexec_b64 s[2:3], s[6:7]
	s_cbranch_execz .LBB305_466
; %bb.167:
	s_ashr_i32 s1, s25, 31
	s_add_u32 s0, s10, s25
	s_addc_u32 s1, s11, s1
	v_lshlrev_b32_e32 v14, 3, v20
	s_load_dword s10, s[18:19], 0x0
	v_mov_b32_e32 v15, 0
	s_add_i32 s11, s12, -1
	v_lshl_add_u64 v[16:17], s[0:1], 0, v[14:15]
	s_lshl_b64 s[0:1], s[28:29], 2
	s_add_u32 s0, s26, s0
	v_mov_b32_e32 v2, 0x210
	v_and_b32_e32 v14, 60, v10
	s_addc_u32 s1, s27, s1
	v_lshl_or_b32 v21, v1, 3, 7
	v_lshl_add_u32 v22, v1, 5, v2
	v_lshl_add_u64 v[18:19], s[0:1], 0, v[14:15]
	s_mov_b64 s[6:7], 0
	s_mov_b32 s14, 0x7f800000
	s_movk_i32 s15, 0x7fff
	v_mov_b32_e32 v2, 0
	v_mov_b32_e32 v3, 0
	;; [unrolled: 1-line block ×4, first 2 shown]
	s_branch .LBB305_169
.LBB305_168:                            ;   in Loop: Header=BB305_169 Depth=1
	s_or_b64 exec, exec, s[0:1]
	v_and_b32_e32 v37, 0xffff0000, v13
	v_and_b32_e32 v36, 0xffff0000, v11
	;; [unrolled: 1-line block ×8, first 2 shown]
	v_pk_add_f32 v[10:11], v[10:11], v[36:37]
	v_pk_add_f32 v[12:13], v[34:35], v[32:33]
	v_add_f32_e32 v10, v10, v11
	v_add_f32_e32 v10, v10, v12
	v_add_f32_e32 v10, v10, v13
	v_and_b32_e32 v33, 0xffff0000, v44
	v_and_b32_e32 v32, 0xffff0000, v42
	v_and_b32_e32 v35, 0xffff0000, v43
	v_and_b32_e32 v34, 0xffff0000, v41
	v_add_f32_e32 v2, v2, v10
	v_and_b32_e32 v11, 0xffff0000, v48
	v_and_b32_e32 v10, 0xffff0000, v46
	v_and_b32_e32 v13, 0xffff0000, v47
	v_and_b32_e32 v12, 0xffff0000, v45
	v_pk_add_f32 v[32:33], v[34:35], v[32:33]
	v_pk_add_f32 v[10:11], v[12:13], v[10:11]
	v_add_f32_e32 v12, v32, v33
	v_add_f32_e32 v10, v12, v10
	v_add_f32_e32 v10, v10, v11
	v_and_b32_e32 v33, 0xffff0000, v50
	v_and_b32_e32 v32, 0xffff0000, v9
	v_and_b32_e32 v9, 0xffff0000, v49
	v_and_b32_e32 v8, 0xffff0000, v8
	v_add_f32_e32 v3, v3, v10
	v_and_b32_e32 v11, 0xffff0000, v54
	v_and_b32_e32 v10, 0xffff0000, v52
	v_and_b32_e32 v13, 0xffff0000, v53
	v_and_b32_e32 v12, 0xffff0000, v51
	;; [unrolled: 14-line block ×3, first 2 shown]
	v_pk_add_f32 v[6:7], v[6:7], v[12:13]
	v_pk_add_f32 v[8:9], v[10:11], v[8:9]
	v_add_f32_e32 v6, v6, v7
	v_add_f32_e32 v6, v6, v8
	v_add_u32_e32 v1, 2, v1
	v_add_f32_e32 v6, v6, v9
	v_cmp_le_i32_e32 vcc, s12, v1
	v_add_f32_e32 v5, v5, v6
	v_add_u32_e32 v21, 16, v21
	v_add_u32_e32 v22, 64, v22
	s_or_b64 s[6:7], vcc, s[6:7]
	v_lshl_add_u64 v[18:19], v[18:19], 0, 8
	s_andn2_b64 exec, exec, s[6:7]
	s_cbranch_execz .LBB305_465
.LBB305_169:                            ; =>This Inner Loop Header: Depth=1
	global_load_dword v25, v[18:19], off
	ds_read2_b64 v[10:13], v22 offset1:1
	ds_read2_b64 v[6:9], v22 offset0:2 offset1:3
                                        ; implicit-def: $vgpr33
	s_waitcnt lgkmcnt(0)
	v_and_b32_e32 v14, 0x7f800000, v10
	v_cmp_ne_u32_e32 vcc, s14, v14
	s_and_saveexec_b64 s[0:1], vcc
	s_xor_b64 s[0:1], exec, s[0:1]
; %bb.170:                              ;   in Loop: Header=BB305_169 Depth=1
	v_bfe_u32 v14, v10, 16, 1
	v_add3_u32 v33, v10, v14, s15
; %bb.171:                              ;   in Loop: Header=BB305_169 Depth=1
	s_andn2_saveexec_b64 s[0:1], s[0:1]
; %bb.172:                              ;   in Loop: Header=BB305_169 Depth=1
	v_or_b32_e32 v14, 0x10000, v10
	v_cmp_eq_u32_sdwa vcc, v10, v15 src0_sel:WORD_0 src1_sel:DWORD
	s_nop 1
	v_cndmask_b32_e32 v33, v14, v10, vcc
; %bb.173:                              ;   in Loop: Header=BB305_169 Depth=1
	s_or_b64 exec, exec, s[0:1]
	v_and_b32_e32 v10, 0x7f800000, v11
	v_cmp_ne_u32_e32 vcc, s14, v10
                                        ; implicit-def: $vgpr34
	s_and_saveexec_b64 s[0:1], vcc
	s_xor_b64 s[0:1], exec, s[0:1]
; %bb.174:                              ;   in Loop: Header=BB305_169 Depth=1
	v_bfe_u32 v10, v11, 16, 1
	v_add3_u32 v34, v11, v10, s15
; %bb.175:                              ;   in Loop: Header=BB305_169 Depth=1
	s_andn2_saveexec_b64 s[0:1], s[0:1]
; %bb.176:                              ;   in Loop: Header=BB305_169 Depth=1
	v_or_b32_e32 v10, 0x10000, v11
	v_cmp_eq_u32_sdwa vcc, v11, v15 src0_sel:WORD_0 src1_sel:DWORD
	s_nop 1
	v_cndmask_b32_e32 v34, v10, v11, vcc
; %bb.177:                              ;   in Loop: Header=BB305_169 Depth=1
	s_or_b64 exec, exec, s[0:1]
	v_and_b32_e32 v10, 0x7f800000, v12
	v_cmp_ne_u32_e32 vcc, s14, v10
                                        ; implicit-def: $vgpr35
	s_and_saveexec_b64 s[0:1], vcc
	s_xor_b64 s[0:1], exec, s[0:1]
; %bb.178:                              ;   in Loop: Header=BB305_169 Depth=1
	v_bfe_u32 v10, v12, 16, 1
	v_add3_u32 v35, v12, v10, s15
; %bb.179:                              ;   in Loop: Header=BB305_169 Depth=1
	s_andn2_saveexec_b64 s[0:1], s[0:1]
; %bb.180:                              ;   in Loop: Header=BB305_169 Depth=1
	v_or_b32_e32 v10, 0x10000, v12
	v_cmp_eq_u32_sdwa vcc, v12, v15 src0_sel:WORD_0 src1_sel:DWORD
	s_nop 1
	v_cndmask_b32_e32 v35, v10, v12, vcc
; %bb.181:                              ;   in Loop: Header=BB305_169 Depth=1
	s_or_b64 exec, exec, s[0:1]
	v_and_b32_e32 v10, 0x7f800000, v13
	v_cmp_ne_u32_e32 vcc, s14, v10
                                        ; implicit-def: $vgpr36
	s_and_saveexec_b64 s[0:1], vcc
	s_xor_b64 s[0:1], exec, s[0:1]
; %bb.182:                              ;   in Loop: Header=BB305_169 Depth=1
	v_bfe_u32 v10, v13, 16, 1
	v_add3_u32 v36, v13, v10, s15
                                        ; implicit-def: $vgpr10_vgpr11_vgpr12_vgpr13
; %bb.183:                              ;   in Loop: Header=BB305_169 Depth=1
	s_andn2_saveexec_b64 s[0:1], s[0:1]
; %bb.184:                              ;   in Loop: Header=BB305_169 Depth=1
	v_or_b32_e32 v10, 0x10000, v13
	v_cmp_eq_u32_sdwa vcc, v13, v15 src0_sel:WORD_0 src1_sel:DWORD
	s_nop 1
	v_cndmask_b32_e32 v36, v10, v13, vcc
; %bb.185:                              ;   in Loop: Header=BB305_169 Depth=1
	s_or_b64 exec, exec, s[0:1]
	v_and_b32_e32 v10, 0x7f800000, v6
	v_cmp_ne_u32_e32 vcc, s14, v10
                                        ; implicit-def: $vgpr14
	s_and_saveexec_b64 s[0:1], vcc
	s_xor_b64 s[0:1], exec, s[0:1]
; %bb.186:                              ;   in Loop: Header=BB305_169 Depth=1
	v_bfe_u32 v10, v6, 16, 1
	v_add3_u32 v14, v6, v10, s15
; %bb.187:                              ;   in Loop: Header=BB305_169 Depth=1
	s_andn2_saveexec_b64 s[0:1], s[0:1]
; %bb.188:                              ;   in Loop: Header=BB305_169 Depth=1
	v_or_b32_e32 v10, 0x10000, v6
	v_cmp_eq_u32_sdwa vcc, v6, v15 src0_sel:WORD_0 src1_sel:DWORD
	s_nop 1
	v_cndmask_b32_e32 v14, v10, v6, vcc
; %bb.189:                              ;   in Loop: Header=BB305_169 Depth=1
	s_or_b64 exec, exec, s[0:1]
	v_and_b32_e32 v6, 0x7f800000, v7
	v_cmp_ne_u32_e32 vcc, s14, v6
                                        ; implicit-def: $vgpr23
	s_and_saveexec_b64 s[0:1], vcc
	s_xor_b64 s[0:1], exec, s[0:1]
; %bb.190:                              ;   in Loop: Header=BB305_169 Depth=1
	v_bfe_u32 v6, v7, 16, 1
	v_add3_u32 v23, v7, v6, s15
; %bb.191:                              ;   in Loop: Header=BB305_169 Depth=1
	s_andn2_saveexec_b64 s[0:1], s[0:1]
; %bb.192:                              ;   in Loop: Header=BB305_169 Depth=1
	v_or_b32_e32 v6, 0x10000, v7
	v_cmp_eq_u32_sdwa vcc, v7, v15 src0_sel:WORD_0 src1_sel:DWORD
	s_nop 1
	v_cndmask_b32_e32 v23, v6, v7, vcc
; %bb.193:                              ;   in Loop: Header=BB305_169 Depth=1
	s_or_b64 exec, exec, s[0:1]
	v_and_b32_e32 v6, 0x7f800000, v8
	v_cmp_ne_u32_e32 vcc, s14, v6
                                        ; implicit-def: $vgpr24
	s_and_saveexec_b64 s[0:1], vcc
	s_xor_b64 s[0:1], exec, s[0:1]
; %bb.194:                              ;   in Loop: Header=BB305_169 Depth=1
	v_bfe_u32 v6, v8, 16, 1
	v_add3_u32 v24, v8, v6, s15
; %bb.195:                              ;   in Loop: Header=BB305_169 Depth=1
	s_andn2_saveexec_b64 s[0:1], s[0:1]
; %bb.196:                              ;   in Loop: Header=BB305_169 Depth=1
	v_or_b32_e32 v6, 0x10000, v8
	v_cmp_eq_u32_sdwa vcc, v8, v15 src0_sel:WORD_0 src1_sel:DWORD
	s_nop 1
	v_cndmask_b32_e32 v24, v6, v8, vcc
; %bb.197:                              ;   in Loop: Header=BB305_169 Depth=1
	s_or_b64 exec, exec, s[0:1]
	v_and_b32_e32 v6, 0x7f800000, v9
	v_cmp_ne_u32_e32 vcc, s14, v6
                                        ; implicit-def: $vgpr32
	s_and_saveexec_b64 s[0:1], vcc
	s_xor_b64 s[0:1], exec, s[0:1]
; %bb.198:                              ;   in Loop: Header=BB305_169 Depth=1
	v_bfe_u32 v6, v9, 16, 1
	v_add3_u32 v32, v9, v6, s15
                                        ; implicit-def: $vgpr6_vgpr7_vgpr8_vgpr9
; %bb.199:                              ;   in Loop: Header=BB305_169 Depth=1
	s_andn2_saveexec_b64 s[0:1], s[0:1]
; %bb.200:                              ;   in Loop: Header=BB305_169 Depth=1
	v_or_b32_e32 v6, 0x10000, v9
	v_cmp_eq_u32_sdwa vcc, v9, v15 src0_sel:WORD_0 src1_sel:DWORD
	s_nop 1
	v_cndmask_b32_e32 v32, v6, v9, vcc
; %bb.201:                              ;   in Loop: Header=BB305_169 Depth=1
	s_or_b64 exec, exec, s[0:1]
	s_waitcnt vmcnt(0)
	v_mad_i64_i32 v[6:7], s[0:1], v25, s13, v[16:17]
	global_load_dwordx2 v[8:9], v[6:7], off
	s_waitcnt vmcnt(0)
	v_and_b32_e32 v10, 0xff, v8
	v_cvt_f32_fp8_sdwa v10, v10 src0_sel:BYTE_0
	s_nop 0
	v_mul_f32_e32 v11, s10, v10
	v_and_b32_e32 v10, 0x7f800000, v11
	v_cmp_ne_u32_e32 vcc, s14, v10
                                        ; implicit-def: $vgpr10
	s_and_saveexec_b64 s[0:1], vcc
	s_xor_b64 s[0:1], exec, s[0:1]
; %bb.202:                              ;   in Loop: Header=BB305_169 Depth=1
	v_bfe_u32 v10, v11, 16, 1
	v_add3_u32 v10, v11, v10, s15
                                        ; implicit-def: $vgpr11
; %bb.203:                              ;   in Loop: Header=BB305_169 Depth=1
	s_andn2_saveexec_b64 s[0:1], s[0:1]
; %bb.204:                              ;   in Loop: Header=BB305_169 Depth=1
	v_or_b32_e32 v10, 0x10000, v11
	v_cmp_eq_u32_sdwa vcc, v11, v15 src0_sel:WORD_0 src1_sel:DWORD
	s_nop 1
	v_cndmask_b32_e32 v10, v10, v11, vcc
; %bb.205:                              ;   in Loop: Header=BB305_169 Depth=1
	s_or_b64 exec, exec, s[0:1]
	v_bfe_u32 v11, v8, 8, 8
	v_cvt_f32_fp8_sdwa v11, v11 src0_sel:BYTE_0
	s_nop 0
	v_mul_f32_e32 v12, s10, v11
	v_and_b32_e32 v11, 0x7f800000, v12
	v_cmp_ne_u32_e32 vcc, s14, v11
                                        ; implicit-def: $vgpr11
	s_and_saveexec_b64 s[0:1], vcc
	s_xor_b64 s[0:1], exec, s[0:1]
; %bb.206:                              ;   in Loop: Header=BB305_169 Depth=1
	v_bfe_u32 v11, v12, 16, 1
	v_add3_u32 v11, v12, v11, s15
                                        ; implicit-def: $vgpr12
; %bb.207:                              ;   in Loop: Header=BB305_169 Depth=1
	s_andn2_saveexec_b64 s[0:1], s[0:1]
; %bb.208:                              ;   in Loop: Header=BB305_169 Depth=1
	v_or_b32_e32 v11, 0x10000, v12
	v_cmp_eq_u32_sdwa vcc, v12, v15 src0_sel:WORD_0 src1_sel:DWORD
	s_nop 1
	v_cndmask_b32_e32 v11, v11, v12, vcc
; %bb.209:                              ;   in Loop: Header=BB305_169 Depth=1
	s_or_b64 exec, exec, s[0:1]
	v_bfe_u32 v12, v8, 16, 8
	v_cvt_f32_fp8_sdwa v12, v12 src0_sel:BYTE_0
	s_nop 0
	v_mul_f32_e32 v13, s10, v12
	v_and_b32_e32 v12, 0x7f800000, v13
	v_cmp_ne_u32_e32 vcc, s14, v12
                                        ; implicit-def: $vgpr12
	s_and_saveexec_b64 s[0:1], vcc
	s_xor_b64 s[0:1], exec, s[0:1]
; %bb.210:                              ;   in Loop: Header=BB305_169 Depth=1
	v_bfe_u32 v12, v13, 16, 1
	v_add3_u32 v12, v13, v12, s15
                                        ; implicit-def: $vgpr13
; %bb.211:                              ;   in Loop: Header=BB305_169 Depth=1
	s_andn2_saveexec_b64 s[0:1], s[0:1]
; %bb.212:                              ;   in Loop: Header=BB305_169 Depth=1
	v_or_b32_e32 v12, 0x10000, v13
	v_cmp_eq_u32_sdwa vcc, v13, v15 src0_sel:WORD_0 src1_sel:DWORD
	s_nop 1
	v_cndmask_b32_e32 v12, v12, v13, vcc
; %bb.213:                              ;   in Loop: Header=BB305_169 Depth=1
	s_or_b64 exec, exec, s[0:1]
	v_lshrrev_b32_e32 v8, 24, v8
	v_cvt_f32_fp8_sdwa v8, v8 src0_sel:BYTE_0
	s_nop 0
	v_mul_f32_e32 v13, s10, v8
	v_and_b32_e32 v8, 0x7f800000, v13
	v_cmp_ne_u32_e32 vcc, s14, v8
                                        ; implicit-def: $vgpr8
	s_and_saveexec_b64 s[0:1], vcc
	s_xor_b64 s[0:1], exec, s[0:1]
; %bb.214:                              ;   in Loop: Header=BB305_169 Depth=1
	v_bfe_u32 v8, v13, 16, 1
	v_add3_u32 v8, v13, v8, s15
                                        ; implicit-def: $vgpr13
; %bb.215:                              ;   in Loop: Header=BB305_169 Depth=1
	s_andn2_saveexec_b64 s[0:1], s[0:1]
; %bb.216:                              ;   in Loop: Header=BB305_169 Depth=1
	v_or_b32_e32 v8, 0x10000, v13
	v_cmp_eq_u32_sdwa vcc, v13, v15 src0_sel:WORD_0 src1_sel:DWORD
	s_nop 1
	v_cndmask_b32_e32 v8, v8, v13, vcc
; %bb.217:                              ;   in Loop: Header=BB305_169 Depth=1
	s_or_b64 exec, exec, s[0:1]
	v_and_b32_e32 v13, 0xff, v9
	v_cvt_f32_fp8_sdwa v13, v13 src0_sel:BYTE_0
	s_nop 0
	v_mul_f32_e32 v25, s10, v13
	v_and_b32_e32 v13, 0x7f800000, v25
	v_cmp_ne_u32_e32 vcc, s14, v13
                                        ; implicit-def: $vgpr13
	s_and_saveexec_b64 s[0:1], vcc
	s_xor_b64 s[0:1], exec, s[0:1]
; %bb.218:                              ;   in Loop: Header=BB305_169 Depth=1
	v_bfe_u32 v13, v25, 16, 1
	v_add3_u32 v13, v25, v13, s15
                                        ; implicit-def: $vgpr25
; %bb.219:                              ;   in Loop: Header=BB305_169 Depth=1
	s_andn2_saveexec_b64 s[0:1], s[0:1]
; %bb.220:                              ;   in Loop: Header=BB305_169 Depth=1
	v_or_b32_e32 v13, 0x10000, v25
	v_cmp_eq_u32_sdwa vcc, v25, v15 src0_sel:WORD_0 src1_sel:DWORD
	s_nop 1
	v_cndmask_b32_e32 v13, v13, v25, vcc
; %bb.221:                              ;   in Loop: Header=BB305_169 Depth=1
	s_or_b64 exec, exec, s[0:1]
	v_bfe_u32 v25, v9, 8, 8
	v_cvt_f32_fp8_sdwa v25, v25 src0_sel:BYTE_0
	s_nop 0
	v_mul_f32_e32 v25, s10, v25
	v_and_b32_e32 v26, 0x7f800000, v25
	v_cmp_ne_u32_e32 vcc, s14, v26
                                        ; implicit-def: $vgpr26
	s_and_saveexec_b64 s[0:1], vcc
	s_xor_b64 s[0:1], exec, s[0:1]
; %bb.222:                              ;   in Loop: Header=BB305_169 Depth=1
	v_bfe_u32 v26, v25, 16, 1
	v_add3_u32 v26, v25, v26, s15
                                        ; implicit-def: $vgpr25
; %bb.223:                              ;   in Loop: Header=BB305_169 Depth=1
	s_andn2_saveexec_b64 s[0:1], s[0:1]
; %bb.224:                              ;   in Loop: Header=BB305_169 Depth=1
	v_or_b32_e32 v26, 0x10000, v25
	v_cmp_eq_u32_sdwa vcc, v25, v15 src0_sel:WORD_0 src1_sel:DWORD
	s_nop 1
	v_cndmask_b32_e32 v26, v26, v25, vcc
; %bb.225:                              ;   in Loop: Header=BB305_169 Depth=1
	s_or_b64 exec, exec, s[0:1]
	v_bfe_u32 v25, v9, 16, 8
	v_cvt_f32_fp8_sdwa v25, v25 src0_sel:BYTE_0
	s_nop 0
	v_mul_f32_e32 v25, s10, v25
	v_and_b32_e32 v27, 0x7f800000, v25
	v_cmp_ne_u32_e32 vcc, s14, v27
                                        ; implicit-def: $vgpr27
	s_and_saveexec_b64 s[0:1], vcc
	s_xor_b64 s[0:1], exec, s[0:1]
; %bb.226:                              ;   in Loop: Header=BB305_169 Depth=1
	v_bfe_u32 v27, v25, 16, 1
	v_add3_u32 v27, v25, v27, s15
                                        ; implicit-def: $vgpr25
; %bb.227:                              ;   in Loop: Header=BB305_169 Depth=1
	s_andn2_saveexec_b64 s[0:1], s[0:1]
; %bb.228:                              ;   in Loop: Header=BB305_169 Depth=1
	v_or_b32_e32 v27, 0x10000, v25
	v_cmp_eq_u32_sdwa vcc, v25, v15 src0_sel:WORD_0 src1_sel:DWORD
	s_nop 1
	v_cndmask_b32_e32 v27, v27, v25, vcc
; %bb.229:                              ;   in Loop: Header=BB305_169 Depth=1
	s_or_b64 exec, exec, s[0:1]
	v_lshrrev_b32_e32 v9, 24, v9
	v_cvt_f32_fp8_sdwa v9, v9 src0_sel:BYTE_0
                                        ; implicit-def: $vgpr28
	s_nop 0
	v_mul_f32_e32 v9, s10, v9
	v_and_b32_e32 v25, 0x7f800000, v9
	v_cmp_ne_u32_e32 vcc, s14, v25
	s_and_saveexec_b64 s[0:1], vcc
	s_xor_b64 s[0:1], exec, s[0:1]
; %bb.230:                              ;   in Loop: Header=BB305_169 Depth=1
	v_bfe_u32 v25, v9, 16, 1
	v_add3_u32 v28, v9, v25, s15
                                        ; implicit-def: $vgpr9
; %bb.231:                              ;   in Loop: Header=BB305_169 Depth=1
	s_andn2_saveexec_b64 s[0:1], s[0:1]
; %bb.232:                              ;   in Loop: Header=BB305_169 Depth=1
	v_or_b32_e32 v25, 0x10000, v9
	v_cmp_eq_u32_sdwa vcc, v9, v15 src0_sel:WORD_0 src1_sel:DWORD
	s_nop 1
	v_cndmask_b32_e32 v28, v25, v9, vcc
; %bb.233:                              ;   in Loop: Header=BB305_169 Depth=1
	s_or_b64 exec, exec, s[0:1]
	v_cmp_eq_u32_e32 vcc, s11, v1
	v_add_u32_e32 v25, -7, v21
	v_lshrrev_b32_e32 v39, 16, v26
	v_lshrrev_b32_e32 v38, 16, v13
	;; [unrolled: 1-line block ×8, first 2 shown]
	v_add_u32_e32 v31, -6, v21
	v_add_u32_e32 v30, -5, v21
	;; [unrolled: 1-line block ×6, first 2 shown]
	s_and_saveexec_b64 s[8:9], vcc
	s_cbranch_execz .LBB305_235
; %bb.234:                              ;   in Loop: Header=BB305_169 Depth=1
	v_cmp_gt_i32_e64 s[0:1], s30, v25
	s_nop 1
	v_cndmask_b32_e64 v10, 0, v10, s[0:1]
	v_cmp_gt_i32_e64 s[0:1], s30, v31
	s_nop 1
	v_cndmask_b32_e64 v11, 0, v11, s[0:1]
	v_cmp_gt_i32_e64 s[0:1], s30, v30
	s_nop 1
	v_cndmask_b32_e64 v12, 0, v12, s[0:1]
	v_cmp_gt_i32_e64 s[0:1], s30, v29
	s_nop 1
	v_cndmask_b32_e64 v13, 0, v13, s[0:1]
	v_cmp_gt_i32_e64 s[0:1], s30, v28
	s_nop 1
	v_cndmask_b32_e64 v38, 0, v38, s[0:1]
	v_cmp_gt_i32_e64 s[0:1], s30, v27
	s_nop 1
	v_cndmask_b32_e64 v39, 0, v39, s[0:1]
	v_cmp_gt_i32_e64 s[0:1], s30, v26
	s_nop 1
	v_cndmask_b32_e64 v9, 0, v9, s[0:1]
	v_cmp_gt_i32_e64 s[0:1], s30, v21
	s_nop 1
	v_cndmask_b32_e64 v8, 0, v8, s[0:1]
.LBB305_235:                            ;   in Loop: Header=BB305_169 Depth=1
	s_or_b64 exec, exec, s[8:9]
	v_and_b32_e32 v33, 0xffff0000, v33
	v_lshlrev_b32_e32 v10, 16, v10
	v_mul_f32_e32 v37, v33, v10
	v_and_b32_e32 v10, 0x7f800000, v37
	v_cmp_ne_u32_e64 s[0:1], s14, v10
                                        ; implicit-def: $vgpr10
	s_and_saveexec_b64 s[8:9], s[0:1]
	s_xor_b64 s[0:1], exec, s[8:9]
; %bb.236:                              ;   in Loop: Header=BB305_169 Depth=1
	v_bfe_u32 v10, v37, 16, 1
	v_add3_u32 v10, v37, v10, s15
                                        ; implicit-def: $vgpr37
; %bb.237:                              ;   in Loop: Header=BB305_169 Depth=1
	s_andn2_saveexec_b64 s[8:9], s[0:1]
; %bb.238:                              ;   in Loop: Header=BB305_169 Depth=1
	v_or_b32_e32 v10, 0x10000, v37
	v_cmp_eq_u32_sdwa s[0:1], v37, v15 src0_sel:WORD_0 src1_sel:DWORD
	s_nop 1
	v_cndmask_b32_e64 v10, v10, v37, s[0:1]
; %bb.239:                              ;   in Loop: Header=BB305_169 Depth=1
	s_or_b64 exec, exec, s[8:9]
	v_and_b32_e32 v34, 0xffff0000, v34
	v_lshlrev_b32_e32 v11, 16, v11
	v_mul_f32_e32 v37, v34, v11
	v_and_b32_e32 v11, 0x7f800000, v37
	v_cmp_ne_u32_e64 s[0:1], s14, v11
                                        ; implicit-def: $vgpr11
	s_and_saveexec_b64 s[8:9], s[0:1]
	s_xor_b64 s[0:1], exec, s[8:9]
; %bb.240:                              ;   in Loop: Header=BB305_169 Depth=1
	v_bfe_u32 v11, v37, 16, 1
	v_add3_u32 v11, v37, v11, s15
                                        ; implicit-def: $vgpr37
; %bb.241:                              ;   in Loop: Header=BB305_169 Depth=1
	s_andn2_saveexec_b64 s[8:9], s[0:1]
; %bb.242:                              ;   in Loop: Header=BB305_169 Depth=1
	v_or_b32_e32 v11, 0x10000, v37
	v_cmp_eq_u32_sdwa s[0:1], v37, v15 src0_sel:WORD_0 src1_sel:DWORD
	s_nop 1
	v_cndmask_b32_e64 v11, v11, v37, s[0:1]
; %bb.243:                              ;   in Loop: Header=BB305_169 Depth=1
	s_or_b64 exec, exec, s[8:9]
	v_and_b32_e32 v35, 0xffff0000, v35
	v_lshlrev_b32_e32 v12, 16, v12
	v_mul_f32_e32 v37, v35, v12
	v_and_b32_e32 v12, 0x7f800000, v37
	v_cmp_ne_u32_e64 s[0:1], s14, v12
                                        ; implicit-def: $vgpr12
	s_and_saveexec_b64 s[8:9], s[0:1]
	s_xor_b64 s[0:1], exec, s[8:9]
; %bb.244:                              ;   in Loop: Header=BB305_169 Depth=1
	v_bfe_u32 v12, v37, 16, 1
	v_add3_u32 v12, v37, v12, s15
                                        ; implicit-def: $vgpr37
; %bb.245:                              ;   in Loop: Header=BB305_169 Depth=1
	s_andn2_saveexec_b64 s[8:9], s[0:1]
; %bb.246:                              ;   in Loop: Header=BB305_169 Depth=1
	v_or_b32_e32 v12, 0x10000, v37
	v_cmp_eq_u32_sdwa s[0:1], v37, v15 src0_sel:WORD_0 src1_sel:DWORD
	s_nop 1
	v_cndmask_b32_e64 v12, v12, v37, s[0:1]
; %bb.247:                              ;   in Loop: Header=BB305_169 Depth=1
	s_or_b64 exec, exec, s[8:9]
	v_and_b32_e32 v36, 0xffff0000, v36
	v_lshlrev_b32_e32 v13, 16, v13
	v_mul_f32_e32 v37, v36, v13
	v_and_b32_e32 v13, 0x7f800000, v37
	v_cmp_ne_u32_e64 s[0:1], s14, v13
                                        ; implicit-def: $vgpr13
	s_and_saveexec_b64 s[8:9], s[0:1]
	s_xor_b64 s[0:1], exec, s[8:9]
; %bb.248:                              ;   in Loop: Header=BB305_169 Depth=1
	v_bfe_u32 v13, v37, 16, 1
	v_add3_u32 v13, v37, v13, s15
                                        ; implicit-def: $vgpr37
; %bb.249:                              ;   in Loop: Header=BB305_169 Depth=1
	s_andn2_saveexec_b64 s[8:9], s[0:1]
; %bb.250:                              ;   in Loop: Header=BB305_169 Depth=1
	v_or_b32_e32 v13, 0x10000, v37
	v_cmp_eq_u32_sdwa s[0:1], v37, v15 src0_sel:WORD_0 src1_sel:DWORD
	s_nop 1
	v_cndmask_b32_e64 v13, v13, v37, s[0:1]
; %bb.251:                              ;   in Loop: Header=BB305_169 Depth=1
	s_or_b64 exec, exec, s[8:9]
	v_and_b32_e32 v37, 0xffff0000, v14
	v_lshlrev_b32_e32 v14, 16, v38
	v_mul_f32_e32 v38, v37, v14
	v_and_b32_e32 v14, 0x7f800000, v38
	v_cmp_ne_u32_e64 s[0:1], s14, v14
                                        ; implicit-def: $vgpr14
	s_and_saveexec_b64 s[8:9], s[0:1]
	s_xor_b64 s[0:1], exec, s[8:9]
; %bb.252:                              ;   in Loop: Header=BB305_169 Depth=1
	v_bfe_u32 v14, v38, 16, 1
	v_add3_u32 v14, v38, v14, s15
                                        ; implicit-def: $vgpr38
; %bb.253:                              ;   in Loop: Header=BB305_169 Depth=1
	s_andn2_saveexec_b64 s[8:9], s[0:1]
; %bb.254:                              ;   in Loop: Header=BB305_169 Depth=1
	v_or_b32_e32 v14, 0x10000, v38
	v_cmp_eq_u32_sdwa s[0:1], v38, v15 src0_sel:WORD_0 src1_sel:DWORD
	s_nop 1
	v_cndmask_b32_e64 v14, v14, v38, s[0:1]
; %bb.255:                              ;   in Loop: Header=BB305_169 Depth=1
	s_or_b64 exec, exec, s[8:9]
	v_and_b32_e32 v38, 0xffff0000, v23
	v_lshlrev_b32_e32 v23, 16, v39
	v_mul_f32_e32 v39, v38, v23
	v_and_b32_e32 v23, 0x7f800000, v39
	v_cmp_ne_u32_e64 s[0:1], s14, v23
                                        ; implicit-def: $vgpr23
	s_and_saveexec_b64 s[8:9], s[0:1]
	s_xor_b64 s[0:1], exec, s[8:9]
; %bb.256:                              ;   in Loop: Header=BB305_169 Depth=1
	v_bfe_u32 v23, v39, 16, 1
	v_add3_u32 v23, v39, v23, s15
                                        ; implicit-def: $vgpr39
; %bb.257:                              ;   in Loop: Header=BB305_169 Depth=1
	s_andn2_saveexec_b64 s[8:9], s[0:1]
; %bb.258:                              ;   in Loop: Header=BB305_169 Depth=1
	v_or_b32_e32 v23, 0x10000, v39
	v_cmp_eq_u32_sdwa s[0:1], v39, v15 src0_sel:WORD_0 src1_sel:DWORD
	s_nop 1
	v_cndmask_b32_e64 v23, v23, v39, s[0:1]
; %bb.259:                              ;   in Loop: Header=BB305_169 Depth=1
	s_or_b64 exec, exec, s[8:9]
	v_and_b32_e32 v39, 0xffff0000, v24
	v_lshlrev_b32_e32 v9, 16, v9
	v_mul_f32_e32 v9, v39, v9
	v_and_b32_e32 v24, 0x7f800000, v9
	v_cmp_ne_u32_e64 s[0:1], s14, v24
                                        ; implicit-def: $vgpr24
	s_and_saveexec_b64 s[8:9], s[0:1]
	s_xor_b64 s[0:1], exec, s[8:9]
; %bb.260:                              ;   in Loop: Header=BB305_169 Depth=1
	v_bfe_u32 v24, v9, 16, 1
	v_add3_u32 v24, v9, v24, s15
                                        ; implicit-def: $vgpr9
; %bb.261:                              ;   in Loop: Header=BB305_169 Depth=1
	s_andn2_saveexec_b64 s[8:9], s[0:1]
; %bb.262:                              ;   in Loop: Header=BB305_169 Depth=1
	v_or_b32_e32 v24, 0x10000, v9
	v_cmp_eq_u32_sdwa s[0:1], v9, v15 src0_sel:WORD_0 src1_sel:DWORD
	s_nop 1
	v_cndmask_b32_e64 v24, v24, v9, s[0:1]
; %bb.263:                              ;   in Loop: Header=BB305_169 Depth=1
	s_or_b64 exec, exec, s[8:9]
	v_and_b32_e32 v40, 0xffff0000, v32
	v_lshlrev_b32_e32 v8, 16, v8
	v_mul_f32_e32 v8, v40, v8
	v_and_b32_e32 v9, 0x7f800000, v8
	v_cmp_ne_u32_e64 s[0:1], s14, v9
                                        ; implicit-def: $vgpr32
	s_and_saveexec_b64 s[8:9], s[0:1]
	s_xor_b64 s[0:1], exec, s[8:9]
; %bb.264:                              ;   in Loop: Header=BB305_169 Depth=1
	v_bfe_u32 v9, v8, 16, 1
	v_add3_u32 v32, v8, v9, s15
                                        ; implicit-def: $vgpr8
; %bb.265:                              ;   in Loop: Header=BB305_169 Depth=1
	s_andn2_saveexec_b64 s[8:9], s[0:1]
; %bb.266:                              ;   in Loop: Header=BB305_169 Depth=1
	v_or_b32_e32 v9, 0x10000, v8
	v_cmp_eq_u32_sdwa s[0:1], v8, v15 src0_sel:WORD_0 src1_sel:DWORD
	s_nop 1
	v_cndmask_b32_e64 v32, v9, v8, s[0:1]
; %bb.267:                              ;   in Loop: Header=BB305_169 Depth=1
	s_or_b64 exec, exec, s[8:9]
	global_load_dwordx2 v[8:9], v[6:7], off offset:512
	s_waitcnt vmcnt(0)
	v_and_b32_e32 v41, 0xff, v8
	v_cvt_f32_fp8_sdwa v41, v41 src0_sel:BYTE_0
	s_nop 0
	v_mul_f32_e32 v42, s10, v41
	v_and_b32_e32 v41, 0x7f800000, v42
	v_cmp_ne_u32_e64 s[0:1], s14, v41
                                        ; implicit-def: $vgpr41
	s_and_saveexec_b64 s[8:9], s[0:1]
	s_xor_b64 s[0:1], exec, s[8:9]
; %bb.268:                              ;   in Loop: Header=BB305_169 Depth=1
	v_bfe_u32 v41, v42, 16, 1
	v_add3_u32 v41, v42, v41, s15
                                        ; implicit-def: $vgpr42
; %bb.269:                              ;   in Loop: Header=BB305_169 Depth=1
	s_andn2_saveexec_b64 s[8:9], s[0:1]
; %bb.270:                              ;   in Loop: Header=BB305_169 Depth=1
	v_or_b32_e32 v41, 0x10000, v42
	v_cmp_eq_u32_sdwa s[0:1], v42, v15 src0_sel:WORD_0 src1_sel:DWORD
	s_nop 1
	v_cndmask_b32_e64 v41, v41, v42, s[0:1]
; %bb.271:                              ;   in Loop: Header=BB305_169 Depth=1
	s_or_b64 exec, exec, s[8:9]
	v_bfe_u32 v42, v8, 8, 8
	v_cvt_f32_fp8_sdwa v42, v42 src0_sel:BYTE_0
	s_nop 0
	v_mul_f32_e32 v43, s10, v42
	v_and_b32_e32 v42, 0x7f800000, v43
	v_cmp_ne_u32_e64 s[0:1], s14, v42
                                        ; implicit-def: $vgpr42
	s_and_saveexec_b64 s[8:9], s[0:1]
	s_xor_b64 s[0:1], exec, s[8:9]
; %bb.272:                              ;   in Loop: Header=BB305_169 Depth=1
	v_bfe_u32 v42, v43, 16, 1
	v_add3_u32 v42, v43, v42, s15
                                        ; implicit-def: $vgpr43
; %bb.273:                              ;   in Loop: Header=BB305_169 Depth=1
	s_andn2_saveexec_b64 s[8:9], s[0:1]
; %bb.274:                              ;   in Loop: Header=BB305_169 Depth=1
	v_or_b32_e32 v42, 0x10000, v43
	v_cmp_eq_u32_sdwa s[0:1], v43, v15 src0_sel:WORD_0 src1_sel:DWORD
	s_nop 1
	v_cndmask_b32_e64 v42, v42, v43, s[0:1]
; %bb.275:                              ;   in Loop: Header=BB305_169 Depth=1
	s_or_b64 exec, exec, s[8:9]
	v_bfe_u32 v43, v8, 16, 8
	v_cvt_f32_fp8_sdwa v43, v43 src0_sel:BYTE_0
	s_nop 0
	v_mul_f32_e32 v44, s10, v43
	v_and_b32_e32 v43, 0x7f800000, v44
	v_cmp_ne_u32_e64 s[0:1], s14, v43
                                        ; implicit-def: $vgpr43
	s_and_saveexec_b64 s[8:9], s[0:1]
	s_xor_b64 s[0:1], exec, s[8:9]
; %bb.276:                              ;   in Loop: Header=BB305_169 Depth=1
	v_bfe_u32 v43, v44, 16, 1
	v_add3_u32 v43, v44, v43, s15
                                        ; implicit-def: $vgpr44
; %bb.277:                              ;   in Loop: Header=BB305_169 Depth=1
	s_andn2_saveexec_b64 s[8:9], s[0:1]
; %bb.278:                              ;   in Loop: Header=BB305_169 Depth=1
	v_or_b32_e32 v43, 0x10000, v44
	v_cmp_eq_u32_sdwa s[0:1], v44, v15 src0_sel:WORD_0 src1_sel:DWORD
	s_nop 1
	v_cndmask_b32_e64 v43, v43, v44, s[0:1]
; %bb.279:                              ;   in Loop: Header=BB305_169 Depth=1
	s_or_b64 exec, exec, s[8:9]
	v_lshrrev_b32_e32 v8, 24, v8
	v_cvt_f32_fp8_sdwa v8, v8 src0_sel:BYTE_0
	s_nop 0
	v_mul_f32_e32 v44, s10, v8
	v_and_b32_e32 v8, 0x7f800000, v44
	v_cmp_ne_u32_e64 s[0:1], s14, v8
                                        ; implicit-def: $vgpr8
	s_and_saveexec_b64 s[8:9], s[0:1]
	s_xor_b64 s[0:1], exec, s[8:9]
; %bb.280:                              ;   in Loop: Header=BB305_169 Depth=1
	v_bfe_u32 v8, v44, 16, 1
	v_add3_u32 v8, v44, v8, s15
                                        ; implicit-def: $vgpr44
; %bb.281:                              ;   in Loop: Header=BB305_169 Depth=1
	s_andn2_saveexec_b64 s[8:9], s[0:1]
; %bb.282:                              ;   in Loop: Header=BB305_169 Depth=1
	v_or_b32_e32 v8, 0x10000, v44
	v_cmp_eq_u32_sdwa s[0:1], v44, v15 src0_sel:WORD_0 src1_sel:DWORD
	s_nop 1
	v_cndmask_b32_e64 v8, v8, v44, s[0:1]
; %bb.283:                              ;   in Loop: Header=BB305_169 Depth=1
	s_or_b64 exec, exec, s[8:9]
	v_and_b32_e32 v44, 0xff, v9
	v_cvt_f32_fp8_sdwa v44, v44 src0_sel:BYTE_0
	s_nop 0
	v_mul_f32_e32 v45, s10, v44
	v_and_b32_e32 v44, 0x7f800000, v45
	v_cmp_ne_u32_e64 s[0:1], s14, v44
                                        ; implicit-def: $vgpr44
	s_and_saveexec_b64 s[8:9], s[0:1]
	s_xor_b64 s[0:1], exec, s[8:9]
; %bb.284:                              ;   in Loop: Header=BB305_169 Depth=1
	v_bfe_u32 v44, v45, 16, 1
	v_add3_u32 v44, v45, v44, s15
                                        ; implicit-def: $vgpr45
; %bb.285:                              ;   in Loop: Header=BB305_169 Depth=1
	s_andn2_saveexec_b64 s[8:9], s[0:1]
; %bb.286:                              ;   in Loop: Header=BB305_169 Depth=1
	v_or_b32_e32 v44, 0x10000, v45
	v_cmp_eq_u32_sdwa s[0:1], v45, v15 src0_sel:WORD_0 src1_sel:DWORD
	s_nop 1
	v_cndmask_b32_e64 v44, v44, v45, s[0:1]
; %bb.287:                              ;   in Loop: Header=BB305_169 Depth=1
	s_or_b64 exec, exec, s[8:9]
	v_bfe_u32 v45, v9, 8, 8
	v_cvt_f32_fp8_sdwa v45, v45 src0_sel:BYTE_0
	s_nop 0
	v_mul_f32_e32 v46, s10, v45
	v_and_b32_e32 v45, 0x7f800000, v46
	v_cmp_ne_u32_e64 s[0:1], s14, v45
                                        ; implicit-def: $vgpr45
	s_and_saveexec_b64 s[8:9], s[0:1]
	s_xor_b64 s[0:1], exec, s[8:9]
; %bb.288:                              ;   in Loop: Header=BB305_169 Depth=1
	v_bfe_u32 v45, v46, 16, 1
	v_add3_u32 v45, v46, v45, s15
                                        ; implicit-def: $vgpr46
; %bb.289:                              ;   in Loop: Header=BB305_169 Depth=1
	s_andn2_saveexec_b64 s[8:9], s[0:1]
; %bb.290:                              ;   in Loop: Header=BB305_169 Depth=1
	v_or_b32_e32 v45, 0x10000, v46
	v_cmp_eq_u32_sdwa s[0:1], v46, v15 src0_sel:WORD_0 src1_sel:DWORD
	s_nop 1
	v_cndmask_b32_e64 v45, v45, v46, s[0:1]
; %bb.291:                              ;   in Loop: Header=BB305_169 Depth=1
	s_or_b64 exec, exec, s[8:9]
	v_bfe_u32 v46, v9, 16, 8
	v_cvt_f32_fp8_sdwa v46, v46 src0_sel:BYTE_0
	s_nop 0
	v_mul_f32_e32 v46, s10, v46
	v_and_b32_e32 v47, 0x7f800000, v46
	v_cmp_ne_u32_e64 s[0:1], s14, v47
                                        ; implicit-def: $vgpr47
	s_and_saveexec_b64 s[8:9], s[0:1]
	s_xor_b64 s[0:1], exec, s[8:9]
; %bb.292:                              ;   in Loop: Header=BB305_169 Depth=1
	v_bfe_u32 v47, v46, 16, 1
	v_add3_u32 v47, v46, v47, s15
                                        ; implicit-def: $vgpr46
; %bb.293:                              ;   in Loop: Header=BB305_169 Depth=1
	s_andn2_saveexec_b64 s[8:9], s[0:1]
; %bb.294:                              ;   in Loop: Header=BB305_169 Depth=1
	v_or_b32_e32 v47, 0x10000, v46
	v_cmp_eq_u32_sdwa s[0:1], v46, v15 src0_sel:WORD_0 src1_sel:DWORD
	s_nop 1
	v_cndmask_b32_e64 v47, v47, v46, s[0:1]
; %bb.295:                              ;   in Loop: Header=BB305_169 Depth=1
	s_or_b64 exec, exec, s[8:9]
	v_lshrrev_b32_e32 v9, 24, v9
	v_cvt_f32_fp8_sdwa v9, v9 src0_sel:BYTE_0
                                        ; implicit-def: $vgpr48
	s_nop 0
	v_mul_f32_e32 v9, s10, v9
	v_and_b32_e32 v46, 0x7f800000, v9
	v_cmp_ne_u32_e64 s[0:1], s14, v46
	s_and_saveexec_b64 s[8:9], s[0:1]
	s_xor_b64 s[0:1], exec, s[8:9]
; %bb.296:                              ;   in Loop: Header=BB305_169 Depth=1
	v_bfe_u32 v46, v9, 16, 1
	v_add3_u32 v48, v9, v46, s15
                                        ; implicit-def: $vgpr9
; %bb.297:                              ;   in Loop: Header=BB305_169 Depth=1
	s_andn2_saveexec_b64 s[8:9], s[0:1]
; %bb.298:                              ;   in Loop: Header=BB305_169 Depth=1
	v_or_b32_e32 v46, 0x10000, v9
	v_cmp_eq_u32_sdwa s[0:1], v9, v15 src0_sel:WORD_0 src1_sel:DWORD
	s_nop 1
	v_cndmask_b32_e64 v48, v46, v9, s[0:1]
; %bb.299:                              ;   in Loop: Header=BB305_169 Depth=1
	s_or_b64 exec, exec, s[8:9]
	v_lshrrev_b32_e32 v46, 16, v45
	v_lshrrev_b32_e32 v45, 16, v44
	;; [unrolled: 1-line block ×8, first 2 shown]
	s_and_saveexec_b64 s[8:9], vcc
	s_cbranch_execz .LBB305_301
; %bb.300:                              ;   in Loop: Header=BB305_169 Depth=1
	v_cmp_gt_i32_e64 s[0:1], s30, v25
	s_nop 1
	v_cndmask_b32_e64 v41, 0, v41, s[0:1]
	v_cmp_gt_i32_e64 s[0:1], s30, v31
	s_nop 1
	v_cndmask_b32_e64 v42, 0, v42, s[0:1]
	;; [unrolled: 3-line block ×8, first 2 shown]
.LBB305_301:                            ;   in Loop: Header=BB305_169 Depth=1
	s_or_b64 exec, exec, s[8:9]
	v_lshlrev_b32_e32 v41, 16, v41
	v_mul_f32_e32 v47, v33, v41
	v_and_b32_e32 v41, 0x7f800000, v47
	v_cmp_ne_u32_e64 s[0:1], s14, v41
                                        ; implicit-def: $vgpr41
	s_and_saveexec_b64 s[8:9], s[0:1]
	s_xor_b64 s[0:1], exec, s[8:9]
; %bb.302:                              ;   in Loop: Header=BB305_169 Depth=1
	v_bfe_u32 v41, v47, 16, 1
	v_add3_u32 v41, v47, v41, s15
                                        ; implicit-def: $vgpr47
; %bb.303:                              ;   in Loop: Header=BB305_169 Depth=1
	s_andn2_saveexec_b64 s[8:9], s[0:1]
; %bb.304:                              ;   in Loop: Header=BB305_169 Depth=1
	v_or_b32_e32 v41, 0x10000, v47
	v_cmp_eq_u32_sdwa s[0:1], v47, v15 src0_sel:WORD_0 src1_sel:DWORD
	s_nop 1
	v_cndmask_b32_e64 v41, v41, v47, s[0:1]
; %bb.305:                              ;   in Loop: Header=BB305_169 Depth=1
	s_or_b64 exec, exec, s[8:9]
	v_lshlrev_b32_e32 v42, 16, v42
	v_mul_f32_e32 v47, v34, v42
	v_and_b32_e32 v42, 0x7f800000, v47
	v_cmp_ne_u32_e64 s[0:1], s14, v42
                                        ; implicit-def: $vgpr42
	s_and_saveexec_b64 s[8:9], s[0:1]
	s_xor_b64 s[0:1], exec, s[8:9]
; %bb.306:                              ;   in Loop: Header=BB305_169 Depth=1
	v_bfe_u32 v42, v47, 16, 1
	v_add3_u32 v42, v47, v42, s15
                                        ; implicit-def: $vgpr47
; %bb.307:                              ;   in Loop: Header=BB305_169 Depth=1
	s_andn2_saveexec_b64 s[8:9], s[0:1]
; %bb.308:                              ;   in Loop: Header=BB305_169 Depth=1
	v_or_b32_e32 v42, 0x10000, v47
	v_cmp_eq_u32_sdwa s[0:1], v47, v15 src0_sel:WORD_0 src1_sel:DWORD
	s_nop 1
	v_cndmask_b32_e64 v42, v42, v47, s[0:1]
; %bb.309:                              ;   in Loop: Header=BB305_169 Depth=1
	s_or_b64 exec, exec, s[8:9]
	v_lshlrev_b32_e32 v43, 16, v43
	v_mul_f32_e32 v47, v35, v43
	v_and_b32_e32 v43, 0x7f800000, v47
	v_cmp_ne_u32_e64 s[0:1], s14, v43
                                        ; implicit-def: $vgpr43
	s_and_saveexec_b64 s[8:9], s[0:1]
	s_xor_b64 s[0:1], exec, s[8:9]
; %bb.310:                              ;   in Loop: Header=BB305_169 Depth=1
	v_bfe_u32 v43, v47, 16, 1
	v_add3_u32 v43, v47, v43, s15
                                        ; implicit-def: $vgpr47
; %bb.311:                              ;   in Loop: Header=BB305_169 Depth=1
	s_andn2_saveexec_b64 s[8:9], s[0:1]
; %bb.312:                              ;   in Loop: Header=BB305_169 Depth=1
	v_or_b32_e32 v43, 0x10000, v47
	v_cmp_eq_u32_sdwa s[0:1], v47, v15 src0_sel:WORD_0 src1_sel:DWORD
	s_nop 1
	v_cndmask_b32_e64 v43, v43, v47, s[0:1]
; %bb.313:                              ;   in Loop: Header=BB305_169 Depth=1
	s_or_b64 exec, exec, s[8:9]
	v_lshlrev_b32_e32 v44, 16, v44
	v_mul_f32_e32 v47, v36, v44
	v_and_b32_e32 v44, 0x7f800000, v47
	v_cmp_ne_u32_e64 s[0:1], s14, v44
                                        ; implicit-def: $vgpr44
	s_and_saveexec_b64 s[8:9], s[0:1]
	s_xor_b64 s[0:1], exec, s[8:9]
; %bb.314:                              ;   in Loop: Header=BB305_169 Depth=1
	v_bfe_u32 v44, v47, 16, 1
	v_add3_u32 v44, v47, v44, s15
                                        ; implicit-def: $vgpr47
; %bb.315:                              ;   in Loop: Header=BB305_169 Depth=1
	s_andn2_saveexec_b64 s[8:9], s[0:1]
; %bb.316:                              ;   in Loop: Header=BB305_169 Depth=1
	v_or_b32_e32 v44, 0x10000, v47
	v_cmp_eq_u32_sdwa s[0:1], v47, v15 src0_sel:WORD_0 src1_sel:DWORD
	s_nop 1
	v_cndmask_b32_e64 v44, v44, v47, s[0:1]
; %bb.317:                              ;   in Loop: Header=BB305_169 Depth=1
	s_or_b64 exec, exec, s[8:9]
	v_lshlrev_b32_e32 v45, 16, v45
	v_mul_f32_e32 v47, v37, v45
	v_and_b32_e32 v45, 0x7f800000, v47
	v_cmp_ne_u32_e64 s[0:1], s14, v45
                                        ; implicit-def: $vgpr45
	s_and_saveexec_b64 s[8:9], s[0:1]
	s_xor_b64 s[0:1], exec, s[8:9]
; %bb.318:                              ;   in Loop: Header=BB305_169 Depth=1
	v_bfe_u32 v45, v47, 16, 1
	v_add3_u32 v45, v47, v45, s15
                                        ; implicit-def: $vgpr47
; %bb.319:                              ;   in Loop: Header=BB305_169 Depth=1
	s_andn2_saveexec_b64 s[8:9], s[0:1]
; %bb.320:                              ;   in Loop: Header=BB305_169 Depth=1
	v_or_b32_e32 v45, 0x10000, v47
	v_cmp_eq_u32_sdwa s[0:1], v47, v15 src0_sel:WORD_0 src1_sel:DWORD
	s_nop 1
	v_cndmask_b32_e64 v45, v45, v47, s[0:1]
; %bb.321:                              ;   in Loop: Header=BB305_169 Depth=1
	s_or_b64 exec, exec, s[8:9]
	v_lshlrev_b32_e32 v46, 16, v46
	v_mul_f32_e32 v47, v38, v46
	v_and_b32_e32 v46, 0x7f800000, v47
	v_cmp_ne_u32_e64 s[0:1], s14, v46
                                        ; implicit-def: $vgpr46
	s_and_saveexec_b64 s[8:9], s[0:1]
	s_xor_b64 s[0:1], exec, s[8:9]
; %bb.322:                              ;   in Loop: Header=BB305_169 Depth=1
	v_bfe_u32 v46, v47, 16, 1
	v_add3_u32 v46, v47, v46, s15
                                        ; implicit-def: $vgpr47
; %bb.323:                              ;   in Loop: Header=BB305_169 Depth=1
	s_andn2_saveexec_b64 s[8:9], s[0:1]
; %bb.324:                              ;   in Loop: Header=BB305_169 Depth=1
	v_or_b32_e32 v46, 0x10000, v47
	v_cmp_eq_u32_sdwa s[0:1], v47, v15 src0_sel:WORD_0 src1_sel:DWORD
	s_nop 1
	v_cndmask_b32_e64 v46, v46, v47, s[0:1]
; %bb.325:                              ;   in Loop: Header=BB305_169 Depth=1
	s_or_b64 exec, exec, s[8:9]
	v_lshlrev_b32_e32 v9, 16, v9
	v_mul_f32_e32 v9, v39, v9
	v_and_b32_e32 v47, 0x7f800000, v9
	v_cmp_ne_u32_e64 s[0:1], s14, v47
                                        ; implicit-def: $vgpr47
	s_and_saveexec_b64 s[8:9], s[0:1]
	s_xor_b64 s[0:1], exec, s[8:9]
; %bb.326:                              ;   in Loop: Header=BB305_169 Depth=1
	v_bfe_u32 v47, v9, 16, 1
	v_add3_u32 v47, v9, v47, s15
                                        ; implicit-def: $vgpr9
; %bb.327:                              ;   in Loop: Header=BB305_169 Depth=1
	s_andn2_saveexec_b64 s[8:9], s[0:1]
; %bb.328:                              ;   in Loop: Header=BB305_169 Depth=1
	v_or_b32_e32 v47, 0x10000, v9
	v_cmp_eq_u32_sdwa s[0:1], v9, v15 src0_sel:WORD_0 src1_sel:DWORD
	s_nop 1
	v_cndmask_b32_e64 v47, v47, v9, s[0:1]
; %bb.329:                              ;   in Loop: Header=BB305_169 Depth=1
	s_or_b64 exec, exec, s[8:9]
	v_lshlrev_b32_e32 v8, 16, v8
	v_mul_f32_e32 v8, v40, v8
	v_and_b32_e32 v9, 0x7f800000, v8
	v_cmp_ne_u32_e64 s[0:1], s14, v9
                                        ; implicit-def: $vgpr48
	s_and_saveexec_b64 s[8:9], s[0:1]
	s_xor_b64 s[0:1], exec, s[8:9]
; %bb.330:                              ;   in Loop: Header=BB305_169 Depth=1
	v_bfe_u32 v9, v8, 16, 1
	v_add3_u32 v48, v8, v9, s15
                                        ; implicit-def: $vgpr8
; %bb.331:                              ;   in Loop: Header=BB305_169 Depth=1
	s_andn2_saveexec_b64 s[8:9], s[0:1]
; %bb.332:                              ;   in Loop: Header=BB305_169 Depth=1
	v_or_b32_e32 v9, 0x10000, v8
	v_cmp_eq_u32_sdwa s[0:1], v8, v15 src0_sel:WORD_0 src1_sel:DWORD
	s_nop 1
	v_cndmask_b32_e64 v48, v9, v8, s[0:1]
; %bb.333:                              ;   in Loop: Header=BB305_169 Depth=1
	s_or_b64 exec, exec, s[8:9]
	global_load_dwordx2 v[8:9], v[6:7], off offset:1024
	s_waitcnt vmcnt(0)
	v_and_b32_e32 v49, 0xff, v8
	v_cvt_f32_fp8_sdwa v49, v49 src0_sel:BYTE_0
	s_nop 0
	v_mul_f32_e32 v50, s10, v49
	v_and_b32_e32 v49, 0x7f800000, v50
	v_cmp_ne_u32_e64 s[0:1], s14, v49
                                        ; implicit-def: $vgpr49
	s_and_saveexec_b64 s[8:9], s[0:1]
	s_xor_b64 s[0:1], exec, s[8:9]
; %bb.334:                              ;   in Loop: Header=BB305_169 Depth=1
	v_bfe_u32 v49, v50, 16, 1
	v_add3_u32 v49, v50, v49, s15
                                        ; implicit-def: $vgpr50
; %bb.335:                              ;   in Loop: Header=BB305_169 Depth=1
	s_andn2_saveexec_b64 s[8:9], s[0:1]
; %bb.336:                              ;   in Loop: Header=BB305_169 Depth=1
	v_or_b32_e32 v49, 0x10000, v50
	v_cmp_eq_u32_sdwa s[0:1], v50, v15 src0_sel:WORD_0 src1_sel:DWORD
	s_nop 1
	v_cndmask_b32_e64 v49, v49, v50, s[0:1]
; %bb.337:                              ;   in Loop: Header=BB305_169 Depth=1
	s_or_b64 exec, exec, s[8:9]
	v_bfe_u32 v50, v8, 8, 8
	v_cvt_f32_fp8_sdwa v50, v50 src0_sel:BYTE_0
	s_nop 0
	v_mul_f32_e32 v51, s10, v50
	v_and_b32_e32 v50, 0x7f800000, v51
	v_cmp_ne_u32_e64 s[0:1], s14, v50
                                        ; implicit-def: $vgpr50
	s_and_saveexec_b64 s[8:9], s[0:1]
	s_xor_b64 s[0:1], exec, s[8:9]
; %bb.338:                              ;   in Loop: Header=BB305_169 Depth=1
	v_bfe_u32 v50, v51, 16, 1
	v_add3_u32 v50, v51, v50, s15
                                        ; implicit-def: $vgpr51
; %bb.339:                              ;   in Loop: Header=BB305_169 Depth=1
	s_andn2_saveexec_b64 s[8:9], s[0:1]
; %bb.340:                              ;   in Loop: Header=BB305_169 Depth=1
	v_or_b32_e32 v50, 0x10000, v51
	v_cmp_eq_u32_sdwa s[0:1], v51, v15 src0_sel:WORD_0 src1_sel:DWORD
	s_nop 1
	v_cndmask_b32_e64 v50, v50, v51, s[0:1]
; %bb.341:                              ;   in Loop: Header=BB305_169 Depth=1
	s_or_b64 exec, exec, s[8:9]
	v_bfe_u32 v51, v8, 16, 8
	v_cvt_f32_fp8_sdwa v51, v51 src0_sel:BYTE_0
	s_nop 0
	v_mul_f32_e32 v52, s10, v51
	v_and_b32_e32 v51, 0x7f800000, v52
	v_cmp_ne_u32_e64 s[0:1], s14, v51
                                        ; implicit-def: $vgpr51
	s_and_saveexec_b64 s[8:9], s[0:1]
	s_xor_b64 s[0:1], exec, s[8:9]
; %bb.342:                              ;   in Loop: Header=BB305_169 Depth=1
	v_bfe_u32 v51, v52, 16, 1
	v_add3_u32 v51, v52, v51, s15
                                        ; implicit-def: $vgpr52
; %bb.343:                              ;   in Loop: Header=BB305_169 Depth=1
	s_andn2_saveexec_b64 s[8:9], s[0:1]
; %bb.344:                              ;   in Loop: Header=BB305_169 Depth=1
	v_or_b32_e32 v51, 0x10000, v52
	v_cmp_eq_u32_sdwa s[0:1], v52, v15 src0_sel:WORD_0 src1_sel:DWORD
	s_nop 1
	v_cndmask_b32_e64 v51, v51, v52, s[0:1]
; %bb.345:                              ;   in Loop: Header=BB305_169 Depth=1
	s_or_b64 exec, exec, s[8:9]
	v_lshrrev_b32_e32 v8, 24, v8
	v_cvt_f32_fp8_sdwa v8, v8 src0_sel:BYTE_0
	s_nop 0
	v_mul_f32_e32 v52, s10, v8
	v_and_b32_e32 v8, 0x7f800000, v52
	v_cmp_ne_u32_e64 s[0:1], s14, v8
                                        ; implicit-def: $vgpr8
	s_and_saveexec_b64 s[8:9], s[0:1]
	s_xor_b64 s[0:1], exec, s[8:9]
; %bb.346:                              ;   in Loop: Header=BB305_169 Depth=1
	v_bfe_u32 v8, v52, 16, 1
	v_add3_u32 v8, v52, v8, s15
                                        ; implicit-def: $vgpr52
; %bb.347:                              ;   in Loop: Header=BB305_169 Depth=1
	s_andn2_saveexec_b64 s[8:9], s[0:1]
; %bb.348:                              ;   in Loop: Header=BB305_169 Depth=1
	v_or_b32_e32 v8, 0x10000, v52
	v_cmp_eq_u32_sdwa s[0:1], v52, v15 src0_sel:WORD_0 src1_sel:DWORD
	s_nop 1
	v_cndmask_b32_e64 v8, v8, v52, s[0:1]
; %bb.349:                              ;   in Loop: Header=BB305_169 Depth=1
	s_or_b64 exec, exec, s[8:9]
	v_and_b32_e32 v52, 0xff, v9
	v_cvt_f32_fp8_sdwa v52, v52 src0_sel:BYTE_0
	s_nop 0
	v_mul_f32_e32 v52, s10, v52
	v_and_b32_e32 v53, 0x7f800000, v52
	v_cmp_ne_u32_e64 s[0:1], s14, v53
                                        ; implicit-def: $vgpr53
	s_and_saveexec_b64 s[8:9], s[0:1]
	s_xor_b64 s[0:1], exec, s[8:9]
; %bb.350:                              ;   in Loop: Header=BB305_169 Depth=1
	v_bfe_u32 v53, v52, 16, 1
	v_add3_u32 v53, v52, v53, s15
                                        ; implicit-def: $vgpr52
; %bb.351:                              ;   in Loop: Header=BB305_169 Depth=1
	s_andn2_saveexec_b64 s[8:9], s[0:1]
; %bb.352:                              ;   in Loop: Header=BB305_169 Depth=1
	v_or_b32_e32 v53, 0x10000, v52
	v_cmp_eq_u32_sdwa s[0:1], v52, v15 src0_sel:WORD_0 src1_sel:DWORD
	s_nop 1
	v_cndmask_b32_e64 v53, v53, v52, s[0:1]
; %bb.353:                              ;   in Loop: Header=BB305_169 Depth=1
	s_or_b64 exec, exec, s[8:9]
	v_bfe_u32 v52, v9, 8, 8
	v_cvt_f32_fp8_sdwa v52, v52 src0_sel:BYTE_0
	s_nop 0
	v_mul_f32_e32 v54, s10, v52
	v_and_b32_e32 v52, 0x7f800000, v54
	v_cmp_ne_u32_e64 s[0:1], s14, v52
                                        ; implicit-def: $vgpr52
	s_and_saveexec_b64 s[8:9], s[0:1]
	s_xor_b64 s[0:1], exec, s[8:9]
; %bb.354:                              ;   in Loop: Header=BB305_169 Depth=1
	v_bfe_u32 v52, v54, 16, 1
	v_add3_u32 v52, v54, v52, s15
                                        ; implicit-def: $vgpr54
; %bb.355:                              ;   in Loop: Header=BB305_169 Depth=1
	s_andn2_saveexec_b64 s[8:9], s[0:1]
; %bb.356:                              ;   in Loop: Header=BB305_169 Depth=1
	v_or_b32_e32 v52, 0x10000, v54
	v_cmp_eq_u32_sdwa s[0:1], v54, v15 src0_sel:WORD_0 src1_sel:DWORD
	s_nop 1
	v_cndmask_b32_e64 v52, v52, v54, s[0:1]
; %bb.357:                              ;   in Loop: Header=BB305_169 Depth=1
	s_or_b64 exec, exec, s[8:9]
	v_bfe_u32 v54, v9, 16, 8
	v_cvt_f32_fp8_sdwa v54, v54 src0_sel:BYTE_0
	s_nop 0
	v_mul_f32_e32 v55, s10, v54
	v_and_b32_e32 v54, 0x7f800000, v55
	v_cmp_ne_u32_e64 s[0:1], s14, v54
                                        ; implicit-def: $vgpr54
	s_and_saveexec_b64 s[8:9], s[0:1]
	s_xor_b64 s[0:1], exec, s[8:9]
; %bb.358:                              ;   in Loop: Header=BB305_169 Depth=1
	v_bfe_u32 v54, v55, 16, 1
	v_add3_u32 v54, v55, v54, s15
                                        ; implicit-def: $vgpr55
; %bb.359:                              ;   in Loop: Header=BB305_169 Depth=1
	s_andn2_saveexec_b64 s[8:9], s[0:1]
; %bb.360:                              ;   in Loop: Header=BB305_169 Depth=1
	v_or_b32_e32 v54, 0x10000, v55
	v_cmp_eq_u32_sdwa s[0:1], v55, v15 src0_sel:WORD_0 src1_sel:DWORD
	s_nop 1
	v_cndmask_b32_e64 v54, v54, v55, s[0:1]
; %bb.361:                              ;   in Loop: Header=BB305_169 Depth=1
	s_or_b64 exec, exec, s[8:9]
	v_lshrrev_b32_e32 v9, 24, v9
	v_cvt_f32_fp8_sdwa v9, v9 src0_sel:BYTE_0
                                        ; implicit-def: $vgpr57
	s_nop 0
	v_mul_f32_e32 v9, s10, v9
	v_and_b32_e32 v55, 0x7f800000, v9
	v_cmp_ne_u32_e64 s[0:1], s14, v55
	s_and_saveexec_b64 s[8:9], s[0:1]
	s_xor_b64 s[0:1], exec, s[8:9]
; %bb.362:                              ;   in Loop: Header=BB305_169 Depth=1
	v_bfe_u32 v55, v9, 16, 1
	v_add3_u32 v57, v9, v55, s15
                                        ; implicit-def: $vgpr9
; %bb.363:                              ;   in Loop: Header=BB305_169 Depth=1
	s_andn2_saveexec_b64 s[8:9], s[0:1]
; %bb.364:                              ;   in Loop: Header=BB305_169 Depth=1
	v_or_b32_e32 v55, 0x10000, v9
	v_cmp_eq_u32_sdwa s[0:1], v9, v15 src0_sel:WORD_0 src1_sel:DWORD
	s_nop 1
	v_cndmask_b32_e64 v57, v55, v9, s[0:1]
; %bb.365:                              ;   in Loop: Header=BB305_169 Depth=1
	s_or_b64 exec, exec, s[8:9]
	v_lshrrev_b32_e32 v52, 16, v52
	v_lshrrev_b32_e32 v55, 16, v53
	;; [unrolled: 1-line block ×8, first 2 shown]
	s_and_saveexec_b64 s[8:9], vcc
	s_cbranch_execz .LBB305_367
; %bb.366:                              ;   in Loop: Header=BB305_169 Depth=1
	v_cmp_gt_i32_e64 s[0:1], s30, v25
	s_nop 1
	v_cndmask_b32_e64 v8, 0, v8, s[0:1]
	v_cmp_gt_i32_e64 s[0:1], s30, v31
	s_nop 1
	v_cndmask_b32_e64 v9, 0, v9, s[0:1]
	;; [unrolled: 3-line block ×8, first 2 shown]
.LBB305_367:                            ;   in Loop: Header=BB305_169 Depth=1
	s_or_b64 exec, exec, s[8:9]
	v_lshlrev_b32_e32 v8, 16, v8
	v_mul_f32_e32 v49, v33, v8
	v_and_b32_e32 v8, 0x7f800000, v49
	v_cmp_ne_u32_e64 s[0:1], s14, v8
                                        ; implicit-def: $vgpr8
	s_and_saveexec_b64 s[8:9], s[0:1]
	s_xor_b64 s[0:1], exec, s[8:9]
; %bb.368:                              ;   in Loop: Header=BB305_169 Depth=1
	v_bfe_u32 v8, v49, 16, 1
	v_add3_u32 v8, v49, v8, s15
                                        ; implicit-def: $vgpr49
; %bb.369:                              ;   in Loop: Header=BB305_169 Depth=1
	s_andn2_saveexec_b64 s[8:9], s[0:1]
; %bb.370:                              ;   in Loop: Header=BB305_169 Depth=1
	v_or_b32_e32 v8, 0x10000, v49
	v_cmp_eq_u32_sdwa s[0:1], v49, v15 src0_sel:WORD_0 src1_sel:DWORD
	s_nop 1
	v_cndmask_b32_e64 v8, v8, v49, s[0:1]
; %bb.371:                              ;   in Loop: Header=BB305_169 Depth=1
	s_or_b64 exec, exec, s[8:9]
	v_lshlrev_b32_e32 v9, 16, v9
	v_mul_f32_e32 v49, v34, v9
	v_and_b32_e32 v9, 0x7f800000, v49
	v_cmp_ne_u32_e64 s[0:1], s14, v9
                                        ; implicit-def: $vgpr9
	s_and_saveexec_b64 s[8:9], s[0:1]
	s_xor_b64 s[0:1], exec, s[8:9]
; %bb.372:                              ;   in Loop: Header=BB305_169 Depth=1
	v_bfe_u32 v9, v49, 16, 1
	v_add3_u32 v9, v49, v9, s15
                                        ; implicit-def: $vgpr49
; %bb.373:                              ;   in Loop: Header=BB305_169 Depth=1
	s_andn2_saveexec_b64 s[8:9], s[0:1]
; %bb.374:                              ;   in Loop: Header=BB305_169 Depth=1
	v_or_b32_e32 v9, 0x10000, v49
	v_cmp_eq_u32_sdwa s[0:1], v49, v15 src0_sel:WORD_0 src1_sel:DWORD
	s_nop 1
	v_cndmask_b32_e64 v9, v9, v49, s[0:1]
; %bb.375:                              ;   in Loop: Header=BB305_169 Depth=1
	s_or_b64 exec, exec, s[8:9]
	v_lshlrev_b32_e32 v49, 16, v51
	v_mul_f32_e32 v50, v35, v49
	v_and_b32_e32 v49, 0x7f800000, v50
	v_cmp_ne_u32_e64 s[0:1], s14, v49
                                        ; implicit-def: $vgpr49
	s_and_saveexec_b64 s[8:9], s[0:1]
	s_xor_b64 s[0:1], exec, s[8:9]
; %bb.376:                              ;   in Loop: Header=BB305_169 Depth=1
	v_bfe_u32 v49, v50, 16, 1
	v_add3_u32 v49, v50, v49, s15
                                        ; implicit-def: $vgpr50
; %bb.377:                              ;   in Loop: Header=BB305_169 Depth=1
	s_andn2_saveexec_b64 s[8:9], s[0:1]
; %bb.378:                              ;   in Loop: Header=BB305_169 Depth=1
	v_or_b32_e32 v49, 0x10000, v50
	v_cmp_eq_u32_sdwa s[0:1], v50, v15 src0_sel:WORD_0 src1_sel:DWORD
	s_nop 1
	v_cndmask_b32_e64 v49, v49, v50, s[0:1]
; %bb.379:                              ;   in Loop: Header=BB305_169 Depth=1
	s_or_b64 exec, exec, s[8:9]
	v_lshlrev_b32_e32 v50, 16, v56
	v_mul_f32_e32 v51, v36, v50
	v_and_b32_e32 v50, 0x7f800000, v51
	v_cmp_ne_u32_e64 s[0:1], s14, v50
                                        ; implicit-def: $vgpr50
	s_and_saveexec_b64 s[8:9], s[0:1]
	s_xor_b64 s[0:1], exec, s[8:9]
; %bb.380:                              ;   in Loop: Header=BB305_169 Depth=1
	v_bfe_u32 v50, v51, 16, 1
	v_add3_u32 v50, v51, v50, s15
                                        ; implicit-def: $vgpr51
; %bb.381:                              ;   in Loop: Header=BB305_169 Depth=1
	s_andn2_saveexec_b64 s[8:9], s[0:1]
; %bb.382:                              ;   in Loop: Header=BB305_169 Depth=1
	v_or_b32_e32 v50, 0x10000, v51
	v_cmp_eq_u32_sdwa s[0:1], v51, v15 src0_sel:WORD_0 src1_sel:DWORD
	s_nop 1
	v_cndmask_b32_e64 v50, v50, v51, s[0:1]
; %bb.383:                              ;   in Loop: Header=BB305_169 Depth=1
	s_or_b64 exec, exec, s[8:9]
	v_lshlrev_b32_e32 v51, 16, v55
	v_mul_f32_e32 v55, v37, v51
	v_and_b32_e32 v51, 0x7f800000, v55
	v_cmp_ne_u32_e64 s[0:1], s14, v51
                                        ; implicit-def: $vgpr51
	s_and_saveexec_b64 s[8:9], s[0:1]
	s_xor_b64 s[0:1], exec, s[8:9]
; %bb.384:                              ;   in Loop: Header=BB305_169 Depth=1
	v_bfe_u32 v51, v55, 16, 1
	v_add3_u32 v51, v55, v51, s15
                                        ; implicit-def: $vgpr55
; %bb.385:                              ;   in Loop: Header=BB305_169 Depth=1
	s_andn2_saveexec_b64 s[8:9], s[0:1]
; %bb.386:                              ;   in Loop: Header=BB305_169 Depth=1
	v_or_b32_e32 v51, 0x10000, v55
	v_cmp_eq_u32_sdwa s[0:1], v55, v15 src0_sel:WORD_0 src1_sel:DWORD
	s_nop 1
	v_cndmask_b32_e64 v51, v51, v55, s[0:1]
; %bb.387:                              ;   in Loop: Header=BB305_169 Depth=1
	s_or_b64 exec, exec, s[8:9]
	v_lshlrev_b32_e32 v52, 16, v52
	v_mul_f32_e32 v55, v38, v52
	v_and_b32_e32 v52, 0x7f800000, v55
	v_cmp_ne_u32_e64 s[0:1], s14, v52
                                        ; implicit-def: $vgpr52
	s_and_saveexec_b64 s[8:9], s[0:1]
	s_xor_b64 s[0:1], exec, s[8:9]
; %bb.388:                              ;   in Loop: Header=BB305_169 Depth=1
	v_bfe_u32 v52, v55, 16, 1
	v_add3_u32 v52, v55, v52, s15
                                        ; implicit-def: $vgpr55
; %bb.389:                              ;   in Loop: Header=BB305_169 Depth=1
	s_andn2_saveexec_b64 s[8:9], s[0:1]
; %bb.390:                              ;   in Loop: Header=BB305_169 Depth=1
	v_or_b32_e32 v52, 0x10000, v55
	v_cmp_eq_u32_sdwa s[0:1], v55, v15 src0_sel:WORD_0 src1_sel:DWORD
	s_nop 1
	v_cndmask_b32_e64 v52, v52, v55, s[0:1]
; %bb.391:                              ;   in Loop: Header=BB305_169 Depth=1
	s_or_b64 exec, exec, s[8:9]
	v_lshlrev_b32_e32 v53, 16, v53
	v_mul_f32_e32 v55, v39, v53
	v_and_b32_e32 v53, 0x7f800000, v55
	v_cmp_ne_u32_e64 s[0:1], s14, v53
                                        ; implicit-def: $vgpr53
	s_and_saveexec_b64 s[8:9], s[0:1]
	s_xor_b64 s[0:1], exec, s[8:9]
; %bb.392:                              ;   in Loop: Header=BB305_169 Depth=1
	v_bfe_u32 v53, v55, 16, 1
	v_add3_u32 v53, v55, v53, s15
                                        ; implicit-def: $vgpr55
; %bb.393:                              ;   in Loop: Header=BB305_169 Depth=1
	s_andn2_saveexec_b64 s[8:9], s[0:1]
; %bb.394:                              ;   in Loop: Header=BB305_169 Depth=1
	v_or_b32_e32 v53, 0x10000, v55
	v_cmp_eq_u32_sdwa s[0:1], v55, v15 src0_sel:WORD_0 src1_sel:DWORD
	s_nop 1
	v_cndmask_b32_e64 v53, v53, v55, s[0:1]
; %bb.395:                              ;   in Loop: Header=BB305_169 Depth=1
	s_or_b64 exec, exec, s[8:9]
	v_lshlrev_b32_e32 v54, 16, v54
	v_mul_f32_e32 v55, v40, v54
	v_and_b32_e32 v54, 0x7f800000, v55
	v_cmp_ne_u32_e64 s[0:1], s14, v54
                                        ; implicit-def: $vgpr54
	s_and_saveexec_b64 s[8:9], s[0:1]
	s_xor_b64 s[0:1], exec, s[8:9]
; %bb.396:                              ;   in Loop: Header=BB305_169 Depth=1
	v_bfe_u32 v54, v55, 16, 1
	v_add3_u32 v54, v55, v54, s15
                                        ; implicit-def: $vgpr55
; %bb.397:                              ;   in Loop: Header=BB305_169 Depth=1
	s_andn2_saveexec_b64 s[8:9], s[0:1]
; %bb.398:                              ;   in Loop: Header=BB305_169 Depth=1
	v_or_b32_e32 v54, 0x10000, v55
	v_cmp_eq_u32_sdwa s[0:1], v55, v15 src0_sel:WORD_0 src1_sel:DWORD
	s_nop 1
	v_cndmask_b32_e64 v54, v54, v55, s[0:1]
; %bb.399:                              ;   in Loop: Header=BB305_169 Depth=1
	s_or_b64 exec, exec, s[8:9]
	global_load_dwordx2 v[6:7], v[6:7], off offset:1536
	s_waitcnt vmcnt(0)
	v_and_b32_e32 v55, 0xff, v6
	v_cvt_f32_fp8_sdwa v55, v55 src0_sel:BYTE_0
	s_nop 0
	v_mul_f32_e32 v56, s10, v55
	v_and_b32_e32 v55, 0x7f800000, v56
	v_cmp_ne_u32_e64 s[0:1], s14, v55
                                        ; implicit-def: $vgpr55
	s_and_saveexec_b64 s[8:9], s[0:1]
	s_xor_b64 s[0:1], exec, s[8:9]
; %bb.400:                              ;   in Loop: Header=BB305_169 Depth=1
	v_bfe_u32 v55, v56, 16, 1
	v_add3_u32 v55, v56, v55, s15
                                        ; implicit-def: $vgpr56
; %bb.401:                              ;   in Loop: Header=BB305_169 Depth=1
	s_andn2_saveexec_b64 s[8:9], s[0:1]
; %bb.402:                              ;   in Loop: Header=BB305_169 Depth=1
	v_or_b32_e32 v55, 0x10000, v56
	v_cmp_eq_u32_sdwa s[0:1], v56, v15 src0_sel:WORD_0 src1_sel:DWORD
	s_nop 1
	v_cndmask_b32_e64 v55, v55, v56, s[0:1]
; %bb.403:                              ;   in Loop: Header=BB305_169 Depth=1
	s_or_b64 exec, exec, s[8:9]
	v_bfe_u32 v56, v6, 8, 8
	v_cvt_f32_fp8_sdwa v56, v56 src0_sel:BYTE_0
	s_nop 0
	v_mul_f32_e32 v57, s10, v56
	v_and_b32_e32 v56, 0x7f800000, v57
	v_cmp_ne_u32_e64 s[0:1], s14, v56
                                        ; implicit-def: $vgpr56
	s_and_saveexec_b64 s[8:9], s[0:1]
	s_xor_b64 s[0:1], exec, s[8:9]
; %bb.404:                              ;   in Loop: Header=BB305_169 Depth=1
	v_bfe_u32 v56, v57, 16, 1
	v_add3_u32 v56, v57, v56, s15
                                        ; implicit-def: $vgpr57
; %bb.405:                              ;   in Loop: Header=BB305_169 Depth=1
	s_andn2_saveexec_b64 s[8:9], s[0:1]
; %bb.406:                              ;   in Loop: Header=BB305_169 Depth=1
	v_or_b32_e32 v56, 0x10000, v57
	v_cmp_eq_u32_sdwa s[0:1], v57, v15 src0_sel:WORD_0 src1_sel:DWORD
	s_nop 1
	v_cndmask_b32_e64 v56, v56, v57, s[0:1]
; %bb.407:                              ;   in Loop: Header=BB305_169 Depth=1
	s_or_b64 exec, exec, s[8:9]
	v_bfe_u32 v57, v6, 16, 8
	v_cvt_f32_fp8_sdwa v57, v57 src0_sel:BYTE_0
	s_nop 0
	v_mul_f32_e32 v57, s10, v57
	v_and_b32_e32 v58, 0x7f800000, v57
	v_cmp_ne_u32_e64 s[0:1], s14, v58
                                        ; implicit-def: $vgpr58
	s_and_saveexec_b64 s[8:9], s[0:1]
	s_xor_b64 s[0:1], exec, s[8:9]
; %bb.408:                              ;   in Loop: Header=BB305_169 Depth=1
	v_bfe_u32 v58, v57, 16, 1
	v_add3_u32 v58, v57, v58, s15
                                        ; implicit-def: $vgpr57
; %bb.409:                              ;   in Loop: Header=BB305_169 Depth=1
	s_andn2_saveexec_b64 s[8:9], s[0:1]
; %bb.410:                              ;   in Loop: Header=BB305_169 Depth=1
	v_or_b32_e32 v58, 0x10000, v57
	v_cmp_eq_u32_sdwa s[0:1], v57, v15 src0_sel:WORD_0 src1_sel:DWORD
	s_nop 1
	v_cndmask_b32_e64 v58, v58, v57, s[0:1]
; %bb.411:                              ;   in Loop: Header=BB305_169 Depth=1
	s_or_b64 exec, exec, s[8:9]
	v_lshrrev_b32_e32 v6, 24, v6
	v_cvt_f32_fp8_sdwa v6, v6 src0_sel:BYTE_0
	s_nop 0
	v_mul_f32_e32 v57, s10, v6
	v_and_b32_e32 v6, 0x7f800000, v57
	v_cmp_ne_u32_e64 s[0:1], s14, v6
                                        ; implicit-def: $vgpr6
	s_and_saveexec_b64 s[8:9], s[0:1]
	s_xor_b64 s[0:1], exec, s[8:9]
; %bb.412:                              ;   in Loop: Header=BB305_169 Depth=1
	v_bfe_u32 v6, v57, 16, 1
	v_add3_u32 v6, v57, v6, s15
                                        ; implicit-def: $vgpr57
; %bb.413:                              ;   in Loop: Header=BB305_169 Depth=1
	s_andn2_saveexec_b64 s[8:9], s[0:1]
; %bb.414:                              ;   in Loop: Header=BB305_169 Depth=1
	v_or_b32_e32 v6, 0x10000, v57
	v_cmp_eq_u32_sdwa s[0:1], v57, v15 src0_sel:WORD_0 src1_sel:DWORD
	s_nop 1
	v_cndmask_b32_e64 v6, v6, v57, s[0:1]
; %bb.415:                              ;   in Loop: Header=BB305_169 Depth=1
	s_or_b64 exec, exec, s[8:9]
	v_and_b32_e32 v57, 0xff, v7
	v_cvt_f32_fp8_sdwa v57, v57 src0_sel:BYTE_0
	s_nop 0
	v_mul_f32_e32 v57, s10, v57
	v_and_b32_e32 v59, 0x7f800000, v57
	v_cmp_ne_u32_e64 s[0:1], s14, v59
                                        ; implicit-def: $vgpr59
	s_and_saveexec_b64 s[8:9], s[0:1]
	s_xor_b64 s[0:1], exec, s[8:9]
; %bb.416:                              ;   in Loop: Header=BB305_169 Depth=1
	v_bfe_u32 v59, v57, 16, 1
	v_add3_u32 v59, v57, v59, s15
                                        ; implicit-def: $vgpr57
; %bb.417:                              ;   in Loop: Header=BB305_169 Depth=1
	s_andn2_saveexec_b64 s[8:9], s[0:1]
; %bb.418:                              ;   in Loop: Header=BB305_169 Depth=1
	v_or_b32_e32 v59, 0x10000, v57
	v_cmp_eq_u32_sdwa s[0:1], v57, v15 src0_sel:WORD_0 src1_sel:DWORD
	s_nop 1
	v_cndmask_b32_e64 v59, v59, v57, s[0:1]
; %bb.419:                              ;   in Loop: Header=BB305_169 Depth=1
	s_or_b64 exec, exec, s[8:9]
	v_bfe_u32 v57, v7, 8, 8
	v_cvt_f32_fp8_sdwa v57, v57 src0_sel:BYTE_0
	s_nop 0
	v_mul_f32_e32 v60, s10, v57
	v_and_b32_e32 v57, 0x7f800000, v60
	v_cmp_ne_u32_e64 s[0:1], s14, v57
                                        ; implicit-def: $vgpr57
	s_and_saveexec_b64 s[8:9], s[0:1]
	s_xor_b64 s[0:1], exec, s[8:9]
; %bb.420:                              ;   in Loop: Header=BB305_169 Depth=1
	v_bfe_u32 v57, v60, 16, 1
	v_add3_u32 v57, v60, v57, s15
                                        ; implicit-def: $vgpr60
; %bb.421:                              ;   in Loop: Header=BB305_169 Depth=1
	s_andn2_saveexec_b64 s[8:9], s[0:1]
; %bb.422:                              ;   in Loop: Header=BB305_169 Depth=1
	v_or_b32_e32 v57, 0x10000, v60
	v_cmp_eq_u32_sdwa s[0:1], v60, v15 src0_sel:WORD_0 src1_sel:DWORD
	s_nop 1
	v_cndmask_b32_e64 v57, v57, v60, s[0:1]
; %bb.423:                              ;   in Loop: Header=BB305_169 Depth=1
	s_or_b64 exec, exec, s[8:9]
	v_bfe_u32 v60, v7, 16, 8
	v_cvt_f32_fp8_sdwa v60, v60 src0_sel:BYTE_0
	s_nop 0
	v_mul_f32_e32 v60, s10, v60
	v_and_b32_e32 v61, 0x7f800000, v60
	v_cmp_ne_u32_e64 s[0:1], s14, v61
                                        ; implicit-def: $vgpr61
	s_and_saveexec_b64 s[8:9], s[0:1]
	s_xor_b64 s[0:1], exec, s[8:9]
; %bb.424:                              ;   in Loop: Header=BB305_169 Depth=1
	v_bfe_u32 v61, v60, 16, 1
	v_add3_u32 v61, v60, v61, s15
                                        ; implicit-def: $vgpr60
; %bb.425:                              ;   in Loop: Header=BB305_169 Depth=1
	s_andn2_saveexec_b64 s[8:9], s[0:1]
; %bb.426:                              ;   in Loop: Header=BB305_169 Depth=1
	v_or_b32_e32 v61, 0x10000, v60
	v_cmp_eq_u32_sdwa s[0:1], v60, v15 src0_sel:WORD_0 src1_sel:DWORD
	s_nop 1
	v_cndmask_b32_e64 v61, v61, v60, s[0:1]
; %bb.427:                              ;   in Loop: Header=BB305_169 Depth=1
	s_or_b64 exec, exec, s[8:9]
	v_lshrrev_b32_e32 v7, 24, v7
	v_cvt_f32_fp8_sdwa v7, v7 src0_sel:BYTE_0
                                        ; implicit-def: $vgpr62
	s_nop 0
	v_mul_f32_e32 v7, s10, v7
	v_and_b32_e32 v60, 0x7f800000, v7
	v_cmp_ne_u32_e64 s[0:1], s14, v60
	s_and_saveexec_b64 s[8:9], s[0:1]
	s_xor_b64 s[0:1], exec, s[8:9]
; %bb.428:                              ;   in Loop: Header=BB305_169 Depth=1
	v_bfe_u32 v60, v7, 16, 1
	v_add3_u32 v62, v7, v60, s15
                                        ; implicit-def: $vgpr7
; %bb.429:                              ;   in Loop: Header=BB305_169 Depth=1
	s_andn2_saveexec_b64 s[8:9], s[0:1]
; %bb.430:                              ;   in Loop: Header=BB305_169 Depth=1
	v_or_b32_e32 v60, 0x10000, v7
	v_cmp_eq_u32_sdwa s[0:1], v7, v15 src0_sel:WORD_0 src1_sel:DWORD
	s_nop 1
	v_cndmask_b32_e64 v62, v60, v7, s[0:1]
; %bb.431:                              ;   in Loop: Header=BB305_169 Depth=1
	s_or_b64 exec, exec, s[8:9]
	v_lshrrev_b32_e32 v57, 16, v57
	v_lshrrev_b32_e32 v59, 16, v59
	;; [unrolled: 1-line block ×8, first 2 shown]
	s_and_saveexec_b64 s[0:1], vcc
	s_cbranch_execz .LBB305_433
; %bb.432:                              ;   in Loop: Header=BB305_169 Depth=1
	v_cmp_gt_i32_e32 vcc, s30, v25
	s_nop 1
	v_cndmask_b32_e32 v6, 0, v6, vcc
	v_cmp_gt_i32_e32 vcc, s30, v31
	s_nop 1
	v_cndmask_b32_e32 v7, 0, v7, vcc
	;; [unrolled: 3-line block ×8, first 2 shown]
.LBB305_433:                            ;   in Loop: Header=BB305_169 Depth=1
	s_or_b64 exec, exec, s[0:1]
	v_lshlrev_b32_e32 v6, 16, v6
	v_mul_f32_e32 v25, v33, v6
	v_and_b32_e32 v6, 0x7f800000, v25
	v_cmp_ne_u32_e32 vcc, s14, v6
                                        ; implicit-def: $vgpr6
	s_and_saveexec_b64 s[0:1], vcc
	s_xor_b64 s[0:1], exec, s[0:1]
; %bb.434:                              ;   in Loop: Header=BB305_169 Depth=1
	v_bfe_u32 v6, v25, 16, 1
	v_add3_u32 v6, v25, v6, s15
                                        ; implicit-def: $vgpr25
; %bb.435:                              ;   in Loop: Header=BB305_169 Depth=1
	s_andn2_saveexec_b64 s[0:1], s[0:1]
; %bb.436:                              ;   in Loop: Header=BB305_169 Depth=1
	v_or_b32_e32 v6, 0x10000, v25
	v_cmp_eq_u32_sdwa vcc, v25, v15 src0_sel:WORD_0 src1_sel:DWORD
	s_nop 1
	v_cndmask_b32_e32 v6, v6, v25, vcc
; %bb.437:                              ;   in Loop: Header=BB305_169 Depth=1
	s_or_b64 exec, exec, s[0:1]
	v_lshlrev_b32_e32 v7, 16, v7
	v_mul_f32_e32 v25, v34, v7
	v_and_b32_e32 v7, 0x7f800000, v25
	v_cmp_ne_u32_e32 vcc, s14, v7
                                        ; implicit-def: $vgpr7
	s_and_saveexec_b64 s[0:1], vcc
	s_xor_b64 s[0:1], exec, s[0:1]
; %bb.438:                              ;   in Loop: Header=BB305_169 Depth=1
	v_bfe_u32 v7, v25, 16, 1
	v_add3_u32 v7, v25, v7, s15
                                        ; implicit-def: $vgpr25
; %bb.439:                              ;   in Loop: Header=BB305_169 Depth=1
	s_andn2_saveexec_b64 s[0:1], s[0:1]
; %bb.440:                              ;   in Loop: Header=BB305_169 Depth=1
	v_or_b32_e32 v7, 0x10000, v25
	v_cmp_eq_u32_sdwa vcc, v25, v15 src0_sel:WORD_0 src1_sel:DWORD
	s_nop 1
	v_cndmask_b32_e32 v7, v7, v25, vcc
; %bb.441:                              ;   in Loop: Header=BB305_169 Depth=1
	s_or_b64 exec, exec, s[0:1]
	v_lshlrev_b32_e32 v25, 16, v58
	v_mul_f32_e32 v26, v35, v25
	v_and_b32_e32 v25, 0x7f800000, v26
	v_cmp_ne_u32_e32 vcc, s14, v25
                                        ; implicit-def: $vgpr25
	s_and_saveexec_b64 s[0:1], vcc
	s_xor_b64 s[0:1], exec, s[0:1]
; %bb.442:                              ;   in Loop: Header=BB305_169 Depth=1
	v_bfe_u32 v25, v26, 16, 1
	v_add3_u32 v25, v26, v25, s15
                                        ; implicit-def: $vgpr26
; %bb.443:                              ;   in Loop: Header=BB305_169 Depth=1
	s_andn2_saveexec_b64 s[0:1], s[0:1]
; %bb.444:                              ;   in Loop: Header=BB305_169 Depth=1
	v_or_b32_e32 v25, 0x10000, v26
	v_cmp_eq_u32_sdwa vcc, v26, v15 src0_sel:WORD_0 src1_sel:DWORD
	s_nop 1
	v_cndmask_b32_e32 v25, v25, v26, vcc
; %bb.445:                              ;   in Loop: Header=BB305_169 Depth=1
	s_or_b64 exec, exec, s[0:1]
	v_lshlrev_b32_e32 v26, 16, v60
	v_mul_f32_e32 v27, v36, v26
	v_and_b32_e32 v26, 0x7f800000, v27
	v_cmp_ne_u32_e32 vcc, s14, v26
                                        ; implicit-def: $vgpr26
	s_and_saveexec_b64 s[0:1], vcc
	s_xor_b64 s[0:1], exec, s[0:1]
; %bb.446:                              ;   in Loop: Header=BB305_169 Depth=1
	v_bfe_u32 v26, v27, 16, 1
	v_add3_u32 v26, v27, v26, s15
                                        ; implicit-def: $vgpr27
; %bb.447:                              ;   in Loop: Header=BB305_169 Depth=1
	s_andn2_saveexec_b64 s[0:1], s[0:1]
; %bb.448:                              ;   in Loop: Header=BB305_169 Depth=1
	v_or_b32_e32 v26, 0x10000, v27
	v_cmp_eq_u32_sdwa vcc, v27, v15 src0_sel:WORD_0 src1_sel:DWORD
	s_nop 1
	v_cndmask_b32_e32 v26, v26, v27, vcc
; %bb.449:                              ;   in Loop: Header=BB305_169 Depth=1
	s_or_b64 exec, exec, s[0:1]
	v_lshlrev_b32_e32 v27, 16, v59
	v_mul_f32_e32 v28, v37, v27
	v_and_b32_e32 v27, 0x7f800000, v28
	v_cmp_ne_u32_e32 vcc, s14, v27
                                        ; implicit-def: $vgpr27
	s_and_saveexec_b64 s[0:1], vcc
	s_xor_b64 s[0:1], exec, s[0:1]
; %bb.450:                              ;   in Loop: Header=BB305_169 Depth=1
	v_bfe_u32 v27, v28, 16, 1
	v_add3_u32 v27, v28, v27, s15
                                        ; implicit-def: $vgpr28
; %bb.451:                              ;   in Loop: Header=BB305_169 Depth=1
	s_andn2_saveexec_b64 s[0:1], s[0:1]
; %bb.452:                              ;   in Loop: Header=BB305_169 Depth=1
	v_or_b32_e32 v27, 0x10000, v28
	v_cmp_eq_u32_sdwa vcc, v28, v15 src0_sel:WORD_0 src1_sel:DWORD
	s_nop 1
	v_cndmask_b32_e32 v27, v27, v28, vcc
; %bb.453:                              ;   in Loop: Header=BB305_169 Depth=1
	s_or_b64 exec, exec, s[0:1]
	v_lshlrev_b32_e32 v28, 16, v57
	v_mul_f32_e32 v29, v38, v28
	v_and_b32_e32 v28, 0x7f800000, v29
	v_cmp_ne_u32_e32 vcc, s14, v28
                                        ; implicit-def: $vgpr28
	s_and_saveexec_b64 s[0:1], vcc
	s_xor_b64 s[0:1], exec, s[0:1]
; %bb.454:                              ;   in Loop: Header=BB305_169 Depth=1
	v_bfe_u32 v28, v29, 16, 1
	v_add3_u32 v28, v29, v28, s15
                                        ; implicit-def: $vgpr29
; %bb.455:                              ;   in Loop: Header=BB305_169 Depth=1
	s_andn2_saveexec_b64 s[0:1], s[0:1]
; %bb.456:                              ;   in Loop: Header=BB305_169 Depth=1
	v_or_b32_e32 v28, 0x10000, v29
	v_cmp_eq_u32_sdwa vcc, v29, v15 src0_sel:WORD_0 src1_sel:DWORD
	s_nop 1
	v_cndmask_b32_e32 v28, v28, v29, vcc
; %bb.457:                              ;   in Loop: Header=BB305_169 Depth=1
	s_or_b64 exec, exec, s[0:1]
	v_lshlrev_b32_e32 v29, 16, v56
	v_mul_f32_e32 v30, v39, v29
	v_and_b32_e32 v29, 0x7f800000, v30
	v_cmp_ne_u32_e32 vcc, s14, v29
                                        ; implicit-def: $vgpr29
	s_and_saveexec_b64 s[0:1], vcc
	s_xor_b64 s[0:1], exec, s[0:1]
; %bb.458:                              ;   in Loop: Header=BB305_169 Depth=1
	v_bfe_u32 v29, v30, 16, 1
	v_add3_u32 v29, v30, v29, s15
                                        ; implicit-def: $vgpr30
; %bb.459:                              ;   in Loop: Header=BB305_169 Depth=1
	s_andn2_saveexec_b64 s[0:1], s[0:1]
; %bb.460:                              ;   in Loop: Header=BB305_169 Depth=1
	v_or_b32_e32 v29, 0x10000, v30
	v_cmp_eq_u32_sdwa vcc, v30, v15 src0_sel:WORD_0 src1_sel:DWORD
	s_nop 1
	v_cndmask_b32_e32 v29, v29, v30, vcc
; %bb.461:                              ;   in Loop: Header=BB305_169 Depth=1
	s_or_b64 exec, exec, s[0:1]
	v_lshlrev_b32_e32 v30, 16, v55
	v_mul_f32_e32 v31, v40, v30
	v_and_b32_e32 v30, 0x7f800000, v31
	v_cmp_ne_u32_e32 vcc, s14, v30
                                        ; implicit-def: $vgpr30
	s_and_saveexec_b64 s[0:1], vcc
	s_xor_b64 s[0:1], exec, s[0:1]
; %bb.462:                              ;   in Loop: Header=BB305_169 Depth=1
	v_bfe_u32 v30, v31, 16, 1
	v_add3_u32 v30, v31, v30, s15
                                        ; implicit-def: $vgpr31
; %bb.463:                              ;   in Loop: Header=BB305_169 Depth=1
	s_andn2_saveexec_b64 s[0:1], s[0:1]
	s_cbranch_execz .LBB305_168
; %bb.464:                              ;   in Loop: Header=BB305_169 Depth=1
	v_or_b32_e32 v30, 0x10000, v31
	v_cmp_eq_u32_sdwa vcc, v31, v15 src0_sel:WORD_0 src1_sel:DWORD
	s_nop 1
	v_cndmask_b32_e32 v30, v30, v31, vcc
	s_branch .LBB305_168
.LBB305_465:
	s_or_b64 exec, exec, s[6:7]
.LBB305_466:
	s_or_b64 exec, exec, s[2:3]
	v_and_b32_e32 v1, 0x3c0, v0
	v_cmp_eq_u32_e32 vcc, 64, v1
	s_barrier
	s_and_saveexec_b64 s[0:1], vcc
	s_cbranch_execz .LBB305_468
; %bb.467:
	v_lshlrev_b32_e32 v1, 2, v0
	v_mov_b32_e32 v7, 0x210
	v_or_b32_e32 v6, 0x300, v1
	v_lshl_add_u32 v7, v20, 2, v7
	v_add_u32_e32 v6, 0x210, v6
	v_add_u32_e32 v1, 0x210, v1
	ds_write_b32 v7, v2
	ds_write_b32 v1, v3
	ds_write_b32 v7, v4 offset:512
	ds_write_b32 v6, v5
.LBB305_468:
	s_or_b64 exec, exec, s[0:1]
	v_cmp_gt_u32_e32 vcc, 64, v0
	s_waitcnt lgkmcnt(0)
	s_barrier
	s_and_saveexec_b64 s[0:1], vcc
	s_cbranch_execz .LBB305_470
; %bb.469:
	v_mov_b32_e32 v1, 0x210
	v_lshl_add_u32 v1, v0, 2, v1
	ds_read2st64_b32 v[6:7], v1 offset0:2 offset1:3
	ds_read2st64_b32 v[8:9], v1 offset1:1
	s_waitcnt lgkmcnt(1)
	v_pk_add_f32 v[4:5], v[4:5], v[6:7]
	s_waitcnt lgkmcnt(0)
	v_pk_add_f32 v[2:3], v[2:3], v[8:9]
.LBB305_470:
	s_or_b64 exec, exec, s[0:1]
	s_barrier
	s_and_saveexec_b64 s[0:1], vcc
	s_cbranch_execz .LBB305_488
; %bb.471:
	s_mov_b32 s0, 0x7f800000
	v_and_b32_e32 v1, 0x7f800000, v2
	v_cmp_ne_u32_e32 vcc, s0, v1
                                        ; implicit-def: $vgpr6
	s_and_saveexec_b64 s[0:1], vcc
	s_xor_b64 s[0:1], exec, s[0:1]
; %bb.472:
	v_bfe_u32 v1, v2, 16, 1
	s_movk_i32 s2, 0x7fff
	v_add3_u32 v6, v2, v1, s2
; %bb.473:
	s_andn2_saveexec_b64 s[0:1], s[0:1]
; %bb.474:
	v_mov_b32_e32 v1, 0
	v_or_b32_e32 v6, 0x10000, v2
	v_cmp_eq_u32_sdwa vcc, v2, v1 src0_sel:WORD_0 src1_sel:DWORD
	s_nop 1
	v_cndmask_b32_e32 v6, v6, v2, vcc
; %bb.475:
	s_or_b64 exec, exec, s[0:1]
	s_mul_i32 s0, s20, s21
	s_mul_i32 s0, s0, s5
	s_lshl_b32 s0, s0, 8
	s_ashr_i32 s1, s0, 31
	s_lshl_b64 s[0:1], s[0:1], 1
	s_add_u32 s2, s22, s0
	s_mul_i32 s0, s21, s24
	s_addc_u32 s3, s23, s1
	s_ashr_i32 s1, s0, 31
	s_lshl_b64 s[0:1], s[0:1], 1
	s_add_u32 s2, s2, s0
	s_addc_u32 s3, s3, s1
	s_lshl_b32 s0, s4, 8
	s_ashr_i32 s1, s0, 31
	s_lshl_b64 s[0:1], s[0:1], 1
	s_add_u32 s0, s2, s0
	s_mov_b32 s2, 0x7f800000
	v_and_b32_e32 v2, 0x7f800000, v3
	s_addc_u32 s1, s3, s1
	v_lshlrev_b32_e32 v0, 1, v0
	v_mov_b32_e32 v1, 0
	v_cmp_ne_u32_e32 vcc, s2, v2
	global_store_short_d16_hi v0, v6, s[0:1]
                                        ; implicit-def: $vgpr2
	s_and_saveexec_b64 s[2:3], vcc
	s_xor_b64 s[2:3], exec, s[2:3]
; %bb.476:
	v_bfe_u32 v2, v3, 16, 1
	s_movk_i32 s4, 0x7fff
	v_add3_u32 v2, v3, v2, s4
; %bb.477:
	s_or_saveexec_b64 s[2:3], s[2:3]
	v_lshl_add_u64 v[0:1], s[0:1], 0, v[0:1]
	s_xor_b64 exec, exec, s[2:3]
; %bb.478:
	v_mov_b32_e32 v2, 0
	v_or_b32_e32 v6, 0x10000, v3
	v_cmp_eq_u32_sdwa vcc, v3, v2 src0_sel:WORD_0 src1_sel:DWORD
	s_nop 1
	v_cndmask_b32_e32 v2, v6, v3, vcc
; %bb.479:
	s_or_b64 exec, exec, s[2:3]
	global_store_short_d16_hi v[0:1], v2, off offset:128
	s_mov_b32 s0, 0x7f800000
	v_and_b32_e32 v2, 0x7f800000, v4
	v_cmp_ne_u32_e32 vcc, s0, v2
                                        ; implicit-def: $vgpr2
	s_and_saveexec_b64 s[0:1], vcc
	s_xor_b64 s[0:1], exec, s[0:1]
; %bb.480:
	v_bfe_u32 v2, v4, 16, 1
	s_movk_i32 s2, 0x7fff
	v_add3_u32 v2, v4, v2, s2
; %bb.481:
	s_andn2_saveexec_b64 s[0:1], s[0:1]
; %bb.482:
	v_mov_b32_e32 v2, 0
	v_or_b32_e32 v3, 0x10000, v4
	v_cmp_eq_u32_sdwa vcc, v4, v2 src0_sel:WORD_0 src1_sel:DWORD
	s_nop 1
	v_cndmask_b32_e32 v2, v3, v4, vcc
; %bb.483:
	s_or_b64 exec, exec, s[0:1]
	global_store_short_d16_hi v[0:1], v2, off offset:256
	s_mov_b32 s0, 0x7f800000
	v_and_b32_e32 v2, 0x7f800000, v5
	v_cmp_ne_u32_e32 vcc, s0, v2
                                        ; implicit-def: $vgpr6
	s_and_saveexec_b64 s[0:1], vcc
	s_xor_b64 s[0:1], exec, s[0:1]
; %bb.484:
	v_bfe_u32 v2, v5, 16, 1
	s_movk_i32 s2, 0x7fff
	v_add3_u32 v6, v5, v2, s2
                                        ; implicit-def: $vgpr2_vgpr3_vgpr4_vgpr5
; %bb.485:
	s_andn2_saveexec_b64 s[0:1], s[0:1]
; %bb.486:
	v_mov_b32_e32 v2, 0
	v_or_b32_e32 v3, 0x10000, v5
	v_cmp_eq_u32_sdwa vcc, v5, v2 src0_sel:WORD_0 src1_sel:DWORD
	s_nop 1
	v_cndmask_b32_e32 v6, v3, v5, vcc
; %bb.487:
	s_or_b64 exec, exec, s[0:1]
	global_store_short_d16_hi v[0:1], v6, off offset:384
.LBB305_488:
	s_endpgm
	.section	.rodata,"a",@progbits
	.p2align	6, 0x0
	.amdhsa_kernel _ZN4vllm25paged_attention_v1_kernelI14__hip_bfloat16hLi256ELi8ELi128ELNS_18Fp8KVCacheDataTypeE1ELb0EEEvPT_PKS3_PKT0_S9_ifPKiSB_iPKfiiiSD_SD_iiiii
		.amdhsa_group_segment_fixed_size 528
		.amdhsa_private_segment_fixed_size 0
		.amdhsa_kernarg_size 384
		.amdhsa_user_sgpr_count 2
		.amdhsa_user_sgpr_dispatch_ptr 0
		.amdhsa_user_sgpr_queue_ptr 0
		.amdhsa_user_sgpr_kernarg_segment_ptr 1
		.amdhsa_user_sgpr_dispatch_id 0
		.amdhsa_user_sgpr_kernarg_preload_length 0
		.amdhsa_user_sgpr_kernarg_preload_offset 0
		.amdhsa_user_sgpr_private_segment_size 0
		.amdhsa_uses_dynamic_stack 0
		.amdhsa_enable_private_segment 0
		.amdhsa_system_sgpr_workgroup_id_x 1
		.amdhsa_system_sgpr_workgroup_id_y 1
		.amdhsa_system_sgpr_workgroup_id_z 1
		.amdhsa_system_sgpr_workgroup_info 0
		.amdhsa_system_vgpr_workitem_id 0
		.amdhsa_next_free_vgpr 84
		.amdhsa_next_free_sgpr 39
		.amdhsa_accum_offset 84
		.amdhsa_reserve_vcc 1
		.amdhsa_float_round_mode_32 0
		.amdhsa_float_round_mode_16_64 0
		.amdhsa_float_denorm_mode_32 3
		.amdhsa_float_denorm_mode_16_64 3
		.amdhsa_dx10_clamp 1
		.amdhsa_ieee_mode 1
		.amdhsa_fp16_overflow 0
		.amdhsa_tg_split 0
		.amdhsa_exception_fp_ieee_invalid_op 0
		.amdhsa_exception_fp_denorm_src 0
		.amdhsa_exception_fp_ieee_div_zero 0
		.amdhsa_exception_fp_ieee_overflow 0
		.amdhsa_exception_fp_ieee_underflow 0
		.amdhsa_exception_fp_ieee_inexact 0
		.amdhsa_exception_int_div_zero 0
	.end_amdhsa_kernel
	.section	.text._ZN4vllm25paged_attention_v1_kernelI14__hip_bfloat16hLi256ELi8ELi128ELNS_18Fp8KVCacheDataTypeE1ELb0EEEvPT_PKS3_PKT0_S9_ifPKiSB_iPKfiiiSD_SD_iiiii,"axG",@progbits,_ZN4vllm25paged_attention_v1_kernelI14__hip_bfloat16hLi256ELi8ELi128ELNS_18Fp8KVCacheDataTypeE1ELb0EEEvPT_PKS3_PKT0_S9_ifPKiSB_iPKfiiiSD_SD_iiiii,comdat
.Lfunc_end305:
	.size	_ZN4vllm25paged_attention_v1_kernelI14__hip_bfloat16hLi256ELi8ELi128ELNS_18Fp8KVCacheDataTypeE1ELb0EEEvPT_PKS3_PKT0_S9_ifPKiSB_iPKfiiiSD_SD_iiiii, .Lfunc_end305-_ZN4vllm25paged_attention_v1_kernelI14__hip_bfloat16hLi256ELi8ELi128ELNS_18Fp8KVCacheDataTypeE1ELb0EEEvPT_PKS3_PKT0_S9_ifPKiSB_iPKfiiiSD_SD_iiiii
                                        ; -- End function
	.section	.AMDGPU.csdata,"",@progbits
; Kernel info:
; codeLenInByte = 14848
; NumSgprs: 45
; NumVgprs: 84
; NumAgprs: 0
; TotalNumVgprs: 84
; ScratchSize: 0
; MemoryBound: 0
; FloatMode: 240
; IeeeMode: 1
; LDSByteSize: 528 bytes/workgroup (compile time only)
; SGPRBlocks: 5
; VGPRBlocks: 10
; NumSGPRsForWavesPerEU: 45
; NumVGPRsForWavesPerEU: 84
; AccumOffset: 84
; Occupancy: 5
; WaveLimiterHint : 1
; COMPUTE_PGM_RSRC2:SCRATCH_EN: 0
; COMPUTE_PGM_RSRC2:USER_SGPR: 2
; COMPUTE_PGM_RSRC2:TRAP_HANDLER: 0
; COMPUTE_PGM_RSRC2:TGID_X_EN: 1
; COMPUTE_PGM_RSRC2:TGID_Y_EN: 1
; COMPUTE_PGM_RSRC2:TGID_Z_EN: 1
; COMPUTE_PGM_RSRC2:TIDIG_COMP_CNT: 0
; COMPUTE_PGM_RSRC3_GFX90A:ACCUM_OFFSET: 20
; COMPUTE_PGM_RSRC3_GFX90A:TG_SPLIT: 0
	.section	.text._ZN4vllm25paged_attention_v1_kernelI14__hip_bfloat16hLi32ELi16ELi128ELNS_18Fp8KVCacheDataTypeE1ELb1EEEvPT_PKS3_PKT0_S9_ifPKiSB_iPKfiiiSD_SD_iiiii,"axG",@progbits,_ZN4vllm25paged_attention_v1_kernelI14__hip_bfloat16hLi32ELi16ELi128ELNS_18Fp8KVCacheDataTypeE1ELb1EEEvPT_PKS3_PKT0_S9_ifPKiSB_iPKfiiiSD_SD_iiiii,comdat
	.protected	_ZN4vllm25paged_attention_v1_kernelI14__hip_bfloat16hLi32ELi16ELi128ELNS_18Fp8KVCacheDataTypeE1ELb1EEEvPT_PKS3_PKT0_S9_ifPKiSB_iPKfiiiSD_SD_iiiii ; -- Begin function _ZN4vllm25paged_attention_v1_kernelI14__hip_bfloat16hLi32ELi16ELi128ELNS_18Fp8KVCacheDataTypeE1ELb1EEEvPT_PKS3_PKT0_S9_ifPKiSB_iPKfiiiSD_SD_iiiii
	.globl	_ZN4vllm25paged_attention_v1_kernelI14__hip_bfloat16hLi32ELi16ELi128ELNS_18Fp8KVCacheDataTypeE1ELb1EEEvPT_PKS3_PKT0_S9_ifPKiSB_iPKfiiiSD_SD_iiiii
	.p2align	8
	.type	_ZN4vllm25paged_attention_v1_kernelI14__hip_bfloat16hLi32ELi16ELi128ELNS_18Fp8KVCacheDataTypeE1ELb1EEEvPT_PKS3_PKT0_S9_ifPKiSB_iPKfiiiSD_SD_iiiii,@function
_ZN4vllm25paged_attention_v1_kernelI14__hip_bfloat16hLi32ELi16ELi128ELNS_18Fp8KVCacheDataTypeE1ELb1EEEvPT_PKS3_PKT0_S9_ifPKiSB_iPKfiiiSD_SD_iiiii: ; @_ZN4vllm25paged_attention_v1_kernelI14__hip_bfloat16hLi32ELi16ELi128ELNS_18Fp8KVCacheDataTypeE1ELb1EEEvPT_PKS3_PKT0_S9_ifPKiSB_iPKfiiiSD_SD_iiiii
; %bb.0:
	s_load_dword s5, s[0:1], 0x80
	s_load_dwordx2 s[6:7], s[0:1], 0x30
	s_load_dwordx2 s[36:37], s[0:1], 0x20
	s_mov_b32 s10, s3
	s_ashr_i32 s11, s3, 31
	s_lshl_b64 s[8:9], s[10:11], 2
	s_waitcnt lgkmcnt(0)
	s_add_u32 s6, s6, s8
	s_addc_u32 s7, s7, s9
	s_abs_i32 s3, s36
	v_cvt_f32_u32_e32 v1, s3
	s_sub_i32 s11, 0, s3
	s_abs_i32 s9, s5
	s_xor_b32 s8, s5, s36
	v_rcp_iflag_f32_e32 v1, v1
	s_ashr_i32 s8, s8, 31
	s_mov_b32 s44, 0
	v_mul_f32_e32 v1, 0x4f7ffffe, v1
	v_cvt_u32_f32_e32 v1, v1
	s_nop 0
	v_readfirstlane_b32 s12, v1
	s_mul_i32 s11, s11, s12
	s_mul_hi_u32 s11, s12, s11
	s_add_i32 s12, s12, s11
	s_mul_hi_u32 s11, s9, s12
	s_mul_i32 s12, s11, s3
	s_sub_i32 s9, s9, s12
	s_add_i32 s12, s11, 1
	s_sub_i32 s13, s9, s3
	s_cmp_ge_u32 s9, s3
	s_cselect_b32 s11, s12, s11
	s_cselect_b32 s9, s13, s9
	s_add_i32 s12, s11, 1
	s_cmp_ge_u32 s9, s3
	s_cselect_b32 s3, s12, s11
	s_xor_b32 s3, s3, s8
	s_sub_i32 s15, s3, s8
	s_abs_i32 s12, s15
	v_cvt_f32_u32_e32 v1, s12
	s_load_dwordx2 s[8:9], s[0:1], 0x40
	s_sub_i32 s3, 0, s12
	s_abs_i32 s13, s2
	v_rcp_iflag_f32_e32 v1, v1
	s_nop 0
	v_mul_f32_e32 v1, 0x4f7ffffe, v1
	v_cvt_u32_f32_e32 v1, v1
	s_nop 0
	v_readfirstlane_b32 s11, v1
	s_mul_i32 s3, s3, s11
	s_mul_hi_u32 s3, s11, s3
	s_add_i32 s11, s11, s3
	s_waitcnt lgkmcnt(0)
	s_cmp_eq_u64 s[8:9], 0
	s_mul_hi_u32 s14, s13, s11
	s_cbranch_scc1 .LBB306_2
; %bb.1:
	s_ashr_i32 s3, s2, 31
	s_lshl_b64 s[16:17], s[2:3], 2
	s_add_u32 s8, s8, s16
	s_addc_u32 s9, s9, s17
	s_load_dword s44, s[8:9], 0x0
.LBB306_2:
	s_load_dword s11, s[6:7], 0x0
	s_load_dwordx4 s[16:19], s[0:1], 0x48
	s_ashr_i32 s8, s2, 31
	s_ashr_i32 s9, s15, 31
	v_and_b32_e32 v2, 3, v0
	s_lshl_b32 s24, s2, 5
	v_cmp_gt_u32_e32 vcc, 16, v0
	s_and_saveexec_b64 s[6:7], vcc
	s_cbranch_execz .LBB306_4
; %bb.3:
	s_load_dwordx2 s[20:21], s[0:1], 0x8
	s_waitcnt lgkmcnt(0)
	s_mul_i32 s22, s10, s16
	s_ashr_i32 s23, s22, 31
	s_lshl_b64 s[22:23], s[22:23], 1
	v_lshlrev_b32_e32 v1, 2, v0
	s_add_u32 s3, s20, s22
	s_addc_u32 s15, s21, s23
	s_ashr_i32 s25, s24, 31
	s_lshl_b64 s[20:21], s[24:25], 1
	s_add_u32 s20, s3, s20
	s_addc_u32 s21, s15, s21
	global_load_dword v1, v1, s[20:21]
	v_and_b32_e32 v3, 0x3fc, v0
	v_lshl_add_u32 v3, v2, 4, v3
	s_waitcnt vmcnt(0)
	ds_write_b32 v3, v1
.LBB306_4:
	s_or_b64 exec, exec, s[6:7]
	s_mul_i32 s7, s14, s12
	s_sub_i32 s7, s13, s7
	s_xor_b32 s6, s8, s9
	s_add_i32 s8, s14, 1
	s_sub_i32 s9, s7, s12
	s_load_dwordx4 s[20:23], s[0:1], 0x68
	s_load_dword s3, s[0:1], 0x78
	s_cmp_ge_u32 s7, s12
	s_cselect_b32 s8, s8, s14
	s_cselect_b32 s7, s9, s7
	s_add_i32 s9, s8, 1
	s_cmp_ge_u32 s7, s12
	s_cselect_b32 s7, s9, s8
	s_waitcnt lgkmcnt(0)
	s_abs_i32 s25, s23
	v_cvt_f32_u32_e32 v1, s25
	s_xor_b32 s7, s7, s6
	s_sub_i32 s43, s7, s6
	s_sub_i32 s6, 0, s25
	v_rcp_iflag_f32_e32 v1, v1
	s_add_i32 s12, s11, -1
	s_abs_i32 s8, s12
	v_mul_f32_e32 v1, 0x4f7ffffe, v1
	v_cvt_u32_f32_e32 v1, v1
	s_barrier
	v_readfirstlane_b32 s33, v1
	s_mul_i32 s6, s6, s33
	s_mul_hi_u32 s6, s33, s6
	s_add_i32 s33, s33, s6
	s_cmp_lt_i32 s3, 0
	s_mul_hi_u32 s9, s8, s33
	s_cbranch_scc0 .LBB306_6
; %bb.5:
	s_mul_i32 s6, s20, s36
	s_add_i32 s6, s43, s6
	s_mul_i32 s6, s6, s3
	s_sub_i32 s36, 1, s6
	s_mov_b64 s[6:7], 0
	s_branch .LBB306_7
.LBB306_6:
	s_mov_b64 s[6:7], -1
                                        ; implicit-def: $sgpr36
.LBB306_7:
	s_load_dwordx2 s[28:29], s[0:1], 0x28
	s_ashr_i32 s19, s12, 31
	s_andn2_b64 vcc, exec, s[6:7]
	s_ashr_i32 s23, s23, 31
	s_cbranch_vccnz .LBB306_9
; %bb.8:
	s_mul_i32 s6, s5, s20
	s_add_i32 s2, s6, s2
	s_mul_i32 s2, s2, s3
	s_add_i32 s36, s2, 1
.LBB306_9:
	s_load_dword s2, s[0:1], 0x38
	s_load_dwordx2 s[26:27], s[0:1], 0x0
	s_load_dwordx2 s[34:35], s[0:1], 0x18
	s_load_dword s16, s[0:1], 0x88
	s_load_dwordx4 s[12:15], s[0:1], 0x58
	s_mul_i32 s3, s9, s25
	s_waitcnt lgkmcnt(0)
	s_mul_i32 s30, s10, s2
	s_sub_i32 s3, s8, s3
	s_ashr_i32 s31, s30, 31
	s_xor_b32 s2, s19, s23
	s_add_i32 s6, s9, 1
	s_sub_i32 s7, s3, s25
	s_cmp_ge_u32 s3, s25
	s_cselect_b32 s6, s6, s9
	s_cselect_b32 s3, s7, s3
	s_add_i32 s7, s6, 1
	s_cmp_ge_u32 s3, s25
	s_cselect_b32 s3, s7, s6
	s_xor_b32 s3, s3, s2
	s_sub_i32 s42, s3, s2
	s_add_i32 s2, s11, 15
	s_ashr_i32 s3, s2, 31
	s_lshr_b32 s3, s3, 28
	s_add_i32 s2, s2, s3
	s_ashr_i32 s20, s2, 4
	v_lshrrev_b32_e32 v1, 6, v0
	v_cmp_gt_i32_e64 s[6:7], s20, v1
	v_mov_b32_e32 v19, 0xff7fffff
	s_mul_i32 s43, s43, s18
	v_lshrrev_b32_e32 v14, 4, v0
	v_lshlrev_b32_e32 v16, 4, v1
	v_mbcnt_lo_u32_b32 v15, -1, 0
	s_and_saveexec_b64 s[18:19], s[6:7]
	s_cbranch_execz .LBB306_51
; %bb.10:
	s_load_dwordx2 s[0:1], s[0:1], 0x10
	s_sub_i32 s45, s42, s21
	s_ashr_i32 s2, s43, 31
	v_bfe_u32 v17, v0, 2, 4
	v_mov_b32_e32 v7, 0
	s_waitcnt lgkmcnt(0)
	s_add_u32 s0, s0, s43
	s_addc_u32 s1, s1, s2
	s_abs_i32 s46, s22
	v_cvt_f32_u32_e32 v3, s46
	v_lshlrev_b32_e32 v6, 4, v17
	v_lshl_add_u64 v[8:9], s[0:1], 0, v[6:7]
	s_sub_i32 s0, 0, s46
	v_rcp_iflag_f32_e32 v3, v3
	v_cmp_eq_u32_e32 vcc, 0, v2
	v_lshlrev_b32_e32 v18, 4, v2
	v_lshlrev_b32_e32 v6, 1, v2
	v_mul_f32_e32 v3, 0x4f7ffffe, v3
	v_cvt_u32_f32_e32 v3, v3
	s_mov_b32 s47, s17
	v_cmp_neq_f32_e64 s[2:3], s44, 0
	v_lshlrev_b32_e32 v21, 4, v1
	v_mul_lo_u32 v2, s0, v3
	s_lshl_b64 s[0:1], s[30:31], 2
	v_mul_hi_u32 v2, v3, v2
	s_add_u32 s0, s28, s0
	v_add_u32_e32 v20, v3, v2
	v_and_b32_e32 v2, 60, v14
	v_mov_b32_e32 v3, v7
	s_addc_u32 s1, s29, s1
	v_lshl_add_u64 v[10:11], s[0:1], 0, v[2:3]
	v_lshlrev_b32_e32 v2, 2, v17
	v_lshl_or_b32 v2, v1, 6, v2
	v_add_u32_e32 v22, 0x50, v2
	v_subrev_u32_e32 v2, s11, v17
	v_add_u32_e32 v23, 1, v2
	s_mov_b64 s[38:39], 0
	v_mov_b32_e32 v24, 0xff7fffff
	s_mov_b32 s48, 0xffff
	s_mov_b32 s49, 0x7f800000
	s_movk_i32 s50, 0x7fff
	v_mbcnt_hi_u32_b32 v25, -1, v15
	v_mov_b32_e32 v19, 0xff7fffff
	v_mov_b32_e32 v26, v1
	s_branch .LBB306_13
.LBB306_11:                             ;   in Loop: Header=BB306_13 Depth=1
	s_or_b64 exec, exec, s[40:41]
.LBB306_12:                             ;   in Loop: Header=BB306_13 Depth=1
	s_or_b64 exec, exec, s[8:9]
	v_add_u32_e32 v26, 2, v26
	v_cmp_le_i32_e64 s[0:1], s20, v26
	v_lshl_add_u64 v[10:11], v[10:11], 0, 8
	v_add_u32_e32 v21, 32, v21
	s_or_b64 s[38:39], s[0:1], s[38:39]
	v_add_u32_e32 v22, 0x80, v22
	s_andn2_b64 exec, exec, s[38:39]
	s_cbranch_execz .LBB306_50
.LBB306_13:                             ; =>This Inner Loop Header: Depth=1
	v_mul_hi_u32 v2, v21, s33
	s_waitcnt lgkmcnt(0)
	v_mul_lo_u32 v3, v2, s25
	v_sub_u32_e32 v3, v21, v3
	v_add_u32_e32 v4, 1, v2
	v_cmp_le_u32_e64 s[0:1], s25, v3
	s_nop 1
	v_cndmask_b32_e64 v2, v2, v4, s[0:1]
	v_subrev_u32_e32 v4, s25, v3
	v_cndmask_b32_e64 v3, v3, v4, s[0:1]
	v_add_u32_e32 v4, 1, v2
	v_cmp_le_u32_e64 s[0:1], s25, v3
	s_nop 1
	v_cndmask_b32_e64 v2, v2, v4, s[0:1]
	v_xor_b32_e32 v2, s23, v2
	v_subrev_u32_e32 v2, s23, v2
	v_add_u32_e32 v3, s36, v2
	v_sub_u32_e32 v5, 0, v3
	v_ashrrev_i32_e32 v4, 31, v3
	v_max_i32_e32 v3, v3, v5
	v_mul_hi_u32 v5, v3, v20
	v_mul_lo_u32 v5, v5, s46
	v_sub_u32_e32 v3, v3, v5
	v_subrev_u32_e32 v5, s46, v3
	v_cmp_le_u32_e64 s[0:1], s46, v3
	v_cmp_ge_i32_e64 s[8:9], s45, v2
	s_nop 0
	v_cndmask_b32_e64 v3, v3, v5, s[0:1]
	v_subrev_u32_e32 v5, s46, v3
	v_cmp_le_u32_e64 s[0:1], s46, v3
	s_nop 1
	v_cndmask_b32_e64 v3, v3, v5, s[0:1]
	v_xor_b32_e32 v3, v3, v4
	v_sub_u32_e32 v3, v3, v4
	v_cmp_ne_u32_e64 s[0:1], 0, v3
	s_and_b64 s[0:1], s[0:1], s[8:9]
	s_and_b64 s[40:41], vcc, s[0:1]
	s_and_saveexec_b64 s[8:9], s[40:41]
	s_cbranch_execz .LBB306_15
; %bb.14:                               ;   in Loop: Header=BB306_13 Depth=1
	ds_write_b32 v22, v24
.LBB306_15:                             ;   in Loop: Header=BB306_13 Depth=1
	s_or_b64 exec, exec, s[8:9]
	s_xor_b64 s[0:1], s[0:1], -1
	s_and_saveexec_b64 s[8:9], s[0:1]
	s_cbranch_execz .LBB306_12
; %bb.16:                               ;   in Loop: Header=BB306_13 Depth=1
	global_load_dword v2, v[10:11], off
	s_load_dword s51, s[12:13], 0x0
	s_waitcnt vmcnt(0)
	v_mad_i64_i32 v[2:3], s[0:1], v2, s47, v[8:9]
	v_lshl_add_u64 v[12:13], v[2:3], 0, v[6:7]
	global_load_ushort v28, v[12:13], off
	s_waitcnt vmcnt(0)
	v_and_b32_sdwa v2, s48, v28 dst_sel:DWORD dst_unused:UNUSED_PAD src0_sel:DWORD src1_sel:BYTE_0
	v_cvt_f32_fp8_sdwa v27, v2 src0_sel:BYTE_0
	ds_read_b128 v[2:5], v18
	s_waitcnt lgkmcnt(0)
	v_mul_f32_e32 v29, s51, v27
	v_and_b32_e32 v27, 0x7f800000, v29
	v_cmp_ne_u32_e64 s[0:1], s49, v27
                                        ; implicit-def: $vgpr27
	s_and_saveexec_b64 s[40:41], s[0:1]
	s_xor_b64 s[0:1], exec, s[40:41]
; %bb.17:                               ;   in Loop: Header=BB306_13 Depth=1
	v_bfe_u32 v27, v29, 16, 1
	v_add3_u32 v27, v29, v27, s50
                                        ; implicit-def: $vgpr29
; %bb.18:                               ;   in Loop: Header=BB306_13 Depth=1
	s_andn2_saveexec_b64 s[40:41], s[0:1]
; %bb.19:                               ;   in Loop: Header=BB306_13 Depth=1
	v_or_b32_e32 v27, 0x10000, v29
	v_cmp_eq_u32_sdwa s[0:1], v29, v7 src0_sel:WORD_0 src1_sel:DWORD
	s_nop 1
	v_cndmask_b32_e64 v27, v27, v29, s[0:1]
; %bb.20:                               ;   in Loop: Header=BB306_13 Depth=1
	s_or_b64 exec, exec, s[40:41]
	v_lshrrev_b16_e32 v28, 8, v28
	v_cvt_f32_fp8_sdwa v28, v28 src0_sel:BYTE_0
	s_nop 0
	v_mul_f32_e32 v29, s51, v28
	v_and_b32_e32 v28, 0x7f800000, v29
	v_cmp_ne_u32_e64 s[0:1], s49, v28
                                        ; implicit-def: $vgpr28
	s_and_saveexec_b64 s[40:41], s[0:1]
	s_xor_b64 s[0:1], exec, s[40:41]
; %bb.21:                               ;   in Loop: Header=BB306_13 Depth=1
	v_bfe_u32 v28, v29, 16, 1
	v_add3_u32 v28, v29, v28, s50
                                        ; implicit-def: $vgpr29
; %bb.22:                               ;   in Loop: Header=BB306_13 Depth=1
	s_andn2_saveexec_b64 s[40:41], s[0:1]
; %bb.23:                               ;   in Loop: Header=BB306_13 Depth=1
	v_or_b32_e32 v28, 0x10000, v29
	v_cmp_eq_u32_sdwa s[0:1], v29, v7 src0_sel:WORD_0 src1_sel:DWORD
	s_nop 1
	v_cndmask_b32_e64 v28, v28, v29, s[0:1]
; %bb.24:                               ;   in Loop: Header=BB306_13 Depth=1
	s_or_b64 exec, exec, s[40:41]
	global_load_ushort v30, v[12:13], off offset:8
	s_waitcnt vmcnt(0)
	v_and_b32_sdwa v29, s48, v30 dst_sel:DWORD dst_unused:UNUSED_PAD src0_sel:DWORD src1_sel:BYTE_0
	v_cvt_f32_fp8_sdwa v29, v29 src0_sel:BYTE_0
	s_nop 0
	v_mul_f32_e32 v31, s51, v29
	v_and_b32_e32 v29, 0x7f800000, v31
	v_cmp_ne_u32_e64 s[0:1], s49, v29
                                        ; implicit-def: $vgpr29
	s_and_saveexec_b64 s[40:41], s[0:1]
	s_xor_b64 s[0:1], exec, s[40:41]
; %bb.25:                               ;   in Loop: Header=BB306_13 Depth=1
	v_bfe_u32 v29, v31, 16, 1
	v_add3_u32 v29, v31, v29, s50
                                        ; implicit-def: $vgpr31
; %bb.26:                               ;   in Loop: Header=BB306_13 Depth=1
	s_andn2_saveexec_b64 s[40:41], s[0:1]
; %bb.27:                               ;   in Loop: Header=BB306_13 Depth=1
	v_or_b32_e32 v29, 0x10000, v31
	v_cmp_eq_u32_sdwa s[0:1], v31, v7 src0_sel:WORD_0 src1_sel:DWORD
	s_nop 1
	v_cndmask_b32_e64 v29, v29, v31, s[0:1]
; %bb.28:                               ;   in Loop: Header=BB306_13 Depth=1
	s_or_b64 exec, exec, s[40:41]
	v_lshrrev_b16_e32 v30, 8, v30
	v_cvt_f32_fp8_sdwa v30, v30 src0_sel:BYTE_0
	s_nop 0
	v_mul_f32_e32 v31, s51, v30
	v_and_b32_e32 v30, 0x7f800000, v31
	v_cmp_ne_u32_e64 s[0:1], s49, v30
                                        ; implicit-def: $vgpr30
	s_and_saveexec_b64 s[40:41], s[0:1]
	s_xor_b64 s[0:1], exec, s[40:41]
; %bb.29:                               ;   in Loop: Header=BB306_13 Depth=1
	v_bfe_u32 v30, v31, 16, 1
	v_add3_u32 v30, v31, v30, s50
                                        ; implicit-def: $vgpr31
; %bb.30:                               ;   in Loop: Header=BB306_13 Depth=1
	s_andn2_saveexec_b64 s[40:41], s[0:1]
; %bb.31:                               ;   in Loop: Header=BB306_13 Depth=1
	v_or_b32_e32 v30, 0x10000, v31
	v_cmp_eq_u32_sdwa s[0:1], v31, v7 src0_sel:WORD_0 src1_sel:DWORD
	s_nop 1
	v_cndmask_b32_e64 v30, v30, v31, s[0:1]
; %bb.32:                               ;   in Loop: Header=BB306_13 Depth=1
	s_or_b64 exec, exec, s[40:41]
	global_load_ushort v32, v[12:13], off offset:256
	s_waitcnt vmcnt(0)
	v_and_b32_sdwa v31, s48, v32 dst_sel:DWORD dst_unused:UNUSED_PAD src0_sel:DWORD src1_sel:BYTE_0
	v_cvt_f32_fp8_sdwa v31, v31 src0_sel:BYTE_0
	s_nop 0
	v_mul_f32_e32 v33, s51, v31
	v_and_b32_e32 v31, 0x7f800000, v33
	v_cmp_ne_u32_e64 s[0:1], s49, v31
                                        ; implicit-def: $vgpr31
	s_and_saveexec_b64 s[40:41], s[0:1]
	s_xor_b64 s[0:1], exec, s[40:41]
; %bb.33:                               ;   in Loop: Header=BB306_13 Depth=1
	v_bfe_u32 v31, v33, 16, 1
	v_add3_u32 v31, v33, v31, s50
                                        ; implicit-def: $vgpr33
; %bb.34:                               ;   in Loop: Header=BB306_13 Depth=1
	s_andn2_saveexec_b64 s[40:41], s[0:1]
; %bb.35:                               ;   in Loop: Header=BB306_13 Depth=1
	v_or_b32_e32 v31, 0x10000, v33
	v_cmp_eq_u32_sdwa s[0:1], v33, v7 src0_sel:WORD_0 src1_sel:DWORD
	s_nop 1
	v_cndmask_b32_e64 v31, v31, v33, s[0:1]
; %bb.36:                               ;   in Loop: Header=BB306_13 Depth=1
	s_or_b64 exec, exec, s[40:41]
	v_lshrrev_b16_e32 v32, 8, v32
	v_cvt_f32_fp8_sdwa v32, v32 src0_sel:BYTE_0
	s_nop 0
	v_mul_f32_e32 v33, s51, v32
	v_and_b32_e32 v32, 0x7f800000, v33
	v_cmp_ne_u32_e64 s[0:1], s49, v32
                                        ; implicit-def: $vgpr32
	s_and_saveexec_b64 s[40:41], s[0:1]
	s_xor_b64 s[0:1], exec, s[40:41]
; %bb.37:                               ;   in Loop: Header=BB306_13 Depth=1
	v_bfe_u32 v32, v33, 16, 1
	v_add3_u32 v32, v33, v32, s50
                                        ; implicit-def: $vgpr33
; %bb.38:                               ;   in Loop: Header=BB306_13 Depth=1
	s_andn2_saveexec_b64 s[40:41], s[0:1]
; %bb.39:                               ;   in Loop: Header=BB306_13 Depth=1
	v_or_b32_e32 v32, 0x10000, v33
	v_cmp_eq_u32_sdwa s[0:1], v33, v7 src0_sel:WORD_0 src1_sel:DWORD
	s_nop 1
	v_cndmask_b32_e64 v32, v32, v33, s[0:1]
; %bb.40:                               ;   in Loop: Header=BB306_13 Depth=1
	s_or_b64 exec, exec, s[40:41]
	global_load_ushort v13, v[12:13], off offset:264
	s_waitcnt vmcnt(0)
	v_and_b32_sdwa v12, s48, v13 dst_sel:DWORD dst_unused:UNUSED_PAD src0_sel:DWORD src1_sel:BYTE_0
	v_cvt_f32_fp8_sdwa v12, v12 src0_sel:BYTE_0
	s_nop 0
	v_mul_f32_e32 v33, s51, v12
	v_and_b32_e32 v12, 0x7f800000, v33
	v_cmp_ne_u32_e64 s[0:1], s49, v12
                                        ; implicit-def: $vgpr12
	s_and_saveexec_b64 s[40:41], s[0:1]
	s_xor_b64 s[0:1], exec, s[40:41]
; %bb.41:                               ;   in Loop: Header=BB306_13 Depth=1
	v_bfe_u32 v12, v33, 16, 1
	v_add3_u32 v12, v33, v12, s50
                                        ; implicit-def: $vgpr33
; %bb.42:                               ;   in Loop: Header=BB306_13 Depth=1
	s_andn2_saveexec_b64 s[40:41], s[0:1]
; %bb.43:                               ;   in Loop: Header=BB306_13 Depth=1
	v_or_b32_e32 v12, 0x10000, v33
	v_cmp_eq_u32_sdwa s[0:1], v33, v7 src0_sel:WORD_0 src1_sel:DWORD
	s_nop 1
	v_cndmask_b32_e64 v12, v12, v33, s[0:1]
; %bb.44:                               ;   in Loop: Header=BB306_13 Depth=1
	s_or_b64 exec, exec, s[40:41]
	v_lshrrev_b16_e32 v13, 8, v13
	v_cvt_f32_fp8_sdwa v13, v13 src0_sel:BYTE_0
	s_nop 0
	v_mul_f32_e32 v33, s51, v13
	v_and_b32_e32 v13, 0x7f800000, v33
	v_cmp_ne_u32_e64 s[0:1], s49, v13
                                        ; implicit-def: $vgpr13
	s_and_saveexec_b64 s[40:41], s[0:1]
	s_xor_b64 s[0:1], exec, s[40:41]
; %bb.45:                               ;   in Loop: Header=BB306_13 Depth=1
	v_bfe_u32 v13, v33, 16, 1
	v_add3_u32 v13, v33, v13, s50
                                        ; implicit-def: $vgpr33
; %bb.46:                               ;   in Loop: Header=BB306_13 Depth=1
	s_andn2_saveexec_b64 s[40:41], s[0:1]
; %bb.47:                               ;   in Loop: Header=BB306_13 Depth=1
	v_or_b32_e32 v13, 0x10000, v33
	v_cmp_eq_u32_sdwa s[0:1], v33, v7 src0_sel:WORD_0 src1_sel:DWORD
	s_nop 1
	v_cndmask_b32_e64 v13, v13, v33, s[0:1]
; %bb.48:                               ;   in Loop: Header=BB306_13 Depth=1
	s_or_b64 exec, exec, s[40:41]
	v_and_b32_e32 v30, 0xffff0000, v30
	v_and_b32_e32 v29, 0xffff0000, v29
	v_lshlrev_b32_e32 v34, 16, v3
	v_and_b32_e32 v3, 0xffff0000, v3
	v_and_b32_e32 v28, 0xffff0000, v28
	;; [unrolled: 1-line block ×3, first 2 shown]
	v_lshlrev_b32_e32 v33, 16, v2
	v_and_b32_e32 v37, 64, v25
	v_and_b32_e32 v2, 0xffff0000, v2
	v_mul_f32_e32 v29, v34, v29
	v_mul_f32_e32 v3, v3, v30
	v_and_b32_e32 v32, 0xffff0000, v32
	v_and_b32_e32 v31, 0xffff0000, v31
	v_lshlrev_b32_e32 v35, 16, v4
	v_add_u32_e32 v37, 64, v37
	v_xor_b32_e32 v38, 2, v25
	v_and_b32_e32 v4, 0xffff0000, v4
	v_fmac_f32_e32 v29, v33, v27
	v_fmac_f32_e32 v3, v2, v28
	v_and_b32_e32 v12, 0xffff0000, v12
	v_lshlrev_b32_e32 v36, 16, v5
	v_cmp_lt_i32_e64 s[0:1], v38, v37
	v_and_b32_e32 v13, 0xffff0000, v13
	v_and_b32_e32 v5, 0xffff0000, v5
	v_fmac_f32_e32 v29, v35, v31
	v_fmac_f32_e32 v3, v4, v32
	v_cndmask_b32_e64 v38, v25, v38, s[0:1]
	v_fmac_f32_e32 v29, v36, v12
	v_fmac_f32_e32 v3, v5, v13
	v_lshlrev_b32_e32 v38, 2, v38
	v_add_f32_e32 v2, v29, v3
	ds_bpermute_b32 v3, v38, v2
	v_xor_b32_e32 v4, 1, v25
	v_cmp_lt_i32_e64 s[0:1], v4, v37
	s_waitcnt lgkmcnt(0)
	v_add_f32_e32 v2, v2, v3
	v_cndmask_b32_e64 v4, v25, v4, s[0:1]
	v_lshlrev_b32_e32 v4, 2, v4
	ds_bpermute_b32 v3, v4, v2
	s_and_saveexec_b64 s[40:41], vcc
	s_cbranch_execz .LBB306_11
; %bb.49:                               ;   in Loop: Header=BB306_13 Depth=1
	v_add_u32_e32 v4, v23, v21
	v_cvt_f32_i32_e32 v4, v4
	s_waitcnt lgkmcnt(0)
	v_add_f32_e32 v2, v2, v3
	v_add_u32_e32 v5, v17, v21
	v_cmp_gt_i32_e64 s[0:1], s11, v5
	v_mul_f32_e32 v3, s44, v4
	v_cndmask_b32_e64 v3, 0, v3, s[2:3]
	v_fmac_f32_e32 v3, s37, v2
	v_cndmask_b32_e64 v2, 0, v3, s[0:1]
	ds_write_b32 v22, v2
	v_max_f32_e32 v2, v19, v19
	v_max_f32_e32 v2, v2, v3
	v_cndmask_b32_e64 v19, v19, v2, s[0:1]
	s_branch .LBB306_11
.LBB306_50:
	s_or_b64 exec, exec, s[38:39]
.LBB306_51:
	s_or_b64 exec, exec, s[18:19]
	v_mbcnt_hi_u32_b32 v2, -1, v15
	s_waitcnt lgkmcnt(0)
	v_and_b32_e32 v3, 64, v2
	v_add_u32_e32 v3, 64, v3
	v_xor_b32_e32 v4, 32, v2
	v_cmp_lt_i32_e32 vcc, v4, v3
	v_xor_b32_e32 v7, 16, v2
	v_max_f32_e32 v6, v19, v19
	v_cndmask_b32_e32 v4, v2, v4, vcc
	v_lshlrev_b32_e32 v4, 2, v4
	ds_bpermute_b32 v5, v4, v19
	v_cmp_lt_i32_e32 vcc, v7, v3
	v_xor_b32_e32 v8, 8, v2
	v_xor_b32_e32 v9, 4, v2
	v_and_b32_e32 v17, 63, v0
	s_waitcnt lgkmcnt(0)
	v_max_f32_e32 v5, v5, v5
	v_max_f32_e32 v6, v6, v5
	v_cndmask_b32_e32 v5, v2, v7, vcc
	v_lshlrev_b32_e32 v5, 2, v5
	ds_bpermute_b32 v7, v5, v6
	v_cmp_lt_i32_e32 vcc, v8, v3
	s_waitcnt lgkmcnt(0)
	v_max_f32_e32 v7, v7, v7
	v_max_f32_e32 v6, v6, v7
	v_cndmask_b32_e32 v7, v2, v8, vcc
	v_lshlrev_b32_e32 v8, 2, v7
	ds_bpermute_b32 v7, v8, v6
	v_cmp_lt_i32_e32 vcc, v9, v3
	s_waitcnt lgkmcnt(0)
	v_max_f32_e32 v7, v7, v7
	v_max_f32_e32 v7, v6, v7
	v_cndmask_b32_e32 v6, v2, v9, vcc
	v_lshlrev_b32_e32 v9, 2, v6
	ds_bpermute_b32 v10, v9, v7
	v_cmp_eq_u32_e32 vcc, 0, v17
	v_lshlrev_b32_e32 v6, 2, v1
	s_and_saveexec_b64 s[0:1], vcc
	s_cbranch_execz .LBB306_53
; %bb.52:
	s_waitcnt lgkmcnt(0)
	v_max_f32_e32 v10, v10, v10
	v_max_f32_e32 v7, v7, v7
	;; [unrolled: 1-line block ×3, first 2 shown]
	ds_write_b32 v6, v7 offset:64
.LBB306_53:
	s_or_b64 exec, exec, s[0:1]
	v_cmp_gt_u32_e64 s[0:1], 2, v17
	s_waitcnt lgkmcnt(0)
	v_mov_b32_e32 v10, 0xff7fffff
	v_lshlrev_b32_e32 v7, 2, v17
	s_barrier
	s_and_saveexec_b64 s[2:3], s[0:1]
	s_cbranch_execz .LBB306_55
; %bb.54:
	ds_read_b32 v10, v7 offset:64
.LBB306_55:
	s_or_b64 exec, exec, s[2:3]
	v_xor_b32_e32 v11, 1, v2
	v_cmp_lt_i32_e64 s[2:3], v11, v3
	v_lshlrev_b32_e32 v12, 2, v2
	s_nop 0
	v_cndmask_b32_e64 v11, v2, v11, s[2:3]
	v_lshlrev_b32_e32 v18, 2, v11
	s_waitcnt lgkmcnt(0)
	ds_bpermute_b32 v11, v18, v10
	v_max_f32_e32 v10, v10, v10
	s_lshl_b32 s2, s20, 4
	s_min_i32 s37, s2, s11
	v_cmp_gt_i32_e64 s[2:3], s37, v0
	s_waitcnt lgkmcnt(0)
	v_max_f32_e32 v11, v11, v11
	v_max_f32_e32 v11, v10, v11
	v_and_b32_e32 v10, 0x100, v12
	ds_bpermute_b32 v12, v10, v11
	v_mov_b32_e32 v11, 0
	s_and_saveexec_b64 s[12:13], s[2:3]
	s_cbranch_execz .LBB306_59
; %bb.56:
	v_mov_b32_e32 v11, 0x50
	v_lshl_add_u32 v13, v0, 2, v11
	s_mov_b64 s[18:19], 0
	v_mov_b32_e32 v11, 0
	v_mov_b32_e32 v15, v0
.LBB306_57:                             ; =>This Inner Loop Header: Depth=1
	ds_read_b32 v19, v13
	v_add_u32_e32 v15, 0x80, v15
	v_cmp_le_i32_e64 s[8:9], s37, v15
	s_or_b64 s[18:19], s[8:9], s[18:19]
	s_waitcnt lgkmcnt(0)
	v_sub_f32_e32 v19, v19, v12
	v_mul_f32_e32 v19, 0x3fb8aa3b, v19
	v_exp_f32_e32 v19, v19
	ds_write_b32 v13, v19
	v_add_f32_e32 v11, v11, v19
	v_add_u32_e32 v13, 0x200, v13
	s_andn2_b64 exec, exec, s[18:19]
	s_cbranch_execnz .LBB306_57
; %bb.58:
	s_or_b64 exec, exec, s[18:19]
.LBB306_59:
	s_or_b64 exec, exec, s[12:13]
	ds_bpermute_b32 v4, v4, v11
	s_waitcnt lgkmcnt(0)
	v_add_f32_e32 v4, v11, v4
	ds_bpermute_b32 v5, v5, v4
	s_waitcnt lgkmcnt(0)
	v_add_f32_e32 v4, v4, v5
	ds_bpermute_b32 v5, v8, v4
	v_xor_b32_e32 v8, 2, v2
	v_cmp_lt_i32_e64 s[8:9], v8, v3
	s_waitcnt lgkmcnt(0)
	v_add_f32_e32 v4, v4, v5
	ds_bpermute_b32 v5, v9, v4
	v_cndmask_b32_e64 v2, v2, v8, s[8:9]
	v_lshlrev_b32_e32 v2, 2, v2
	s_waitcnt lgkmcnt(0)
	v_add_f32_e32 v3, v4, v5
	ds_bpermute_b32 v2, v2, v3
	s_waitcnt lgkmcnt(0)
	v_add_f32_e32 v2, v3, v2
	ds_bpermute_b32 v3, v18, v2
	s_waitcnt lgkmcnt(0)
	v_add_f32_e32 v2, v2, v3
	s_and_saveexec_b64 s[8:9], vcc
	s_cbranch_execz .LBB306_61
; %bb.60:
	ds_write_b32 v6, v2 offset:72
.LBB306_61:
	s_or_b64 exec, exec, s[8:9]
	s_waitcnt lgkmcnt(0)
	s_barrier
	s_and_saveexec_b64 s[8:9], s[0:1]
	s_cbranch_execz .LBB306_63
; %bb.62:
	ds_read_b32 v2, v7 offset:72
.LBB306_63:
	s_or_b64 exec, exec, s[8:9]
	s_waitcnt lgkmcnt(0)
	ds_bpermute_b32 v3, v18, v2
	s_waitcnt lgkmcnt(0)
	v_add_f32_e32 v2, v2, v3
	ds_bpermute_b32 v2, v10, v2
	s_and_saveexec_b64 s[0:1], s[2:3]
	s_cbranch_execz .LBB306_76
; %bb.64:
	s_waitcnt lgkmcnt(0)
	v_add_f32_e32 v2, 0x358637bd, v2
	v_div_scale_f32 v3, s[2:3], v2, v2, 1.0
	v_rcp_f32_e32 v4, v3
	v_div_scale_f32 v5, vcc, 1.0, v2, 1.0
	s_movk_i32 s2, 0x7f
	v_fma_f32 v6, -v3, v4, 1.0
	v_fmac_f32_e32 v4, v6, v4
	v_mul_f32_e32 v6, v5, v4
	v_fma_f32 v7, -v3, v6, v5
	v_fmac_f32_e32 v6, v7, v4
	v_fma_f32 v3, -v3, v6, v5
	v_div_fmas_f32 v3, v3, v4, v6
	v_xad_u32 v4, v0, -1, s37
	v_div_fixup_f32 v2, v3, v2, 1.0
	v_cmp_lt_u32_e32 vcc, s2, v4
	s_mov_b64 s[8:9], -1
	v_mov_b32_e32 v3, v0
	s_and_saveexec_b64 s[2:3], vcc
	s_cbranch_execz .LBB306_73
; %bb.65:
	v_lshrrev_b32_e32 v4, 7, v4
	v_add_u32_e32 v6, -1, v4
	v_lshrrev_b32_e32 v5, 1, v6
	v_mov_b32_e32 v3, v2
	v_add_u32_e32 v5, 1, v5
	v_cmp_lt_u32_e32 vcc, 13, v6
	v_mov_b32_e32 v8, 0
	s_and_saveexec_b64 s[8:9], vcc
	s_cbranch_execz .LBB306_69
; %bb.66:
	v_mov_b32_e32 v7, 0x50
	v_and_b32_e32 v6, -8, v5
	v_lshl_add_u32 v7, v0, 2, v7
	s_mov_b32 s18, 0
	s_mov_b64 s[12:13], 0
.LBB306_67:                             ; =>This Inner Loop Header: Depth=1
	ds_read2st64_b32 v[8:9], v7 offset1:2
	ds_read2st64_b32 v[10:11], v7 offset0:4 offset1:6
	ds_read2st64_b32 v[12:13], v7 offset0:8 offset1:10
	;; [unrolled: 1-line block ×3, first 2 shown]
	v_add_u32_e32 v6, -8, v6
	s_waitcnt lgkmcnt(3)
	v_pk_mul_f32 v[8:9], v[2:3], v[8:9]
	s_waitcnt lgkmcnt(2)
	v_pk_mul_f32 v[10:11], v[2:3], v[10:11]
	ds_write2st64_b32 v7, v8, v9 offset1:2
	ds_write2st64_b32 v7, v10, v11 offset0:4 offset1:6
	ds_read2st64_b32 v[10:11], v7 offset0:16 offset1:18
	s_waitcnt lgkmcnt(4)
	v_pk_mul_f32 v[8:9], v[2:3], v[12:13]
	ds_write2st64_b32 v7, v8, v9 offset0:8 offset1:10
	s_waitcnt lgkmcnt(4)
	v_pk_mul_f32 v[8:9], v[2:3], v[20:21]
	ds_write2st64_b32 v7, v8, v9 offset0:12 offset1:14
	ds_read2st64_b32 v[8:9], v7 offset0:20 offset1:22
	s_waitcnt lgkmcnt(3)
	v_pk_mul_f32 v[10:11], v[2:3], v[10:11]
	ds_read2st64_b32 v[12:13], v7 offset0:24 offset1:26
	ds_write2st64_b32 v7, v10, v11 offset0:16 offset1:18
	ds_read2st64_b32 v[10:11], v7 offset0:28 offset1:30
	s_waitcnt lgkmcnt(3)
	v_pk_mul_f32 v[8:9], v[2:3], v[8:9]
	ds_write2st64_b32 v7, v8, v9 offset0:20 offset1:22
	s_waitcnt lgkmcnt(3)
	v_pk_mul_f32 v[8:9], v[2:3], v[12:13]
	ds_write2st64_b32 v7, v8, v9 offset0:24 offset1:26
	s_waitcnt lgkmcnt(2)
	v_pk_mul_f32 v[8:9], v[2:3], v[10:11]
	s_add_i32 s18, s18, 16
	v_cmp_eq_u32_e32 vcc, 0, v6
	ds_write2st64_b32 v7, v8, v9 offset0:28 offset1:30
	v_add_u32_e32 v7, 0x2000, v7
	s_or_b64 s[12:13], vcc, s[12:13]
	v_mov_b32_e32 v8, s18
	s_andn2_b64 exec, exec, s[12:13]
	s_cbranch_execnz .LBB306_67
; %bb.68:
	s_or_b64 exec, exec, s[12:13]
.LBB306_69:
	s_or_b64 exec, exec, s[8:9]
	v_and_b32_e32 v5, 7, v5
	v_cmp_ne_u32_e32 vcc, 0, v5
	s_and_saveexec_b64 s[8:9], vcc
	s_cbranch_execz .LBB306_72
; %bb.70:
	v_lshlrev_b32_e32 v6, 9, v8
	v_lshlrev_b32_e32 v7, 2, v0
	s_movk_i32 s12, 0x50
	v_add3_u32 v6, v6, v7, s12
	s_mov_b64 s[12:13], 0
.LBB306_71:                             ; =>This Inner Loop Header: Depth=1
	ds_read2st64_b32 v[8:9], v6 offset1:2
	v_add_u32_e32 v5, -1, v5
	v_cmp_eq_u32_e32 vcc, 0, v5
	s_or_b64 s[12:13], vcc, s[12:13]
	s_waitcnt lgkmcnt(0)
	v_pk_mul_f32 v[8:9], v[2:3], v[8:9]
	ds_write2st64_b32 v6, v8, v9 offset1:2
	v_add_u32_e32 v6, 0x400, v6
	s_andn2_b64 exec, exec, s[12:13]
	s_cbranch_execnz .LBB306_71
.LBB306_72:
	s_or_b64 exec, exec, s[8:9]
	v_add_u32_e32 v4, 1, v4
	v_and_b32_e32 v5, 0x3fffffe, v4
	v_cmp_ne_u32_e32 vcc, v4, v5
	v_lshl_add_u32 v3, v5, 7, v0
	s_orn2_b64 s[8:9], vcc, exec
.LBB306_73:
	s_or_b64 exec, exec, s[2:3]
	s_and_b64 exec, exec, s[8:9]
	s_cbranch_execz .LBB306_76
; %bb.74:
	v_mov_b32_e32 v4, 0x50
	v_lshl_add_u32 v4, v3, 2, v4
	s_mov_b64 s[2:3], 0
.LBB306_75:                             ; =>This Inner Loop Header: Depth=1
	ds_read_b32 v5, v4
	v_add_u32_e32 v3, 0x80, v3
	v_cmp_le_i32_e32 vcc, s37, v3
	s_or_b64 s[2:3], vcc, s[2:3]
	s_waitcnt lgkmcnt(0)
	v_mul_f32_e32 v5, v2, v5
	ds_write_b32 v4, v5
	v_add_u32_e32 v4, 0x200, v4
	s_andn2_b64 exec, exec, s[2:3]
	s_cbranch_execnz .LBB306_75
.LBB306_76:
	s_or_b64 exec, exec, s[0:1]
	v_mov_b32_e32 v10, 0
	s_waitcnt lgkmcnt(0)
	s_barrier
	s_and_saveexec_b64 s[2:3], s[6:7]
	s_cbranch_execz .LBB306_180
; %bb.77:
	s_sub_i32 s12, s42, s21
	s_ashr_i32 s1, s43, 31
	s_add_u32 s0, s34, s43
	s_addc_u32 s1, s35, s1
	s_abs_i32 s13, s22
	v_cvt_f32_u32_e32 v2, s13
	v_lshlrev_b32_e32 v3, 3, v0
	v_and_b32_e32 v10, 0x1f8, v3
	v_mov_b32_e32 v11, 0
	v_rcp_iflag_f32_e32 v2, v2
	v_lshl_add_u64 v[12:13], s[0:1], 0, v[10:11]
	s_sub_i32 s0, 0, s13
	v_and_b32_e32 v19, 8, v3
	v_mul_f32_e32 v2, 0x4f7ffffe, v2
	v_cvt_u32_f32_e32 v2, v2
	s_add_i32 s18, s20, -1
	v_and_b32_e32 v10, 60, v14
	s_mov_b64 s[6:7], 0
	v_mul_lo_u32 v3, s0, v2
	v_mul_hi_u32 v3, v2, v3
	v_add_u32_e32 v20, v2, v3
	s_lshl_b64 s[0:1], s[30:31], 2
	v_and_b32_e32 v2, 1, v0
	s_add_u32 s0, s28, s0
	v_lshlrev_b32_e32 v2, 5, v2
	s_addc_u32 s1, s29, s1
	v_lshl_or_b32 v2, v1, 6, v2
	v_lshl_add_u64 v[14:15], s[0:1], 0, v[10:11]
	v_add_u32_e32 v21, 0x50, v2
	s_mov_b32 s19, 0x7f800000
	s_movk_i32 s21, 0x7fff
	v_mov_b32_e32 v10, 0
	s_branch .LBB306_80
.LBB306_78:                             ;   in Loop: Header=BB306_80 Depth=1
	s_or_b64 exec, exec, s[8:9]
	v_and_b32_e32 v7, 0xffff0000, v6
	v_and_b32_e32 v6, 0xffff0000, v5
	;; [unrolled: 1-line block ×8, first 2 shown]
	v_pk_add_f32 v[2:3], v[22:23], v[8:9]
	v_pk_add_f32 v[4:5], v[4:5], v[6:7]
	v_add_f32_e32 v2, v2, v3
	v_add_f32_e32 v2, v2, v4
	;; [unrolled: 1-line block ×4, first 2 shown]
.LBB306_79:                             ;   in Loop: Header=BB306_80 Depth=1
	s_or_b64 exec, exec, s[0:1]
	v_add_u32_e32 v1, 2, v1
	v_cmp_le_i32_e32 vcc, s20, v1
	v_lshl_add_u64 v[14:15], v[14:15], 0, 8
	v_add_u32_e32 v16, 32, v16
	s_or_b64 s[6:7], vcc, s[6:7]
	v_add_u32_e32 v21, 0x80, v21
	s_andn2_b64 exec, exec, s[6:7]
	s_cbranch_execz .LBB306_179
.LBB306_80:                             ; =>This Inner Loop Header: Depth=1
	v_mul_hi_u32 v2, v16, s33
	v_mul_lo_u32 v3, v2, s25
	v_sub_u32_e32 v3, v16, v3
	v_add_u32_e32 v4, 1, v2
	v_cmp_le_u32_e32 vcc, s25, v3
	s_nop 1
	v_cndmask_b32_e32 v2, v2, v4, vcc
	v_subrev_u32_e32 v4, s25, v3
	v_cndmask_b32_e32 v3, v3, v4, vcc
	v_add_u32_e32 v4, 1, v2
	v_cmp_le_u32_e32 vcc, s25, v3
	s_nop 1
	v_cndmask_b32_e32 v2, v2, v4, vcc
	v_xor_b32_e32 v2, s23, v2
	v_subrev_u32_e32 v2, s23, v2
	v_add_u32_e32 v3, s36, v2
	v_sub_u32_e32 v5, 0, v3
	v_ashrrev_i32_e32 v4, 31, v3
	v_max_i32_e32 v3, v3, v5
	v_mul_hi_u32 v5, v3, v20
	v_mul_lo_u32 v5, v5, s13
	v_sub_u32_e32 v3, v3, v5
	v_subrev_u32_e32 v5, s13, v3
	v_cmp_le_u32_e32 vcc, s13, v3
	v_cmp_lt_i32_e64 s[0:1], s12, v2
	s_nop 0
	v_cndmask_b32_e32 v3, v3, v5, vcc
	v_subrev_u32_e32 v5, s13, v3
	v_cmp_le_u32_e32 vcc, s13, v3
	s_nop 1
	v_cndmask_b32_e32 v3, v3, v5, vcc
	v_xor_b32_e32 v3, v3, v4
	v_sub_u32_e32 v3, v3, v4
	v_cmp_eq_u32_e32 vcc, 0, v3
	s_or_b64 s[8:9], vcc, s[0:1]
	s_and_saveexec_b64 s[0:1], s[8:9]
	s_cbranch_execz .LBB306_79
; %bb.81:                               ;   in Loop: Header=BB306_80 Depth=1
	global_load_dword v26, v[14:15], off
	ds_read2_b64 v[6:9], v21 offset1:1
	ds_read2_b64 v[2:5], v21 offset0:2 offset1:3
                                        ; implicit-def: $vgpr25
	s_waitcnt lgkmcnt(1)
	v_and_b32_e32 v22, 0x7f800000, v6
	v_cmp_ne_u32_e32 vcc, s19, v22
	s_and_saveexec_b64 s[8:9], vcc
	s_xor_b64 s[8:9], exec, s[8:9]
; %bb.82:                               ;   in Loop: Header=BB306_80 Depth=1
	v_bfe_u32 v22, v6, 16, 1
	v_add3_u32 v25, v6, v22, s21
; %bb.83:                               ;   in Loop: Header=BB306_80 Depth=1
	s_andn2_saveexec_b64 s[8:9], s[8:9]
; %bb.84:                               ;   in Loop: Header=BB306_80 Depth=1
	v_or_b32_e32 v22, 0x10000, v6
	v_cmp_eq_u32_sdwa vcc, v6, v11 src0_sel:WORD_0 src1_sel:DWORD
	s_nop 1
	v_cndmask_b32_e32 v25, v22, v6, vcc
; %bb.85:                               ;   in Loop: Header=BB306_80 Depth=1
	s_or_b64 exec, exec, s[8:9]
	v_and_b32_e32 v6, 0x7f800000, v7
	v_cmp_ne_u32_e32 vcc, s19, v6
                                        ; implicit-def: $vgpr24
	s_and_saveexec_b64 s[8:9], vcc
	s_xor_b64 s[8:9], exec, s[8:9]
; %bb.86:                               ;   in Loop: Header=BB306_80 Depth=1
	v_bfe_u32 v6, v7, 16, 1
	v_add3_u32 v24, v7, v6, s21
; %bb.87:                               ;   in Loop: Header=BB306_80 Depth=1
	s_andn2_saveexec_b64 s[8:9], s[8:9]
; %bb.88:                               ;   in Loop: Header=BB306_80 Depth=1
	v_or_b32_e32 v6, 0x10000, v7
	v_cmp_eq_u32_sdwa vcc, v7, v11 src0_sel:WORD_0 src1_sel:DWORD
	s_nop 1
	v_cndmask_b32_e32 v24, v6, v7, vcc
; %bb.89:                               ;   in Loop: Header=BB306_80 Depth=1
	s_or_b64 exec, exec, s[8:9]
	v_and_b32_e32 v6, 0x7f800000, v8
	v_cmp_ne_u32_e32 vcc, s19, v6
                                        ; implicit-def: $vgpr23
	s_and_saveexec_b64 s[8:9], vcc
	s_xor_b64 s[8:9], exec, s[8:9]
; %bb.90:                               ;   in Loop: Header=BB306_80 Depth=1
	v_bfe_u32 v6, v8, 16, 1
	v_add3_u32 v23, v8, v6, s21
; %bb.91:                               ;   in Loop: Header=BB306_80 Depth=1
	s_andn2_saveexec_b64 s[8:9], s[8:9]
; %bb.92:                               ;   in Loop: Header=BB306_80 Depth=1
	v_or_b32_e32 v6, 0x10000, v8
	v_cmp_eq_u32_sdwa vcc, v8, v11 src0_sel:WORD_0 src1_sel:DWORD
	s_nop 1
	v_cndmask_b32_e32 v23, v6, v8, vcc
; %bb.93:                               ;   in Loop: Header=BB306_80 Depth=1
	s_or_b64 exec, exec, s[8:9]
	v_and_b32_e32 v6, 0x7f800000, v9
	v_cmp_ne_u32_e32 vcc, s19, v6
                                        ; implicit-def: $vgpr22
	s_and_saveexec_b64 s[8:9], vcc
	s_xor_b64 s[8:9], exec, s[8:9]
; %bb.94:                               ;   in Loop: Header=BB306_80 Depth=1
	v_bfe_u32 v6, v9, 16, 1
	v_add3_u32 v22, v9, v6, s21
                                        ; implicit-def: $vgpr6_vgpr7_vgpr8_vgpr9
; %bb.95:                               ;   in Loop: Header=BB306_80 Depth=1
	s_andn2_saveexec_b64 s[8:9], s[8:9]
; %bb.96:                               ;   in Loop: Header=BB306_80 Depth=1
	v_or_b32_e32 v6, 0x10000, v9
	v_cmp_eq_u32_sdwa vcc, v9, v11 src0_sel:WORD_0 src1_sel:DWORD
	s_nop 1
	v_cndmask_b32_e32 v22, v6, v9, vcc
; %bb.97:                               ;   in Loop: Header=BB306_80 Depth=1
	s_or_b64 exec, exec, s[8:9]
	s_waitcnt lgkmcnt(0)
	v_and_b32_e32 v6, 0x7f800000, v2
	v_cmp_ne_u32_e32 vcc, s19, v6
                                        ; implicit-def: $vgpr9
	s_and_saveexec_b64 s[8:9], vcc
	s_xor_b64 s[8:9], exec, s[8:9]
; %bb.98:                               ;   in Loop: Header=BB306_80 Depth=1
	v_bfe_u32 v6, v2, 16, 1
	v_add3_u32 v9, v2, v6, s21
; %bb.99:                               ;   in Loop: Header=BB306_80 Depth=1
	s_andn2_saveexec_b64 s[8:9], s[8:9]
; %bb.100:                              ;   in Loop: Header=BB306_80 Depth=1
	v_or_b32_e32 v6, 0x10000, v2
	v_cmp_eq_u32_sdwa vcc, v2, v11 src0_sel:WORD_0 src1_sel:DWORD
	s_nop 1
	v_cndmask_b32_e32 v9, v6, v2, vcc
; %bb.101:                              ;   in Loop: Header=BB306_80 Depth=1
	s_or_b64 exec, exec, s[8:9]
	v_and_b32_e32 v2, 0x7f800000, v3
	v_cmp_ne_u32_e32 vcc, s19, v2
                                        ; implicit-def: $vgpr8
	s_and_saveexec_b64 s[8:9], vcc
	s_xor_b64 s[8:9], exec, s[8:9]
; %bb.102:                              ;   in Loop: Header=BB306_80 Depth=1
	v_bfe_u32 v2, v3, 16, 1
	v_add3_u32 v8, v3, v2, s21
; %bb.103:                              ;   in Loop: Header=BB306_80 Depth=1
	s_andn2_saveexec_b64 s[8:9], s[8:9]
; %bb.104:                              ;   in Loop: Header=BB306_80 Depth=1
	v_or_b32_e32 v2, 0x10000, v3
	v_cmp_eq_u32_sdwa vcc, v3, v11 src0_sel:WORD_0 src1_sel:DWORD
	s_nop 1
	v_cndmask_b32_e32 v8, v2, v3, vcc
; %bb.105:                              ;   in Loop: Header=BB306_80 Depth=1
	s_or_b64 exec, exec, s[8:9]
	v_and_b32_e32 v2, 0x7f800000, v4
	v_cmp_ne_u32_e32 vcc, s19, v2
                                        ; implicit-def: $vgpr7
	s_and_saveexec_b64 s[8:9], vcc
	s_xor_b64 s[8:9], exec, s[8:9]
; %bb.106:                              ;   in Loop: Header=BB306_80 Depth=1
	v_bfe_u32 v2, v4, 16, 1
	v_add3_u32 v7, v4, v2, s21
; %bb.107:                              ;   in Loop: Header=BB306_80 Depth=1
	s_andn2_saveexec_b64 s[8:9], s[8:9]
; %bb.108:                              ;   in Loop: Header=BB306_80 Depth=1
	v_or_b32_e32 v2, 0x10000, v4
	v_cmp_eq_u32_sdwa vcc, v4, v11 src0_sel:WORD_0 src1_sel:DWORD
	s_nop 1
	v_cndmask_b32_e32 v7, v2, v4, vcc
; %bb.109:                              ;   in Loop: Header=BB306_80 Depth=1
	s_or_b64 exec, exec, s[8:9]
	v_and_b32_e32 v2, 0x7f800000, v5
	v_cmp_ne_u32_e32 vcc, s19, v2
                                        ; implicit-def: $vgpr6
	s_and_saveexec_b64 s[8:9], vcc
	s_xor_b64 s[8:9], exec, s[8:9]
; %bb.110:                              ;   in Loop: Header=BB306_80 Depth=1
	v_bfe_u32 v2, v5, 16, 1
	v_add3_u32 v6, v5, v2, s21
                                        ; implicit-def: $vgpr2_vgpr3_vgpr4_vgpr5
; %bb.111:                              ;   in Loop: Header=BB306_80 Depth=1
	s_andn2_saveexec_b64 s[8:9], s[8:9]
; %bb.112:                              ;   in Loop: Header=BB306_80 Depth=1
	v_or_b32_e32 v2, 0x10000, v5
	v_cmp_eq_u32_sdwa vcc, v5, v11 src0_sel:WORD_0 src1_sel:DWORD
	s_nop 1
	v_cndmask_b32_e32 v6, v2, v5, vcc
; %bb.113:                              ;   in Loop: Header=BB306_80 Depth=1
	s_or_b64 exec, exec, s[8:9]
	s_waitcnt vmcnt(0)
	v_mad_i64_i32 v[2:3], s[8:9], v26, s17, v[12:13]
	global_load_dwordx2 v[2:3], v[2:3], off
	s_load_dword s22, s[14:15], 0x0
	s_waitcnt vmcnt(0)
	v_and_b32_e32 v4, 0xff, v2
	v_cvt_f32_fp8_sdwa v4, v4 src0_sel:BYTE_0
	s_waitcnt lgkmcnt(0)
	v_mul_f32_e32 v5, s22, v4
	v_and_b32_e32 v4, 0x7f800000, v5
	v_cmp_ne_u32_e32 vcc, s19, v4
                                        ; implicit-def: $vgpr4
	s_and_saveexec_b64 s[8:9], vcc
	s_xor_b64 s[8:9], exec, s[8:9]
; %bb.114:                              ;   in Loop: Header=BB306_80 Depth=1
	v_bfe_u32 v4, v5, 16, 1
	v_add3_u32 v4, v5, v4, s21
                                        ; implicit-def: $vgpr5
; %bb.115:                              ;   in Loop: Header=BB306_80 Depth=1
	s_andn2_saveexec_b64 s[8:9], s[8:9]
; %bb.116:                              ;   in Loop: Header=BB306_80 Depth=1
	v_or_b32_e32 v4, 0x10000, v5
	v_cmp_eq_u32_sdwa vcc, v5, v11 src0_sel:WORD_0 src1_sel:DWORD
	s_nop 1
	v_cndmask_b32_e32 v4, v4, v5, vcc
; %bb.117:                              ;   in Loop: Header=BB306_80 Depth=1
	s_or_b64 exec, exec, s[8:9]
	v_bfe_u32 v5, v2, 8, 8
	v_cvt_f32_fp8_sdwa v5, v5 src0_sel:BYTE_0
	s_nop 0
	v_mul_f32_e32 v5, s22, v5
	v_and_b32_e32 v26, 0x7f800000, v5
	v_cmp_ne_u32_e32 vcc, s19, v26
                                        ; implicit-def: $vgpr26
	s_and_saveexec_b64 s[8:9], vcc
	s_xor_b64 s[8:9], exec, s[8:9]
; %bb.118:                              ;   in Loop: Header=BB306_80 Depth=1
	v_bfe_u32 v26, v5, 16, 1
	v_add3_u32 v26, v5, v26, s21
                                        ; implicit-def: $vgpr5
; %bb.119:                              ;   in Loop: Header=BB306_80 Depth=1
	s_andn2_saveexec_b64 s[8:9], s[8:9]
; %bb.120:                              ;   in Loop: Header=BB306_80 Depth=1
	v_or_b32_e32 v26, 0x10000, v5
	v_cmp_eq_u32_sdwa vcc, v5, v11 src0_sel:WORD_0 src1_sel:DWORD
	s_nop 1
	v_cndmask_b32_e32 v26, v26, v5, vcc
; %bb.121:                              ;   in Loop: Header=BB306_80 Depth=1
	s_or_b64 exec, exec, s[8:9]
	v_bfe_u32 v5, v2, 16, 8
	v_cvt_f32_fp8_sdwa v5, v5 src0_sel:BYTE_0
                                        ; implicit-def: $vgpr28
	s_nop 0
	v_mul_f32_e32 v5, s22, v5
	v_and_b32_e32 v27, 0x7f800000, v5
	v_cmp_ne_u32_e32 vcc, s19, v27
	s_and_saveexec_b64 s[8:9], vcc
	s_xor_b64 s[8:9], exec, s[8:9]
; %bb.122:                              ;   in Loop: Header=BB306_80 Depth=1
	v_bfe_u32 v27, v5, 16, 1
	v_add3_u32 v28, v5, v27, s21
                                        ; implicit-def: $vgpr5
; %bb.123:                              ;   in Loop: Header=BB306_80 Depth=1
	s_andn2_saveexec_b64 s[8:9], s[8:9]
; %bb.124:                              ;   in Loop: Header=BB306_80 Depth=1
	v_or_b32_e32 v27, 0x10000, v5
	v_cmp_eq_u32_sdwa vcc, v5, v11 src0_sel:WORD_0 src1_sel:DWORD
	s_nop 1
	v_cndmask_b32_e32 v28, v27, v5, vcc
; %bb.125:                              ;   in Loop: Header=BB306_80 Depth=1
	s_or_b64 exec, exec, s[8:9]
	v_lshrrev_b32_e32 v2, 24, v2
	v_cvt_f32_fp8_sdwa v2, v2 src0_sel:BYTE_0
	s_nop 0
	v_mul_f32_e32 v5, s22, v2
	v_and_b32_e32 v2, 0x7f800000, v5
	v_cmp_ne_u32_e32 vcc, s19, v2
                                        ; implicit-def: $vgpr2
	s_and_saveexec_b64 s[8:9], vcc
	s_xor_b64 s[8:9], exec, s[8:9]
; %bb.126:                              ;   in Loop: Header=BB306_80 Depth=1
	v_bfe_u32 v2, v5, 16, 1
	v_add3_u32 v2, v5, v2, s21
                                        ; implicit-def: $vgpr5
; %bb.127:                              ;   in Loop: Header=BB306_80 Depth=1
	s_andn2_saveexec_b64 s[8:9], s[8:9]
; %bb.128:                              ;   in Loop: Header=BB306_80 Depth=1
	v_or_b32_e32 v2, 0x10000, v5
	v_cmp_eq_u32_sdwa vcc, v5, v11 src0_sel:WORD_0 src1_sel:DWORD
	s_nop 1
	v_cndmask_b32_e32 v2, v2, v5, vcc
; %bb.129:                              ;   in Loop: Header=BB306_80 Depth=1
	s_or_b64 exec, exec, s[8:9]
	v_and_b32_e32 v5, 0xff, v3
	v_cvt_f32_fp8_sdwa v5, v5 src0_sel:BYTE_0
	s_nop 0
	v_mul_f32_e32 v5, s22, v5
	v_and_b32_e32 v27, 0x7f800000, v5
	v_cmp_ne_u32_e32 vcc, s19, v27
                                        ; implicit-def: $vgpr27
	s_and_saveexec_b64 s[8:9], vcc
	s_xor_b64 s[8:9], exec, s[8:9]
; %bb.130:                              ;   in Loop: Header=BB306_80 Depth=1
	v_bfe_u32 v27, v5, 16, 1
	v_add3_u32 v27, v5, v27, s21
                                        ; implicit-def: $vgpr5
; %bb.131:                              ;   in Loop: Header=BB306_80 Depth=1
	s_andn2_saveexec_b64 s[8:9], s[8:9]
; %bb.132:                              ;   in Loop: Header=BB306_80 Depth=1
	v_or_b32_e32 v27, 0x10000, v5
	v_cmp_eq_u32_sdwa vcc, v5, v11 src0_sel:WORD_0 src1_sel:DWORD
	s_nop 1
	v_cndmask_b32_e32 v27, v27, v5, vcc
; %bb.133:                              ;   in Loop: Header=BB306_80 Depth=1
	s_or_b64 exec, exec, s[8:9]
	v_bfe_u32 v5, v3, 8, 8
	v_cvt_f32_fp8_sdwa v5, v5 src0_sel:BYTE_0
	s_nop 0
	v_mul_f32_e32 v29, s22, v5
	v_and_b32_e32 v5, 0x7f800000, v29
	v_cmp_ne_u32_e32 vcc, s19, v5
                                        ; implicit-def: $vgpr5
	s_and_saveexec_b64 s[8:9], vcc
	s_xor_b64 s[8:9], exec, s[8:9]
; %bb.134:                              ;   in Loop: Header=BB306_80 Depth=1
	v_bfe_u32 v5, v29, 16, 1
	v_add3_u32 v5, v29, v5, s21
                                        ; implicit-def: $vgpr29
; %bb.135:                              ;   in Loop: Header=BB306_80 Depth=1
	s_andn2_saveexec_b64 s[8:9], s[8:9]
; %bb.136:                              ;   in Loop: Header=BB306_80 Depth=1
	v_or_b32_e32 v5, 0x10000, v29
	v_cmp_eq_u32_sdwa vcc, v29, v11 src0_sel:WORD_0 src1_sel:DWORD
	s_nop 1
	v_cndmask_b32_e32 v5, v5, v29, vcc
; %bb.137:                              ;   in Loop: Header=BB306_80 Depth=1
	s_or_b64 exec, exec, s[8:9]
	v_bfe_u32 v29, v3, 16, 8
	v_cvt_f32_fp8_sdwa v29, v29 src0_sel:BYTE_0
	s_nop 0
	v_mul_f32_e32 v29, s22, v29
	v_and_b32_e32 v30, 0x7f800000, v29
	v_cmp_ne_u32_e32 vcc, s19, v30
                                        ; implicit-def: $vgpr30
	s_and_saveexec_b64 s[8:9], vcc
	s_xor_b64 s[8:9], exec, s[8:9]
; %bb.138:                              ;   in Loop: Header=BB306_80 Depth=1
	v_bfe_u32 v30, v29, 16, 1
	v_add3_u32 v30, v29, v30, s21
                                        ; implicit-def: $vgpr29
; %bb.139:                              ;   in Loop: Header=BB306_80 Depth=1
	s_andn2_saveexec_b64 s[8:9], s[8:9]
; %bb.140:                              ;   in Loop: Header=BB306_80 Depth=1
	v_or_b32_e32 v30, 0x10000, v29
	v_cmp_eq_u32_sdwa vcc, v29, v11 src0_sel:WORD_0 src1_sel:DWORD
	s_nop 1
	v_cndmask_b32_e32 v30, v30, v29, vcc
; %bb.141:                              ;   in Loop: Header=BB306_80 Depth=1
	s_or_b64 exec, exec, s[8:9]
	v_lshrrev_b32_e32 v3, 24, v3
	v_cvt_f32_fp8_sdwa v3, v3 src0_sel:BYTE_0
                                        ; implicit-def: $vgpr31
	s_nop 0
	v_mul_f32_e32 v3, s22, v3
	v_and_b32_e32 v29, 0x7f800000, v3
	v_cmp_ne_u32_e32 vcc, s19, v29
	s_and_saveexec_b64 s[8:9], vcc
	s_xor_b64 s[8:9], exec, s[8:9]
; %bb.142:                              ;   in Loop: Header=BB306_80 Depth=1
	v_bfe_u32 v29, v3, 16, 1
	v_add3_u32 v31, v3, v29, s21
                                        ; implicit-def: $vgpr3
; %bb.143:                              ;   in Loop: Header=BB306_80 Depth=1
	s_andn2_saveexec_b64 s[8:9], s[8:9]
; %bb.144:                              ;   in Loop: Header=BB306_80 Depth=1
	v_or_b32_e32 v29, 0x10000, v3
	v_cmp_eq_u32_sdwa vcc, v3, v11 src0_sel:WORD_0 src1_sel:DWORD
	s_nop 1
	v_cndmask_b32_e32 v31, v29, v3, vcc
; %bb.145:                              ;   in Loop: Header=BB306_80 Depth=1
	s_or_b64 exec, exec, s[8:9]
	v_lshrrev_b32_e32 v5, 16, v5
	v_lshrrev_b32_e32 v27, 16, v27
	;; [unrolled: 1-line block ×8, first 2 shown]
	v_cmp_eq_u32_e32 vcc, s18, v1
	s_and_saveexec_b64 s[8:9], vcc
	s_cbranch_execz .LBB306_147
; %bb.146:                              ;   in Loop: Header=BB306_80 Depth=1
	v_add_u32_e32 v30, v19, v16
	v_cmp_gt_i32_e32 vcc, s11, v30
	v_add_u32_e32 v31, 1, v30
	s_nop 0
	v_cndmask_b32_e32 v3, 0, v3, vcc
	v_cmp_gt_i32_e32 vcc, s11, v31
	v_add_u32_e32 v31, 2, v30
	s_nop 0
	v_cndmask_b32_e32 v26, 0, v26, vcc
	;; [unrolled: 4-line block ×5, first 2 shown]
	v_cmp_gt_i32_e32 vcc, s11, v31
	v_add_u32_e32 v31, 6, v30
	v_add_u32_e32 v30, 7, v30
	v_cndmask_b32_e32 v5, 0, v5, vcc
	v_cmp_gt_i32_e32 vcc, s11, v31
	s_nop 1
	v_cndmask_b32_e32 v4, 0, v4, vcc
	v_cmp_gt_i32_e32 vcc, s11, v30
	s_nop 1
	v_cndmask_b32_e32 v2, 0, v2, vcc
.LBB306_147:                            ;   in Loop: Header=BB306_80 Depth=1
	s_or_b64 exec, exec, s[8:9]
	v_and_b32_e32 v25, 0xffff0000, v25
	v_lshlrev_b32_e32 v3, 16, v3
	v_mul_f32_e32 v25, v25, v3
	v_and_b32_e32 v3, 0x7f800000, v25
	v_cmp_ne_u32_e32 vcc, s19, v3
                                        ; implicit-def: $vgpr3
	s_and_saveexec_b64 s[8:9], vcc
	s_xor_b64 s[8:9], exec, s[8:9]
; %bb.148:                              ;   in Loop: Header=BB306_80 Depth=1
	v_bfe_u32 v3, v25, 16, 1
	v_add3_u32 v3, v25, v3, s21
                                        ; implicit-def: $vgpr25
; %bb.149:                              ;   in Loop: Header=BB306_80 Depth=1
	s_andn2_saveexec_b64 s[8:9], s[8:9]
; %bb.150:                              ;   in Loop: Header=BB306_80 Depth=1
	v_or_b32_e32 v3, 0x10000, v25
	v_cmp_eq_u32_sdwa vcc, v25, v11 src0_sel:WORD_0 src1_sel:DWORD
	s_nop 1
	v_cndmask_b32_e32 v3, v3, v25, vcc
; %bb.151:                              ;   in Loop: Header=BB306_80 Depth=1
	s_or_b64 exec, exec, s[8:9]
	v_and_b32_e32 v24, 0xffff0000, v24
	v_lshlrev_b32_e32 v25, 16, v26
	v_mul_f32_e32 v25, v24, v25
	v_and_b32_e32 v24, 0x7f800000, v25
	v_cmp_ne_u32_e32 vcc, s19, v24
                                        ; implicit-def: $vgpr24
	s_and_saveexec_b64 s[8:9], vcc
	s_xor_b64 s[8:9], exec, s[8:9]
; %bb.152:                              ;   in Loop: Header=BB306_80 Depth=1
	v_bfe_u32 v24, v25, 16, 1
	v_add3_u32 v24, v25, v24, s21
                                        ; implicit-def: $vgpr25
; %bb.153:                              ;   in Loop: Header=BB306_80 Depth=1
	s_andn2_saveexec_b64 s[8:9], s[8:9]
; %bb.154:                              ;   in Loop: Header=BB306_80 Depth=1
	v_or_b32_e32 v24, 0x10000, v25
	v_cmp_eq_u32_sdwa vcc, v25, v11 src0_sel:WORD_0 src1_sel:DWORD
	s_nop 1
	v_cndmask_b32_e32 v24, v24, v25, vcc
; %bb.155:                              ;   in Loop: Header=BB306_80 Depth=1
	s_or_b64 exec, exec, s[8:9]
	v_and_b32_e32 v23, 0xffff0000, v23
	v_lshlrev_b32_e32 v25, 16, v28
	v_mul_f32_e32 v25, v23, v25
	v_and_b32_e32 v23, 0x7f800000, v25
	v_cmp_ne_u32_e32 vcc, s19, v23
                                        ; implicit-def: $vgpr23
	s_and_saveexec_b64 s[8:9], vcc
	s_xor_b64 s[8:9], exec, s[8:9]
; %bb.156:                              ;   in Loop: Header=BB306_80 Depth=1
	v_bfe_u32 v23, v25, 16, 1
	v_add3_u32 v23, v25, v23, s21
                                        ; implicit-def: $vgpr25
; %bb.157:                              ;   in Loop: Header=BB306_80 Depth=1
	s_andn2_saveexec_b64 s[8:9], s[8:9]
; %bb.158:                              ;   in Loop: Header=BB306_80 Depth=1
	v_or_b32_e32 v23, 0x10000, v25
	v_cmp_eq_u32_sdwa vcc, v25, v11 src0_sel:WORD_0 src1_sel:DWORD
	s_nop 1
	v_cndmask_b32_e32 v23, v23, v25, vcc
; %bb.159:                              ;   in Loop: Header=BB306_80 Depth=1
	s_or_b64 exec, exec, s[8:9]
	v_and_b32_e32 v22, 0xffff0000, v22
	v_lshlrev_b32_e32 v25, 16, v29
	v_mul_f32_e32 v25, v22, v25
	v_and_b32_e32 v22, 0x7f800000, v25
	v_cmp_ne_u32_e32 vcc, s19, v22
                                        ; implicit-def: $vgpr22
	s_and_saveexec_b64 s[8:9], vcc
	s_xor_b64 s[8:9], exec, s[8:9]
; %bb.160:                              ;   in Loop: Header=BB306_80 Depth=1
	v_bfe_u32 v22, v25, 16, 1
	v_add3_u32 v22, v25, v22, s21
                                        ; implicit-def: $vgpr25
; %bb.161:                              ;   in Loop: Header=BB306_80 Depth=1
	s_andn2_saveexec_b64 s[8:9], s[8:9]
; %bb.162:                              ;   in Loop: Header=BB306_80 Depth=1
	v_or_b32_e32 v22, 0x10000, v25
	v_cmp_eq_u32_sdwa vcc, v25, v11 src0_sel:WORD_0 src1_sel:DWORD
	s_nop 1
	v_cndmask_b32_e32 v22, v22, v25, vcc
; %bb.163:                              ;   in Loop: Header=BB306_80 Depth=1
	s_or_b64 exec, exec, s[8:9]
	v_and_b32_e32 v9, 0xffff0000, v9
	v_lshlrev_b32_e32 v25, 16, v27
	v_mul_f32_e32 v25, v9, v25
	v_and_b32_e32 v9, 0x7f800000, v25
	v_cmp_ne_u32_e32 vcc, s19, v9
                                        ; implicit-def: $vgpr9
	s_and_saveexec_b64 s[8:9], vcc
	s_xor_b64 s[8:9], exec, s[8:9]
; %bb.164:                              ;   in Loop: Header=BB306_80 Depth=1
	v_bfe_u32 v9, v25, 16, 1
	v_add3_u32 v9, v25, v9, s21
                                        ; implicit-def: $vgpr25
; %bb.165:                              ;   in Loop: Header=BB306_80 Depth=1
	s_andn2_saveexec_b64 s[8:9], s[8:9]
; %bb.166:                              ;   in Loop: Header=BB306_80 Depth=1
	v_or_b32_e32 v9, 0x10000, v25
	v_cmp_eq_u32_sdwa vcc, v25, v11 src0_sel:WORD_0 src1_sel:DWORD
	s_nop 1
	v_cndmask_b32_e32 v9, v9, v25, vcc
; %bb.167:                              ;   in Loop: Header=BB306_80 Depth=1
	s_or_b64 exec, exec, s[8:9]
	v_and_b32_e32 v8, 0xffff0000, v8
	v_lshlrev_b32_e32 v5, 16, v5
	v_mul_f32_e32 v8, v8, v5
	v_and_b32_e32 v5, 0x7f800000, v8
	v_cmp_ne_u32_e32 vcc, s19, v5
                                        ; implicit-def: $vgpr5
	s_and_saveexec_b64 s[8:9], vcc
	s_xor_b64 s[8:9], exec, s[8:9]
; %bb.168:                              ;   in Loop: Header=BB306_80 Depth=1
	v_bfe_u32 v5, v8, 16, 1
	v_add3_u32 v5, v8, v5, s21
                                        ; implicit-def: $vgpr8
; %bb.169:                              ;   in Loop: Header=BB306_80 Depth=1
	s_andn2_saveexec_b64 s[8:9], s[8:9]
; %bb.170:                              ;   in Loop: Header=BB306_80 Depth=1
	v_or_b32_e32 v5, 0x10000, v8
	v_cmp_eq_u32_sdwa vcc, v8, v11 src0_sel:WORD_0 src1_sel:DWORD
	s_nop 1
	v_cndmask_b32_e32 v5, v5, v8, vcc
; %bb.171:                              ;   in Loop: Header=BB306_80 Depth=1
	s_or_b64 exec, exec, s[8:9]
	v_and_b32_e32 v7, 0xffff0000, v7
	v_lshlrev_b32_e32 v4, 16, v4
	v_mul_f32_e32 v7, v7, v4
	v_and_b32_e32 v4, 0x7f800000, v7
	v_cmp_ne_u32_e32 vcc, s19, v4
                                        ; implicit-def: $vgpr4
	s_and_saveexec_b64 s[8:9], vcc
	s_xor_b64 s[8:9], exec, s[8:9]
; %bb.172:                              ;   in Loop: Header=BB306_80 Depth=1
	v_bfe_u32 v4, v7, 16, 1
	v_add3_u32 v4, v7, v4, s21
                                        ; implicit-def: $vgpr7
; %bb.173:                              ;   in Loop: Header=BB306_80 Depth=1
	s_andn2_saveexec_b64 s[8:9], s[8:9]
; %bb.174:                              ;   in Loop: Header=BB306_80 Depth=1
	v_or_b32_e32 v4, 0x10000, v7
	v_cmp_eq_u32_sdwa vcc, v7, v11 src0_sel:WORD_0 src1_sel:DWORD
	s_nop 1
	v_cndmask_b32_e32 v4, v4, v7, vcc
; %bb.175:                              ;   in Loop: Header=BB306_80 Depth=1
	s_or_b64 exec, exec, s[8:9]
	v_and_b32_e32 v6, 0xffff0000, v6
	v_lshlrev_b32_e32 v2, 16, v2
	v_mul_f32_e32 v2, v6, v2
	v_and_b32_e32 v6, 0x7f800000, v2
	v_cmp_ne_u32_e32 vcc, s19, v6
                                        ; implicit-def: $vgpr6
	s_and_saveexec_b64 s[8:9], vcc
	s_xor_b64 s[8:9], exec, s[8:9]
; %bb.176:                              ;   in Loop: Header=BB306_80 Depth=1
	v_bfe_u32 v6, v2, 16, 1
	v_add3_u32 v6, v2, v6, s21
                                        ; implicit-def: $vgpr2
; %bb.177:                              ;   in Loop: Header=BB306_80 Depth=1
	s_andn2_saveexec_b64 s[8:9], s[8:9]
	s_cbranch_execz .LBB306_78
; %bb.178:                              ;   in Loop: Header=BB306_80 Depth=1
	v_or_b32_e32 v6, 0x10000, v2
	v_cmp_eq_u32_sdwa vcc, v2, v11 src0_sel:WORD_0 src1_sel:DWORD
	s_nop 1
	v_cndmask_b32_e32 v6, v6, v2, vcc
	s_branch .LBB306_78
.LBB306_179:
	s_or_b64 exec, exec, s[6:7]
.LBB306_180:
	s_or_b64 exec, exec, s[2:3]
	ds_bpermute_b32 v1, v18, v10
	v_and_b32_e32 v2, 0x3c1, v0
	v_cmp_eq_u32_e32 vcc, 64, v2
	s_waitcnt lgkmcnt(0)
	s_barrier
	v_add_f32_e32 v1, v10, v1
	s_and_saveexec_b64 s[0:1], vcc
	s_cbranch_execz .LBB306_182
; %bb.181:
	v_mov_b32_e32 v3, 0x50
	v_lshl_add_u32 v3, v17, 1, v3
	ds_write_b32 v3, v1
.LBB306_182:
	s_or_b64 exec, exec, s[0:1]
	v_cmp_eq_u32_e32 vcc, 0, v2
	s_waitcnt lgkmcnt(0)
	s_barrier
	s_and_saveexec_b64 s[0:1], vcc
	s_cbranch_execz .LBB306_184
; %bb.183:
	v_mov_b32_e32 v2, 0x50
	v_lshl_add_u32 v2, v0, 1, v2
	ds_read_b32 v2, v2
	s_waitcnt lgkmcnt(0)
	v_add_f32_e32 v1, v1, v2
.LBB306_184:
	s_or_b64 exec, exec, s[0:1]
	s_barrier
	s_and_saveexec_b64 s[0:1], vcc
	s_cbranch_execz .LBB306_190
; %bb.185:
	s_mov_b32 s0, 0x7f800000
	v_and_b32_e32 v2, 0x7f800000, v1
	v_cmp_ne_u32_e32 vcc, s0, v2
                                        ; implicit-def: $vgpr2
	s_and_saveexec_b64 s[0:1], vcc
	s_xor_b64 s[0:1], exec, s[0:1]
; %bb.186:
	v_bfe_u32 v2, v1, 16, 1
	s_movk_i32 s2, 0x7fff
	v_add3_u32 v2, v1, v2, s2
                                        ; implicit-def: $vgpr1
; %bb.187:
	s_andn2_saveexec_b64 s[0:1], s[0:1]
; %bb.188:
	v_mov_b32_e32 v2, 0
	v_or_b32_e32 v3, 0x10000, v1
	v_cmp_eq_u32_sdwa vcc, v1, v2 src0_sel:WORD_0 src1_sel:DWORD
	s_nop 1
	v_cndmask_b32_e32 v2, v3, v1, vcc
; %bb.189:
	s_or_b64 exec, exec, s[0:1]
	s_mul_i32 s0, s10, s16
	s_mul_i32 s0, s0, s5
	s_lshl_b32 s0, s0, 5
	s_ashr_i32 s1, s0, 31
	s_lshl_b64 s[0:1], s[0:1], 1
	s_add_u32 s2, s26, s0
	s_mul_i32 s0, s16, s24
	s_addc_u32 s3, s27, s1
	s_ashr_i32 s1, s0, 31
	s_lshl_b64 s[0:1], s[0:1], 1
	s_add_u32 s2, s2, s0
	s_addc_u32 s3, s3, s1
	s_lshl_b32 s0, s4, 5
	s_ashr_i32 s1, s0, 31
	s_lshl_b64 s[0:1], s[0:1], 1
	s_add_u32 s0, s2, s0
	s_addc_u32 s1, s3, s1
	global_store_short_d16_hi v0, v2, s[0:1]
.LBB306_190:
	s_endpgm
	.section	.rodata,"a",@progbits
	.p2align	6, 0x0
	.amdhsa_kernel _ZN4vllm25paged_attention_v1_kernelI14__hip_bfloat16hLi32ELi16ELi128ELNS_18Fp8KVCacheDataTypeE1ELb1EEEvPT_PKS3_PKT0_S9_ifPKiSB_iPKfiiiSD_SD_iiiii
		.amdhsa_group_segment_fixed_size 80
		.amdhsa_private_segment_fixed_size 0
		.amdhsa_kernarg_size 384
		.amdhsa_user_sgpr_count 2
		.amdhsa_user_sgpr_dispatch_ptr 0
		.amdhsa_user_sgpr_queue_ptr 0
		.amdhsa_user_sgpr_kernarg_segment_ptr 1
		.amdhsa_user_sgpr_dispatch_id 0
		.amdhsa_user_sgpr_kernarg_preload_length 0
		.amdhsa_user_sgpr_kernarg_preload_offset 0
		.amdhsa_user_sgpr_private_segment_size 0
		.amdhsa_uses_dynamic_stack 0
		.amdhsa_enable_private_segment 0
		.amdhsa_system_sgpr_workgroup_id_x 1
		.amdhsa_system_sgpr_workgroup_id_y 1
		.amdhsa_system_sgpr_workgroup_id_z 1
		.amdhsa_system_sgpr_workgroup_info 0
		.amdhsa_system_vgpr_workitem_id 0
		.amdhsa_next_free_vgpr 39
		.amdhsa_next_free_sgpr 52
		.amdhsa_accum_offset 40
		.amdhsa_reserve_vcc 1
		.amdhsa_float_round_mode_32 0
		.amdhsa_float_round_mode_16_64 0
		.amdhsa_float_denorm_mode_32 3
		.amdhsa_float_denorm_mode_16_64 3
		.amdhsa_dx10_clamp 1
		.amdhsa_ieee_mode 1
		.amdhsa_fp16_overflow 0
		.amdhsa_tg_split 0
		.amdhsa_exception_fp_ieee_invalid_op 0
		.amdhsa_exception_fp_denorm_src 0
		.amdhsa_exception_fp_ieee_div_zero 0
		.amdhsa_exception_fp_ieee_overflow 0
		.amdhsa_exception_fp_ieee_underflow 0
		.amdhsa_exception_fp_ieee_inexact 0
		.amdhsa_exception_int_div_zero 0
	.end_amdhsa_kernel
	.section	.text._ZN4vllm25paged_attention_v1_kernelI14__hip_bfloat16hLi32ELi16ELi128ELNS_18Fp8KVCacheDataTypeE1ELb1EEEvPT_PKS3_PKT0_S9_ifPKiSB_iPKfiiiSD_SD_iiiii,"axG",@progbits,_ZN4vllm25paged_attention_v1_kernelI14__hip_bfloat16hLi32ELi16ELi128ELNS_18Fp8KVCacheDataTypeE1ELb1EEEvPT_PKS3_PKT0_S9_ifPKiSB_iPKfiiiSD_SD_iiiii,comdat
.Lfunc_end306:
	.size	_ZN4vllm25paged_attention_v1_kernelI14__hip_bfloat16hLi32ELi16ELi128ELNS_18Fp8KVCacheDataTypeE1ELb1EEEvPT_PKS3_PKT0_S9_ifPKiSB_iPKfiiiSD_SD_iiiii, .Lfunc_end306-_ZN4vllm25paged_attention_v1_kernelI14__hip_bfloat16hLi32ELi16ELi128ELNS_18Fp8KVCacheDataTypeE1ELb1EEEvPT_PKS3_PKT0_S9_ifPKiSB_iPKfiiiSD_SD_iiiii
                                        ; -- End function
	.section	.AMDGPU.csdata,"",@progbits
; Kernel info:
; codeLenInByte = 6848
; NumSgprs: 58
; NumVgprs: 39
; NumAgprs: 0
; TotalNumVgprs: 39
; ScratchSize: 0
; MemoryBound: 0
; FloatMode: 240
; IeeeMode: 1
; LDSByteSize: 80 bytes/workgroup (compile time only)
; SGPRBlocks: 7
; VGPRBlocks: 4
; NumSGPRsForWavesPerEU: 58
; NumVGPRsForWavesPerEU: 39
; AccumOffset: 40
; Occupancy: 8
; WaveLimiterHint : 1
; COMPUTE_PGM_RSRC2:SCRATCH_EN: 0
; COMPUTE_PGM_RSRC2:USER_SGPR: 2
; COMPUTE_PGM_RSRC2:TRAP_HANDLER: 0
; COMPUTE_PGM_RSRC2:TGID_X_EN: 1
; COMPUTE_PGM_RSRC2:TGID_Y_EN: 1
; COMPUTE_PGM_RSRC2:TGID_Z_EN: 1
; COMPUTE_PGM_RSRC2:TIDIG_COMP_CNT: 0
; COMPUTE_PGM_RSRC3_GFX90A:ACCUM_OFFSET: 9
; COMPUTE_PGM_RSRC3_GFX90A:TG_SPLIT: 0
	.section	.text._ZN4vllm25paged_attention_v1_kernelI14__hip_bfloat16hLi64ELi16ELi128ELNS_18Fp8KVCacheDataTypeE1ELb1EEEvPT_PKS3_PKT0_S9_ifPKiSB_iPKfiiiSD_SD_iiiii,"axG",@progbits,_ZN4vllm25paged_attention_v1_kernelI14__hip_bfloat16hLi64ELi16ELi128ELNS_18Fp8KVCacheDataTypeE1ELb1EEEvPT_PKS3_PKT0_S9_ifPKiSB_iPKfiiiSD_SD_iiiii,comdat
	.protected	_ZN4vllm25paged_attention_v1_kernelI14__hip_bfloat16hLi64ELi16ELi128ELNS_18Fp8KVCacheDataTypeE1ELb1EEEvPT_PKS3_PKT0_S9_ifPKiSB_iPKfiiiSD_SD_iiiii ; -- Begin function _ZN4vllm25paged_attention_v1_kernelI14__hip_bfloat16hLi64ELi16ELi128ELNS_18Fp8KVCacheDataTypeE1ELb1EEEvPT_PKS3_PKT0_S9_ifPKiSB_iPKfiiiSD_SD_iiiii
	.globl	_ZN4vllm25paged_attention_v1_kernelI14__hip_bfloat16hLi64ELi16ELi128ELNS_18Fp8KVCacheDataTypeE1ELb1EEEvPT_PKS3_PKT0_S9_ifPKiSB_iPKfiiiSD_SD_iiiii
	.p2align	8
	.type	_ZN4vllm25paged_attention_v1_kernelI14__hip_bfloat16hLi64ELi16ELi128ELNS_18Fp8KVCacheDataTypeE1ELb1EEEvPT_PKS3_PKT0_S9_ifPKiSB_iPKfiiiSD_SD_iiiii,@function
_ZN4vllm25paged_attention_v1_kernelI14__hip_bfloat16hLi64ELi16ELi128ELNS_18Fp8KVCacheDataTypeE1ELb1EEEvPT_PKS3_PKT0_S9_ifPKiSB_iPKfiiiSD_SD_iiiii: ; @_ZN4vllm25paged_attention_v1_kernelI14__hip_bfloat16hLi64ELi16ELi128ELNS_18Fp8KVCacheDataTypeE1ELb1EEEvPT_PKS3_PKT0_S9_ifPKiSB_iPKfiiiSD_SD_iiiii
; %bb.0:
	s_load_dword s5, s[0:1], 0x80
	s_load_dwordx2 s[6:7], s[0:1], 0x30
	s_load_dwordx2 s[36:37], s[0:1], 0x20
	s_mov_b32 s10, s3
	s_ashr_i32 s11, s3, 31
	s_lshl_b64 s[8:9], s[10:11], 2
	s_waitcnt lgkmcnt(0)
	s_add_u32 s6, s6, s8
	s_addc_u32 s7, s7, s9
	s_abs_i32 s3, s36
	v_cvt_f32_u32_e32 v1, s3
	s_sub_i32 s11, 0, s3
	s_abs_i32 s9, s5
	s_xor_b32 s8, s5, s36
	v_rcp_iflag_f32_e32 v1, v1
	s_ashr_i32 s8, s8, 31
	s_mov_b32 s44, 0
	v_mul_f32_e32 v1, 0x4f7ffffe, v1
	v_cvt_u32_f32_e32 v1, v1
	s_nop 0
	v_readfirstlane_b32 s12, v1
	s_mul_i32 s11, s11, s12
	s_mul_hi_u32 s11, s12, s11
	s_add_i32 s12, s12, s11
	s_mul_hi_u32 s11, s9, s12
	s_mul_i32 s12, s11, s3
	s_sub_i32 s9, s9, s12
	s_add_i32 s12, s11, 1
	s_sub_i32 s13, s9, s3
	s_cmp_ge_u32 s9, s3
	s_cselect_b32 s11, s12, s11
	s_cselect_b32 s9, s13, s9
	s_add_i32 s12, s11, 1
	s_cmp_ge_u32 s9, s3
	s_cselect_b32 s3, s12, s11
	s_xor_b32 s3, s3, s8
	s_sub_i32 s14, s3, s8
	s_abs_i32 s11, s14
	v_cvt_f32_u32_e32 v1, s11
	s_load_dwordx2 s[8:9], s[0:1], 0x40
	s_sub_i32 s3, 0, s11
	s_abs_i32 s12, s2
	v_rcp_iflag_f32_e32 v1, v1
	s_nop 0
	v_mul_f32_e32 v1, 0x4f7ffffe, v1
	v_cvt_u32_f32_e32 v1, v1
	s_nop 0
	v_readfirstlane_b32 s13, v1
	s_mul_i32 s3, s3, s13
	s_mul_hi_u32 s3, s13, s3
	s_add_i32 s13, s13, s3
	s_waitcnt lgkmcnt(0)
	s_cmp_eq_u64 s[8:9], 0
	s_mul_hi_u32 s13, s12, s13
	s_cbranch_scc1 .LBB307_2
; %bb.1:
	s_ashr_i32 s3, s2, 31
	s_lshl_b64 s[16:17], s[2:3], 2
	s_add_u32 s8, s8, s16
	s_addc_u32 s9, s9, s17
	s_load_dword s44, s[8:9], 0x0
.LBB307_2:
	s_load_dword s33, s[6:7], 0x0
	s_load_dwordx4 s[16:19], s[0:1], 0x48
	s_ashr_i32 s8, s2, 31
	s_ashr_i32 s9, s14, 31
	v_and_b32_e32 v2, 3, v0
	s_lshl_b32 s24, s2, 6
	v_cmp_gt_u32_e32 vcc, 32, v0
	s_and_saveexec_b64 s[6:7], vcc
	s_cbranch_execz .LBB307_4
; %bb.3:
	s_load_dwordx2 s[14:15], s[0:1], 0x8
	s_waitcnt lgkmcnt(0)
	s_mul_i32 s20, s10, s16
	s_ashr_i32 s21, s20, 31
	s_lshl_b64 s[20:21], s[20:21], 1
	v_lshlrev_b32_e32 v1, 2, v0
	s_add_u32 s3, s14, s20
	s_addc_u32 s16, s15, s21
	s_ashr_i32 s25, s24, 31
	s_lshl_b64 s[14:15], s[24:25], 1
	s_add_u32 s14, s3, s14
	s_addc_u32 s15, s16, s15
	global_load_dword v1, v1, s[14:15]
	v_and_b32_e32 v3, 0x3fc, v0
	v_lshl_add_u32 v3, v2, 5, v3
	s_waitcnt vmcnt(0)
	ds_write_b32 v3, v1
.LBB307_4:
	s_or_b64 exec, exec, s[6:7]
	s_mul_i32 s7, s13, s11
	s_sub_i32 s7, s12, s7
	s_xor_b32 s6, s8, s9
	s_add_i32 s8, s13, 1
	s_sub_i32 s9, s7, s11
	s_load_dwordx4 s[20:23], s[0:1], 0x68
	s_load_dword s3, s[0:1], 0x78
	s_cmp_ge_u32 s7, s11
	s_cselect_b32 s8, s8, s13
	s_cselect_b32 s7, s9, s7
	s_add_i32 s9, s8, 1
	s_cmp_ge_u32 s7, s11
	s_cselect_b32 s7, s9, s8
	s_waitcnt lgkmcnt(0)
	s_abs_i32 s16, s23
	v_cvt_f32_u32_e32 v1, s16
	s_xor_b32 s7, s7, s6
	s_sub_i32 s43, s7, s6
	s_sub_i32 s6, 0, s16
	v_rcp_iflag_f32_e32 v1, v1
	s_add_i32 s11, s33, -1
	s_abs_i32 s8, s11
	v_mul_f32_e32 v1, 0x4f7ffffe, v1
	v_cvt_u32_f32_e32 v1, v1
	s_barrier
	v_readfirstlane_b32 s25, v1
	s_mul_i32 s6, s6, s25
	s_mul_hi_u32 s6, s25, s6
	s_add_i32 s25, s25, s6
	s_cmp_lt_i32 s3, 0
	s_mul_hi_u32 s9, s8, s25
	s_cbranch_scc0 .LBB307_6
; %bb.5:
	s_mul_i32 s6, s20, s36
	s_add_i32 s6, s43, s6
	s_mul_i32 s6, s6, s3
	s_sub_i32 s36, 1, s6
	s_mov_b64 s[6:7], 0
	s_branch .LBB307_7
.LBB307_6:
	s_mov_b64 s[6:7], -1
                                        ; implicit-def: $sgpr36
.LBB307_7:
	s_load_dwordx2 s[28:29], s[0:1], 0x28
	s_ashr_i32 s19, s11, 31
	s_andn2_b64 vcc, exec, s[6:7]
	s_ashr_i32 s23, s23, 31
	s_cbranch_vccnz .LBB307_9
; %bb.8:
	s_mul_i32 s6, s5, s20
	s_add_i32 s2, s6, s2
	s_mul_i32 s2, s2, s3
	s_add_i32 s36, s2, 1
.LBB307_9:
	s_load_dword s2, s[0:1], 0x38
	s_load_dwordx2 s[26:27], s[0:1], 0x0
	s_load_dwordx2 s[34:35], s[0:1], 0x18
	s_load_dword s11, s[0:1], 0x88
	s_load_dwordx4 s[12:15], s[0:1], 0x58
	s_mul_i32 s3, s9, s16
	s_waitcnt lgkmcnt(0)
	s_mul_i32 s30, s10, s2
	s_sub_i32 s3, s8, s3
	s_ashr_i32 s31, s30, 31
	s_xor_b32 s2, s19, s23
	s_add_i32 s6, s9, 1
	s_sub_i32 s7, s3, s16
	s_cmp_ge_u32 s3, s16
	s_cselect_b32 s6, s6, s9
	s_cselect_b32 s3, s7, s3
	s_add_i32 s7, s6, 1
	s_cmp_ge_u32 s3, s16
	s_cselect_b32 s3, s7, s6
	s_xor_b32 s3, s3, s2
	s_sub_i32 s42, s3, s2
	s_add_i32 s2, s33, 15
	s_ashr_i32 s3, s2, 31
	s_lshr_b32 s3, s3, 28
	s_add_i32 s2, s2, s3
	s_ashr_i32 s20, s2, 4
	v_lshrrev_b32_e32 v1, 6, v0
	v_cmp_gt_i32_e64 s[6:7], s20, v1
	v_mov_b32_e32 v22, 0xff7fffff
	s_mul_i32 s43, s43, s18
	v_lshrrev_b32_e32 v24, 4, v0
	v_lshlrev_b32_e32 v18, 4, v1
	v_mbcnt_lo_u32_b32 v19, -1, 0
	s_and_saveexec_b64 s[18:19], s[6:7]
	s_cbranch_execz .LBB307_83
; %bb.10:
	s_load_dwordx2 s[0:1], s[0:1], 0x10
	s_sub_i32 s45, s42, s21
	s_ashr_i32 s2, s43, 31
	v_bfe_u32 v20, v0, 2, 4
	v_mov_b32_e32 v11, 0
	s_waitcnt lgkmcnt(0)
	s_add_u32 s0, s0, s43
	s_addc_u32 s1, s1, s2
	s_abs_i32 s46, s22
	v_cvt_f32_u32_e32 v3, s46
	v_lshlrev_b32_e32 v10, 4, v20
	v_lshl_add_u64 v[12:13], s[0:1], 0, v[10:11]
	s_sub_i32 s0, 0, s46
	v_rcp_iflag_f32_e32 v3, v3
	v_cmp_eq_u32_e32 vcc, 0, v2
	v_lshlrev_b32_e32 v21, 5, v2
	v_lshlrev_b32_e32 v10, 1, v2
	v_mul_f32_e32 v3, 0x4f7ffffe, v3
	v_cvt_u32_f32_e32 v3, v3
	s_mov_b32 s47, s17
	v_cmp_neq_f32_e64 s[2:3], s44, 0
	v_lshlrev_b32_e32 v25, 4, v1
	v_mul_lo_u32 v2, s0, v3
	s_lshl_b64 s[0:1], s[30:31], 2
	v_mul_hi_u32 v2, v3, v2
	s_add_u32 s0, s28, s0
	v_add_u32_e32 v23, v3, v2
	v_and_b32_e32 v2, 60, v24
	v_mov_b32_e32 v3, v11
	s_addc_u32 s1, s29, s1
	v_lshl_add_u64 v[14:15], s[0:1], 0, v[2:3]
	v_lshlrev_b32_e32 v2, 2, v20
	v_lshl_or_b32 v2, v1, 6, v2
	v_add_u32_e32 v26, 0x90, v2
	v_subrev_u32_e32 v2, s33, v20
	v_add_u32_e32 v27, 1, v2
	s_mov_b64 s[38:39], 0
	v_mov_b32_e32 v28, 0xff7fffff
	s_mov_b32 s48, 0xffff
	s_mov_b32 s49, 0x7f800000
	s_movk_i32 s50, 0x7fff
	v_mbcnt_hi_u32_b32 v29, -1, v19
	v_mov_b32_e32 v22, 0xff7fffff
	v_mov_b32_e32 v30, v1
	s_branch .LBB307_13
.LBB307_11:                             ;   in Loop: Header=BB307_13 Depth=1
	s_or_b64 exec, exec, s[40:41]
.LBB307_12:                             ;   in Loop: Header=BB307_13 Depth=1
	s_or_b64 exec, exec, s[8:9]
	v_add_u32_e32 v30, 2, v30
	v_cmp_le_i32_e64 s[0:1], s20, v30
	v_lshl_add_u64 v[14:15], v[14:15], 0, 8
	v_add_u32_e32 v25, 32, v25
	s_or_b64 s[38:39], s[0:1], s[38:39]
	v_add_u32_e32 v26, 0x80, v26
	s_andn2_b64 exec, exec, s[38:39]
	s_cbranch_execz .LBB307_82
.LBB307_13:                             ; =>This Inner Loop Header: Depth=1
	v_mul_hi_u32 v2, v25, s25
	s_waitcnt lgkmcnt(0)
	v_mul_lo_u32 v3, v2, s16
	v_sub_u32_e32 v3, v25, v3
	v_add_u32_e32 v4, 1, v2
	v_cmp_le_u32_e64 s[0:1], s16, v3
	s_nop 1
	v_cndmask_b32_e64 v2, v2, v4, s[0:1]
	v_subrev_u32_e32 v4, s16, v3
	v_cndmask_b32_e64 v3, v3, v4, s[0:1]
	v_add_u32_e32 v4, 1, v2
	v_cmp_le_u32_e64 s[0:1], s16, v3
	s_nop 1
	v_cndmask_b32_e64 v2, v2, v4, s[0:1]
	v_xor_b32_e32 v2, s23, v2
	v_subrev_u32_e32 v2, s23, v2
	v_add_u32_e32 v3, s36, v2
	v_sub_u32_e32 v5, 0, v3
	v_ashrrev_i32_e32 v4, 31, v3
	v_max_i32_e32 v3, v3, v5
	v_mul_hi_u32 v5, v3, v23
	v_mul_lo_u32 v5, v5, s46
	v_sub_u32_e32 v3, v3, v5
	v_subrev_u32_e32 v5, s46, v3
	v_cmp_le_u32_e64 s[0:1], s46, v3
	v_cmp_ge_i32_e64 s[8:9], s45, v2
	s_nop 0
	v_cndmask_b32_e64 v3, v3, v5, s[0:1]
	v_subrev_u32_e32 v5, s46, v3
	v_cmp_le_u32_e64 s[0:1], s46, v3
	s_nop 1
	v_cndmask_b32_e64 v3, v3, v5, s[0:1]
	v_xor_b32_e32 v3, v3, v4
	v_sub_u32_e32 v3, v3, v4
	v_cmp_ne_u32_e64 s[0:1], 0, v3
	s_and_b64 s[0:1], s[0:1], s[8:9]
	s_and_b64 s[40:41], vcc, s[0:1]
	s_and_saveexec_b64 s[8:9], s[40:41]
	s_cbranch_execz .LBB307_15
; %bb.14:                               ;   in Loop: Header=BB307_13 Depth=1
	ds_write_b32 v26, v28
.LBB307_15:                             ;   in Loop: Header=BB307_13 Depth=1
	s_or_b64 exec, exec, s[8:9]
	s_xor_b64 s[0:1], s[0:1], -1
	s_and_saveexec_b64 s[8:9], s[0:1]
	s_cbranch_execz .LBB307_12
; %bb.16:                               ;   in Loop: Header=BB307_13 Depth=1
	global_load_dword v2, v[14:15], off
	s_load_dword s51, s[12:13], 0x0
	s_waitcnt vmcnt(0)
	v_mad_i64_i32 v[2:3], s[0:1], v2, s47, v[12:13]
	v_lshl_add_u64 v[16:17], v[2:3], 0, v[10:11]
	global_load_ushort v32, v[16:17], off
	s_waitcnt vmcnt(0)
	v_and_b32_sdwa v2, s48, v32 dst_sel:DWORD dst_unused:UNUSED_PAD src0_sel:DWORD src1_sel:BYTE_0
	v_cvt_f32_fp8_sdwa v31, v2 src0_sel:BYTE_0
	ds_read_b128 v[6:9], v21
	ds_read_b128 v[2:5], v21 offset:16
	s_waitcnt lgkmcnt(0)
	v_mul_f32_e32 v33, s51, v31
	v_and_b32_e32 v31, 0x7f800000, v33
	v_cmp_ne_u32_e64 s[0:1], s49, v31
                                        ; implicit-def: $vgpr31
	s_and_saveexec_b64 s[40:41], s[0:1]
	s_xor_b64 s[0:1], exec, s[40:41]
; %bb.17:                               ;   in Loop: Header=BB307_13 Depth=1
	v_bfe_u32 v31, v33, 16, 1
	v_add3_u32 v31, v33, v31, s50
                                        ; implicit-def: $vgpr33
; %bb.18:                               ;   in Loop: Header=BB307_13 Depth=1
	s_andn2_saveexec_b64 s[40:41], s[0:1]
; %bb.19:                               ;   in Loop: Header=BB307_13 Depth=1
	v_or_b32_e32 v31, 0x10000, v33
	v_cmp_eq_u32_sdwa s[0:1], v33, v11 src0_sel:WORD_0 src1_sel:DWORD
	s_nop 1
	v_cndmask_b32_e64 v31, v31, v33, s[0:1]
; %bb.20:                               ;   in Loop: Header=BB307_13 Depth=1
	s_or_b64 exec, exec, s[40:41]
	v_lshrrev_b16_e32 v32, 8, v32
	v_cvt_f32_fp8_sdwa v32, v32 src0_sel:BYTE_0
	s_nop 0
	v_mul_f32_e32 v33, s51, v32
	v_and_b32_e32 v32, 0x7f800000, v33
	v_cmp_ne_u32_e64 s[0:1], s49, v32
                                        ; implicit-def: $vgpr32
	s_and_saveexec_b64 s[40:41], s[0:1]
	s_xor_b64 s[0:1], exec, s[40:41]
; %bb.21:                               ;   in Loop: Header=BB307_13 Depth=1
	v_bfe_u32 v32, v33, 16, 1
	v_add3_u32 v32, v33, v32, s50
                                        ; implicit-def: $vgpr33
; %bb.22:                               ;   in Loop: Header=BB307_13 Depth=1
	s_andn2_saveexec_b64 s[40:41], s[0:1]
; %bb.23:                               ;   in Loop: Header=BB307_13 Depth=1
	v_or_b32_e32 v32, 0x10000, v33
	v_cmp_eq_u32_sdwa s[0:1], v33, v11 src0_sel:WORD_0 src1_sel:DWORD
	s_nop 1
	v_cndmask_b32_e64 v32, v32, v33, s[0:1]
; %bb.24:                               ;   in Loop: Header=BB307_13 Depth=1
	s_or_b64 exec, exec, s[40:41]
	global_load_ushort v34, v[16:17], off offset:8
	s_waitcnt vmcnt(0)
	v_and_b32_sdwa v33, s48, v34 dst_sel:DWORD dst_unused:UNUSED_PAD src0_sel:DWORD src1_sel:BYTE_0
	v_cvt_f32_fp8_sdwa v33, v33 src0_sel:BYTE_0
	s_nop 0
	v_mul_f32_e32 v35, s51, v33
	v_and_b32_e32 v33, 0x7f800000, v35
	v_cmp_ne_u32_e64 s[0:1], s49, v33
                                        ; implicit-def: $vgpr33
	s_and_saveexec_b64 s[40:41], s[0:1]
	s_xor_b64 s[0:1], exec, s[40:41]
; %bb.25:                               ;   in Loop: Header=BB307_13 Depth=1
	v_bfe_u32 v33, v35, 16, 1
	v_add3_u32 v33, v35, v33, s50
                                        ; implicit-def: $vgpr35
; %bb.26:                               ;   in Loop: Header=BB307_13 Depth=1
	s_andn2_saveexec_b64 s[40:41], s[0:1]
; %bb.27:                               ;   in Loop: Header=BB307_13 Depth=1
	v_or_b32_e32 v33, 0x10000, v35
	v_cmp_eq_u32_sdwa s[0:1], v35, v11 src0_sel:WORD_0 src1_sel:DWORD
	s_nop 1
	v_cndmask_b32_e64 v33, v33, v35, s[0:1]
; %bb.28:                               ;   in Loop: Header=BB307_13 Depth=1
	s_or_b64 exec, exec, s[40:41]
	v_lshrrev_b16_e32 v34, 8, v34
	v_cvt_f32_fp8_sdwa v34, v34 src0_sel:BYTE_0
	s_nop 0
	v_mul_f32_e32 v35, s51, v34
	v_and_b32_e32 v34, 0x7f800000, v35
	v_cmp_ne_u32_e64 s[0:1], s49, v34
                                        ; implicit-def: $vgpr34
	s_and_saveexec_b64 s[40:41], s[0:1]
	s_xor_b64 s[0:1], exec, s[40:41]
; %bb.29:                               ;   in Loop: Header=BB307_13 Depth=1
	v_bfe_u32 v34, v35, 16, 1
	v_add3_u32 v34, v35, v34, s50
                                        ; implicit-def: $vgpr35
; %bb.30:                               ;   in Loop: Header=BB307_13 Depth=1
	s_andn2_saveexec_b64 s[40:41], s[0:1]
; %bb.31:                               ;   in Loop: Header=BB307_13 Depth=1
	v_or_b32_e32 v34, 0x10000, v35
	v_cmp_eq_u32_sdwa s[0:1], v35, v11 src0_sel:WORD_0 src1_sel:DWORD
	s_nop 1
	v_cndmask_b32_e64 v34, v34, v35, s[0:1]
; %bb.32:                               ;   in Loop: Header=BB307_13 Depth=1
	s_or_b64 exec, exec, s[40:41]
	global_load_ushort v36, v[16:17], off offset:256
	s_waitcnt vmcnt(0)
	v_and_b32_sdwa v35, s48, v36 dst_sel:DWORD dst_unused:UNUSED_PAD src0_sel:DWORD src1_sel:BYTE_0
	v_cvt_f32_fp8_sdwa v35, v35 src0_sel:BYTE_0
	s_nop 0
	v_mul_f32_e32 v37, s51, v35
	v_and_b32_e32 v35, 0x7f800000, v37
	v_cmp_ne_u32_e64 s[0:1], s49, v35
                                        ; implicit-def: $vgpr35
	s_and_saveexec_b64 s[40:41], s[0:1]
	s_xor_b64 s[0:1], exec, s[40:41]
; %bb.33:                               ;   in Loop: Header=BB307_13 Depth=1
	v_bfe_u32 v35, v37, 16, 1
	v_add3_u32 v35, v37, v35, s50
                                        ; implicit-def: $vgpr37
; %bb.34:                               ;   in Loop: Header=BB307_13 Depth=1
	s_andn2_saveexec_b64 s[40:41], s[0:1]
; %bb.35:                               ;   in Loop: Header=BB307_13 Depth=1
	v_or_b32_e32 v35, 0x10000, v37
	v_cmp_eq_u32_sdwa s[0:1], v37, v11 src0_sel:WORD_0 src1_sel:DWORD
	s_nop 1
	v_cndmask_b32_e64 v35, v35, v37, s[0:1]
; %bb.36:                               ;   in Loop: Header=BB307_13 Depth=1
	s_or_b64 exec, exec, s[40:41]
	v_lshrrev_b16_e32 v36, 8, v36
	v_cvt_f32_fp8_sdwa v36, v36 src0_sel:BYTE_0
	s_nop 0
	v_mul_f32_e32 v37, s51, v36
	v_and_b32_e32 v36, 0x7f800000, v37
	v_cmp_ne_u32_e64 s[0:1], s49, v36
                                        ; implicit-def: $vgpr36
	s_and_saveexec_b64 s[40:41], s[0:1]
	s_xor_b64 s[0:1], exec, s[40:41]
; %bb.37:                               ;   in Loop: Header=BB307_13 Depth=1
	v_bfe_u32 v36, v37, 16, 1
	v_add3_u32 v36, v37, v36, s50
                                        ; implicit-def: $vgpr37
; %bb.38:                               ;   in Loop: Header=BB307_13 Depth=1
	s_andn2_saveexec_b64 s[40:41], s[0:1]
; %bb.39:                               ;   in Loop: Header=BB307_13 Depth=1
	v_or_b32_e32 v36, 0x10000, v37
	v_cmp_eq_u32_sdwa s[0:1], v37, v11 src0_sel:WORD_0 src1_sel:DWORD
	s_nop 1
	v_cndmask_b32_e64 v36, v36, v37, s[0:1]
; %bb.40:                               ;   in Loop: Header=BB307_13 Depth=1
	s_or_b64 exec, exec, s[40:41]
	global_load_ushort v38, v[16:17], off offset:264
	s_waitcnt vmcnt(0)
	v_and_b32_sdwa v37, s48, v38 dst_sel:DWORD dst_unused:UNUSED_PAD src0_sel:DWORD src1_sel:BYTE_0
	v_cvt_f32_fp8_sdwa v37, v37 src0_sel:BYTE_0
	s_nop 0
	v_mul_f32_e32 v39, s51, v37
	v_and_b32_e32 v37, 0x7f800000, v39
	v_cmp_ne_u32_e64 s[0:1], s49, v37
                                        ; implicit-def: $vgpr37
	s_and_saveexec_b64 s[40:41], s[0:1]
	s_xor_b64 s[0:1], exec, s[40:41]
; %bb.41:                               ;   in Loop: Header=BB307_13 Depth=1
	v_bfe_u32 v37, v39, 16, 1
	v_add3_u32 v37, v39, v37, s50
                                        ; implicit-def: $vgpr39
; %bb.42:                               ;   in Loop: Header=BB307_13 Depth=1
	s_andn2_saveexec_b64 s[40:41], s[0:1]
; %bb.43:                               ;   in Loop: Header=BB307_13 Depth=1
	v_or_b32_e32 v37, 0x10000, v39
	v_cmp_eq_u32_sdwa s[0:1], v39, v11 src0_sel:WORD_0 src1_sel:DWORD
	s_nop 1
	v_cndmask_b32_e64 v37, v37, v39, s[0:1]
; %bb.44:                               ;   in Loop: Header=BB307_13 Depth=1
	s_or_b64 exec, exec, s[40:41]
	v_lshrrev_b16_e32 v38, 8, v38
	v_cvt_f32_fp8_sdwa v38, v38 src0_sel:BYTE_0
	s_nop 0
	v_mul_f32_e32 v39, s51, v38
	v_and_b32_e32 v38, 0x7f800000, v39
	v_cmp_ne_u32_e64 s[0:1], s49, v38
                                        ; implicit-def: $vgpr38
	s_and_saveexec_b64 s[40:41], s[0:1]
	s_xor_b64 s[0:1], exec, s[40:41]
; %bb.45:                               ;   in Loop: Header=BB307_13 Depth=1
	v_bfe_u32 v38, v39, 16, 1
	v_add3_u32 v38, v39, v38, s50
                                        ; implicit-def: $vgpr39
; %bb.46:                               ;   in Loop: Header=BB307_13 Depth=1
	s_andn2_saveexec_b64 s[40:41], s[0:1]
; %bb.47:                               ;   in Loop: Header=BB307_13 Depth=1
	v_or_b32_e32 v38, 0x10000, v39
	v_cmp_eq_u32_sdwa s[0:1], v39, v11 src0_sel:WORD_0 src1_sel:DWORD
	s_nop 1
	v_cndmask_b32_e64 v38, v38, v39, s[0:1]
; %bb.48:                               ;   in Loop: Header=BB307_13 Depth=1
	s_or_b64 exec, exec, s[40:41]
	global_load_ushort v40, v[16:17], off offset:512
	s_waitcnt vmcnt(0)
	v_and_b32_sdwa v39, s48, v40 dst_sel:DWORD dst_unused:UNUSED_PAD src0_sel:DWORD src1_sel:BYTE_0
	v_cvt_f32_fp8_sdwa v39, v39 src0_sel:BYTE_0
	s_nop 0
	v_mul_f32_e32 v41, s51, v39
	v_and_b32_e32 v39, 0x7f800000, v41
	v_cmp_ne_u32_e64 s[0:1], s49, v39
                                        ; implicit-def: $vgpr39
	s_and_saveexec_b64 s[40:41], s[0:1]
	s_xor_b64 s[0:1], exec, s[40:41]
; %bb.49:                               ;   in Loop: Header=BB307_13 Depth=1
	v_bfe_u32 v39, v41, 16, 1
	v_add3_u32 v39, v41, v39, s50
                                        ; implicit-def: $vgpr41
; %bb.50:                               ;   in Loop: Header=BB307_13 Depth=1
	s_andn2_saveexec_b64 s[40:41], s[0:1]
; %bb.51:                               ;   in Loop: Header=BB307_13 Depth=1
	v_or_b32_e32 v39, 0x10000, v41
	v_cmp_eq_u32_sdwa s[0:1], v41, v11 src0_sel:WORD_0 src1_sel:DWORD
	s_nop 1
	v_cndmask_b32_e64 v39, v39, v41, s[0:1]
; %bb.52:                               ;   in Loop: Header=BB307_13 Depth=1
	s_or_b64 exec, exec, s[40:41]
	v_lshrrev_b16_e32 v40, 8, v40
	v_cvt_f32_fp8_sdwa v40, v40 src0_sel:BYTE_0
	s_nop 0
	v_mul_f32_e32 v41, s51, v40
	v_and_b32_e32 v40, 0x7f800000, v41
	v_cmp_ne_u32_e64 s[0:1], s49, v40
                                        ; implicit-def: $vgpr40
	s_and_saveexec_b64 s[40:41], s[0:1]
	s_xor_b64 s[0:1], exec, s[40:41]
; %bb.53:                               ;   in Loop: Header=BB307_13 Depth=1
	v_bfe_u32 v40, v41, 16, 1
	v_add3_u32 v40, v41, v40, s50
                                        ; implicit-def: $vgpr41
; %bb.54:                               ;   in Loop: Header=BB307_13 Depth=1
	s_andn2_saveexec_b64 s[40:41], s[0:1]
; %bb.55:                               ;   in Loop: Header=BB307_13 Depth=1
	v_or_b32_e32 v40, 0x10000, v41
	v_cmp_eq_u32_sdwa s[0:1], v41, v11 src0_sel:WORD_0 src1_sel:DWORD
	s_nop 1
	v_cndmask_b32_e64 v40, v40, v41, s[0:1]
; %bb.56:                               ;   in Loop: Header=BB307_13 Depth=1
	s_or_b64 exec, exec, s[40:41]
	global_load_ushort v42, v[16:17], off offset:520
	s_waitcnt vmcnt(0)
	v_and_b32_sdwa v41, s48, v42 dst_sel:DWORD dst_unused:UNUSED_PAD src0_sel:DWORD src1_sel:BYTE_0
	v_cvt_f32_fp8_sdwa v41, v41 src0_sel:BYTE_0
	s_nop 0
	v_mul_f32_e32 v43, s51, v41
	v_and_b32_e32 v41, 0x7f800000, v43
	v_cmp_ne_u32_e64 s[0:1], s49, v41
                                        ; implicit-def: $vgpr41
	s_and_saveexec_b64 s[40:41], s[0:1]
	s_xor_b64 s[0:1], exec, s[40:41]
; %bb.57:                               ;   in Loop: Header=BB307_13 Depth=1
	v_bfe_u32 v41, v43, 16, 1
	v_add3_u32 v41, v43, v41, s50
                                        ; implicit-def: $vgpr43
; %bb.58:                               ;   in Loop: Header=BB307_13 Depth=1
	s_andn2_saveexec_b64 s[40:41], s[0:1]
; %bb.59:                               ;   in Loop: Header=BB307_13 Depth=1
	v_or_b32_e32 v41, 0x10000, v43
	v_cmp_eq_u32_sdwa s[0:1], v43, v11 src0_sel:WORD_0 src1_sel:DWORD
	s_nop 1
	v_cndmask_b32_e64 v41, v41, v43, s[0:1]
; %bb.60:                               ;   in Loop: Header=BB307_13 Depth=1
	s_or_b64 exec, exec, s[40:41]
	v_lshrrev_b16_e32 v42, 8, v42
	v_cvt_f32_fp8_sdwa v42, v42 src0_sel:BYTE_0
	s_nop 0
	v_mul_f32_e32 v43, s51, v42
	v_and_b32_e32 v42, 0x7f800000, v43
	v_cmp_ne_u32_e64 s[0:1], s49, v42
                                        ; implicit-def: $vgpr42
	s_and_saveexec_b64 s[40:41], s[0:1]
	s_xor_b64 s[0:1], exec, s[40:41]
; %bb.61:                               ;   in Loop: Header=BB307_13 Depth=1
	v_bfe_u32 v42, v43, 16, 1
	v_add3_u32 v42, v43, v42, s50
                                        ; implicit-def: $vgpr43
; %bb.62:                               ;   in Loop: Header=BB307_13 Depth=1
	s_andn2_saveexec_b64 s[40:41], s[0:1]
; %bb.63:                               ;   in Loop: Header=BB307_13 Depth=1
	v_or_b32_e32 v42, 0x10000, v43
	v_cmp_eq_u32_sdwa s[0:1], v43, v11 src0_sel:WORD_0 src1_sel:DWORD
	s_nop 1
	v_cndmask_b32_e64 v42, v42, v43, s[0:1]
; %bb.64:                               ;   in Loop: Header=BB307_13 Depth=1
	s_or_b64 exec, exec, s[40:41]
	global_load_ushort v44, v[16:17], off offset:768
	s_waitcnt vmcnt(0)
	v_and_b32_sdwa v43, s48, v44 dst_sel:DWORD dst_unused:UNUSED_PAD src0_sel:DWORD src1_sel:BYTE_0
	v_cvt_f32_fp8_sdwa v43, v43 src0_sel:BYTE_0
	s_nop 0
	v_mul_f32_e32 v45, s51, v43
	v_and_b32_e32 v43, 0x7f800000, v45
	v_cmp_ne_u32_e64 s[0:1], s49, v43
                                        ; implicit-def: $vgpr43
	s_and_saveexec_b64 s[40:41], s[0:1]
	s_xor_b64 s[0:1], exec, s[40:41]
; %bb.65:                               ;   in Loop: Header=BB307_13 Depth=1
	v_bfe_u32 v43, v45, 16, 1
	v_add3_u32 v43, v45, v43, s50
                                        ; implicit-def: $vgpr45
; %bb.66:                               ;   in Loop: Header=BB307_13 Depth=1
	s_andn2_saveexec_b64 s[40:41], s[0:1]
; %bb.67:                               ;   in Loop: Header=BB307_13 Depth=1
	v_or_b32_e32 v43, 0x10000, v45
	v_cmp_eq_u32_sdwa s[0:1], v45, v11 src0_sel:WORD_0 src1_sel:DWORD
	s_nop 1
	v_cndmask_b32_e64 v43, v43, v45, s[0:1]
; %bb.68:                               ;   in Loop: Header=BB307_13 Depth=1
	s_or_b64 exec, exec, s[40:41]
	v_lshrrev_b16_e32 v44, 8, v44
	v_cvt_f32_fp8_sdwa v44, v44 src0_sel:BYTE_0
	s_nop 0
	v_mul_f32_e32 v45, s51, v44
	v_and_b32_e32 v44, 0x7f800000, v45
	v_cmp_ne_u32_e64 s[0:1], s49, v44
                                        ; implicit-def: $vgpr44
	s_and_saveexec_b64 s[40:41], s[0:1]
	s_xor_b64 s[0:1], exec, s[40:41]
; %bb.69:                               ;   in Loop: Header=BB307_13 Depth=1
	v_bfe_u32 v44, v45, 16, 1
	v_add3_u32 v44, v45, v44, s50
                                        ; implicit-def: $vgpr45
; %bb.70:                               ;   in Loop: Header=BB307_13 Depth=1
	s_andn2_saveexec_b64 s[40:41], s[0:1]
; %bb.71:                               ;   in Loop: Header=BB307_13 Depth=1
	v_or_b32_e32 v44, 0x10000, v45
	v_cmp_eq_u32_sdwa s[0:1], v45, v11 src0_sel:WORD_0 src1_sel:DWORD
	s_nop 1
	v_cndmask_b32_e64 v44, v44, v45, s[0:1]
; %bb.72:                               ;   in Loop: Header=BB307_13 Depth=1
	s_or_b64 exec, exec, s[40:41]
	global_load_ushort v17, v[16:17], off offset:776
	s_waitcnt vmcnt(0)
	v_and_b32_sdwa v16, s48, v17 dst_sel:DWORD dst_unused:UNUSED_PAD src0_sel:DWORD src1_sel:BYTE_0
	v_cvt_f32_fp8_sdwa v16, v16 src0_sel:BYTE_0
	s_nop 0
	v_mul_f32_e32 v45, s51, v16
	v_and_b32_e32 v16, 0x7f800000, v45
	v_cmp_ne_u32_e64 s[0:1], s49, v16
                                        ; implicit-def: $vgpr16
	s_and_saveexec_b64 s[40:41], s[0:1]
	s_xor_b64 s[0:1], exec, s[40:41]
; %bb.73:                               ;   in Loop: Header=BB307_13 Depth=1
	v_bfe_u32 v16, v45, 16, 1
	v_add3_u32 v16, v45, v16, s50
                                        ; implicit-def: $vgpr45
; %bb.74:                               ;   in Loop: Header=BB307_13 Depth=1
	s_andn2_saveexec_b64 s[40:41], s[0:1]
; %bb.75:                               ;   in Loop: Header=BB307_13 Depth=1
	v_or_b32_e32 v16, 0x10000, v45
	v_cmp_eq_u32_sdwa s[0:1], v45, v11 src0_sel:WORD_0 src1_sel:DWORD
	s_nop 1
	v_cndmask_b32_e64 v16, v16, v45, s[0:1]
; %bb.76:                               ;   in Loop: Header=BB307_13 Depth=1
	s_or_b64 exec, exec, s[40:41]
	v_lshrrev_b16_e32 v17, 8, v17
	v_cvt_f32_fp8_sdwa v17, v17 src0_sel:BYTE_0
	s_nop 0
	v_mul_f32_e32 v45, s51, v17
	v_and_b32_e32 v17, 0x7f800000, v45
	v_cmp_ne_u32_e64 s[0:1], s49, v17
                                        ; implicit-def: $vgpr17
	s_and_saveexec_b64 s[40:41], s[0:1]
	s_xor_b64 s[0:1], exec, s[40:41]
; %bb.77:                               ;   in Loop: Header=BB307_13 Depth=1
	v_bfe_u32 v17, v45, 16, 1
	v_add3_u32 v17, v45, v17, s50
                                        ; implicit-def: $vgpr45
; %bb.78:                               ;   in Loop: Header=BB307_13 Depth=1
	s_andn2_saveexec_b64 s[40:41], s[0:1]
; %bb.79:                               ;   in Loop: Header=BB307_13 Depth=1
	v_or_b32_e32 v17, 0x10000, v45
	v_cmp_eq_u32_sdwa s[0:1], v45, v11 src0_sel:WORD_0 src1_sel:DWORD
	s_nop 1
	v_cndmask_b32_e64 v17, v17, v45, s[0:1]
; %bb.80:                               ;   in Loop: Header=BB307_13 Depth=1
	s_or_b64 exec, exec, s[40:41]
	v_and_b32_e32 v34, 0xffff0000, v34
	v_and_b32_e32 v33, 0xffff0000, v33
	v_lshlrev_b32_e32 v46, 16, v7
	v_and_b32_e32 v7, 0xffff0000, v7
	v_and_b32_e32 v32, 0xffff0000, v32
	;; [unrolled: 1-line block ×3, first 2 shown]
	v_lshlrev_b32_e32 v45, 16, v6
	v_and_b32_e32 v6, 0xffff0000, v6
	v_mul_f32_e32 v33, v46, v33
	v_mul_f32_e32 v7, v7, v34
	v_and_b32_e32 v36, 0xffff0000, v36
	v_and_b32_e32 v35, 0xffff0000, v35
	v_lshlrev_b32_e32 v47, 16, v8
	v_and_b32_e32 v8, 0xffff0000, v8
	v_fmac_f32_e32 v33, v45, v31
	v_fmac_f32_e32 v7, v6, v32
	v_and_b32_e32 v38, 0xffff0000, v38
	v_and_b32_e32 v37, 0xffff0000, v37
	v_lshlrev_b32_e32 v48, 16, v9
	v_and_b32_e32 v9, 0xffff0000, v9
	v_fmac_f32_e32 v33, v47, v35
	v_fmac_f32_e32 v7, v8, v36
	;; [unrolled: 6-line block ×3, first 2 shown]
	v_and_b32_e32 v42, 0xffff0000, v42
	v_and_b32_e32 v41, 0xffff0000, v41
	v_lshlrev_b32_e32 v50, 16, v3
	v_and_b32_e32 v53, 64, v29
	v_and_b32_e32 v3, 0xffff0000, v3
	v_fmac_f32_e32 v33, v49, v39
	v_fmac_f32_e32 v7, v2, v40
	v_and_b32_e32 v44, 0xffff0000, v44
	v_and_b32_e32 v43, 0xffff0000, v43
	v_lshlrev_b32_e32 v51, 16, v4
	v_add_u32_e32 v53, 64, v53
	v_xor_b32_e32 v54, 2, v29
	v_and_b32_e32 v4, 0xffff0000, v4
	v_fmac_f32_e32 v33, v50, v41
	v_fmac_f32_e32 v7, v3, v42
	v_and_b32_e32 v16, 0xffff0000, v16
	v_lshlrev_b32_e32 v52, 16, v5
	v_cmp_lt_i32_e64 s[0:1], v54, v53
	v_and_b32_e32 v17, 0xffff0000, v17
	v_and_b32_e32 v5, 0xffff0000, v5
	v_fmac_f32_e32 v33, v51, v43
	v_fmac_f32_e32 v7, v4, v44
	v_cndmask_b32_e64 v54, v29, v54, s[0:1]
	v_fmac_f32_e32 v33, v52, v16
	v_fmac_f32_e32 v7, v5, v17
	v_lshlrev_b32_e32 v54, 2, v54
	v_add_f32_e32 v2, v33, v7
	ds_bpermute_b32 v3, v54, v2
	v_xor_b32_e32 v4, 1, v29
	v_cmp_lt_i32_e64 s[0:1], v4, v53
	s_waitcnt lgkmcnt(0)
	v_add_f32_e32 v2, v2, v3
	v_cndmask_b32_e64 v4, v29, v4, s[0:1]
	v_lshlrev_b32_e32 v4, 2, v4
	ds_bpermute_b32 v3, v4, v2
	s_and_saveexec_b64 s[40:41], vcc
	s_cbranch_execz .LBB307_11
; %bb.81:                               ;   in Loop: Header=BB307_13 Depth=1
	v_add_u32_e32 v4, v27, v25
	v_cvt_f32_i32_e32 v4, v4
	s_waitcnt lgkmcnt(0)
	v_add_f32_e32 v2, v2, v3
	v_add_u32_e32 v5, v20, v25
	v_cmp_gt_i32_e64 s[0:1], s33, v5
	v_mul_f32_e32 v3, s44, v4
	v_cndmask_b32_e64 v3, 0, v3, s[2:3]
	v_fmac_f32_e32 v3, s37, v2
	v_cndmask_b32_e64 v2, 0, v3, s[0:1]
	ds_write_b32 v26, v2
	v_max_f32_e32 v2, v22, v22
	v_max_f32_e32 v2, v2, v3
	v_cndmask_b32_e64 v22, v22, v2, s[0:1]
	s_branch .LBB307_11
.LBB307_82:
	s_or_b64 exec, exec, s[38:39]
.LBB307_83:
	s_or_b64 exec, exec, s[18:19]
	v_mbcnt_hi_u32_b32 v2, -1, v19
	s_waitcnt lgkmcnt(0)
	v_and_b32_e32 v3, 64, v2
	v_add_u32_e32 v3, 64, v3
	v_xor_b32_e32 v4, 32, v2
	v_cmp_lt_i32_e32 vcc, v4, v3
	v_xor_b32_e32 v7, 16, v2
	v_max_f32_e32 v6, v22, v22
	v_cndmask_b32_e32 v4, v2, v4, vcc
	v_lshlrev_b32_e32 v4, 2, v4
	ds_bpermute_b32 v5, v4, v22
	v_cmp_lt_i32_e32 vcc, v7, v3
	v_xor_b32_e32 v8, 8, v2
	v_xor_b32_e32 v9, 4, v2
	v_and_b32_e32 v19, 63, v0
	s_waitcnt lgkmcnt(0)
	v_max_f32_e32 v5, v5, v5
	v_max_f32_e32 v6, v6, v5
	v_cndmask_b32_e32 v5, v2, v7, vcc
	v_lshlrev_b32_e32 v5, 2, v5
	ds_bpermute_b32 v7, v5, v6
	v_cmp_lt_i32_e32 vcc, v8, v3
	s_waitcnt lgkmcnt(0)
	v_max_f32_e32 v7, v7, v7
	v_max_f32_e32 v6, v6, v7
	v_cndmask_b32_e32 v7, v2, v8, vcc
	v_lshlrev_b32_e32 v8, 2, v7
	ds_bpermute_b32 v7, v8, v6
	v_cmp_lt_i32_e32 vcc, v9, v3
	s_waitcnt lgkmcnt(0)
	v_max_f32_e32 v7, v7, v7
	v_max_f32_e32 v7, v6, v7
	v_cndmask_b32_e32 v6, v2, v9, vcc
	v_lshlrev_b32_e32 v9, 2, v6
	ds_bpermute_b32 v10, v9, v7
	v_cmp_eq_u32_e32 vcc, 0, v19
	v_lshlrev_b32_e32 v6, 2, v1
	s_and_saveexec_b64 s[0:1], vcc
	s_cbranch_execz .LBB307_85
; %bb.84:
	s_waitcnt lgkmcnt(0)
	v_max_f32_e32 v10, v10, v10
	v_max_f32_e32 v7, v7, v7
	;; [unrolled: 1-line block ×3, first 2 shown]
	ds_write_b32 v6, v7 offset:128
.LBB307_85:
	s_or_b64 exec, exec, s[0:1]
	v_cmp_gt_u32_e64 s[0:1], 2, v19
	s_waitcnt lgkmcnt(0)
	v_mov_b32_e32 v10, 0xff7fffff
	v_lshlrev_b32_e32 v7, 2, v19
	s_barrier
	s_and_saveexec_b64 s[2:3], s[0:1]
	s_cbranch_execz .LBB307_87
; %bb.86:
	ds_read_b32 v10, v7 offset:128
.LBB307_87:
	s_or_b64 exec, exec, s[2:3]
	v_xor_b32_e32 v11, 1, v2
	v_cmp_lt_i32_e64 s[2:3], v11, v3
	v_lshlrev_b32_e32 v12, 2, v2
	s_nop 0
	v_cndmask_b32_e64 v11, v2, v11, s[2:3]
	v_lshlrev_b32_e32 v20, 2, v11
	s_waitcnt lgkmcnt(0)
	ds_bpermute_b32 v11, v20, v10
	v_max_f32_e32 v10, v10, v10
	s_lshl_b32 s2, s20, 4
	s_min_i32 s37, s2, s33
	v_cmp_gt_i32_e64 s[2:3], s37, v0
	s_waitcnt lgkmcnt(0)
	v_max_f32_e32 v11, v11, v11
	v_max_f32_e32 v11, v10, v11
	v_and_b32_e32 v10, 0x100, v12
	ds_bpermute_b32 v12, v10, v11
	v_mov_b32_e32 v11, 0
	s_and_saveexec_b64 s[12:13], s[2:3]
	s_cbranch_execz .LBB307_91
; %bb.88:
	v_mov_b32_e32 v11, 0x90
	v_lshl_add_u32 v13, v0, 2, v11
	s_mov_b64 s[18:19], 0
	v_mov_b32_e32 v11, 0
	v_mov_b32_e32 v14, v0
.LBB307_89:                             ; =>This Inner Loop Header: Depth=1
	ds_read_b32 v15, v13
	v_add_u32_e32 v14, 0x80, v14
	v_cmp_le_i32_e64 s[8:9], s37, v14
	s_or_b64 s[18:19], s[8:9], s[18:19]
	s_waitcnt lgkmcnt(0)
	v_sub_f32_e32 v15, v15, v12
	v_mul_f32_e32 v15, 0x3fb8aa3b, v15
	v_exp_f32_e32 v15, v15
	ds_write_b32 v13, v15
	v_add_f32_e32 v11, v11, v15
	v_add_u32_e32 v13, 0x200, v13
	s_andn2_b64 exec, exec, s[18:19]
	s_cbranch_execnz .LBB307_89
; %bb.90:
	s_or_b64 exec, exec, s[18:19]
.LBB307_91:
	s_or_b64 exec, exec, s[12:13]
	ds_bpermute_b32 v4, v4, v11
	s_waitcnt lgkmcnt(0)
	v_add_f32_e32 v4, v11, v4
	ds_bpermute_b32 v5, v5, v4
	s_waitcnt lgkmcnt(0)
	v_add_f32_e32 v4, v4, v5
	ds_bpermute_b32 v5, v8, v4
	v_xor_b32_e32 v8, 2, v2
	v_cmp_lt_i32_e64 s[8:9], v8, v3
	s_waitcnt lgkmcnt(0)
	v_add_f32_e32 v4, v4, v5
	ds_bpermute_b32 v5, v9, v4
	v_cndmask_b32_e64 v2, v2, v8, s[8:9]
	v_lshlrev_b32_e32 v2, 2, v2
	s_waitcnt lgkmcnt(0)
	v_add_f32_e32 v3, v4, v5
	ds_bpermute_b32 v2, v2, v3
	s_waitcnt lgkmcnt(0)
	v_add_f32_e32 v2, v3, v2
	ds_bpermute_b32 v3, v20, v2
	s_waitcnt lgkmcnt(0)
	v_add_f32_e32 v2, v2, v3
	s_and_saveexec_b64 s[8:9], vcc
	s_cbranch_execz .LBB307_93
; %bb.92:
	ds_write_b32 v6, v2 offset:136
.LBB307_93:
	s_or_b64 exec, exec, s[8:9]
	s_waitcnt lgkmcnt(0)
	s_barrier
	s_and_saveexec_b64 s[8:9], s[0:1]
	s_cbranch_execz .LBB307_95
; %bb.94:
	ds_read_b32 v2, v7 offset:136
.LBB307_95:
	s_or_b64 exec, exec, s[8:9]
	s_waitcnt lgkmcnt(0)
	ds_bpermute_b32 v3, v20, v2
	s_waitcnt lgkmcnt(0)
	v_add_f32_e32 v2, v2, v3
	ds_bpermute_b32 v2, v10, v2
	s_and_saveexec_b64 s[0:1], s[2:3]
	s_cbranch_execz .LBB307_108
; %bb.96:
	s_waitcnt lgkmcnt(0)
	v_add_f32_e32 v2, 0x358637bd, v2
	v_div_scale_f32 v3, s[2:3], v2, v2, 1.0
	v_rcp_f32_e32 v4, v3
	v_div_scale_f32 v5, vcc, 1.0, v2, 1.0
	s_movk_i32 s2, 0x7f
	v_fma_f32 v6, -v3, v4, 1.0
	v_fmac_f32_e32 v4, v6, v4
	v_mul_f32_e32 v6, v5, v4
	v_fma_f32 v7, -v3, v6, v5
	v_fmac_f32_e32 v6, v7, v4
	v_fma_f32 v3, -v3, v6, v5
	v_div_fmas_f32 v3, v3, v4, v6
	v_xad_u32 v4, v0, -1, s37
	v_div_fixup_f32 v2, v3, v2, 1.0
	v_cmp_lt_u32_e32 vcc, s2, v4
	s_mov_b64 s[8:9], -1
	v_mov_b32_e32 v3, v0
	s_and_saveexec_b64 s[2:3], vcc
	s_cbranch_execz .LBB307_105
; %bb.97:
	v_lshrrev_b32_e32 v4, 7, v4
	v_add_u32_e32 v6, -1, v4
	v_lshrrev_b32_e32 v5, 1, v6
	v_mov_b32_e32 v3, v2
	v_add_u32_e32 v5, 1, v5
	v_cmp_lt_u32_e32 vcc, 13, v6
	v_mov_b32_e32 v8, 0
	s_and_saveexec_b64 s[8:9], vcc
	s_cbranch_execz .LBB307_101
; %bb.98:
	v_mov_b32_e32 v7, 0x90
	v_and_b32_e32 v6, -8, v5
	v_lshl_add_u32 v7, v0, 2, v7
	s_mov_b32 s18, 0
	s_mov_b64 s[12:13], 0
.LBB307_99:                             ; =>This Inner Loop Header: Depth=1
	ds_read2st64_b32 v[8:9], v7 offset1:2
	ds_read2st64_b32 v[10:11], v7 offset0:4 offset1:6
	ds_read2st64_b32 v[12:13], v7 offset0:8 offset1:10
	ds_read2st64_b32 v[14:15], v7 offset0:12 offset1:14
	v_add_u32_e32 v6, -8, v6
	s_waitcnt lgkmcnt(3)
	v_pk_mul_f32 v[8:9], v[2:3], v[8:9]
	s_waitcnt lgkmcnt(2)
	v_pk_mul_f32 v[10:11], v[2:3], v[10:11]
	ds_write2st64_b32 v7, v8, v9 offset1:2
	ds_write2st64_b32 v7, v10, v11 offset0:4 offset1:6
	ds_read2st64_b32 v[10:11], v7 offset0:16 offset1:18
	s_waitcnt lgkmcnt(4)
	v_pk_mul_f32 v[8:9], v[2:3], v[12:13]
	ds_write2st64_b32 v7, v8, v9 offset0:8 offset1:10
	s_waitcnt lgkmcnt(4)
	v_pk_mul_f32 v[8:9], v[2:3], v[14:15]
	ds_write2st64_b32 v7, v8, v9 offset0:12 offset1:14
	ds_read2st64_b32 v[8:9], v7 offset0:20 offset1:22
	s_waitcnt lgkmcnt(3)
	v_pk_mul_f32 v[10:11], v[2:3], v[10:11]
	ds_read2st64_b32 v[12:13], v7 offset0:24 offset1:26
	ds_write2st64_b32 v7, v10, v11 offset0:16 offset1:18
	ds_read2st64_b32 v[10:11], v7 offset0:28 offset1:30
	s_waitcnt lgkmcnt(3)
	v_pk_mul_f32 v[8:9], v[2:3], v[8:9]
	ds_write2st64_b32 v7, v8, v9 offset0:20 offset1:22
	s_waitcnt lgkmcnt(3)
	v_pk_mul_f32 v[8:9], v[2:3], v[12:13]
	ds_write2st64_b32 v7, v8, v9 offset0:24 offset1:26
	s_waitcnt lgkmcnt(2)
	v_pk_mul_f32 v[8:9], v[2:3], v[10:11]
	s_add_i32 s18, s18, 16
	v_cmp_eq_u32_e32 vcc, 0, v6
	ds_write2st64_b32 v7, v8, v9 offset0:28 offset1:30
	v_add_u32_e32 v7, 0x2000, v7
	s_or_b64 s[12:13], vcc, s[12:13]
	v_mov_b32_e32 v8, s18
	s_andn2_b64 exec, exec, s[12:13]
	s_cbranch_execnz .LBB307_99
; %bb.100:
	s_or_b64 exec, exec, s[12:13]
.LBB307_101:
	s_or_b64 exec, exec, s[8:9]
	v_and_b32_e32 v5, 7, v5
	v_cmp_ne_u32_e32 vcc, 0, v5
	s_and_saveexec_b64 s[8:9], vcc
	s_cbranch_execz .LBB307_104
; %bb.102:
	v_lshlrev_b32_e32 v6, 9, v8
	v_lshlrev_b32_e32 v7, 2, v0
	s_movk_i32 s12, 0x90
	v_add3_u32 v6, v6, v7, s12
	s_mov_b64 s[12:13], 0
.LBB307_103:                            ; =>This Inner Loop Header: Depth=1
	ds_read2st64_b32 v[8:9], v6 offset1:2
	v_add_u32_e32 v5, -1, v5
	v_cmp_eq_u32_e32 vcc, 0, v5
	s_or_b64 s[12:13], vcc, s[12:13]
	s_waitcnt lgkmcnt(0)
	v_pk_mul_f32 v[8:9], v[2:3], v[8:9]
	ds_write2st64_b32 v6, v8, v9 offset1:2
	v_add_u32_e32 v6, 0x400, v6
	s_andn2_b64 exec, exec, s[12:13]
	s_cbranch_execnz .LBB307_103
.LBB307_104:
	s_or_b64 exec, exec, s[8:9]
	v_add_u32_e32 v4, 1, v4
	v_and_b32_e32 v5, 0x3fffffe, v4
	v_cmp_ne_u32_e32 vcc, v4, v5
	v_lshl_add_u32 v3, v5, 7, v0
	s_orn2_b64 s[8:9], vcc, exec
.LBB307_105:
	s_or_b64 exec, exec, s[2:3]
	s_and_b64 exec, exec, s[8:9]
	s_cbranch_execz .LBB307_108
; %bb.106:
	v_mov_b32_e32 v4, 0x90
	v_lshl_add_u32 v4, v3, 2, v4
	s_mov_b64 s[2:3], 0
.LBB307_107:                            ; =>This Inner Loop Header: Depth=1
	ds_read_b32 v5, v4
	v_add_u32_e32 v3, 0x80, v3
	v_cmp_le_i32_e32 vcc, s37, v3
	s_or_b64 s[2:3], vcc, s[2:3]
	s_waitcnt lgkmcnt(0)
	v_mul_f32_e32 v5, v2, v5
	ds_write_b32 v4, v5
	v_add_u32_e32 v4, 0x200, v4
	s_andn2_b64 exec, exec, s[2:3]
	s_cbranch_execnz .LBB307_107
.LBB307_108:
	s_or_b64 exec, exec, s[0:1]
	v_mov_b32_e32 v13, 0
	v_and_b32_e32 v21, 1, v0
	v_mov_b32_e32 v12, v13
	s_waitcnt lgkmcnt(0)
	s_barrier
	s_and_saveexec_b64 s[2:3], s[6:7]
	s_cbranch_execz .LBB307_278
; %bb.109:
	s_sub_i32 s18, s42, s21
	s_ashr_i32 s1, s43, 31
	s_add_u32 s0, s34, s43
	s_addc_u32 s1, s35, s1
	s_abs_i32 s19, s22
	v_cvt_f32_u32_e32 v2, s19
	v_lshlrev_b32_e32 v3, 3, v0
	s_sub_i32 s6, 0, s19
	v_mov_b32_e32 v11, 0
	v_rcp_iflag_f32_e32 v2, v2
	v_and_b32_e32 v22, 8, v3
	v_and_b32_e32 v10, 0x1f8, v3
	s_add_i32 s21, s20, -1
	v_mul_f32_e32 v2, 0x4f7ffffe, v2
	v_cvt_u32_f32_e32 v2, v2
	v_lshl_add_u64 v[14:15], s[0:1], 0, v[10:11]
	s_lshl_b64 s[0:1], s[30:31], 2
	s_add_u32 s0, s28, s0
	v_mul_lo_u32 v3, s6, v2
	v_mul_hi_u32 v3, v2, v3
	v_add_u32_e32 v23, v2, v3
	v_lshlrev_b32_e32 v2, 5, v21
	v_and_b32_e32 v10, 60, v24
	s_addc_u32 s1, s29, s1
	v_lshl_or_b32 v2, v1, 6, v2
	v_lshl_add_u64 v[16:17], s[0:1], 0, v[10:11]
	v_add_u32_e32 v10, 0x90, v2
	s_mov_b64 s[6:7], 0
	s_mov_b32 s22, 0x7f800000
	s_movk_i32 s28, 0x7fff
	v_mov_b32_e32 v12, 0
	v_mov_b32_e32 v13, v11
	s_branch .LBB307_112
.LBB307_110:                            ;   in Loop: Header=BB307_112 Depth=1
	s_or_b64 exec, exec, s[0:1]
	v_and_b32_e32 v35, 0xffff0000, v7
	v_and_b32_e32 v34, 0xffff0000, v5
	;; [unrolled: 1-line block ×4, first 2 shown]
	v_pk_add_f32 v[4:5], v[4:5], v[34:35]
	v_and_b32_e32 v33, 0xffff0000, v33
	v_and_b32_e32 v32, 0xffff0000, v9
	;; [unrolled: 1-line block ×4, first 2 shown]
	v_mov_b32_e32 v6, v5
	v_pk_add_f32 v[4:5], v[4:5], v[6:7]
	v_pk_add_f32 v[6:7], v[8:9], v[32:33]
	v_and_b32_e32 v8, 0xffff0000, v28
	v_pk_add_f32 v[4:5], v[4:5], v[6:7]
	v_mov_b32_e32 v6, v7
	v_pk_add_f32 v[4:5], v[4:5], v[6:7]
	v_and_b32_e32 v7, 0xffff0000, v3
	v_and_b32_e32 v6, 0xffff0000, v29
	;; [unrolled: 1-line block ×6, first 2 shown]
	v_pk_add_f32 v[2:3], v[2:3], v[28:29]
	v_and_b32_e32 v9, 0xffff0000, v30
	v_mov_b32_e32 v24, v3
	v_pk_add_f32 v[2:3], v[2:3], v[24:25]
	v_pk_add_f32 v[6:7], v[8:9], v[6:7]
	;; [unrolled: 1-line block ×4, first 2 shown]
	v_mov_b32_e32 v6, v7
	v_pk_add_f32 v[2:3], v[2:3], v[6:7]
	s_nop 0
	v_mov_b32_e32 v3, v2
	v_pk_add_f32 v[2:3], v[12:13], v[2:3]
	s_nop 0
	v_mov_b32_e32 v5, v3
	v_mov_b64_e32 v[12:13], v[4:5]
.LBB307_111:                            ;   in Loop: Header=BB307_112 Depth=1
	s_or_b64 exec, exec, s[8:9]
	v_add_u32_e32 v1, 2, v1
	v_cmp_le_i32_e32 vcc, s20, v1
	v_lshl_add_u64 v[16:17], v[16:17], 0, 8
	v_add_u32_e32 v18, 32, v18
	s_or_b64 s[6:7], vcc, s[6:7]
	v_add_u32_e32 v10, 0x80, v10
	s_andn2_b64 exec, exec, s[6:7]
	s_cbranch_execz .LBB307_277
.LBB307_112:                            ; =>This Inner Loop Header: Depth=1
	v_mul_hi_u32 v2, v18, s25
	v_mul_lo_u32 v3, v2, s16
	v_sub_u32_e32 v3, v18, v3
	v_add_u32_e32 v4, 1, v2
	v_cmp_le_u32_e32 vcc, s16, v3
	s_nop 1
	v_cndmask_b32_e32 v2, v2, v4, vcc
	v_subrev_u32_e32 v4, s16, v3
	v_cndmask_b32_e32 v3, v3, v4, vcc
	v_add_u32_e32 v4, 1, v2
	v_cmp_le_u32_e32 vcc, s16, v3
	s_nop 1
	v_cndmask_b32_e32 v2, v2, v4, vcc
	v_xor_b32_e32 v2, s23, v2
	v_subrev_u32_e32 v2, s23, v2
	v_add_u32_e32 v3, s36, v2
	v_sub_u32_e32 v5, 0, v3
	v_ashrrev_i32_e32 v4, 31, v3
	v_max_i32_e32 v3, v3, v5
	v_mul_hi_u32 v5, v3, v23
	v_mul_lo_u32 v5, v5, s19
	v_sub_u32_e32 v3, v3, v5
	v_subrev_u32_e32 v5, s19, v3
	v_cmp_le_u32_e32 vcc, s19, v3
	v_cmp_lt_i32_e64 s[0:1], s18, v2
	s_nop 0
	v_cndmask_b32_e32 v3, v3, v5, vcc
	v_subrev_u32_e32 v5, s19, v3
	v_cmp_le_u32_e32 vcc, s19, v3
	s_nop 1
	v_cndmask_b32_e32 v3, v3, v5, vcc
	v_xor_b32_e32 v3, v3, v4
	v_sub_u32_e32 v3, v3, v4
	v_cmp_eq_u32_e32 vcc, 0, v3
	s_or_b64 s[0:1], vcc, s[0:1]
	s_and_saveexec_b64 s[8:9], s[0:1]
	s_cbranch_execz .LBB307_111
; %bb.113:                              ;   in Loop: Header=BB307_112 Depth=1
	global_load_dword v25, v[16:17], off
	ds_read2_b64 v[6:9], v10 offset1:1
	ds_read2_b64 v[2:5], v10 offset0:2 offset1:3
                                        ; implicit-def: $vgpr34
	s_waitcnt lgkmcnt(1)
	v_and_b32_e32 v24, 0x7f800000, v6
	v_cmp_ne_u32_e32 vcc, s22, v24
	s_and_saveexec_b64 s[0:1], vcc
	s_xor_b64 s[0:1], exec, s[0:1]
; %bb.114:                              ;   in Loop: Header=BB307_112 Depth=1
	v_bfe_u32 v24, v6, 16, 1
	v_add3_u32 v34, v6, v24, s28
; %bb.115:                              ;   in Loop: Header=BB307_112 Depth=1
	s_andn2_saveexec_b64 s[0:1], s[0:1]
; %bb.116:                              ;   in Loop: Header=BB307_112 Depth=1
	v_or_b32_e32 v24, 0x10000, v6
	v_cmp_eq_u32_sdwa vcc, v6, v11 src0_sel:WORD_0 src1_sel:DWORD
	s_nop 1
	v_cndmask_b32_e32 v34, v24, v6, vcc
; %bb.117:                              ;   in Loop: Header=BB307_112 Depth=1
	s_or_b64 exec, exec, s[0:1]
	v_and_b32_e32 v6, 0x7f800000, v7
	v_cmp_ne_u32_e32 vcc, s22, v6
                                        ; implicit-def: $vgpr35
	s_and_saveexec_b64 s[0:1], vcc
	s_xor_b64 s[0:1], exec, s[0:1]
; %bb.118:                              ;   in Loop: Header=BB307_112 Depth=1
	v_bfe_u32 v6, v7, 16, 1
	v_add3_u32 v35, v7, v6, s28
; %bb.119:                              ;   in Loop: Header=BB307_112 Depth=1
	s_andn2_saveexec_b64 s[0:1], s[0:1]
; %bb.120:                              ;   in Loop: Header=BB307_112 Depth=1
	v_or_b32_e32 v6, 0x10000, v7
	v_cmp_eq_u32_sdwa vcc, v7, v11 src0_sel:WORD_0 src1_sel:DWORD
	s_nop 1
	v_cndmask_b32_e32 v35, v6, v7, vcc
; %bb.121:                              ;   in Loop: Header=BB307_112 Depth=1
	s_or_b64 exec, exec, s[0:1]
	v_and_b32_e32 v6, 0x7f800000, v8
	v_cmp_ne_u32_e32 vcc, s22, v6
                                        ; implicit-def: $vgpr36
	s_and_saveexec_b64 s[0:1], vcc
	s_xor_b64 s[0:1], exec, s[0:1]
; %bb.122:                              ;   in Loop: Header=BB307_112 Depth=1
	v_bfe_u32 v6, v8, 16, 1
	v_add3_u32 v36, v8, v6, s28
; %bb.123:                              ;   in Loop: Header=BB307_112 Depth=1
	s_andn2_saveexec_b64 s[0:1], s[0:1]
; %bb.124:                              ;   in Loop: Header=BB307_112 Depth=1
	v_or_b32_e32 v6, 0x10000, v8
	v_cmp_eq_u32_sdwa vcc, v8, v11 src0_sel:WORD_0 src1_sel:DWORD
	s_nop 1
	v_cndmask_b32_e32 v36, v6, v8, vcc
; %bb.125:                              ;   in Loop: Header=BB307_112 Depth=1
	s_or_b64 exec, exec, s[0:1]
	v_and_b32_e32 v6, 0x7f800000, v9
	v_cmp_ne_u32_e32 vcc, s22, v6
                                        ; implicit-def: $vgpr37
	s_and_saveexec_b64 s[0:1], vcc
	s_xor_b64 s[0:1], exec, s[0:1]
; %bb.126:                              ;   in Loop: Header=BB307_112 Depth=1
	v_bfe_u32 v6, v9, 16, 1
	v_add3_u32 v37, v9, v6, s28
                                        ; implicit-def: $vgpr6_vgpr7_vgpr8_vgpr9
; %bb.127:                              ;   in Loop: Header=BB307_112 Depth=1
	s_andn2_saveexec_b64 s[0:1], s[0:1]
; %bb.128:                              ;   in Loop: Header=BB307_112 Depth=1
	v_or_b32_e32 v6, 0x10000, v9
	v_cmp_eq_u32_sdwa vcc, v9, v11 src0_sel:WORD_0 src1_sel:DWORD
	s_nop 1
	v_cndmask_b32_e32 v37, v6, v9, vcc
; %bb.129:                              ;   in Loop: Header=BB307_112 Depth=1
	s_or_b64 exec, exec, s[0:1]
	s_waitcnt lgkmcnt(0)
	v_and_b32_e32 v6, 0x7f800000, v2
	v_cmp_ne_u32_e32 vcc, s22, v6
                                        ; implicit-def: $vgpr8
	s_and_saveexec_b64 s[0:1], vcc
	s_xor_b64 s[0:1], exec, s[0:1]
; %bb.130:                              ;   in Loop: Header=BB307_112 Depth=1
	v_bfe_u32 v6, v2, 16, 1
	v_add3_u32 v8, v2, v6, s28
; %bb.131:                              ;   in Loop: Header=BB307_112 Depth=1
	s_andn2_saveexec_b64 s[0:1], s[0:1]
; %bb.132:                              ;   in Loop: Header=BB307_112 Depth=1
	v_or_b32_e32 v6, 0x10000, v2
	v_cmp_eq_u32_sdwa vcc, v2, v11 src0_sel:WORD_0 src1_sel:DWORD
	s_nop 1
	v_cndmask_b32_e32 v8, v6, v2, vcc
; %bb.133:                              ;   in Loop: Header=BB307_112 Depth=1
	s_or_b64 exec, exec, s[0:1]
	v_and_b32_e32 v2, 0x7f800000, v3
	v_cmp_ne_u32_e32 vcc, s22, v2
                                        ; implicit-def: $vgpr9
	s_and_saveexec_b64 s[0:1], vcc
	s_xor_b64 s[0:1], exec, s[0:1]
; %bb.134:                              ;   in Loop: Header=BB307_112 Depth=1
	v_bfe_u32 v2, v3, 16, 1
	v_add3_u32 v9, v3, v2, s28
; %bb.135:                              ;   in Loop: Header=BB307_112 Depth=1
	s_andn2_saveexec_b64 s[0:1], s[0:1]
; %bb.136:                              ;   in Loop: Header=BB307_112 Depth=1
	v_or_b32_e32 v2, 0x10000, v3
	v_cmp_eq_u32_sdwa vcc, v3, v11 src0_sel:WORD_0 src1_sel:DWORD
	s_nop 1
	v_cndmask_b32_e32 v9, v2, v3, vcc
; %bb.137:                              ;   in Loop: Header=BB307_112 Depth=1
	s_or_b64 exec, exec, s[0:1]
	v_and_b32_e32 v2, 0x7f800000, v4
	v_cmp_ne_u32_e32 vcc, s22, v2
                                        ; implicit-def: $vgpr24
	s_and_saveexec_b64 s[0:1], vcc
	s_xor_b64 s[0:1], exec, s[0:1]
; %bb.138:                              ;   in Loop: Header=BB307_112 Depth=1
	v_bfe_u32 v2, v4, 16, 1
	v_add3_u32 v24, v4, v2, s28
; %bb.139:                              ;   in Loop: Header=BB307_112 Depth=1
	s_andn2_saveexec_b64 s[0:1], s[0:1]
; %bb.140:                              ;   in Loop: Header=BB307_112 Depth=1
	v_or_b32_e32 v2, 0x10000, v4
	v_cmp_eq_u32_sdwa vcc, v4, v11 src0_sel:WORD_0 src1_sel:DWORD
	s_nop 1
	v_cndmask_b32_e32 v24, v2, v4, vcc
; %bb.141:                              ;   in Loop: Header=BB307_112 Depth=1
	s_or_b64 exec, exec, s[0:1]
	v_and_b32_e32 v2, 0x7f800000, v5
	v_cmp_ne_u32_e32 vcc, s22, v2
                                        ; implicit-def: $vgpr33
	s_and_saveexec_b64 s[0:1], vcc
	s_xor_b64 s[0:1], exec, s[0:1]
; %bb.142:                              ;   in Loop: Header=BB307_112 Depth=1
	v_bfe_u32 v2, v5, 16, 1
	v_add3_u32 v33, v5, v2, s28
                                        ; implicit-def: $vgpr2_vgpr3_vgpr4_vgpr5
; %bb.143:                              ;   in Loop: Header=BB307_112 Depth=1
	s_andn2_saveexec_b64 s[0:1], s[0:1]
; %bb.144:                              ;   in Loop: Header=BB307_112 Depth=1
	v_or_b32_e32 v2, 0x10000, v5
	v_cmp_eq_u32_sdwa vcc, v5, v11 src0_sel:WORD_0 src1_sel:DWORD
	s_nop 1
	v_cndmask_b32_e32 v33, v2, v5, vcc
; %bb.145:                              ;   in Loop: Header=BB307_112 Depth=1
	s_or_b64 exec, exec, s[0:1]
	s_waitcnt vmcnt(0)
	v_mad_i64_i32 v[2:3], s[0:1], v25, s17, v[14:15]
	global_load_dwordx2 v[4:5], v[2:3], off
	s_load_dword s29, s[14:15], 0x0
	s_waitcnt vmcnt(0)
	v_and_b32_e32 v6, 0xff, v4
	v_cvt_f32_fp8_sdwa v6, v6 src0_sel:BYTE_0
	s_waitcnt lgkmcnt(0)
	v_mul_f32_e32 v7, s29, v6
	v_and_b32_e32 v6, 0x7f800000, v7
	v_cmp_ne_u32_e32 vcc, s22, v6
                                        ; implicit-def: $vgpr6
	s_and_saveexec_b64 s[0:1], vcc
	s_xor_b64 s[0:1], exec, s[0:1]
; %bb.146:                              ;   in Loop: Header=BB307_112 Depth=1
	v_bfe_u32 v6, v7, 16, 1
	v_add3_u32 v6, v7, v6, s28
                                        ; implicit-def: $vgpr7
; %bb.147:                              ;   in Loop: Header=BB307_112 Depth=1
	s_andn2_saveexec_b64 s[0:1], s[0:1]
; %bb.148:                              ;   in Loop: Header=BB307_112 Depth=1
	v_or_b32_e32 v6, 0x10000, v7
	v_cmp_eq_u32_sdwa vcc, v7, v11 src0_sel:WORD_0 src1_sel:DWORD
	s_nop 1
	v_cndmask_b32_e32 v6, v6, v7, vcc
; %bb.149:                              ;   in Loop: Header=BB307_112 Depth=1
	s_or_b64 exec, exec, s[0:1]
	v_bfe_u32 v7, v4, 8, 8
	v_cvt_f32_fp8_sdwa v7, v7 src0_sel:BYTE_0
	s_nop 0
	v_mul_f32_e32 v25, s29, v7
	v_and_b32_e32 v7, 0x7f800000, v25
	v_cmp_ne_u32_e32 vcc, s22, v7
                                        ; implicit-def: $vgpr7
	s_and_saveexec_b64 s[0:1], vcc
	s_xor_b64 s[0:1], exec, s[0:1]
; %bb.150:                              ;   in Loop: Header=BB307_112 Depth=1
	v_bfe_u32 v7, v25, 16, 1
	v_add3_u32 v7, v25, v7, s28
                                        ; implicit-def: $vgpr25
; %bb.151:                              ;   in Loop: Header=BB307_112 Depth=1
	s_andn2_saveexec_b64 s[0:1], s[0:1]
; %bb.152:                              ;   in Loop: Header=BB307_112 Depth=1
	v_or_b32_e32 v7, 0x10000, v25
	v_cmp_eq_u32_sdwa vcc, v25, v11 src0_sel:WORD_0 src1_sel:DWORD
	s_nop 1
	v_cndmask_b32_e32 v7, v7, v25, vcc
; %bb.153:                              ;   in Loop: Header=BB307_112 Depth=1
	s_or_b64 exec, exec, s[0:1]
	v_bfe_u32 v25, v4, 16, 8
	v_cvt_f32_fp8_sdwa v25, v25 src0_sel:BYTE_0
	s_nop 0
	v_mul_f32_e32 v25, s29, v25
	v_and_b32_e32 v26, 0x7f800000, v25
	v_cmp_ne_u32_e32 vcc, s22, v26
                                        ; implicit-def: $vgpr26
	s_and_saveexec_b64 s[0:1], vcc
	s_xor_b64 s[0:1], exec, s[0:1]
; %bb.154:                              ;   in Loop: Header=BB307_112 Depth=1
	v_bfe_u32 v26, v25, 16, 1
	v_add3_u32 v26, v25, v26, s28
                                        ; implicit-def: $vgpr25
; %bb.155:                              ;   in Loop: Header=BB307_112 Depth=1
	s_andn2_saveexec_b64 s[0:1], s[0:1]
; %bb.156:                              ;   in Loop: Header=BB307_112 Depth=1
	v_or_b32_e32 v26, 0x10000, v25
	v_cmp_eq_u32_sdwa vcc, v25, v11 src0_sel:WORD_0 src1_sel:DWORD
	s_nop 1
	v_cndmask_b32_e32 v26, v26, v25, vcc
; %bb.157:                              ;   in Loop: Header=BB307_112 Depth=1
	s_or_b64 exec, exec, s[0:1]
	v_lshrrev_b32_e32 v4, 24, v4
	v_cvt_f32_fp8_sdwa v4, v4 src0_sel:BYTE_0
	s_nop 0
	v_mul_f32_e32 v25, s29, v4
	v_and_b32_e32 v4, 0x7f800000, v25
	v_cmp_ne_u32_e32 vcc, s22, v4
                                        ; implicit-def: $vgpr4
	s_and_saveexec_b64 s[0:1], vcc
	s_xor_b64 s[0:1], exec, s[0:1]
; %bb.158:                              ;   in Loop: Header=BB307_112 Depth=1
	v_bfe_u32 v4, v25, 16, 1
	v_add3_u32 v4, v25, v4, s28
                                        ; implicit-def: $vgpr25
; %bb.159:                              ;   in Loop: Header=BB307_112 Depth=1
	s_andn2_saveexec_b64 s[0:1], s[0:1]
; %bb.160:                              ;   in Loop: Header=BB307_112 Depth=1
	v_or_b32_e32 v4, 0x10000, v25
	v_cmp_eq_u32_sdwa vcc, v25, v11 src0_sel:WORD_0 src1_sel:DWORD
	s_nop 1
	v_cndmask_b32_e32 v4, v4, v25, vcc
; %bb.161:                              ;   in Loop: Header=BB307_112 Depth=1
	s_or_b64 exec, exec, s[0:1]
	v_and_b32_e32 v25, 0xff, v5
	v_cvt_f32_fp8_sdwa v25, v25 src0_sel:BYTE_0
	s_nop 0
	v_mul_f32_e32 v25, s29, v25
	v_and_b32_e32 v27, 0x7f800000, v25
	v_cmp_ne_u32_e32 vcc, s22, v27
                                        ; implicit-def: $vgpr27
	s_and_saveexec_b64 s[0:1], vcc
	s_xor_b64 s[0:1], exec, s[0:1]
; %bb.162:                              ;   in Loop: Header=BB307_112 Depth=1
	v_bfe_u32 v27, v25, 16, 1
	v_add3_u32 v27, v25, v27, s28
                                        ; implicit-def: $vgpr25
; %bb.163:                              ;   in Loop: Header=BB307_112 Depth=1
	s_andn2_saveexec_b64 s[0:1], s[0:1]
; %bb.164:                              ;   in Loop: Header=BB307_112 Depth=1
	v_or_b32_e32 v27, 0x10000, v25
	v_cmp_eq_u32_sdwa vcc, v25, v11 src0_sel:WORD_0 src1_sel:DWORD
	s_nop 1
	v_cndmask_b32_e32 v27, v27, v25, vcc
; %bb.165:                              ;   in Loop: Header=BB307_112 Depth=1
	s_or_b64 exec, exec, s[0:1]
	v_bfe_u32 v25, v5, 8, 8
	v_cvt_f32_fp8_sdwa v25, v25 src0_sel:BYTE_0
	s_nop 0
	v_mul_f32_e32 v25, s29, v25
	v_and_b32_e32 v28, 0x7f800000, v25
	v_cmp_ne_u32_e32 vcc, s22, v28
                                        ; implicit-def: $vgpr28
	s_and_saveexec_b64 s[0:1], vcc
	s_xor_b64 s[0:1], exec, s[0:1]
; %bb.166:                              ;   in Loop: Header=BB307_112 Depth=1
	v_bfe_u32 v28, v25, 16, 1
	v_add3_u32 v28, v25, v28, s28
                                        ; implicit-def: $vgpr25
; %bb.167:                              ;   in Loop: Header=BB307_112 Depth=1
	s_andn2_saveexec_b64 s[0:1], s[0:1]
; %bb.168:                              ;   in Loop: Header=BB307_112 Depth=1
	v_or_b32_e32 v28, 0x10000, v25
	v_cmp_eq_u32_sdwa vcc, v25, v11 src0_sel:WORD_0 src1_sel:DWORD
	s_nop 1
	v_cndmask_b32_e32 v28, v28, v25, vcc
; %bb.169:                              ;   in Loop: Header=BB307_112 Depth=1
	s_or_b64 exec, exec, s[0:1]
	v_bfe_u32 v25, v5, 16, 8
	v_cvt_f32_fp8_sdwa v25, v25 src0_sel:BYTE_0
	s_nop 0
	v_mul_f32_e32 v25, s29, v25
	v_and_b32_e32 v29, 0x7f800000, v25
	v_cmp_ne_u32_e32 vcc, s22, v29
                                        ; implicit-def: $vgpr29
	s_and_saveexec_b64 s[0:1], vcc
	s_xor_b64 s[0:1], exec, s[0:1]
; %bb.170:                              ;   in Loop: Header=BB307_112 Depth=1
	v_bfe_u32 v29, v25, 16, 1
	v_add3_u32 v29, v25, v29, s28
                                        ; implicit-def: $vgpr25
; %bb.171:                              ;   in Loop: Header=BB307_112 Depth=1
	s_andn2_saveexec_b64 s[0:1], s[0:1]
; %bb.172:                              ;   in Loop: Header=BB307_112 Depth=1
	v_or_b32_e32 v29, 0x10000, v25
	v_cmp_eq_u32_sdwa vcc, v25, v11 src0_sel:WORD_0 src1_sel:DWORD
	s_nop 1
	v_cndmask_b32_e32 v29, v29, v25, vcc
; %bb.173:                              ;   in Loop: Header=BB307_112 Depth=1
	s_or_b64 exec, exec, s[0:1]
	v_lshrrev_b32_e32 v5, 24, v5
	v_cvt_f32_fp8_sdwa v5, v5 src0_sel:BYTE_0
                                        ; implicit-def: $vgpr30
	s_nop 0
	v_mul_f32_e32 v5, s29, v5
	v_and_b32_e32 v25, 0x7f800000, v5
	v_cmp_ne_u32_e32 vcc, s22, v25
	s_and_saveexec_b64 s[0:1], vcc
	s_xor_b64 s[0:1], exec, s[0:1]
; %bb.174:                              ;   in Loop: Header=BB307_112 Depth=1
	v_bfe_u32 v25, v5, 16, 1
	v_add3_u32 v30, v5, v25, s28
                                        ; implicit-def: $vgpr5
; %bb.175:                              ;   in Loop: Header=BB307_112 Depth=1
	s_andn2_saveexec_b64 s[0:1], s[0:1]
; %bb.176:                              ;   in Loop: Header=BB307_112 Depth=1
	v_or_b32_e32 v25, 0x10000, v5
	v_cmp_eq_u32_sdwa vcc, v5, v11 src0_sel:WORD_0 src1_sel:DWORD
	s_nop 1
	v_cndmask_b32_e32 v30, v25, v5, vcc
; %bb.177:                              ;   in Loop: Header=BB307_112 Depth=1
	s_or_b64 exec, exec, s[0:1]
	v_add_u32_e32 v25, v22, v18
	v_cmp_eq_u32_e32 vcc, s21, v1
	v_lshrrev_b32_e32 v40, 16, v28
	v_lshrrev_b32_e32 v39, 16, v27
	;; [unrolled: 1-line block ×8, first 2 shown]
	v_add_u32_e32 v32, 1, v25
	v_add_u32_e32 v31, 2, v25
	v_add_u32_e32 v30, 3, v25
	v_add_u32_e32 v29, 4, v25
	v_add_u32_e32 v28, 5, v25
	v_add_u32_e32 v27, 6, v25
	v_add_u32_e32 v26, 7, v25
	s_and_saveexec_b64 s[12:13], vcc
	s_cbranch_execz .LBB307_179
; %bb.178:                              ;   in Loop: Header=BB307_112 Depth=1
	v_cmp_gt_i32_e64 s[0:1], s33, v25
	s_nop 1
	v_cndmask_b32_e64 v4, 0, v4, s[0:1]
	v_cmp_gt_i32_e64 s[0:1], s33, v32
	s_nop 1
	v_cndmask_b32_e64 v5, 0, v5, s[0:1]
	;; [unrolled: 3-line block ×8, first 2 shown]
.LBB307_179:                            ;   in Loop: Header=BB307_112 Depth=1
	s_or_b64 exec, exec, s[12:13]
	v_and_b32_e32 v34, 0xffff0000, v34
	v_lshlrev_b32_e32 v4, 16, v4
	v_mul_f32_e32 v6, v34, v4
	v_and_b32_e32 v4, 0x7f800000, v6
	v_cmp_ne_u32_e64 s[0:1], s22, v4
                                        ; implicit-def: $vgpr4
	s_and_saveexec_b64 s[12:13], s[0:1]
	s_xor_b64 s[0:1], exec, s[12:13]
; %bb.180:                              ;   in Loop: Header=BB307_112 Depth=1
	v_bfe_u32 v4, v6, 16, 1
	v_add3_u32 v4, v6, v4, s28
                                        ; implicit-def: $vgpr6
; %bb.181:                              ;   in Loop: Header=BB307_112 Depth=1
	s_andn2_saveexec_b64 s[12:13], s[0:1]
; %bb.182:                              ;   in Loop: Header=BB307_112 Depth=1
	v_or_b32_e32 v4, 0x10000, v6
	v_cmp_eq_u32_sdwa s[0:1], v6, v11 src0_sel:WORD_0 src1_sel:DWORD
	s_nop 1
	v_cndmask_b32_e64 v4, v4, v6, s[0:1]
; %bb.183:                              ;   in Loop: Header=BB307_112 Depth=1
	s_or_b64 exec, exec, s[12:13]
	v_and_b32_e32 v35, 0xffff0000, v35
	v_lshlrev_b32_e32 v5, 16, v5
	v_mul_f32_e32 v6, v35, v5
	v_and_b32_e32 v5, 0x7f800000, v6
	v_cmp_ne_u32_e64 s[0:1], s22, v5
                                        ; implicit-def: $vgpr5
	s_and_saveexec_b64 s[12:13], s[0:1]
	s_xor_b64 s[0:1], exec, s[12:13]
; %bb.184:                              ;   in Loop: Header=BB307_112 Depth=1
	v_bfe_u32 v5, v6, 16, 1
	v_add3_u32 v5, v6, v5, s28
                                        ; implicit-def: $vgpr6
; %bb.185:                              ;   in Loop: Header=BB307_112 Depth=1
	s_andn2_saveexec_b64 s[12:13], s[0:1]
; %bb.186:                              ;   in Loop: Header=BB307_112 Depth=1
	v_or_b32_e32 v5, 0x10000, v6
	v_cmp_eq_u32_sdwa s[0:1], v6, v11 src0_sel:WORD_0 src1_sel:DWORD
	s_nop 1
	v_cndmask_b32_e64 v5, v5, v6, s[0:1]
; %bb.187:                              ;   in Loop: Header=BB307_112 Depth=1
	s_or_b64 exec, exec, s[12:13]
	v_and_b32_e32 v36, 0xffff0000, v36
	v_lshlrev_b32_e32 v6, 16, v43
	v_mul_f32_e32 v7, v36, v6
	v_and_b32_e32 v6, 0x7f800000, v7
	v_cmp_ne_u32_e64 s[0:1], s22, v6
                                        ; implicit-def: $vgpr6
	s_and_saveexec_b64 s[12:13], s[0:1]
	s_xor_b64 s[0:1], exec, s[12:13]
; %bb.188:                              ;   in Loop: Header=BB307_112 Depth=1
	v_bfe_u32 v6, v7, 16, 1
	v_add3_u32 v6, v7, v6, s28
                                        ; implicit-def: $vgpr7
; %bb.189:                              ;   in Loop: Header=BB307_112 Depth=1
	s_andn2_saveexec_b64 s[12:13], s[0:1]
; %bb.190:                              ;   in Loop: Header=BB307_112 Depth=1
	v_or_b32_e32 v6, 0x10000, v7
	v_cmp_eq_u32_sdwa s[0:1], v7, v11 src0_sel:WORD_0 src1_sel:DWORD
	s_nop 1
	v_cndmask_b32_e64 v6, v6, v7, s[0:1]
; %bb.191:                              ;   in Loop: Header=BB307_112 Depth=1
	s_or_b64 exec, exec, s[12:13]
	v_and_b32_e32 v37, 0xffff0000, v37
	v_lshlrev_b32_e32 v7, 16, v38
	v_mul_f32_e32 v38, v37, v7
	v_and_b32_e32 v7, 0x7f800000, v38
	v_cmp_ne_u32_e64 s[0:1], s22, v7
                                        ; implicit-def: $vgpr7
	s_and_saveexec_b64 s[12:13], s[0:1]
	s_xor_b64 s[0:1], exec, s[12:13]
; %bb.192:                              ;   in Loop: Header=BB307_112 Depth=1
	v_bfe_u32 v7, v38, 16, 1
	v_add3_u32 v7, v38, v7, s28
                                        ; implicit-def: $vgpr38
; %bb.193:                              ;   in Loop: Header=BB307_112 Depth=1
	s_andn2_saveexec_b64 s[12:13], s[0:1]
; %bb.194:                              ;   in Loop: Header=BB307_112 Depth=1
	v_or_b32_e32 v7, 0x10000, v38
	v_cmp_eq_u32_sdwa s[0:1], v38, v11 src0_sel:WORD_0 src1_sel:DWORD
	s_nop 1
	v_cndmask_b32_e64 v7, v7, v38, s[0:1]
; %bb.195:                              ;   in Loop: Header=BB307_112 Depth=1
	s_or_b64 exec, exec, s[12:13]
	v_and_b32_e32 v38, 0xffff0000, v8
	v_lshlrev_b32_e32 v8, 16, v39
	v_mul_f32_e32 v39, v38, v8
	v_and_b32_e32 v8, 0x7f800000, v39
	v_cmp_ne_u32_e64 s[0:1], s22, v8
                                        ; implicit-def: $vgpr8
	s_and_saveexec_b64 s[12:13], s[0:1]
	s_xor_b64 s[0:1], exec, s[12:13]
; %bb.196:                              ;   in Loop: Header=BB307_112 Depth=1
	v_bfe_u32 v8, v39, 16, 1
	v_add3_u32 v8, v39, v8, s28
                                        ; implicit-def: $vgpr39
; %bb.197:                              ;   in Loop: Header=BB307_112 Depth=1
	s_andn2_saveexec_b64 s[12:13], s[0:1]
; %bb.198:                              ;   in Loop: Header=BB307_112 Depth=1
	v_or_b32_e32 v8, 0x10000, v39
	v_cmp_eq_u32_sdwa s[0:1], v39, v11 src0_sel:WORD_0 src1_sel:DWORD
	s_nop 1
	v_cndmask_b32_e64 v8, v8, v39, s[0:1]
; %bb.199:                              ;   in Loop: Header=BB307_112 Depth=1
	s_or_b64 exec, exec, s[12:13]
	v_and_b32_e32 v39, 0xffff0000, v9
	v_lshlrev_b32_e32 v9, 16, v40
	v_mul_f32_e32 v40, v39, v9
	v_and_b32_e32 v9, 0x7f800000, v40
	v_cmp_ne_u32_e64 s[0:1], s22, v9
                                        ; implicit-def: $vgpr9
	s_and_saveexec_b64 s[12:13], s[0:1]
	s_xor_b64 s[0:1], exec, s[12:13]
; %bb.200:                              ;   in Loop: Header=BB307_112 Depth=1
	v_bfe_u32 v9, v40, 16, 1
	v_add3_u32 v9, v40, v9, s28
                                        ; implicit-def: $vgpr40
; %bb.201:                              ;   in Loop: Header=BB307_112 Depth=1
	s_andn2_saveexec_b64 s[12:13], s[0:1]
; %bb.202:                              ;   in Loop: Header=BB307_112 Depth=1
	v_or_b32_e32 v9, 0x10000, v40
	v_cmp_eq_u32_sdwa s[0:1], v40, v11 src0_sel:WORD_0 src1_sel:DWORD
	s_nop 1
	v_cndmask_b32_e64 v9, v9, v40, s[0:1]
; %bb.203:                              ;   in Loop: Header=BB307_112 Depth=1
	s_or_b64 exec, exec, s[12:13]
	v_and_b32_e32 v40, 0xffff0000, v24
	v_lshlrev_b32_e32 v24, 16, v41
	v_mul_f32_e32 v41, v40, v24
	v_and_b32_e32 v24, 0x7f800000, v41
	v_cmp_ne_u32_e64 s[0:1], s22, v24
                                        ; implicit-def: $vgpr24
	s_and_saveexec_b64 s[12:13], s[0:1]
	s_xor_b64 s[0:1], exec, s[12:13]
; %bb.204:                              ;   in Loop: Header=BB307_112 Depth=1
	v_bfe_u32 v24, v41, 16, 1
	v_add3_u32 v24, v41, v24, s28
                                        ; implicit-def: $vgpr41
; %bb.205:                              ;   in Loop: Header=BB307_112 Depth=1
	s_andn2_saveexec_b64 s[12:13], s[0:1]
; %bb.206:                              ;   in Loop: Header=BB307_112 Depth=1
	v_or_b32_e32 v24, 0x10000, v41
	v_cmp_eq_u32_sdwa s[0:1], v41, v11 src0_sel:WORD_0 src1_sel:DWORD
	s_nop 1
	v_cndmask_b32_e64 v24, v24, v41, s[0:1]
; %bb.207:                              ;   in Loop: Header=BB307_112 Depth=1
	s_or_b64 exec, exec, s[12:13]
	v_and_b32_e32 v41, 0xffff0000, v33
	v_lshlrev_b32_e32 v33, 16, v42
	v_mul_f32_e32 v42, v41, v33
	v_and_b32_e32 v33, 0x7f800000, v42
	v_cmp_ne_u32_e64 s[0:1], s22, v33
                                        ; implicit-def: $vgpr33
	s_and_saveexec_b64 s[12:13], s[0:1]
	s_xor_b64 s[0:1], exec, s[12:13]
; %bb.208:                              ;   in Loop: Header=BB307_112 Depth=1
	v_bfe_u32 v33, v42, 16, 1
	v_add3_u32 v33, v42, v33, s28
                                        ; implicit-def: $vgpr42
; %bb.209:                              ;   in Loop: Header=BB307_112 Depth=1
	s_andn2_saveexec_b64 s[12:13], s[0:1]
; %bb.210:                              ;   in Loop: Header=BB307_112 Depth=1
	v_or_b32_e32 v33, 0x10000, v42
	v_cmp_eq_u32_sdwa s[0:1], v42, v11 src0_sel:WORD_0 src1_sel:DWORD
	s_nop 1
	v_cndmask_b32_e64 v33, v33, v42, s[0:1]
; %bb.211:                              ;   in Loop: Header=BB307_112 Depth=1
	s_or_b64 exec, exec, s[12:13]
	global_load_dwordx2 v[2:3], v[2:3], off offset:512
	s_waitcnt vmcnt(0)
	v_and_b32_e32 v42, 0xff, v2
	v_cvt_f32_fp8_sdwa v42, v42 src0_sel:BYTE_0
	s_nop 0
	v_mul_f32_e32 v43, s29, v42
	v_and_b32_e32 v42, 0x7f800000, v43
	v_cmp_ne_u32_e64 s[0:1], s22, v42
                                        ; implicit-def: $vgpr42
	s_and_saveexec_b64 s[12:13], s[0:1]
	s_xor_b64 s[0:1], exec, s[12:13]
; %bb.212:                              ;   in Loop: Header=BB307_112 Depth=1
	v_bfe_u32 v42, v43, 16, 1
	v_add3_u32 v42, v43, v42, s28
                                        ; implicit-def: $vgpr43
; %bb.213:                              ;   in Loop: Header=BB307_112 Depth=1
	s_andn2_saveexec_b64 s[12:13], s[0:1]
; %bb.214:                              ;   in Loop: Header=BB307_112 Depth=1
	v_or_b32_e32 v42, 0x10000, v43
	v_cmp_eq_u32_sdwa s[0:1], v43, v11 src0_sel:WORD_0 src1_sel:DWORD
	s_nop 1
	v_cndmask_b32_e64 v42, v42, v43, s[0:1]
; %bb.215:                              ;   in Loop: Header=BB307_112 Depth=1
	s_or_b64 exec, exec, s[12:13]
	v_bfe_u32 v43, v2, 8, 8
	v_cvt_f32_fp8_sdwa v43, v43 src0_sel:BYTE_0
	s_nop 0
	v_mul_f32_e32 v44, s29, v43
	v_and_b32_e32 v43, 0x7f800000, v44
	v_cmp_ne_u32_e64 s[0:1], s22, v43
                                        ; implicit-def: $vgpr43
	s_and_saveexec_b64 s[12:13], s[0:1]
	s_xor_b64 s[0:1], exec, s[12:13]
; %bb.216:                              ;   in Loop: Header=BB307_112 Depth=1
	v_bfe_u32 v43, v44, 16, 1
	v_add3_u32 v43, v44, v43, s28
                                        ; implicit-def: $vgpr44
; %bb.217:                              ;   in Loop: Header=BB307_112 Depth=1
	s_andn2_saveexec_b64 s[12:13], s[0:1]
; %bb.218:                              ;   in Loop: Header=BB307_112 Depth=1
	v_or_b32_e32 v43, 0x10000, v44
	v_cmp_eq_u32_sdwa s[0:1], v44, v11 src0_sel:WORD_0 src1_sel:DWORD
	s_nop 1
	v_cndmask_b32_e64 v43, v43, v44, s[0:1]
; %bb.219:                              ;   in Loop: Header=BB307_112 Depth=1
	s_or_b64 exec, exec, s[12:13]
	v_bfe_u32 v44, v2, 16, 8
	v_cvt_f32_fp8_sdwa v44, v44 src0_sel:BYTE_0
	s_nop 0
	v_mul_f32_e32 v44, s29, v44
	v_and_b32_e32 v45, 0x7f800000, v44
	v_cmp_ne_u32_e64 s[0:1], s22, v45
                                        ; implicit-def: $vgpr45
	s_and_saveexec_b64 s[12:13], s[0:1]
	s_xor_b64 s[0:1], exec, s[12:13]
; %bb.220:                              ;   in Loop: Header=BB307_112 Depth=1
	v_bfe_u32 v45, v44, 16, 1
	v_add3_u32 v45, v44, v45, s28
                                        ; implicit-def: $vgpr44
; %bb.221:                              ;   in Loop: Header=BB307_112 Depth=1
	s_andn2_saveexec_b64 s[12:13], s[0:1]
; %bb.222:                              ;   in Loop: Header=BB307_112 Depth=1
	v_or_b32_e32 v45, 0x10000, v44
	v_cmp_eq_u32_sdwa s[0:1], v44, v11 src0_sel:WORD_0 src1_sel:DWORD
	s_nop 1
	v_cndmask_b32_e64 v45, v45, v44, s[0:1]
; %bb.223:                              ;   in Loop: Header=BB307_112 Depth=1
	s_or_b64 exec, exec, s[12:13]
	v_lshrrev_b32_e32 v2, 24, v2
	v_cvt_f32_fp8_sdwa v2, v2 src0_sel:BYTE_0
	s_nop 0
	v_mul_f32_e32 v44, s29, v2
	v_and_b32_e32 v2, 0x7f800000, v44
	v_cmp_ne_u32_e64 s[0:1], s22, v2
                                        ; implicit-def: $vgpr2
	s_and_saveexec_b64 s[12:13], s[0:1]
	s_xor_b64 s[0:1], exec, s[12:13]
; %bb.224:                              ;   in Loop: Header=BB307_112 Depth=1
	v_bfe_u32 v2, v44, 16, 1
	v_add3_u32 v2, v44, v2, s28
                                        ; implicit-def: $vgpr44
; %bb.225:                              ;   in Loop: Header=BB307_112 Depth=1
	s_andn2_saveexec_b64 s[12:13], s[0:1]
; %bb.226:                              ;   in Loop: Header=BB307_112 Depth=1
	v_or_b32_e32 v2, 0x10000, v44
	v_cmp_eq_u32_sdwa s[0:1], v44, v11 src0_sel:WORD_0 src1_sel:DWORD
	s_nop 1
	v_cndmask_b32_e64 v2, v2, v44, s[0:1]
; %bb.227:                              ;   in Loop: Header=BB307_112 Depth=1
	s_or_b64 exec, exec, s[12:13]
	v_and_b32_e32 v44, 0xff, v3
	v_cvt_f32_fp8_sdwa v44, v44 src0_sel:BYTE_0
	s_nop 0
	v_mul_f32_e32 v44, s29, v44
	v_and_b32_e32 v46, 0x7f800000, v44
	v_cmp_ne_u32_e64 s[0:1], s22, v46
                                        ; implicit-def: $vgpr46
	s_and_saveexec_b64 s[12:13], s[0:1]
	s_xor_b64 s[0:1], exec, s[12:13]
; %bb.228:                              ;   in Loop: Header=BB307_112 Depth=1
	v_bfe_u32 v46, v44, 16, 1
	v_add3_u32 v46, v44, v46, s28
                                        ; implicit-def: $vgpr44
; %bb.229:                              ;   in Loop: Header=BB307_112 Depth=1
	s_andn2_saveexec_b64 s[12:13], s[0:1]
; %bb.230:                              ;   in Loop: Header=BB307_112 Depth=1
	v_or_b32_e32 v46, 0x10000, v44
	v_cmp_eq_u32_sdwa s[0:1], v44, v11 src0_sel:WORD_0 src1_sel:DWORD
	s_nop 1
	v_cndmask_b32_e64 v46, v46, v44, s[0:1]
; %bb.231:                              ;   in Loop: Header=BB307_112 Depth=1
	s_or_b64 exec, exec, s[12:13]
	v_bfe_u32 v44, v3, 8, 8
	v_cvt_f32_fp8_sdwa v44, v44 src0_sel:BYTE_0
	s_nop 0
	v_mul_f32_e32 v47, s29, v44
	v_and_b32_e32 v44, 0x7f800000, v47
	v_cmp_ne_u32_e64 s[0:1], s22, v44
                                        ; implicit-def: $vgpr44
	s_and_saveexec_b64 s[12:13], s[0:1]
	s_xor_b64 s[0:1], exec, s[12:13]
; %bb.232:                              ;   in Loop: Header=BB307_112 Depth=1
	v_bfe_u32 v44, v47, 16, 1
	v_add3_u32 v44, v47, v44, s28
                                        ; implicit-def: $vgpr47
; %bb.233:                              ;   in Loop: Header=BB307_112 Depth=1
	s_andn2_saveexec_b64 s[12:13], s[0:1]
; %bb.234:                              ;   in Loop: Header=BB307_112 Depth=1
	v_or_b32_e32 v44, 0x10000, v47
	v_cmp_eq_u32_sdwa s[0:1], v47, v11 src0_sel:WORD_0 src1_sel:DWORD
	s_nop 1
	v_cndmask_b32_e64 v44, v44, v47, s[0:1]
; %bb.235:                              ;   in Loop: Header=BB307_112 Depth=1
	s_or_b64 exec, exec, s[12:13]
	v_bfe_u32 v47, v3, 16, 8
	v_cvt_f32_fp8_sdwa v47, v47 src0_sel:BYTE_0
	s_nop 0
	v_mul_f32_e32 v47, s29, v47
	v_and_b32_e32 v48, 0x7f800000, v47
	v_cmp_ne_u32_e64 s[0:1], s22, v48
                                        ; implicit-def: $vgpr48
	s_and_saveexec_b64 s[12:13], s[0:1]
	s_xor_b64 s[0:1], exec, s[12:13]
; %bb.236:                              ;   in Loop: Header=BB307_112 Depth=1
	v_bfe_u32 v48, v47, 16, 1
	v_add3_u32 v48, v47, v48, s28
                                        ; implicit-def: $vgpr47
; %bb.237:                              ;   in Loop: Header=BB307_112 Depth=1
	s_andn2_saveexec_b64 s[12:13], s[0:1]
; %bb.238:                              ;   in Loop: Header=BB307_112 Depth=1
	v_or_b32_e32 v48, 0x10000, v47
	v_cmp_eq_u32_sdwa s[0:1], v47, v11 src0_sel:WORD_0 src1_sel:DWORD
	s_nop 1
	v_cndmask_b32_e64 v48, v48, v47, s[0:1]
; %bb.239:                              ;   in Loop: Header=BB307_112 Depth=1
	s_or_b64 exec, exec, s[12:13]
	v_lshrrev_b32_e32 v3, 24, v3
	v_cvt_f32_fp8_sdwa v3, v3 src0_sel:BYTE_0
	s_nop 0
	v_mul_f32_e32 v47, s29, v3
	v_and_b32_e32 v3, 0x7f800000, v47
	v_cmp_ne_u32_e64 s[0:1], s22, v3
                                        ; implicit-def: $vgpr3
	s_and_saveexec_b64 s[12:13], s[0:1]
	s_xor_b64 s[0:1], exec, s[12:13]
; %bb.240:                              ;   in Loop: Header=BB307_112 Depth=1
	v_bfe_u32 v3, v47, 16, 1
	v_add3_u32 v3, v47, v3, s28
                                        ; implicit-def: $vgpr47
; %bb.241:                              ;   in Loop: Header=BB307_112 Depth=1
	s_andn2_saveexec_b64 s[12:13], s[0:1]
; %bb.242:                              ;   in Loop: Header=BB307_112 Depth=1
	v_or_b32_e32 v3, 0x10000, v47
	v_cmp_eq_u32_sdwa s[0:1], v47, v11 src0_sel:WORD_0 src1_sel:DWORD
	s_nop 1
	v_cndmask_b32_e64 v3, v3, v47, s[0:1]
; %bb.243:                              ;   in Loop: Header=BB307_112 Depth=1
	s_or_b64 exec, exec, s[12:13]
	v_lshrrev_b32_e32 v44, 16, v44
	v_lshrrev_b32_e32 v46, 16, v46
	;; [unrolled: 1-line block ×8, first 2 shown]
	s_and_saveexec_b64 s[0:1], vcc
	s_cbranch_execz .LBB307_245
; %bb.244:                              ;   in Loop: Header=BB307_112 Depth=1
	v_cmp_gt_i32_e32 vcc, s33, v25
	s_nop 1
	v_cndmask_b32_e32 v2, 0, v2, vcc
	v_cmp_gt_i32_e32 vcc, s33, v32
	s_nop 1
	v_cndmask_b32_e32 v43, 0, v43, vcc
	;; [unrolled: 3-line block ×8, first 2 shown]
.LBB307_245:                            ;   in Loop: Header=BB307_112 Depth=1
	s_or_b64 exec, exec, s[0:1]
	v_lshlrev_b32_e32 v2, 16, v2
	v_mul_f32_e32 v25, v34, v2
	v_and_b32_e32 v2, 0x7f800000, v25
	v_cmp_ne_u32_e32 vcc, s22, v2
                                        ; implicit-def: $vgpr2
	s_and_saveexec_b64 s[0:1], vcc
	s_xor_b64 s[0:1], exec, s[0:1]
; %bb.246:                              ;   in Loop: Header=BB307_112 Depth=1
	v_bfe_u32 v2, v25, 16, 1
	v_add3_u32 v2, v25, v2, s28
                                        ; implicit-def: $vgpr25
; %bb.247:                              ;   in Loop: Header=BB307_112 Depth=1
	s_andn2_saveexec_b64 s[0:1], s[0:1]
; %bb.248:                              ;   in Loop: Header=BB307_112 Depth=1
	v_or_b32_e32 v2, 0x10000, v25
	v_cmp_eq_u32_sdwa vcc, v25, v11 src0_sel:WORD_0 src1_sel:DWORD
	s_nop 1
	v_cndmask_b32_e32 v2, v2, v25, vcc
; %bb.249:                              ;   in Loop: Header=BB307_112 Depth=1
	s_or_b64 exec, exec, s[0:1]
	v_lshlrev_b32_e32 v25, 16, v43
	v_mul_f32_e32 v26, v35, v25
	v_and_b32_e32 v25, 0x7f800000, v26
	v_cmp_ne_u32_e32 vcc, s22, v25
                                        ; implicit-def: $vgpr25
	s_and_saveexec_b64 s[0:1], vcc
	s_xor_b64 s[0:1], exec, s[0:1]
; %bb.250:                              ;   in Loop: Header=BB307_112 Depth=1
	v_bfe_u32 v25, v26, 16, 1
	v_add3_u32 v25, v26, v25, s28
                                        ; implicit-def: $vgpr26
; %bb.251:                              ;   in Loop: Header=BB307_112 Depth=1
	s_andn2_saveexec_b64 s[0:1], s[0:1]
; %bb.252:                              ;   in Loop: Header=BB307_112 Depth=1
	v_or_b32_e32 v25, 0x10000, v26
	v_cmp_eq_u32_sdwa vcc, v26, v11 src0_sel:WORD_0 src1_sel:DWORD
	s_nop 1
	v_cndmask_b32_e32 v25, v25, v26, vcc
; %bb.253:                              ;   in Loop: Header=BB307_112 Depth=1
	s_or_b64 exec, exec, s[0:1]
	v_lshlrev_b32_e32 v26, 16, v45
	v_mul_f32_e32 v27, v36, v26
	v_and_b32_e32 v26, 0x7f800000, v27
	v_cmp_ne_u32_e32 vcc, s22, v26
                                        ; implicit-def: $vgpr26
	s_and_saveexec_b64 s[0:1], vcc
	s_xor_b64 s[0:1], exec, s[0:1]
; %bb.254:                              ;   in Loop: Header=BB307_112 Depth=1
	v_bfe_u32 v26, v27, 16, 1
	v_add3_u32 v26, v27, v26, s28
                                        ; implicit-def: $vgpr27
; %bb.255:                              ;   in Loop: Header=BB307_112 Depth=1
	s_andn2_saveexec_b64 s[0:1], s[0:1]
; %bb.256:                              ;   in Loop: Header=BB307_112 Depth=1
	v_or_b32_e32 v26, 0x10000, v27
	v_cmp_eq_u32_sdwa vcc, v27, v11 src0_sel:WORD_0 src1_sel:DWORD
	s_nop 1
	v_cndmask_b32_e32 v26, v26, v27, vcc
; %bb.257:                              ;   in Loop: Header=BB307_112 Depth=1
	s_or_b64 exec, exec, s[0:1]
	v_lshlrev_b32_e32 v27, 16, v47
	v_mul_f32_e32 v28, v37, v27
	v_and_b32_e32 v27, 0x7f800000, v28
	v_cmp_ne_u32_e32 vcc, s22, v27
                                        ; implicit-def: $vgpr27
	s_and_saveexec_b64 s[0:1], vcc
	s_xor_b64 s[0:1], exec, s[0:1]
; %bb.258:                              ;   in Loop: Header=BB307_112 Depth=1
	v_bfe_u32 v27, v28, 16, 1
	v_add3_u32 v27, v28, v27, s28
                                        ; implicit-def: $vgpr28
; %bb.259:                              ;   in Loop: Header=BB307_112 Depth=1
	s_andn2_saveexec_b64 s[0:1], s[0:1]
; %bb.260:                              ;   in Loop: Header=BB307_112 Depth=1
	v_or_b32_e32 v27, 0x10000, v28
	v_cmp_eq_u32_sdwa vcc, v28, v11 src0_sel:WORD_0 src1_sel:DWORD
	s_nop 1
	v_cndmask_b32_e32 v27, v27, v28, vcc
; %bb.261:                              ;   in Loop: Header=BB307_112 Depth=1
	s_or_b64 exec, exec, s[0:1]
	v_lshlrev_b32_e32 v28, 16, v46
	v_mul_f32_e32 v29, v38, v28
	v_and_b32_e32 v28, 0x7f800000, v29
	v_cmp_ne_u32_e32 vcc, s22, v28
                                        ; implicit-def: $vgpr28
	s_and_saveexec_b64 s[0:1], vcc
	s_xor_b64 s[0:1], exec, s[0:1]
; %bb.262:                              ;   in Loop: Header=BB307_112 Depth=1
	v_bfe_u32 v28, v29, 16, 1
	v_add3_u32 v28, v29, v28, s28
                                        ; implicit-def: $vgpr29
; %bb.263:                              ;   in Loop: Header=BB307_112 Depth=1
	s_andn2_saveexec_b64 s[0:1], s[0:1]
; %bb.264:                              ;   in Loop: Header=BB307_112 Depth=1
	v_or_b32_e32 v28, 0x10000, v29
	v_cmp_eq_u32_sdwa vcc, v29, v11 src0_sel:WORD_0 src1_sel:DWORD
	s_nop 1
	v_cndmask_b32_e32 v28, v28, v29, vcc
; %bb.265:                              ;   in Loop: Header=BB307_112 Depth=1
	s_or_b64 exec, exec, s[0:1]
	v_lshlrev_b32_e32 v29, 16, v44
	v_mul_f32_e32 v30, v39, v29
	v_and_b32_e32 v29, 0x7f800000, v30
	v_cmp_ne_u32_e32 vcc, s22, v29
                                        ; implicit-def: $vgpr29
	s_and_saveexec_b64 s[0:1], vcc
	s_xor_b64 s[0:1], exec, s[0:1]
; %bb.266:                              ;   in Loop: Header=BB307_112 Depth=1
	v_bfe_u32 v29, v30, 16, 1
	v_add3_u32 v29, v30, v29, s28
                                        ; implicit-def: $vgpr30
; %bb.267:                              ;   in Loop: Header=BB307_112 Depth=1
	s_andn2_saveexec_b64 s[0:1], s[0:1]
; %bb.268:                              ;   in Loop: Header=BB307_112 Depth=1
	v_or_b32_e32 v29, 0x10000, v30
	v_cmp_eq_u32_sdwa vcc, v30, v11 src0_sel:WORD_0 src1_sel:DWORD
	s_nop 1
	v_cndmask_b32_e32 v29, v29, v30, vcc
; %bb.269:                              ;   in Loop: Header=BB307_112 Depth=1
	s_or_b64 exec, exec, s[0:1]
	v_lshlrev_b32_e32 v30, 16, v42
	v_mul_f32_e32 v31, v40, v30
	v_and_b32_e32 v30, 0x7f800000, v31
	v_cmp_ne_u32_e32 vcc, s22, v30
                                        ; implicit-def: $vgpr30
	s_and_saveexec_b64 s[0:1], vcc
	s_xor_b64 s[0:1], exec, s[0:1]
; %bb.270:                              ;   in Loop: Header=BB307_112 Depth=1
	v_bfe_u32 v30, v31, 16, 1
	v_add3_u32 v30, v31, v30, s28
                                        ; implicit-def: $vgpr31
; %bb.271:                              ;   in Loop: Header=BB307_112 Depth=1
	s_andn2_saveexec_b64 s[0:1], s[0:1]
; %bb.272:                              ;   in Loop: Header=BB307_112 Depth=1
	v_or_b32_e32 v30, 0x10000, v31
	v_cmp_eq_u32_sdwa vcc, v31, v11 src0_sel:WORD_0 src1_sel:DWORD
	s_nop 1
	v_cndmask_b32_e32 v30, v30, v31, vcc
; %bb.273:                              ;   in Loop: Header=BB307_112 Depth=1
	s_or_b64 exec, exec, s[0:1]
	v_lshlrev_b32_e32 v3, 16, v3
	v_mul_f32_e32 v31, v41, v3
	v_and_b32_e32 v3, 0x7f800000, v31
	v_cmp_ne_u32_e32 vcc, s22, v3
                                        ; implicit-def: $vgpr3
	s_and_saveexec_b64 s[0:1], vcc
	s_xor_b64 s[0:1], exec, s[0:1]
; %bb.274:                              ;   in Loop: Header=BB307_112 Depth=1
	v_bfe_u32 v3, v31, 16, 1
	v_add3_u32 v3, v31, v3, s28
                                        ; implicit-def: $vgpr31
; %bb.275:                              ;   in Loop: Header=BB307_112 Depth=1
	s_andn2_saveexec_b64 s[0:1], s[0:1]
	s_cbranch_execz .LBB307_110
; %bb.276:                              ;   in Loop: Header=BB307_112 Depth=1
	v_or_b32_e32 v3, 0x10000, v31
	v_cmp_eq_u32_sdwa vcc, v31, v11 src0_sel:WORD_0 src1_sel:DWORD
	s_nop 1
	v_cndmask_b32_e32 v3, v3, v31, vcc
	s_branch .LBB307_110
.LBB307_277:
	s_or_b64 exec, exec, s[6:7]
.LBB307_278:
	s_or_b64 exec, exec, s[2:3]
	ds_bpermute_b32 v2, v20, v12
	ds_bpermute_b32 v3, v20, v13
	v_and_b32_e32 v1, 0x3c1, v0
	v_cmp_eq_u32_e32 vcc, 64, v1
	s_waitcnt lgkmcnt(0)
	s_barrier
	v_pk_add_f32 v[2:3], v[12:13], v[2:3]
	s_and_saveexec_b64 s[0:1], vcc
	s_cbranch_execz .LBB307_280
; %bb.279:
	v_mov_b32_e32 v1, 0x90
	v_lshl_add_u32 v1, v19, 1, v1
	ds_write2_b32 v1, v2, v3 offset1:32
.LBB307_280:
	s_or_b64 exec, exec, s[0:1]
	v_cmp_gt_u32_e32 vcc, 64, v0
	s_waitcnt lgkmcnt(0)
	s_barrier
	s_and_saveexec_b64 s[2:3], vcc
	s_cbranch_execz .LBB307_286
; %bb.281:
	v_cmp_eq_u32_e64 s[0:1], 0, v21
	v_lshrrev_b32_e32 v1, 1, v0
	s_and_saveexec_b64 s[6:7], s[0:1]
	s_cbranch_execz .LBB307_283
; %bb.282:
	v_mov_b32_e32 v4, 0x90
	v_lshl_add_u32 v4, v1, 2, v4
	ds_read_b32 v4, v4
	s_waitcnt lgkmcnt(0)
	v_add_f32_e32 v2, v2, v4
.LBB307_283:
	s_or_b64 exec, exec, s[6:7]
	s_and_saveexec_b64 s[6:7], s[0:1]
	s_cbranch_execz .LBB307_285
; %bb.284:
	v_mov_b32_e32 v4, 0x90
	v_lshl_add_u32 v1, v1, 2, v4
	ds_read_b32 v1, v1 offset:128
	s_waitcnt lgkmcnt(0)
	v_add_f32_e32 v3, v3, v1
.LBB307_285:
	s_or_b64 exec, exec, s[6:7]
.LBB307_286:
	s_or_b64 exec, exec, s[2:3]
	s_barrier
	s_and_saveexec_b64 s[0:1], vcc
	s_cbranch_execz .LBB307_297
; %bb.287:
	v_cmp_eq_u32_e32 vcc, 0, v21
	s_and_b64 exec, exec, vcc
	s_cbranch_execz .LBB307_297
; %bb.288:
	s_mov_b32 s0, 0x7f800000
	v_and_b32_e32 v1, 0x7f800000, v2
	v_cmp_ne_u32_e32 vcc, s0, v1
                                        ; implicit-def: $vgpr4
	s_and_saveexec_b64 s[0:1], vcc
	s_xor_b64 s[0:1], exec, s[0:1]
; %bb.289:
	v_bfe_u32 v1, v2, 16, 1
	s_movk_i32 s2, 0x7fff
	v_add3_u32 v4, v2, v1, s2
; %bb.290:
	s_andn2_saveexec_b64 s[0:1], s[0:1]
; %bb.291:
	v_mov_b32_e32 v1, 0
	v_or_b32_e32 v4, 0x10000, v2
	v_cmp_eq_u32_sdwa vcc, v2, v1 src0_sel:WORD_0 src1_sel:DWORD
	s_nop 1
	v_cndmask_b32_e32 v4, v4, v2, vcc
; %bb.292:
	s_or_b64 exec, exec, s[0:1]
	s_mul_i32 s0, s10, s11
	s_mul_i32 s0, s0, s5
	s_lshl_b32 s0, s0, 6
	s_ashr_i32 s1, s0, 31
	s_lshl_b64 s[0:1], s[0:1], 1
	s_add_u32 s2, s26, s0
	s_mul_i32 s0, s11, s24
	s_addc_u32 s3, s27, s1
	s_ashr_i32 s1, s0, 31
	s_lshl_b64 s[0:1], s[0:1], 1
	s_add_u32 s2, s2, s0
	s_addc_u32 s3, s3, s1
	s_lshl_b32 s0, s4, 6
	s_ashr_i32 s1, s0, 31
	s_lshl_b64 s[0:1], s[0:1], 1
	s_add_u32 s0, s2, s0
	s_mov_b32 s2, 0x7f800000
	v_and_b32_e32 v2, 0x7f800000, v3
	s_addc_u32 s1, s3, s1
	v_and_b32_e32 v0, 0x3fe, v0
	v_mov_b32_e32 v1, 0
	v_cmp_ne_u32_e32 vcc, s2, v2
	global_store_short_d16_hi v0, v4, s[0:1]
                                        ; implicit-def: $vgpr4
	s_and_saveexec_b64 s[2:3], vcc
	s_xor_b64 s[2:3], exec, s[2:3]
; %bb.293:
	v_bfe_u32 v2, v3, 16, 1
	s_movk_i32 s4, 0x7fff
	v_add3_u32 v4, v3, v2, s4
                                        ; implicit-def: $vgpr2_vgpr3
; %bb.294:
	s_or_saveexec_b64 s[2:3], s[2:3]
	v_lshl_add_u64 v[0:1], s[0:1], 0, v[0:1]
	s_xor_b64 exec, exec, s[2:3]
; %bb.295:
	v_mov_b32_e32 v2, 0
	v_or_b32_e32 v4, 0x10000, v3
	v_cmp_eq_u32_sdwa vcc, v3, v2 src0_sel:WORD_0 src1_sel:DWORD
	s_nop 1
	v_cndmask_b32_e32 v4, v4, v3, vcc
; %bb.296:
	s_or_b64 exec, exec, s[2:3]
	global_store_short_d16_hi v[0:1], v4, off offset:64
.LBB307_297:
	s_endpgm
	.section	.rodata,"a",@progbits
	.p2align	6, 0x0
	.amdhsa_kernel _ZN4vllm25paged_attention_v1_kernelI14__hip_bfloat16hLi64ELi16ELi128ELNS_18Fp8KVCacheDataTypeE1ELb1EEEvPT_PKS3_PKT0_S9_ifPKiSB_iPKfiiiSD_SD_iiiii
		.amdhsa_group_segment_fixed_size 144
		.amdhsa_private_segment_fixed_size 0
		.amdhsa_kernarg_size 384
		.amdhsa_user_sgpr_count 2
		.amdhsa_user_sgpr_dispatch_ptr 0
		.amdhsa_user_sgpr_queue_ptr 0
		.amdhsa_user_sgpr_kernarg_segment_ptr 1
		.amdhsa_user_sgpr_dispatch_id 0
		.amdhsa_user_sgpr_kernarg_preload_length 0
		.amdhsa_user_sgpr_kernarg_preload_offset 0
		.amdhsa_user_sgpr_private_segment_size 0
		.amdhsa_uses_dynamic_stack 0
		.amdhsa_enable_private_segment 0
		.amdhsa_system_sgpr_workgroup_id_x 1
		.amdhsa_system_sgpr_workgroup_id_y 1
		.amdhsa_system_sgpr_workgroup_id_z 1
		.amdhsa_system_sgpr_workgroup_info 0
		.amdhsa_system_vgpr_workitem_id 0
		.amdhsa_next_free_vgpr 55
		.amdhsa_next_free_sgpr 52
		.amdhsa_accum_offset 56
		.amdhsa_reserve_vcc 1
		.amdhsa_float_round_mode_32 0
		.amdhsa_float_round_mode_16_64 0
		.amdhsa_float_denorm_mode_32 3
		.amdhsa_float_denorm_mode_16_64 3
		.amdhsa_dx10_clamp 1
		.amdhsa_ieee_mode 1
		.amdhsa_fp16_overflow 0
		.amdhsa_tg_split 0
		.amdhsa_exception_fp_ieee_invalid_op 0
		.amdhsa_exception_fp_denorm_src 0
		.amdhsa_exception_fp_ieee_div_zero 0
		.amdhsa_exception_fp_ieee_overflow 0
		.amdhsa_exception_fp_ieee_underflow 0
		.amdhsa_exception_fp_ieee_inexact 0
		.amdhsa_exception_int_div_zero 0
	.end_amdhsa_kernel
	.section	.text._ZN4vllm25paged_attention_v1_kernelI14__hip_bfloat16hLi64ELi16ELi128ELNS_18Fp8KVCacheDataTypeE1ELb1EEEvPT_PKS3_PKT0_S9_ifPKiSB_iPKfiiiSD_SD_iiiii,"axG",@progbits,_ZN4vllm25paged_attention_v1_kernelI14__hip_bfloat16hLi64ELi16ELi128ELNS_18Fp8KVCacheDataTypeE1ELb1EEEvPT_PKS3_PKT0_S9_ifPKiSB_iPKfiiiSD_SD_iiiii,comdat
.Lfunc_end307:
	.size	_ZN4vllm25paged_attention_v1_kernelI14__hip_bfloat16hLi64ELi16ELi128ELNS_18Fp8KVCacheDataTypeE1ELb1EEEvPT_PKS3_PKT0_S9_ifPKiSB_iPKfiiiSD_SD_iiiii, .Lfunc_end307-_ZN4vllm25paged_attention_v1_kernelI14__hip_bfloat16hLi64ELi16ELi128ELNS_18Fp8KVCacheDataTypeE1ELb1EEEvPT_PKS3_PKT0_S9_ifPKiSB_iPKfiiiSD_SD_iiiii
                                        ; -- End function
	.section	.AMDGPU.csdata,"",@progbits
; Kernel info:
; codeLenInByte = 9896
; NumSgprs: 58
; NumVgprs: 55
; NumAgprs: 0
; TotalNumVgprs: 55
; ScratchSize: 0
; MemoryBound: 0
; FloatMode: 240
; IeeeMode: 1
; LDSByteSize: 144 bytes/workgroup (compile time only)
; SGPRBlocks: 7
; VGPRBlocks: 6
; NumSGPRsForWavesPerEU: 58
; NumVGPRsForWavesPerEU: 55
; AccumOffset: 56
; Occupancy: 8
; WaveLimiterHint : 1
; COMPUTE_PGM_RSRC2:SCRATCH_EN: 0
; COMPUTE_PGM_RSRC2:USER_SGPR: 2
; COMPUTE_PGM_RSRC2:TRAP_HANDLER: 0
; COMPUTE_PGM_RSRC2:TGID_X_EN: 1
; COMPUTE_PGM_RSRC2:TGID_Y_EN: 1
; COMPUTE_PGM_RSRC2:TGID_Z_EN: 1
; COMPUTE_PGM_RSRC2:TIDIG_COMP_CNT: 0
; COMPUTE_PGM_RSRC3_GFX90A:ACCUM_OFFSET: 13
; COMPUTE_PGM_RSRC3_GFX90A:TG_SPLIT: 0
	.section	.text._ZN4vllm25paged_attention_v1_kernelI14__hip_bfloat16hLi80ELi16ELi128ELNS_18Fp8KVCacheDataTypeE1ELb1EEEvPT_PKS3_PKT0_S9_ifPKiSB_iPKfiiiSD_SD_iiiii,"axG",@progbits,_ZN4vllm25paged_attention_v1_kernelI14__hip_bfloat16hLi80ELi16ELi128ELNS_18Fp8KVCacheDataTypeE1ELb1EEEvPT_PKS3_PKT0_S9_ifPKiSB_iPKfiiiSD_SD_iiiii,comdat
	.protected	_ZN4vllm25paged_attention_v1_kernelI14__hip_bfloat16hLi80ELi16ELi128ELNS_18Fp8KVCacheDataTypeE1ELb1EEEvPT_PKS3_PKT0_S9_ifPKiSB_iPKfiiiSD_SD_iiiii ; -- Begin function _ZN4vllm25paged_attention_v1_kernelI14__hip_bfloat16hLi80ELi16ELi128ELNS_18Fp8KVCacheDataTypeE1ELb1EEEvPT_PKS3_PKT0_S9_ifPKiSB_iPKfiiiSD_SD_iiiii
	.globl	_ZN4vllm25paged_attention_v1_kernelI14__hip_bfloat16hLi80ELi16ELi128ELNS_18Fp8KVCacheDataTypeE1ELb1EEEvPT_PKS3_PKT0_S9_ifPKiSB_iPKfiiiSD_SD_iiiii
	.p2align	8
	.type	_ZN4vllm25paged_attention_v1_kernelI14__hip_bfloat16hLi80ELi16ELi128ELNS_18Fp8KVCacheDataTypeE1ELb1EEEvPT_PKS3_PKT0_S9_ifPKiSB_iPKfiiiSD_SD_iiiii,@function
_ZN4vllm25paged_attention_v1_kernelI14__hip_bfloat16hLi80ELi16ELi128ELNS_18Fp8KVCacheDataTypeE1ELb1EEEvPT_PKS3_PKT0_S9_ifPKiSB_iPKfiiiSD_SD_iiiii: ; @_ZN4vllm25paged_attention_v1_kernelI14__hip_bfloat16hLi80ELi16ELi128ELNS_18Fp8KVCacheDataTypeE1ELb1EEEvPT_PKS3_PKT0_S9_ifPKiSB_iPKfiiiSD_SD_iiiii
; %bb.0:
	s_load_dword s5, s[0:1], 0x80
	s_load_dwordx2 s[6:7], s[0:1], 0x30
	s_load_dwordx2 s[36:37], s[0:1], 0x20
	s_mov_b32 s10, s3
	s_ashr_i32 s11, s3, 31
	s_lshl_b64 s[8:9], s[10:11], 2
	s_waitcnt lgkmcnt(0)
	s_add_u32 s6, s6, s8
	s_addc_u32 s7, s7, s9
	s_abs_i32 s3, s36
	v_cvt_f32_u32_e32 v1, s3
	s_sub_i32 s11, 0, s3
	s_abs_i32 s9, s5
	s_xor_b32 s8, s5, s36
	v_rcp_iflag_f32_e32 v1, v1
	s_ashr_i32 s8, s8, 31
	s_mov_b32 s44, 0
	v_mul_f32_e32 v1, 0x4f7ffffe, v1
	v_cvt_u32_f32_e32 v1, v1
	s_nop 0
	v_readfirstlane_b32 s12, v1
	s_mul_i32 s11, s11, s12
	s_mul_hi_u32 s11, s12, s11
	s_add_i32 s12, s12, s11
	s_mul_hi_u32 s11, s9, s12
	s_mul_i32 s12, s11, s3
	s_sub_i32 s9, s9, s12
	s_add_i32 s12, s11, 1
	s_sub_i32 s13, s9, s3
	s_cmp_ge_u32 s9, s3
	s_cselect_b32 s11, s12, s11
	s_cselect_b32 s9, s13, s9
	s_add_i32 s12, s11, 1
	s_cmp_ge_u32 s9, s3
	s_cselect_b32 s3, s12, s11
	s_xor_b32 s3, s3, s8
	s_sub_i32 s14, s3, s8
	s_abs_i32 s11, s14
	v_cvt_f32_u32_e32 v1, s11
	s_load_dwordx2 s[8:9], s[0:1], 0x40
	s_sub_i32 s3, 0, s11
	s_abs_i32 s12, s2
	v_rcp_iflag_f32_e32 v1, v1
	s_nop 0
	v_mul_f32_e32 v1, 0x4f7ffffe, v1
	v_cvt_u32_f32_e32 v1, v1
	s_nop 0
	v_readfirstlane_b32 s13, v1
	s_mul_i32 s3, s3, s13
	s_mul_hi_u32 s3, s13, s3
	s_add_i32 s13, s13, s3
	s_waitcnt lgkmcnt(0)
	s_cmp_eq_u64 s[8:9], 0
	s_mul_hi_u32 s13, s12, s13
	s_cbranch_scc1 .LBB308_2
; %bb.1:
	s_ashr_i32 s3, s2, 31
	s_lshl_b64 s[16:17], s[2:3], 2
	s_add_u32 s8, s8, s16
	s_addc_u32 s9, s9, s17
	s_load_dword s44, s[8:9], 0x0
.LBB308_2:
	s_load_dword s33, s[6:7], 0x0
	s_load_dwordx4 s[16:19], s[0:1], 0x48
	s_ashr_i32 s3, s2, 31
	s_ashr_i32 s9, s14, 31
	v_and_b32_e32 v2, 3, v0
	s_mul_i32 s24, s2, 0x50
	v_cmp_gt_u32_e32 vcc, 40, v0
	s_and_saveexec_b64 s[6:7], vcc
	s_cbranch_execz .LBB308_4
; %bb.3:
	s_load_dwordx2 s[14:15], s[0:1], 0x8
	s_waitcnt lgkmcnt(0)
	s_mul_i32 s20, s10, s16
	s_ashr_i32 s21, s20, 31
	s_lshl_b64 s[20:21], s[20:21], 1
	v_lshlrev_b32_e32 v1, 2, v0
	s_add_u32 s8, s14, s20
	s_addc_u32 s16, s15, s21
	s_ashr_i32 s25, s24, 31
	s_lshl_b64 s[14:15], s[24:25], 1
	s_add_u32 s14, s8, s14
	s_addc_u32 s15, s16, s15
	global_load_dword v1, v1, s[14:15]
	v_and_b32_e32 v3, 0x3fc, v0
	v_mad_u32_u24 v3, v2, 40, v3
	s_waitcnt vmcnt(0)
	ds_write_b32 v3, v1
.LBB308_4:
	s_or_b64 exec, exec, s[6:7]
	s_mul_i32 s6, s13, s11
	s_sub_i32 s6, s12, s6
	s_xor_b32 s3, s3, s9
	s_add_i32 s7, s13, 1
	s_sub_i32 s9, s6, s11
	s_load_dwordx4 s[20:23], s[0:1], 0x68
	s_load_dword s8, s[0:1], 0x78
	s_cmp_ge_u32 s6, s11
	s_cselect_b32 s7, s7, s13
	s_cselect_b32 s6, s9, s6
	s_add_i32 s9, s7, 1
	s_cmp_ge_u32 s6, s11
	s_cselect_b32 s6, s9, s7
	s_waitcnt lgkmcnt(0)
	s_abs_i32 s25, s23
	v_cvt_f32_u32_e32 v1, s25
	s_xor_b32 s6, s6, s3
	s_sub_i32 s3, s6, s3
	s_sub_i32 s6, 0, s25
	v_rcp_iflag_f32_e32 v1, v1
	s_add_i32 s11, s33, -1
	s_abs_i32 s9, s11
	v_mul_f32_e32 v1, 0x4f7ffffe, v1
	v_cvt_u32_f32_e32 v1, v1
	s_barrier
	v_readfirstlane_b32 s42, v1
	s_mul_i32 s6, s6, s42
	s_mul_hi_u32 s6, s42, s6
	s_add_i32 s42, s42, s6
	s_cmp_lt_i32 s8, 0
	s_mul_hi_u32 s16, s9, s42
	s_cbranch_scc0 .LBB308_6
; %bb.5:
	s_mul_i32 s6, s20, s36
	s_add_i32 s6, s3, s6
	s_mul_i32 s6, s6, s8
	s_sub_i32 s36, 1, s6
	s_mov_b64 s[6:7], 0
	s_branch .LBB308_7
.LBB308_6:
	s_mov_b64 s[6:7], -1
                                        ; implicit-def: $sgpr36
.LBB308_7:
	s_load_dwordx2 s[28:29], s[0:1], 0x28
	s_ashr_i32 s19, s11, 31
	s_andn2_b64 vcc, exec, s[6:7]
	s_ashr_i32 s23, s23, 31
	s_cbranch_vccnz .LBB308_9
; %bb.8:
	s_mul_i32 s6, s5, s20
	s_add_i32 s2, s6, s2
	s_mul_i32 s2, s2, s8
	s_add_i32 s36, s2, 1
.LBB308_9:
	s_load_dword s2, s[0:1], 0x38
	s_load_dwordx2 s[26:27], s[0:1], 0x0
	s_load_dwordx2 s[34:35], s[0:1], 0x18
	s_load_dword s11, s[0:1], 0x88
	s_load_dwordx4 s[12:15], s[0:1], 0x58
	s_mul_i32 s6, s16, s25
	s_waitcnt lgkmcnt(0)
	s_mul_i32 s30, s10, s2
	s_sub_i32 s6, s9, s6
	s_ashr_i32 s31, s30, 31
	s_xor_b32 s2, s19, s23
	s_add_i32 s7, s16, 1
	s_sub_i32 s8, s6, s25
	s_cmp_ge_u32 s6, s25
	s_cselect_b32 s7, s7, s16
	s_cselect_b32 s6, s8, s6
	s_add_i32 s8, s7, 1
	s_cmp_ge_u32 s6, s25
	s_cselect_b32 s6, s8, s7
	s_xor_b32 s6, s6, s2
	s_sub_i32 s16, s6, s2
	s_add_i32 s2, s33, 15
	s_ashr_i32 s6, s2, 31
	s_lshr_b32 s6, s6, 28
	s_add_i32 s2, s2, s6
	s_ashr_i32 s43, s2, 4
	v_lshrrev_b32_e32 v1, 6, v0
	v_cmp_gt_i32_e64 s[6:7], s43, v1
	v_mov_b32_e32 v24, 0xff7fffff
	s_mul_i32 s20, s3, s18
	v_lshrrev_b32_e32 v25, 4, v0
	v_lshlrev_b32_e32 v20, 4, v1
	v_mbcnt_lo_u32_b32 v21, -1, 0
	s_and_saveexec_b64 s[18:19], s[6:7]
	s_cbranch_execz .LBB308_99
; %bb.10:
	s_load_dwordx2 s[0:1], s[0:1], 0x10
	s_sub_i32 s45, s16, s21
	s_ashr_i32 s2, s20, 31
	v_bfe_u32 v22, v0, 2, 4
	v_mov_b32_e32 v11, 0
	s_waitcnt lgkmcnt(0)
	s_add_u32 s0, s0, s20
	s_addc_u32 s1, s1, s2
	s_abs_i32 s46, s22
	v_cvt_f32_u32_e32 v3, s46
	v_lshlrev_b32_e32 v10, 4, v22
	v_lshl_add_u64 v[12:13], s[0:1], 0, v[10:11]
	s_sub_i32 s0, 0, s46
	v_rcp_iflag_f32_e32 v3, v3
	v_cmp_eq_u32_e32 vcc, 0, v2
	v_mul_u32_u24_e32 v23, 40, v2
	v_lshlrev_b32_e32 v10, 1, v2
	v_mul_f32_e32 v3, 0x4f7ffffe, v3
	v_cvt_u32_f32_e32 v3, v3
	s_mov_b32 s47, s17
	v_cmp_neq_f32_e64 s[2:3], s44, 0
	v_lshlrev_b32_e32 v27, 4, v1
	v_mul_lo_u32 v2, s0, v3
	s_lshl_b64 s[0:1], s[30:31], 2
	v_mul_hi_u32 v2, v3, v2
	s_add_u32 s0, s28, s0
	v_add_u32_e32 v26, v3, v2
	v_and_b32_e32 v2, 60, v25
	v_mov_b32_e32 v3, v11
	s_addc_u32 s1, s29, s1
	v_lshl_add_u64 v[14:15], s[0:1], 0, v[2:3]
	v_lshlrev_b32_e32 v2, 2, v22
	v_lshl_or_b32 v2, v1, 6, v2
	v_add_u32_e32 v28, 0xb0, v2
	v_subrev_u32_e32 v2, s33, v22
	v_add_u32_e32 v29, 1, v2
	s_mov_b64 s[38:39], 0
	v_mov_b32_e32 v30, 0xff7fffff
	s_mov_b32 s48, 0xffff
	s_mov_b32 s49, 0x7f800000
	s_movk_i32 s50, 0x7fff
	v_mbcnt_hi_u32_b32 v31, -1, v21
	v_mov_b32_e32 v24, 0xff7fffff
	v_mov_b32_e32 v32, v1
	s_branch .LBB308_13
.LBB308_11:                             ;   in Loop: Header=BB308_13 Depth=1
	s_or_b64 exec, exec, s[40:41]
.LBB308_12:                             ;   in Loop: Header=BB308_13 Depth=1
	s_or_b64 exec, exec, s[8:9]
	v_add_u32_e32 v32, 2, v32
	v_cmp_le_i32_e64 s[0:1], s43, v32
	v_lshl_add_u64 v[14:15], v[14:15], 0, 8
	v_add_u32_e32 v27, 32, v27
	s_or_b64 s[38:39], s[0:1], s[38:39]
	v_add_u32_e32 v28, 0x80, v28
	s_andn2_b64 exec, exec, s[38:39]
	s_cbranch_execz .LBB308_98
.LBB308_13:                             ; =>This Inner Loop Header: Depth=1
	v_mul_hi_u32 v2, v27, s42
	s_waitcnt lgkmcnt(0)
	v_mul_lo_u32 v3, v2, s25
	v_sub_u32_e32 v3, v27, v3
	v_add_u32_e32 v4, 1, v2
	v_cmp_le_u32_e64 s[0:1], s25, v3
	s_nop 1
	v_cndmask_b32_e64 v2, v2, v4, s[0:1]
	v_subrev_u32_e32 v4, s25, v3
	v_cndmask_b32_e64 v3, v3, v4, s[0:1]
	v_add_u32_e32 v4, 1, v2
	v_cmp_le_u32_e64 s[0:1], s25, v3
	s_nop 1
	v_cndmask_b32_e64 v2, v2, v4, s[0:1]
	v_xor_b32_e32 v2, s23, v2
	v_subrev_u32_e32 v2, s23, v2
	v_add_u32_e32 v3, s36, v2
	v_sub_u32_e32 v5, 0, v3
	v_ashrrev_i32_e32 v4, 31, v3
	v_max_i32_e32 v3, v3, v5
	v_mul_hi_u32 v5, v3, v26
	v_mul_lo_u32 v5, v5, s46
	v_sub_u32_e32 v3, v3, v5
	v_subrev_u32_e32 v5, s46, v3
	v_cmp_le_u32_e64 s[0:1], s46, v3
	v_cmp_ge_i32_e64 s[8:9], s45, v2
	s_nop 0
	v_cndmask_b32_e64 v3, v3, v5, s[0:1]
	v_subrev_u32_e32 v5, s46, v3
	v_cmp_le_u32_e64 s[0:1], s46, v3
	s_nop 1
	v_cndmask_b32_e64 v3, v3, v5, s[0:1]
	v_xor_b32_e32 v3, v3, v4
	v_sub_u32_e32 v3, v3, v4
	v_cmp_ne_u32_e64 s[0:1], 0, v3
	s_and_b64 s[0:1], s[0:1], s[8:9]
	s_and_b64 s[40:41], vcc, s[0:1]
	s_and_saveexec_b64 s[8:9], s[40:41]
	s_cbranch_execz .LBB308_15
; %bb.14:                               ;   in Loop: Header=BB308_13 Depth=1
	ds_write_b32 v28, v30
.LBB308_15:                             ;   in Loop: Header=BB308_13 Depth=1
	s_or_b64 exec, exec, s[8:9]
	s_xor_b64 s[0:1], s[0:1], -1
	s_and_saveexec_b64 s[8:9], s[0:1]
	s_cbranch_execz .LBB308_12
; %bb.16:                               ;   in Loop: Header=BB308_13 Depth=1
	global_load_dword v2, v[14:15], off
	s_load_dword s51, s[12:13], 0x0
	s_waitcnt vmcnt(0)
	v_mad_i64_i32 v[2:3], s[0:1], v2, s47, v[12:13]
	v_lshl_add_u64 v[18:19], v[2:3], 0, v[10:11]
	global_load_ushort v34, v[18:19], off
	s_waitcnt vmcnt(0)
	v_and_b32_sdwa v2, s48, v34 dst_sel:DWORD dst_unused:UNUSED_PAD src0_sel:DWORD src1_sel:BYTE_0
	v_cvt_f32_fp8_sdwa v33, v2 src0_sel:BYTE_0
	ds_read2_b64 v[6:9], v23 offset1:1
	ds_read2_b64 v[2:5], v23 offset0:2 offset1:3
	ds_read_b64 v[16:17], v23 offset:32
	s_waitcnt lgkmcnt(0)
	v_mul_f32_e32 v35, s51, v33
	v_and_b32_e32 v33, 0x7f800000, v35
	v_cmp_ne_u32_e64 s[0:1], s49, v33
                                        ; implicit-def: $vgpr33
	s_and_saveexec_b64 s[40:41], s[0:1]
	s_xor_b64 s[0:1], exec, s[40:41]
; %bb.17:                               ;   in Loop: Header=BB308_13 Depth=1
	v_bfe_u32 v33, v35, 16, 1
	v_add3_u32 v33, v35, v33, s50
                                        ; implicit-def: $vgpr35
; %bb.18:                               ;   in Loop: Header=BB308_13 Depth=1
	s_andn2_saveexec_b64 s[40:41], s[0:1]
; %bb.19:                               ;   in Loop: Header=BB308_13 Depth=1
	v_or_b32_e32 v33, 0x10000, v35
	v_cmp_eq_u32_sdwa s[0:1], v35, v11 src0_sel:WORD_0 src1_sel:DWORD
	s_nop 1
	v_cndmask_b32_e64 v33, v33, v35, s[0:1]
; %bb.20:                               ;   in Loop: Header=BB308_13 Depth=1
	s_or_b64 exec, exec, s[40:41]
	v_lshrrev_b16_e32 v34, 8, v34
	v_cvt_f32_fp8_sdwa v34, v34 src0_sel:BYTE_0
	s_nop 0
	v_mul_f32_e32 v35, s51, v34
	v_and_b32_e32 v34, 0x7f800000, v35
	v_cmp_ne_u32_e64 s[0:1], s49, v34
                                        ; implicit-def: $vgpr34
	s_and_saveexec_b64 s[40:41], s[0:1]
	s_xor_b64 s[0:1], exec, s[40:41]
; %bb.21:                               ;   in Loop: Header=BB308_13 Depth=1
	v_bfe_u32 v34, v35, 16, 1
	v_add3_u32 v34, v35, v34, s50
                                        ; implicit-def: $vgpr35
; %bb.22:                               ;   in Loop: Header=BB308_13 Depth=1
	s_andn2_saveexec_b64 s[40:41], s[0:1]
; %bb.23:                               ;   in Loop: Header=BB308_13 Depth=1
	v_or_b32_e32 v34, 0x10000, v35
	v_cmp_eq_u32_sdwa s[0:1], v35, v11 src0_sel:WORD_0 src1_sel:DWORD
	s_nop 1
	v_cndmask_b32_e64 v34, v34, v35, s[0:1]
; %bb.24:                               ;   in Loop: Header=BB308_13 Depth=1
	s_or_b64 exec, exec, s[40:41]
	global_load_ushort v36, v[18:19], off offset:8
	s_waitcnt vmcnt(0)
	v_and_b32_sdwa v35, s48, v36 dst_sel:DWORD dst_unused:UNUSED_PAD src0_sel:DWORD src1_sel:BYTE_0
	v_cvt_f32_fp8_sdwa v35, v35 src0_sel:BYTE_0
	s_nop 0
	v_mul_f32_e32 v37, s51, v35
	v_and_b32_e32 v35, 0x7f800000, v37
	v_cmp_ne_u32_e64 s[0:1], s49, v35
                                        ; implicit-def: $vgpr35
	s_and_saveexec_b64 s[40:41], s[0:1]
	s_xor_b64 s[0:1], exec, s[40:41]
; %bb.25:                               ;   in Loop: Header=BB308_13 Depth=1
	v_bfe_u32 v35, v37, 16, 1
	v_add3_u32 v35, v37, v35, s50
                                        ; implicit-def: $vgpr37
; %bb.26:                               ;   in Loop: Header=BB308_13 Depth=1
	s_andn2_saveexec_b64 s[40:41], s[0:1]
; %bb.27:                               ;   in Loop: Header=BB308_13 Depth=1
	v_or_b32_e32 v35, 0x10000, v37
	v_cmp_eq_u32_sdwa s[0:1], v37, v11 src0_sel:WORD_0 src1_sel:DWORD
	s_nop 1
	v_cndmask_b32_e64 v35, v35, v37, s[0:1]
; %bb.28:                               ;   in Loop: Header=BB308_13 Depth=1
	s_or_b64 exec, exec, s[40:41]
	v_lshrrev_b16_e32 v36, 8, v36
	v_cvt_f32_fp8_sdwa v36, v36 src0_sel:BYTE_0
	s_nop 0
	v_mul_f32_e32 v37, s51, v36
	v_and_b32_e32 v36, 0x7f800000, v37
	v_cmp_ne_u32_e64 s[0:1], s49, v36
                                        ; implicit-def: $vgpr36
	s_and_saveexec_b64 s[40:41], s[0:1]
	s_xor_b64 s[0:1], exec, s[40:41]
; %bb.29:                               ;   in Loop: Header=BB308_13 Depth=1
	v_bfe_u32 v36, v37, 16, 1
	v_add3_u32 v36, v37, v36, s50
                                        ; implicit-def: $vgpr37
; %bb.30:                               ;   in Loop: Header=BB308_13 Depth=1
	s_andn2_saveexec_b64 s[40:41], s[0:1]
; %bb.31:                               ;   in Loop: Header=BB308_13 Depth=1
	v_or_b32_e32 v36, 0x10000, v37
	v_cmp_eq_u32_sdwa s[0:1], v37, v11 src0_sel:WORD_0 src1_sel:DWORD
	s_nop 1
	v_cndmask_b32_e64 v36, v36, v37, s[0:1]
; %bb.32:                               ;   in Loop: Header=BB308_13 Depth=1
	s_or_b64 exec, exec, s[40:41]
	global_load_ushort v38, v[18:19], off offset:256
	s_waitcnt vmcnt(0)
	v_and_b32_sdwa v37, s48, v38 dst_sel:DWORD dst_unused:UNUSED_PAD src0_sel:DWORD src1_sel:BYTE_0
	v_cvt_f32_fp8_sdwa v37, v37 src0_sel:BYTE_0
	s_nop 0
	v_mul_f32_e32 v39, s51, v37
	v_and_b32_e32 v37, 0x7f800000, v39
	v_cmp_ne_u32_e64 s[0:1], s49, v37
                                        ; implicit-def: $vgpr37
	s_and_saveexec_b64 s[40:41], s[0:1]
	s_xor_b64 s[0:1], exec, s[40:41]
; %bb.33:                               ;   in Loop: Header=BB308_13 Depth=1
	v_bfe_u32 v37, v39, 16, 1
	v_add3_u32 v37, v39, v37, s50
                                        ; implicit-def: $vgpr39
; %bb.34:                               ;   in Loop: Header=BB308_13 Depth=1
	s_andn2_saveexec_b64 s[40:41], s[0:1]
; %bb.35:                               ;   in Loop: Header=BB308_13 Depth=1
	v_or_b32_e32 v37, 0x10000, v39
	v_cmp_eq_u32_sdwa s[0:1], v39, v11 src0_sel:WORD_0 src1_sel:DWORD
	s_nop 1
	v_cndmask_b32_e64 v37, v37, v39, s[0:1]
; %bb.36:                               ;   in Loop: Header=BB308_13 Depth=1
	s_or_b64 exec, exec, s[40:41]
	v_lshrrev_b16_e32 v38, 8, v38
	v_cvt_f32_fp8_sdwa v38, v38 src0_sel:BYTE_0
	s_nop 0
	v_mul_f32_e32 v39, s51, v38
	v_and_b32_e32 v38, 0x7f800000, v39
	v_cmp_ne_u32_e64 s[0:1], s49, v38
                                        ; implicit-def: $vgpr38
	s_and_saveexec_b64 s[40:41], s[0:1]
	s_xor_b64 s[0:1], exec, s[40:41]
; %bb.37:                               ;   in Loop: Header=BB308_13 Depth=1
	v_bfe_u32 v38, v39, 16, 1
	v_add3_u32 v38, v39, v38, s50
                                        ; implicit-def: $vgpr39
; %bb.38:                               ;   in Loop: Header=BB308_13 Depth=1
	s_andn2_saveexec_b64 s[40:41], s[0:1]
; %bb.39:                               ;   in Loop: Header=BB308_13 Depth=1
	v_or_b32_e32 v38, 0x10000, v39
	v_cmp_eq_u32_sdwa s[0:1], v39, v11 src0_sel:WORD_0 src1_sel:DWORD
	s_nop 1
	v_cndmask_b32_e64 v38, v38, v39, s[0:1]
; %bb.40:                               ;   in Loop: Header=BB308_13 Depth=1
	s_or_b64 exec, exec, s[40:41]
	global_load_ushort v40, v[18:19], off offset:264
	s_waitcnt vmcnt(0)
	v_and_b32_sdwa v39, s48, v40 dst_sel:DWORD dst_unused:UNUSED_PAD src0_sel:DWORD src1_sel:BYTE_0
	v_cvt_f32_fp8_sdwa v39, v39 src0_sel:BYTE_0
	s_nop 0
	v_mul_f32_e32 v41, s51, v39
	v_and_b32_e32 v39, 0x7f800000, v41
	v_cmp_ne_u32_e64 s[0:1], s49, v39
                                        ; implicit-def: $vgpr39
	s_and_saveexec_b64 s[40:41], s[0:1]
	s_xor_b64 s[0:1], exec, s[40:41]
; %bb.41:                               ;   in Loop: Header=BB308_13 Depth=1
	v_bfe_u32 v39, v41, 16, 1
	v_add3_u32 v39, v41, v39, s50
                                        ; implicit-def: $vgpr41
; %bb.42:                               ;   in Loop: Header=BB308_13 Depth=1
	s_andn2_saveexec_b64 s[40:41], s[0:1]
; %bb.43:                               ;   in Loop: Header=BB308_13 Depth=1
	v_or_b32_e32 v39, 0x10000, v41
	v_cmp_eq_u32_sdwa s[0:1], v41, v11 src0_sel:WORD_0 src1_sel:DWORD
	s_nop 1
	v_cndmask_b32_e64 v39, v39, v41, s[0:1]
; %bb.44:                               ;   in Loop: Header=BB308_13 Depth=1
	s_or_b64 exec, exec, s[40:41]
	v_lshrrev_b16_e32 v40, 8, v40
	v_cvt_f32_fp8_sdwa v40, v40 src0_sel:BYTE_0
	s_nop 0
	v_mul_f32_e32 v41, s51, v40
	v_and_b32_e32 v40, 0x7f800000, v41
	v_cmp_ne_u32_e64 s[0:1], s49, v40
                                        ; implicit-def: $vgpr40
	s_and_saveexec_b64 s[40:41], s[0:1]
	s_xor_b64 s[0:1], exec, s[40:41]
; %bb.45:                               ;   in Loop: Header=BB308_13 Depth=1
	v_bfe_u32 v40, v41, 16, 1
	v_add3_u32 v40, v41, v40, s50
                                        ; implicit-def: $vgpr41
; %bb.46:                               ;   in Loop: Header=BB308_13 Depth=1
	s_andn2_saveexec_b64 s[40:41], s[0:1]
; %bb.47:                               ;   in Loop: Header=BB308_13 Depth=1
	v_or_b32_e32 v40, 0x10000, v41
	v_cmp_eq_u32_sdwa s[0:1], v41, v11 src0_sel:WORD_0 src1_sel:DWORD
	s_nop 1
	v_cndmask_b32_e64 v40, v40, v41, s[0:1]
; %bb.48:                               ;   in Loop: Header=BB308_13 Depth=1
	s_or_b64 exec, exec, s[40:41]
	global_load_ushort v42, v[18:19], off offset:512
	s_waitcnt vmcnt(0)
	v_and_b32_sdwa v41, s48, v42 dst_sel:DWORD dst_unused:UNUSED_PAD src0_sel:DWORD src1_sel:BYTE_0
	v_cvt_f32_fp8_sdwa v41, v41 src0_sel:BYTE_0
	s_nop 0
	v_mul_f32_e32 v43, s51, v41
	v_and_b32_e32 v41, 0x7f800000, v43
	v_cmp_ne_u32_e64 s[0:1], s49, v41
                                        ; implicit-def: $vgpr41
	s_and_saveexec_b64 s[40:41], s[0:1]
	s_xor_b64 s[0:1], exec, s[40:41]
; %bb.49:                               ;   in Loop: Header=BB308_13 Depth=1
	v_bfe_u32 v41, v43, 16, 1
	v_add3_u32 v41, v43, v41, s50
                                        ; implicit-def: $vgpr43
; %bb.50:                               ;   in Loop: Header=BB308_13 Depth=1
	s_andn2_saveexec_b64 s[40:41], s[0:1]
; %bb.51:                               ;   in Loop: Header=BB308_13 Depth=1
	v_or_b32_e32 v41, 0x10000, v43
	v_cmp_eq_u32_sdwa s[0:1], v43, v11 src0_sel:WORD_0 src1_sel:DWORD
	s_nop 1
	v_cndmask_b32_e64 v41, v41, v43, s[0:1]
; %bb.52:                               ;   in Loop: Header=BB308_13 Depth=1
	s_or_b64 exec, exec, s[40:41]
	v_lshrrev_b16_e32 v42, 8, v42
	v_cvt_f32_fp8_sdwa v42, v42 src0_sel:BYTE_0
	s_nop 0
	v_mul_f32_e32 v43, s51, v42
	v_and_b32_e32 v42, 0x7f800000, v43
	v_cmp_ne_u32_e64 s[0:1], s49, v42
                                        ; implicit-def: $vgpr42
	s_and_saveexec_b64 s[40:41], s[0:1]
	s_xor_b64 s[0:1], exec, s[40:41]
; %bb.53:                               ;   in Loop: Header=BB308_13 Depth=1
	v_bfe_u32 v42, v43, 16, 1
	v_add3_u32 v42, v43, v42, s50
                                        ; implicit-def: $vgpr43
; %bb.54:                               ;   in Loop: Header=BB308_13 Depth=1
	s_andn2_saveexec_b64 s[40:41], s[0:1]
; %bb.55:                               ;   in Loop: Header=BB308_13 Depth=1
	v_or_b32_e32 v42, 0x10000, v43
	v_cmp_eq_u32_sdwa s[0:1], v43, v11 src0_sel:WORD_0 src1_sel:DWORD
	s_nop 1
	v_cndmask_b32_e64 v42, v42, v43, s[0:1]
; %bb.56:                               ;   in Loop: Header=BB308_13 Depth=1
	s_or_b64 exec, exec, s[40:41]
	global_load_ushort v44, v[18:19], off offset:520
	s_waitcnt vmcnt(0)
	v_and_b32_sdwa v43, s48, v44 dst_sel:DWORD dst_unused:UNUSED_PAD src0_sel:DWORD src1_sel:BYTE_0
	v_cvt_f32_fp8_sdwa v43, v43 src0_sel:BYTE_0
	s_nop 0
	v_mul_f32_e32 v45, s51, v43
	v_and_b32_e32 v43, 0x7f800000, v45
	v_cmp_ne_u32_e64 s[0:1], s49, v43
                                        ; implicit-def: $vgpr43
	s_and_saveexec_b64 s[40:41], s[0:1]
	s_xor_b64 s[0:1], exec, s[40:41]
; %bb.57:                               ;   in Loop: Header=BB308_13 Depth=1
	v_bfe_u32 v43, v45, 16, 1
	v_add3_u32 v43, v45, v43, s50
                                        ; implicit-def: $vgpr45
; %bb.58:                               ;   in Loop: Header=BB308_13 Depth=1
	s_andn2_saveexec_b64 s[40:41], s[0:1]
; %bb.59:                               ;   in Loop: Header=BB308_13 Depth=1
	v_or_b32_e32 v43, 0x10000, v45
	v_cmp_eq_u32_sdwa s[0:1], v45, v11 src0_sel:WORD_0 src1_sel:DWORD
	s_nop 1
	v_cndmask_b32_e64 v43, v43, v45, s[0:1]
; %bb.60:                               ;   in Loop: Header=BB308_13 Depth=1
	s_or_b64 exec, exec, s[40:41]
	v_lshrrev_b16_e32 v44, 8, v44
	v_cvt_f32_fp8_sdwa v44, v44 src0_sel:BYTE_0
	s_nop 0
	v_mul_f32_e32 v45, s51, v44
	v_and_b32_e32 v44, 0x7f800000, v45
	v_cmp_ne_u32_e64 s[0:1], s49, v44
                                        ; implicit-def: $vgpr44
	s_and_saveexec_b64 s[40:41], s[0:1]
	s_xor_b64 s[0:1], exec, s[40:41]
; %bb.61:                               ;   in Loop: Header=BB308_13 Depth=1
	v_bfe_u32 v44, v45, 16, 1
	v_add3_u32 v44, v45, v44, s50
                                        ; implicit-def: $vgpr45
; %bb.62:                               ;   in Loop: Header=BB308_13 Depth=1
	s_andn2_saveexec_b64 s[40:41], s[0:1]
; %bb.63:                               ;   in Loop: Header=BB308_13 Depth=1
	v_or_b32_e32 v44, 0x10000, v45
	v_cmp_eq_u32_sdwa s[0:1], v45, v11 src0_sel:WORD_0 src1_sel:DWORD
	s_nop 1
	v_cndmask_b32_e64 v44, v44, v45, s[0:1]
; %bb.64:                               ;   in Loop: Header=BB308_13 Depth=1
	s_or_b64 exec, exec, s[40:41]
	global_load_ushort v46, v[18:19], off offset:768
	s_waitcnt vmcnt(0)
	v_and_b32_sdwa v45, s48, v46 dst_sel:DWORD dst_unused:UNUSED_PAD src0_sel:DWORD src1_sel:BYTE_0
	v_cvt_f32_fp8_sdwa v45, v45 src0_sel:BYTE_0
	s_nop 0
	v_mul_f32_e32 v47, s51, v45
	v_and_b32_e32 v45, 0x7f800000, v47
	v_cmp_ne_u32_e64 s[0:1], s49, v45
                                        ; implicit-def: $vgpr45
	s_and_saveexec_b64 s[40:41], s[0:1]
	s_xor_b64 s[0:1], exec, s[40:41]
; %bb.65:                               ;   in Loop: Header=BB308_13 Depth=1
	v_bfe_u32 v45, v47, 16, 1
	v_add3_u32 v45, v47, v45, s50
                                        ; implicit-def: $vgpr47
; %bb.66:                               ;   in Loop: Header=BB308_13 Depth=1
	s_andn2_saveexec_b64 s[40:41], s[0:1]
; %bb.67:                               ;   in Loop: Header=BB308_13 Depth=1
	v_or_b32_e32 v45, 0x10000, v47
	v_cmp_eq_u32_sdwa s[0:1], v47, v11 src0_sel:WORD_0 src1_sel:DWORD
	s_nop 1
	v_cndmask_b32_e64 v45, v45, v47, s[0:1]
; %bb.68:                               ;   in Loop: Header=BB308_13 Depth=1
	s_or_b64 exec, exec, s[40:41]
	v_lshrrev_b16_e32 v46, 8, v46
	v_cvt_f32_fp8_sdwa v46, v46 src0_sel:BYTE_0
	s_nop 0
	v_mul_f32_e32 v47, s51, v46
	v_and_b32_e32 v46, 0x7f800000, v47
	v_cmp_ne_u32_e64 s[0:1], s49, v46
                                        ; implicit-def: $vgpr46
	s_and_saveexec_b64 s[40:41], s[0:1]
	s_xor_b64 s[0:1], exec, s[40:41]
; %bb.69:                               ;   in Loop: Header=BB308_13 Depth=1
	v_bfe_u32 v46, v47, 16, 1
	v_add3_u32 v46, v47, v46, s50
                                        ; implicit-def: $vgpr47
; %bb.70:                               ;   in Loop: Header=BB308_13 Depth=1
	s_andn2_saveexec_b64 s[40:41], s[0:1]
; %bb.71:                               ;   in Loop: Header=BB308_13 Depth=1
	v_or_b32_e32 v46, 0x10000, v47
	v_cmp_eq_u32_sdwa s[0:1], v47, v11 src0_sel:WORD_0 src1_sel:DWORD
	s_nop 1
	v_cndmask_b32_e64 v46, v46, v47, s[0:1]
; %bb.72:                               ;   in Loop: Header=BB308_13 Depth=1
	s_or_b64 exec, exec, s[40:41]
	global_load_ushort v48, v[18:19], off offset:776
	s_waitcnt vmcnt(0)
	v_and_b32_sdwa v47, s48, v48 dst_sel:DWORD dst_unused:UNUSED_PAD src0_sel:DWORD src1_sel:BYTE_0
	v_cvt_f32_fp8_sdwa v47, v47 src0_sel:BYTE_0
	s_nop 0
	v_mul_f32_e32 v49, s51, v47
	v_and_b32_e32 v47, 0x7f800000, v49
	v_cmp_ne_u32_e64 s[0:1], s49, v47
                                        ; implicit-def: $vgpr47
	s_and_saveexec_b64 s[40:41], s[0:1]
	s_xor_b64 s[0:1], exec, s[40:41]
; %bb.73:                               ;   in Loop: Header=BB308_13 Depth=1
	v_bfe_u32 v47, v49, 16, 1
	v_add3_u32 v47, v49, v47, s50
                                        ; implicit-def: $vgpr49
; %bb.74:                               ;   in Loop: Header=BB308_13 Depth=1
	s_andn2_saveexec_b64 s[40:41], s[0:1]
; %bb.75:                               ;   in Loop: Header=BB308_13 Depth=1
	v_or_b32_e32 v47, 0x10000, v49
	v_cmp_eq_u32_sdwa s[0:1], v49, v11 src0_sel:WORD_0 src1_sel:DWORD
	s_nop 1
	v_cndmask_b32_e64 v47, v47, v49, s[0:1]
; %bb.76:                               ;   in Loop: Header=BB308_13 Depth=1
	s_or_b64 exec, exec, s[40:41]
	v_lshrrev_b16_e32 v48, 8, v48
	v_cvt_f32_fp8_sdwa v48, v48 src0_sel:BYTE_0
	s_nop 0
	v_mul_f32_e32 v49, s51, v48
	v_and_b32_e32 v48, 0x7f800000, v49
	v_cmp_ne_u32_e64 s[0:1], s49, v48
                                        ; implicit-def: $vgpr48
	s_and_saveexec_b64 s[40:41], s[0:1]
	s_xor_b64 s[0:1], exec, s[40:41]
; %bb.77:                               ;   in Loop: Header=BB308_13 Depth=1
	v_bfe_u32 v48, v49, 16, 1
	v_add3_u32 v48, v49, v48, s50
                                        ; implicit-def: $vgpr49
; %bb.78:                               ;   in Loop: Header=BB308_13 Depth=1
	s_andn2_saveexec_b64 s[40:41], s[0:1]
; %bb.79:                               ;   in Loop: Header=BB308_13 Depth=1
	v_or_b32_e32 v48, 0x10000, v49
	v_cmp_eq_u32_sdwa s[0:1], v49, v11 src0_sel:WORD_0 src1_sel:DWORD
	s_nop 1
	v_cndmask_b32_e64 v48, v48, v49, s[0:1]
; %bb.80:                               ;   in Loop: Header=BB308_13 Depth=1
	s_or_b64 exec, exec, s[40:41]
	global_load_ushort v50, v[18:19], off offset:1024
	s_waitcnt vmcnt(0)
	v_and_b32_sdwa v49, s48, v50 dst_sel:DWORD dst_unused:UNUSED_PAD src0_sel:DWORD src1_sel:BYTE_0
	v_cvt_f32_fp8_sdwa v49, v49 src0_sel:BYTE_0
	s_nop 0
	v_mul_f32_e32 v51, s51, v49
	v_and_b32_e32 v49, 0x7f800000, v51
	v_cmp_ne_u32_e64 s[0:1], s49, v49
                                        ; implicit-def: $vgpr49
	s_and_saveexec_b64 s[40:41], s[0:1]
	s_xor_b64 s[0:1], exec, s[40:41]
; %bb.81:                               ;   in Loop: Header=BB308_13 Depth=1
	v_bfe_u32 v49, v51, 16, 1
	v_add3_u32 v49, v51, v49, s50
                                        ; implicit-def: $vgpr51
; %bb.82:                               ;   in Loop: Header=BB308_13 Depth=1
	s_andn2_saveexec_b64 s[40:41], s[0:1]
; %bb.83:                               ;   in Loop: Header=BB308_13 Depth=1
	v_or_b32_e32 v49, 0x10000, v51
	v_cmp_eq_u32_sdwa s[0:1], v51, v11 src0_sel:WORD_0 src1_sel:DWORD
	s_nop 1
	v_cndmask_b32_e64 v49, v49, v51, s[0:1]
; %bb.84:                               ;   in Loop: Header=BB308_13 Depth=1
	s_or_b64 exec, exec, s[40:41]
	v_lshrrev_b16_e32 v50, 8, v50
	v_cvt_f32_fp8_sdwa v50, v50 src0_sel:BYTE_0
	s_nop 0
	v_mul_f32_e32 v51, s51, v50
	v_and_b32_e32 v50, 0x7f800000, v51
	v_cmp_ne_u32_e64 s[0:1], s49, v50
                                        ; implicit-def: $vgpr50
	s_and_saveexec_b64 s[40:41], s[0:1]
	s_xor_b64 s[0:1], exec, s[40:41]
; %bb.85:                               ;   in Loop: Header=BB308_13 Depth=1
	v_bfe_u32 v50, v51, 16, 1
	v_add3_u32 v50, v51, v50, s50
                                        ; implicit-def: $vgpr51
; %bb.86:                               ;   in Loop: Header=BB308_13 Depth=1
	s_andn2_saveexec_b64 s[40:41], s[0:1]
; %bb.87:                               ;   in Loop: Header=BB308_13 Depth=1
	v_or_b32_e32 v50, 0x10000, v51
	v_cmp_eq_u32_sdwa s[0:1], v51, v11 src0_sel:WORD_0 src1_sel:DWORD
	s_nop 1
	v_cndmask_b32_e64 v50, v50, v51, s[0:1]
; %bb.88:                               ;   in Loop: Header=BB308_13 Depth=1
	s_or_b64 exec, exec, s[40:41]
	global_load_ushort v18, v[18:19], off offset:1032
	s_waitcnt vmcnt(0)
	v_and_b32_sdwa v19, s48, v18 dst_sel:DWORD dst_unused:UNUSED_PAD src0_sel:DWORD src1_sel:BYTE_0
	v_cvt_f32_fp8_sdwa v19, v19 src0_sel:BYTE_0
	s_nop 0
	v_mul_f32_e32 v51, s51, v19
	v_and_b32_e32 v19, 0x7f800000, v51
	v_cmp_ne_u32_e64 s[0:1], s49, v19
                                        ; implicit-def: $vgpr19
	s_and_saveexec_b64 s[40:41], s[0:1]
	s_xor_b64 s[0:1], exec, s[40:41]
; %bb.89:                               ;   in Loop: Header=BB308_13 Depth=1
	v_bfe_u32 v19, v51, 16, 1
	v_add3_u32 v19, v51, v19, s50
                                        ; implicit-def: $vgpr51
; %bb.90:                               ;   in Loop: Header=BB308_13 Depth=1
	s_andn2_saveexec_b64 s[40:41], s[0:1]
; %bb.91:                               ;   in Loop: Header=BB308_13 Depth=1
	v_or_b32_e32 v19, 0x10000, v51
	v_cmp_eq_u32_sdwa s[0:1], v51, v11 src0_sel:WORD_0 src1_sel:DWORD
	s_nop 1
	v_cndmask_b32_e64 v19, v19, v51, s[0:1]
; %bb.92:                               ;   in Loop: Header=BB308_13 Depth=1
	s_or_b64 exec, exec, s[40:41]
	v_lshrrev_b16_e32 v18, 8, v18
	v_cvt_f32_fp8_sdwa v18, v18 src0_sel:BYTE_0
	s_nop 0
	v_mul_f32_e32 v51, s51, v18
	v_and_b32_e32 v18, 0x7f800000, v51
	v_cmp_ne_u32_e64 s[0:1], s49, v18
                                        ; implicit-def: $vgpr18
	s_and_saveexec_b64 s[40:41], s[0:1]
	s_xor_b64 s[0:1], exec, s[40:41]
; %bb.93:                               ;   in Loop: Header=BB308_13 Depth=1
	v_bfe_u32 v18, v51, 16, 1
	v_add3_u32 v18, v51, v18, s50
                                        ; implicit-def: $vgpr51
; %bb.94:                               ;   in Loop: Header=BB308_13 Depth=1
	s_andn2_saveexec_b64 s[40:41], s[0:1]
; %bb.95:                               ;   in Loop: Header=BB308_13 Depth=1
	v_or_b32_e32 v18, 0x10000, v51
	v_cmp_eq_u32_sdwa s[0:1], v51, v11 src0_sel:WORD_0 src1_sel:DWORD
	s_nop 1
	v_cndmask_b32_e64 v18, v18, v51, s[0:1]
; %bb.96:                               ;   in Loop: Header=BB308_13 Depth=1
	s_or_b64 exec, exec, s[40:41]
	v_and_b32_e32 v36, 0xffff0000, v36
	v_and_b32_e32 v35, 0xffff0000, v35
	v_lshlrev_b32_e32 v52, 16, v7
	v_and_b32_e32 v7, 0xffff0000, v7
	v_and_b32_e32 v34, 0xffff0000, v34
	;; [unrolled: 1-line block ×3, first 2 shown]
	v_lshlrev_b32_e32 v51, 16, v6
	v_and_b32_e32 v6, 0xffff0000, v6
	v_mul_f32_e32 v35, v52, v35
	v_mul_f32_e32 v7, v7, v36
	v_and_b32_e32 v38, 0xffff0000, v38
	v_and_b32_e32 v37, 0xffff0000, v37
	v_lshlrev_b32_e32 v53, 16, v8
	v_and_b32_e32 v8, 0xffff0000, v8
	v_fmac_f32_e32 v35, v51, v33
	v_fmac_f32_e32 v7, v6, v34
	v_and_b32_e32 v40, 0xffff0000, v40
	v_and_b32_e32 v39, 0xffff0000, v39
	v_lshlrev_b32_e32 v54, 16, v9
	v_and_b32_e32 v9, 0xffff0000, v9
	v_fmac_f32_e32 v35, v53, v37
	v_fmac_f32_e32 v7, v8, v38
	;; [unrolled: 6-line block ×5, first 2 shown]
	v_and_b32_e32 v48, 0xffff0000, v48
	v_and_b32_e32 v47, 0xffff0000, v47
	v_lshlrev_b32_e32 v58, 16, v5
	v_and_b32_e32 v61, 64, v31
	v_and_b32_e32 v5, 0xffff0000, v5
	v_fmac_f32_e32 v35, v57, v45
	v_fmac_f32_e32 v7, v4, v46
	v_and_b32_e32 v50, 0xffff0000, v50
	v_and_b32_e32 v49, 0xffff0000, v49
	v_lshlrev_b32_e32 v59, 16, v16
	v_add_u32_e32 v61, 64, v61
	v_xor_b32_e32 v62, 2, v31
	v_and_b32_e32 v16, 0xffff0000, v16
	v_fmac_f32_e32 v35, v58, v47
	v_fmac_f32_e32 v7, v5, v48
	v_and_b32_e32 v19, 0xffff0000, v19
	v_lshlrev_b32_e32 v60, 16, v17
	v_cmp_lt_i32_e64 s[0:1], v62, v61
	v_and_b32_e32 v18, 0xffff0000, v18
	v_and_b32_e32 v17, 0xffff0000, v17
	v_fmac_f32_e32 v35, v59, v49
	v_fmac_f32_e32 v7, v16, v50
	v_cndmask_b32_e64 v62, v31, v62, s[0:1]
	v_fmac_f32_e32 v35, v60, v19
	v_fmac_f32_e32 v7, v17, v18
	v_lshlrev_b32_e32 v62, 2, v62
	v_add_f32_e32 v2, v35, v7
	ds_bpermute_b32 v3, v62, v2
	v_xor_b32_e32 v4, 1, v31
	v_cmp_lt_i32_e64 s[0:1], v4, v61
	s_waitcnt lgkmcnt(0)
	v_add_f32_e32 v2, v2, v3
	v_cndmask_b32_e64 v4, v31, v4, s[0:1]
	v_lshlrev_b32_e32 v4, 2, v4
	ds_bpermute_b32 v3, v4, v2
	s_and_saveexec_b64 s[40:41], vcc
	s_cbranch_execz .LBB308_11
; %bb.97:                               ;   in Loop: Header=BB308_13 Depth=1
	v_add_u32_e32 v4, v29, v27
	v_cvt_f32_i32_e32 v4, v4
	s_waitcnt lgkmcnt(0)
	v_add_f32_e32 v2, v2, v3
	v_add_u32_e32 v5, v22, v27
	v_cmp_gt_i32_e64 s[0:1], s33, v5
	v_mul_f32_e32 v3, s44, v4
	v_cndmask_b32_e64 v3, 0, v3, s[2:3]
	v_fmac_f32_e32 v3, s37, v2
	v_cndmask_b32_e64 v2, 0, v3, s[0:1]
	ds_write_b32 v28, v2
	v_max_f32_e32 v2, v24, v24
	v_max_f32_e32 v2, v2, v3
	v_cndmask_b32_e64 v24, v24, v2, s[0:1]
	s_branch .LBB308_11
.LBB308_98:
	s_or_b64 exec, exec, s[38:39]
.LBB308_99:
	s_or_b64 exec, exec, s[18:19]
	v_mbcnt_hi_u32_b32 v2, -1, v21
	s_waitcnt lgkmcnt(0)
	v_and_b32_e32 v3, 64, v2
	v_add_u32_e32 v3, 64, v3
	v_xor_b32_e32 v4, 32, v2
	v_cmp_lt_i32_e32 vcc, v4, v3
	v_xor_b32_e32 v7, 16, v2
	v_max_f32_e32 v6, v24, v24
	v_cndmask_b32_e32 v4, v2, v4, vcc
	v_lshlrev_b32_e32 v5, 2, v4
	ds_bpermute_b32 v4, v5, v24
	v_cmp_lt_i32_e32 vcc, v7, v3
	v_xor_b32_e32 v8, 8, v2
	v_xor_b32_e32 v10, 4, v2
	s_waitcnt lgkmcnt(0)
	v_max_f32_e32 v4, v4, v4
	v_max_f32_e32 v4, v6, v4
	v_cndmask_b32_e32 v6, v2, v7, vcc
	v_lshlrev_b32_e32 v6, 2, v6
	ds_bpermute_b32 v7, v6, v4
	v_cmp_lt_i32_e32 vcc, v8, v3
	s_waitcnt lgkmcnt(0)
	v_max_f32_e32 v7, v7, v7
	v_max_f32_e32 v4, v4, v7
	v_cndmask_b32_e32 v7, v2, v8, vcc
	v_lshlrev_b32_e32 v9, 2, v7
	ds_bpermute_b32 v7, v9, v4
	v_cmp_lt_i32_e32 vcc, v10, v3
	s_waitcnt lgkmcnt(0)
	v_max_f32_e32 v7, v7, v7
	v_max_f32_e32 v8, v4, v7
	v_cndmask_b32_e32 v4, v2, v10, vcc
	v_lshlrev_b32_e32 v10, 2, v4
	ds_bpermute_b32 v11, v10, v8
	v_and_b32_e32 v4, 63, v0
	v_cmp_eq_u32_e32 vcc, 0, v4
	v_lshlrev_b32_e32 v7, 2, v1
	s_and_saveexec_b64 s[0:1], vcc
	s_cbranch_execz .LBB308_101
; %bb.100:
	s_waitcnt lgkmcnt(0)
	v_max_f32_e32 v11, v11, v11
	v_max_f32_e32 v8, v8, v8
	;; [unrolled: 1-line block ×3, first 2 shown]
	ds_write_b32 v7, v8 offset:160
.LBB308_101:
	s_or_b64 exec, exec, s[0:1]
	v_cmp_gt_u32_e64 s[0:1], 2, v4
	s_waitcnt lgkmcnt(0)
	v_mov_b32_e32 v11, 0xff7fffff
	v_lshlrev_b32_e32 v8, 2, v4
	s_barrier
	s_and_saveexec_b64 s[2:3], s[0:1]
	s_cbranch_execz .LBB308_103
; %bb.102:
	ds_read_b32 v11, v8 offset:160
.LBB308_103:
	s_or_b64 exec, exec, s[2:3]
	v_xor_b32_e32 v12, 1, v2
	v_cmp_lt_i32_e64 s[2:3], v12, v3
	v_lshlrev_b32_e32 v14, 2, v2
	s_nop 0
	v_cndmask_b32_e64 v12, v2, v12, s[2:3]
	v_lshlrev_b32_e32 v13, 2, v12
	s_waitcnt lgkmcnt(0)
	ds_bpermute_b32 v12, v13, v11
	v_max_f32_e32 v11, v11, v11
	s_lshl_b32 s2, s43, 4
	s_min_i32 s37, s2, s33
	v_cmp_gt_i32_e64 s[2:3], s37, v0
	s_waitcnt lgkmcnt(0)
	v_max_f32_e32 v12, v12, v12
	v_max_f32_e32 v12, v11, v12
	v_and_b32_e32 v11, 0x100, v14
	ds_bpermute_b32 v14, v11, v12
	v_mov_b32_e32 v12, 0
	s_and_saveexec_b64 s[12:13], s[2:3]
	s_cbranch_execz .LBB308_107
; %bb.104:
	v_mov_b32_e32 v12, 0xb0
	v_lshl_add_u32 v15, v0, 2, v12
	s_mov_b64 s[18:19], 0
	v_mov_b32_e32 v12, 0
	v_mov_b32_e32 v16, v0
.LBB308_105:                            ; =>This Inner Loop Header: Depth=1
	ds_read_b32 v17, v15
	v_add_u32_e32 v16, 0x80, v16
	v_cmp_le_i32_e64 s[8:9], s37, v16
	s_or_b64 s[18:19], s[8:9], s[18:19]
	s_waitcnt lgkmcnt(0)
	v_sub_f32_e32 v17, v17, v14
	v_mul_f32_e32 v17, 0x3fb8aa3b, v17
	v_exp_f32_e32 v17, v17
	ds_write_b32 v15, v17
	v_add_f32_e32 v12, v12, v17
	v_add_u32_e32 v15, 0x200, v15
	s_andn2_b64 exec, exec, s[18:19]
	s_cbranch_execnz .LBB308_105
; %bb.106:
	s_or_b64 exec, exec, s[18:19]
.LBB308_107:
	s_or_b64 exec, exec, s[12:13]
	ds_bpermute_b32 v5, v5, v12
	s_waitcnt lgkmcnt(0)
	v_add_f32_e32 v5, v12, v5
	ds_bpermute_b32 v6, v6, v5
	s_waitcnt lgkmcnt(0)
	v_add_f32_e32 v5, v5, v6
	ds_bpermute_b32 v6, v9, v5
	v_xor_b32_e32 v9, 2, v2
	v_cmp_lt_i32_e64 s[8:9], v9, v3
	s_waitcnt lgkmcnt(0)
	v_add_f32_e32 v5, v5, v6
	ds_bpermute_b32 v6, v10, v5
	v_cndmask_b32_e64 v2, v2, v9, s[8:9]
	v_lshlrev_b32_e32 v2, 2, v2
	s_waitcnt lgkmcnt(0)
	v_add_f32_e32 v3, v5, v6
	ds_bpermute_b32 v2, v2, v3
	s_waitcnt lgkmcnt(0)
	v_add_f32_e32 v2, v3, v2
	ds_bpermute_b32 v3, v13, v2
	s_waitcnt lgkmcnt(0)
	v_add_f32_e32 v2, v2, v3
	s_and_saveexec_b64 s[8:9], vcc
	s_cbranch_execz .LBB308_109
; %bb.108:
	ds_write_b32 v7, v2 offset:168
.LBB308_109:
	s_or_b64 exec, exec, s[8:9]
	s_waitcnt lgkmcnt(0)
	s_barrier
	s_and_saveexec_b64 s[8:9], s[0:1]
	s_cbranch_execz .LBB308_111
; %bb.110:
	ds_read_b32 v2, v8 offset:168
.LBB308_111:
	s_or_b64 exec, exec, s[8:9]
	s_waitcnt lgkmcnt(0)
	ds_bpermute_b32 v3, v13, v2
	s_waitcnt lgkmcnt(0)
	v_add_f32_e32 v2, v2, v3
	ds_bpermute_b32 v2, v11, v2
	s_and_saveexec_b64 s[0:1], s[2:3]
	s_cbranch_execz .LBB308_124
; %bb.112:
	s_waitcnt lgkmcnt(0)
	v_add_f32_e32 v2, 0x358637bd, v2
	v_div_scale_f32 v3, s[2:3], v2, v2, 1.0
	v_rcp_f32_e32 v5, v3
	v_div_scale_f32 v6, vcc, 1.0, v2, 1.0
	s_movk_i32 s2, 0x7f
	v_fma_f32 v7, -v3, v5, 1.0
	v_fmac_f32_e32 v5, v7, v5
	v_mul_f32_e32 v7, v6, v5
	v_fma_f32 v8, -v3, v7, v6
	v_fmac_f32_e32 v7, v8, v5
	v_fma_f32 v3, -v3, v7, v6
	v_div_fmas_f32 v3, v3, v5, v7
	v_xad_u32 v5, v0, -1, s37
	v_div_fixup_f32 v2, v3, v2, 1.0
	v_cmp_lt_u32_e32 vcc, s2, v5
	s_mov_b64 s[8:9], -1
	v_mov_b32_e32 v3, v0
	s_and_saveexec_b64 s[2:3], vcc
	s_cbranch_execz .LBB308_121
; %bb.113:
	v_lshrrev_b32_e32 v5, 7, v5
	v_add_u32_e32 v7, -1, v5
	v_lshrrev_b32_e32 v6, 1, v7
	v_mov_b32_e32 v3, v2
	v_add_u32_e32 v6, 1, v6
	v_cmp_lt_u32_e32 vcc, 13, v7
	v_mov_b32_e32 v9, 0
	s_and_saveexec_b64 s[8:9], vcc
	s_cbranch_execz .LBB308_117
; %bb.114:
	v_mov_b32_e32 v8, 0xb0
	v_and_b32_e32 v7, -8, v6
	v_lshl_add_u32 v8, v0, 2, v8
	s_mov_b32 s18, 0
	s_mov_b64 s[12:13], 0
.LBB308_115:                            ; =>This Inner Loop Header: Depth=1
	ds_read2st64_b32 v[10:11], v8 offset1:2
	ds_read2st64_b32 v[14:15], v8 offset0:4 offset1:6
	ds_read2st64_b32 v[16:17], v8 offset0:8 offset1:10
	;; [unrolled: 1-line block ×3, first 2 shown]
	v_add_u32_e32 v7, -8, v7
	s_waitcnt lgkmcnt(3)
	v_pk_mul_f32 v[10:11], v[2:3], v[10:11]
	s_waitcnt lgkmcnt(2)
	v_pk_mul_f32 v[14:15], v[2:3], v[14:15]
	ds_write2st64_b32 v8, v10, v11 offset1:2
	ds_write2st64_b32 v8, v14, v15 offset0:4 offset1:6
	ds_read2st64_b32 v[14:15], v8 offset0:16 offset1:18
	s_waitcnt lgkmcnt(4)
	v_pk_mul_f32 v[10:11], v[2:3], v[16:17]
	ds_write2st64_b32 v8, v10, v11 offset0:8 offset1:10
	s_waitcnt lgkmcnt(4)
	v_pk_mul_f32 v[10:11], v[2:3], v[18:19]
	ds_write2st64_b32 v8, v10, v11 offset0:12 offset1:14
	ds_read2st64_b32 v[10:11], v8 offset0:20 offset1:22
	s_waitcnt lgkmcnt(3)
	v_pk_mul_f32 v[14:15], v[2:3], v[14:15]
	ds_read2st64_b32 v[16:17], v8 offset0:24 offset1:26
	ds_write2st64_b32 v8, v14, v15 offset0:16 offset1:18
	ds_read2st64_b32 v[14:15], v8 offset0:28 offset1:30
	s_waitcnt lgkmcnt(3)
	v_pk_mul_f32 v[10:11], v[2:3], v[10:11]
	ds_write2st64_b32 v8, v10, v11 offset0:20 offset1:22
	s_waitcnt lgkmcnt(3)
	v_pk_mul_f32 v[10:11], v[2:3], v[16:17]
	ds_write2st64_b32 v8, v10, v11 offset0:24 offset1:26
	s_waitcnt lgkmcnt(2)
	v_pk_mul_f32 v[10:11], v[2:3], v[14:15]
	s_add_i32 s18, s18, 16
	v_cmp_eq_u32_e32 vcc, 0, v7
	ds_write2st64_b32 v8, v10, v11 offset0:28 offset1:30
	v_add_u32_e32 v8, 0x2000, v8
	s_or_b64 s[12:13], vcc, s[12:13]
	v_mov_b32_e32 v9, s18
	s_andn2_b64 exec, exec, s[12:13]
	s_cbranch_execnz .LBB308_115
; %bb.116:
	s_or_b64 exec, exec, s[12:13]
.LBB308_117:
	s_or_b64 exec, exec, s[8:9]
	v_and_b32_e32 v6, 7, v6
	v_cmp_ne_u32_e32 vcc, 0, v6
	s_and_saveexec_b64 s[8:9], vcc
	s_cbranch_execz .LBB308_120
; %bb.118:
	v_lshlrev_b32_e32 v7, 9, v9
	v_lshlrev_b32_e32 v8, 2, v0
	s_movk_i32 s12, 0xb0
	v_add3_u32 v7, v7, v8, s12
	s_mov_b64 s[12:13], 0
.LBB308_119:                            ; =>This Inner Loop Header: Depth=1
	ds_read2st64_b32 v[8:9], v7 offset1:2
	v_add_u32_e32 v6, -1, v6
	v_cmp_eq_u32_e32 vcc, 0, v6
	s_or_b64 s[12:13], vcc, s[12:13]
	s_waitcnt lgkmcnt(0)
	v_pk_mul_f32 v[8:9], v[2:3], v[8:9]
	ds_write2st64_b32 v7, v8, v9 offset1:2
	v_add_u32_e32 v7, 0x400, v7
	s_andn2_b64 exec, exec, s[12:13]
	s_cbranch_execnz .LBB308_119
.LBB308_120:
	s_or_b64 exec, exec, s[8:9]
	v_add_u32_e32 v5, 1, v5
	v_and_b32_e32 v6, 0x3fffffe, v5
	v_cmp_ne_u32_e32 vcc, v5, v6
	v_lshl_add_u32 v3, v6, 7, v0
	s_orn2_b64 s[8:9], vcc, exec
.LBB308_121:
	s_or_b64 exec, exec, s[2:3]
	s_and_b64 exec, exec, s[8:9]
	s_cbranch_execz .LBB308_124
; %bb.122:
	v_mov_b32_e32 v5, 0xb0
	v_lshl_add_u32 v5, v3, 2, v5
	s_mov_b64 s[2:3], 0
.LBB308_123:                            ; =>This Inner Loop Header: Depth=1
	ds_read_b32 v6, v5
	v_add_u32_e32 v3, 0x80, v3
	v_cmp_le_i32_e32 vcc, s37, v3
	s_or_b64 s[2:3], vcc, s[2:3]
	s_waitcnt lgkmcnt(0)
	v_mul_f32_e32 v6, v2, v6
	ds_write_b32 v5, v6
	v_add_u32_e32 v5, 0x200, v5
	s_andn2_b64 exec, exec, s[2:3]
	s_cbranch_execnz .LBB308_123
.LBB308_124:
	s_or_b64 exec, exec, s[0:1]
	s_mov_b32 s0, 0
	v_mov_b32_e32 v12, 0
	v_lshrrev_b32_e32 v22, 1, v4
	v_and_b32_e32 v21, 1, v0
	v_mov_b32_e32 v11, 0
	v_mov_b32_e32 v10, 0
	s_waitcnt lgkmcnt(0)
	s_barrier
	s_and_saveexec_b64 s[8:9], s[6:7]
	s_cbranch_execz .LBB308_362
; %bb.125:
	s_sub_i32 s37, s16, s21
	s_ashr_i32 s1, s20, 31
	s_add_u32 s6, s34, s20
	v_lshlrev_b32_e32 v2, 3, v0
	s_addc_u32 s7, s35, s1
	s_abs_i32 s22, s22
	v_and_b32_e32 v23, 8, v2
	v_cvt_f32_u32_e32 v2, s22
	v_or_b32_e32 v3, 64, v22
	s_movk_i32 s1, 0x50
	v_cmp_gt_u32_e32 vcc, s1, v3
	v_rcp_iflag_f32_e32 v2, v2
	s_sub_i32 s1, 0, s22
	s_add_i32 s34, s43, -1
	v_lshl_or_b32 v16, v3, 4, v23
	v_mul_f32_e32 v2, 0x4f7ffffe, v2
	v_cvt_u32_f32_e32 v2, v2
	s_lshl_b64 s[2:3], s[30:31], 2
	v_mov_b32_e32 v15, 0
	s_add_u32 s2, s28, s2
	v_mul_lo_u32 v3, s1, v2
	v_mul_hi_u32 v3, v2, v3
	v_add_u32_e32 v24, v2, v3
	v_and_b32_e32 v2, 60, v25
	v_mov_b32_e32 v3, v15
	s_addc_u32 s3, s29, s3
	v_lshl_add_u64 v[18:19], s[2:3], 0, v[2:3]
	v_lshlrev_b32_e32 v2, 5, v21
	s_mov_b32 s2, s0
	v_lshl_or_b32 v2, v1, 6, v2
	s_mov_b32 s1, s0
	v_mov_b32_e32 v12, s2
	s_mov_b32 s38, s17
	v_lshl_or_b32 v14, v22, 4, v23
	v_mov_b32_e32 v17, v15
	v_add_u32_e32 v25, 0xb0, v2
	s_mov_b64 s[12:13], 0
	v_mov_b32_e32 v11, s1
	v_mov_b32_e32 v10, s0
	s_mov_b32 s28, 0x7f800000
	s_movk_i32 s29, 0x7fff
	s_branch .LBB308_129
.LBB308_126:                            ;   in Loop: Header=BB308_129 Depth=1
	s_or_b64 exec, exec, s[2:3]
	v_and_b32_e32 v27, 0xffff0000, v26
	v_and_b32_e32 v26, 0xffff0000, v9
	;; [unrolled: 1-line block ×8, first 2 shown]
	v_pk_add_f32 v[2:3], v[4:5], v[28:29]
	v_pk_add_f32 v[4:5], v[8:9], v[26:27]
	v_add_f32_e32 v2, v2, v3
	v_add_f32_e32 v2, v2, v4
	;; [unrolled: 1-line block ×4, first 2 shown]
.LBB308_127:                            ;   in Loop: Header=BB308_129 Depth=1
	s_or_b64 exec, exec, s[18:19]
.LBB308_128:                            ;   in Loop: Header=BB308_129 Depth=1
	s_or_b64 exec, exec, s[16:17]
	v_add_u32_e32 v1, 2, v1
	v_cmp_le_i32_e64 s[0:1], s43, v1
	v_lshl_add_u64 v[18:19], v[18:19], 0, 8
	v_add_u32_e32 v20, 32, v20
	s_or_b64 s[12:13], s[0:1], s[12:13]
	v_add_u32_e32 v25, 0x80, v25
	s_andn2_b64 exec, exec, s[12:13]
	s_cbranch_execz .LBB308_361
.LBB308_129:                            ; =>This Inner Loop Header: Depth=1
	v_mul_hi_u32 v2, v20, s42
	v_mul_lo_u32 v3, v2, s25
	v_sub_u32_e32 v3, v20, v3
	v_add_u32_e32 v4, 1, v2
	v_cmp_le_u32_e64 s[0:1], s25, v3
	s_nop 1
	v_cndmask_b32_e64 v2, v2, v4, s[0:1]
	v_subrev_u32_e32 v4, s25, v3
	v_cndmask_b32_e64 v3, v3, v4, s[0:1]
	v_add_u32_e32 v4, 1, v2
	v_cmp_le_u32_e64 s[0:1], s25, v3
	s_nop 1
	v_cndmask_b32_e64 v2, v2, v4, s[0:1]
	v_xor_b32_e32 v2, s23, v2
	v_subrev_u32_e32 v2, s23, v2
	v_add_u32_e32 v3, s36, v2
	v_sub_u32_e32 v5, 0, v3
	v_ashrrev_i32_e32 v4, 31, v3
	v_max_i32_e32 v3, v3, v5
	v_mul_hi_u32 v5, v3, v24
	v_mul_lo_u32 v5, v5, s22
	v_sub_u32_e32 v3, v3, v5
	v_subrev_u32_e32 v5, s22, v3
	v_cmp_le_u32_e64 s[0:1], s22, v3
	v_cmp_lt_i32_e64 s[2:3], s37, v2
	s_nop 0
	v_cndmask_b32_e64 v3, v3, v5, s[0:1]
	v_subrev_u32_e32 v5, s22, v3
	v_cmp_le_u32_e64 s[0:1], s22, v3
	s_nop 1
	v_cndmask_b32_e64 v3, v3, v5, s[0:1]
	v_xor_b32_e32 v3, v3, v4
	v_sub_u32_e32 v3, v3, v4
	v_cmp_eq_u32_e64 s[0:1], 0, v3
	s_or_b64 s[0:1], s[0:1], s[2:3]
	s_and_saveexec_b64 s[16:17], s[0:1]
	s_cbranch_execz .LBB308_128
; %bb.130:                              ;   in Loop: Header=BB308_129 Depth=1
	global_load_dword v34, v[18:19], off
	ds_read2_b64 v[6:9], v25 offset1:1
	ds_read2_b64 v[2:5], v25 offset0:2 offset1:3
                                        ; implicit-def: $vgpr31
	s_waitcnt lgkmcnt(1)
	v_and_b32_e32 v26, 0x7f800000, v6
	v_cmp_ne_u32_e64 s[0:1], s28, v26
	s_and_saveexec_b64 s[2:3], s[0:1]
	s_xor_b64 s[0:1], exec, s[2:3]
; %bb.131:                              ;   in Loop: Header=BB308_129 Depth=1
	v_bfe_u32 v26, v6, 16, 1
	v_add3_u32 v31, v6, v26, s29
; %bb.132:                              ;   in Loop: Header=BB308_129 Depth=1
	s_andn2_saveexec_b64 s[2:3], s[0:1]
; %bb.133:                              ;   in Loop: Header=BB308_129 Depth=1
	v_or_b32_e32 v26, 0x10000, v6
	v_cmp_eq_u32_sdwa s[0:1], v6, v15 src0_sel:WORD_0 src1_sel:DWORD
	s_nop 1
	v_cndmask_b32_e64 v31, v26, v6, s[0:1]
; %bb.134:                              ;   in Loop: Header=BB308_129 Depth=1
	s_or_b64 exec, exec, s[2:3]
	v_and_b32_e32 v6, 0x7f800000, v7
	v_cmp_ne_u32_e64 s[0:1], s28, v6
                                        ; implicit-def: $vgpr32
	s_and_saveexec_b64 s[2:3], s[0:1]
	s_xor_b64 s[0:1], exec, s[2:3]
; %bb.135:                              ;   in Loop: Header=BB308_129 Depth=1
	v_bfe_u32 v6, v7, 16, 1
	v_add3_u32 v32, v7, v6, s29
; %bb.136:                              ;   in Loop: Header=BB308_129 Depth=1
	s_andn2_saveexec_b64 s[2:3], s[0:1]
; %bb.137:                              ;   in Loop: Header=BB308_129 Depth=1
	v_or_b32_e32 v6, 0x10000, v7
	v_cmp_eq_u32_sdwa s[0:1], v7, v15 src0_sel:WORD_0 src1_sel:DWORD
	s_nop 1
	v_cndmask_b32_e64 v32, v6, v7, s[0:1]
; %bb.138:                              ;   in Loop: Header=BB308_129 Depth=1
	s_or_b64 exec, exec, s[2:3]
	v_and_b32_e32 v6, 0x7f800000, v8
	v_cmp_ne_u32_e64 s[0:1], s28, v6
                                        ; implicit-def: $vgpr33
	s_and_saveexec_b64 s[2:3], s[0:1]
	s_xor_b64 s[0:1], exec, s[2:3]
; %bb.139:                              ;   in Loop: Header=BB308_129 Depth=1
	v_bfe_u32 v6, v8, 16, 1
	v_add3_u32 v33, v8, v6, s29
; %bb.140:                              ;   in Loop: Header=BB308_129 Depth=1
	s_andn2_saveexec_b64 s[2:3], s[0:1]
; %bb.141:                              ;   in Loop: Header=BB308_129 Depth=1
	v_or_b32_e32 v6, 0x10000, v8
	v_cmp_eq_u32_sdwa s[0:1], v8, v15 src0_sel:WORD_0 src1_sel:DWORD
	s_nop 1
	v_cndmask_b32_e64 v33, v6, v8, s[0:1]
; %bb.142:                              ;   in Loop: Header=BB308_129 Depth=1
	s_or_b64 exec, exec, s[2:3]
	v_and_b32_e32 v6, 0x7f800000, v9
	v_cmp_ne_u32_e64 s[0:1], s28, v6
                                        ; implicit-def: $vgpr26
	s_and_saveexec_b64 s[2:3], s[0:1]
	s_xor_b64 s[0:1], exec, s[2:3]
; %bb.143:                              ;   in Loop: Header=BB308_129 Depth=1
	v_bfe_u32 v6, v9, 16, 1
	v_add3_u32 v26, v9, v6, s29
                                        ; implicit-def: $vgpr6_vgpr7_vgpr8_vgpr9
; %bb.144:                              ;   in Loop: Header=BB308_129 Depth=1
	s_andn2_saveexec_b64 s[2:3], s[0:1]
; %bb.145:                              ;   in Loop: Header=BB308_129 Depth=1
	v_or_b32_e32 v6, 0x10000, v9
	v_cmp_eq_u32_sdwa s[0:1], v9, v15 src0_sel:WORD_0 src1_sel:DWORD
	s_nop 1
	v_cndmask_b32_e64 v26, v6, v9, s[0:1]
; %bb.146:                              ;   in Loop: Header=BB308_129 Depth=1
	s_or_b64 exec, exec, s[2:3]
	s_waitcnt lgkmcnt(0)
	v_and_b32_e32 v6, 0x7f800000, v2
	v_cmp_ne_u32_e64 s[0:1], s28, v6
                                        ; implicit-def: $vgpr27
	s_and_saveexec_b64 s[2:3], s[0:1]
	s_xor_b64 s[0:1], exec, s[2:3]
; %bb.147:                              ;   in Loop: Header=BB308_129 Depth=1
	v_bfe_u32 v6, v2, 16, 1
	v_add3_u32 v27, v2, v6, s29
; %bb.148:                              ;   in Loop: Header=BB308_129 Depth=1
	s_andn2_saveexec_b64 s[2:3], s[0:1]
; %bb.149:                              ;   in Loop: Header=BB308_129 Depth=1
	v_or_b32_e32 v6, 0x10000, v2
	v_cmp_eq_u32_sdwa s[0:1], v2, v15 src0_sel:WORD_0 src1_sel:DWORD
	s_nop 1
	v_cndmask_b32_e64 v27, v6, v2, s[0:1]
; %bb.150:                              ;   in Loop: Header=BB308_129 Depth=1
	s_or_b64 exec, exec, s[2:3]
	v_and_b32_e32 v2, 0x7f800000, v3
	v_cmp_ne_u32_e64 s[0:1], s28, v2
                                        ; implicit-def: $vgpr28
	s_and_saveexec_b64 s[2:3], s[0:1]
	s_xor_b64 s[0:1], exec, s[2:3]
; %bb.151:                              ;   in Loop: Header=BB308_129 Depth=1
	v_bfe_u32 v2, v3, 16, 1
	v_add3_u32 v28, v3, v2, s29
; %bb.152:                              ;   in Loop: Header=BB308_129 Depth=1
	s_andn2_saveexec_b64 s[2:3], s[0:1]
; %bb.153:                              ;   in Loop: Header=BB308_129 Depth=1
	v_or_b32_e32 v2, 0x10000, v3
	v_cmp_eq_u32_sdwa s[0:1], v3, v15 src0_sel:WORD_0 src1_sel:DWORD
	s_nop 1
	v_cndmask_b32_e64 v28, v2, v3, s[0:1]
; %bb.154:                              ;   in Loop: Header=BB308_129 Depth=1
	s_or_b64 exec, exec, s[2:3]
	v_and_b32_e32 v2, 0x7f800000, v4
	v_cmp_ne_u32_e64 s[0:1], s28, v2
                                        ; implicit-def: $vgpr29
	s_and_saveexec_b64 s[2:3], s[0:1]
	s_xor_b64 s[0:1], exec, s[2:3]
; %bb.155:                              ;   in Loop: Header=BB308_129 Depth=1
	v_bfe_u32 v2, v4, 16, 1
	v_add3_u32 v29, v4, v2, s29
; %bb.156:                              ;   in Loop: Header=BB308_129 Depth=1
	s_andn2_saveexec_b64 s[2:3], s[0:1]
; %bb.157:                              ;   in Loop: Header=BB308_129 Depth=1
	v_or_b32_e32 v2, 0x10000, v4
	v_cmp_eq_u32_sdwa s[0:1], v4, v15 src0_sel:WORD_0 src1_sel:DWORD
	s_nop 1
	v_cndmask_b32_e64 v29, v2, v4, s[0:1]
; %bb.158:                              ;   in Loop: Header=BB308_129 Depth=1
	s_or_b64 exec, exec, s[2:3]
	v_and_b32_e32 v2, 0x7f800000, v5
	v_cmp_ne_u32_e64 s[0:1], s28, v2
                                        ; implicit-def: $vgpr30
	s_and_saveexec_b64 s[2:3], s[0:1]
	s_xor_b64 s[0:1], exec, s[2:3]
; %bb.159:                              ;   in Loop: Header=BB308_129 Depth=1
	v_bfe_u32 v2, v5, 16, 1
	v_add3_u32 v30, v5, v2, s29
                                        ; implicit-def: $vgpr2_vgpr3_vgpr4_vgpr5
; %bb.160:                              ;   in Loop: Header=BB308_129 Depth=1
	s_andn2_saveexec_b64 s[2:3], s[0:1]
; %bb.161:                              ;   in Loop: Header=BB308_129 Depth=1
	v_or_b32_e32 v2, 0x10000, v5
	v_cmp_eq_u32_sdwa s[0:1], v5, v15 src0_sel:WORD_0 src1_sel:DWORD
	s_nop 1
	v_cndmask_b32_e64 v30, v2, v5, s[0:1]
; %bb.162:                              ;   in Loop: Header=BB308_129 Depth=1
	s_or_b64 exec, exec, s[2:3]
	v_mov_b64_e32 v[2:3], s[6:7]
	s_waitcnt vmcnt(0)
	v_mad_i64_i32 v[2:3], s[0:1], v34, s38, v[2:3]
	v_lshl_add_u64 v[4:5], v[2:3], 0, v[14:15]
	global_load_dwordx2 v[6:7], v[4:5], off
	s_load_dword s30, s[14:15], 0x0
	s_waitcnt vmcnt(0)
	v_and_b32_e32 v8, 0xff, v6
	v_cvt_f32_fp8_sdwa v8, v8 src0_sel:BYTE_0
	s_waitcnt lgkmcnt(0)
	v_mul_f32_e32 v9, s30, v8
	v_and_b32_e32 v8, 0x7f800000, v9
	v_cmp_ne_u32_e64 s[0:1], s28, v8
                                        ; implicit-def: $vgpr8
	s_and_saveexec_b64 s[2:3], s[0:1]
	s_xor_b64 s[0:1], exec, s[2:3]
; %bb.163:                              ;   in Loop: Header=BB308_129 Depth=1
	v_bfe_u32 v8, v9, 16, 1
	v_add3_u32 v8, v9, v8, s29
                                        ; implicit-def: $vgpr9
; %bb.164:                              ;   in Loop: Header=BB308_129 Depth=1
	s_andn2_saveexec_b64 s[2:3], s[0:1]
; %bb.165:                              ;   in Loop: Header=BB308_129 Depth=1
	v_or_b32_e32 v8, 0x10000, v9
	v_cmp_eq_u32_sdwa s[0:1], v9, v15 src0_sel:WORD_0 src1_sel:DWORD
	s_nop 1
	v_cndmask_b32_e64 v8, v8, v9, s[0:1]
; %bb.166:                              ;   in Loop: Header=BB308_129 Depth=1
	s_or_b64 exec, exec, s[2:3]
	v_bfe_u32 v9, v6, 8, 8
	v_cvt_f32_fp8_sdwa v9, v9 src0_sel:BYTE_0
	s_nop 0
	v_mul_f32_e32 v34, s30, v9
	v_and_b32_e32 v9, 0x7f800000, v34
	v_cmp_ne_u32_e64 s[0:1], s28, v9
                                        ; implicit-def: $vgpr9
	s_and_saveexec_b64 s[2:3], s[0:1]
	s_xor_b64 s[0:1], exec, s[2:3]
; %bb.167:                              ;   in Loop: Header=BB308_129 Depth=1
	v_bfe_u32 v9, v34, 16, 1
	v_add3_u32 v9, v34, v9, s29
                                        ; implicit-def: $vgpr34
; %bb.168:                              ;   in Loop: Header=BB308_129 Depth=1
	s_andn2_saveexec_b64 s[2:3], s[0:1]
; %bb.169:                              ;   in Loop: Header=BB308_129 Depth=1
	v_or_b32_e32 v9, 0x10000, v34
	v_cmp_eq_u32_sdwa s[0:1], v34, v15 src0_sel:WORD_0 src1_sel:DWORD
	s_nop 1
	v_cndmask_b32_e64 v9, v9, v34, s[0:1]
; %bb.170:                              ;   in Loop: Header=BB308_129 Depth=1
	s_or_b64 exec, exec, s[2:3]
	v_bfe_u32 v34, v6, 16, 8
	v_cvt_f32_fp8_sdwa v34, v34 src0_sel:BYTE_0
	s_nop 0
	v_mul_f32_e32 v35, s30, v34
	v_and_b32_e32 v34, 0x7f800000, v35
	v_cmp_ne_u32_e64 s[0:1], s28, v34
                                        ; implicit-def: $vgpr34
	s_and_saveexec_b64 s[2:3], s[0:1]
	s_xor_b64 s[0:1], exec, s[2:3]
; %bb.171:                              ;   in Loop: Header=BB308_129 Depth=1
	v_bfe_u32 v34, v35, 16, 1
	v_add3_u32 v34, v35, v34, s29
                                        ; implicit-def: $vgpr35
; %bb.172:                              ;   in Loop: Header=BB308_129 Depth=1
	s_andn2_saveexec_b64 s[2:3], s[0:1]
; %bb.173:                              ;   in Loop: Header=BB308_129 Depth=1
	v_or_b32_e32 v34, 0x10000, v35
	v_cmp_eq_u32_sdwa s[0:1], v35, v15 src0_sel:WORD_0 src1_sel:DWORD
	s_nop 1
	v_cndmask_b32_e64 v34, v34, v35, s[0:1]
; %bb.174:                              ;   in Loop: Header=BB308_129 Depth=1
	s_or_b64 exec, exec, s[2:3]
	v_lshrrev_b32_e32 v6, 24, v6
	v_cvt_f32_fp8_sdwa v6, v6 src0_sel:BYTE_0
                                        ; implicit-def: $vgpr37
	s_nop 0
	v_mul_f32_e32 v6, s30, v6
	v_and_b32_e32 v35, 0x7f800000, v6
	v_cmp_ne_u32_e64 s[0:1], s28, v35
	s_and_saveexec_b64 s[2:3], s[0:1]
	s_xor_b64 s[0:1], exec, s[2:3]
; %bb.175:                              ;   in Loop: Header=BB308_129 Depth=1
	v_bfe_u32 v35, v6, 16, 1
	v_add3_u32 v37, v6, v35, s29
                                        ; implicit-def: $vgpr6
; %bb.176:                              ;   in Loop: Header=BB308_129 Depth=1
	s_andn2_saveexec_b64 s[2:3], s[0:1]
; %bb.177:                              ;   in Loop: Header=BB308_129 Depth=1
	v_or_b32_e32 v35, 0x10000, v6
	v_cmp_eq_u32_sdwa s[0:1], v6, v15 src0_sel:WORD_0 src1_sel:DWORD
	s_nop 1
	v_cndmask_b32_e64 v37, v35, v6, s[0:1]
; %bb.178:                              ;   in Loop: Header=BB308_129 Depth=1
	s_or_b64 exec, exec, s[2:3]
	v_and_b32_e32 v6, 0xff, v7
	v_cvt_f32_fp8_sdwa v6, v6 src0_sel:BYTE_0
	s_nop 0
	v_mul_f32_e32 v6, s30, v6
	v_and_b32_e32 v35, 0x7f800000, v6
	v_cmp_ne_u32_e64 s[0:1], s28, v35
                                        ; implicit-def: $vgpr35
	s_and_saveexec_b64 s[2:3], s[0:1]
	s_xor_b64 s[0:1], exec, s[2:3]
; %bb.179:                              ;   in Loop: Header=BB308_129 Depth=1
	v_bfe_u32 v35, v6, 16, 1
	v_add3_u32 v35, v6, v35, s29
                                        ; implicit-def: $vgpr6
; %bb.180:                              ;   in Loop: Header=BB308_129 Depth=1
	s_andn2_saveexec_b64 s[2:3], s[0:1]
; %bb.181:                              ;   in Loop: Header=BB308_129 Depth=1
	v_or_b32_e32 v35, 0x10000, v6
	v_cmp_eq_u32_sdwa s[0:1], v6, v15 src0_sel:WORD_0 src1_sel:DWORD
	s_nop 1
	v_cndmask_b32_e64 v35, v35, v6, s[0:1]
; %bb.182:                              ;   in Loop: Header=BB308_129 Depth=1
	s_or_b64 exec, exec, s[2:3]
	v_bfe_u32 v6, v7, 8, 8
	v_cvt_f32_fp8_sdwa v6, v6 src0_sel:BYTE_0
	s_nop 0
	v_mul_f32_e32 v6, s30, v6
	v_and_b32_e32 v36, 0x7f800000, v6
	v_cmp_ne_u32_e64 s[0:1], s28, v36
                                        ; implicit-def: $vgpr36
	s_and_saveexec_b64 s[2:3], s[0:1]
	s_xor_b64 s[0:1], exec, s[2:3]
; %bb.183:                              ;   in Loop: Header=BB308_129 Depth=1
	v_bfe_u32 v36, v6, 16, 1
	v_add3_u32 v36, v6, v36, s29
                                        ; implicit-def: $vgpr6
; %bb.184:                              ;   in Loop: Header=BB308_129 Depth=1
	s_andn2_saveexec_b64 s[2:3], s[0:1]
; %bb.185:                              ;   in Loop: Header=BB308_129 Depth=1
	v_or_b32_e32 v36, 0x10000, v6
	v_cmp_eq_u32_sdwa s[0:1], v6, v15 src0_sel:WORD_0 src1_sel:DWORD
	s_nop 1
	v_cndmask_b32_e64 v36, v36, v6, s[0:1]
; %bb.186:                              ;   in Loop: Header=BB308_129 Depth=1
	s_or_b64 exec, exec, s[2:3]
	v_bfe_u32 v6, v7, 16, 8
	v_cvt_f32_fp8_sdwa v6, v6 src0_sel:BYTE_0
	s_nop 0
	v_mul_f32_e32 v6, s30, v6
	v_and_b32_e32 v38, 0x7f800000, v6
	v_cmp_ne_u32_e64 s[0:1], s28, v38
                                        ; implicit-def: $vgpr38
	s_and_saveexec_b64 s[2:3], s[0:1]
	s_xor_b64 s[0:1], exec, s[2:3]
; %bb.187:                              ;   in Loop: Header=BB308_129 Depth=1
	v_bfe_u32 v38, v6, 16, 1
	v_add3_u32 v38, v6, v38, s29
                                        ; implicit-def: $vgpr6
; %bb.188:                              ;   in Loop: Header=BB308_129 Depth=1
	s_andn2_saveexec_b64 s[2:3], s[0:1]
; %bb.189:                              ;   in Loop: Header=BB308_129 Depth=1
	v_or_b32_e32 v38, 0x10000, v6
	v_cmp_eq_u32_sdwa s[0:1], v6, v15 src0_sel:WORD_0 src1_sel:DWORD
	s_nop 1
	v_cndmask_b32_e64 v38, v38, v6, s[0:1]
; %bb.190:                              ;   in Loop: Header=BB308_129 Depth=1
	s_or_b64 exec, exec, s[2:3]
	v_lshrrev_b32_e32 v6, 24, v7
	v_cvt_f32_fp8_sdwa v6, v6 src0_sel:BYTE_0
	s_nop 0
	v_mul_f32_e32 v6, s30, v6
	v_and_b32_e32 v7, 0x7f800000, v6
	v_cmp_ne_u32_e64 s[0:1], s28, v7
                                        ; implicit-def: $vgpr7
	s_and_saveexec_b64 s[2:3], s[0:1]
	s_xor_b64 s[0:1], exec, s[2:3]
; %bb.191:                              ;   in Loop: Header=BB308_129 Depth=1
	v_bfe_u32 v7, v6, 16, 1
	v_add3_u32 v7, v6, v7, s29
                                        ; implicit-def: $vgpr6
; %bb.192:                              ;   in Loop: Header=BB308_129 Depth=1
	s_andn2_saveexec_b64 s[2:3], s[0:1]
; %bb.193:                              ;   in Loop: Header=BB308_129 Depth=1
	v_or_b32_e32 v7, 0x10000, v6
	v_cmp_eq_u32_sdwa s[0:1], v6, v15 src0_sel:WORD_0 src1_sel:DWORD
	s_nop 1
	v_cndmask_b32_e64 v7, v7, v6, s[0:1]
; %bb.194:                              ;   in Loop: Header=BB308_129 Depth=1
	s_or_b64 exec, exec, s[2:3]
	v_cmp_eq_u32_e64 s[0:1], s34, v1
	v_add_u32_e32 v6, v23, v20
	v_lshrrev_b32_e32 v36, 16, v36
	v_lshrrev_b32_e32 v35, 16, v35
	v_lshrrev_b32_e32 v39, 16, v37
	v_lshrrev_b32_e32 v34, 16, v34
	v_lshrrev_b32_e32 v9, 16, v9
	v_lshrrev_b32_e32 v8, 16, v8
	v_lshrrev_b32_e32 v37, 16, v38
	v_lshrrev_b32_e32 v38, 16, v7
	s_and_saveexec_b64 s[18:19], s[0:1]
	s_cbranch_execz .LBB308_196
; %bb.195:                              ;   in Loop: Header=BB308_129 Depth=1
	v_cmp_gt_i32_e64 s[2:3], s33, v6
	v_add_u32_e32 v7, 1, v6
	s_nop 0
	v_cndmask_b32_e64 v8, 0, v8, s[2:3]
	v_cmp_gt_i32_e64 s[2:3], s33, v7
	v_add_u32_e32 v7, 2, v6
	s_nop 0
	v_cndmask_b32_e64 v9, 0, v9, s[2:3]
	;; [unrolled: 4-line block ×7, first 2 shown]
	v_cmp_gt_i32_e64 s[2:3], s33, v7
	s_nop 1
	v_cndmask_b32_e64 v38, 0, v38, s[2:3]
.LBB308_196:                            ;   in Loop: Header=BB308_129 Depth=1
	s_or_b64 exec, exec, s[18:19]
	v_and_b32_e32 v7, 0xffff0000, v31
	v_lshlrev_b32_e32 v8, 16, v8
	v_mul_f32_e32 v8, v7, v8
	v_and_b32_e32 v31, 0x7f800000, v8
	v_cmp_ne_u32_e64 s[2:3], s28, v31
                                        ; implicit-def: $vgpr31
	s_and_saveexec_b64 s[18:19], s[2:3]
	s_xor_b64 s[2:3], exec, s[18:19]
; %bb.197:                              ;   in Loop: Header=BB308_129 Depth=1
	v_bfe_u32 v31, v8, 16, 1
	v_add3_u32 v31, v8, v31, s29
                                        ; implicit-def: $vgpr8
; %bb.198:                              ;   in Loop: Header=BB308_129 Depth=1
	s_andn2_saveexec_b64 s[18:19], s[2:3]
; %bb.199:                              ;   in Loop: Header=BB308_129 Depth=1
	v_or_b32_e32 v31, 0x10000, v8
	v_cmp_eq_u32_sdwa s[2:3], v8, v15 src0_sel:WORD_0 src1_sel:DWORD
	s_nop 1
	v_cndmask_b32_e64 v31, v31, v8, s[2:3]
; %bb.200:                              ;   in Loop: Header=BB308_129 Depth=1
	s_or_b64 exec, exec, s[18:19]
	v_and_b32_e32 v8, 0xffff0000, v32
	v_lshlrev_b32_e32 v9, 16, v9
	v_mul_f32_e32 v9, v8, v9
	v_and_b32_e32 v32, 0x7f800000, v9
	v_cmp_ne_u32_e64 s[2:3], s28, v32
                                        ; implicit-def: $vgpr32
	s_and_saveexec_b64 s[18:19], s[2:3]
	s_xor_b64 s[2:3], exec, s[18:19]
; %bb.201:                              ;   in Loop: Header=BB308_129 Depth=1
	v_bfe_u32 v32, v9, 16, 1
	v_add3_u32 v32, v9, v32, s29
                                        ; implicit-def: $vgpr9
; %bb.202:                              ;   in Loop: Header=BB308_129 Depth=1
	s_andn2_saveexec_b64 s[18:19], s[2:3]
; %bb.203:                              ;   in Loop: Header=BB308_129 Depth=1
	v_or_b32_e32 v32, 0x10000, v9
	v_cmp_eq_u32_sdwa s[2:3], v9, v15 src0_sel:WORD_0 src1_sel:DWORD
	s_nop 1
	v_cndmask_b32_e64 v32, v32, v9, s[2:3]
; %bb.204:                              ;   in Loop: Header=BB308_129 Depth=1
	s_or_b64 exec, exec, s[18:19]
	v_and_b32_e32 v9, 0xffff0000, v33
	v_lshlrev_b32_e32 v33, 16, v34
	v_mul_f32_e32 v34, v9, v33
	v_and_b32_e32 v33, 0x7f800000, v34
	v_cmp_ne_u32_e64 s[2:3], s28, v33
                                        ; implicit-def: $vgpr33
	s_and_saveexec_b64 s[18:19], s[2:3]
	s_xor_b64 s[2:3], exec, s[18:19]
; %bb.205:                              ;   in Loop: Header=BB308_129 Depth=1
	v_bfe_u32 v33, v34, 16, 1
	v_add3_u32 v33, v34, v33, s29
                                        ; implicit-def: $vgpr34
; %bb.206:                              ;   in Loop: Header=BB308_129 Depth=1
	s_andn2_saveexec_b64 s[18:19], s[2:3]
; %bb.207:                              ;   in Loop: Header=BB308_129 Depth=1
	v_or_b32_e32 v33, 0x10000, v34
	v_cmp_eq_u32_sdwa s[2:3], v34, v15 src0_sel:WORD_0 src1_sel:DWORD
	s_nop 1
	v_cndmask_b32_e64 v33, v33, v34, s[2:3]
; %bb.208:                              ;   in Loop: Header=BB308_129 Depth=1
	s_or_b64 exec, exec, s[18:19]
	v_and_b32_e32 v26, 0xffff0000, v26
	v_lshlrev_b32_e32 v34, 16, v39
	v_mul_f32_e32 v39, v26, v34
	v_and_b32_e32 v34, 0x7f800000, v39
	v_cmp_ne_u32_e64 s[2:3], s28, v34
                                        ; implicit-def: $vgpr34
	s_and_saveexec_b64 s[18:19], s[2:3]
	s_xor_b64 s[2:3], exec, s[18:19]
; %bb.209:                              ;   in Loop: Header=BB308_129 Depth=1
	v_bfe_u32 v34, v39, 16, 1
	v_add3_u32 v34, v39, v34, s29
                                        ; implicit-def: $vgpr39
; %bb.210:                              ;   in Loop: Header=BB308_129 Depth=1
	s_andn2_saveexec_b64 s[18:19], s[2:3]
; %bb.211:                              ;   in Loop: Header=BB308_129 Depth=1
	v_or_b32_e32 v34, 0x10000, v39
	v_cmp_eq_u32_sdwa s[2:3], v39, v15 src0_sel:WORD_0 src1_sel:DWORD
	s_nop 1
	v_cndmask_b32_e64 v34, v34, v39, s[2:3]
; %bb.212:                              ;   in Loop: Header=BB308_129 Depth=1
	s_or_b64 exec, exec, s[18:19]
	v_and_b32_e32 v27, 0xffff0000, v27
	v_lshlrev_b32_e32 v35, 16, v35
	v_mul_f32_e32 v39, v27, v35
	v_and_b32_e32 v35, 0x7f800000, v39
	v_cmp_ne_u32_e64 s[2:3], s28, v35
                                        ; implicit-def: $vgpr35
	s_and_saveexec_b64 s[18:19], s[2:3]
	s_xor_b64 s[2:3], exec, s[18:19]
; %bb.213:                              ;   in Loop: Header=BB308_129 Depth=1
	v_bfe_u32 v35, v39, 16, 1
	v_add3_u32 v35, v39, v35, s29
                                        ; implicit-def: $vgpr39
; %bb.214:                              ;   in Loop: Header=BB308_129 Depth=1
	s_andn2_saveexec_b64 s[18:19], s[2:3]
; %bb.215:                              ;   in Loop: Header=BB308_129 Depth=1
	v_or_b32_e32 v35, 0x10000, v39
	v_cmp_eq_u32_sdwa s[2:3], v39, v15 src0_sel:WORD_0 src1_sel:DWORD
	s_nop 1
	v_cndmask_b32_e64 v35, v35, v39, s[2:3]
; %bb.216:                              ;   in Loop: Header=BB308_129 Depth=1
	s_or_b64 exec, exec, s[18:19]
	v_and_b32_e32 v28, 0xffff0000, v28
	v_lshlrev_b32_e32 v36, 16, v36
	v_mul_f32_e32 v39, v28, v36
	v_and_b32_e32 v36, 0x7f800000, v39
	v_cmp_ne_u32_e64 s[2:3], s28, v36
                                        ; implicit-def: $vgpr36
	s_and_saveexec_b64 s[18:19], s[2:3]
	s_xor_b64 s[2:3], exec, s[18:19]
; %bb.217:                              ;   in Loop: Header=BB308_129 Depth=1
	v_bfe_u32 v36, v39, 16, 1
	v_add3_u32 v36, v39, v36, s29
                                        ; implicit-def: $vgpr39
; %bb.218:                              ;   in Loop: Header=BB308_129 Depth=1
	s_andn2_saveexec_b64 s[18:19], s[2:3]
; %bb.219:                              ;   in Loop: Header=BB308_129 Depth=1
	v_or_b32_e32 v36, 0x10000, v39
	v_cmp_eq_u32_sdwa s[2:3], v39, v15 src0_sel:WORD_0 src1_sel:DWORD
	s_nop 1
	v_cndmask_b32_e64 v36, v36, v39, s[2:3]
; %bb.220:                              ;   in Loop: Header=BB308_129 Depth=1
	s_or_b64 exec, exec, s[18:19]
	v_and_b32_e32 v29, 0xffff0000, v29
	v_lshlrev_b32_e32 v37, 16, v37
	v_mul_f32_e32 v39, v29, v37
	v_and_b32_e32 v37, 0x7f800000, v39
	v_cmp_ne_u32_e64 s[2:3], s28, v37
                                        ; implicit-def: $vgpr37
	s_and_saveexec_b64 s[18:19], s[2:3]
	s_xor_b64 s[2:3], exec, s[18:19]
; %bb.221:                              ;   in Loop: Header=BB308_129 Depth=1
	v_bfe_u32 v37, v39, 16, 1
	v_add3_u32 v37, v39, v37, s29
                                        ; implicit-def: $vgpr39
; %bb.222:                              ;   in Loop: Header=BB308_129 Depth=1
	s_andn2_saveexec_b64 s[18:19], s[2:3]
; %bb.223:                              ;   in Loop: Header=BB308_129 Depth=1
	v_or_b32_e32 v37, 0x10000, v39
	v_cmp_eq_u32_sdwa s[2:3], v39, v15 src0_sel:WORD_0 src1_sel:DWORD
	s_nop 1
	v_cndmask_b32_e64 v37, v37, v39, s[2:3]
; %bb.224:                              ;   in Loop: Header=BB308_129 Depth=1
	s_or_b64 exec, exec, s[18:19]
	v_and_b32_e32 v30, 0xffff0000, v30
	v_lshlrev_b32_e32 v38, 16, v38
	v_mul_f32_e32 v39, v30, v38
	v_and_b32_e32 v38, 0x7f800000, v39
	v_cmp_ne_u32_e64 s[2:3], s28, v38
                                        ; implicit-def: $vgpr38
	s_and_saveexec_b64 s[18:19], s[2:3]
	s_xor_b64 s[2:3], exec, s[18:19]
; %bb.225:                              ;   in Loop: Header=BB308_129 Depth=1
	v_bfe_u32 v38, v39, 16, 1
	v_add3_u32 v38, v39, v38, s29
                                        ; implicit-def: $vgpr39
; %bb.226:                              ;   in Loop: Header=BB308_129 Depth=1
	s_andn2_saveexec_b64 s[18:19], s[2:3]
; %bb.227:                              ;   in Loop: Header=BB308_129 Depth=1
	v_or_b32_e32 v38, 0x10000, v39
	v_cmp_eq_u32_sdwa s[2:3], v39, v15 src0_sel:WORD_0 src1_sel:DWORD
	s_nop 1
	v_cndmask_b32_e64 v38, v38, v39, s[2:3]
; %bb.228:                              ;   in Loop: Header=BB308_129 Depth=1
	s_or_b64 exec, exec, s[18:19]
	global_load_dwordx2 v[4:5], v[4:5], off offset:512
	s_waitcnt vmcnt(0)
	v_and_b32_e32 v39, 0xff, v4
	v_cvt_f32_fp8_sdwa v39, v39 src0_sel:BYTE_0
	s_nop 0
	v_mul_f32_e32 v40, s30, v39
	v_and_b32_e32 v39, 0x7f800000, v40
	v_cmp_ne_u32_e64 s[2:3], s28, v39
                                        ; implicit-def: $vgpr39
	s_and_saveexec_b64 s[18:19], s[2:3]
	s_xor_b64 s[2:3], exec, s[18:19]
; %bb.229:                              ;   in Loop: Header=BB308_129 Depth=1
	v_bfe_u32 v39, v40, 16, 1
	v_add3_u32 v39, v40, v39, s29
                                        ; implicit-def: $vgpr40
; %bb.230:                              ;   in Loop: Header=BB308_129 Depth=1
	s_andn2_saveexec_b64 s[18:19], s[2:3]
; %bb.231:                              ;   in Loop: Header=BB308_129 Depth=1
	v_or_b32_e32 v39, 0x10000, v40
	v_cmp_eq_u32_sdwa s[2:3], v40, v15 src0_sel:WORD_0 src1_sel:DWORD
	s_nop 1
	v_cndmask_b32_e64 v39, v39, v40, s[2:3]
; %bb.232:                              ;   in Loop: Header=BB308_129 Depth=1
	s_or_b64 exec, exec, s[18:19]
	v_bfe_u32 v40, v4, 8, 8
	v_cvt_f32_fp8_sdwa v40, v40 src0_sel:BYTE_0
	s_nop 0
	v_mul_f32_e32 v41, s30, v40
	v_and_b32_e32 v40, 0x7f800000, v41
	v_cmp_ne_u32_e64 s[2:3], s28, v40
                                        ; implicit-def: $vgpr40
	s_and_saveexec_b64 s[18:19], s[2:3]
	s_xor_b64 s[2:3], exec, s[18:19]
; %bb.233:                              ;   in Loop: Header=BB308_129 Depth=1
	v_bfe_u32 v40, v41, 16, 1
	v_add3_u32 v40, v41, v40, s29
                                        ; implicit-def: $vgpr41
; %bb.234:                              ;   in Loop: Header=BB308_129 Depth=1
	s_andn2_saveexec_b64 s[18:19], s[2:3]
; %bb.235:                              ;   in Loop: Header=BB308_129 Depth=1
	v_or_b32_e32 v40, 0x10000, v41
	v_cmp_eq_u32_sdwa s[2:3], v41, v15 src0_sel:WORD_0 src1_sel:DWORD
	s_nop 1
	v_cndmask_b32_e64 v40, v40, v41, s[2:3]
; %bb.236:                              ;   in Loop: Header=BB308_129 Depth=1
	s_or_b64 exec, exec, s[18:19]
	v_bfe_u32 v41, v4, 16, 8
	v_cvt_f32_fp8_sdwa v41, v41 src0_sel:BYTE_0
	s_nop 0
	v_mul_f32_e32 v41, s30, v41
	v_and_b32_e32 v42, 0x7f800000, v41
	v_cmp_ne_u32_e64 s[2:3], s28, v42
                                        ; implicit-def: $vgpr42
	s_and_saveexec_b64 s[18:19], s[2:3]
	s_xor_b64 s[2:3], exec, s[18:19]
; %bb.237:                              ;   in Loop: Header=BB308_129 Depth=1
	v_bfe_u32 v42, v41, 16, 1
	v_add3_u32 v42, v41, v42, s29
                                        ; implicit-def: $vgpr41
; %bb.238:                              ;   in Loop: Header=BB308_129 Depth=1
	s_andn2_saveexec_b64 s[18:19], s[2:3]
; %bb.239:                              ;   in Loop: Header=BB308_129 Depth=1
	v_or_b32_e32 v42, 0x10000, v41
	v_cmp_eq_u32_sdwa s[2:3], v41, v15 src0_sel:WORD_0 src1_sel:DWORD
	s_nop 1
	v_cndmask_b32_e64 v42, v42, v41, s[2:3]
; %bb.240:                              ;   in Loop: Header=BB308_129 Depth=1
	s_or_b64 exec, exec, s[18:19]
	v_lshrrev_b32_e32 v4, 24, v4
	v_cvt_f32_fp8_sdwa v4, v4 src0_sel:BYTE_0
	s_nop 0
	v_mul_f32_e32 v41, s30, v4
	v_and_b32_e32 v4, 0x7f800000, v41
	v_cmp_ne_u32_e64 s[2:3], s28, v4
                                        ; implicit-def: $vgpr4
	s_and_saveexec_b64 s[18:19], s[2:3]
	s_xor_b64 s[2:3], exec, s[18:19]
; %bb.241:                              ;   in Loop: Header=BB308_129 Depth=1
	v_bfe_u32 v4, v41, 16, 1
	v_add3_u32 v4, v41, v4, s29
                                        ; implicit-def: $vgpr41
; %bb.242:                              ;   in Loop: Header=BB308_129 Depth=1
	s_andn2_saveexec_b64 s[18:19], s[2:3]
; %bb.243:                              ;   in Loop: Header=BB308_129 Depth=1
	v_or_b32_e32 v4, 0x10000, v41
	v_cmp_eq_u32_sdwa s[2:3], v41, v15 src0_sel:WORD_0 src1_sel:DWORD
	s_nop 1
	v_cndmask_b32_e64 v4, v4, v41, s[2:3]
; %bb.244:                              ;   in Loop: Header=BB308_129 Depth=1
	s_or_b64 exec, exec, s[18:19]
	v_and_b32_e32 v41, 0xff, v5
	v_cvt_f32_fp8_sdwa v41, v41 src0_sel:BYTE_0
	s_nop 0
	v_mul_f32_e32 v41, s30, v41
	v_and_b32_e32 v43, 0x7f800000, v41
	v_cmp_ne_u32_e64 s[2:3], s28, v43
                                        ; implicit-def: $vgpr43
	s_and_saveexec_b64 s[18:19], s[2:3]
	s_xor_b64 s[2:3], exec, s[18:19]
; %bb.245:                              ;   in Loop: Header=BB308_129 Depth=1
	v_bfe_u32 v43, v41, 16, 1
	v_add3_u32 v43, v41, v43, s29
                                        ; implicit-def: $vgpr41
; %bb.246:                              ;   in Loop: Header=BB308_129 Depth=1
	s_andn2_saveexec_b64 s[18:19], s[2:3]
; %bb.247:                              ;   in Loop: Header=BB308_129 Depth=1
	v_or_b32_e32 v43, 0x10000, v41
	v_cmp_eq_u32_sdwa s[2:3], v41, v15 src0_sel:WORD_0 src1_sel:DWORD
	s_nop 1
	v_cndmask_b32_e64 v43, v43, v41, s[2:3]
; %bb.248:                              ;   in Loop: Header=BB308_129 Depth=1
	s_or_b64 exec, exec, s[18:19]
	v_bfe_u32 v41, v5, 8, 8
	v_cvt_f32_fp8_sdwa v41, v41 src0_sel:BYTE_0
	s_nop 0
	v_mul_f32_e32 v44, s30, v41
	v_and_b32_e32 v41, 0x7f800000, v44
	v_cmp_ne_u32_e64 s[2:3], s28, v41
                                        ; implicit-def: $vgpr41
	s_and_saveexec_b64 s[18:19], s[2:3]
	s_xor_b64 s[2:3], exec, s[18:19]
; %bb.249:                              ;   in Loop: Header=BB308_129 Depth=1
	v_bfe_u32 v41, v44, 16, 1
	v_add3_u32 v41, v44, v41, s29
                                        ; implicit-def: $vgpr44
; %bb.250:                              ;   in Loop: Header=BB308_129 Depth=1
	s_andn2_saveexec_b64 s[18:19], s[2:3]
; %bb.251:                              ;   in Loop: Header=BB308_129 Depth=1
	v_or_b32_e32 v41, 0x10000, v44
	v_cmp_eq_u32_sdwa s[2:3], v44, v15 src0_sel:WORD_0 src1_sel:DWORD
	s_nop 1
	v_cndmask_b32_e64 v41, v41, v44, s[2:3]
; %bb.252:                              ;   in Loop: Header=BB308_129 Depth=1
	s_or_b64 exec, exec, s[18:19]
	v_bfe_u32 v44, v5, 16, 8
	v_cvt_f32_fp8_sdwa v44, v44 src0_sel:BYTE_0
	s_nop 0
	v_mul_f32_e32 v44, s30, v44
	v_and_b32_e32 v45, 0x7f800000, v44
	v_cmp_ne_u32_e64 s[2:3], s28, v45
                                        ; implicit-def: $vgpr45
	s_and_saveexec_b64 s[18:19], s[2:3]
	s_xor_b64 s[2:3], exec, s[18:19]
; %bb.253:                              ;   in Loop: Header=BB308_129 Depth=1
	v_bfe_u32 v45, v44, 16, 1
	v_add3_u32 v45, v44, v45, s29
                                        ; implicit-def: $vgpr44
; %bb.254:                              ;   in Loop: Header=BB308_129 Depth=1
	s_andn2_saveexec_b64 s[18:19], s[2:3]
; %bb.255:                              ;   in Loop: Header=BB308_129 Depth=1
	v_or_b32_e32 v45, 0x10000, v44
	v_cmp_eq_u32_sdwa s[2:3], v44, v15 src0_sel:WORD_0 src1_sel:DWORD
	s_nop 1
	v_cndmask_b32_e64 v45, v45, v44, s[2:3]
; %bb.256:                              ;   in Loop: Header=BB308_129 Depth=1
	s_or_b64 exec, exec, s[18:19]
	v_lshrrev_b32_e32 v5, 24, v5
	v_cvt_f32_fp8_sdwa v5, v5 src0_sel:BYTE_0
                                        ; implicit-def: $vgpr46
	s_nop 0
	v_mul_f32_e32 v5, s30, v5
	v_and_b32_e32 v44, 0x7f800000, v5
	v_cmp_ne_u32_e64 s[2:3], s28, v44
	s_and_saveexec_b64 s[18:19], s[2:3]
	s_xor_b64 s[2:3], exec, s[18:19]
; %bb.257:                              ;   in Loop: Header=BB308_129 Depth=1
	v_bfe_u32 v44, v5, 16, 1
	v_add3_u32 v46, v5, v44, s29
                                        ; implicit-def: $vgpr5
; %bb.258:                              ;   in Loop: Header=BB308_129 Depth=1
	s_andn2_saveexec_b64 s[18:19], s[2:3]
; %bb.259:                              ;   in Loop: Header=BB308_129 Depth=1
	v_or_b32_e32 v44, 0x10000, v5
	v_cmp_eq_u32_sdwa s[2:3], v5, v15 src0_sel:WORD_0 src1_sel:DWORD
	s_nop 1
	v_cndmask_b32_e64 v46, v44, v5, s[2:3]
; %bb.260:                              ;   in Loop: Header=BB308_129 Depth=1
	s_or_b64 exec, exec, s[18:19]
	v_lshrrev_b32_e32 v41, 16, v41
	v_lshrrev_b32_e32 v43, 16, v43
	;; [unrolled: 1-line block ×8, first 2 shown]
	s_and_saveexec_b64 s[18:19], s[0:1]
	s_cbranch_execz .LBB308_262
; %bb.261:                              ;   in Loop: Header=BB308_129 Depth=1
	v_cmp_gt_i32_e64 s[2:3], s33, v6
	v_add_u32_e32 v45, 1, v6
	s_nop 0
	v_cndmask_b32_e64 v5, 0, v5, s[2:3]
	v_cmp_gt_i32_e64 s[2:3], s33, v45
	v_add_u32_e32 v45, 2, v6
	s_nop 0
	v_cndmask_b32_e64 v40, 0, v40, s[2:3]
	;; [unrolled: 4-line block ×7, first 2 shown]
	v_cmp_gt_i32_e64 s[2:3], s33, v45
	s_nop 1
	v_cndmask_b32_e64 v4, 0, v4, s[2:3]
.LBB308_262:                            ;   in Loop: Header=BB308_129 Depth=1
	s_or_b64 exec, exec, s[18:19]
	v_lshlrev_b32_e32 v5, 16, v5
	v_mul_f32_e32 v45, v7, v5
	v_and_b32_e32 v5, 0x7f800000, v45
	v_cmp_ne_u32_e64 s[2:3], s28, v5
                                        ; implicit-def: $vgpr5
	s_and_saveexec_b64 s[18:19], s[2:3]
	s_xor_b64 s[2:3], exec, s[18:19]
; %bb.263:                              ;   in Loop: Header=BB308_129 Depth=1
	v_bfe_u32 v5, v45, 16, 1
	v_add3_u32 v5, v45, v5, s29
                                        ; implicit-def: $vgpr45
; %bb.264:                              ;   in Loop: Header=BB308_129 Depth=1
	s_andn2_saveexec_b64 s[18:19], s[2:3]
; %bb.265:                              ;   in Loop: Header=BB308_129 Depth=1
	v_or_b32_e32 v5, 0x10000, v45
	v_cmp_eq_u32_sdwa s[2:3], v45, v15 src0_sel:WORD_0 src1_sel:DWORD
	s_nop 1
	v_cndmask_b32_e64 v5, v5, v45, s[2:3]
; %bb.266:                              ;   in Loop: Header=BB308_129 Depth=1
	s_or_b64 exec, exec, s[18:19]
	v_lshlrev_b32_e32 v40, 16, v40
	v_mul_f32_e32 v45, v8, v40
	v_and_b32_e32 v40, 0x7f800000, v45
	v_cmp_ne_u32_e64 s[2:3], s28, v40
                                        ; implicit-def: $vgpr40
	s_and_saveexec_b64 s[18:19], s[2:3]
	s_xor_b64 s[2:3], exec, s[18:19]
; %bb.267:                              ;   in Loop: Header=BB308_129 Depth=1
	v_bfe_u32 v40, v45, 16, 1
	v_add3_u32 v40, v45, v40, s29
                                        ; implicit-def: $vgpr45
; %bb.268:                              ;   in Loop: Header=BB308_129 Depth=1
	s_andn2_saveexec_b64 s[18:19], s[2:3]
; %bb.269:                              ;   in Loop: Header=BB308_129 Depth=1
	v_or_b32_e32 v40, 0x10000, v45
	v_cmp_eq_u32_sdwa s[2:3], v45, v15 src0_sel:WORD_0 src1_sel:DWORD
	s_nop 1
	v_cndmask_b32_e64 v40, v40, v45, s[2:3]
; %bb.270:                              ;   in Loop: Header=BB308_129 Depth=1
	s_or_b64 exec, exec, s[18:19]
	v_lshlrev_b32_e32 v42, 16, v42
	v_mul_f32_e32 v45, v9, v42
	v_and_b32_e32 v42, 0x7f800000, v45
	v_cmp_ne_u32_e64 s[2:3], s28, v42
                                        ; implicit-def: $vgpr42
	s_and_saveexec_b64 s[18:19], s[2:3]
	s_xor_b64 s[2:3], exec, s[18:19]
; %bb.271:                              ;   in Loop: Header=BB308_129 Depth=1
	v_bfe_u32 v42, v45, 16, 1
	v_add3_u32 v42, v45, v42, s29
                                        ; implicit-def: $vgpr45
; %bb.272:                              ;   in Loop: Header=BB308_129 Depth=1
	s_andn2_saveexec_b64 s[18:19], s[2:3]
; %bb.273:                              ;   in Loop: Header=BB308_129 Depth=1
	v_or_b32_e32 v42, 0x10000, v45
	v_cmp_eq_u32_sdwa s[2:3], v45, v15 src0_sel:WORD_0 src1_sel:DWORD
	s_nop 1
	v_cndmask_b32_e64 v42, v42, v45, s[2:3]
; %bb.274:                              ;   in Loop: Header=BB308_129 Depth=1
	s_or_b64 exec, exec, s[18:19]
	v_lshlrev_b32_e32 v44, 16, v44
	v_mul_f32_e32 v45, v26, v44
	v_and_b32_e32 v44, 0x7f800000, v45
	v_cmp_ne_u32_e64 s[2:3], s28, v44
                                        ; implicit-def: $vgpr44
	s_and_saveexec_b64 s[18:19], s[2:3]
	s_xor_b64 s[2:3], exec, s[18:19]
; %bb.275:                              ;   in Loop: Header=BB308_129 Depth=1
	v_bfe_u32 v44, v45, 16, 1
	v_add3_u32 v44, v45, v44, s29
                                        ; implicit-def: $vgpr45
; %bb.276:                              ;   in Loop: Header=BB308_129 Depth=1
	s_andn2_saveexec_b64 s[18:19], s[2:3]
; %bb.277:                              ;   in Loop: Header=BB308_129 Depth=1
	v_or_b32_e32 v44, 0x10000, v45
	v_cmp_eq_u32_sdwa s[2:3], v45, v15 src0_sel:WORD_0 src1_sel:DWORD
	s_nop 1
	v_cndmask_b32_e64 v44, v44, v45, s[2:3]
; %bb.278:                              ;   in Loop: Header=BB308_129 Depth=1
	s_or_b64 exec, exec, s[18:19]
	v_lshlrev_b32_e32 v43, 16, v43
	v_mul_f32_e32 v45, v27, v43
	v_and_b32_e32 v43, 0x7f800000, v45
	v_cmp_ne_u32_e64 s[2:3], s28, v43
                                        ; implicit-def: $vgpr43
	s_and_saveexec_b64 s[18:19], s[2:3]
	s_xor_b64 s[2:3], exec, s[18:19]
; %bb.279:                              ;   in Loop: Header=BB308_129 Depth=1
	v_bfe_u32 v43, v45, 16, 1
	v_add3_u32 v43, v45, v43, s29
                                        ; implicit-def: $vgpr45
; %bb.280:                              ;   in Loop: Header=BB308_129 Depth=1
	s_andn2_saveexec_b64 s[18:19], s[2:3]
; %bb.281:                              ;   in Loop: Header=BB308_129 Depth=1
	v_or_b32_e32 v43, 0x10000, v45
	v_cmp_eq_u32_sdwa s[2:3], v45, v15 src0_sel:WORD_0 src1_sel:DWORD
	s_nop 1
	v_cndmask_b32_e64 v43, v43, v45, s[2:3]
; %bb.282:                              ;   in Loop: Header=BB308_129 Depth=1
	s_or_b64 exec, exec, s[18:19]
	v_lshlrev_b32_e32 v41, 16, v41
	v_mul_f32_e32 v45, v28, v41
	v_and_b32_e32 v41, 0x7f800000, v45
	v_cmp_ne_u32_e64 s[2:3], s28, v41
                                        ; implicit-def: $vgpr41
	s_and_saveexec_b64 s[18:19], s[2:3]
	s_xor_b64 s[2:3], exec, s[18:19]
; %bb.283:                              ;   in Loop: Header=BB308_129 Depth=1
	v_bfe_u32 v41, v45, 16, 1
	v_add3_u32 v41, v45, v41, s29
                                        ; implicit-def: $vgpr45
; %bb.284:                              ;   in Loop: Header=BB308_129 Depth=1
	s_andn2_saveexec_b64 s[18:19], s[2:3]
; %bb.285:                              ;   in Loop: Header=BB308_129 Depth=1
	v_or_b32_e32 v41, 0x10000, v45
	v_cmp_eq_u32_sdwa s[2:3], v45, v15 src0_sel:WORD_0 src1_sel:DWORD
	s_nop 1
	v_cndmask_b32_e64 v41, v41, v45, s[2:3]
; %bb.286:                              ;   in Loop: Header=BB308_129 Depth=1
	s_or_b64 exec, exec, s[18:19]
	v_lshlrev_b32_e32 v39, 16, v39
	v_mul_f32_e32 v45, v29, v39
	v_and_b32_e32 v39, 0x7f800000, v45
	v_cmp_ne_u32_e64 s[2:3], s28, v39
                                        ; implicit-def: $vgpr39
	s_and_saveexec_b64 s[18:19], s[2:3]
	s_xor_b64 s[2:3], exec, s[18:19]
; %bb.287:                              ;   in Loop: Header=BB308_129 Depth=1
	v_bfe_u32 v39, v45, 16, 1
	v_add3_u32 v39, v45, v39, s29
                                        ; implicit-def: $vgpr45
; %bb.288:                              ;   in Loop: Header=BB308_129 Depth=1
	s_andn2_saveexec_b64 s[18:19], s[2:3]
; %bb.289:                              ;   in Loop: Header=BB308_129 Depth=1
	v_or_b32_e32 v39, 0x10000, v45
	v_cmp_eq_u32_sdwa s[2:3], v45, v15 src0_sel:WORD_0 src1_sel:DWORD
	s_nop 1
	v_cndmask_b32_e64 v39, v39, v45, s[2:3]
; %bb.290:                              ;   in Loop: Header=BB308_129 Depth=1
	s_or_b64 exec, exec, s[18:19]
	v_lshlrev_b32_e32 v4, 16, v4
	v_mul_f32_e32 v45, v30, v4
	v_and_b32_e32 v4, 0x7f800000, v45
	v_cmp_ne_u32_e64 s[2:3], s28, v4
                                        ; implicit-def: $vgpr4
	s_and_saveexec_b64 s[18:19], s[2:3]
	s_xor_b64 s[2:3], exec, s[18:19]
; %bb.291:                              ;   in Loop: Header=BB308_129 Depth=1
	v_bfe_u32 v4, v45, 16, 1
	v_add3_u32 v4, v45, v4, s29
                                        ; implicit-def: $vgpr45
; %bb.292:                              ;   in Loop: Header=BB308_129 Depth=1
	s_andn2_saveexec_b64 s[18:19], s[2:3]
; %bb.293:                              ;   in Loop: Header=BB308_129 Depth=1
	v_or_b32_e32 v4, 0x10000, v45
	v_cmp_eq_u32_sdwa s[2:3], v45, v15 src0_sel:WORD_0 src1_sel:DWORD
	s_nop 1
	v_cndmask_b32_e64 v4, v4, v45, s[2:3]
; %bb.294:                              ;   in Loop: Header=BB308_129 Depth=1
	s_or_b64 exec, exec, s[18:19]
	v_and_b32_e32 v46, 0xffff0000, v36
	v_and_b32_e32 v36, 0xffff0000, v35
	;; [unrolled: 1-line block ×8, first 2 shown]
	v_pk_add_f32 v[32:33], v[32:33], v[34:35]
	v_pk_add_f32 v[34:35], v[36:37], v[46:47]
	v_add_f32_e32 v31, v32, v33
	v_add_f32_e32 v31, v31, v34
	;; [unrolled: 1-line block ×3, first 2 shown]
	v_and_b32_e32 v35, 0xffff0000, v39
	v_and_b32_e32 v37, 0xffff0000, v44
	v_and_b32_e32 v36, 0xffff0000, v40
	v_and_b32_e32 v39, 0xffff0000, v42
	v_and_b32_e32 v38, 0xffff0000, v5
	v_and_b32_e32 v33, 0xffff0000, v4
	v_and_b32_e32 v32, 0xffff0000, v41
	v_and_b32_e32 v34, 0xffff0000, v43
	v_pk_add_f32 v[4:5], v[38:39], v[36:37]
	v_pk_add_f32 v[32:33], v[34:35], v[32:33]
	v_add_f32_e32 v4, v4, v5
	v_add_f32_e32 v4, v4, v32
	;; [unrolled: 1-line block ×5, first 2 shown]
	s_and_saveexec_b64 s[18:19], vcc
	s_cbranch_execz .LBB308_127
; %bb.295:                              ;   in Loop: Header=BB308_129 Depth=1
	v_lshl_add_u64 v[2:3], v[2:3], 0, v[16:17]
	global_load_dwordx2 v[2:3], v[2:3], off
	s_waitcnt vmcnt(0)
	v_and_b32_e32 v4, 0xff, v2
	v_cvt_f32_fp8_sdwa v4, v4 src0_sel:BYTE_0
	s_nop 0
	v_mul_f32_e32 v5, s30, v4
	v_and_b32_e32 v4, 0x7f800000, v5
	v_cmp_ne_u32_e64 s[2:3], s28, v4
                                        ; implicit-def: $vgpr4
	s_and_saveexec_b64 s[20:21], s[2:3]
	s_xor_b64 s[2:3], exec, s[20:21]
; %bb.296:                              ;   in Loop: Header=BB308_129 Depth=1
	v_bfe_u32 v4, v5, 16, 1
	v_add3_u32 v4, v5, v4, s29
                                        ; implicit-def: $vgpr5
; %bb.297:                              ;   in Loop: Header=BB308_129 Depth=1
	s_andn2_saveexec_b64 s[20:21], s[2:3]
; %bb.298:                              ;   in Loop: Header=BB308_129 Depth=1
	v_or_b32_e32 v4, 0x10000, v5
	v_cmp_eq_u32_sdwa s[2:3], v5, v15 src0_sel:WORD_0 src1_sel:DWORD
	s_nop 1
	v_cndmask_b32_e64 v4, v4, v5, s[2:3]
; %bb.299:                              ;   in Loop: Header=BB308_129 Depth=1
	s_or_b64 exec, exec, s[20:21]
	v_bfe_u32 v5, v2, 8, 8
	v_cvt_f32_fp8_sdwa v5, v5 src0_sel:BYTE_0
	s_nop 0
	v_mul_f32_e32 v31, s30, v5
	v_and_b32_e32 v5, 0x7f800000, v31
	v_cmp_ne_u32_e64 s[2:3], s28, v5
                                        ; implicit-def: $vgpr5
	s_and_saveexec_b64 s[20:21], s[2:3]
	s_xor_b64 s[2:3], exec, s[20:21]
; %bb.300:                              ;   in Loop: Header=BB308_129 Depth=1
	v_bfe_u32 v5, v31, 16, 1
	v_add3_u32 v5, v31, v5, s29
                                        ; implicit-def: $vgpr31
; %bb.301:                              ;   in Loop: Header=BB308_129 Depth=1
	s_andn2_saveexec_b64 s[20:21], s[2:3]
; %bb.302:                              ;   in Loop: Header=BB308_129 Depth=1
	v_or_b32_e32 v5, 0x10000, v31
	v_cmp_eq_u32_sdwa s[2:3], v31, v15 src0_sel:WORD_0 src1_sel:DWORD
	s_nop 1
	v_cndmask_b32_e64 v5, v5, v31, s[2:3]
; %bb.303:                              ;   in Loop: Header=BB308_129 Depth=1
	s_or_b64 exec, exec, s[20:21]
	v_bfe_u32 v31, v2, 16, 8
	v_cvt_f32_fp8_sdwa v31, v31 src0_sel:BYTE_0
	s_nop 0
	v_mul_f32_e32 v31, s30, v31
	v_and_b32_e32 v32, 0x7f800000, v31
	v_cmp_ne_u32_e64 s[2:3], s28, v32
                                        ; implicit-def: $vgpr32
	s_and_saveexec_b64 s[20:21], s[2:3]
	s_xor_b64 s[2:3], exec, s[20:21]
; %bb.304:                              ;   in Loop: Header=BB308_129 Depth=1
	v_bfe_u32 v32, v31, 16, 1
	v_add3_u32 v32, v31, v32, s29
                                        ; implicit-def: $vgpr31
; %bb.305:                              ;   in Loop: Header=BB308_129 Depth=1
	s_andn2_saveexec_b64 s[20:21], s[2:3]
; %bb.306:                              ;   in Loop: Header=BB308_129 Depth=1
	v_or_b32_e32 v32, 0x10000, v31
	v_cmp_eq_u32_sdwa s[2:3], v31, v15 src0_sel:WORD_0 src1_sel:DWORD
	s_nop 1
	v_cndmask_b32_e64 v32, v32, v31, s[2:3]
; %bb.307:                              ;   in Loop: Header=BB308_129 Depth=1
	s_or_b64 exec, exec, s[20:21]
	v_lshrrev_b32_e32 v2, 24, v2
	v_cvt_f32_fp8_sdwa v2, v2 src0_sel:BYTE_0
	s_nop 0
	v_mul_f32_e32 v31, s30, v2
	v_and_b32_e32 v2, 0x7f800000, v31
	v_cmp_ne_u32_e64 s[2:3], s28, v2
                                        ; implicit-def: $vgpr2
	s_and_saveexec_b64 s[20:21], s[2:3]
	s_xor_b64 s[2:3], exec, s[20:21]
; %bb.308:                              ;   in Loop: Header=BB308_129 Depth=1
	v_bfe_u32 v2, v31, 16, 1
	v_add3_u32 v2, v31, v2, s29
                                        ; implicit-def: $vgpr31
; %bb.309:                              ;   in Loop: Header=BB308_129 Depth=1
	s_andn2_saveexec_b64 s[20:21], s[2:3]
; %bb.310:                              ;   in Loop: Header=BB308_129 Depth=1
	v_or_b32_e32 v2, 0x10000, v31
	v_cmp_eq_u32_sdwa s[2:3], v31, v15 src0_sel:WORD_0 src1_sel:DWORD
	s_nop 1
	v_cndmask_b32_e64 v2, v2, v31, s[2:3]
; %bb.311:                              ;   in Loop: Header=BB308_129 Depth=1
	s_or_b64 exec, exec, s[20:21]
	v_and_b32_e32 v31, 0xff, v3
	v_cvt_f32_fp8_sdwa v31, v31 src0_sel:BYTE_0
	s_nop 0
	v_mul_f32_e32 v31, s30, v31
	v_and_b32_e32 v33, 0x7f800000, v31
	v_cmp_ne_u32_e64 s[2:3], s28, v33
                                        ; implicit-def: $vgpr33
	s_and_saveexec_b64 s[20:21], s[2:3]
	s_xor_b64 s[2:3], exec, s[20:21]
; %bb.312:                              ;   in Loop: Header=BB308_129 Depth=1
	v_bfe_u32 v33, v31, 16, 1
	v_add3_u32 v33, v31, v33, s29
                                        ; implicit-def: $vgpr31
; %bb.313:                              ;   in Loop: Header=BB308_129 Depth=1
	s_andn2_saveexec_b64 s[20:21], s[2:3]
; %bb.314:                              ;   in Loop: Header=BB308_129 Depth=1
	v_or_b32_e32 v33, 0x10000, v31
	v_cmp_eq_u32_sdwa s[2:3], v31, v15 src0_sel:WORD_0 src1_sel:DWORD
	s_nop 1
	v_cndmask_b32_e64 v33, v33, v31, s[2:3]
; %bb.315:                              ;   in Loop: Header=BB308_129 Depth=1
	s_or_b64 exec, exec, s[20:21]
	v_bfe_u32 v31, v3, 8, 8
	v_cvt_f32_fp8_sdwa v31, v31 src0_sel:BYTE_0
	s_nop 0
	v_mul_f32_e32 v34, s30, v31
	v_and_b32_e32 v31, 0x7f800000, v34
	v_cmp_ne_u32_e64 s[2:3], s28, v31
                                        ; implicit-def: $vgpr31
	s_and_saveexec_b64 s[20:21], s[2:3]
	s_xor_b64 s[2:3], exec, s[20:21]
; %bb.316:                              ;   in Loop: Header=BB308_129 Depth=1
	v_bfe_u32 v31, v34, 16, 1
	v_add3_u32 v31, v34, v31, s29
                                        ; implicit-def: $vgpr34
; %bb.317:                              ;   in Loop: Header=BB308_129 Depth=1
	s_andn2_saveexec_b64 s[20:21], s[2:3]
; %bb.318:                              ;   in Loop: Header=BB308_129 Depth=1
	v_or_b32_e32 v31, 0x10000, v34
	v_cmp_eq_u32_sdwa s[2:3], v34, v15 src0_sel:WORD_0 src1_sel:DWORD
	s_nop 1
	v_cndmask_b32_e64 v31, v31, v34, s[2:3]
; %bb.319:                              ;   in Loop: Header=BB308_129 Depth=1
	s_or_b64 exec, exec, s[20:21]
	v_bfe_u32 v34, v3, 16, 8
	v_cvt_f32_fp8_sdwa v34, v34 src0_sel:BYTE_0
	s_nop 0
	v_mul_f32_e32 v34, s30, v34
	v_and_b32_e32 v35, 0x7f800000, v34
	v_cmp_ne_u32_e64 s[2:3], s28, v35
                                        ; implicit-def: $vgpr35
	s_and_saveexec_b64 s[20:21], s[2:3]
	s_xor_b64 s[2:3], exec, s[20:21]
; %bb.320:                              ;   in Loop: Header=BB308_129 Depth=1
	v_bfe_u32 v35, v34, 16, 1
	v_add3_u32 v35, v34, v35, s29
                                        ; implicit-def: $vgpr34
; %bb.321:                              ;   in Loop: Header=BB308_129 Depth=1
	s_andn2_saveexec_b64 s[20:21], s[2:3]
; %bb.322:                              ;   in Loop: Header=BB308_129 Depth=1
	v_or_b32_e32 v35, 0x10000, v34
	v_cmp_eq_u32_sdwa s[2:3], v34, v15 src0_sel:WORD_0 src1_sel:DWORD
	s_nop 1
	v_cndmask_b32_e64 v35, v35, v34, s[2:3]
; %bb.323:                              ;   in Loop: Header=BB308_129 Depth=1
	s_or_b64 exec, exec, s[20:21]
	v_lshrrev_b32_e32 v3, 24, v3
	v_cvt_f32_fp8_sdwa v3, v3 src0_sel:BYTE_0
                                        ; implicit-def: $vgpr36
	s_nop 0
	v_mul_f32_e32 v3, s30, v3
	v_and_b32_e32 v34, 0x7f800000, v3
	v_cmp_ne_u32_e64 s[2:3], s28, v34
	s_and_saveexec_b64 s[20:21], s[2:3]
	s_xor_b64 s[2:3], exec, s[20:21]
; %bb.324:                              ;   in Loop: Header=BB308_129 Depth=1
	v_bfe_u32 v34, v3, 16, 1
	v_add3_u32 v36, v3, v34, s29
                                        ; implicit-def: $vgpr3
; %bb.325:                              ;   in Loop: Header=BB308_129 Depth=1
	s_andn2_saveexec_b64 s[20:21], s[2:3]
; %bb.326:                              ;   in Loop: Header=BB308_129 Depth=1
	v_or_b32_e32 v34, 0x10000, v3
	v_cmp_eq_u32_sdwa s[2:3], v3, v15 src0_sel:WORD_0 src1_sel:DWORD
	s_nop 1
	v_cndmask_b32_e64 v36, v34, v3, s[2:3]
; %bb.327:                              ;   in Loop: Header=BB308_129 Depth=1
	s_or_b64 exec, exec, s[20:21]
	v_lshrrev_b32_e32 v31, 16, v31
	v_lshrrev_b32_e32 v33, 16, v33
	;; [unrolled: 1-line block ×8, first 2 shown]
	s_and_saveexec_b64 s[2:3], s[0:1]
	s_cbranch_execz .LBB308_329
; %bb.328:                              ;   in Loop: Header=BB308_129 Depth=1
	v_cmp_gt_i32_e64 s[0:1], s33, v6
	v_add_u32_e32 v35, 1, v6
	s_nop 0
	v_cndmask_b32_e64 v3, 0, v3, s[0:1]
	v_cmp_gt_i32_e64 s[0:1], s33, v35
	v_add_u32_e32 v35, 2, v6
	s_nop 0
	v_cndmask_b32_e64 v5, 0, v5, s[0:1]
	v_cmp_gt_i32_e64 s[0:1], s33, v35
	v_add_u32_e32 v35, 3, v6
	s_nop 0
	v_cndmask_b32_e64 v32, 0, v32, s[0:1]
	v_cmp_gt_i32_e64 s[0:1], s33, v35
	v_add_u32_e32 v35, 4, v6
	s_nop 0
	v_cndmask_b32_e64 v34, 0, v34, s[0:1]
	v_cmp_gt_i32_e64 s[0:1], s33, v35
	v_add_u32_e32 v35, 5, v6
	s_nop 0
	v_cndmask_b32_e64 v33, 0, v33, s[0:1]
	v_cmp_gt_i32_e64 s[0:1], s33, v35
	v_add_u32_e32 v35, 6, v6
	v_add_u32_e32 v6, 7, v6
	v_cndmask_b32_e64 v31, 0, v31, s[0:1]
	v_cmp_gt_i32_e64 s[0:1], s33, v35
	s_nop 1
	v_cndmask_b32_e64 v4, 0, v4, s[0:1]
	v_cmp_gt_i32_e64 s[0:1], s33, v6
	s_nop 1
	v_cndmask_b32_e64 v2, 0, v2, s[0:1]
.LBB308_329:                            ;   in Loop: Header=BB308_129 Depth=1
	s_or_b64 exec, exec, s[2:3]
	v_lshlrev_b32_e32 v3, 16, v3
	v_mul_f32_e32 v6, v7, v3
	v_and_b32_e32 v3, 0x7f800000, v6
	v_cmp_ne_u32_e64 s[0:1], s28, v3
                                        ; implicit-def: $vgpr3
	s_and_saveexec_b64 s[2:3], s[0:1]
	s_xor_b64 s[0:1], exec, s[2:3]
; %bb.330:                              ;   in Loop: Header=BB308_129 Depth=1
	v_bfe_u32 v3, v6, 16, 1
	v_add3_u32 v3, v6, v3, s29
                                        ; implicit-def: $vgpr6
; %bb.331:                              ;   in Loop: Header=BB308_129 Depth=1
	s_andn2_saveexec_b64 s[2:3], s[0:1]
; %bb.332:                              ;   in Loop: Header=BB308_129 Depth=1
	v_or_b32_e32 v3, 0x10000, v6
	v_cmp_eq_u32_sdwa s[0:1], v6, v15 src0_sel:WORD_0 src1_sel:DWORD
	s_nop 1
	v_cndmask_b32_e64 v3, v3, v6, s[0:1]
; %bb.333:                              ;   in Loop: Header=BB308_129 Depth=1
	s_or_b64 exec, exec, s[2:3]
	v_lshlrev_b32_e32 v5, 16, v5
	v_mul_f32_e32 v6, v8, v5
	v_and_b32_e32 v5, 0x7f800000, v6
	v_cmp_ne_u32_e64 s[0:1], s28, v5
                                        ; implicit-def: $vgpr5
	s_and_saveexec_b64 s[2:3], s[0:1]
	s_xor_b64 s[0:1], exec, s[2:3]
; %bb.334:                              ;   in Loop: Header=BB308_129 Depth=1
	v_bfe_u32 v5, v6, 16, 1
	v_add3_u32 v5, v6, v5, s29
                                        ; implicit-def: $vgpr6
; %bb.335:                              ;   in Loop: Header=BB308_129 Depth=1
	s_andn2_saveexec_b64 s[2:3], s[0:1]
; %bb.336:                              ;   in Loop: Header=BB308_129 Depth=1
	v_or_b32_e32 v5, 0x10000, v6
	v_cmp_eq_u32_sdwa s[0:1], v6, v15 src0_sel:WORD_0 src1_sel:DWORD
	s_nop 1
	v_cndmask_b32_e64 v5, v5, v6, s[0:1]
; %bb.337:                              ;   in Loop: Header=BB308_129 Depth=1
	s_or_b64 exec, exec, s[2:3]
	v_lshlrev_b32_e32 v6, 16, v32
	v_mul_f32_e32 v7, v9, v6
	v_and_b32_e32 v6, 0x7f800000, v7
	v_cmp_ne_u32_e64 s[0:1], s28, v6
                                        ; implicit-def: $vgpr6
	s_and_saveexec_b64 s[2:3], s[0:1]
	s_xor_b64 s[0:1], exec, s[2:3]
; %bb.338:                              ;   in Loop: Header=BB308_129 Depth=1
	v_bfe_u32 v6, v7, 16, 1
	v_add3_u32 v6, v7, v6, s29
                                        ; implicit-def: $vgpr7
; %bb.339:                              ;   in Loop: Header=BB308_129 Depth=1
	s_andn2_saveexec_b64 s[2:3], s[0:1]
; %bb.340:                              ;   in Loop: Header=BB308_129 Depth=1
	v_or_b32_e32 v6, 0x10000, v7
	v_cmp_eq_u32_sdwa s[0:1], v7, v15 src0_sel:WORD_0 src1_sel:DWORD
	s_nop 1
	v_cndmask_b32_e64 v6, v6, v7, s[0:1]
; %bb.341:                              ;   in Loop: Header=BB308_129 Depth=1
	s_or_b64 exec, exec, s[2:3]
	v_lshlrev_b32_e32 v7, 16, v34
	v_mul_f32_e32 v8, v26, v7
	v_and_b32_e32 v7, 0x7f800000, v8
	v_cmp_ne_u32_e64 s[0:1], s28, v7
                                        ; implicit-def: $vgpr7
	s_and_saveexec_b64 s[2:3], s[0:1]
	s_xor_b64 s[0:1], exec, s[2:3]
; %bb.342:                              ;   in Loop: Header=BB308_129 Depth=1
	v_bfe_u32 v7, v8, 16, 1
	v_add3_u32 v7, v8, v7, s29
                                        ; implicit-def: $vgpr8
; %bb.343:                              ;   in Loop: Header=BB308_129 Depth=1
	s_andn2_saveexec_b64 s[2:3], s[0:1]
; %bb.344:                              ;   in Loop: Header=BB308_129 Depth=1
	v_or_b32_e32 v7, 0x10000, v8
	v_cmp_eq_u32_sdwa s[0:1], v8, v15 src0_sel:WORD_0 src1_sel:DWORD
	s_nop 1
	v_cndmask_b32_e64 v7, v7, v8, s[0:1]
; %bb.345:                              ;   in Loop: Header=BB308_129 Depth=1
	s_or_b64 exec, exec, s[2:3]
	v_lshlrev_b32_e32 v8, 16, v33
	v_mul_f32_e32 v9, v27, v8
	v_and_b32_e32 v8, 0x7f800000, v9
	v_cmp_ne_u32_e64 s[0:1], s28, v8
                                        ; implicit-def: $vgpr8
	s_and_saveexec_b64 s[2:3], s[0:1]
	s_xor_b64 s[0:1], exec, s[2:3]
; %bb.346:                              ;   in Loop: Header=BB308_129 Depth=1
	v_bfe_u32 v8, v9, 16, 1
	v_add3_u32 v8, v9, v8, s29
                                        ; implicit-def: $vgpr9
; %bb.347:                              ;   in Loop: Header=BB308_129 Depth=1
	s_andn2_saveexec_b64 s[2:3], s[0:1]
; %bb.348:                              ;   in Loop: Header=BB308_129 Depth=1
	v_or_b32_e32 v8, 0x10000, v9
	v_cmp_eq_u32_sdwa s[0:1], v9, v15 src0_sel:WORD_0 src1_sel:DWORD
	s_nop 1
	v_cndmask_b32_e64 v8, v8, v9, s[0:1]
; %bb.349:                              ;   in Loop: Header=BB308_129 Depth=1
	s_or_b64 exec, exec, s[2:3]
	v_lshlrev_b32_e32 v9, 16, v31
	v_mul_f32_e32 v26, v28, v9
	v_and_b32_e32 v9, 0x7f800000, v26
	v_cmp_ne_u32_e64 s[0:1], s28, v9
                                        ; implicit-def: $vgpr9
	s_and_saveexec_b64 s[2:3], s[0:1]
	s_xor_b64 s[0:1], exec, s[2:3]
; %bb.350:                              ;   in Loop: Header=BB308_129 Depth=1
	v_bfe_u32 v9, v26, 16, 1
	v_add3_u32 v9, v26, v9, s29
                                        ; implicit-def: $vgpr26
; %bb.351:                              ;   in Loop: Header=BB308_129 Depth=1
	s_andn2_saveexec_b64 s[2:3], s[0:1]
; %bb.352:                              ;   in Loop: Header=BB308_129 Depth=1
	v_or_b32_e32 v9, 0x10000, v26
	v_cmp_eq_u32_sdwa s[0:1], v26, v15 src0_sel:WORD_0 src1_sel:DWORD
	s_nop 1
	v_cndmask_b32_e64 v9, v9, v26, s[0:1]
; %bb.353:                              ;   in Loop: Header=BB308_129 Depth=1
	s_or_b64 exec, exec, s[2:3]
	v_lshlrev_b32_e32 v4, 16, v4
	v_mul_f32_e32 v26, v29, v4
	v_and_b32_e32 v4, 0x7f800000, v26
	v_cmp_ne_u32_e64 s[0:1], s28, v4
                                        ; implicit-def: $vgpr4
	s_and_saveexec_b64 s[2:3], s[0:1]
	s_xor_b64 s[0:1], exec, s[2:3]
; %bb.354:                              ;   in Loop: Header=BB308_129 Depth=1
	v_bfe_u32 v4, v26, 16, 1
	v_add3_u32 v4, v26, v4, s29
                                        ; implicit-def: $vgpr26
; %bb.355:                              ;   in Loop: Header=BB308_129 Depth=1
	s_andn2_saveexec_b64 s[2:3], s[0:1]
; %bb.356:                              ;   in Loop: Header=BB308_129 Depth=1
	v_or_b32_e32 v4, 0x10000, v26
	v_cmp_eq_u32_sdwa s[0:1], v26, v15 src0_sel:WORD_0 src1_sel:DWORD
	s_nop 1
	v_cndmask_b32_e64 v4, v4, v26, s[0:1]
; %bb.357:                              ;   in Loop: Header=BB308_129 Depth=1
	s_or_b64 exec, exec, s[2:3]
	v_lshlrev_b32_e32 v2, 16, v2
	v_mul_f32_e32 v2, v30, v2
	v_and_b32_e32 v26, 0x7f800000, v2
	v_cmp_ne_u32_e64 s[0:1], s28, v26
                                        ; implicit-def: $vgpr26
	s_and_saveexec_b64 s[2:3], s[0:1]
	s_xor_b64 s[0:1], exec, s[2:3]
; %bb.358:                              ;   in Loop: Header=BB308_129 Depth=1
	v_bfe_u32 v26, v2, 16, 1
	v_add3_u32 v26, v2, v26, s29
                                        ; implicit-def: $vgpr2
; %bb.359:                              ;   in Loop: Header=BB308_129 Depth=1
	s_andn2_saveexec_b64 s[2:3], s[0:1]
	s_cbranch_execz .LBB308_126
; %bb.360:                              ;   in Loop: Header=BB308_129 Depth=1
	v_or_b32_e32 v26, 0x10000, v2
	v_cmp_eq_u32_sdwa s[0:1], v2, v15 src0_sel:WORD_0 src1_sel:DWORD
	s_nop 1
	v_cndmask_b32_e64 v26, v26, v2, s[0:1]
	s_branch .LBB308_126
.LBB308_361:
	s_or_b64 exec, exec, s[12:13]
.LBB308_362:
	s_or_b64 exec, exec, s[8:9]
	ds_bpermute_b32 v2, v13, v10
	ds_bpermute_b32 v3, v13, v11
	;; [unrolled: 1-line block ×3, first 2 shown]
	s_waitcnt lgkmcnt(0)
	s_barrier
	v_pk_add_f32 v[4:5], v[10:11], v[2:3]
	v_add_f32_e32 v2, v12, v1
	v_and_b32_e32 v1, 0x3c0, v0
	v_cmp_eq_u32_e32 vcc, 64, v1
	s_and_saveexec_b64 s[2:3], vcc
	s_cbranch_execz .LBB308_367
; %bb.363:
	v_cmp_eq_u32_e32 vcc, 0, v21
	s_and_saveexec_b64 s[0:1], vcc
	s_cbranch_execz .LBB308_365
; %bb.364:
	v_mov_b32_e32 v1, 0xb0
	v_lshl_add_u32 v1, v22, 2, v1
	ds_write2_b32 v1, v4, v5 offset1:32
.LBB308_365:
	s_or_b64 exec, exec, s[0:1]
	v_or_b32_e32 v1, 64, v22
	s_movk_i32 s0, 0x50
	v_cmp_gt_u32_e64 s[0:1], s0, v1
	s_and_b64 s[0:1], vcc, s[0:1]
	s_and_b64 exec, exec, s[0:1]
	s_cbranch_execz .LBB308_367
; %bb.366:
	v_mov_b32_e32 v1, 0xb0
	v_lshl_add_u32 v1, v22, 2, v1
	ds_write_b32 v1, v2 offset:256
.LBB308_367:
	s_or_b64 exec, exec, s[2:3]
	v_cmp_gt_u32_e32 vcc, 64, v0
	v_cmp_lt_u32_e64 s[0:1], 63, v0
	s_waitcnt lgkmcnt(0)
	s_barrier
	s_and_saveexec_b64 s[2:3], s[0:1]
	s_xor_b64 s[0:1], exec, s[2:3]
	s_or_saveexec_b64 s[6:7], s[0:1]
	v_lshrrev_b32_e32 v3, 1, v0
	s_xor_b64 exec, exec, s[6:7]
	s_cbranch_execz .LBB308_375
; %bb.368:
	v_cmp_eq_u32_e64 s[0:1], 0, v21
	s_and_saveexec_b64 s[2:3], s[0:1]
	s_cbranch_execz .LBB308_370
; %bb.369:
	v_mov_b32_e32 v0, 0xb0
	v_lshl_add_u32 v0, v3, 2, v0
	ds_read_b32 v0, v0
	s_waitcnt lgkmcnt(0)
	v_add_f32_e32 v4, v4, v0
.LBB308_370:
	s_or_b64 exec, exec, s[2:3]
	s_and_saveexec_b64 s[2:3], s[0:1]
	s_cbranch_execz .LBB308_372
; %bb.371:
	v_mov_b32_e32 v0, 0xb0
	v_lshl_add_u32 v0, v3, 2, v0
	ds_read_b32 v0, v0 offset:128
	s_waitcnt lgkmcnt(0)
	v_add_f32_e32 v5, v5, v0
.LBB308_372:
	s_or_b64 exec, exec, s[2:3]
	v_or_b32_e32 v0, 64, v3
	s_movk_i32 s2, 0x50
	v_cmp_gt_u32_e64 s[2:3], s2, v0
	s_and_b64 s[2:3], s[0:1], s[2:3]
	s_and_saveexec_b64 s[0:1], s[2:3]
	s_cbranch_execz .LBB308_374
; %bb.373:
	v_mov_b32_e32 v0, 0xb0
	v_lshl_add_u32 v0, v3, 2, v0
	ds_read_b32 v0, v0 offset:256
	s_waitcnt lgkmcnt(0)
	v_add_f32_e32 v2, v2, v0
.LBB308_374:
	s_or_b64 exec, exec, s[0:1]
.LBB308_375:
	s_or_b64 exec, exec, s[6:7]
	s_barrier
	s_and_saveexec_b64 s[0:1], vcc
	s_cbranch_execz .LBB308_392
; %bb.376:
	s_mul_i32 s0, s10, s11
	s_mul_i32 s0, s0, s5
	s_mulk_i32 s0, 0x50
	s_ashr_i32 s1, s0, 31
	s_lshl_b64 s[0:1], s[0:1], 1
	s_add_u32 s2, s26, s0
	s_mul_i32 s0, s11, s24
	s_addc_u32 s3, s27, s1
	s_ashr_i32 s1, s0, 31
	s_lshl_b64 s[0:1], s[0:1], 1
	s_add_u32 s2, s2, s0
	s_mul_i32 s0, s4, 0x50
	s_addc_u32 s3, s3, s1
	s_ashr_i32 s1, s0, 31
	s_lshl_b64 s[0:1], s[0:1], 1
	s_add_u32 s2, s2, s0
	s_addc_u32 s3, s3, s1
	v_cmp_eq_u32_e32 vcc, 0, v21
	s_and_saveexec_b64 s[4:5], vcc
	s_cbranch_execz .LBB308_386
; %bb.377:
	s_mov_b32 s0, 0x7f800000
	v_and_b32_e32 v0, 0x7f800000, v4
	v_cmp_ne_u32_e64 s[0:1], s0, v0
                                        ; implicit-def: $vgpr6
	s_and_saveexec_b64 s[6:7], s[0:1]
	s_xor_b64 s[0:1], exec, s[6:7]
; %bb.378:
	v_bfe_u32 v0, v4, 16, 1
	s_movk_i32 s6, 0x7fff
	v_add3_u32 v6, v4, v0, s6
; %bb.379:
	s_andn2_saveexec_b64 s[6:7], s[0:1]
; %bb.380:
	v_mov_b32_e32 v0, 0
	v_or_b32_e32 v1, 0x10000, v4
	v_cmp_eq_u32_sdwa s[0:1], v4, v0 src0_sel:WORD_0 src1_sel:DWORD
	s_nop 1
	v_cndmask_b32_e64 v6, v1, v4, s[0:1]
; %bb.381:
	s_or_b64 exec, exec, s[6:7]
	s_mov_b32 s0, 0x7f800000
	v_and_b32_e32 v4, 0x7f800000, v5
	v_lshlrev_b32_e32 v0, 1, v3
	v_mov_b32_e32 v1, 0
	v_cmp_ne_u32_e64 s[0:1], s0, v4
	global_store_short_d16_hi v0, v6, s[2:3]
                                        ; implicit-def: $vgpr7
	s_and_saveexec_b64 s[6:7], s[0:1]
	s_xor_b64 s[0:1], exec, s[6:7]
; %bb.382:
	v_bfe_u32 v4, v5, 16, 1
	s_movk_i32 s6, 0x7fff
	v_add3_u32 v7, v5, v4, s6
                                        ; implicit-def: $vgpr4_vgpr5_vgpr6
; %bb.383:
	s_or_saveexec_b64 s[6:7], s[0:1]
	v_lshl_add_u64 v[0:1], s[2:3], 0, v[0:1]
	s_xor_b64 exec, exec, s[6:7]
; %bb.384:
	v_mov_b32_e32 v4, 0
	v_or_b32_e32 v6, 0x10000, v5
	v_cmp_eq_u32_sdwa s[0:1], v5, v4 src0_sel:WORD_0 src1_sel:DWORD
	s_nop 1
	v_cndmask_b32_e64 v7, v6, v5, s[0:1]
; %bb.385:
	s_or_b64 exec, exec, s[6:7]
	global_store_short_d16_hi v[0:1], v7, off offset:64
.LBB308_386:
	s_or_b64 exec, exec, s[4:5]
	v_or_b32_e32 v0, 64, v3
	s_movk_i32 s0, 0x50
	v_cmp_gt_u32_e64 s[0:1], s0, v0
	s_and_b64 s[0:1], vcc, s[0:1]
	s_and_b64 exec, exec, s[0:1]
	s_cbranch_execz .LBB308_392
; %bb.387:
	s_mov_b32 s0, 0x7f800000
	v_and_b32_e32 v0, 0x7f800000, v2
	v_cmp_ne_u32_e32 vcc, s0, v0
                                        ; implicit-def: $vgpr0
	s_and_saveexec_b64 s[0:1], vcc
	s_xor_b64 s[0:1], exec, s[0:1]
; %bb.388:
	v_bfe_u32 v0, v2, 16, 1
	s_movk_i32 s4, 0x7fff
	v_add3_u32 v0, v2, v0, s4
                                        ; implicit-def: $vgpr2
; %bb.389:
	s_andn2_saveexec_b64 s[0:1], s[0:1]
; %bb.390:
	v_mov_b32_e32 v0, 0
	v_or_b32_e32 v1, 0x10000, v2
	v_cmp_eq_u32_sdwa vcc, v2, v0 src0_sel:WORD_0 src1_sel:DWORD
	s_nop 1
	v_cndmask_b32_e32 v0, v1, v2, vcc
; %bb.391:
	s_or_b64 exec, exec, s[0:1]
	v_lshlrev_b32_e32 v1, 1, v3
	global_store_short_d16_hi v1, v0, s[2:3] offset:128
.LBB308_392:
	s_endpgm
	.section	.rodata,"a",@progbits
	.p2align	6, 0x0
	.amdhsa_kernel _ZN4vllm25paged_attention_v1_kernelI14__hip_bfloat16hLi80ELi16ELi128ELNS_18Fp8KVCacheDataTypeE1ELb1EEEvPT_PKS3_PKT0_S9_ifPKiSB_iPKfiiiSD_SD_iiiii
		.amdhsa_group_segment_fixed_size 176
		.amdhsa_private_segment_fixed_size 0
		.amdhsa_kernarg_size 384
		.amdhsa_user_sgpr_count 2
		.amdhsa_user_sgpr_dispatch_ptr 0
		.amdhsa_user_sgpr_queue_ptr 0
		.amdhsa_user_sgpr_kernarg_segment_ptr 1
		.amdhsa_user_sgpr_dispatch_id 0
		.amdhsa_user_sgpr_kernarg_preload_length 0
		.amdhsa_user_sgpr_kernarg_preload_offset 0
		.amdhsa_user_sgpr_private_segment_size 0
		.amdhsa_uses_dynamic_stack 0
		.amdhsa_enable_private_segment 0
		.amdhsa_system_sgpr_workgroup_id_x 1
		.amdhsa_system_sgpr_workgroup_id_y 1
		.amdhsa_system_sgpr_workgroup_id_z 1
		.amdhsa_system_sgpr_workgroup_info 0
		.amdhsa_system_vgpr_workitem_id 0
		.amdhsa_next_free_vgpr 63
		.amdhsa_next_free_sgpr 52
		.amdhsa_accum_offset 64
		.amdhsa_reserve_vcc 1
		.amdhsa_float_round_mode_32 0
		.amdhsa_float_round_mode_16_64 0
		.amdhsa_float_denorm_mode_32 3
		.amdhsa_float_denorm_mode_16_64 3
		.amdhsa_dx10_clamp 1
		.amdhsa_ieee_mode 1
		.amdhsa_fp16_overflow 0
		.amdhsa_tg_split 0
		.amdhsa_exception_fp_ieee_invalid_op 0
		.amdhsa_exception_fp_denorm_src 0
		.amdhsa_exception_fp_ieee_div_zero 0
		.amdhsa_exception_fp_ieee_overflow 0
		.amdhsa_exception_fp_ieee_underflow 0
		.amdhsa_exception_fp_ieee_inexact 0
		.amdhsa_exception_int_div_zero 0
	.end_amdhsa_kernel
	.section	.text._ZN4vllm25paged_attention_v1_kernelI14__hip_bfloat16hLi80ELi16ELi128ELNS_18Fp8KVCacheDataTypeE1ELb1EEEvPT_PKS3_PKT0_S9_ifPKiSB_iPKfiiiSD_SD_iiiii,"axG",@progbits,_ZN4vllm25paged_attention_v1_kernelI14__hip_bfloat16hLi80ELi16ELi128ELNS_18Fp8KVCacheDataTypeE1ELb1EEEvPT_PKS3_PKT0_S9_ifPKiSB_iPKfiiiSD_SD_iiiii,comdat
.Lfunc_end308:
	.size	_ZN4vllm25paged_attention_v1_kernelI14__hip_bfloat16hLi80ELi16ELi128ELNS_18Fp8KVCacheDataTypeE1ELb1EEEvPT_PKS3_PKT0_S9_ifPKiSB_iPKfiiiSD_SD_iiiii, .Lfunc_end308-_ZN4vllm25paged_attention_v1_kernelI14__hip_bfloat16hLi80ELi16ELi128ELNS_18Fp8KVCacheDataTypeE1ELb1EEEvPT_PKS3_PKT0_S9_ifPKiSB_iPKfiiiSD_SD_iiiii
                                        ; -- End function
	.section	.AMDGPU.csdata,"",@progbits
; Kernel info:
; codeLenInByte = 12848
; NumSgprs: 58
; NumVgprs: 63
; NumAgprs: 0
; TotalNumVgprs: 63
; ScratchSize: 0
; MemoryBound: 0
; FloatMode: 240
; IeeeMode: 1
; LDSByteSize: 176 bytes/workgroup (compile time only)
; SGPRBlocks: 7
; VGPRBlocks: 7
; NumSGPRsForWavesPerEU: 58
; NumVGPRsForWavesPerEU: 63
; AccumOffset: 64
; Occupancy: 8
; WaveLimiterHint : 1
; COMPUTE_PGM_RSRC2:SCRATCH_EN: 0
; COMPUTE_PGM_RSRC2:USER_SGPR: 2
; COMPUTE_PGM_RSRC2:TRAP_HANDLER: 0
; COMPUTE_PGM_RSRC2:TGID_X_EN: 1
; COMPUTE_PGM_RSRC2:TGID_Y_EN: 1
; COMPUTE_PGM_RSRC2:TGID_Z_EN: 1
; COMPUTE_PGM_RSRC2:TIDIG_COMP_CNT: 0
; COMPUTE_PGM_RSRC3_GFX90A:ACCUM_OFFSET: 15
; COMPUTE_PGM_RSRC3_GFX90A:TG_SPLIT: 0
	.section	.text._ZN4vllm25paged_attention_v1_kernelI14__hip_bfloat16hLi96ELi16ELi128ELNS_18Fp8KVCacheDataTypeE1ELb1EEEvPT_PKS3_PKT0_S9_ifPKiSB_iPKfiiiSD_SD_iiiii,"axG",@progbits,_ZN4vllm25paged_attention_v1_kernelI14__hip_bfloat16hLi96ELi16ELi128ELNS_18Fp8KVCacheDataTypeE1ELb1EEEvPT_PKS3_PKT0_S9_ifPKiSB_iPKfiiiSD_SD_iiiii,comdat
	.protected	_ZN4vllm25paged_attention_v1_kernelI14__hip_bfloat16hLi96ELi16ELi128ELNS_18Fp8KVCacheDataTypeE1ELb1EEEvPT_PKS3_PKT0_S9_ifPKiSB_iPKfiiiSD_SD_iiiii ; -- Begin function _ZN4vllm25paged_attention_v1_kernelI14__hip_bfloat16hLi96ELi16ELi128ELNS_18Fp8KVCacheDataTypeE1ELb1EEEvPT_PKS3_PKT0_S9_ifPKiSB_iPKfiiiSD_SD_iiiii
	.globl	_ZN4vllm25paged_attention_v1_kernelI14__hip_bfloat16hLi96ELi16ELi128ELNS_18Fp8KVCacheDataTypeE1ELb1EEEvPT_PKS3_PKT0_S9_ifPKiSB_iPKfiiiSD_SD_iiiii
	.p2align	8
	.type	_ZN4vllm25paged_attention_v1_kernelI14__hip_bfloat16hLi96ELi16ELi128ELNS_18Fp8KVCacheDataTypeE1ELb1EEEvPT_PKS3_PKT0_S9_ifPKiSB_iPKfiiiSD_SD_iiiii,@function
_ZN4vllm25paged_attention_v1_kernelI14__hip_bfloat16hLi96ELi16ELi128ELNS_18Fp8KVCacheDataTypeE1ELb1EEEvPT_PKS3_PKT0_S9_ifPKiSB_iPKfiiiSD_SD_iiiii: ; @_ZN4vllm25paged_attention_v1_kernelI14__hip_bfloat16hLi96ELi16ELi128ELNS_18Fp8KVCacheDataTypeE1ELb1EEEvPT_PKS3_PKT0_S9_ifPKiSB_iPKfiiiSD_SD_iiiii
; %bb.0:
	s_load_dword s5, s[0:1], 0x80
	s_load_dwordx2 s[6:7], s[0:1], 0x30
	s_load_dwordx2 s[36:37], s[0:1], 0x20
	s_mov_b32 s10, s3
	s_ashr_i32 s11, s3, 31
	s_lshl_b64 s[8:9], s[10:11], 2
	s_waitcnt lgkmcnt(0)
	s_add_u32 s6, s6, s8
	s_addc_u32 s7, s7, s9
	s_abs_i32 s3, s36
	v_cvt_f32_u32_e32 v1, s3
	s_sub_i32 s11, 0, s3
	s_abs_i32 s9, s5
	s_xor_b32 s8, s5, s36
	v_rcp_iflag_f32_e32 v1, v1
	s_ashr_i32 s8, s8, 31
	s_mov_b32 s44, 0
	v_mul_f32_e32 v1, 0x4f7ffffe, v1
	v_cvt_u32_f32_e32 v1, v1
	s_nop 0
	v_readfirstlane_b32 s12, v1
	s_mul_i32 s11, s11, s12
	s_mul_hi_u32 s11, s12, s11
	s_add_i32 s12, s12, s11
	s_mul_hi_u32 s11, s9, s12
	s_mul_i32 s12, s11, s3
	s_sub_i32 s9, s9, s12
	s_add_i32 s12, s11, 1
	s_sub_i32 s13, s9, s3
	s_cmp_ge_u32 s9, s3
	s_cselect_b32 s11, s12, s11
	s_cselect_b32 s9, s13, s9
	s_add_i32 s12, s11, 1
	s_cmp_ge_u32 s9, s3
	s_cselect_b32 s3, s12, s11
	s_xor_b32 s3, s3, s8
	s_sub_i32 s14, s3, s8
	s_abs_i32 s11, s14
	v_cvt_f32_u32_e32 v1, s11
	s_load_dwordx2 s[8:9], s[0:1], 0x40
	s_sub_i32 s3, 0, s11
	s_abs_i32 s12, s2
	v_rcp_iflag_f32_e32 v1, v1
	s_nop 0
	v_mul_f32_e32 v1, 0x4f7ffffe, v1
	v_cvt_u32_f32_e32 v1, v1
	s_nop 0
	v_readfirstlane_b32 s13, v1
	s_mul_i32 s3, s3, s13
	s_mul_hi_u32 s3, s13, s3
	s_add_i32 s13, s13, s3
	s_waitcnt lgkmcnt(0)
	s_cmp_eq_u64 s[8:9], 0
	s_mul_hi_u32 s13, s12, s13
	s_cbranch_scc1 .LBB309_2
; %bb.1:
	s_ashr_i32 s3, s2, 31
	s_lshl_b64 s[16:17], s[2:3], 2
	s_add_u32 s8, s8, s16
	s_addc_u32 s9, s9, s17
	s_load_dword s44, s[8:9], 0x0
.LBB309_2:
	s_load_dword s33, s[6:7], 0x0
	s_load_dwordx4 s[16:19], s[0:1], 0x48
	s_ashr_i32 s8, s2, 31
	s_ashr_i32 s9, s14, 31
	v_and_b32_e32 v2, 3, v0
	s_mul_i32 s24, s2, 0x60
	v_cmp_gt_u32_e32 vcc, 48, v0
	s_and_saveexec_b64 s[6:7], vcc
	s_cbranch_execz .LBB309_4
; %bb.3:
	s_load_dwordx2 s[14:15], s[0:1], 0x8
	s_waitcnt lgkmcnt(0)
	s_mul_i32 s20, s10, s16
	s_ashr_i32 s21, s20, 31
	s_lshl_b64 s[20:21], s[20:21], 1
	v_lshlrev_b32_e32 v1, 2, v0
	s_add_u32 s3, s14, s20
	s_addc_u32 s16, s15, s21
	s_ashr_i32 s25, s24, 31
	s_lshl_b64 s[14:15], s[24:25], 1
	s_add_u32 s14, s3, s14
	s_addc_u32 s15, s16, s15
	global_load_dword v1, v1, s[14:15]
	v_and_b32_e32 v3, 0x3fc, v0
	v_mad_u32_u24 v3, v2, 48, v3
	s_waitcnt vmcnt(0)
	ds_write_b32 v3, v1
.LBB309_4:
	s_or_b64 exec, exec, s[6:7]
	s_mul_i32 s7, s13, s11
	s_sub_i32 s7, s12, s7
	s_xor_b32 s6, s8, s9
	s_add_i32 s8, s13, 1
	s_sub_i32 s9, s7, s11
	s_load_dwordx4 s[20:23], s[0:1], 0x68
	s_load_dword s3, s[0:1], 0x78
	s_cmp_ge_u32 s7, s11
	s_cselect_b32 s8, s8, s13
	s_cselect_b32 s7, s9, s7
	s_add_i32 s9, s8, 1
	s_cmp_ge_u32 s7, s11
	s_cselect_b32 s7, s9, s8
	s_waitcnt lgkmcnt(0)
	s_abs_i32 s16, s23
	v_cvt_f32_u32_e32 v1, s16
	s_xor_b32 s7, s7, s6
	s_sub_i32 s43, s7, s6
	s_sub_i32 s6, 0, s16
	v_rcp_iflag_f32_e32 v1, v1
	s_add_i32 s11, s33, -1
	s_abs_i32 s8, s11
	v_mul_f32_e32 v1, 0x4f7ffffe, v1
	v_cvt_u32_f32_e32 v1, v1
	s_barrier
	v_readfirstlane_b32 s25, v1
	s_mul_i32 s6, s6, s25
	s_mul_hi_u32 s6, s25, s6
	s_add_i32 s25, s25, s6
	s_cmp_lt_i32 s3, 0
	s_mul_hi_u32 s9, s8, s25
	s_cbranch_scc0 .LBB309_6
; %bb.5:
	s_mul_i32 s6, s20, s36
	s_add_i32 s6, s43, s6
	s_mul_i32 s6, s6, s3
	s_sub_i32 s36, 1, s6
	s_mov_b64 s[6:7], 0
	s_branch .LBB309_7
.LBB309_6:
	s_mov_b64 s[6:7], -1
                                        ; implicit-def: $sgpr36
.LBB309_7:
	s_load_dwordx2 s[28:29], s[0:1], 0x28
	s_ashr_i32 s19, s11, 31
	s_andn2_b64 vcc, exec, s[6:7]
	s_ashr_i32 s23, s23, 31
	s_cbranch_vccnz .LBB309_9
; %bb.8:
	s_mul_i32 s6, s5, s20
	s_add_i32 s2, s6, s2
	s_mul_i32 s2, s2, s3
	s_add_i32 s36, s2, 1
.LBB309_9:
	s_load_dword s2, s[0:1], 0x38
	s_load_dwordx2 s[26:27], s[0:1], 0x0
	s_load_dwordx2 s[34:35], s[0:1], 0x18
	s_load_dword s11, s[0:1], 0x88
	s_load_dwordx4 s[12:15], s[0:1], 0x58
	s_mul_i32 s3, s9, s16
	s_waitcnt lgkmcnt(0)
	s_mul_i32 s30, s10, s2
	s_sub_i32 s3, s8, s3
	s_ashr_i32 s31, s30, 31
	s_xor_b32 s2, s19, s23
	s_add_i32 s6, s9, 1
	s_sub_i32 s7, s3, s16
	s_cmp_ge_u32 s3, s16
	s_cselect_b32 s6, s6, s9
	s_cselect_b32 s3, s7, s3
	s_add_i32 s7, s6, 1
	s_cmp_ge_u32 s3, s16
	s_cselect_b32 s3, s7, s6
	s_xor_b32 s3, s3, s2
	s_sub_i32 s42, s3, s2
	s_add_i32 s2, s33, 15
	s_ashr_i32 s3, s2, 31
	s_lshr_b32 s3, s3, 28
	s_add_i32 s2, s2, s3
	s_ashr_i32 s20, s2, 4
	v_lshrrev_b32_e32 v1, 6, v0
	v_cmp_gt_i32_e64 s[6:7], s20, v1
	v_mov_b32_e32 v27, 0xff7fffff
	s_mul_i32 s43, s43, s18
	v_lshrrev_b32_e32 v24, 4, v0
	v_lshlrev_b32_e32 v22, 4, v1
	v_mbcnt_lo_u32_b32 v23, -1, 0
	s_and_saveexec_b64 s[18:19], s[6:7]
	s_cbranch_execz .LBB309_115
; %bb.10:
	s_load_dwordx2 s[0:1], s[0:1], 0x10
	s_sub_i32 s45, s42, s21
	s_ashr_i32 s2, s43, 31
	v_bfe_u32 v25, v0, 2, 4
	v_mov_b32_e32 v15, 0
	s_waitcnt lgkmcnt(0)
	s_add_u32 s0, s0, s43
	s_addc_u32 s1, s1, s2
	s_abs_i32 s46, s22
	v_cvt_f32_u32_e32 v3, s46
	v_lshlrev_b32_e32 v14, 4, v25
	v_lshl_add_u64 v[16:17], s[0:1], 0, v[14:15]
	s_sub_i32 s0, 0, s46
	v_rcp_iflag_f32_e32 v3, v3
	v_cmp_eq_u32_e32 vcc, 0, v2
	v_mul_u32_u24_e32 v26, 48, v2
	v_lshlrev_b32_e32 v14, 1, v2
	v_mul_f32_e32 v3, 0x4f7ffffe, v3
	v_cvt_u32_f32_e32 v3, v3
	s_mov_b32 s47, s17
	v_cmp_neq_f32_e64 s[2:3], s44, 0
	v_lshlrev_b32_e32 v29, 4, v1
	v_mul_lo_u32 v2, s0, v3
	s_lshl_b64 s[0:1], s[30:31], 2
	v_mul_hi_u32 v2, v3, v2
	s_add_u32 s0, s28, s0
	v_add_u32_e32 v28, v3, v2
	v_and_b32_e32 v2, 60, v24
	v_mov_b32_e32 v3, v15
	s_addc_u32 s1, s29, s1
	v_lshl_add_u64 v[18:19], s[0:1], 0, v[2:3]
	v_lshlrev_b32_e32 v2, 2, v25
	v_lshl_or_b32 v2, v1, 6, v2
	v_add_u32_e32 v30, 0xd0, v2
	v_subrev_u32_e32 v2, s33, v25
	v_add_u32_e32 v31, 1, v2
	s_mov_b64 s[38:39], 0
	v_mov_b32_e32 v32, 0xff7fffff
	s_mov_b32 s48, 0xffff
	s_mov_b32 s49, 0x7f800000
	s_movk_i32 s50, 0x7fff
	v_mbcnt_hi_u32_b32 v33, -1, v23
	v_mov_b32_e32 v27, 0xff7fffff
	v_mov_b32_e32 v34, v1
	s_branch .LBB309_13
.LBB309_11:                             ;   in Loop: Header=BB309_13 Depth=1
	s_or_b64 exec, exec, s[40:41]
.LBB309_12:                             ;   in Loop: Header=BB309_13 Depth=1
	s_or_b64 exec, exec, s[8:9]
	v_add_u32_e32 v34, 2, v34
	v_cmp_le_i32_e64 s[0:1], s20, v34
	v_lshl_add_u64 v[18:19], v[18:19], 0, 8
	v_add_u32_e32 v29, 32, v29
	s_or_b64 s[38:39], s[0:1], s[38:39]
	v_add_u32_e32 v30, 0x80, v30
	s_andn2_b64 exec, exec, s[38:39]
	s_cbranch_execz .LBB309_114
.LBB309_13:                             ; =>This Inner Loop Header: Depth=1
	v_mul_hi_u32 v2, v29, s25
	s_waitcnt lgkmcnt(0)
	v_mul_lo_u32 v3, v2, s16
	v_sub_u32_e32 v3, v29, v3
	v_add_u32_e32 v4, 1, v2
	v_cmp_le_u32_e64 s[0:1], s16, v3
	s_nop 1
	v_cndmask_b32_e64 v2, v2, v4, s[0:1]
	v_subrev_u32_e32 v4, s16, v3
	v_cndmask_b32_e64 v3, v3, v4, s[0:1]
	v_add_u32_e32 v4, 1, v2
	v_cmp_le_u32_e64 s[0:1], s16, v3
	s_nop 1
	v_cndmask_b32_e64 v2, v2, v4, s[0:1]
	v_xor_b32_e32 v2, s23, v2
	v_subrev_u32_e32 v2, s23, v2
	v_add_u32_e32 v3, s36, v2
	v_sub_u32_e32 v5, 0, v3
	v_ashrrev_i32_e32 v4, 31, v3
	v_max_i32_e32 v3, v3, v5
	v_mul_hi_u32 v5, v3, v28
	v_mul_lo_u32 v5, v5, s46
	v_sub_u32_e32 v3, v3, v5
	v_subrev_u32_e32 v5, s46, v3
	v_cmp_le_u32_e64 s[0:1], s46, v3
	v_cmp_ge_i32_e64 s[8:9], s45, v2
	s_nop 0
	v_cndmask_b32_e64 v3, v3, v5, s[0:1]
	v_subrev_u32_e32 v5, s46, v3
	v_cmp_le_u32_e64 s[0:1], s46, v3
	s_nop 1
	v_cndmask_b32_e64 v3, v3, v5, s[0:1]
	v_xor_b32_e32 v3, v3, v4
	v_sub_u32_e32 v3, v3, v4
	v_cmp_ne_u32_e64 s[0:1], 0, v3
	s_and_b64 s[0:1], s[0:1], s[8:9]
	s_and_b64 s[40:41], vcc, s[0:1]
	s_and_saveexec_b64 s[8:9], s[40:41]
	s_cbranch_execz .LBB309_15
; %bb.14:                               ;   in Loop: Header=BB309_13 Depth=1
	ds_write_b32 v30, v32
.LBB309_15:                             ;   in Loop: Header=BB309_13 Depth=1
	s_or_b64 exec, exec, s[8:9]
	s_xor_b64 s[0:1], s[0:1], -1
	s_and_saveexec_b64 s[8:9], s[0:1]
	s_cbranch_execz .LBB309_12
; %bb.16:                               ;   in Loop: Header=BB309_13 Depth=1
	global_load_dword v2, v[18:19], off
	s_load_dword s51, s[12:13], 0x0
	s_waitcnt vmcnt(0)
	v_mad_i64_i32 v[2:3], s[0:1], v2, s47, v[16:17]
	v_lshl_add_u64 v[20:21], v[2:3], 0, v[14:15]
	global_load_ushort v36, v[20:21], off
	s_waitcnt vmcnt(0)
	v_and_b32_sdwa v2, s48, v36 dst_sel:DWORD dst_unused:UNUSED_PAD src0_sel:DWORD src1_sel:BYTE_0
	v_cvt_f32_fp8_sdwa v35, v2 src0_sel:BYTE_0
	ds_read_b128 v[10:13], v26
	ds_read_b128 v[6:9], v26 offset:16
	ds_read_b128 v[2:5], v26 offset:32
	s_waitcnt lgkmcnt(0)
	v_mul_f32_e32 v37, s51, v35
	v_and_b32_e32 v35, 0x7f800000, v37
	v_cmp_ne_u32_e64 s[0:1], s49, v35
                                        ; implicit-def: $vgpr35
	s_and_saveexec_b64 s[40:41], s[0:1]
	s_xor_b64 s[0:1], exec, s[40:41]
; %bb.17:                               ;   in Loop: Header=BB309_13 Depth=1
	v_bfe_u32 v35, v37, 16, 1
	v_add3_u32 v35, v37, v35, s50
                                        ; implicit-def: $vgpr37
; %bb.18:                               ;   in Loop: Header=BB309_13 Depth=1
	s_andn2_saveexec_b64 s[40:41], s[0:1]
; %bb.19:                               ;   in Loop: Header=BB309_13 Depth=1
	v_or_b32_e32 v35, 0x10000, v37
	v_cmp_eq_u32_sdwa s[0:1], v37, v15 src0_sel:WORD_0 src1_sel:DWORD
	s_nop 1
	v_cndmask_b32_e64 v35, v35, v37, s[0:1]
; %bb.20:                               ;   in Loop: Header=BB309_13 Depth=1
	s_or_b64 exec, exec, s[40:41]
	v_lshrrev_b16_e32 v36, 8, v36
	v_cvt_f32_fp8_sdwa v36, v36 src0_sel:BYTE_0
	s_nop 0
	v_mul_f32_e32 v37, s51, v36
	v_and_b32_e32 v36, 0x7f800000, v37
	v_cmp_ne_u32_e64 s[0:1], s49, v36
                                        ; implicit-def: $vgpr36
	s_and_saveexec_b64 s[40:41], s[0:1]
	s_xor_b64 s[0:1], exec, s[40:41]
; %bb.21:                               ;   in Loop: Header=BB309_13 Depth=1
	v_bfe_u32 v36, v37, 16, 1
	v_add3_u32 v36, v37, v36, s50
                                        ; implicit-def: $vgpr37
; %bb.22:                               ;   in Loop: Header=BB309_13 Depth=1
	s_andn2_saveexec_b64 s[40:41], s[0:1]
; %bb.23:                               ;   in Loop: Header=BB309_13 Depth=1
	v_or_b32_e32 v36, 0x10000, v37
	v_cmp_eq_u32_sdwa s[0:1], v37, v15 src0_sel:WORD_0 src1_sel:DWORD
	s_nop 1
	v_cndmask_b32_e64 v36, v36, v37, s[0:1]
; %bb.24:                               ;   in Loop: Header=BB309_13 Depth=1
	s_or_b64 exec, exec, s[40:41]
	global_load_ushort v38, v[20:21], off offset:8
	s_waitcnt vmcnt(0)
	v_and_b32_sdwa v37, s48, v38 dst_sel:DWORD dst_unused:UNUSED_PAD src0_sel:DWORD src1_sel:BYTE_0
	v_cvt_f32_fp8_sdwa v37, v37 src0_sel:BYTE_0
	s_nop 0
	v_mul_f32_e32 v39, s51, v37
	v_and_b32_e32 v37, 0x7f800000, v39
	v_cmp_ne_u32_e64 s[0:1], s49, v37
                                        ; implicit-def: $vgpr37
	s_and_saveexec_b64 s[40:41], s[0:1]
	s_xor_b64 s[0:1], exec, s[40:41]
; %bb.25:                               ;   in Loop: Header=BB309_13 Depth=1
	v_bfe_u32 v37, v39, 16, 1
	v_add3_u32 v37, v39, v37, s50
                                        ; implicit-def: $vgpr39
; %bb.26:                               ;   in Loop: Header=BB309_13 Depth=1
	s_andn2_saveexec_b64 s[40:41], s[0:1]
; %bb.27:                               ;   in Loop: Header=BB309_13 Depth=1
	v_or_b32_e32 v37, 0x10000, v39
	v_cmp_eq_u32_sdwa s[0:1], v39, v15 src0_sel:WORD_0 src1_sel:DWORD
	s_nop 1
	v_cndmask_b32_e64 v37, v37, v39, s[0:1]
; %bb.28:                               ;   in Loop: Header=BB309_13 Depth=1
	s_or_b64 exec, exec, s[40:41]
	v_lshrrev_b16_e32 v38, 8, v38
	v_cvt_f32_fp8_sdwa v38, v38 src0_sel:BYTE_0
	s_nop 0
	v_mul_f32_e32 v39, s51, v38
	v_and_b32_e32 v38, 0x7f800000, v39
	v_cmp_ne_u32_e64 s[0:1], s49, v38
                                        ; implicit-def: $vgpr38
	s_and_saveexec_b64 s[40:41], s[0:1]
	s_xor_b64 s[0:1], exec, s[40:41]
; %bb.29:                               ;   in Loop: Header=BB309_13 Depth=1
	v_bfe_u32 v38, v39, 16, 1
	v_add3_u32 v38, v39, v38, s50
                                        ; implicit-def: $vgpr39
; %bb.30:                               ;   in Loop: Header=BB309_13 Depth=1
	s_andn2_saveexec_b64 s[40:41], s[0:1]
; %bb.31:                               ;   in Loop: Header=BB309_13 Depth=1
	v_or_b32_e32 v38, 0x10000, v39
	v_cmp_eq_u32_sdwa s[0:1], v39, v15 src0_sel:WORD_0 src1_sel:DWORD
	s_nop 1
	v_cndmask_b32_e64 v38, v38, v39, s[0:1]
; %bb.32:                               ;   in Loop: Header=BB309_13 Depth=1
	s_or_b64 exec, exec, s[40:41]
	global_load_ushort v40, v[20:21], off offset:256
	s_waitcnt vmcnt(0)
	v_and_b32_sdwa v39, s48, v40 dst_sel:DWORD dst_unused:UNUSED_PAD src0_sel:DWORD src1_sel:BYTE_0
	v_cvt_f32_fp8_sdwa v39, v39 src0_sel:BYTE_0
	s_nop 0
	v_mul_f32_e32 v41, s51, v39
	v_and_b32_e32 v39, 0x7f800000, v41
	v_cmp_ne_u32_e64 s[0:1], s49, v39
                                        ; implicit-def: $vgpr39
	s_and_saveexec_b64 s[40:41], s[0:1]
	s_xor_b64 s[0:1], exec, s[40:41]
; %bb.33:                               ;   in Loop: Header=BB309_13 Depth=1
	v_bfe_u32 v39, v41, 16, 1
	v_add3_u32 v39, v41, v39, s50
                                        ; implicit-def: $vgpr41
; %bb.34:                               ;   in Loop: Header=BB309_13 Depth=1
	s_andn2_saveexec_b64 s[40:41], s[0:1]
; %bb.35:                               ;   in Loop: Header=BB309_13 Depth=1
	v_or_b32_e32 v39, 0x10000, v41
	v_cmp_eq_u32_sdwa s[0:1], v41, v15 src0_sel:WORD_0 src1_sel:DWORD
	s_nop 1
	v_cndmask_b32_e64 v39, v39, v41, s[0:1]
; %bb.36:                               ;   in Loop: Header=BB309_13 Depth=1
	s_or_b64 exec, exec, s[40:41]
	v_lshrrev_b16_e32 v40, 8, v40
	v_cvt_f32_fp8_sdwa v40, v40 src0_sel:BYTE_0
	s_nop 0
	v_mul_f32_e32 v41, s51, v40
	v_and_b32_e32 v40, 0x7f800000, v41
	v_cmp_ne_u32_e64 s[0:1], s49, v40
                                        ; implicit-def: $vgpr40
	s_and_saveexec_b64 s[40:41], s[0:1]
	s_xor_b64 s[0:1], exec, s[40:41]
; %bb.37:                               ;   in Loop: Header=BB309_13 Depth=1
	v_bfe_u32 v40, v41, 16, 1
	v_add3_u32 v40, v41, v40, s50
                                        ; implicit-def: $vgpr41
; %bb.38:                               ;   in Loop: Header=BB309_13 Depth=1
	s_andn2_saveexec_b64 s[40:41], s[0:1]
; %bb.39:                               ;   in Loop: Header=BB309_13 Depth=1
	v_or_b32_e32 v40, 0x10000, v41
	v_cmp_eq_u32_sdwa s[0:1], v41, v15 src0_sel:WORD_0 src1_sel:DWORD
	s_nop 1
	v_cndmask_b32_e64 v40, v40, v41, s[0:1]
; %bb.40:                               ;   in Loop: Header=BB309_13 Depth=1
	s_or_b64 exec, exec, s[40:41]
	global_load_ushort v42, v[20:21], off offset:264
	s_waitcnt vmcnt(0)
	v_and_b32_sdwa v41, s48, v42 dst_sel:DWORD dst_unused:UNUSED_PAD src0_sel:DWORD src1_sel:BYTE_0
	v_cvt_f32_fp8_sdwa v41, v41 src0_sel:BYTE_0
	s_nop 0
	v_mul_f32_e32 v43, s51, v41
	v_and_b32_e32 v41, 0x7f800000, v43
	v_cmp_ne_u32_e64 s[0:1], s49, v41
                                        ; implicit-def: $vgpr41
	s_and_saveexec_b64 s[40:41], s[0:1]
	s_xor_b64 s[0:1], exec, s[40:41]
; %bb.41:                               ;   in Loop: Header=BB309_13 Depth=1
	v_bfe_u32 v41, v43, 16, 1
	v_add3_u32 v41, v43, v41, s50
                                        ; implicit-def: $vgpr43
; %bb.42:                               ;   in Loop: Header=BB309_13 Depth=1
	s_andn2_saveexec_b64 s[40:41], s[0:1]
; %bb.43:                               ;   in Loop: Header=BB309_13 Depth=1
	v_or_b32_e32 v41, 0x10000, v43
	v_cmp_eq_u32_sdwa s[0:1], v43, v15 src0_sel:WORD_0 src1_sel:DWORD
	s_nop 1
	v_cndmask_b32_e64 v41, v41, v43, s[0:1]
; %bb.44:                               ;   in Loop: Header=BB309_13 Depth=1
	s_or_b64 exec, exec, s[40:41]
	v_lshrrev_b16_e32 v42, 8, v42
	v_cvt_f32_fp8_sdwa v42, v42 src0_sel:BYTE_0
	s_nop 0
	v_mul_f32_e32 v43, s51, v42
	v_and_b32_e32 v42, 0x7f800000, v43
	v_cmp_ne_u32_e64 s[0:1], s49, v42
                                        ; implicit-def: $vgpr42
	s_and_saveexec_b64 s[40:41], s[0:1]
	s_xor_b64 s[0:1], exec, s[40:41]
; %bb.45:                               ;   in Loop: Header=BB309_13 Depth=1
	v_bfe_u32 v42, v43, 16, 1
	v_add3_u32 v42, v43, v42, s50
                                        ; implicit-def: $vgpr43
; %bb.46:                               ;   in Loop: Header=BB309_13 Depth=1
	s_andn2_saveexec_b64 s[40:41], s[0:1]
; %bb.47:                               ;   in Loop: Header=BB309_13 Depth=1
	v_or_b32_e32 v42, 0x10000, v43
	v_cmp_eq_u32_sdwa s[0:1], v43, v15 src0_sel:WORD_0 src1_sel:DWORD
	s_nop 1
	v_cndmask_b32_e64 v42, v42, v43, s[0:1]
; %bb.48:                               ;   in Loop: Header=BB309_13 Depth=1
	s_or_b64 exec, exec, s[40:41]
	global_load_ushort v44, v[20:21], off offset:512
	s_waitcnt vmcnt(0)
	v_and_b32_sdwa v43, s48, v44 dst_sel:DWORD dst_unused:UNUSED_PAD src0_sel:DWORD src1_sel:BYTE_0
	v_cvt_f32_fp8_sdwa v43, v43 src0_sel:BYTE_0
	s_nop 0
	v_mul_f32_e32 v45, s51, v43
	v_and_b32_e32 v43, 0x7f800000, v45
	v_cmp_ne_u32_e64 s[0:1], s49, v43
                                        ; implicit-def: $vgpr43
	s_and_saveexec_b64 s[40:41], s[0:1]
	s_xor_b64 s[0:1], exec, s[40:41]
; %bb.49:                               ;   in Loop: Header=BB309_13 Depth=1
	v_bfe_u32 v43, v45, 16, 1
	v_add3_u32 v43, v45, v43, s50
                                        ; implicit-def: $vgpr45
; %bb.50:                               ;   in Loop: Header=BB309_13 Depth=1
	s_andn2_saveexec_b64 s[40:41], s[0:1]
; %bb.51:                               ;   in Loop: Header=BB309_13 Depth=1
	v_or_b32_e32 v43, 0x10000, v45
	v_cmp_eq_u32_sdwa s[0:1], v45, v15 src0_sel:WORD_0 src1_sel:DWORD
	s_nop 1
	v_cndmask_b32_e64 v43, v43, v45, s[0:1]
; %bb.52:                               ;   in Loop: Header=BB309_13 Depth=1
	s_or_b64 exec, exec, s[40:41]
	v_lshrrev_b16_e32 v44, 8, v44
	v_cvt_f32_fp8_sdwa v44, v44 src0_sel:BYTE_0
	s_nop 0
	v_mul_f32_e32 v45, s51, v44
	v_and_b32_e32 v44, 0x7f800000, v45
	v_cmp_ne_u32_e64 s[0:1], s49, v44
                                        ; implicit-def: $vgpr44
	s_and_saveexec_b64 s[40:41], s[0:1]
	s_xor_b64 s[0:1], exec, s[40:41]
; %bb.53:                               ;   in Loop: Header=BB309_13 Depth=1
	v_bfe_u32 v44, v45, 16, 1
	v_add3_u32 v44, v45, v44, s50
                                        ; implicit-def: $vgpr45
; %bb.54:                               ;   in Loop: Header=BB309_13 Depth=1
	s_andn2_saveexec_b64 s[40:41], s[0:1]
; %bb.55:                               ;   in Loop: Header=BB309_13 Depth=1
	v_or_b32_e32 v44, 0x10000, v45
	v_cmp_eq_u32_sdwa s[0:1], v45, v15 src0_sel:WORD_0 src1_sel:DWORD
	s_nop 1
	v_cndmask_b32_e64 v44, v44, v45, s[0:1]
; %bb.56:                               ;   in Loop: Header=BB309_13 Depth=1
	s_or_b64 exec, exec, s[40:41]
	global_load_ushort v46, v[20:21], off offset:520
	s_waitcnt vmcnt(0)
	v_and_b32_sdwa v45, s48, v46 dst_sel:DWORD dst_unused:UNUSED_PAD src0_sel:DWORD src1_sel:BYTE_0
	v_cvt_f32_fp8_sdwa v45, v45 src0_sel:BYTE_0
	s_nop 0
	v_mul_f32_e32 v47, s51, v45
	v_and_b32_e32 v45, 0x7f800000, v47
	v_cmp_ne_u32_e64 s[0:1], s49, v45
                                        ; implicit-def: $vgpr45
	s_and_saveexec_b64 s[40:41], s[0:1]
	s_xor_b64 s[0:1], exec, s[40:41]
; %bb.57:                               ;   in Loop: Header=BB309_13 Depth=1
	v_bfe_u32 v45, v47, 16, 1
	v_add3_u32 v45, v47, v45, s50
                                        ; implicit-def: $vgpr47
; %bb.58:                               ;   in Loop: Header=BB309_13 Depth=1
	s_andn2_saveexec_b64 s[40:41], s[0:1]
; %bb.59:                               ;   in Loop: Header=BB309_13 Depth=1
	v_or_b32_e32 v45, 0x10000, v47
	v_cmp_eq_u32_sdwa s[0:1], v47, v15 src0_sel:WORD_0 src1_sel:DWORD
	s_nop 1
	v_cndmask_b32_e64 v45, v45, v47, s[0:1]
; %bb.60:                               ;   in Loop: Header=BB309_13 Depth=1
	s_or_b64 exec, exec, s[40:41]
	v_lshrrev_b16_e32 v46, 8, v46
	v_cvt_f32_fp8_sdwa v46, v46 src0_sel:BYTE_0
	s_nop 0
	v_mul_f32_e32 v47, s51, v46
	v_and_b32_e32 v46, 0x7f800000, v47
	v_cmp_ne_u32_e64 s[0:1], s49, v46
                                        ; implicit-def: $vgpr46
	s_and_saveexec_b64 s[40:41], s[0:1]
	s_xor_b64 s[0:1], exec, s[40:41]
; %bb.61:                               ;   in Loop: Header=BB309_13 Depth=1
	v_bfe_u32 v46, v47, 16, 1
	v_add3_u32 v46, v47, v46, s50
                                        ; implicit-def: $vgpr47
; %bb.62:                               ;   in Loop: Header=BB309_13 Depth=1
	s_andn2_saveexec_b64 s[40:41], s[0:1]
; %bb.63:                               ;   in Loop: Header=BB309_13 Depth=1
	v_or_b32_e32 v46, 0x10000, v47
	v_cmp_eq_u32_sdwa s[0:1], v47, v15 src0_sel:WORD_0 src1_sel:DWORD
	s_nop 1
	v_cndmask_b32_e64 v46, v46, v47, s[0:1]
; %bb.64:                               ;   in Loop: Header=BB309_13 Depth=1
	s_or_b64 exec, exec, s[40:41]
	global_load_ushort v48, v[20:21], off offset:768
	s_waitcnt vmcnt(0)
	v_and_b32_sdwa v47, s48, v48 dst_sel:DWORD dst_unused:UNUSED_PAD src0_sel:DWORD src1_sel:BYTE_0
	v_cvt_f32_fp8_sdwa v47, v47 src0_sel:BYTE_0
	s_nop 0
	v_mul_f32_e32 v49, s51, v47
	v_and_b32_e32 v47, 0x7f800000, v49
	v_cmp_ne_u32_e64 s[0:1], s49, v47
                                        ; implicit-def: $vgpr47
	s_and_saveexec_b64 s[40:41], s[0:1]
	s_xor_b64 s[0:1], exec, s[40:41]
; %bb.65:                               ;   in Loop: Header=BB309_13 Depth=1
	v_bfe_u32 v47, v49, 16, 1
	v_add3_u32 v47, v49, v47, s50
                                        ; implicit-def: $vgpr49
; %bb.66:                               ;   in Loop: Header=BB309_13 Depth=1
	s_andn2_saveexec_b64 s[40:41], s[0:1]
; %bb.67:                               ;   in Loop: Header=BB309_13 Depth=1
	v_or_b32_e32 v47, 0x10000, v49
	v_cmp_eq_u32_sdwa s[0:1], v49, v15 src0_sel:WORD_0 src1_sel:DWORD
	s_nop 1
	v_cndmask_b32_e64 v47, v47, v49, s[0:1]
; %bb.68:                               ;   in Loop: Header=BB309_13 Depth=1
	s_or_b64 exec, exec, s[40:41]
	v_lshrrev_b16_e32 v48, 8, v48
	v_cvt_f32_fp8_sdwa v48, v48 src0_sel:BYTE_0
	s_nop 0
	v_mul_f32_e32 v49, s51, v48
	v_and_b32_e32 v48, 0x7f800000, v49
	v_cmp_ne_u32_e64 s[0:1], s49, v48
                                        ; implicit-def: $vgpr48
	s_and_saveexec_b64 s[40:41], s[0:1]
	s_xor_b64 s[0:1], exec, s[40:41]
; %bb.69:                               ;   in Loop: Header=BB309_13 Depth=1
	v_bfe_u32 v48, v49, 16, 1
	v_add3_u32 v48, v49, v48, s50
                                        ; implicit-def: $vgpr49
; %bb.70:                               ;   in Loop: Header=BB309_13 Depth=1
	s_andn2_saveexec_b64 s[40:41], s[0:1]
; %bb.71:                               ;   in Loop: Header=BB309_13 Depth=1
	v_or_b32_e32 v48, 0x10000, v49
	v_cmp_eq_u32_sdwa s[0:1], v49, v15 src0_sel:WORD_0 src1_sel:DWORD
	s_nop 1
	v_cndmask_b32_e64 v48, v48, v49, s[0:1]
; %bb.72:                               ;   in Loop: Header=BB309_13 Depth=1
	s_or_b64 exec, exec, s[40:41]
	global_load_ushort v50, v[20:21], off offset:776
	s_waitcnt vmcnt(0)
	v_and_b32_sdwa v49, s48, v50 dst_sel:DWORD dst_unused:UNUSED_PAD src0_sel:DWORD src1_sel:BYTE_0
	v_cvt_f32_fp8_sdwa v49, v49 src0_sel:BYTE_0
	s_nop 0
	v_mul_f32_e32 v51, s51, v49
	v_and_b32_e32 v49, 0x7f800000, v51
	v_cmp_ne_u32_e64 s[0:1], s49, v49
                                        ; implicit-def: $vgpr49
	s_and_saveexec_b64 s[40:41], s[0:1]
	s_xor_b64 s[0:1], exec, s[40:41]
; %bb.73:                               ;   in Loop: Header=BB309_13 Depth=1
	v_bfe_u32 v49, v51, 16, 1
	v_add3_u32 v49, v51, v49, s50
                                        ; implicit-def: $vgpr51
; %bb.74:                               ;   in Loop: Header=BB309_13 Depth=1
	s_andn2_saveexec_b64 s[40:41], s[0:1]
; %bb.75:                               ;   in Loop: Header=BB309_13 Depth=1
	v_or_b32_e32 v49, 0x10000, v51
	v_cmp_eq_u32_sdwa s[0:1], v51, v15 src0_sel:WORD_0 src1_sel:DWORD
	s_nop 1
	v_cndmask_b32_e64 v49, v49, v51, s[0:1]
; %bb.76:                               ;   in Loop: Header=BB309_13 Depth=1
	s_or_b64 exec, exec, s[40:41]
	v_lshrrev_b16_e32 v50, 8, v50
	v_cvt_f32_fp8_sdwa v50, v50 src0_sel:BYTE_0
	s_nop 0
	v_mul_f32_e32 v51, s51, v50
	v_and_b32_e32 v50, 0x7f800000, v51
	v_cmp_ne_u32_e64 s[0:1], s49, v50
                                        ; implicit-def: $vgpr50
	s_and_saveexec_b64 s[40:41], s[0:1]
	s_xor_b64 s[0:1], exec, s[40:41]
; %bb.77:                               ;   in Loop: Header=BB309_13 Depth=1
	v_bfe_u32 v50, v51, 16, 1
	v_add3_u32 v50, v51, v50, s50
                                        ; implicit-def: $vgpr51
; %bb.78:                               ;   in Loop: Header=BB309_13 Depth=1
	s_andn2_saveexec_b64 s[40:41], s[0:1]
; %bb.79:                               ;   in Loop: Header=BB309_13 Depth=1
	v_or_b32_e32 v50, 0x10000, v51
	v_cmp_eq_u32_sdwa s[0:1], v51, v15 src0_sel:WORD_0 src1_sel:DWORD
	s_nop 1
	v_cndmask_b32_e64 v50, v50, v51, s[0:1]
; %bb.80:                               ;   in Loop: Header=BB309_13 Depth=1
	s_or_b64 exec, exec, s[40:41]
	global_load_ushort v52, v[20:21], off offset:1024
	s_waitcnt vmcnt(0)
	v_and_b32_sdwa v51, s48, v52 dst_sel:DWORD dst_unused:UNUSED_PAD src0_sel:DWORD src1_sel:BYTE_0
	v_cvt_f32_fp8_sdwa v51, v51 src0_sel:BYTE_0
	s_nop 0
	v_mul_f32_e32 v53, s51, v51
	v_and_b32_e32 v51, 0x7f800000, v53
	v_cmp_ne_u32_e64 s[0:1], s49, v51
                                        ; implicit-def: $vgpr51
	s_and_saveexec_b64 s[40:41], s[0:1]
	s_xor_b64 s[0:1], exec, s[40:41]
; %bb.81:                               ;   in Loop: Header=BB309_13 Depth=1
	v_bfe_u32 v51, v53, 16, 1
	v_add3_u32 v51, v53, v51, s50
                                        ; implicit-def: $vgpr53
; %bb.82:                               ;   in Loop: Header=BB309_13 Depth=1
	s_andn2_saveexec_b64 s[40:41], s[0:1]
; %bb.83:                               ;   in Loop: Header=BB309_13 Depth=1
	v_or_b32_e32 v51, 0x10000, v53
	v_cmp_eq_u32_sdwa s[0:1], v53, v15 src0_sel:WORD_0 src1_sel:DWORD
	s_nop 1
	v_cndmask_b32_e64 v51, v51, v53, s[0:1]
; %bb.84:                               ;   in Loop: Header=BB309_13 Depth=1
	s_or_b64 exec, exec, s[40:41]
	v_lshrrev_b16_e32 v52, 8, v52
	v_cvt_f32_fp8_sdwa v52, v52 src0_sel:BYTE_0
	s_nop 0
	v_mul_f32_e32 v53, s51, v52
	v_and_b32_e32 v52, 0x7f800000, v53
	v_cmp_ne_u32_e64 s[0:1], s49, v52
                                        ; implicit-def: $vgpr52
	s_and_saveexec_b64 s[40:41], s[0:1]
	s_xor_b64 s[0:1], exec, s[40:41]
; %bb.85:                               ;   in Loop: Header=BB309_13 Depth=1
	v_bfe_u32 v52, v53, 16, 1
	v_add3_u32 v52, v53, v52, s50
                                        ; implicit-def: $vgpr53
; %bb.86:                               ;   in Loop: Header=BB309_13 Depth=1
	s_andn2_saveexec_b64 s[40:41], s[0:1]
; %bb.87:                               ;   in Loop: Header=BB309_13 Depth=1
	v_or_b32_e32 v52, 0x10000, v53
	v_cmp_eq_u32_sdwa s[0:1], v53, v15 src0_sel:WORD_0 src1_sel:DWORD
	s_nop 1
	v_cndmask_b32_e64 v52, v52, v53, s[0:1]
; %bb.88:                               ;   in Loop: Header=BB309_13 Depth=1
	s_or_b64 exec, exec, s[40:41]
	global_load_ushort v54, v[20:21], off offset:1032
	s_waitcnt vmcnt(0)
	v_and_b32_sdwa v53, s48, v54 dst_sel:DWORD dst_unused:UNUSED_PAD src0_sel:DWORD src1_sel:BYTE_0
	v_cvt_f32_fp8_sdwa v53, v53 src0_sel:BYTE_0
	s_nop 0
	v_mul_f32_e32 v55, s51, v53
	v_and_b32_e32 v53, 0x7f800000, v55
	v_cmp_ne_u32_e64 s[0:1], s49, v53
                                        ; implicit-def: $vgpr53
	s_and_saveexec_b64 s[40:41], s[0:1]
	s_xor_b64 s[0:1], exec, s[40:41]
; %bb.89:                               ;   in Loop: Header=BB309_13 Depth=1
	v_bfe_u32 v53, v55, 16, 1
	v_add3_u32 v53, v55, v53, s50
                                        ; implicit-def: $vgpr55
; %bb.90:                               ;   in Loop: Header=BB309_13 Depth=1
	s_andn2_saveexec_b64 s[40:41], s[0:1]
; %bb.91:                               ;   in Loop: Header=BB309_13 Depth=1
	v_or_b32_e32 v53, 0x10000, v55
	v_cmp_eq_u32_sdwa s[0:1], v55, v15 src0_sel:WORD_0 src1_sel:DWORD
	s_nop 1
	v_cndmask_b32_e64 v53, v53, v55, s[0:1]
; %bb.92:                               ;   in Loop: Header=BB309_13 Depth=1
	s_or_b64 exec, exec, s[40:41]
	v_lshrrev_b16_e32 v54, 8, v54
	v_cvt_f32_fp8_sdwa v54, v54 src0_sel:BYTE_0
	s_nop 0
	v_mul_f32_e32 v55, s51, v54
	v_and_b32_e32 v54, 0x7f800000, v55
	v_cmp_ne_u32_e64 s[0:1], s49, v54
                                        ; implicit-def: $vgpr54
	s_and_saveexec_b64 s[40:41], s[0:1]
	s_xor_b64 s[0:1], exec, s[40:41]
; %bb.93:                               ;   in Loop: Header=BB309_13 Depth=1
	v_bfe_u32 v54, v55, 16, 1
	v_add3_u32 v54, v55, v54, s50
                                        ; implicit-def: $vgpr55
; %bb.94:                               ;   in Loop: Header=BB309_13 Depth=1
	s_andn2_saveexec_b64 s[40:41], s[0:1]
; %bb.95:                               ;   in Loop: Header=BB309_13 Depth=1
	v_or_b32_e32 v54, 0x10000, v55
	v_cmp_eq_u32_sdwa s[0:1], v55, v15 src0_sel:WORD_0 src1_sel:DWORD
	s_nop 1
	v_cndmask_b32_e64 v54, v54, v55, s[0:1]
; %bb.96:                               ;   in Loop: Header=BB309_13 Depth=1
	s_or_b64 exec, exec, s[40:41]
	global_load_ushort v56, v[20:21], off offset:1280
	s_waitcnt vmcnt(0)
	v_and_b32_sdwa v55, s48, v56 dst_sel:DWORD dst_unused:UNUSED_PAD src0_sel:DWORD src1_sel:BYTE_0
	v_cvt_f32_fp8_sdwa v55, v55 src0_sel:BYTE_0
	s_nop 0
	v_mul_f32_e32 v57, s51, v55
	v_and_b32_e32 v55, 0x7f800000, v57
	v_cmp_ne_u32_e64 s[0:1], s49, v55
                                        ; implicit-def: $vgpr55
	s_and_saveexec_b64 s[40:41], s[0:1]
	s_xor_b64 s[0:1], exec, s[40:41]
; %bb.97:                               ;   in Loop: Header=BB309_13 Depth=1
	v_bfe_u32 v55, v57, 16, 1
	v_add3_u32 v55, v57, v55, s50
                                        ; implicit-def: $vgpr57
; %bb.98:                               ;   in Loop: Header=BB309_13 Depth=1
	s_andn2_saveexec_b64 s[40:41], s[0:1]
; %bb.99:                               ;   in Loop: Header=BB309_13 Depth=1
	v_or_b32_e32 v55, 0x10000, v57
	v_cmp_eq_u32_sdwa s[0:1], v57, v15 src0_sel:WORD_0 src1_sel:DWORD
	s_nop 1
	v_cndmask_b32_e64 v55, v55, v57, s[0:1]
; %bb.100:                              ;   in Loop: Header=BB309_13 Depth=1
	s_or_b64 exec, exec, s[40:41]
	v_lshrrev_b16_e32 v56, 8, v56
	v_cvt_f32_fp8_sdwa v56, v56 src0_sel:BYTE_0
	s_nop 0
	v_mul_f32_e32 v57, s51, v56
	v_and_b32_e32 v56, 0x7f800000, v57
	v_cmp_ne_u32_e64 s[0:1], s49, v56
                                        ; implicit-def: $vgpr56
	s_and_saveexec_b64 s[40:41], s[0:1]
	s_xor_b64 s[0:1], exec, s[40:41]
; %bb.101:                              ;   in Loop: Header=BB309_13 Depth=1
	v_bfe_u32 v56, v57, 16, 1
	v_add3_u32 v56, v57, v56, s50
                                        ; implicit-def: $vgpr57
; %bb.102:                              ;   in Loop: Header=BB309_13 Depth=1
	s_andn2_saveexec_b64 s[40:41], s[0:1]
; %bb.103:                              ;   in Loop: Header=BB309_13 Depth=1
	v_or_b32_e32 v56, 0x10000, v57
	v_cmp_eq_u32_sdwa s[0:1], v57, v15 src0_sel:WORD_0 src1_sel:DWORD
	s_nop 1
	v_cndmask_b32_e64 v56, v56, v57, s[0:1]
; %bb.104:                              ;   in Loop: Header=BB309_13 Depth=1
	s_or_b64 exec, exec, s[40:41]
	global_load_ushort v20, v[20:21], off offset:1288
	s_waitcnt vmcnt(0)
	v_and_b32_sdwa v21, s48, v20 dst_sel:DWORD dst_unused:UNUSED_PAD src0_sel:DWORD src1_sel:BYTE_0
	v_cvt_f32_fp8_sdwa v21, v21 src0_sel:BYTE_0
	s_nop 0
	v_mul_f32_e32 v57, s51, v21
	v_and_b32_e32 v21, 0x7f800000, v57
	v_cmp_ne_u32_e64 s[0:1], s49, v21
                                        ; implicit-def: $vgpr21
	s_and_saveexec_b64 s[40:41], s[0:1]
	s_xor_b64 s[0:1], exec, s[40:41]
; %bb.105:                              ;   in Loop: Header=BB309_13 Depth=1
	v_bfe_u32 v21, v57, 16, 1
	v_add3_u32 v21, v57, v21, s50
                                        ; implicit-def: $vgpr57
; %bb.106:                              ;   in Loop: Header=BB309_13 Depth=1
	s_andn2_saveexec_b64 s[40:41], s[0:1]
; %bb.107:                              ;   in Loop: Header=BB309_13 Depth=1
	v_or_b32_e32 v21, 0x10000, v57
	v_cmp_eq_u32_sdwa s[0:1], v57, v15 src0_sel:WORD_0 src1_sel:DWORD
	s_nop 1
	v_cndmask_b32_e64 v21, v21, v57, s[0:1]
; %bb.108:                              ;   in Loop: Header=BB309_13 Depth=1
	s_or_b64 exec, exec, s[40:41]
	v_lshrrev_b16_e32 v20, 8, v20
	v_cvt_f32_fp8_sdwa v20, v20 src0_sel:BYTE_0
	s_nop 0
	v_mul_f32_e32 v57, s51, v20
	v_and_b32_e32 v20, 0x7f800000, v57
	v_cmp_ne_u32_e64 s[0:1], s49, v20
                                        ; implicit-def: $vgpr20
	s_and_saveexec_b64 s[40:41], s[0:1]
	s_xor_b64 s[0:1], exec, s[40:41]
; %bb.109:                              ;   in Loop: Header=BB309_13 Depth=1
	v_bfe_u32 v20, v57, 16, 1
	v_add3_u32 v20, v57, v20, s50
                                        ; implicit-def: $vgpr57
; %bb.110:                              ;   in Loop: Header=BB309_13 Depth=1
	s_andn2_saveexec_b64 s[40:41], s[0:1]
; %bb.111:                              ;   in Loop: Header=BB309_13 Depth=1
	v_or_b32_e32 v20, 0x10000, v57
	v_cmp_eq_u32_sdwa s[0:1], v57, v15 src0_sel:WORD_0 src1_sel:DWORD
	s_nop 1
	v_cndmask_b32_e64 v20, v20, v57, s[0:1]
; %bb.112:                              ;   in Loop: Header=BB309_13 Depth=1
	s_or_b64 exec, exec, s[40:41]
	v_and_b32_e32 v38, 0xffff0000, v38
	v_and_b32_e32 v37, 0xffff0000, v37
	v_lshlrev_b32_e32 v58, 16, v11
	v_and_b32_e32 v11, 0xffff0000, v11
	v_and_b32_e32 v36, 0xffff0000, v36
	;; [unrolled: 1-line block ×3, first 2 shown]
	v_lshlrev_b32_e32 v57, 16, v10
	v_and_b32_e32 v10, 0xffff0000, v10
	v_mul_f32_e32 v37, v58, v37
	v_mul_f32_e32 v11, v11, v38
	v_and_b32_e32 v40, 0xffff0000, v40
	v_and_b32_e32 v39, 0xffff0000, v39
	v_lshlrev_b32_e32 v59, 16, v12
	v_and_b32_e32 v12, 0xffff0000, v12
	v_fmac_f32_e32 v37, v57, v35
	v_fmac_f32_e32 v11, v10, v36
	v_and_b32_e32 v42, 0xffff0000, v42
	v_and_b32_e32 v41, 0xffff0000, v41
	v_lshlrev_b32_e32 v60, 16, v13
	v_and_b32_e32 v13, 0xffff0000, v13
	v_fmac_f32_e32 v37, v59, v39
	v_fmac_f32_e32 v11, v12, v40
	;; [unrolled: 6-line block ×7, first 2 shown]
	v_and_b32_e32 v54, 0xffff0000, v54
	v_and_b32_e32 v53, 0xffff0000, v53
	v_lshlrev_b32_e32 v66, 16, v3
	v_and_b32_e32 v69, 64, v33
	v_and_b32_e32 v3, 0xffff0000, v3
	v_fmac_f32_e32 v37, v65, v51
	v_fmac_f32_e32 v11, v2, v52
	v_and_b32_e32 v56, 0xffff0000, v56
	v_and_b32_e32 v55, 0xffff0000, v55
	v_lshlrev_b32_e32 v67, 16, v4
	v_add_u32_e32 v69, 64, v69
	v_xor_b32_e32 v70, 2, v33
	v_and_b32_e32 v4, 0xffff0000, v4
	v_fmac_f32_e32 v37, v66, v53
	v_fmac_f32_e32 v11, v3, v54
	v_and_b32_e32 v21, 0xffff0000, v21
	v_lshlrev_b32_e32 v68, 16, v5
	v_cmp_lt_i32_e64 s[0:1], v70, v69
	v_and_b32_e32 v20, 0xffff0000, v20
	v_and_b32_e32 v5, 0xffff0000, v5
	v_fmac_f32_e32 v37, v67, v55
	v_fmac_f32_e32 v11, v4, v56
	v_cndmask_b32_e64 v70, v33, v70, s[0:1]
	v_fmac_f32_e32 v37, v68, v21
	v_fmac_f32_e32 v11, v5, v20
	v_lshlrev_b32_e32 v70, 2, v70
	v_add_f32_e32 v2, v37, v11
	ds_bpermute_b32 v3, v70, v2
	v_xor_b32_e32 v4, 1, v33
	v_cmp_lt_i32_e64 s[0:1], v4, v69
	s_waitcnt lgkmcnt(0)
	v_add_f32_e32 v2, v2, v3
	v_cndmask_b32_e64 v4, v33, v4, s[0:1]
	v_lshlrev_b32_e32 v4, 2, v4
	ds_bpermute_b32 v3, v4, v2
	s_and_saveexec_b64 s[40:41], vcc
	s_cbranch_execz .LBB309_11
; %bb.113:                              ;   in Loop: Header=BB309_13 Depth=1
	v_add_u32_e32 v4, v31, v29
	v_cvt_f32_i32_e32 v4, v4
	s_waitcnt lgkmcnt(0)
	v_add_f32_e32 v2, v2, v3
	v_add_u32_e32 v5, v25, v29
	v_cmp_gt_i32_e64 s[0:1], s33, v5
	v_mul_f32_e32 v3, s44, v4
	v_cndmask_b32_e64 v3, 0, v3, s[2:3]
	v_fmac_f32_e32 v3, s37, v2
	v_cndmask_b32_e64 v2, 0, v3, s[0:1]
	ds_write_b32 v30, v2
	v_max_f32_e32 v2, v27, v27
	v_max_f32_e32 v2, v2, v3
	v_cndmask_b32_e64 v27, v27, v2, s[0:1]
	s_branch .LBB309_11
.LBB309_114:
	s_or_b64 exec, exec, s[38:39]
.LBB309_115:
	s_or_b64 exec, exec, s[18:19]
	v_mbcnt_hi_u32_b32 v2, -1, v23
	s_waitcnt lgkmcnt(0)
	v_and_b32_e32 v3, 64, v2
	v_add_u32_e32 v3, 64, v3
	v_xor_b32_e32 v4, 32, v2
	v_cmp_lt_i32_e32 vcc, v4, v3
	v_xor_b32_e32 v7, 16, v2
	v_max_f32_e32 v6, v27, v27
	v_cndmask_b32_e32 v4, v2, v4, vcc
	v_lshlrev_b32_e32 v4, 2, v4
	ds_bpermute_b32 v5, v4, v27
	v_cmp_lt_i32_e32 vcc, v7, v3
	v_xor_b32_e32 v8, 8, v2
	v_xor_b32_e32 v9, 4, v2
	v_and_b32_e32 v18, 63, v0
	s_waitcnt lgkmcnt(0)
	v_max_f32_e32 v5, v5, v5
	v_max_f32_e32 v6, v6, v5
	v_cndmask_b32_e32 v5, v2, v7, vcc
	v_lshlrev_b32_e32 v5, 2, v5
	ds_bpermute_b32 v7, v5, v6
	v_cmp_lt_i32_e32 vcc, v8, v3
	s_waitcnt lgkmcnt(0)
	v_max_f32_e32 v7, v7, v7
	v_max_f32_e32 v6, v6, v7
	v_cndmask_b32_e32 v7, v2, v8, vcc
	v_lshlrev_b32_e32 v8, 2, v7
	ds_bpermute_b32 v7, v8, v6
	v_cmp_lt_i32_e32 vcc, v9, v3
	s_waitcnt lgkmcnt(0)
	v_max_f32_e32 v7, v7, v7
	v_max_f32_e32 v7, v6, v7
	v_cndmask_b32_e32 v6, v2, v9, vcc
	v_lshlrev_b32_e32 v9, 2, v6
	ds_bpermute_b32 v10, v9, v7
	v_cmp_eq_u32_e32 vcc, 0, v18
	v_lshlrev_b32_e32 v6, 2, v1
	s_and_saveexec_b64 s[0:1], vcc
	s_cbranch_execz .LBB309_117
; %bb.116:
	s_waitcnt lgkmcnt(0)
	v_max_f32_e32 v10, v10, v10
	v_max_f32_e32 v7, v7, v7
	v_max_f32_e32 v7, v7, v10
	ds_write_b32 v6, v7 offset:192
.LBB309_117:
	s_or_b64 exec, exec, s[0:1]
	v_cmp_gt_u32_e64 s[0:1], 2, v18
	s_waitcnt lgkmcnt(0)
	v_mov_b32_e32 v10, 0xff7fffff
	v_lshlrev_b32_e32 v7, 2, v18
	s_barrier
	s_and_saveexec_b64 s[2:3], s[0:1]
	s_cbranch_execz .LBB309_119
; %bb.118:
	ds_read_b32 v10, v7 offset:192
.LBB309_119:
	s_or_b64 exec, exec, s[2:3]
	v_xor_b32_e32 v11, 1, v2
	v_cmp_lt_i32_e64 s[2:3], v11, v3
	v_lshlrev_b32_e32 v12, 2, v2
	s_nop 0
	v_cndmask_b32_e64 v11, v2, v11, s[2:3]
	v_lshlrev_b32_e32 v19, 2, v11
	s_waitcnt lgkmcnt(0)
	ds_bpermute_b32 v11, v19, v10
	v_max_f32_e32 v10, v10, v10
	s_lshl_b32 s2, s20, 4
	s_min_i32 s37, s2, s33
	v_cmp_gt_i32_e64 s[2:3], s37, v0
	s_waitcnt lgkmcnt(0)
	v_max_f32_e32 v11, v11, v11
	v_max_f32_e32 v11, v10, v11
	v_and_b32_e32 v10, 0x100, v12
	ds_bpermute_b32 v12, v10, v11
	v_mov_b32_e32 v11, 0
	s_and_saveexec_b64 s[12:13], s[2:3]
	s_cbranch_execz .LBB309_123
; %bb.120:
	v_mov_b32_e32 v11, 0xd0
	v_lshl_add_u32 v13, v0, 2, v11
	s_mov_b64 s[18:19], 0
	v_mov_b32_e32 v11, 0
	v_mov_b32_e32 v14, v0
.LBB309_121:                            ; =>This Inner Loop Header: Depth=1
	ds_read_b32 v15, v13
	v_add_u32_e32 v14, 0x80, v14
	v_cmp_le_i32_e64 s[8:9], s37, v14
	s_or_b64 s[18:19], s[8:9], s[18:19]
	s_waitcnt lgkmcnt(0)
	v_sub_f32_e32 v15, v15, v12
	v_mul_f32_e32 v15, 0x3fb8aa3b, v15
	v_exp_f32_e32 v15, v15
	ds_write_b32 v13, v15
	v_add_f32_e32 v11, v11, v15
	v_add_u32_e32 v13, 0x200, v13
	s_andn2_b64 exec, exec, s[18:19]
	s_cbranch_execnz .LBB309_121
; %bb.122:
	s_or_b64 exec, exec, s[18:19]
.LBB309_123:
	s_or_b64 exec, exec, s[12:13]
	ds_bpermute_b32 v4, v4, v11
	s_waitcnt lgkmcnt(0)
	v_add_f32_e32 v4, v11, v4
	ds_bpermute_b32 v5, v5, v4
	s_waitcnt lgkmcnt(0)
	v_add_f32_e32 v4, v4, v5
	ds_bpermute_b32 v5, v8, v4
	v_xor_b32_e32 v8, 2, v2
	v_cmp_lt_i32_e64 s[8:9], v8, v3
	s_waitcnt lgkmcnt(0)
	v_add_f32_e32 v4, v4, v5
	ds_bpermute_b32 v5, v9, v4
	v_cndmask_b32_e64 v2, v2, v8, s[8:9]
	v_lshlrev_b32_e32 v2, 2, v2
	s_waitcnt lgkmcnt(0)
	v_add_f32_e32 v3, v4, v5
	ds_bpermute_b32 v2, v2, v3
	s_waitcnt lgkmcnt(0)
	v_add_f32_e32 v2, v3, v2
	ds_bpermute_b32 v3, v19, v2
	s_waitcnt lgkmcnt(0)
	v_add_f32_e32 v2, v2, v3
	s_and_saveexec_b64 s[8:9], vcc
	s_cbranch_execz .LBB309_125
; %bb.124:
	ds_write_b32 v6, v2 offset:200
.LBB309_125:
	s_or_b64 exec, exec, s[8:9]
	s_waitcnt lgkmcnt(0)
	s_barrier
	s_and_saveexec_b64 s[8:9], s[0:1]
	s_cbranch_execz .LBB309_127
; %bb.126:
	ds_read_b32 v2, v7 offset:200
.LBB309_127:
	s_or_b64 exec, exec, s[8:9]
	s_waitcnt lgkmcnt(0)
	ds_bpermute_b32 v3, v19, v2
	s_waitcnt lgkmcnt(0)
	v_add_f32_e32 v2, v2, v3
	ds_bpermute_b32 v2, v10, v2
	s_and_saveexec_b64 s[0:1], s[2:3]
	s_cbranch_execz .LBB309_140
; %bb.128:
	s_waitcnt lgkmcnt(0)
	v_add_f32_e32 v2, 0x358637bd, v2
	v_div_scale_f32 v3, s[2:3], v2, v2, 1.0
	v_rcp_f32_e32 v4, v3
	v_div_scale_f32 v5, vcc, 1.0, v2, 1.0
	s_movk_i32 s2, 0x7f
	v_fma_f32 v6, -v3, v4, 1.0
	v_fmac_f32_e32 v4, v6, v4
	v_mul_f32_e32 v6, v5, v4
	v_fma_f32 v7, -v3, v6, v5
	v_fmac_f32_e32 v6, v7, v4
	v_fma_f32 v3, -v3, v6, v5
	v_div_fmas_f32 v3, v3, v4, v6
	v_xad_u32 v4, v0, -1, s37
	v_div_fixup_f32 v2, v3, v2, 1.0
	v_cmp_lt_u32_e32 vcc, s2, v4
	s_mov_b64 s[8:9], -1
	v_mov_b32_e32 v3, v0
	s_and_saveexec_b64 s[2:3], vcc
	s_cbranch_execz .LBB309_137
; %bb.129:
	v_lshrrev_b32_e32 v4, 7, v4
	v_add_u32_e32 v6, -1, v4
	v_lshrrev_b32_e32 v5, 1, v6
	v_mov_b32_e32 v3, v2
	v_add_u32_e32 v5, 1, v5
	v_cmp_lt_u32_e32 vcc, 13, v6
	v_mov_b32_e32 v8, 0
	s_and_saveexec_b64 s[8:9], vcc
	s_cbranch_execz .LBB309_133
; %bb.130:
	v_mov_b32_e32 v7, 0xd0
	v_and_b32_e32 v6, -8, v5
	v_lshl_add_u32 v7, v0, 2, v7
	s_mov_b32 s18, 0
	s_mov_b64 s[12:13], 0
.LBB309_131:                            ; =>This Inner Loop Header: Depth=1
	ds_read2st64_b32 v[8:9], v7 offset1:2
	ds_read2st64_b32 v[10:11], v7 offset0:4 offset1:6
	ds_read2st64_b32 v[12:13], v7 offset0:8 offset1:10
	;; [unrolled: 1-line block ×3, first 2 shown]
	v_add_u32_e32 v6, -8, v6
	s_waitcnt lgkmcnt(3)
	v_pk_mul_f32 v[8:9], v[2:3], v[8:9]
	s_waitcnt lgkmcnt(2)
	v_pk_mul_f32 v[10:11], v[2:3], v[10:11]
	ds_write2st64_b32 v7, v8, v9 offset1:2
	ds_write2st64_b32 v7, v10, v11 offset0:4 offset1:6
	ds_read2st64_b32 v[10:11], v7 offset0:16 offset1:18
	s_waitcnt lgkmcnt(4)
	v_pk_mul_f32 v[8:9], v[2:3], v[12:13]
	ds_write2st64_b32 v7, v8, v9 offset0:8 offset1:10
	s_waitcnt lgkmcnt(4)
	v_pk_mul_f32 v[8:9], v[2:3], v[14:15]
	ds_write2st64_b32 v7, v8, v9 offset0:12 offset1:14
	ds_read2st64_b32 v[8:9], v7 offset0:20 offset1:22
	s_waitcnt lgkmcnt(3)
	v_pk_mul_f32 v[10:11], v[2:3], v[10:11]
	ds_read2st64_b32 v[12:13], v7 offset0:24 offset1:26
	ds_write2st64_b32 v7, v10, v11 offset0:16 offset1:18
	ds_read2st64_b32 v[10:11], v7 offset0:28 offset1:30
	s_waitcnt lgkmcnt(3)
	v_pk_mul_f32 v[8:9], v[2:3], v[8:9]
	ds_write2st64_b32 v7, v8, v9 offset0:20 offset1:22
	s_waitcnt lgkmcnt(3)
	v_pk_mul_f32 v[8:9], v[2:3], v[12:13]
	ds_write2st64_b32 v7, v8, v9 offset0:24 offset1:26
	s_waitcnt lgkmcnt(2)
	v_pk_mul_f32 v[8:9], v[2:3], v[10:11]
	s_add_i32 s18, s18, 16
	v_cmp_eq_u32_e32 vcc, 0, v6
	ds_write2st64_b32 v7, v8, v9 offset0:28 offset1:30
	v_add_u32_e32 v7, 0x2000, v7
	s_or_b64 s[12:13], vcc, s[12:13]
	v_mov_b32_e32 v8, s18
	s_andn2_b64 exec, exec, s[12:13]
	s_cbranch_execnz .LBB309_131
; %bb.132:
	s_or_b64 exec, exec, s[12:13]
.LBB309_133:
	s_or_b64 exec, exec, s[8:9]
	v_and_b32_e32 v5, 7, v5
	v_cmp_ne_u32_e32 vcc, 0, v5
	s_and_saveexec_b64 s[8:9], vcc
	s_cbranch_execz .LBB309_136
; %bb.134:
	v_lshlrev_b32_e32 v6, 9, v8
	v_lshlrev_b32_e32 v7, 2, v0
	s_movk_i32 s12, 0xd0
	v_add3_u32 v6, v6, v7, s12
	s_mov_b64 s[12:13], 0
.LBB309_135:                            ; =>This Inner Loop Header: Depth=1
	ds_read2st64_b32 v[8:9], v6 offset1:2
	v_add_u32_e32 v5, -1, v5
	v_cmp_eq_u32_e32 vcc, 0, v5
	s_or_b64 s[12:13], vcc, s[12:13]
	s_waitcnt lgkmcnt(0)
	v_pk_mul_f32 v[8:9], v[2:3], v[8:9]
	ds_write2st64_b32 v6, v8, v9 offset1:2
	v_add_u32_e32 v6, 0x400, v6
	s_andn2_b64 exec, exec, s[12:13]
	s_cbranch_execnz .LBB309_135
.LBB309_136:
	s_or_b64 exec, exec, s[8:9]
	v_add_u32_e32 v4, 1, v4
	v_and_b32_e32 v5, 0x3fffffe, v4
	v_cmp_ne_u32_e32 vcc, v4, v5
	v_lshl_add_u32 v3, v5, 7, v0
	s_orn2_b64 s[8:9], vcc, exec
.LBB309_137:
	s_or_b64 exec, exec, s[2:3]
	s_and_b64 exec, exec, s[8:9]
	s_cbranch_execz .LBB309_140
; %bb.138:
	v_mov_b32_e32 v4, 0xd0
	v_lshl_add_u32 v4, v3, 2, v4
	s_mov_b64 s[2:3], 0
.LBB309_139:                            ; =>This Inner Loop Header: Depth=1
	ds_read_b32 v5, v4
	v_add_u32_e32 v3, 0x80, v3
	v_cmp_le_i32_e32 vcc, s37, v3
	s_or_b64 s[2:3], vcc, s[2:3]
	s_waitcnt lgkmcnt(0)
	v_mul_f32_e32 v5, v2, v5
	ds_write_b32 v4, v5
	v_add_u32_e32 v4, 0x200, v4
	s_andn2_b64 exec, exec, s[2:3]
	s_cbranch_execnz .LBB309_139
.LBB309_140:
	s_or_b64 exec, exec, s[0:1]
	s_mov_b32 s0, 0
	v_mov_b32_e32 v12, 0
	v_and_b32_e32 v20, 1, v0
	v_mov_b32_e32 v11, 0
	v_mov_b32_e32 v10, 0
	s_waitcnt lgkmcnt(0)
	s_barrier
	s_and_saveexec_b64 s[8:9], s[6:7]
	s_cbranch_execz .LBB309_376
; %bb.141:
	s_sub_i32 s18, s42, s21
	s_ashr_i32 s1, s43, 31
	s_add_u32 s2, s34, s43
	s_addc_u32 s3, s35, s1
	s_abs_i32 s19, s22
	v_cvt_f32_u32_e32 v2, s19
	v_lshlrev_b32_e32 v3, 3, v0
	v_mov_b32_e32 v13, 0
	v_and_b32_e32 v12, 0x1f8, v3
	v_rcp_iflag_f32_e32 v2, v2
	s_add_i32 s21, s20, -1
	s_sub_i32 s1, 0, s19
	v_lshl_add_u64 v[14:15], s[2:3], 0, v[12:13]
	v_mul_f32_e32 v2, 0x4f7ffffe, v2
	v_cvt_u32_f32_e32 v2, v2
	s_lshl_b64 s[2:3], s[30:31], 2
	v_and_b32_e32 v21, 8, v3
	s_add_u32 s2, s28, s2
	v_mul_lo_u32 v3, s1, v2
	v_mul_hi_u32 v3, v2, v3
	v_and_b32_e32 v12, 60, v24
	s_addc_u32 s3, s29, s3
	v_add_u32_e32 v23, v2, v3
	v_lshl_add_u64 v[16:17], s[2:3], 0, v[12:13]
	v_lshlrev_b32_e32 v2, 5, v20
	s_mov_b32 s2, s0
	v_lshl_or_b32 v2, v1, 6, v2
	s_mov_b32 s1, s0
	v_mov_b32_e32 v12, s2
	v_add_u32_e32 v24, 0xd0, v2
	s_mov_b64 s[6:7], 0
	v_mov_b32_e32 v11, s1
	v_mov_b32_e32 v10, s0
	s_mov_b32 s22, 0x7f800000
	s_movk_i32 s28, 0x7fff
	s_branch .LBB309_144
.LBB309_142:                            ;   in Loop: Header=BB309_144 Depth=1
	s_or_b64 exec, exec, s[0:1]
	v_and_b32_e32 v35, 0xffff0000, v36
	v_and_b32_e32 v37, 0xffff0000, v9
	;; [unrolled: 1-line block ×8, first 2 shown]
	v_pk_add_f32 v[6:7], v[6:7], v[36:37]
	v_pk_add_f32 v[8:9], v[26:27], v[34:35]
	v_add_f32_e32 v6, v6, v7
	v_add_f32_e32 v6, v6, v8
	v_add_f32_e32 v6, v6, v9
	v_and_b32_e32 v27, 0xffff0000, v46
	v_and_b32_e32 v26, 0xffff0000, v5
	;; [unrolled: 1-line block ×4, first 2 shown]
	v_add_f32_e32 v10, v10, v6
	v_and_b32_e32 v7, 0xffff0000, v50
	v_and_b32_e32 v6, 0xffff0000, v48
	;; [unrolled: 1-line block ×4, first 2 shown]
	v_pk_add_f32 v[4:5], v[4:5], v[26:27]
	v_pk_add_f32 v[6:7], v[8:9], v[6:7]
	v_add_f32_e32 v4, v4, v5
	v_add_f32_e32 v4, v4, v6
	;; [unrolled: 1-line block ×3, first 2 shown]
	v_and_b32_e32 v5, 0xffff0000, v3
	v_and_b32_e32 v9, 0xffff0000, v30
	;; [unrolled: 1-line block ×5, first 2 shown]
	v_add_f32_e32 v11, v11, v4
	v_and_b32_e32 v4, 0xffff0000, v32
	v_and_b32_e32 v7, 0xffff0000, v33
	;; [unrolled: 1-line block ×3, first 2 shown]
	v_pk_add_f32 v[2:3], v[2:3], v[8:9]
	v_pk_add_f32 v[4:5], v[6:7], v[4:5]
	v_add_f32_e32 v2, v2, v3
	v_add_f32_e32 v2, v2, v4
	;; [unrolled: 1-line block ×4, first 2 shown]
.LBB309_143:                            ;   in Loop: Header=BB309_144 Depth=1
	s_or_b64 exec, exec, s[2:3]
	v_add_u32_e32 v1, 2, v1
	v_cmp_le_i32_e32 vcc, s20, v1
	v_lshl_add_u64 v[16:17], v[16:17], 0, 8
	v_add_u32_e32 v22, 32, v22
	s_or_b64 s[6:7], vcc, s[6:7]
	v_add_u32_e32 v24, 0x80, v24
	s_andn2_b64 exec, exec, s[6:7]
	s_cbranch_execz .LBB309_375
.LBB309_144:                            ; =>This Inner Loop Header: Depth=1
	v_mul_hi_u32 v2, v22, s25
	v_mul_lo_u32 v3, v2, s16
	v_sub_u32_e32 v3, v22, v3
	v_add_u32_e32 v4, 1, v2
	v_cmp_le_u32_e32 vcc, s16, v3
	s_nop 1
	v_cndmask_b32_e32 v2, v2, v4, vcc
	v_subrev_u32_e32 v4, s16, v3
	v_cndmask_b32_e32 v3, v3, v4, vcc
	v_add_u32_e32 v4, 1, v2
	v_cmp_le_u32_e32 vcc, s16, v3
	s_nop 1
	v_cndmask_b32_e32 v2, v2, v4, vcc
	v_xor_b32_e32 v2, s23, v2
	v_subrev_u32_e32 v2, s23, v2
	v_add_u32_e32 v3, s36, v2
	v_sub_u32_e32 v5, 0, v3
	v_ashrrev_i32_e32 v4, 31, v3
	v_max_i32_e32 v3, v3, v5
	v_mul_hi_u32 v5, v3, v23
	v_mul_lo_u32 v5, v5, s19
	v_sub_u32_e32 v3, v3, v5
	v_subrev_u32_e32 v5, s19, v3
	v_cmp_le_u32_e32 vcc, s19, v3
	v_cmp_lt_i32_e64 s[0:1], s18, v2
	s_nop 0
	v_cndmask_b32_e32 v3, v3, v5, vcc
	v_subrev_u32_e32 v5, s19, v3
	v_cmp_le_u32_e32 vcc, s19, v3
	s_nop 1
	v_cndmask_b32_e32 v3, v3, v5, vcc
	v_xor_b32_e32 v3, v3, v4
	v_sub_u32_e32 v3, v3, v4
	v_cmp_eq_u32_e32 vcc, 0, v3
	s_or_b64 s[0:1], vcc, s[0:1]
	s_and_saveexec_b64 s[2:3], s[0:1]
	s_cbranch_execz .LBB309_143
; %bb.145:                              ;   in Loop: Header=BB309_144 Depth=1
	global_load_dword v28, v[16:17], off
	ds_read2_b64 v[6:9], v24 offset1:1
	ds_read2_b64 v[2:5], v24 offset0:2 offset1:3
                                        ; implicit-def: $vgpr37
	s_waitcnt lgkmcnt(1)
	v_and_b32_e32 v25, 0x7f800000, v6
	v_cmp_ne_u32_e32 vcc, s22, v25
	s_and_saveexec_b64 s[0:1], vcc
	s_xor_b64 s[0:1], exec, s[0:1]
; %bb.146:                              ;   in Loop: Header=BB309_144 Depth=1
	v_bfe_u32 v25, v6, 16, 1
	v_add3_u32 v37, v6, v25, s28
; %bb.147:                              ;   in Loop: Header=BB309_144 Depth=1
	s_andn2_saveexec_b64 s[0:1], s[0:1]
; %bb.148:                              ;   in Loop: Header=BB309_144 Depth=1
	v_or_b32_e32 v25, 0x10000, v6
	v_cmp_eq_u32_sdwa vcc, v6, v13 src0_sel:WORD_0 src1_sel:DWORD
	s_nop 1
	v_cndmask_b32_e32 v37, v25, v6, vcc
; %bb.149:                              ;   in Loop: Header=BB309_144 Depth=1
	s_or_b64 exec, exec, s[0:1]
	v_and_b32_e32 v6, 0x7f800000, v7
	v_cmp_ne_u32_e32 vcc, s22, v6
                                        ; implicit-def: $vgpr38
	s_and_saveexec_b64 s[0:1], vcc
	s_xor_b64 s[0:1], exec, s[0:1]
; %bb.150:                              ;   in Loop: Header=BB309_144 Depth=1
	v_bfe_u32 v6, v7, 16, 1
	v_add3_u32 v38, v7, v6, s28
; %bb.151:                              ;   in Loop: Header=BB309_144 Depth=1
	s_andn2_saveexec_b64 s[0:1], s[0:1]
; %bb.152:                              ;   in Loop: Header=BB309_144 Depth=1
	v_or_b32_e32 v6, 0x10000, v7
	v_cmp_eq_u32_sdwa vcc, v7, v13 src0_sel:WORD_0 src1_sel:DWORD
	s_nop 1
	v_cndmask_b32_e32 v38, v6, v7, vcc
; %bb.153:                              ;   in Loop: Header=BB309_144 Depth=1
	s_or_b64 exec, exec, s[0:1]
	v_and_b32_e32 v6, 0x7f800000, v8
	v_cmp_ne_u32_e32 vcc, s22, v6
                                        ; implicit-def: $vgpr39
	s_and_saveexec_b64 s[0:1], vcc
	s_xor_b64 s[0:1], exec, s[0:1]
; %bb.154:                              ;   in Loop: Header=BB309_144 Depth=1
	v_bfe_u32 v6, v8, 16, 1
	v_add3_u32 v39, v8, v6, s28
; %bb.155:                              ;   in Loop: Header=BB309_144 Depth=1
	s_andn2_saveexec_b64 s[0:1], s[0:1]
; %bb.156:                              ;   in Loop: Header=BB309_144 Depth=1
	v_or_b32_e32 v6, 0x10000, v8
	v_cmp_eq_u32_sdwa vcc, v8, v13 src0_sel:WORD_0 src1_sel:DWORD
	s_nop 1
	v_cndmask_b32_e32 v39, v6, v8, vcc
; %bb.157:                              ;   in Loop: Header=BB309_144 Depth=1
	s_or_b64 exec, exec, s[0:1]
	v_and_b32_e32 v6, 0x7f800000, v9
	v_cmp_ne_u32_e32 vcc, s22, v6
                                        ; implicit-def: $vgpr40
	s_and_saveexec_b64 s[0:1], vcc
	s_xor_b64 s[0:1], exec, s[0:1]
; %bb.158:                              ;   in Loop: Header=BB309_144 Depth=1
	v_bfe_u32 v6, v9, 16, 1
	v_add3_u32 v40, v9, v6, s28
                                        ; implicit-def: $vgpr6_vgpr7_vgpr8_vgpr9
; %bb.159:                              ;   in Loop: Header=BB309_144 Depth=1
	s_andn2_saveexec_b64 s[0:1], s[0:1]
; %bb.160:                              ;   in Loop: Header=BB309_144 Depth=1
	v_or_b32_e32 v6, 0x10000, v9
	v_cmp_eq_u32_sdwa vcc, v9, v13 src0_sel:WORD_0 src1_sel:DWORD
	s_nop 1
	v_cndmask_b32_e32 v40, v6, v9, vcc
; %bb.161:                              ;   in Loop: Header=BB309_144 Depth=1
	s_or_b64 exec, exec, s[0:1]
	s_waitcnt lgkmcnt(0)
	v_and_b32_e32 v6, 0x7f800000, v2
	v_cmp_ne_u32_e32 vcc, s22, v6
                                        ; implicit-def: $vgpr25
	s_and_saveexec_b64 s[0:1], vcc
	s_xor_b64 s[0:1], exec, s[0:1]
; %bb.162:                              ;   in Loop: Header=BB309_144 Depth=1
	v_bfe_u32 v6, v2, 16, 1
	v_add3_u32 v25, v2, v6, s28
; %bb.163:                              ;   in Loop: Header=BB309_144 Depth=1
	s_andn2_saveexec_b64 s[0:1], s[0:1]
; %bb.164:                              ;   in Loop: Header=BB309_144 Depth=1
	v_or_b32_e32 v6, 0x10000, v2
	v_cmp_eq_u32_sdwa vcc, v2, v13 src0_sel:WORD_0 src1_sel:DWORD
	s_nop 1
	v_cndmask_b32_e32 v25, v6, v2, vcc
; %bb.165:                              ;   in Loop: Header=BB309_144 Depth=1
	s_or_b64 exec, exec, s[0:1]
	v_and_b32_e32 v2, 0x7f800000, v3
	v_cmp_ne_u32_e32 vcc, s22, v2
                                        ; implicit-def: $vgpr26
	s_and_saveexec_b64 s[0:1], vcc
	s_xor_b64 s[0:1], exec, s[0:1]
; %bb.166:                              ;   in Loop: Header=BB309_144 Depth=1
	v_bfe_u32 v2, v3, 16, 1
	v_add3_u32 v26, v3, v2, s28
; %bb.167:                              ;   in Loop: Header=BB309_144 Depth=1
	s_andn2_saveexec_b64 s[0:1], s[0:1]
; %bb.168:                              ;   in Loop: Header=BB309_144 Depth=1
	v_or_b32_e32 v2, 0x10000, v3
	v_cmp_eq_u32_sdwa vcc, v3, v13 src0_sel:WORD_0 src1_sel:DWORD
	s_nop 1
	v_cndmask_b32_e32 v26, v2, v3, vcc
; %bb.169:                              ;   in Loop: Header=BB309_144 Depth=1
	s_or_b64 exec, exec, s[0:1]
	v_and_b32_e32 v2, 0x7f800000, v4
	v_cmp_ne_u32_e32 vcc, s22, v2
                                        ; implicit-def: $vgpr27
	s_and_saveexec_b64 s[0:1], vcc
	s_xor_b64 s[0:1], exec, s[0:1]
; %bb.170:                              ;   in Loop: Header=BB309_144 Depth=1
	v_bfe_u32 v2, v4, 16, 1
	v_add3_u32 v27, v4, v2, s28
; %bb.171:                              ;   in Loop: Header=BB309_144 Depth=1
	s_andn2_saveexec_b64 s[0:1], s[0:1]
; %bb.172:                              ;   in Loop: Header=BB309_144 Depth=1
	v_or_b32_e32 v2, 0x10000, v4
	v_cmp_eq_u32_sdwa vcc, v4, v13 src0_sel:WORD_0 src1_sel:DWORD
	s_nop 1
	v_cndmask_b32_e32 v27, v2, v4, vcc
; %bb.173:                              ;   in Loop: Header=BB309_144 Depth=1
	s_or_b64 exec, exec, s[0:1]
	v_and_b32_e32 v2, 0x7f800000, v5
	v_cmp_ne_u32_e32 vcc, s22, v2
                                        ; implicit-def: $vgpr36
	s_and_saveexec_b64 s[0:1], vcc
	s_xor_b64 s[0:1], exec, s[0:1]
; %bb.174:                              ;   in Loop: Header=BB309_144 Depth=1
	v_bfe_u32 v2, v5, 16, 1
	v_add3_u32 v36, v5, v2, s28
                                        ; implicit-def: $vgpr2_vgpr3_vgpr4_vgpr5
; %bb.175:                              ;   in Loop: Header=BB309_144 Depth=1
	s_andn2_saveexec_b64 s[0:1], s[0:1]
; %bb.176:                              ;   in Loop: Header=BB309_144 Depth=1
	v_or_b32_e32 v2, 0x10000, v5
	v_cmp_eq_u32_sdwa vcc, v5, v13 src0_sel:WORD_0 src1_sel:DWORD
	s_nop 1
	v_cndmask_b32_e32 v36, v2, v5, vcc
; %bb.177:                              ;   in Loop: Header=BB309_144 Depth=1
	s_or_b64 exec, exec, s[0:1]
	s_waitcnt vmcnt(0)
	v_mad_i64_i32 v[2:3], s[0:1], v28, s17, v[14:15]
	global_load_dwordx2 v[4:5], v[2:3], off
	s_load_dword s29, s[14:15], 0x0
	s_waitcnt vmcnt(0)
	v_and_b32_e32 v6, 0xff, v4
	v_cvt_f32_fp8_sdwa v6, v6 src0_sel:BYTE_0
	s_waitcnt lgkmcnt(0)
	v_mul_f32_e32 v7, s29, v6
	v_and_b32_e32 v6, 0x7f800000, v7
	v_cmp_ne_u32_e32 vcc, s22, v6
                                        ; implicit-def: $vgpr6
	s_and_saveexec_b64 s[0:1], vcc
	s_xor_b64 s[0:1], exec, s[0:1]
; %bb.178:                              ;   in Loop: Header=BB309_144 Depth=1
	v_bfe_u32 v6, v7, 16, 1
	v_add3_u32 v6, v7, v6, s28
                                        ; implicit-def: $vgpr7
; %bb.179:                              ;   in Loop: Header=BB309_144 Depth=1
	s_andn2_saveexec_b64 s[0:1], s[0:1]
; %bb.180:                              ;   in Loop: Header=BB309_144 Depth=1
	v_or_b32_e32 v6, 0x10000, v7
	v_cmp_eq_u32_sdwa vcc, v7, v13 src0_sel:WORD_0 src1_sel:DWORD
	s_nop 1
	v_cndmask_b32_e32 v6, v6, v7, vcc
; %bb.181:                              ;   in Loop: Header=BB309_144 Depth=1
	s_or_b64 exec, exec, s[0:1]
	v_bfe_u32 v7, v4, 8, 8
	v_cvt_f32_fp8_sdwa v7, v7 src0_sel:BYTE_0
	s_nop 0
	v_mul_f32_e32 v8, s29, v7
	v_and_b32_e32 v7, 0x7f800000, v8
	v_cmp_ne_u32_e32 vcc, s22, v7
                                        ; implicit-def: $vgpr7
	s_and_saveexec_b64 s[0:1], vcc
	s_xor_b64 s[0:1], exec, s[0:1]
; %bb.182:                              ;   in Loop: Header=BB309_144 Depth=1
	v_bfe_u32 v7, v8, 16, 1
	v_add3_u32 v7, v8, v7, s28
                                        ; implicit-def: $vgpr8
; %bb.183:                              ;   in Loop: Header=BB309_144 Depth=1
	s_andn2_saveexec_b64 s[0:1], s[0:1]
; %bb.184:                              ;   in Loop: Header=BB309_144 Depth=1
	v_or_b32_e32 v7, 0x10000, v8
	v_cmp_eq_u32_sdwa vcc, v8, v13 src0_sel:WORD_0 src1_sel:DWORD
	s_nop 1
	v_cndmask_b32_e32 v7, v7, v8, vcc
; %bb.185:                              ;   in Loop: Header=BB309_144 Depth=1
	s_or_b64 exec, exec, s[0:1]
	v_bfe_u32 v8, v4, 16, 8
	v_cvt_f32_fp8_sdwa v8, v8 src0_sel:BYTE_0
	s_nop 0
	v_mul_f32_e32 v9, s29, v8
	v_and_b32_e32 v8, 0x7f800000, v9
	v_cmp_ne_u32_e32 vcc, s22, v8
                                        ; implicit-def: $vgpr8
	s_and_saveexec_b64 s[0:1], vcc
	s_xor_b64 s[0:1], exec, s[0:1]
; %bb.186:                              ;   in Loop: Header=BB309_144 Depth=1
	v_bfe_u32 v8, v9, 16, 1
	v_add3_u32 v8, v9, v8, s28
                                        ; implicit-def: $vgpr9
; %bb.187:                              ;   in Loop: Header=BB309_144 Depth=1
	s_andn2_saveexec_b64 s[0:1], s[0:1]
; %bb.188:                              ;   in Loop: Header=BB309_144 Depth=1
	v_or_b32_e32 v8, 0x10000, v9
	v_cmp_eq_u32_sdwa vcc, v9, v13 src0_sel:WORD_0 src1_sel:DWORD
	s_nop 1
	v_cndmask_b32_e32 v8, v8, v9, vcc
; %bb.189:                              ;   in Loop: Header=BB309_144 Depth=1
	s_or_b64 exec, exec, s[0:1]
	v_lshrrev_b32_e32 v4, 24, v4
	v_cvt_f32_fp8_sdwa v4, v4 src0_sel:BYTE_0
	s_nop 0
	v_mul_f32_e32 v9, s29, v4
	v_and_b32_e32 v4, 0x7f800000, v9
	v_cmp_ne_u32_e32 vcc, s22, v4
                                        ; implicit-def: $vgpr4
	s_and_saveexec_b64 s[0:1], vcc
	s_xor_b64 s[0:1], exec, s[0:1]
; %bb.190:                              ;   in Loop: Header=BB309_144 Depth=1
	v_bfe_u32 v4, v9, 16, 1
	v_add3_u32 v4, v9, v4, s28
                                        ; implicit-def: $vgpr9
; %bb.191:                              ;   in Loop: Header=BB309_144 Depth=1
	s_andn2_saveexec_b64 s[0:1], s[0:1]
; %bb.192:                              ;   in Loop: Header=BB309_144 Depth=1
	v_or_b32_e32 v4, 0x10000, v9
	v_cmp_eq_u32_sdwa vcc, v9, v13 src0_sel:WORD_0 src1_sel:DWORD
	s_nop 1
	v_cndmask_b32_e32 v4, v4, v9, vcc
; %bb.193:                              ;   in Loop: Header=BB309_144 Depth=1
	s_or_b64 exec, exec, s[0:1]
	v_and_b32_e32 v9, 0xff, v5
	v_cvt_f32_fp8_sdwa v9, v9 src0_sel:BYTE_0
	s_nop 0
	v_mul_f32_e32 v28, s29, v9
	v_and_b32_e32 v9, 0x7f800000, v28
	v_cmp_ne_u32_e32 vcc, s22, v9
                                        ; implicit-def: $vgpr9
	s_and_saveexec_b64 s[0:1], vcc
	s_xor_b64 s[0:1], exec, s[0:1]
; %bb.194:                              ;   in Loop: Header=BB309_144 Depth=1
	v_bfe_u32 v9, v28, 16, 1
	v_add3_u32 v9, v28, v9, s28
                                        ; implicit-def: $vgpr28
; %bb.195:                              ;   in Loop: Header=BB309_144 Depth=1
	s_andn2_saveexec_b64 s[0:1], s[0:1]
; %bb.196:                              ;   in Loop: Header=BB309_144 Depth=1
	v_or_b32_e32 v9, 0x10000, v28
	v_cmp_eq_u32_sdwa vcc, v28, v13 src0_sel:WORD_0 src1_sel:DWORD
	s_nop 1
	v_cndmask_b32_e32 v9, v9, v28, vcc
; %bb.197:                              ;   in Loop: Header=BB309_144 Depth=1
	s_or_b64 exec, exec, s[0:1]
	v_bfe_u32 v28, v5, 8, 8
	v_cvt_f32_fp8_sdwa v28, v28 src0_sel:BYTE_0
	s_nop 0
	v_mul_f32_e32 v28, s29, v28
	v_and_b32_e32 v29, 0x7f800000, v28
	v_cmp_ne_u32_e32 vcc, s22, v29
                                        ; implicit-def: $vgpr29
	s_and_saveexec_b64 s[0:1], vcc
	s_xor_b64 s[0:1], exec, s[0:1]
; %bb.198:                              ;   in Loop: Header=BB309_144 Depth=1
	v_bfe_u32 v29, v28, 16, 1
	v_add3_u32 v29, v28, v29, s28
                                        ; implicit-def: $vgpr28
; %bb.199:                              ;   in Loop: Header=BB309_144 Depth=1
	s_andn2_saveexec_b64 s[0:1], s[0:1]
; %bb.200:                              ;   in Loop: Header=BB309_144 Depth=1
	v_or_b32_e32 v29, 0x10000, v28
	v_cmp_eq_u32_sdwa vcc, v28, v13 src0_sel:WORD_0 src1_sel:DWORD
	s_nop 1
	v_cndmask_b32_e32 v29, v29, v28, vcc
; %bb.201:                              ;   in Loop: Header=BB309_144 Depth=1
	s_or_b64 exec, exec, s[0:1]
	v_bfe_u32 v28, v5, 16, 8
	v_cvt_f32_fp8_sdwa v28, v28 src0_sel:BYTE_0
	s_nop 0
	v_mul_f32_e32 v28, s29, v28
	v_and_b32_e32 v30, 0x7f800000, v28
	v_cmp_ne_u32_e32 vcc, s22, v30
                                        ; implicit-def: $vgpr30
	s_and_saveexec_b64 s[0:1], vcc
	s_xor_b64 s[0:1], exec, s[0:1]
; %bb.202:                              ;   in Loop: Header=BB309_144 Depth=1
	v_bfe_u32 v30, v28, 16, 1
	v_add3_u32 v30, v28, v30, s28
                                        ; implicit-def: $vgpr28
; %bb.203:                              ;   in Loop: Header=BB309_144 Depth=1
	s_andn2_saveexec_b64 s[0:1], s[0:1]
; %bb.204:                              ;   in Loop: Header=BB309_144 Depth=1
	v_or_b32_e32 v30, 0x10000, v28
	v_cmp_eq_u32_sdwa vcc, v28, v13 src0_sel:WORD_0 src1_sel:DWORD
	s_nop 1
	v_cndmask_b32_e32 v30, v30, v28, vcc
; %bb.205:                              ;   in Loop: Header=BB309_144 Depth=1
	s_or_b64 exec, exec, s[0:1]
	v_lshrrev_b32_e32 v5, 24, v5
	v_cvt_f32_fp8_sdwa v5, v5 src0_sel:BYTE_0
                                        ; implicit-def: $vgpr31
	s_nop 0
	v_mul_f32_e32 v5, s29, v5
	v_and_b32_e32 v28, 0x7f800000, v5
	v_cmp_ne_u32_e32 vcc, s22, v28
	s_and_saveexec_b64 s[0:1], vcc
	s_xor_b64 s[0:1], exec, s[0:1]
; %bb.206:                              ;   in Loop: Header=BB309_144 Depth=1
	v_bfe_u32 v28, v5, 16, 1
	v_add3_u32 v31, v5, v28, s28
                                        ; implicit-def: $vgpr5
; %bb.207:                              ;   in Loop: Header=BB309_144 Depth=1
	s_andn2_saveexec_b64 s[0:1], s[0:1]
; %bb.208:                              ;   in Loop: Header=BB309_144 Depth=1
	v_or_b32_e32 v28, 0x10000, v5
	v_cmp_eq_u32_sdwa vcc, v5, v13 src0_sel:WORD_0 src1_sel:DWORD
	s_nop 1
	v_cndmask_b32_e32 v31, v28, v5, vcc
; %bb.209:                              ;   in Loop: Header=BB309_144 Depth=1
	s_or_b64 exec, exec, s[0:1]
	v_add_u32_e32 v28, v21, v22
	v_cmp_eq_u32_e32 vcc, s21, v1
	v_lshrrev_b32_e32 v43, 16, v29
	v_lshrrev_b32_e32 v42, 16, v9
	;; [unrolled: 1-line block ×8, first 2 shown]
	v_add_u32_e32 v35, 1, v28
	v_add_u32_e32 v34, 2, v28
	;; [unrolled: 1-line block ×7, first 2 shown]
	s_and_saveexec_b64 s[12:13], vcc
	s_cbranch_execz .LBB309_211
; %bb.210:                              ;   in Loop: Header=BB309_144 Depth=1
	v_cmp_gt_i32_e64 s[0:1], s33, v28
	s_nop 1
	v_cndmask_b32_e64 v6, 0, v6, s[0:1]
	v_cmp_gt_i32_e64 s[0:1], s33, v35
	s_nop 1
	v_cndmask_b32_e64 v7, 0, v7, s[0:1]
	;; [unrolled: 3-line block ×8, first 2 shown]
.LBB309_211:                            ;   in Loop: Header=BB309_144 Depth=1
	s_or_b64 exec, exec, s[12:13]
	v_and_b32_e32 v37, 0xffff0000, v37
	v_lshlrev_b32_e32 v6, 16, v6
	v_mul_f32_e32 v41, v37, v6
	v_and_b32_e32 v6, 0x7f800000, v41
	v_cmp_ne_u32_e64 s[0:1], s22, v6
                                        ; implicit-def: $vgpr6
	s_and_saveexec_b64 s[12:13], s[0:1]
	s_xor_b64 s[0:1], exec, s[12:13]
; %bb.212:                              ;   in Loop: Header=BB309_144 Depth=1
	v_bfe_u32 v6, v41, 16, 1
	v_add3_u32 v6, v41, v6, s28
                                        ; implicit-def: $vgpr41
; %bb.213:                              ;   in Loop: Header=BB309_144 Depth=1
	s_andn2_saveexec_b64 s[12:13], s[0:1]
; %bb.214:                              ;   in Loop: Header=BB309_144 Depth=1
	v_or_b32_e32 v6, 0x10000, v41
	v_cmp_eq_u32_sdwa s[0:1], v41, v13 src0_sel:WORD_0 src1_sel:DWORD
	s_nop 1
	v_cndmask_b32_e64 v6, v6, v41, s[0:1]
; %bb.215:                              ;   in Loop: Header=BB309_144 Depth=1
	s_or_b64 exec, exec, s[12:13]
	v_and_b32_e32 v38, 0xffff0000, v38
	v_lshlrev_b32_e32 v7, 16, v7
	v_mul_f32_e32 v41, v38, v7
	v_and_b32_e32 v7, 0x7f800000, v41
	v_cmp_ne_u32_e64 s[0:1], s22, v7
                                        ; implicit-def: $vgpr7
	s_and_saveexec_b64 s[12:13], s[0:1]
	s_xor_b64 s[0:1], exec, s[12:13]
; %bb.216:                              ;   in Loop: Header=BB309_144 Depth=1
	v_bfe_u32 v7, v41, 16, 1
	v_add3_u32 v7, v41, v7, s28
                                        ; implicit-def: $vgpr41
; %bb.217:                              ;   in Loop: Header=BB309_144 Depth=1
	s_andn2_saveexec_b64 s[12:13], s[0:1]
; %bb.218:                              ;   in Loop: Header=BB309_144 Depth=1
	v_or_b32_e32 v7, 0x10000, v41
	v_cmp_eq_u32_sdwa s[0:1], v41, v13 src0_sel:WORD_0 src1_sel:DWORD
	s_nop 1
	v_cndmask_b32_e64 v7, v7, v41, s[0:1]
; %bb.219:                              ;   in Loop: Header=BB309_144 Depth=1
	s_or_b64 exec, exec, s[12:13]
	v_and_b32_e32 v39, 0xffff0000, v39
	v_lshlrev_b32_e32 v8, 16, v8
	v_mul_f32_e32 v41, v39, v8
	v_and_b32_e32 v8, 0x7f800000, v41
	v_cmp_ne_u32_e64 s[0:1], s22, v8
                                        ; implicit-def: $vgpr8
	s_and_saveexec_b64 s[12:13], s[0:1]
	s_xor_b64 s[0:1], exec, s[12:13]
; %bb.220:                              ;   in Loop: Header=BB309_144 Depth=1
	v_bfe_u32 v8, v41, 16, 1
	v_add3_u32 v8, v41, v8, s28
                                        ; implicit-def: $vgpr41
; %bb.221:                              ;   in Loop: Header=BB309_144 Depth=1
	s_andn2_saveexec_b64 s[12:13], s[0:1]
; %bb.222:                              ;   in Loop: Header=BB309_144 Depth=1
	v_or_b32_e32 v8, 0x10000, v41
	v_cmp_eq_u32_sdwa s[0:1], v41, v13 src0_sel:WORD_0 src1_sel:DWORD
	s_nop 1
	v_cndmask_b32_e64 v8, v8, v41, s[0:1]
; %bb.223:                              ;   in Loop: Header=BB309_144 Depth=1
	s_or_b64 exec, exec, s[12:13]
	v_and_b32_e32 v40, 0xffff0000, v40
	v_lshlrev_b32_e32 v9, 16, v9
	v_mul_f32_e32 v41, v40, v9
	v_and_b32_e32 v9, 0x7f800000, v41
	v_cmp_ne_u32_e64 s[0:1], s22, v9
                                        ; implicit-def: $vgpr9
	s_and_saveexec_b64 s[12:13], s[0:1]
	s_xor_b64 s[0:1], exec, s[12:13]
; %bb.224:                              ;   in Loop: Header=BB309_144 Depth=1
	v_bfe_u32 v9, v41, 16, 1
	v_add3_u32 v9, v41, v9, s28
                                        ; implicit-def: $vgpr41
; %bb.225:                              ;   in Loop: Header=BB309_144 Depth=1
	s_andn2_saveexec_b64 s[12:13], s[0:1]
; %bb.226:                              ;   in Loop: Header=BB309_144 Depth=1
	v_or_b32_e32 v9, 0x10000, v41
	v_cmp_eq_u32_sdwa s[0:1], v41, v13 src0_sel:WORD_0 src1_sel:DWORD
	s_nop 1
	v_cndmask_b32_e64 v9, v9, v41, s[0:1]
; %bb.227:                              ;   in Loop: Header=BB309_144 Depth=1
	s_or_b64 exec, exec, s[12:13]
	v_and_b32_e32 v41, 0xffff0000, v25
	v_lshlrev_b32_e32 v25, 16, v42
	v_mul_f32_e32 v42, v41, v25
	v_and_b32_e32 v25, 0x7f800000, v42
	v_cmp_ne_u32_e64 s[0:1], s22, v25
                                        ; implicit-def: $vgpr25
	s_and_saveexec_b64 s[12:13], s[0:1]
	s_xor_b64 s[0:1], exec, s[12:13]
; %bb.228:                              ;   in Loop: Header=BB309_144 Depth=1
	v_bfe_u32 v25, v42, 16, 1
	v_add3_u32 v25, v42, v25, s28
                                        ; implicit-def: $vgpr42
; %bb.229:                              ;   in Loop: Header=BB309_144 Depth=1
	s_andn2_saveexec_b64 s[12:13], s[0:1]
; %bb.230:                              ;   in Loop: Header=BB309_144 Depth=1
	v_or_b32_e32 v25, 0x10000, v42
	v_cmp_eq_u32_sdwa s[0:1], v42, v13 src0_sel:WORD_0 src1_sel:DWORD
	s_nop 1
	v_cndmask_b32_e64 v25, v25, v42, s[0:1]
; %bb.231:                              ;   in Loop: Header=BB309_144 Depth=1
	s_or_b64 exec, exec, s[12:13]
	v_and_b32_e32 v42, 0xffff0000, v26
	v_lshlrev_b32_e32 v26, 16, v43
	v_mul_f32_e32 v43, v42, v26
	v_and_b32_e32 v26, 0x7f800000, v43
	v_cmp_ne_u32_e64 s[0:1], s22, v26
                                        ; implicit-def: $vgpr26
	s_and_saveexec_b64 s[12:13], s[0:1]
	s_xor_b64 s[0:1], exec, s[12:13]
; %bb.232:                              ;   in Loop: Header=BB309_144 Depth=1
	v_bfe_u32 v26, v43, 16, 1
	v_add3_u32 v26, v43, v26, s28
                                        ; implicit-def: $vgpr43
; %bb.233:                              ;   in Loop: Header=BB309_144 Depth=1
	s_andn2_saveexec_b64 s[12:13], s[0:1]
; %bb.234:                              ;   in Loop: Header=BB309_144 Depth=1
	v_or_b32_e32 v26, 0x10000, v43
	v_cmp_eq_u32_sdwa s[0:1], v43, v13 src0_sel:WORD_0 src1_sel:DWORD
	s_nop 1
	v_cndmask_b32_e64 v26, v26, v43, s[0:1]
; %bb.235:                              ;   in Loop: Header=BB309_144 Depth=1
	s_or_b64 exec, exec, s[12:13]
	v_and_b32_e32 v43, 0xffff0000, v27
	v_lshlrev_b32_e32 v5, 16, v5
	v_mul_f32_e32 v5, v43, v5
	v_and_b32_e32 v27, 0x7f800000, v5
	v_cmp_ne_u32_e64 s[0:1], s22, v27
                                        ; implicit-def: $vgpr27
	s_and_saveexec_b64 s[12:13], s[0:1]
	s_xor_b64 s[0:1], exec, s[12:13]
; %bb.236:                              ;   in Loop: Header=BB309_144 Depth=1
	v_bfe_u32 v27, v5, 16, 1
	v_add3_u32 v27, v5, v27, s28
                                        ; implicit-def: $vgpr5
; %bb.237:                              ;   in Loop: Header=BB309_144 Depth=1
	s_andn2_saveexec_b64 s[12:13], s[0:1]
; %bb.238:                              ;   in Loop: Header=BB309_144 Depth=1
	v_or_b32_e32 v27, 0x10000, v5
	v_cmp_eq_u32_sdwa s[0:1], v5, v13 src0_sel:WORD_0 src1_sel:DWORD
	s_nop 1
	v_cndmask_b32_e64 v27, v27, v5, s[0:1]
; %bb.239:                              ;   in Loop: Header=BB309_144 Depth=1
	s_or_b64 exec, exec, s[12:13]
	v_and_b32_e32 v44, 0xffff0000, v36
	v_lshlrev_b32_e32 v4, 16, v4
	v_mul_f32_e32 v4, v44, v4
	v_and_b32_e32 v5, 0x7f800000, v4
	v_cmp_ne_u32_e64 s[0:1], s22, v5
                                        ; implicit-def: $vgpr36
	s_and_saveexec_b64 s[12:13], s[0:1]
	s_xor_b64 s[0:1], exec, s[12:13]
; %bb.240:                              ;   in Loop: Header=BB309_144 Depth=1
	v_bfe_u32 v5, v4, 16, 1
	v_add3_u32 v36, v4, v5, s28
                                        ; implicit-def: $vgpr4
; %bb.241:                              ;   in Loop: Header=BB309_144 Depth=1
	s_andn2_saveexec_b64 s[12:13], s[0:1]
; %bb.242:                              ;   in Loop: Header=BB309_144 Depth=1
	v_or_b32_e32 v5, 0x10000, v4
	v_cmp_eq_u32_sdwa s[0:1], v4, v13 src0_sel:WORD_0 src1_sel:DWORD
	s_nop 1
	v_cndmask_b32_e64 v36, v5, v4, s[0:1]
; %bb.243:                              ;   in Loop: Header=BB309_144 Depth=1
	s_or_b64 exec, exec, s[12:13]
	global_load_dwordx2 v[4:5], v[2:3], off offset:512
	s_waitcnt vmcnt(0)
	v_and_b32_e32 v45, 0xff, v4
	v_cvt_f32_fp8_sdwa v45, v45 src0_sel:BYTE_0
	s_nop 0
	v_mul_f32_e32 v46, s29, v45
	v_and_b32_e32 v45, 0x7f800000, v46
	v_cmp_ne_u32_e64 s[0:1], s22, v45
                                        ; implicit-def: $vgpr45
	s_and_saveexec_b64 s[12:13], s[0:1]
	s_xor_b64 s[0:1], exec, s[12:13]
; %bb.244:                              ;   in Loop: Header=BB309_144 Depth=1
	v_bfe_u32 v45, v46, 16, 1
	v_add3_u32 v45, v46, v45, s28
                                        ; implicit-def: $vgpr46
; %bb.245:                              ;   in Loop: Header=BB309_144 Depth=1
	s_andn2_saveexec_b64 s[12:13], s[0:1]
; %bb.246:                              ;   in Loop: Header=BB309_144 Depth=1
	v_or_b32_e32 v45, 0x10000, v46
	v_cmp_eq_u32_sdwa s[0:1], v46, v13 src0_sel:WORD_0 src1_sel:DWORD
	s_nop 1
	v_cndmask_b32_e64 v45, v45, v46, s[0:1]
; %bb.247:                              ;   in Loop: Header=BB309_144 Depth=1
	s_or_b64 exec, exec, s[12:13]
	v_bfe_u32 v46, v4, 8, 8
	v_cvt_f32_fp8_sdwa v46, v46 src0_sel:BYTE_0
	s_nop 0
	v_mul_f32_e32 v47, s29, v46
	v_and_b32_e32 v46, 0x7f800000, v47
	v_cmp_ne_u32_e64 s[0:1], s22, v46
                                        ; implicit-def: $vgpr46
	s_and_saveexec_b64 s[12:13], s[0:1]
	s_xor_b64 s[0:1], exec, s[12:13]
; %bb.248:                              ;   in Loop: Header=BB309_144 Depth=1
	v_bfe_u32 v46, v47, 16, 1
	v_add3_u32 v46, v47, v46, s28
                                        ; implicit-def: $vgpr47
; %bb.249:                              ;   in Loop: Header=BB309_144 Depth=1
	s_andn2_saveexec_b64 s[12:13], s[0:1]
; %bb.250:                              ;   in Loop: Header=BB309_144 Depth=1
	v_or_b32_e32 v46, 0x10000, v47
	v_cmp_eq_u32_sdwa s[0:1], v47, v13 src0_sel:WORD_0 src1_sel:DWORD
	s_nop 1
	v_cndmask_b32_e64 v46, v46, v47, s[0:1]
; %bb.251:                              ;   in Loop: Header=BB309_144 Depth=1
	s_or_b64 exec, exec, s[12:13]
	v_bfe_u32 v47, v4, 16, 8
	v_cvt_f32_fp8_sdwa v47, v47 src0_sel:BYTE_0
	s_nop 0
	v_mul_f32_e32 v48, s29, v47
	v_and_b32_e32 v47, 0x7f800000, v48
	v_cmp_ne_u32_e64 s[0:1], s22, v47
                                        ; implicit-def: $vgpr47
	s_and_saveexec_b64 s[12:13], s[0:1]
	s_xor_b64 s[0:1], exec, s[12:13]
; %bb.252:                              ;   in Loop: Header=BB309_144 Depth=1
	v_bfe_u32 v47, v48, 16, 1
	v_add3_u32 v47, v48, v47, s28
                                        ; implicit-def: $vgpr48
; %bb.253:                              ;   in Loop: Header=BB309_144 Depth=1
	s_andn2_saveexec_b64 s[12:13], s[0:1]
; %bb.254:                              ;   in Loop: Header=BB309_144 Depth=1
	v_or_b32_e32 v47, 0x10000, v48
	v_cmp_eq_u32_sdwa s[0:1], v48, v13 src0_sel:WORD_0 src1_sel:DWORD
	s_nop 1
	v_cndmask_b32_e64 v47, v47, v48, s[0:1]
; %bb.255:                              ;   in Loop: Header=BB309_144 Depth=1
	s_or_b64 exec, exec, s[12:13]
	v_lshrrev_b32_e32 v4, 24, v4
	v_cvt_f32_fp8_sdwa v4, v4 src0_sel:BYTE_0
	s_nop 0
	v_mul_f32_e32 v48, s29, v4
	v_and_b32_e32 v4, 0x7f800000, v48
	v_cmp_ne_u32_e64 s[0:1], s22, v4
                                        ; implicit-def: $vgpr4
	s_and_saveexec_b64 s[12:13], s[0:1]
	s_xor_b64 s[0:1], exec, s[12:13]
; %bb.256:                              ;   in Loop: Header=BB309_144 Depth=1
	v_bfe_u32 v4, v48, 16, 1
	v_add3_u32 v4, v48, v4, s28
                                        ; implicit-def: $vgpr48
; %bb.257:                              ;   in Loop: Header=BB309_144 Depth=1
	s_andn2_saveexec_b64 s[12:13], s[0:1]
; %bb.258:                              ;   in Loop: Header=BB309_144 Depth=1
	v_or_b32_e32 v4, 0x10000, v48
	v_cmp_eq_u32_sdwa s[0:1], v48, v13 src0_sel:WORD_0 src1_sel:DWORD
	s_nop 1
	v_cndmask_b32_e64 v4, v4, v48, s[0:1]
; %bb.259:                              ;   in Loop: Header=BB309_144 Depth=1
	s_or_b64 exec, exec, s[12:13]
	v_and_b32_e32 v48, 0xff, v5
	v_cvt_f32_fp8_sdwa v48, v48 src0_sel:BYTE_0
	s_nop 0
	v_mul_f32_e32 v48, s29, v48
	v_and_b32_e32 v49, 0x7f800000, v48
	v_cmp_ne_u32_e64 s[0:1], s22, v49
                                        ; implicit-def: $vgpr49
	s_and_saveexec_b64 s[12:13], s[0:1]
	s_xor_b64 s[0:1], exec, s[12:13]
; %bb.260:                              ;   in Loop: Header=BB309_144 Depth=1
	v_bfe_u32 v49, v48, 16, 1
	v_add3_u32 v49, v48, v49, s28
                                        ; implicit-def: $vgpr48
; %bb.261:                              ;   in Loop: Header=BB309_144 Depth=1
	s_andn2_saveexec_b64 s[12:13], s[0:1]
; %bb.262:                              ;   in Loop: Header=BB309_144 Depth=1
	v_or_b32_e32 v49, 0x10000, v48
	v_cmp_eq_u32_sdwa s[0:1], v48, v13 src0_sel:WORD_0 src1_sel:DWORD
	s_nop 1
	v_cndmask_b32_e64 v49, v49, v48, s[0:1]
; %bb.263:                              ;   in Loop: Header=BB309_144 Depth=1
	s_or_b64 exec, exec, s[12:13]
	v_bfe_u32 v48, v5, 8, 8
	v_cvt_f32_fp8_sdwa v48, v48 src0_sel:BYTE_0
	s_nop 0
	v_mul_f32_e32 v50, s29, v48
	v_and_b32_e32 v48, 0x7f800000, v50
	v_cmp_ne_u32_e64 s[0:1], s22, v48
                                        ; implicit-def: $vgpr48
	s_and_saveexec_b64 s[12:13], s[0:1]
	s_xor_b64 s[0:1], exec, s[12:13]
; %bb.264:                              ;   in Loop: Header=BB309_144 Depth=1
	v_bfe_u32 v48, v50, 16, 1
	v_add3_u32 v48, v50, v48, s28
                                        ; implicit-def: $vgpr50
; %bb.265:                              ;   in Loop: Header=BB309_144 Depth=1
	s_andn2_saveexec_b64 s[12:13], s[0:1]
; %bb.266:                              ;   in Loop: Header=BB309_144 Depth=1
	v_or_b32_e32 v48, 0x10000, v50
	v_cmp_eq_u32_sdwa s[0:1], v50, v13 src0_sel:WORD_0 src1_sel:DWORD
	s_nop 1
	v_cndmask_b32_e64 v48, v48, v50, s[0:1]
; %bb.267:                              ;   in Loop: Header=BB309_144 Depth=1
	s_or_b64 exec, exec, s[12:13]
	v_bfe_u32 v50, v5, 16, 8
	v_cvt_f32_fp8_sdwa v50, v50 src0_sel:BYTE_0
	s_nop 0
	v_mul_f32_e32 v51, s29, v50
	v_and_b32_e32 v50, 0x7f800000, v51
	v_cmp_ne_u32_e64 s[0:1], s22, v50
                                        ; implicit-def: $vgpr50
	s_and_saveexec_b64 s[12:13], s[0:1]
	s_xor_b64 s[0:1], exec, s[12:13]
; %bb.268:                              ;   in Loop: Header=BB309_144 Depth=1
	v_bfe_u32 v50, v51, 16, 1
	v_add3_u32 v50, v51, v50, s28
                                        ; implicit-def: $vgpr51
; %bb.269:                              ;   in Loop: Header=BB309_144 Depth=1
	s_andn2_saveexec_b64 s[12:13], s[0:1]
; %bb.270:                              ;   in Loop: Header=BB309_144 Depth=1
	v_or_b32_e32 v50, 0x10000, v51
	v_cmp_eq_u32_sdwa s[0:1], v51, v13 src0_sel:WORD_0 src1_sel:DWORD
	s_nop 1
	v_cndmask_b32_e64 v50, v50, v51, s[0:1]
; %bb.271:                              ;   in Loop: Header=BB309_144 Depth=1
	s_or_b64 exec, exec, s[12:13]
	v_lshrrev_b32_e32 v5, 24, v5
	v_cvt_f32_fp8_sdwa v5, v5 src0_sel:BYTE_0
                                        ; implicit-def: $vgpr53
	s_nop 0
	v_mul_f32_e32 v5, s29, v5
	v_and_b32_e32 v51, 0x7f800000, v5
	v_cmp_ne_u32_e64 s[0:1], s22, v51
	s_and_saveexec_b64 s[12:13], s[0:1]
	s_xor_b64 s[0:1], exec, s[12:13]
; %bb.272:                              ;   in Loop: Header=BB309_144 Depth=1
	v_bfe_u32 v51, v5, 16, 1
	v_add3_u32 v53, v5, v51, s28
                                        ; implicit-def: $vgpr5
; %bb.273:                              ;   in Loop: Header=BB309_144 Depth=1
	s_andn2_saveexec_b64 s[12:13], s[0:1]
; %bb.274:                              ;   in Loop: Header=BB309_144 Depth=1
	v_or_b32_e32 v51, 0x10000, v5
	v_cmp_eq_u32_sdwa s[0:1], v5, v13 src0_sel:WORD_0 src1_sel:DWORD
	s_nop 1
	v_cndmask_b32_e64 v53, v51, v5, s[0:1]
; %bb.275:                              ;   in Loop: Header=BB309_144 Depth=1
	s_or_b64 exec, exec, s[12:13]
	v_lshrrev_b32_e32 v48, 16, v48
	v_lshrrev_b32_e32 v51, 16, v49
	;; [unrolled: 1-line block ×8, first 2 shown]
	s_and_saveexec_b64 s[12:13], vcc
	s_cbranch_execz .LBB309_277
; %bb.276:                              ;   in Loop: Header=BB309_144 Depth=1
	v_cmp_gt_i32_e64 s[0:1], s33, v28
	s_nop 1
	v_cndmask_b32_e64 v4, 0, v4, s[0:1]
	v_cmp_gt_i32_e64 s[0:1], s33, v35
	s_nop 1
	v_cndmask_b32_e64 v5, 0, v5, s[0:1]
	;; [unrolled: 3-line block ×8, first 2 shown]
.LBB309_277:                            ;   in Loop: Header=BB309_144 Depth=1
	s_or_b64 exec, exec, s[12:13]
	v_lshlrev_b32_e32 v4, 16, v4
	v_mul_f32_e32 v45, v37, v4
	v_and_b32_e32 v4, 0x7f800000, v45
	v_cmp_ne_u32_e64 s[0:1], s22, v4
                                        ; implicit-def: $vgpr4
	s_and_saveexec_b64 s[12:13], s[0:1]
	s_xor_b64 s[0:1], exec, s[12:13]
; %bb.278:                              ;   in Loop: Header=BB309_144 Depth=1
	v_bfe_u32 v4, v45, 16, 1
	v_add3_u32 v4, v45, v4, s28
                                        ; implicit-def: $vgpr45
; %bb.279:                              ;   in Loop: Header=BB309_144 Depth=1
	s_andn2_saveexec_b64 s[12:13], s[0:1]
; %bb.280:                              ;   in Loop: Header=BB309_144 Depth=1
	v_or_b32_e32 v4, 0x10000, v45
	v_cmp_eq_u32_sdwa s[0:1], v45, v13 src0_sel:WORD_0 src1_sel:DWORD
	s_nop 1
	v_cndmask_b32_e64 v4, v4, v45, s[0:1]
; %bb.281:                              ;   in Loop: Header=BB309_144 Depth=1
	s_or_b64 exec, exec, s[12:13]
	v_lshlrev_b32_e32 v5, 16, v5
	v_mul_f32_e32 v45, v38, v5
	v_and_b32_e32 v5, 0x7f800000, v45
	v_cmp_ne_u32_e64 s[0:1], s22, v5
                                        ; implicit-def: $vgpr5
	s_and_saveexec_b64 s[12:13], s[0:1]
	s_xor_b64 s[0:1], exec, s[12:13]
; %bb.282:                              ;   in Loop: Header=BB309_144 Depth=1
	v_bfe_u32 v5, v45, 16, 1
	v_add3_u32 v5, v45, v5, s28
                                        ; implicit-def: $vgpr45
; %bb.283:                              ;   in Loop: Header=BB309_144 Depth=1
	s_andn2_saveexec_b64 s[12:13], s[0:1]
; %bb.284:                              ;   in Loop: Header=BB309_144 Depth=1
	v_or_b32_e32 v5, 0x10000, v45
	v_cmp_eq_u32_sdwa s[0:1], v45, v13 src0_sel:WORD_0 src1_sel:DWORD
	s_nop 1
	v_cndmask_b32_e64 v5, v5, v45, s[0:1]
; %bb.285:                              ;   in Loop: Header=BB309_144 Depth=1
	s_or_b64 exec, exec, s[12:13]
	v_lshlrev_b32_e32 v45, 16, v47
	v_mul_f32_e32 v46, v39, v45
	v_and_b32_e32 v45, 0x7f800000, v46
	v_cmp_ne_u32_e64 s[0:1], s22, v45
                                        ; implicit-def: $vgpr45
	s_and_saveexec_b64 s[12:13], s[0:1]
	s_xor_b64 s[0:1], exec, s[12:13]
; %bb.286:                              ;   in Loop: Header=BB309_144 Depth=1
	v_bfe_u32 v45, v46, 16, 1
	v_add3_u32 v45, v46, v45, s28
                                        ; implicit-def: $vgpr46
; %bb.287:                              ;   in Loop: Header=BB309_144 Depth=1
	s_andn2_saveexec_b64 s[12:13], s[0:1]
; %bb.288:                              ;   in Loop: Header=BB309_144 Depth=1
	v_or_b32_e32 v45, 0x10000, v46
	v_cmp_eq_u32_sdwa s[0:1], v46, v13 src0_sel:WORD_0 src1_sel:DWORD
	s_nop 1
	v_cndmask_b32_e64 v45, v45, v46, s[0:1]
; %bb.289:                              ;   in Loop: Header=BB309_144 Depth=1
	s_or_b64 exec, exec, s[12:13]
	v_lshlrev_b32_e32 v46, 16, v52
	v_mul_f32_e32 v47, v40, v46
	v_and_b32_e32 v46, 0x7f800000, v47
	v_cmp_ne_u32_e64 s[0:1], s22, v46
                                        ; implicit-def: $vgpr46
	s_and_saveexec_b64 s[12:13], s[0:1]
	s_xor_b64 s[0:1], exec, s[12:13]
; %bb.290:                              ;   in Loop: Header=BB309_144 Depth=1
	v_bfe_u32 v46, v47, 16, 1
	v_add3_u32 v46, v47, v46, s28
                                        ; implicit-def: $vgpr47
; %bb.291:                              ;   in Loop: Header=BB309_144 Depth=1
	s_andn2_saveexec_b64 s[12:13], s[0:1]
; %bb.292:                              ;   in Loop: Header=BB309_144 Depth=1
	v_or_b32_e32 v46, 0x10000, v47
	v_cmp_eq_u32_sdwa s[0:1], v47, v13 src0_sel:WORD_0 src1_sel:DWORD
	s_nop 1
	v_cndmask_b32_e64 v46, v46, v47, s[0:1]
; %bb.293:                              ;   in Loop: Header=BB309_144 Depth=1
	s_or_b64 exec, exec, s[12:13]
	v_lshlrev_b32_e32 v47, 16, v51
	v_mul_f32_e32 v51, v41, v47
	v_and_b32_e32 v47, 0x7f800000, v51
	v_cmp_ne_u32_e64 s[0:1], s22, v47
                                        ; implicit-def: $vgpr47
	s_and_saveexec_b64 s[12:13], s[0:1]
	s_xor_b64 s[0:1], exec, s[12:13]
; %bb.294:                              ;   in Loop: Header=BB309_144 Depth=1
	v_bfe_u32 v47, v51, 16, 1
	v_add3_u32 v47, v51, v47, s28
                                        ; implicit-def: $vgpr51
; %bb.295:                              ;   in Loop: Header=BB309_144 Depth=1
	s_andn2_saveexec_b64 s[12:13], s[0:1]
; %bb.296:                              ;   in Loop: Header=BB309_144 Depth=1
	v_or_b32_e32 v47, 0x10000, v51
	v_cmp_eq_u32_sdwa s[0:1], v51, v13 src0_sel:WORD_0 src1_sel:DWORD
	s_nop 1
	v_cndmask_b32_e64 v47, v47, v51, s[0:1]
; %bb.297:                              ;   in Loop: Header=BB309_144 Depth=1
	s_or_b64 exec, exec, s[12:13]
	v_lshlrev_b32_e32 v48, 16, v48
	v_mul_f32_e32 v51, v42, v48
	v_and_b32_e32 v48, 0x7f800000, v51
	v_cmp_ne_u32_e64 s[0:1], s22, v48
                                        ; implicit-def: $vgpr48
	s_and_saveexec_b64 s[12:13], s[0:1]
	s_xor_b64 s[0:1], exec, s[12:13]
; %bb.298:                              ;   in Loop: Header=BB309_144 Depth=1
	v_bfe_u32 v48, v51, 16, 1
	v_add3_u32 v48, v51, v48, s28
                                        ; implicit-def: $vgpr51
; %bb.299:                              ;   in Loop: Header=BB309_144 Depth=1
	s_andn2_saveexec_b64 s[12:13], s[0:1]
; %bb.300:                              ;   in Loop: Header=BB309_144 Depth=1
	v_or_b32_e32 v48, 0x10000, v51
	v_cmp_eq_u32_sdwa s[0:1], v51, v13 src0_sel:WORD_0 src1_sel:DWORD
	s_nop 1
	v_cndmask_b32_e64 v48, v48, v51, s[0:1]
; %bb.301:                              ;   in Loop: Header=BB309_144 Depth=1
	s_or_b64 exec, exec, s[12:13]
	v_lshlrev_b32_e32 v49, 16, v49
	v_mul_f32_e32 v51, v43, v49
	v_and_b32_e32 v49, 0x7f800000, v51
	v_cmp_ne_u32_e64 s[0:1], s22, v49
                                        ; implicit-def: $vgpr49
	s_and_saveexec_b64 s[12:13], s[0:1]
	s_xor_b64 s[0:1], exec, s[12:13]
; %bb.302:                              ;   in Loop: Header=BB309_144 Depth=1
	v_bfe_u32 v49, v51, 16, 1
	v_add3_u32 v49, v51, v49, s28
                                        ; implicit-def: $vgpr51
; %bb.303:                              ;   in Loop: Header=BB309_144 Depth=1
	s_andn2_saveexec_b64 s[12:13], s[0:1]
; %bb.304:                              ;   in Loop: Header=BB309_144 Depth=1
	v_or_b32_e32 v49, 0x10000, v51
	v_cmp_eq_u32_sdwa s[0:1], v51, v13 src0_sel:WORD_0 src1_sel:DWORD
	s_nop 1
	v_cndmask_b32_e64 v49, v49, v51, s[0:1]
; %bb.305:                              ;   in Loop: Header=BB309_144 Depth=1
	s_or_b64 exec, exec, s[12:13]
	v_lshlrev_b32_e32 v50, 16, v50
	v_mul_f32_e32 v51, v44, v50
	v_and_b32_e32 v50, 0x7f800000, v51
	v_cmp_ne_u32_e64 s[0:1], s22, v50
                                        ; implicit-def: $vgpr50
	s_and_saveexec_b64 s[12:13], s[0:1]
	s_xor_b64 s[0:1], exec, s[12:13]
; %bb.306:                              ;   in Loop: Header=BB309_144 Depth=1
	v_bfe_u32 v50, v51, 16, 1
	v_add3_u32 v50, v51, v50, s28
                                        ; implicit-def: $vgpr51
; %bb.307:                              ;   in Loop: Header=BB309_144 Depth=1
	s_andn2_saveexec_b64 s[12:13], s[0:1]
; %bb.308:                              ;   in Loop: Header=BB309_144 Depth=1
	v_or_b32_e32 v50, 0x10000, v51
	v_cmp_eq_u32_sdwa s[0:1], v51, v13 src0_sel:WORD_0 src1_sel:DWORD
	s_nop 1
	v_cndmask_b32_e64 v50, v50, v51, s[0:1]
; %bb.309:                              ;   in Loop: Header=BB309_144 Depth=1
	s_or_b64 exec, exec, s[12:13]
	global_load_dwordx2 v[2:3], v[2:3], off offset:1024
	s_waitcnt vmcnt(0)
	v_and_b32_e32 v51, 0xff, v2
	v_cvt_f32_fp8_sdwa v51, v51 src0_sel:BYTE_0
	s_nop 0
	v_mul_f32_e32 v52, s29, v51
	v_and_b32_e32 v51, 0x7f800000, v52
	v_cmp_ne_u32_e64 s[0:1], s22, v51
                                        ; implicit-def: $vgpr51
	s_and_saveexec_b64 s[12:13], s[0:1]
	s_xor_b64 s[0:1], exec, s[12:13]
; %bb.310:                              ;   in Loop: Header=BB309_144 Depth=1
	v_bfe_u32 v51, v52, 16, 1
	v_add3_u32 v51, v52, v51, s28
                                        ; implicit-def: $vgpr52
; %bb.311:                              ;   in Loop: Header=BB309_144 Depth=1
	s_andn2_saveexec_b64 s[12:13], s[0:1]
; %bb.312:                              ;   in Loop: Header=BB309_144 Depth=1
	v_or_b32_e32 v51, 0x10000, v52
	v_cmp_eq_u32_sdwa s[0:1], v52, v13 src0_sel:WORD_0 src1_sel:DWORD
	s_nop 1
	v_cndmask_b32_e64 v51, v51, v52, s[0:1]
; %bb.313:                              ;   in Loop: Header=BB309_144 Depth=1
	s_or_b64 exec, exec, s[12:13]
	v_bfe_u32 v52, v2, 8, 8
	v_cvt_f32_fp8_sdwa v52, v52 src0_sel:BYTE_0
	s_nop 0
	v_mul_f32_e32 v53, s29, v52
	v_and_b32_e32 v52, 0x7f800000, v53
	v_cmp_ne_u32_e64 s[0:1], s22, v52
                                        ; implicit-def: $vgpr52
	s_and_saveexec_b64 s[12:13], s[0:1]
	s_xor_b64 s[0:1], exec, s[12:13]
; %bb.314:                              ;   in Loop: Header=BB309_144 Depth=1
	v_bfe_u32 v52, v53, 16, 1
	v_add3_u32 v52, v53, v52, s28
                                        ; implicit-def: $vgpr53
; %bb.315:                              ;   in Loop: Header=BB309_144 Depth=1
	s_andn2_saveexec_b64 s[12:13], s[0:1]
; %bb.316:                              ;   in Loop: Header=BB309_144 Depth=1
	v_or_b32_e32 v52, 0x10000, v53
	v_cmp_eq_u32_sdwa s[0:1], v53, v13 src0_sel:WORD_0 src1_sel:DWORD
	s_nop 1
	v_cndmask_b32_e64 v52, v52, v53, s[0:1]
; %bb.317:                              ;   in Loop: Header=BB309_144 Depth=1
	s_or_b64 exec, exec, s[12:13]
	v_bfe_u32 v53, v2, 16, 8
	v_cvt_f32_fp8_sdwa v53, v53 src0_sel:BYTE_0
	s_nop 0
	v_mul_f32_e32 v53, s29, v53
	v_and_b32_e32 v54, 0x7f800000, v53
	v_cmp_ne_u32_e64 s[0:1], s22, v54
                                        ; implicit-def: $vgpr54
	s_and_saveexec_b64 s[12:13], s[0:1]
	s_xor_b64 s[0:1], exec, s[12:13]
; %bb.318:                              ;   in Loop: Header=BB309_144 Depth=1
	v_bfe_u32 v54, v53, 16, 1
	v_add3_u32 v54, v53, v54, s28
                                        ; implicit-def: $vgpr53
; %bb.319:                              ;   in Loop: Header=BB309_144 Depth=1
	s_andn2_saveexec_b64 s[12:13], s[0:1]
; %bb.320:                              ;   in Loop: Header=BB309_144 Depth=1
	v_or_b32_e32 v54, 0x10000, v53
	v_cmp_eq_u32_sdwa s[0:1], v53, v13 src0_sel:WORD_0 src1_sel:DWORD
	s_nop 1
	v_cndmask_b32_e64 v54, v54, v53, s[0:1]
; %bb.321:                              ;   in Loop: Header=BB309_144 Depth=1
	s_or_b64 exec, exec, s[12:13]
	v_lshrrev_b32_e32 v2, 24, v2
	v_cvt_f32_fp8_sdwa v2, v2 src0_sel:BYTE_0
	s_nop 0
	v_mul_f32_e32 v53, s29, v2
	v_and_b32_e32 v2, 0x7f800000, v53
	v_cmp_ne_u32_e64 s[0:1], s22, v2
                                        ; implicit-def: $vgpr2
	s_and_saveexec_b64 s[12:13], s[0:1]
	s_xor_b64 s[0:1], exec, s[12:13]
; %bb.322:                              ;   in Loop: Header=BB309_144 Depth=1
	v_bfe_u32 v2, v53, 16, 1
	v_add3_u32 v2, v53, v2, s28
                                        ; implicit-def: $vgpr53
; %bb.323:                              ;   in Loop: Header=BB309_144 Depth=1
	s_andn2_saveexec_b64 s[12:13], s[0:1]
; %bb.324:                              ;   in Loop: Header=BB309_144 Depth=1
	v_or_b32_e32 v2, 0x10000, v53
	v_cmp_eq_u32_sdwa s[0:1], v53, v13 src0_sel:WORD_0 src1_sel:DWORD
	s_nop 1
	v_cndmask_b32_e64 v2, v2, v53, s[0:1]
; %bb.325:                              ;   in Loop: Header=BB309_144 Depth=1
	s_or_b64 exec, exec, s[12:13]
	v_and_b32_e32 v53, 0xff, v3
	v_cvt_f32_fp8_sdwa v53, v53 src0_sel:BYTE_0
	s_nop 0
	v_mul_f32_e32 v53, s29, v53
	v_and_b32_e32 v55, 0x7f800000, v53
	v_cmp_ne_u32_e64 s[0:1], s22, v55
                                        ; implicit-def: $vgpr55
	s_and_saveexec_b64 s[12:13], s[0:1]
	s_xor_b64 s[0:1], exec, s[12:13]
; %bb.326:                              ;   in Loop: Header=BB309_144 Depth=1
	v_bfe_u32 v55, v53, 16, 1
	v_add3_u32 v55, v53, v55, s28
                                        ; implicit-def: $vgpr53
; %bb.327:                              ;   in Loop: Header=BB309_144 Depth=1
	s_andn2_saveexec_b64 s[12:13], s[0:1]
; %bb.328:                              ;   in Loop: Header=BB309_144 Depth=1
	v_or_b32_e32 v55, 0x10000, v53
	v_cmp_eq_u32_sdwa s[0:1], v53, v13 src0_sel:WORD_0 src1_sel:DWORD
	s_nop 1
	v_cndmask_b32_e64 v55, v55, v53, s[0:1]
; %bb.329:                              ;   in Loop: Header=BB309_144 Depth=1
	s_or_b64 exec, exec, s[12:13]
	v_bfe_u32 v53, v3, 8, 8
	v_cvt_f32_fp8_sdwa v53, v53 src0_sel:BYTE_0
	s_nop 0
	v_mul_f32_e32 v56, s29, v53
	v_and_b32_e32 v53, 0x7f800000, v56
	v_cmp_ne_u32_e64 s[0:1], s22, v53
                                        ; implicit-def: $vgpr53
	s_and_saveexec_b64 s[12:13], s[0:1]
	s_xor_b64 s[0:1], exec, s[12:13]
; %bb.330:                              ;   in Loop: Header=BB309_144 Depth=1
	v_bfe_u32 v53, v56, 16, 1
	v_add3_u32 v53, v56, v53, s28
                                        ; implicit-def: $vgpr56
; %bb.331:                              ;   in Loop: Header=BB309_144 Depth=1
	s_andn2_saveexec_b64 s[12:13], s[0:1]
; %bb.332:                              ;   in Loop: Header=BB309_144 Depth=1
	v_or_b32_e32 v53, 0x10000, v56
	v_cmp_eq_u32_sdwa s[0:1], v56, v13 src0_sel:WORD_0 src1_sel:DWORD
	s_nop 1
	v_cndmask_b32_e64 v53, v53, v56, s[0:1]
; %bb.333:                              ;   in Loop: Header=BB309_144 Depth=1
	s_or_b64 exec, exec, s[12:13]
	v_bfe_u32 v56, v3, 16, 8
	v_cvt_f32_fp8_sdwa v56, v56 src0_sel:BYTE_0
	s_nop 0
	v_mul_f32_e32 v56, s29, v56
	v_and_b32_e32 v57, 0x7f800000, v56
	v_cmp_ne_u32_e64 s[0:1], s22, v57
                                        ; implicit-def: $vgpr57
	s_and_saveexec_b64 s[12:13], s[0:1]
	s_xor_b64 s[0:1], exec, s[12:13]
; %bb.334:                              ;   in Loop: Header=BB309_144 Depth=1
	v_bfe_u32 v57, v56, 16, 1
	v_add3_u32 v57, v56, v57, s28
                                        ; implicit-def: $vgpr56
; %bb.335:                              ;   in Loop: Header=BB309_144 Depth=1
	s_andn2_saveexec_b64 s[12:13], s[0:1]
; %bb.336:                              ;   in Loop: Header=BB309_144 Depth=1
	v_or_b32_e32 v57, 0x10000, v56
	v_cmp_eq_u32_sdwa s[0:1], v56, v13 src0_sel:WORD_0 src1_sel:DWORD
	s_nop 1
	v_cndmask_b32_e64 v57, v57, v56, s[0:1]
; %bb.337:                              ;   in Loop: Header=BB309_144 Depth=1
	s_or_b64 exec, exec, s[12:13]
	v_lshrrev_b32_e32 v3, 24, v3
	v_cvt_f32_fp8_sdwa v3, v3 src0_sel:BYTE_0
	s_nop 0
	v_mul_f32_e32 v56, s29, v3
	v_and_b32_e32 v3, 0x7f800000, v56
	v_cmp_ne_u32_e64 s[0:1], s22, v3
                                        ; implicit-def: $vgpr3
	s_and_saveexec_b64 s[12:13], s[0:1]
	s_xor_b64 s[0:1], exec, s[12:13]
; %bb.338:                              ;   in Loop: Header=BB309_144 Depth=1
	v_bfe_u32 v3, v56, 16, 1
	v_add3_u32 v3, v56, v3, s28
                                        ; implicit-def: $vgpr56
; %bb.339:                              ;   in Loop: Header=BB309_144 Depth=1
	s_andn2_saveexec_b64 s[12:13], s[0:1]
; %bb.340:                              ;   in Loop: Header=BB309_144 Depth=1
	v_or_b32_e32 v3, 0x10000, v56
	v_cmp_eq_u32_sdwa s[0:1], v56, v13 src0_sel:WORD_0 src1_sel:DWORD
	s_nop 1
	v_cndmask_b32_e64 v3, v3, v56, s[0:1]
; %bb.341:                              ;   in Loop: Header=BB309_144 Depth=1
	s_or_b64 exec, exec, s[12:13]
	v_lshrrev_b32_e32 v53, 16, v53
	v_lshrrev_b32_e32 v55, 16, v55
	;; [unrolled: 1-line block ×8, first 2 shown]
	s_and_saveexec_b64 s[0:1], vcc
	s_cbranch_execz .LBB309_343
; %bb.342:                              ;   in Loop: Header=BB309_144 Depth=1
	v_cmp_gt_i32_e32 vcc, s33, v28
	s_nop 1
	v_cndmask_b32_e32 v2, 0, v2, vcc
	v_cmp_gt_i32_e32 vcc, s33, v35
	s_nop 1
	v_cndmask_b32_e32 v52, 0, v52, vcc
	;; [unrolled: 3-line block ×8, first 2 shown]
.LBB309_343:                            ;   in Loop: Header=BB309_144 Depth=1
	s_or_b64 exec, exec, s[0:1]
	v_lshlrev_b32_e32 v2, 16, v2
	v_mul_f32_e32 v28, v37, v2
	v_and_b32_e32 v2, 0x7f800000, v28
	v_cmp_ne_u32_e32 vcc, s22, v2
                                        ; implicit-def: $vgpr2
	s_and_saveexec_b64 s[0:1], vcc
	s_xor_b64 s[0:1], exec, s[0:1]
; %bb.344:                              ;   in Loop: Header=BB309_144 Depth=1
	v_bfe_u32 v2, v28, 16, 1
	v_add3_u32 v2, v28, v2, s28
                                        ; implicit-def: $vgpr28
; %bb.345:                              ;   in Loop: Header=BB309_144 Depth=1
	s_andn2_saveexec_b64 s[0:1], s[0:1]
; %bb.346:                              ;   in Loop: Header=BB309_144 Depth=1
	v_or_b32_e32 v2, 0x10000, v28
	v_cmp_eq_u32_sdwa vcc, v28, v13 src0_sel:WORD_0 src1_sel:DWORD
	s_nop 1
	v_cndmask_b32_e32 v2, v2, v28, vcc
; %bb.347:                              ;   in Loop: Header=BB309_144 Depth=1
	s_or_b64 exec, exec, s[0:1]
	v_lshlrev_b32_e32 v28, 16, v52
	v_mul_f32_e32 v29, v38, v28
	v_and_b32_e32 v28, 0x7f800000, v29
	v_cmp_ne_u32_e32 vcc, s22, v28
                                        ; implicit-def: $vgpr28
	s_and_saveexec_b64 s[0:1], vcc
	s_xor_b64 s[0:1], exec, s[0:1]
; %bb.348:                              ;   in Loop: Header=BB309_144 Depth=1
	v_bfe_u32 v28, v29, 16, 1
	v_add3_u32 v28, v29, v28, s28
                                        ; implicit-def: $vgpr29
; %bb.349:                              ;   in Loop: Header=BB309_144 Depth=1
	s_andn2_saveexec_b64 s[0:1], s[0:1]
; %bb.350:                              ;   in Loop: Header=BB309_144 Depth=1
	v_or_b32_e32 v28, 0x10000, v29
	v_cmp_eq_u32_sdwa vcc, v29, v13 src0_sel:WORD_0 src1_sel:DWORD
	s_nop 1
	v_cndmask_b32_e32 v28, v28, v29, vcc
; %bb.351:                              ;   in Loop: Header=BB309_144 Depth=1
	s_or_b64 exec, exec, s[0:1]
	v_lshlrev_b32_e32 v29, 16, v54
	v_mul_f32_e32 v30, v39, v29
	v_and_b32_e32 v29, 0x7f800000, v30
	v_cmp_ne_u32_e32 vcc, s22, v29
                                        ; implicit-def: $vgpr29
	s_and_saveexec_b64 s[0:1], vcc
	s_xor_b64 s[0:1], exec, s[0:1]
; %bb.352:                              ;   in Loop: Header=BB309_144 Depth=1
	v_bfe_u32 v29, v30, 16, 1
	v_add3_u32 v29, v30, v29, s28
                                        ; implicit-def: $vgpr30
; %bb.353:                              ;   in Loop: Header=BB309_144 Depth=1
	s_andn2_saveexec_b64 s[0:1], s[0:1]
; %bb.354:                              ;   in Loop: Header=BB309_144 Depth=1
	v_or_b32_e32 v29, 0x10000, v30
	v_cmp_eq_u32_sdwa vcc, v30, v13 src0_sel:WORD_0 src1_sel:DWORD
	s_nop 1
	v_cndmask_b32_e32 v29, v29, v30, vcc
; %bb.355:                              ;   in Loop: Header=BB309_144 Depth=1
	s_or_b64 exec, exec, s[0:1]
	v_lshlrev_b32_e32 v30, 16, v56
	v_mul_f32_e32 v31, v40, v30
	v_and_b32_e32 v30, 0x7f800000, v31
	v_cmp_ne_u32_e32 vcc, s22, v30
                                        ; implicit-def: $vgpr30
	s_and_saveexec_b64 s[0:1], vcc
	s_xor_b64 s[0:1], exec, s[0:1]
; %bb.356:                              ;   in Loop: Header=BB309_144 Depth=1
	v_bfe_u32 v30, v31, 16, 1
	v_add3_u32 v30, v31, v30, s28
                                        ; implicit-def: $vgpr31
; %bb.357:                              ;   in Loop: Header=BB309_144 Depth=1
	s_andn2_saveexec_b64 s[0:1], s[0:1]
; %bb.358:                              ;   in Loop: Header=BB309_144 Depth=1
	v_or_b32_e32 v30, 0x10000, v31
	v_cmp_eq_u32_sdwa vcc, v31, v13 src0_sel:WORD_0 src1_sel:DWORD
	s_nop 1
	v_cndmask_b32_e32 v30, v30, v31, vcc
; %bb.359:                              ;   in Loop: Header=BB309_144 Depth=1
	s_or_b64 exec, exec, s[0:1]
	v_lshlrev_b32_e32 v31, 16, v55
	v_mul_f32_e32 v32, v41, v31
	v_and_b32_e32 v31, 0x7f800000, v32
	v_cmp_ne_u32_e32 vcc, s22, v31
                                        ; implicit-def: $vgpr31
	s_and_saveexec_b64 s[0:1], vcc
	s_xor_b64 s[0:1], exec, s[0:1]
; %bb.360:                              ;   in Loop: Header=BB309_144 Depth=1
	v_bfe_u32 v31, v32, 16, 1
	v_add3_u32 v31, v32, v31, s28
                                        ; implicit-def: $vgpr32
; %bb.361:                              ;   in Loop: Header=BB309_144 Depth=1
	s_andn2_saveexec_b64 s[0:1], s[0:1]
; %bb.362:                              ;   in Loop: Header=BB309_144 Depth=1
	v_or_b32_e32 v31, 0x10000, v32
	v_cmp_eq_u32_sdwa vcc, v32, v13 src0_sel:WORD_0 src1_sel:DWORD
	s_nop 1
	v_cndmask_b32_e32 v31, v31, v32, vcc
; %bb.363:                              ;   in Loop: Header=BB309_144 Depth=1
	s_or_b64 exec, exec, s[0:1]
	v_lshlrev_b32_e32 v32, 16, v53
	v_mul_f32_e32 v33, v42, v32
	v_and_b32_e32 v32, 0x7f800000, v33
	v_cmp_ne_u32_e32 vcc, s22, v32
                                        ; implicit-def: $vgpr32
	s_and_saveexec_b64 s[0:1], vcc
	s_xor_b64 s[0:1], exec, s[0:1]
; %bb.364:                              ;   in Loop: Header=BB309_144 Depth=1
	v_bfe_u32 v32, v33, 16, 1
	v_add3_u32 v32, v33, v32, s28
                                        ; implicit-def: $vgpr33
; %bb.365:                              ;   in Loop: Header=BB309_144 Depth=1
	s_andn2_saveexec_b64 s[0:1], s[0:1]
; %bb.366:                              ;   in Loop: Header=BB309_144 Depth=1
	v_or_b32_e32 v32, 0x10000, v33
	v_cmp_eq_u32_sdwa vcc, v33, v13 src0_sel:WORD_0 src1_sel:DWORD
	s_nop 1
	v_cndmask_b32_e32 v32, v32, v33, vcc
; %bb.367:                              ;   in Loop: Header=BB309_144 Depth=1
	s_or_b64 exec, exec, s[0:1]
	v_lshlrev_b32_e32 v33, 16, v51
	v_mul_f32_e32 v34, v43, v33
	v_and_b32_e32 v33, 0x7f800000, v34
	v_cmp_ne_u32_e32 vcc, s22, v33
                                        ; implicit-def: $vgpr33
	s_and_saveexec_b64 s[0:1], vcc
	s_xor_b64 s[0:1], exec, s[0:1]
; %bb.368:                              ;   in Loop: Header=BB309_144 Depth=1
	v_bfe_u32 v33, v34, 16, 1
	v_add3_u32 v33, v34, v33, s28
                                        ; implicit-def: $vgpr34
; %bb.369:                              ;   in Loop: Header=BB309_144 Depth=1
	s_andn2_saveexec_b64 s[0:1], s[0:1]
; %bb.370:                              ;   in Loop: Header=BB309_144 Depth=1
	v_or_b32_e32 v33, 0x10000, v34
	v_cmp_eq_u32_sdwa vcc, v34, v13 src0_sel:WORD_0 src1_sel:DWORD
	s_nop 1
	v_cndmask_b32_e32 v33, v33, v34, vcc
; %bb.371:                              ;   in Loop: Header=BB309_144 Depth=1
	s_or_b64 exec, exec, s[0:1]
	v_lshlrev_b32_e32 v3, 16, v3
	v_mul_f32_e32 v34, v44, v3
	v_and_b32_e32 v3, 0x7f800000, v34
	v_cmp_ne_u32_e32 vcc, s22, v3
                                        ; implicit-def: $vgpr3
	s_and_saveexec_b64 s[0:1], vcc
	s_xor_b64 s[0:1], exec, s[0:1]
; %bb.372:                              ;   in Loop: Header=BB309_144 Depth=1
	v_bfe_u32 v3, v34, 16, 1
	v_add3_u32 v3, v34, v3, s28
                                        ; implicit-def: $vgpr34
; %bb.373:                              ;   in Loop: Header=BB309_144 Depth=1
	s_andn2_saveexec_b64 s[0:1], s[0:1]
	s_cbranch_execz .LBB309_142
; %bb.374:                              ;   in Loop: Header=BB309_144 Depth=1
	v_or_b32_e32 v3, 0x10000, v34
	v_cmp_eq_u32_sdwa vcc, v34, v13 src0_sel:WORD_0 src1_sel:DWORD
	s_nop 1
	v_cndmask_b32_e32 v3, v3, v34, vcc
	s_branch .LBB309_142
.LBB309_375:
	s_or_b64 exec, exec, s[6:7]
.LBB309_376:
	s_or_b64 exec, exec, s[8:9]
	ds_bpermute_b32 v2, v19, v10
	ds_bpermute_b32 v3, v19, v11
	;; [unrolled: 1-line block ×3, first 2 shown]
	s_waitcnt lgkmcnt(0)
	s_barrier
	v_pk_add_f32 v[4:5], v[10:11], v[2:3]
	v_add_f32_e32 v2, v12, v1
	v_and_b32_e32 v1, 0x3c1, v0
	v_cmp_eq_u32_e32 vcc, 64, v1
	s_and_saveexec_b64 s[0:1], vcc
	s_cbranch_execz .LBB309_378
; %bb.377:
	v_mov_b32_e32 v1, 0xd0
	v_lshl_add_u32 v1, v18, 1, v1
	ds_write2_b32 v1, v4, v5 offset1:32
	ds_write_b32 v1, v2 offset:256
.LBB309_378:
	s_or_b64 exec, exec, s[0:1]
	v_cmp_gt_u32_e32 vcc, 64, v0
	v_cmp_lt_u32_e64 s[0:1], 63, v0
	s_waitcnt lgkmcnt(0)
	s_barrier
	s_and_saveexec_b64 s[2:3], s[0:1]
	s_xor_b64 s[0:1], exec, s[2:3]
	s_andn2_saveexec_b64 s[2:3], s[0:1]
	s_cbranch_execz .LBB309_384
; %bb.379:
	v_cmp_eq_u32_e64 s[0:1], 0, v20
	v_lshrrev_b32_e32 v1, 1, v0
	s_and_saveexec_b64 s[6:7], s[0:1]
	s_cbranch_execnz .LBB309_400
; %bb.380:
	s_or_b64 exec, exec, s[6:7]
	s_and_saveexec_b64 s[6:7], s[0:1]
	s_cbranch_execnz .LBB309_401
.LBB309_381:
	s_or_b64 exec, exec, s[6:7]
	s_and_saveexec_b64 s[6:7], s[0:1]
	s_cbranch_execz .LBB309_383
.LBB309_382:
	v_mov_b32_e32 v3, 0xd0
	v_lshl_add_u32 v1, v1, 2, v3
	ds_read_b32 v1, v1 offset:256
	s_waitcnt lgkmcnt(0)
	v_add_f32_e32 v2, v2, v1
.LBB309_383:
	s_or_b64 exec, exec, s[6:7]
.LBB309_384:
	s_or_b64 exec, exec, s[2:3]
	s_barrier
	s_and_saveexec_b64 s[0:1], vcc
	s_cbranch_execz .LBB309_399
; %bb.385:
	v_cmp_eq_u32_e32 vcc, 0, v20
	s_and_b64 exec, exec, vcc
	s_cbranch_execz .LBB309_399
; %bb.386:
	s_mov_b32 s0, 0x7f800000
	v_and_b32_e32 v1, 0x7f800000, v4
	v_cmp_ne_u32_e32 vcc, s0, v1
                                        ; implicit-def: $vgpr3
	s_and_saveexec_b64 s[0:1], vcc
	s_xor_b64 s[0:1], exec, s[0:1]
; %bb.387:
	v_bfe_u32 v1, v4, 16, 1
	s_movk_i32 s2, 0x7fff
	v_add3_u32 v3, v4, v1, s2
; %bb.388:
	s_andn2_saveexec_b64 s[0:1], s[0:1]
; %bb.389:
	v_mov_b32_e32 v1, 0
	v_or_b32_e32 v3, 0x10000, v4
	v_cmp_eq_u32_sdwa vcc, v4, v1 src0_sel:WORD_0 src1_sel:DWORD
	s_nop 1
	v_cndmask_b32_e32 v3, v3, v4, vcc
; %bb.390:
	s_or_b64 exec, exec, s[0:1]
	s_mul_i32 s0, s10, s11
	s_mul_i32 s0, s0, s5
	s_mulk_i32 s0, 0x60
	s_ashr_i32 s1, s0, 31
	s_lshl_b64 s[0:1], s[0:1], 1
	s_add_u32 s2, s26, s0
	s_mul_i32 s0, s11, s24
	s_addc_u32 s3, s27, s1
	s_ashr_i32 s1, s0, 31
	s_lshl_b64 s[0:1], s[0:1], 1
	s_add_u32 s2, s2, s0
	s_mul_i32 s0, s4, 0x60
	s_addc_u32 s3, s3, s1
	s_ashr_i32 s1, s0, 31
	s_lshl_b64 s[0:1], s[0:1], 1
	s_add_u32 s0, s2, s0
	s_addc_u32 s1, s3, s1
	v_and_b32_e32 v0, 0x3fe, v0
	global_store_short_d16_hi v0, v3, s[0:1]
	s_mov_b32 s2, 0x7f800000
	v_and_b32_e32 v3, 0x7f800000, v5
	v_mov_b32_e32 v1, 0
	v_cmp_ne_u32_e32 vcc, s2, v3
                                        ; implicit-def: $vgpr3
	s_and_saveexec_b64 s[2:3], vcc
	s_xor_b64 s[2:3], exec, s[2:3]
; %bb.391:
	v_bfe_u32 v3, v5, 16, 1
	s_movk_i32 s4, 0x7fff
	v_add3_u32 v3, v5, v3, s4
                                        ; implicit-def: $vgpr4_vgpr5_vgpr6
; %bb.392:
	s_or_saveexec_b64 s[2:3], s[2:3]
	v_lshl_add_u64 v[0:1], s[0:1], 0, v[0:1]
	s_xor_b64 exec, exec, s[2:3]
; %bb.393:
	v_mov_b32_e32 v3, 0
	v_or_b32_e32 v4, 0x10000, v5
	v_cmp_eq_u32_sdwa vcc, v5, v3 src0_sel:WORD_0 src1_sel:DWORD
	s_nop 1
	v_cndmask_b32_e32 v3, v4, v5, vcc
; %bb.394:
	s_or_b64 exec, exec, s[2:3]
	global_store_short_d16_hi v[0:1], v3, off offset:64
	s_mov_b32 s0, 0x7f800000
	v_and_b32_e32 v3, 0x7f800000, v2
	v_cmp_ne_u32_e32 vcc, s0, v3
                                        ; implicit-def: $vgpr3
	s_and_saveexec_b64 s[0:1], vcc
	s_xor_b64 s[0:1], exec, s[0:1]
; %bb.395:
	v_bfe_u32 v3, v2, 16, 1
	s_movk_i32 s2, 0x7fff
	v_add3_u32 v3, v2, v3, s2
                                        ; implicit-def: $vgpr2
; %bb.396:
	s_andn2_saveexec_b64 s[0:1], s[0:1]
; %bb.397:
	v_mov_b32_e32 v3, 0
	v_or_b32_e32 v4, 0x10000, v2
	v_cmp_eq_u32_sdwa vcc, v2, v3 src0_sel:WORD_0 src1_sel:DWORD
	s_nop 1
	v_cndmask_b32_e32 v3, v4, v2, vcc
; %bb.398:
	s_or_b64 exec, exec, s[0:1]
	global_store_short_d16_hi v[0:1], v3, off offset:128
.LBB309_399:
	s_endpgm
.LBB309_400:
	v_mov_b32_e32 v3, 0xd0
	v_lshl_add_u32 v3, v1, 2, v3
	ds_read_b32 v3, v3
	s_waitcnt lgkmcnt(0)
	v_add_f32_e32 v4, v4, v3
	s_or_b64 exec, exec, s[6:7]
	s_and_saveexec_b64 s[6:7], s[0:1]
	s_cbranch_execz .LBB309_381
.LBB309_401:
	v_mov_b32_e32 v3, 0xd0
	v_lshl_add_u32 v3, v1, 2, v3
	ds_read_b32 v3, v3 offset:128
	s_waitcnt lgkmcnt(0)
	v_add_f32_e32 v5, v5, v3
	s_or_b64 exec, exec, s[6:7]
	s_and_saveexec_b64 s[6:7], s[0:1]
	s_cbranch_execnz .LBB309_382
	s_branch .LBB309_383
	.section	.rodata,"a",@progbits
	.p2align	6, 0x0
	.amdhsa_kernel _ZN4vllm25paged_attention_v1_kernelI14__hip_bfloat16hLi96ELi16ELi128ELNS_18Fp8KVCacheDataTypeE1ELb1EEEvPT_PKS3_PKT0_S9_ifPKiSB_iPKfiiiSD_SD_iiiii
		.amdhsa_group_segment_fixed_size 208
		.amdhsa_private_segment_fixed_size 0
		.amdhsa_kernarg_size 384
		.amdhsa_user_sgpr_count 2
		.amdhsa_user_sgpr_dispatch_ptr 0
		.amdhsa_user_sgpr_queue_ptr 0
		.amdhsa_user_sgpr_kernarg_segment_ptr 1
		.amdhsa_user_sgpr_dispatch_id 0
		.amdhsa_user_sgpr_kernarg_preload_length 0
		.amdhsa_user_sgpr_kernarg_preload_offset 0
		.amdhsa_user_sgpr_private_segment_size 0
		.amdhsa_uses_dynamic_stack 0
		.amdhsa_enable_private_segment 0
		.amdhsa_system_sgpr_workgroup_id_x 1
		.amdhsa_system_sgpr_workgroup_id_y 1
		.amdhsa_system_sgpr_workgroup_id_z 1
		.amdhsa_system_sgpr_workgroup_info 0
		.amdhsa_system_vgpr_workitem_id 0
		.amdhsa_next_free_vgpr 71
		.amdhsa_next_free_sgpr 52
		.amdhsa_accum_offset 72
		.amdhsa_reserve_vcc 1
		.amdhsa_float_round_mode_32 0
		.amdhsa_float_round_mode_16_64 0
		.amdhsa_float_denorm_mode_32 3
		.amdhsa_float_denorm_mode_16_64 3
		.amdhsa_dx10_clamp 1
		.amdhsa_ieee_mode 1
		.amdhsa_fp16_overflow 0
		.amdhsa_tg_split 0
		.amdhsa_exception_fp_ieee_invalid_op 0
		.amdhsa_exception_fp_denorm_src 0
		.amdhsa_exception_fp_ieee_div_zero 0
		.amdhsa_exception_fp_ieee_overflow 0
		.amdhsa_exception_fp_ieee_underflow 0
		.amdhsa_exception_fp_ieee_inexact 0
		.amdhsa_exception_int_div_zero 0
	.end_amdhsa_kernel
	.section	.text._ZN4vllm25paged_attention_v1_kernelI14__hip_bfloat16hLi96ELi16ELi128ELNS_18Fp8KVCacheDataTypeE1ELb1EEEvPT_PKS3_PKT0_S9_ifPKiSB_iPKfiiiSD_SD_iiiii,"axG",@progbits,_ZN4vllm25paged_attention_v1_kernelI14__hip_bfloat16hLi96ELi16ELi128ELNS_18Fp8KVCacheDataTypeE1ELb1EEEvPT_PKS3_PKT0_S9_ifPKiSB_iPKfiiiSD_SD_iiiii,comdat
.Lfunc_end309:
	.size	_ZN4vllm25paged_attention_v1_kernelI14__hip_bfloat16hLi96ELi16ELi128ELNS_18Fp8KVCacheDataTypeE1ELb1EEEvPT_PKS3_PKT0_S9_ifPKiSB_iPKfiiiSD_SD_iiiii, .Lfunc_end309-_ZN4vllm25paged_attention_v1_kernelI14__hip_bfloat16hLi96ELi16ELi128ELNS_18Fp8KVCacheDataTypeE1ELb1EEEvPT_PKS3_PKT0_S9_ifPKiSB_iPKfiiiSD_SD_iiiii
                                        ; -- End function
	.section	.AMDGPU.csdata,"",@progbits
; Kernel info:
; codeLenInByte = 12816
; NumSgprs: 58
; NumVgprs: 71
; NumAgprs: 0
; TotalNumVgprs: 71
; ScratchSize: 0
; MemoryBound: 0
; FloatMode: 240
; IeeeMode: 1
; LDSByteSize: 208 bytes/workgroup (compile time only)
; SGPRBlocks: 7
; VGPRBlocks: 8
; NumSGPRsForWavesPerEU: 58
; NumVGPRsForWavesPerEU: 71
; AccumOffset: 72
; Occupancy: 7
; WaveLimiterHint : 1
; COMPUTE_PGM_RSRC2:SCRATCH_EN: 0
; COMPUTE_PGM_RSRC2:USER_SGPR: 2
; COMPUTE_PGM_RSRC2:TRAP_HANDLER: 0
; COMPUTE_PGM_RSRC2:TGID_X_EN: 1
; COMPUTE_PGM_RSRC2:TGID_Y_EN: 1
; COMPUTE_PGM_RSRC2:TGID_Z_EN: 1
; COMPUTE_PGM_RSRC2:TIDIG_COMP_CNT: 0
; COMPUTE_PGM_RSRC3_GFX90A:ACCUM_OFFSET: 17
; COMPUTE_PGM_RSRC3_GFX90A:TG_SPLIT: 0
	.section	.text._ZN4vllm25paged_attention_v1_kernelI14__hip_bfloat16hLi112ELi16ELi128ELNS_18Fp8KVCacheDataTypeE1ELb1EEEvPT_PKS3_PKT0_S9_ifPKiSB_iPKfiiiSD_SD_iiiii,"axG",@progbits,_ZN4vllm25paged_attention_v1_kernelI14__hip_bfloat16hLi112ELi16ELi128ELNS_18Fp8KVCacheDataTypeE1ELb1EEEvPT_PKS3_PKT0_S9_ifPKiSB_iPKfiiiSD_SD_iiiii,comdat
	.protected	_ZN4vllm25paged_attention_v1_kernelI14__hip_bfloat16hLi112ELi16ELi128ELNS_18Fp8KVCacheDataTypeE1ELb1EEEvPT_PKS3_PKT0_S9_ifPKiSB_iPKfiiiSD_SD_iiiii ; -- Begin function _ZN4vllm25paged_attention_v1_kernelI14__hip_bfloat16hLi112ELi16ELi128ELNS_18Fp8KVCacheDataTypeE1ELb1EEEvPT_PKS3_PKT0_S9_ifPKiSB_iPKfiiiSD_SD_iiiii
	.globl	_ZN4vllm25paged_attention_v1_kernelI14__hip_bfloat16hLi112ELi16ELi128ELNS_18Fp8KVCacheDataTypeE1ELb1EEEvPT_PKS3_PKT0_S9_ifPKiSB_iPKfiiiSD_SD_iiiii
	.p2align	8
	.type	_ZN4vllm25paged_attention_v1_kernelI14__hip_bfloat16hLi112ELi16ELi128ELNS_18Fp8KVCacheDataTypeE1ELb1EEEvPT_PKS3_PKT0_S9_ifPKiSB_iPKfiiiSD_SD_iiiii,@function
_ZN4vllm25paged_attention_v1_kernelI14__hip_bfloat16hLi112ELi16ELi128ELNS_18Fp8KVCacheDataTypeE1ELb1EEEvPT_PKS3_PKT0_S9_ifPKiSB_iPKfiiiSD_SD_iiiii: ; @_ZN4vllm25paged_attention_v1_kernelI14__hip_bfloat16hLi112ELi16ELi128ELNS_18Fp8KVCacheDataTypeE1ELb1EEEvPT_PKS3_PKT0_S9_ifPKiSB_iPKfiiiSD_SD_iiiii
; %bb.0:
	s_load_dword s5, s[0:1], 0x80
	s_load_dwordx2 s[6:7], s[0:1], 0x30
	s_load_dwordx2 s[36:37], s[0:1], 0x20
	s_mov_b32 s10, s3
	s_ashr_i32 s11, s3, 31
	s_lshl_b64 s[8:9], s[10:11], 2
	s_waitcnt lgkmcnt(0)
	s_add_u32 s6, s6, s8
	s_addc_u32 s7, s7, s9
	s_abs_i32 s3, s36
	v_cvt_f32_u32_e32 v1, s3
	s_sub_i32 s11, 0, s3
	s_abs_i32 s9, s5
	s_xor_b32 s8, s5, s36
	v_rcp_iflag_f32_e32 v1, v1
	s_ashr_i32 s8, s8, 31
	s_mov_b32 s44, 0
	v_mul_f32_e32 v1, 0x4f7ffffe, v1
	v_cvt_u32_f32_e32 v1, v1
	s_nop 0
	v_readfirstlane_b32 s12, v1
	s_mul_i32 s11, s11, s12
	s_mul_hi_u32 s11, s12, s11
	s_add_i32 s12, s12, s11
	s_mul_hi_u32 s11, s9, s12
	s_mul_i32 s12, s11, s3
	s_sub_i32 s9, s9, s12
	s_add_i32 s12, s11, 1
	s_sub_i32 s13, s9, s3
	s_cmp_ge_u32 s9, s3
	s_cselect_b32 s11, s12, s11
	s_cselect_b32 s9, s13, s9
	s_add_i32 s12, s11, 1
	s_cmp_ge_u32 s9, s3
	s_cselect_b32 s3, s12, s11
	s_xor_b32 s3, s3, s8
	s_sub_i32 s14, s3, s8
	s_abs_i32 s11, s14
	v_cvt_f32_u32_e32 v1, s11
	s_load_dwordx2 s[8:9], s[0:1], 0x40
	s_sub_i32 s3, 0, s11
	s_abs_i32 s12, s2
	v_rcp_iflag_f32_e32 v1, v1
	s_nop 0
	v_mul_f32_e32 v1, 0x4f7ffffe, v1
	v_cvt_u32_f32_e32 v1, v1
	s_nop 0
	v_readfirstlane_b32 s13, v1
	s_mul_i32 s3, s3, s13
	s_mul_hi_u32 s3, s13, s3
	s_add_i32 s13, s13, s3
	s_waitcnt lgkmcnt(0)
	s_cmp_eq_u64 s[8:9], 0
	s_mul_hi_u32 s13, s12, s13
	s_cbranch_scc1 .LBB310_2
; %bb.1:
	s_ashr_i32 s3, s2, 31
	s_lshl_b64 s[16:17], s[2:3], 2
	s_add_u32 s8, s8, s16
	s_addc_u32 s9, s9, s17
	s_load_dword s44, s[8:9], 0x0
.LBB310_2:
	s_load_dword s33, s[6:7], 0x0
	s_load_dwordx4 s[16:19], s[0:1], 0x48
	s_ashr_i32 s3, s2, 31
	s_ashr_i32 s9, s14, 31
	v_and_b32_e32 v2, 3, v0
	s_mul_i32 s24, s2, 0x70
	v_cmp_gt_u32_e32 vcc, 56, v0
	s_and_saveexec_b64 s[6:7], vcc
	s_cbranch_execz .LBB310_4
; %bb.3:
	s_load_dwordx2 s[14:15], s[0:1], 0x8
	s_waitcnt lgkmcnt(0)
	s_mul_i32 s20, s10, s16
	s_ashr_i32 s21, s20, 31
	s_lshl_b64 s[20:21], s[20:21], 1
	v_lshlrev_b32_e32 v1, 2, v0
	s_add_u32 s8, s14, s20
	s_addc_u32 s16, s15, s21
	s_ashr_i32 s25, s24, 31
	s_lshl_b64 s[14:15], s[24:25], 1
	s_add_u32 s14, s8, s14
	s_addc_u32 s15, s16, s15
	global_load_dword v1, v1, s[14:15]
	v_and_b32_e32 v3, 0x3fc, v0
	v_mad_u32_u24 v3, v2, 56, v3
	s_waitcnt vmcnt(0)
	ds_write_b32 v3, v1
.LBB310_4:
	s_or_b64 exec, exec, s[6:7]
	s_mul_i32 s6, s13, s11
	s_sub_i32 s6, s12, s6
	s_xor_b32 s3, s3, s9
	s_add_i32 s7, s13, 1
	s_sub_i32 s9, s6, s11
	s_load_dwordx4 s[20:23], s[0:1], 0x68
	s_load_dword s8, s[0:1], 0x78
	s_cmp_ge_u32 s6, s11
	s_cselect_b32 s7, s7, s13
	s_cselect_b32 s6, s9, s6
	s_add_i32 s9, s7, 1
	s_cmp_ge_u32 s6, s11
	s_cselect_b32 s6, s9, s7
	s_waitcnt lgkmcnt(0)
	s_abs_i32 s25, s23
	v_cvt_f32_u32_e32 v1, s25
	s_xor_b32 s6, s6, s3
	s_sub_i32 s3, s6, s3
	s_sub_i32 s6, 0, s25
	v_rcp_iflag_f32_e32 v1, v1
	s_add_i32 s11, s33, -1
	s_abs_i32 s9, s11
	v_mul_f32_e32 v1, 0x4f7ffffe, v1
	v_cvt_u32_f32_e32 v1, v1
	s_barrier
	v_readfirstlane_b32 s42, v1
	s_mul_i32 s6, s6, s42
	s_mul_hi_u32 s6, s42, s6
	s_add_i32 s42, s42, s6
	s_cmp_lt_i32 s8, 0
	s_mul_hi_u32 s16, s9, s42
	s_cbranch_scc0 .LBB310_6
; %bb.5:
	s_mul_i32 s6, s20, s36
	s_add_i32 s6, s3, s6
	s_mul_i32 s6, s6, s8
	s_sub_i32 s36, 1, s6
	s_mov_b64 s[6:7], 0
	s_branch .LBB310_7
.LBB310_6:
	s_mov_b64 s[6:7], -1
                                        ; implicit-def: $sgpr36
.LBB310_7:
	s_load_dwordx2 s[28:29], s[0:1], 0x28
	s_ashr_i32 s19, s11, 31
	s_andn2_b64 vcc, exec, s[6:7]
	s_ashr_i32 s23, s23, 31
	s_cbranch_vccnz .LBB310_9
; %bb.8:
	s_mul_i32 s6, s5, s20
	s_add_i32 s2, s6, s2
	s_mul_i32 s2, s2, s8
	s_add_i32 s36, s2, 1
.LBB310_9:
	s_load_dword s2, s[0:1], 0x38
	s_load_dwordx2 s[26:27], s[0:1], 0x0
	s_load_dwordx2 s[34:35], s[0:1], 0x18
	s_load_dword s11, s[0:1], 0x88
	s_load_dwordx4 s[12:15], s[0:1], 0x58
	s_mul_i32 s6, s16, s25
	s_waitcnt lgkmcnt(0)
	s_mul_i32 s30, s10, s2
	s_sub_i32 s6, s9, s6
	s_ashr_i32 s31, s30, 31
	s_xor_b32 s2, s19, s23
	s_add_i32 s7, s16, 1
	s_sub_i32 s8, s6, s25
	s_cmp_ge_u32 s6, s25
	s_cselect_b32 s7, s7, s16
	s_cselect_b32 s6, s8, s6
	s_add_i32 s8, s7, 1
	s_cmp_ge_u32 s6, s25
	s_cselect_b32 s6, s8, s7
	s_xor_b32 s6, s6, s2
	s_sub_i32 s16, s6, s2
	s_add_i32 s2, s33, 15
	s_ashr_i32 s6, s2, 31
	s_lshr_b32 s6, s6, 28
	s_add_i32 s2, s2, s6
	s_ashr_i32 s43, s2, 4
	v_lshrrev_b32_e32 v1, 6, v0
	v_cmp_gt_i32_e64 s[6:7], s43, v1
	v_mov_b32_e32 v29, 0xff7fffff
	s_mul_i32 s20, s3, s18
	v_lshrrev_b32_e32 v26, 4, v0
	v_lshlrev_b32_e32 v24, 4, v1
	v_mbcnt_lo_u32_b32 v25, -1, 0
	s_and_saveexec_b64 s[18:19], s[6:7]
	s_cbranch_execz .LBB310_131
; %bb.10:
	s_load_dwordx2 s[0:1], s[0:1], 0x10
	s_sub_i32 s45, s16, s21
	s_ashr_i32 s2, s20, 31
	v_bfe_u32 v27, v0, 2, 4
	v_mov_b32_e32 v15, 0
	s_waitcnt lgkmcnt(0)
	s_add_u32 s0, s0, s20
	s_addc_u32 s1, s1, s2
	s_abs_i32 s46, s22
	v_cvt_f32_u32_e32 v3, s46
	v_lshlrev_b32_e32 v14, 4, v27
	v_lshl_add_u64 v[16:17], s[0:1], 0, v[14:15]
	s_sub_i32 s0, 0, s46
	v_rcp_iflag_f32_e32 v3, v3
	v_cmp_eq_u32_e32 vcc, 0, v2
	v_mul_u32_u24_e32 v28, 56, v2
	v_lshlrev_b32_e32 v14, 1, v2
	v_mul_f32_e32 v3, 0x4f7ffffe, v3
	v_cvt_u32_f32_e32 v3, v3
	s_mov_b32 s47, s17
	v_cmp_neq_f32_e64 s[2:3], s44, 0
	v_lshlrev_b32_e32 v31, 4, v1
	v_mul_lo_u32 v2, s0, v3
	s_lshl_b64 s[0:1], s[30:31], 2
	v_mul_hi_u32 v2, v3, v2
	s_add_u32 s0, s28, s0
	v_add_u32_e32 v30, v3, v2
	v_and_b32_e32 v2, 60, v26
	v_mov_b32_e32 v3, v15
	s_addc_u32 s1, s29, s1
	v_lshl_add_u64 v[18:19], s[0:1], 0, v[2:3]
	v_lshlrev_b32_e32 v2, 2, v27
	v_lshl_or_b32 v2, v1, 6, v2
	v_add_u32_e32 v32, 0xf0, v2
	v_subrev_u32_e32 v2, s33, v27
	v_add_u32_e32 v33, 1, v2
	s_mov_b64 s[38:39], 0
	v_mov_b32_e32 v34, 0xff7fffff
	s_mov_b32 s48, 0xffff
	s_mov_b32 s49, 0x7f800000
	s_movk_i32 s50, 0x7fff
	v_mbcnt_hi_u32_b32 v35, -1, v25
	v_mov_b32_e32 v29, 0xff7fffff
	v_mov_b32_e32 v36, v1
	s_branch .LBB310_13
.LBB310_11:                             ;   in Loop: Header=BB310_13 Depth=1
	s_or_b64 exec, exec, s[40:41]
.LBB310_12:                             ;   in Loop: Header=BB310_13 Depth=1
	s_or_b64 exec, exec, s[8:9]
	v_add_u32_e32 v36, 2, v36
	v_cmp_le_i32_e64 s[0:1], s43, v36
	v_lshl_add_u64 v[18:19], v[18:19], 0, 8
	v_add_u32_e32 v31, 32, v31
	s_or_b64 s[38:39], s[0:1], s[38:39]
	v_add_u32_e32 v32, 0x80, v32
	s_andn2_b64 exec, exec, s[38:39]
	s_cbranch_execz .LBB310_130
.LBB310_13:                             ; =>This Inner Loop Header: Depth=1
	v_mul_hi_u32 v2, v31, s42
	s_waitcnt lgkmcnt(0)
	v_mul_lo_u32 v3, v2, s25
	v_sub_u32_e32 v3, v31, v3
	v_add_u32_e32 v4, 1, v2
	v_cmp_le_u32_e64 s[0:1], s25, v3
	s_nop 1
	v_cndmask_b32_e64 v2, v2, v4, s[0:1]
	v_subrev_u32_e32 v4, s25, v3
	v_cndmask_b32_e64 v3, v3, v4, s[0:1]
	v_add_u32_e32 v4, 1, v2
	v_cmp_le_u32_e64 s[0:1], s25, v3
	s_nop 1
	v_cndmask_b32_e64 v2, v2, v4, s[0:1]
	v_xor_b32_e32 v2, s23, v2
	v_subrev_u32_e32 v2, s23, v2
	v_add_u32_e32 v3, s36, v2
	v_sub_u32_e32 v5, 0, v3
	v_ashrrev_i32_e32 v4, 31, v3
	v_max_i32_e32 v3, v3, v5
	v_mul_hi_u32 v5, v3, v30
	v_mul_lo_u32 v5, v5, s46
	v_sub_u32_e32 v3, v3, v5
	v_subrev_u32_e32 v5, s46, v3
	v_cmp_le_u32_e64 s[0:1], s46, v3
	v_cmp_ge_i32_e64 s[8:9], s45, v2
	s_nop 0
	v_cndmask_b32_e64 v3, v3, v5, s[0:1]
	v_subrev_u32_e32 v5, s46, v3
	v_cmp_le_u32_e64 s[0:1], s46, v3
	s_nop 1
	v_cndmask_b32_e64 v3, v3, v5, s[0:1]
	v_xor_b32_e32 v3, v3, v4
	v_sub_u32_e32 v3, v3, v4
	v_cmp_ne_u32_e64 s[0:1], 0, v3
	s_and_b64 s[0:1], s[0:1], s[8:9]
	s_and_b64 s[40:41], vcc, s[0:1]
	s_and_saveexec_b64 s[8:9], s[40:41]
	s_cbranch_execz .LBB310_15
; %bb.14:                               ;   in Loop: Header=BB310_13 Depth=1
	ds_write_b32 v32, v34
.LBB310_15:                             ;   in Loop: Header=BB310_13 Depth=1
	s_or_b64 exec, exec, s[8:9]
	s_xor_b64 s[0:1], s[0:1], -1
	s_and_saveexec_b64 s[8:9], s[0:1]
	s_cbranch_execz .LBB310_12
; %bb.16:                               ;   in Loop: Header=BB310_13 Depth=1
	global_load_dword v2, v[18:19], off
	s_waitcnt vmcnt(0)
	v_mad_i64_i32 v[2:3], s[0:1], v2, s47, v[16:17]
	v_lshl_add_u64 v[22:23], v[2:3], 0, v[14:15]
	global_load_ushort v38, v[22:23], off
	ds_read2_b64 v[10:13], v28 offset1:1
	ds_read2_b64 v[2:5], v28 offset0:2 offset1:3
	s_load_dword s51, s[12:13], 0x0
	s_waitcnt vmcnt(0)
	v_and_b32_sdwa v6, s48, v38 dst_sel:DWORD dst_unused:UNUSED_PAD src0_sel:DWORD src1_sel:BYTE_0
	v_cvt_f32_fp8_sdwa v37, v6 src0_sel:BYTE_0
	ds_read2_b64 v[6:9], v28 offset0:4 offset1:5
	ds_read_b64 v[20:21], v28 offset:48
	s_waitcnt lgkmcnt(0)
	v_mul_f32_e32 v39, s51, v37
	v_and_b32_e32 v37, 0x7f800000, v39
	v_cmp_ne_u32_e64 s[0:1], s49, v37
                                        ; implicit-def: $vgpr37
	s_and_saveexec_b64 s[40:41], s[0:1]
	s_xor_b64 s[0:1], exec, s[40:41]
; %bb.17:                               ;   in Loop: Header=BB310_13 Depth=1
	v_bfe_u32 v37, v39, 16, 1
	v_add3_u32 v37, v39, v37, s50
                                        ; implicit-def: $vgpr39
; %bb.18:                               ;   in Loop: Header=BB310_13 Depth=1
	s_andn2_saveexec_b64 s[40:41], s[0:1]
; %bb.19:                               ;   in Loop: Header=BB310_13 Depth=1
	v_or_b32_e32 v37, 0x10000, v39
	v_cmp_eq_u32_sdwa s[0:1], v39, v15 src0_sel:WORD_0 src1_sel:DWORD
	s_nop 1
	v_cndmask_b32_e64 v37, v37, v39, s[0:1]
; %bb.20:                               ;   in Loop: Header=BB310_13 Depth=1
	s_or_b64 exec, exec, s[40:41]
	v_lshrrev_b16_e32 v38, 8, v38
	v_cvt_f32_fp8_sdwa v38, v38 src0_sel:BYTE_0
	s_nop 0
	v_mul_f32_e32 v39, s51, v38
	v_and_b32_e32 v38, 0x7f800000, v39
	v_cmp_ne_u32_e64 s[0:1], s49, v38
                                        ; implicit-def: $vgpr38
	s_and_saveexec_b64 s[40:41], s[0:1]
	s_xor_b64 s[0:1], exec, s[40:41]
; %bb.21:                               ;   in Loop: Header=BB310_13 Depth=1
	v_bfe_u32 v38, v39, 16, 1
	v_add3_u32 v38, v39, v38, s50
                                        ; implicit-def: $vgpr39
; %bb.22:                               ;   in Loop: Header=BB310_13 Depth=1
	s_andn2_saveexec_b64 s[40:41], s[0:1]
; %bb.23:                               ;   in Loop: Header=BB310_13 Depth=1
	v_or_b32_e32 v38, 0x10000, v39
	v_cmp_eq_u32_sdwa s[0:1], v39, v15 src0_sel:WORD_0 src1_sel:DWORD
	s_nop 1
	v_cndmask_b32_e64 v38, v38, v39, s[0:1]
; %bb.24:                               ;   in Loop: Header=BB310_13 Depth=1
	s_or_b64 exec, exec, s[40:41]
	global_load_ushort v40, v[22:23], off offset:8
	s_waitcnt vmcnt(0)
	v_and_b32_sdwa v39, s48, v40 dst_sel:DWORD dst_unused:UNUSED_PAD src0_sel:DWORD src1_sel:BYTE_0
	v_cvt_f32_fp8_sdwa v39, v39 src0_sel:BYTE_0
	s_nop 0
	v_mul_f32_e32 v41, s51, v39
	v_and_b32_e32 v39, 0x7f800000, v41
	v_cmp_ne_u32_e64 s[0:1], s49, v39
                                        ; implicit-def: $vgpr39
	s_and_saveexec_b64 s[40:41], s[0:1]
	s_xor_b64 s[0:1], exec, s[40:41]
; %bb.25:                               ;   in Loop: Header=BB310_13 Depth=1
	v_bfe_u32 v39, v41, 16, 1
	v_add3_u32 v39, v41, v39, s50
                                        ; implicit-def: $vgpr41
; %bb.26:                               ;   in Loop: Header=BB310_13 Depth=1
	s_andn2_saveexec_b64 s[40:41], s[0:1]
; %bb.27:                               ;   in Loop: Header=BB310_13 Depth=1
	v_or_b32_e32 v39, 0x10000, v41
	v_cmp_eq_u32_sdwa s[0:1], v41, v15 src0_sel:WORD_0 src1_sel:DWORD
	s_nop 1
	v_cndmask_b32_e64 v39, v39, v41, s[0:1]
; %bb.28:                               ;   in Loop: Header=BB310_13 Depth=1
	s_or_b64 exec, exec, s[40:41]
	v_lshrrev_b16_e32 v40, 8, v40
	v_cvt_f32_fp8_sdwa v40, v40 src0_sel:BYTE_0
	s_nop 0
	v_mul_f32_e32 v41, s51, v40
	v_and_b32_e32 v40, 0x7f800000, v41
	v_cmp_ne_u32_e64 s[0:1], s49, v40
                                        ; implicit-def: $vgpr40
	s_and_saveexec_b64 s[40:41], s[0:1]
	s_xor_b64 s[0:1], exec, s[40:41]
; %bb.29:                               ;   in Loop: Header=BB310_13 Depth=1
	v_bfe_u32 v40, v41, 16, 1
	v_add3_u32 v40, v41, v40, s50
                                        ; implicit-def: $vgpr41
; %bb.30:                               ;   in Loop: Header=BB310_13 Depth=1
	s_andn2_saveexec_b64 s[40:41], s[0:1]
; %bb.31:                               ;   in Loop: Header=BB310_13 Depth=1
	v_or_b32_e32 v40, 0x10000, v41
	v_cmp_eq_u32_sdwa s[0:1], v41, v15 src0_sel:WORD_0 src1_sel:DWORD
	s_nop 1
	v_cndmask_b32_e64 v40, v40, v41, s[0:1]
; %bb.32:                               ;   in Loop: Header=BB310_13 Depth=1
	s_or_b64 exec, exec, s[40:41]
	global_load_ushort v42, v[22:23], off offset:256
	s_waitcnt vmcnt(0)
	v_and_b32_sdwa v41, s48, v42 dst_sel:DWORD dst_unused:UNUSED_PAD src0_sel:DWORD src1_sel:BYTE_0
	v_cvt_f32_fp8_sdwa v41, v41 src0_sel:BYTE_0
	s_nop 0
	v_mul_f32_e32 v43, s51, v41
	v_and_b32_e32 v41, 0x7f800000, v43
	v_cmp_ne_u32_e64 s[0:1], s49, v41
                                        ; implicit-def: $vgpr41
	s_and_saveexec_b64 s[40:41], s[0:1]
	s_xor_b64 s[0:1], exec, s[40:41]
; %bb.33:                               ;   in Loop: Header=BB310_13 Depth=1
	v_bfe_u32 v41, v43, 16, 1
	v_add3_u32 v41, v43, v41, s50
                                        ; implicit-def: $vgpr43
; %bb.34:                               ;   in Loop: Header=BB310_13 Depth=1
	s_andn2_saveexec_b64 s[40:41], s[0:1]
; %bb.35:                               ;   in Loop: Header=BB310_13 Depth=1
	v_or_b32_e32 v41, 0x10000, v43
	v_cmp_eq_u32_sdwa s[0:1], v43, v15 src0_sel:WORD_0 src1_sel:DWORD
	s_nop 1
	v_cndmask_b32_e64 v41, v41, v43, s[0:1]
; %bb.36:                               ;   in Loop: Header=BB310_13 Depth=1
	s_or_b64 exec, exec, s[40:41]
	v_lshrrev_b16_e32 v42, 8, v42
	v_cvt_f32_fp8_sdwa v42, v42 src0_sel:BYTE_0
	s_nop 0
	v_mul_f32_e32 v43, s51, v42
	v_and_b32_e32 v42, 0x7f800000, v43
	v_cmp_ne_u32_e64 s[0:1], s49, v42
                                        ; implicit-def: $vgpr42
	s_and_saveexec_b64 s[40:41], s[0:1]
	s_xor_b64 s[0:1], exec, s[40:41]
; %bb.37:                               ;   in Loop: Header=BB310_13 Depth=1
	v_bfe_u32 v42, v43, 16, 1
	v_add3_u32 v42, v43, v42, s50
                                        ; implicit-def: $vgpr43
; %bb.38:                               ;   in Loop: Header=BB310_13 Depth=1
	s_andn2_saveexec_b64 s[40:41], s[0:1]
; %bb.39:                               ;   in Loop: Header=BB310_13 Depth=1
	v_or_b32_e32 v42, 0x10000, v43
	v_cmp_eq_u32_sdwa s[0:1], v43, v15 src0_sel:WORD_0 src1_sel:DWORD
	s_nop 1
	v_cndmask_b32_e64 v42, v42, v43, s[0:1]
; %bb.40:                               ;   in Loop: Header=BB310_13 Depth=1
	s_or_b64 exec, exec, s[40:41]
	global_load_ushort v44, v[22:23], off offset:264
	s_waitcnt vmcnt(0)
	v_and_b32_sdwa v43, s48, v44 dst_sel:DWORD dst_unused:UNUSED_PAD src0_sel:DWORD src1_sel:BYTE_0
	v_cvt_f32_fp8_sdwa v43, v43 src0_sel:BYTE_0
	s_nop 0
	v_mul_f32_e32 v45, s51, v43
	v_and_b32_e32 v43, 0x7f800000, v45
	v_cmp_ne_u32_e64 s[0:1], s49, v43
                                        ; implicit-def: $vgpr43
	s_and_saveexec_b64 s[40:41], s[0:1]
	s_xor_b64 s[0:1], exec, s[40:41]
; %bb.41:                               ;   in Loop: Header=BB310_13 Depth=1
	v_bfe_u32 v43, v45, 16, 1
	v_add3_u32 v43, v45, v43, s50
                                        ; implicit-def: $vgpr45
; %bb.42:                               ;   in Loop: Header=BB310_13 Depth=1
	s_andn2_saveexec_b64 s[40:41], s[0:1]
; %bb.43:                               ;   in Loop: Header=BB310_13 Depth=1
	v_or_b32_e32 v43, 0x10000, v45
	v_cmp_eq_u32_sdwa s[0:1], v45, v15 src0_sel:WORD_0 src1_sel:DWORD
	s_nop 1
	v_cndmask_b32_e64 v43, v43, v45, s[0:1]
; %bb.44:                               ;   in Loop: Header=BB310_13 Depth=1
	s_or_b64 exec, exec, s[40:41]
	v_lshrrev_b16_e32 v44, 8, v44
	v_cvt_f32_fp8_sdwa v44, v44 src0_sel:BYTE_0
	s_nop 0
	v_mul_f32_e32 v45, s51, v44
	v_and_b32_e32 v44, 0x7f800000, v45
	v_cmp_ne_u32_e64 s[0:1], s49, v44
                                        ; implicit-def: $vgpr44
	s_and_saveexec_b64 s[40:41], s[0:1]
	s_xor_b64 s[0:1], exec, s[40:41]
; %bb.45:                               ;   in Loop: Header=BB310_13 Depth=1
	v_bfe_u32 v44, v45, 16, 1
	v_add3_u32 v44, v45, v44, s50
                                        ; implicit-def: $vgpr45
; %bb.46:                               ;   in Loop: Header=BB310_13 Depth=1
	s_andn2_saveexec_b64 s[40:41], s[0:1]
; %bb.47:                               ;   in Loop: Header=BB310_13 Depth=1
	v_or_b32_e32 v44, 0x10000, v45
	v_cmp_eq_u32_sdwa s[0:1], v45, v15 src0_sel:WORD_0 src1_sel:DWORD
	s_nop 1
	v_cndmask_b32_e64 v44, v44, v45, s[0:1]
; %bb.48:                               ;   in Loop: Header=BB310_13 Depth=1
	s_or_b64 exec, exec, s[40:41]
	global_load_ushort v46, v[22:23], off offset:512
	s_waitcnt vmcnt(0)
	v_and_b32_sdwa v45, s48, v46 dst_sel:DWORD dst_unused:UNUSED_PAD src0_sel:DWORD src1_sel:BYTE_0
	v_cvt_f32_fp8_sdwa v45, v45 src0_sel:BYTE_0
	s_nop 0
	v_mul_f32_e32 v47, s51, v45
	v_and_b32_e32 v45, 0x7f800000, v47
	v_cmp_ne_u32_e64 s[0:1], s49, v45
                                        ; implicit-def: $vgpr45
	s_and_saveexec_b64 s[40:41], s[0:1]
	s_xor_b64 s[0:1], exec, s[40:41]
; %bb.49:                               ;   in Loop: Header=BB310_13 Depth=1
	v_bfe_u32 v45, v47, 16, 1
	v_add3_u32 v45, v47, v45, s50
                                        ; implicit-def: $vgpr47
; %bb.50:                               ;   in Loop: Header=BB310_13 Depth=1
	s_andn2_saveexec_b64 s[40:41], s[0:1]
; %bb.51:                               ;   in Loop: Header=BB310_13 Depth=1
	v_or_b32_e32 v45, 0x10000, v47
	v_cmp_eq_u32_sdwa s[0:1], v47, v15 src0_sel:WORD_0 src1_sel:DWORD
	s_nop 1
	v_cndmask_b32_e64 v45, v45, v47, s[0:1]
; %bb.52:                               ;   in Loop: Header=BB310_13 Depth=1
	s_or_b64 exec, exec, s[40:41]
	v_lshrrev_b16_e32 v46, 8, v46
	v_cvt_f32_fp8_sdwa v46, v46 src0_sel:BYTE_0
	s_nop 0
	v_mul_f32_e32 v47, s51, v46
	v_and_b32_e32 v46, 0x7f800000, v47
	v_cmp_ne_u32_e64 s[0:1], s49, v46
                                        ; implicit-def: $vgpr46
	s_and_saveexec_b64 s[40:41], s[0:1]
	s_xor_b64 s[0:1], exec, s[40:41]
; %bb.53:                               ;   in Loop: Header=BB310_13 Depth=1
	v_bfe_u32 v46, v47, 16, 1
	v_add3_u32 v46, v47, v46, s50
                                        ; implicit-def: $vgpr47
; %bb.54:                               ;   in Loop: Header=BB310_13 Depth=1
	s_andn2_saveexec_b64 s[40:41], s[0:1]
; %bb.55:                               ;   in Loop: Header=BB310_13 Depth=1
	v_or_b32_e32 v46, 0x10000, v47
	v_cmp_eq_u32_sdwa s[0:1], v47, v15 src0_sel:WORD_0 src1_sel:DWORD
	s_nop 1
	v_cndmask_b32_e64 v46, v46, v47, s[0:1]
; %bb.56:                               ;   in Loop: Header=BB310_13 Depth=1
	s_or_b64 exec, exec, s[40:41]
	global_load_ushort v48, v[22:23], off offset:520
	s_waitcnt vmcnt(0)
	v_and_b32_sdwa v47, s48, v48 dst_sel:DWORD dst_unused:UNUSED_PAD src0_sel:DWORD src1_sel:BYTE_0
	v_cvt_f32_fp8_sdwa v47, v47 src0_sel:BYTE_0
	s_nop 0
	v_mul_f32_e32 v49, s51, v47
	v_and_b32_e32 v47, 0x7f800000, v49
	v_cmp_ne_u32_e64 s[0:1], s49, v47
                                        ; implicit-def: $vgpr47
	s_and_saveexec_b64 s[40:41], s[0:1]
	s_xor_b64 s[0:1], exec, s[40:41]
; %bb.57:                               ;   in Loop: Header=BB310_13 Depth=1
	v_bfe_u32 v47, v49, 16, 1
	v_add3_u32 v47, v49, v47, s50
                                        ; implicit-def: $vgpr49
; %bb.58:                               ;   in Loop: Header=BB310_13 Depth=1
	s_andn2_saveexec_b64 s[40:41], s[0:1]
; %bb.59:                               ;   in Loop: Header=BB310_13 Depth=1
	v_or_b32_e32 v47, 0x10000, v49
	v_cmp_eq_u32_sdwa s[0:1], v49, v15 src0_sel:WORD_0 src1_sel:DWORD
	s_nop 1
	v_cndmask_b32_e64 v47, v47, v49, s[0:1]
; %bb.60:                               ;   in Loop: Header=BB310_13 Depth=1
	s_or_b64 exec, exec, s[40:41]
	v_lshrrev_b16_e32 v48, 8, v48
	v_cvt_f32_fp8_sdwa v48, v48 src0_sel:BYTE_0
	s_nop 0
	v_mul_f32_e32 v49, s51, v48
	v_and_b32_e32 v48, 0x7f800000, v49
	v_cmp_ne_u32_e64 s[0:1], s49, v48
                                        ; implicit-def: $vgpr48
	s_and_saveexec_b64 s[40:41], s[0:1]
	s_xor_b64 s[0:1], exec, s[40:41]
; %bb.61:                               ;   in Loop: Header=BB310_13 Depth=1
	v_bfe_u32 v48, v49, 16, 1
	v_add3_u32 v48, v49, v48, s50
                                        ; implicit-def: $vgpr49
; %bb.62:                               ;   in Loop: Header=BB310_13 Depth=1
	s_andn2_saveexec_b64 s[40:41], s[0:1]
; %bb.63:                               ;   in Loop: Header=BB310_13 Depth=1
	v_or_b32_e32 v48, 0x10000, v49
	v_cmp_eq_u32_sdwa s[0:1], v49, v15 src0_sel:WORD_0 src1_sel:DWORD
	s_nop 1
	v_cndmask_b32_e64 v48, v48, v49, s[0:1]
; %bb.64:                               ;   in Loop: Header=BB310_13 Depth=1
	s_or_b64 exec, exec, s[40:41]
	global_load_ushort v50, v[22:23], off offset:768
	s_waitcnt vmcnt(0)
	v_and_b32_sdwa v49, s48, v50 dst_sel:DWORD dst_unused:UNUSED_PAD src0_sel:DWORD src1_sel:BYTE_0
	v_cvt_f32_fp8_sdwa v49, v49 src0_sel:BYTE_0
	s_nop 0
	v_mul_f32_e32 v51, s51, v49
	v_and_b32_e32 v49, 0x7f800000, v51
	v_cmp_ne_u32_e64 s[0:1], s49, v49
                                        ; implicit-def: $vgpr49
	s_and_saveexec_b64 s[40:41], s[0:1]
	s_xor_b64 s[0:1], exec, s[40:41]
; %bb.65:                               ;   in Loop: Header=BB310_13 Depth=1
	v_bfe_u32 v49, v51, 16, 1
	v_add3_u32 v49, v51, v49, s50
                                        ; implicit-def: $vgpr51
; %bb.66:                               ;   in Loop: Header=BB310_13 Depth=1
	s_andn2_saveexec_b64 s[40:41], s[0:1]
; %bb.67:                               ;   in Loop: Header=BB310_13 Depth=1
	v_or_b32_e32 v49, 0x10000, v51
	v_cmp_eq_u32_sdwa s[0:1], v51, v15 src0_sel:WORD_0 src1_sel:DWORD
	s_nop 1
	v_cndmask_b32_e64 v49, v49, v51, s[0:1]
; %bb.68:                               ;   in Loop: Header=BB310_13 Depth=1
	s_or_b64 exec, exec, s[40:41]
	v_lshrrev_b16_e32 v50, 8, v50
	v_cvt_f32_fp8_sdwa v50, v50 src0_sel:BYTE_0
	s_nop 0
	v_mul_f32_e32 v51, s51, v50
	v_and_b32_e32 v50, 0x7f800000, v51
	v_cmp_ne_u32_e64 s[0:1], s49, v50
                                        ; implicit-def: $vgpr50
	s_and_saveexec_b64 s[40:41], s[0:1]
	s_xor_b64 s[0:1], exec, s[40:41]
; %bb.69:                               ;   in Loop: Header=BB310_13 Depth=1
	v_bfe_u32 v50, v51, 16, 1
	v_add3_u32 v50, v51, v50, s50
                                        ; implicit-def: $vgpr51
; %bb.70:                               ;   in Loop: Header=BB310_13 Depth=1
	s_andn2_saveexec_b64 s[40:41], s[0:1]
; %bb.71:                               ;   in Loop: Header=BB310_13 Depth=1
	v_or_b32_e32 v50, 0x10000, v51
	v_cmp_eq_u32_sdwa s[0:1], v51, v15 src0_sel:WORD_0 src1_sel:DWORD
	s_nop 1
	v_cndmask_b32_e64 v50, v50, v51, s[0:1]
; %bb.72:                               ;   in Loop: Header=BB310_13 Depth=1
	s_or_b64 exec, exec, s[40:41]
	global_load_ushort v52, v[22:23], off offset:776
	s_waitcnt vmcnt(0)
	v_and_b32_sdwa v51, s48, v52 dst_sel:DWORD dst_unused:UNUSED_PAD src0_sel:DWORD src1_sel:BYTE_0
	v_cvt_f32_fp8_sdwa v51, v51 src0_sel:BYTE_0
	s_nop 0
	v_mul_f32_e32 v53, s51, v51
	v_and_b32_e32 v51, 0x7f800000, v53
	v_cmp_ne_u32_e64 s[0:1], s49, v51
                                        ; implicit-def: $vgpr51
	s_and_saveexec_b64 s[40:41], s[0:1]
	s_xor_b64 s[0:1], exec, s[40:41]
; %bb.73:                               ;   in Loop: Header=BB310_13 Depth=1
	v_bfe_u32 v51, v53, 16, 1
	v_add3_u32 v51, v53, v51, s50
                                        ; implicit-def: $vgpr53
; %bb.74:                               ;   in Loop: Header=BB310_13 Depth=1
	s_andn2_saveexec_b64 s[40:41], s[0:1]
; %bb.75:                               ;   in Loop: Header=BB310_13 Depth=1
	v_or_b32_e32 v51, 0x10000, v53
	v_cmp_eq_u32_sdwa s[0:1], v53, v15 src0_sel:WORD_0 src1_sel:DWORD
	s_nop 1
	v_cndmask_b32_e64 v51, v51, v53, s[0:1]
; %bb.76:                               ;   in Loop: Header=BB310_13 Depth=1
	s_or_b64 exec, exec, s[40:41]
	v_lshrrev_b16_e32 v52, 8, v52
	v_cvt_f32_fp8_sdwa v52, v52 src0_sel:BYTE_0
	s_nop 0
	v_mul_f32_e32 v53, s51, v52
	v_and_b32_e32 v52, 0x7f800000, v53
	v_cmp_ne_u32_e64 s[0:1], s49, v52
                                        ; implicit-def: $vgpr52
	s_and_saveexec_b64 s[40:41], s[0:1]
	s_xor_b64 s[0:1], exec, s[40:41]
; %bb.77:                               ;   in Loop: Header=BB310_13 Depth=1
	v_bfe_u32 v52, v53, 16, 1
	v_add3_u32 v52, v53, v52, s50
                                        ; implicit-def: $vgpr53
; %bb.78:                               ;   in Loop: Header=BB310_13 Depth=1
	s_andn2_saveexec_b64 s[40:41], s[0:1]
; %bb.79:                               ;   in Loop: Header=BB310_13 Depth=1
	v_or_b32_e32 v52, 0x10000, v53
	v_cmp_eq_u32_sdwa s[0:1], v53, v15 src0_sel:WORD_0 src1_sel:DWORD
	s_nop 1
	v_cndmask_b32_e64 v52, v52, v53, s[0:1]
; %bb.80:                               ;   in Loop: Header=BB310_13 Depth=1
	s_or_b64 exec, exec, s[40:41]
	global_load_ushort v54, v[22:23], off offset:1024
	s_waitcnt vmcnt(0)
	v_and_b32_sdwa v53, s48, v54 dst_sel:DWORD dst_unused:UNUSED_PAD src0_sel:DWORD src1_sel:BYTE_0
	v_cvt_f32_fp8_sdwa v53, v53 src0_sel:BYTE_0
	s_nop 0
	v_mul_f32_e32 v55, s51, v53
	v_and_b32_e32 v53, 0x7f800000, v55
	v_cmp_ne_u32_e64 s[0:1], s49, v53
                                        ; implicit-def: $vgpr53
	s_and_saveexec_b64 s[40:41], s[0:1]
	s_xor_b64 s[0:1], exec, s[40:41]
; %bb.81:                               ;   in Loop: Header=BB310_13 Depth=1
	v_bfe_u32 v53, v55, 16, 1
	v_add3_u32 v53, v55, v53, s50
                                        ; implicit-def: $vgpr55
; %bb.82:                               ;   in Loop: Header=BB310_13 Depth=1
	s_andn2_saveexec_b64 s[40:41], s[0:1]
; %bb.83:                               ;   in Loop: Header=BB310_13 Depth=1
	v_or_b32_e32 v53, 0x10000, v55
	v_cmp_eq_u32_sdwa s[0:1], v55, v15 src0_sel:WORD_0 src1_sel:DWORD
	s_nop 1
	v_cndmask_b32_e64 v53, v53, v55, s[0:1]
; %bb.84:                               ;   in Loop: Header=BB310_13 Depth=1
	s_or_b64 exec, exec, s[40:41]
	v_lshrrev_b16_e32 v54, 8, v54
	v_cvt_f32_fp8_sdwa v54, v54 src0_sel:BYTE_0
	s_nop 0
	v_mul_f32_e32 v55, s51, v54
	v_and_b32_e32 v54, 0x7f800000, v55
	v_cmp_ne_u32_e64 s[0:1], s49, v54
                                        ; implicit-def: $vgpr54
	s_and_saveexec_b64 s[40:41], s[0:1]
	s_xor_b64 s[0:1], exec, s[40:41]
; %bb.85:                               ;   in Loop: Header=BB310_13 Depth=1
	v_bfe_u32 v54, v55, 16, 1
	v_add3_u32 v54, v55, v54, s50
                                        ; implicit-def: $vgpr55
; %bb.86:                               ;   in Loop: Header=BB310_13 Depth=1
	s_andn2_saveexec_b64 s[40:41], s[0:1]
; %bb.87:                               ;   in Loop: Header=BB310_13 Depth=1
	v_or_b32_e32 v54, 0x10000, v55
	v_cmp_eq_u32_sdwa s[0:1], v55, v15 src0_sel:WORD_0 src1_sel:DWORD
	s_nop 1
	v_cndmask_b32_e64 v54, v54, v55, s[0:1]
; %bb.88:                               ;   in Loop: Header=BB310_13 Depth=1
	s_or_b64 exec, exec, s[40:41]
	global_load_ushort v56, v[22:23], off offset:1032
	s_waitcnt vmcnt(0)
	v_and_b32_sdwa v55, s48, v56 dst_sel:DWORD dst_unused:UNUSED_PAD src0_sel:DWORD src1_sel:BYTE_0
	v_cvt_f32_fp8_sdwa v55, v55 src0_sel:BYTE_0
	s_nop 0
	v_mul_f32_e32 v57, s51, v55
	v_and_b32_e32 v55, 0x7f800000, v57
	v_cmp_ne_u32_e64 s[0:1], s49, v55
                                        ; implicit-def: $vgpr55
	s_and_saveexec_b64 s[40:41], s[0:1]
	s_xor_b64 s[0:1], exec, s[40:41]
; %bb.89:                               ;   in Loop: Header=BB310_13 Depth=1
	v_bfe_u32 v55, v57, 16, 1
	v_add3_u32 v55, v57, v55, s50
                                        ; implicit-def: $vgpr57
; %bb.90:                               ;   in Loop: Header=BB310_13 Depth=1
	s_andn2_saveexec_b64 s[40:41], s[0:1]
; %bb.91:                               ;   in Loop: Header=BB310_13 Depth=1
	v_or_b32_e32 v55, 0x10000, v57
	v_cmp_eq_u32_sdwa s[0:1], v57, v15 src0_sel:WORD_0 src1_sel:DWORD
	s_nop 1
	v_cndmask_b32_e64 v55, v55, v57, s[0:1]
; %bb.92:                               ;   in Loop: Header=BB310_13 Depth=1
	s_or_b64 exec, exec, s[40:41]
	v_lshrrev_b16_e32 v56, 8, v56
	v_cvt_f32_fp8_sdwa v56, v56 src0_sel:BYTE_0
	s_nop 0
	v_mul_f32_e32 v57, s51, v56
	v_and_b32_e32 v56, 0x7f800000, v57
	v_cmp_ne_u32_e64 s[0:1], s49, v56
                                        ; implicit-def: $vgpr56
	s_and_saveexec_b64 s[40:41], s[0:1]
	s_xor_b64 s[0:1], exec, s[40:41]
; %bb.93:                               ;   in Loop: Header=BB310_13 Depth=1
	v_bfe_u32 v56, v57, 16, 1
	v_add3_u32 v56, v57, v56, s50
                                        ; implicit-def: $vgpr57
; %bb.94:                               ;   in Loop: Header=BB310_13 Depth=1
	s_andn2_saveexec_b64 s[40:41], s[0:1]
; %bb.95:                               ;   in Loop: Header=BB310_13 Depth=1
	v_or_b32_e32 v56, 0x10000, v57
	v_cmp_eq_u32_sdwa s[0:1], v57, v15 src0_sel:WORD_0 src1_sel:DWORD
	s_nop 1
	v_cndmask_b32_e64 v56, v56, v57, s[0:1]
; %bb.96:                               ;   in Loop: Header=BB310_13 Depth=1
	s_or_b64 exec, exec, s[40:41]
	global_load_ushort v58, v[22:23], off offset:1280
	s_waitcnt vmcnt(0)
	v_and_b32_sdwa v57, s48, v58 dst_sel:DWORD dst_unused:UNUSED_PAD src0_sel:DWORD src1_sel:BYTE_0
	v_cvt_f32_fp8_sdwa v57, v57 src0_sel:BYTE_0
	s_nop 0
	v_mul_f32_e32 v59, s51, v57
	v_and_b32_e32 v57, 0x7f800000, v59
	v_cmp_ne_u32_e64 s[0:1], s49, v57
                                        ; implicit-def: $vgpr57
	s_and_saveexec_b64 s[40:41], s[0:1]
	s_xor_b64 s[0:1], exec, s[40:41]
; %bb.97:                               ;   in Loop: Header=BB310_13 Depth=1
	v_bfe_u32 v57, v59, 16, 1
	v_add3_u32 v57, v59, v57, s50
                                        ; implicit-def: $vgpr59
; %bb.98:                               ;   in Loop: Header=BB310_13 Depth=1
	s_andn2_saveexec_b64 s[40:41], s[0:1]
; %bb.99:                               ;   in Loop: Header=BB310_13 Depth=1
	v_or_b32_e32 v57, 0x10000, v59
	v_cmp_eq_u32_sdwa s[0:1], v59, v15 src0_sel:WORD_0 src1_sel:DWORD
	s_nop 1
	v_cndmask_b32_e64 v57, v57, v59, s[0:1]
; %bb.100:                              ;   in Loop: Header=BB310_13 Depth=1
	s_or_b64 exec, exec, s[40:41]
	v_lshrrev_b16_e32 v58, 8, v58
	v_cvt_f32_fp8_sdwa v58, v58 src0_sel:BYTE_0
	s_nop 0
	v_mul_f32_e32 v59, s51, v58
	v_and_b32_e32 v58, 0x7f800000, v59
	v_cmp_ne_u32_e64 s[0:1], s49, v58
                                        ; implicit-def: $vgpr58
	s_and_saveexec_b64 s[40:41], s[0:1]
	s_xor_b64 s[0:1], exec, s[40:41]
; %bb.101:                              ;   in Loop: Header=BB310_13 Depth=1
	v_bfe_u32 v58, v59, 16, 1
	v_add3_u32 v58, v59, v58, s50
                                        ; implicit-def: $vgpr59
; %bb.102:                              ;   in Loop: Header=BB310_13 Depth=1
	s_andn2_saveexec_b64 s[40:41], s[0:1]
; %bb.103:                              ;   in Loop: Header=BB310_13 Depth=1
	v_or_b32_e32 v58, 0x10000, v59
	v_cmp_eq_u32_sdwa s[0:1], v59, v15 src0_sel:WORD_0 src1_sel:DWORD
	s_nop 1
	v_cndmask_b32_e64 v58, v58, v59, s[0:1]
; %bb.104:                              ;   in Loop: Header=BB310_13 Depth=1
	s_or_b64 exec, exec, s[40:41]
	global_load_ushort v60, v[22:23], off offset:1288
	s_waitcnt vmcnt(0)
	v_and_b32_sdwa v59, s48, v60 dst_sel:DWORD dst_unused:UNUSED_PAD src0_sel:DWORD src1_sel:BYTE_0
	v_cvt_f32_fp8_sdwa v59, v59 src0_sel:BYTE_0
	s_nop 0
	v_mul_f32_e32 v61, s51, v59
	v_and_b32_e32 v59, 0x7f800000, v61
	v_cmp_ne_u32_e64 s[0:1], s49, v59
                                        ; implicit-def: $vgpr59
	s_and_saveexec_b64 s[40:41], s[0:1]
	s_xor_b64 s[0:1], exec, s[40:41]
; %bb.105:                              ;   in Loop: Header=BB310_13 Depth=1
	v_bfe_u32 v59, v61, 16, 1
	v_add3_u32 v59, v61, v59, s50
                                        ; implicit-def: $vgpr61
; %bb.106:                              ;   in Loop: Header=BB310_13 Depth=1
	s_andn2_saveexec_b64 s[40:41], s[0:1]
; %bb.107:                              ;   in Loop: Header=BB310_13 Depth=1
	v_or_b32_e32 v59, 0x10000, v61
	v_cmp_eq_u32_sdwa s[0:1], v61, v15 src0_sel:WORD_0 src1_sel:DWORD
	s_nop 1
	v_cndmask_b32_e64 v59, v59, v61, s[0:1]
; %bb.108:                              ;   in Loop: Header=BB310_13 Depth=1
	s_or_b64 exec, exec, s[40:41]
	v_lshrrev_b16_e32 v60, 8, v60
	v_cvt_f32_fp8_sdwa v60, v60 src0_sel:BYTE_0
	s_nop 0
	v_mul_f32_e32 v61, s51, v60
	v_and_b32_e32 v60, 0x7f800000, v61
	v_cmp_ne_u32_e64 s[0:1], s49, v60
                                        ; implicit-def: $vgpr60
	s_and_saveexec_b64 s[40:41], s[0:1]
	s_xor_b64 s[0:1], exec, s[40:41]
; %bb.109:                              ;   in Loop: Header=BB310_13 Depth=1
	v_bfe_u32 v60, v61, 16, 1
	v_add3_u32 v60, v61, v60, s50
                                        ; implicit-def: $vgpr61
; %bb.110:                              ;   in Loop: Header=BB310_13 Depth=1
	s_andn2_saveexec_b64 s[40:41], s[0:1]
; %bb.111:                              ;   in Loop: Header=BB310_13 Depth=1
	v_or_b32_e32 v60, 0x10000, v61
	v_cmp_eq_u32_sdwa s[0:1], v61, v15 src0_sel:WORD_0 src1_sel:DWORD
	s_nop 1
	v_cndmask_b32_e64 v60, v60, v61, s[0:1]
; %bb.112:                              ;   in Loop: Header=BB310_13 Depth=1
	s_or_b64 exec, exec, s[40:41]
	global_load_ushort v62, v[22:23], off offset:1536
	s_waitcnt vmcnt(0)
	v_and_b32_sdwa v61, s48, v62 dst_sel:DWORD dst_unused:UNUSED_PAD src0_sel:DWORD src1_sel:BYTE_0
	v_cvt_f32_fp8_sdwa v61, v61 src0_sel:BYTE_0
	s_nop 0
	v_mul_f32_e32 v63, s51, v61
	v_and_b32_e32 v61, 0x7f800000, v63
	v_cmp_ne_u32_e64 s[0:1], s49, v61
                                        ; implicit-def: $vgpr61
	s_and_saveexec_b64 s[40:41], s[0:1]
	s_xor_b64 s[0:1], exec, s[40:41]
; %bb.113:                              ;   in Loop: Header=BB310_13 Depth=1
	v_bfe_u32 v61, v63, 16, 1
	v_add3_u32 v61, v63, v61, s50
                                        ; implicit-def: $vgpr63
; %bb.114:                              ;   in Loop: Header=BB310_13 Depth=1
	s_andn2_saveexec_b64 s[40:41], s[0:1]
; %bb.115:                              ;   in Loop: Header=BB310_13 Depth=1
	v_or_b32_e32 v61, 0x10000, v63
	v_cmp_eq_u32_sdwa s[0:1], v63, v15 src0_sel:WORD_0 src1_sel:DWORD
	s_nop 1
	v_cndmask_b32_e64 v61, v61, v63, s[0:1]
; %bb.116:                              ;   in Loop: Header=BB310_13 Depth=1
	s_or_b64 exec, exec, s[40:41]
	v_lshrrev_b16_e32 v62, 8, v62
	v_cvt_f32_fp8_sdwa v62, v62 src0_sel:BYTE_0
	s_nop 0
	v_mul_f32_e32 v63, s51, v62
	v_and_b32_e32 v62, 0x7f800000, v63
	v_cmp_ne_u32_e64 s[0:1], s49, v62
                                        ; implicit-def: $vgpr62
	s_and_saveexec_b64 s[40:41], s[0:1]
	s_xor_b64 s[0:1], exec, s[40:41]
; %bb.117:                              ;   in Loop: Header=BB310_13 Depth=1
	v_bfe_u32 v62, v63, 16, 1
	v_add3_u32 v62, v63, v62, s50
                                        ; implicit-def: $vgpr63
; %bb.118:                              ;   in Loop: Header=BB310_13 Depth=1
	s_andn2_saveexec_b64 s[40:41], s[0:1]
; %bb.119:                              ;   in Loop: Header=BB310_13 Depth=1
	v_or_b32_e32 v62, 0x10000, v63
	v_cmp_eq_u32_sdwa s[0:1], v63, v15 src0_sel:WORD_0 src1_sel:DWORD
	s_nop 1
	v_cndmask_b32_e64 v62, v62, v63, s[0:1]
; %bb.120:                              ;   in Loop: Header=BB310_13 Depth=1
	s_or_b64 exec, exec, s[40:41]
	global_load_ushort v22, v[22:23], off offset:1544
	s_waitcnt vmcnt(0)
	v_and_b32_sdwa v23, s48, v22 dst_sel:DWORD dst_unused:UNUSED_PAD src0_sel:DWORD src1_sel:BYTE_0
	v_cvt_f32_fp8_sdwa v23, v23 src0_sel:BYTE_0
	s_nop 0
	v_mul_f32_e32 v63, s51, v23
	v_and_b32_e32 v23, 0x7f800000, v63
	v_cmp_ne_u32_e64 s[0:1], s49, v23
                                        ; implicit-def: $vgpr23
	s_and_saveexec_b64 s[40:41], s[0:1]
	s_xor_b64 s[0:1], exec, s[40:41]
; %bb.121:                              ;   in Loop: Header=BB310_13 Depth=1
	v_bfe_u32 v23, v63, 16, 1
	v_add3_u32 v23, v63, v23, s50
                                        ; implicit-def: $vgpr63
; %bb.122:                              ;   in Loop: Header=BB310_13 Depth=1
	s_andn2_saveexec_b64 s[40:41], s[0:1]
; %bb.123:                              ;   in Loop: Header=BB310_13 Depth=1
	v_or_b32_e32 v23, 0x10000, v63
	v_cmp_eq_u32_sdwa s[0:1], v63, v15 src0_sel:WORD_0 src1_sel:DWORD
	s_nop 1
	v_cndmask_b32_e64 v23, v23, v63, s[0:1]
; %bb.124:                              ;   in Loop: Header=BB310_13 Depth=1
	s_or_b64 exec, exec, s[40:41]
	v_lshrrev_b16_e32 v22, 8, v22
	v_cvt_f32_fp8_sdwa v22, v22 src0_sel:BYTE_0
	s_nop 0
	v_mul_f32_e32 v63, s51, v22
	v_and_b32_e32 v22, 0x7f800000, v63
	v_cmp_ne_u32_e64 s[0:1], s49, v22
                                        ; implicit-def: $vgpr22
	s_and_saveexec_b64 s[40:41], s[0:1]
	s_xor_b64 s[0:1], exec, s[40:41]
; %bb.125:                              ;   in Loop: Header=BB310_13 Depth=1
	v_bfe_u32 v22, v63, 16, 1
	v_add3_u32 v22, v63, v22, s50
                                        ; implicit-def: $vgpr63
; %bb.126:                              ;   in Loop: Header=BB310_13 Depth=1
	s_andn2_saveexec_b64 s[40:41], s[0:1]
; %bb.127:                              ;   in Loop: Header=BB310_13 Depth=1
	v_or_b32_e32 v22, 0x10000, v63
	v_cmp_eq_u32_sdwa s[0:1], v63, v15 src0_sel:WORD_0 src1_sel:DWORD
	s_nop 1
	v_cndmask_b32_e64 v22, v22, v63, s[0:1]
; %bb.128:                              ;   in Loop: Header=BB310_13 Depth=1
	s_or_b64 exec, exec, s[40:41]
	v_and_b32_e32 v40, 0xffff0000, v40
	v_and_b32_e32 v39, 0xffff0000, v39
	v_lshlrev_b32_e32 v64, 16, v11
	v_and_b32_e32 v11, 0xffff0000, v11
	v_and_b32_e32 v38, 0xffff0000, v38
	v_and_b32_e32 v37, 0xffff0000, v37
	v_lshlrev_b32_e32 v63, 16, v10
	v_and_b32_e32 v10, 0xffff0000, v10
	v_mul_f32_e32 v39, v64, v39
	v_mul_f32_e32 v11, v11, v40
	v_and_b32_e32 v42, 0xffff0000, v42
	v_and_b32_e32 v41, 0xffff0000, v41
	v_lshlrev_b32_e32 v65, 16, v12
	v_and_b32_e32 v12, 0xffff0000, v12
	v_fmac_f32_e32 v39, v63, v37
	v_fmac_f32_e32 v11, v10, v38
	v_and_b32_e32 v44, 0xffff0000, v44
	v_and_b32_e32 v43, 0xffff0000, v43
	v_lshlrev_b32_e32 v66, 16, v13
	v_and_b32_e32 v13, 0xffff0000, v13
	v_fmac_f32_e32 v39, v65, v41
	v_fmac_f32_e32 v11, v12, v42
	;; [unrolled: 6-line block ×9, first 2 shown]
	v_and_b32_e32 v60, 0xffff0000, v60
	v_and_b32_e32 v59, 0xffff0000, v59
	v_lshlrev_b32_e32 v74, 16, v9
	v_and_b32_e32 v77, 64, v35
	v_and_b32_e32 v9, 0xffff0000, v9
	v_fmac_f32_e32 v39, v73, v57
	v_fmac_f32_e32 v11, v8, v58
	v_and_b32_e32 v62, 0xffff0000, v62
	v_and_b32_e32 v61, 0xffff0000, v61
	v_lshlrev_b32_e32 v75, 16, v20
	v_add_u32_e32 v77, 64, v77
	v_xor_b32_e32 v78, 2, v35
	v_and_b32_e32 v20, 0xffff0000, v20
	v_fmac_f32_e32 v39, v74, v59
	v_fmac_f32_e32 v11, v9, v60
	v_and_b32_e32 v23, 0xffff0000, v23
	v_lshlrev_b32_e32 v76, 16, v21
	v_cmp_lt_i32_e64 s[0:1], v78, v77
	v_and_b32_e32 v22, 0xffff0000, v22
	v_and_b32_e32 v21, 0xffff0000, v21
	v_fmac_f32_e32 v39, v75, v61
	v_fmac_f32_e32 v11, v20, v62
	v_cndmask_b32_e64 v78, v35, v78, s[0:1]
	v_fmac_f32_e32 v39, v76, v23
	v_fmac_f32_e32 v11, v21, v22
	v_lshlrev_b32_e32 v78, 2, v78
	v_add_f32_e32 v2, v39, v11
	ds_bpermute_b32 v3, v78, v2
	v_xor_b32_e32 v4, 1, v35
	v_cmp_lt_i32_e64 s[0:1], v4, v77
	s_waitcnt lgkmcnt(0)
	v_add_f32_e32 v2, v2, v3
	v_cndmask_b32_e64 v4, v35, v4, s[0:1]
	v_lshlrev_b32_e32 v4, 2, v4
	ds_bpermute_b32 v3, v4, v2
	s_and_saveexec_b64 s[40:41], vcc
	s_cbranch_execz .LBB310_11
; %bb.129:                              ;   in Loop: Header=BB310_13 Depth=1
	v_add_u32_e32 v4, v33, v31
	v_cvt_f32_i32_e32 v4, v4
	s_waitcnt lgkmcnt(0)
	v_add_f32_e32 v2, v2, v3
	v_add_u32_e32 v5, v27, v31
	v_cmp_gt_i32_e64 s[0:1], s33, v5
	v_mul_f32_e32 v3, s44, v4
	v_cndmask_b32_e64 v3, 0, v3, s[2:3]
	v_fmac_f32_e32 v3, s37, v2
	v_cndmask_b32_e64 v2, 0, v3, s[0:1]
	ds_write_b32 v32, v2
	v_max_f32_e32 v2, v29, v29
	v_max_f32_e32 v2, v2, v3
	v_cndmask_b32_e64 v29, v29, v2, s[0:1]
	s_branch .LBB310_11
.LBB310_130:
	s_or_b64 exec, exec, s[38:39]
.LBB310_131:
	s_or_b64 exec, exec, s[18:19]
	v_mbcnt_hi_u32_b32 v2, -1, v25
	s_waitcnt lgkmcnt(0)
	v_and_b32_e32 v3, 64, v2
	v_add_u32_e32 v3, 64, v3
	v_xor_b32_e32 v4, 32, v2
	v_cmp_lt_i32_e32 vcc, v4, v3
	v_xor_b32_e32 v7, 16, v2
	v_max_f32_e32 v6, v29, v29
	v_cndmask_b32_e32 v4, v2, v4, vcc
	v_lshlrev_b32_e32 v5, 2, v4
	ds_bpermute_b32 v4, v5, v29
	v_cmp_lt_i32_e32 vcc, v7, v3
	v_xor_b32_e32 v8, 8, v2
	v_xor_b32_e32 v10, 4, v2
	s_waitcnt lgkmcnt(0)
	v_max_f32_e32 v4, v4, v4
	v_max_f32_e32 v4, v6, v4
	v_cndmask_b32_e32 v6, v2, v7, vcc
	v_lshlrev_b32_e32 v6, 2, v6
	ds_bpermute_b32 v7, v6, v4
	v_cmp_lt_i32_e32 vcc, v8, v3
	s_waitcnt lgkmcnt(0)
	v_max_f32_e32 v7, v7, v7
	v_max_f32_e32 v4, v4, v7
	v_cndmask_b32_e32 v7, v2, v8, vcc
	v_lshlrev_b32_e32 v9, 2, v7
	ds_bpermute_b32 v7, v9, v4
	v_cmp_lt_i32_e32 vcc, v10, v3
	s_waitcnt lgkmcnt(0)
	v_max_f32_e32 v7, v7, v7
	v_max_f32_e32 v8, v4, v7
	v_cndmask_b32_e32 v4, v2, v10, vcc
	v_lshlrev_b32_e32 v10, 2, v4
	ds_bpermute_b32 v11, v10, v8
	v_and_b32_e32 v4, 63, v0
	v_cmp_eq_u32_e32 vcc, 0, v4
	v_lshlrev_b32_e32 v7, 2, v1
	s_and_saveexec_b64 s[0:1], vcc
	s_cbranch_execz .LBB310_133
; %bb.132:
	s_waitcnt lgkmcnt(0)
	v_max_f32_e32 v11, v11, v11
	v_max_f32_e32 v8, v8, v8
	;; [unrolled: 1-line block ×3, first 2 shown]
	ds_write_b32 v7, v8 offset:224
.LBB310_133:
	s_or_b64 exec, exec, s[0:1]
	v_cmp_gt_u32_e64 s[0:1], 2, v4
	s_waitcnt lgkmcnt(0)
	v_mov_b32_e32 v11, 0xff7fffff
	v_lshlrev_b32_e32 v8, 2, v4
	s_barrier
	s_and_saveexec_b64 s[2:3], s[0:1]
	s_cbranch_execz .LBB310_135
; %bb.134:
	ds_read_b32 v11, v8 offset:224
.LBB310_135:
	s_or_b64 exec, exec, s[2:3]
	v_xor_b32_e32 v12, 1, v2
	v_cmp_lt_i32_e64 s[2:3], v12, v3
	v_lshlrev_b32_e32 v13, 2, v2
	s_nop 0
	v_cndmask_b32_e64 v12, v2, v12, s[2:3]
	v_lshlrev_b32_e32 v20, 2, v12
	s_waitcnt lgkmcnt(0)
	ds_bpermute_b32 v12, v20, v11
	v_max_f32_e32 v11, v11, v11
	s_lshl_b32 s2, s43, 4
	s_min_i32 s37, s2, s33
	v_cmp_gt_i32_e64 s[2:3], s37, v0
	s_waitcnt lgkmcnt(0)
	v_max_f32_e32 v12, v12, v12
	v_max_f32_e32 v12, v11, v12
	v_and_b32_e32 v11, 0x100, v13
	ds_bpermute_b32 v13, v11, v12
	v_mov_b32_e32 v12, 0
	s_and_saveexec_b64 s[12:13], s[2:3]
	s_cbranch_execz .LBB310_139
; %bb.136:
	v_mov_b32_e32 v12, 0xf0
	v_lshl_add_u32 v14, v0, 2, v12
	s_mov_b64 s[18:19], 0
	v_mov_b32_e32 v12, 0
	v_mov_b32_e32 v15, v0
.LBB310_137:                            ; =>This Inner Loop Header: Depth=1
	ds_read_b32 v16, v14
	v_add_u32_e32 v15, 0x80, v15
	v_cmp_le_i32_e64 s[8:9], s37, v15
	s_or_b64 s[18:19], s[8:9], s[18:19]
	s_waitcnt lgkmcnt(0)
	v_sub_f32_e32 v16, v16, v13
	v_mul_f32_e32 v16, 0x3fb8aa3b, v16
	v_exp_f32_e32 v16, v16
	ds_write_b32 v14, v16
	v_add_f32_e32 v12, v12, v16
	v_add_u32_e32 v14, 0x200, v14
	s_andn2_b64 exec, exec, s[18:19]
	s_cbranch_execnz .LBB310_137
; %bb.138:
	s_or_b64 exec, exec, s[18:19]
.LBB310_139:
	s_or_b64 exec, exec, s[12:13]
	ds_bpermute_b32 v5, v5, v12
	s_waitcnt lgkmcnt(0)
	v_add_f32_e32 v5, v12, v5
	ds_bpermute_b32 v6, v6, v5
	s_waitcnt lgkmcnt(0)
	v_add_f32_e32 v5, v5, v6
	ds_bpermute_b32 v6, v9, v5
	v_xor_b32_e32 v9, 2, v2
	v_cmp_lt_i32_e64 s[8:9], v9, v3
	s_waitcnt lgkmcnt(0)
	v_add_f32_e32 v5, v5, v6
	ds_bpermute_b32 v6, v10, v5
	v_cndmask_b32_e64 v2, v2, v9, s[8:9]
	v_lshlrev_b32_e32 v2, 2, v2
	s_waitcnt lgkmcnt(0)
	v_add_f32_e32 v3, v5, v6
	ds_bpermute_b32 v2, v2, v3
	s_waitcnt lgkmcnt(0)
	v_add_f32_e32 v2, v3, v2
	ds_bpermute_b32 v3, v20, v2
	s_waitcnt lgkmcnt(0)
	v_add_f32_e32 v2, v2, v3
	s_and_saveexec_b64 s[8:9], vcc
	s_cbranch_execz .LBB310_141
; %bb.140:
	ds_write_b32 v7, v2 offset:232
.LBB310_141:
	s_or_b64 exec, exec, s[8:9]
	s_waitcnt lgkmcnt(0)
	s_barrier
	s_and_saveexec_b64 s[8:9], s[0:1]
	s_cbranch_execz .LBB310_143
; %bb.142:
	ds_read_b32 v2, v8 offset:232
.LBB310_143:
	s_or_b64 exec, exec, s[8:9]
	s_waitcnt lgkmcnt(0)
	ds_bpermute_b32 v3, v20, v2
	s_waitcnt lgkmcnt(0)
	v_add_f32_e32 v2, v2, v3
	ds_bpermute_b32 v2, v11, v2
	s_and_saveexec_b64 s[0:1], s[2:3]
	s_cbranch_execz .LBB310_156
; %bb.144:
	s_waitcnt lgkmcnt(0)
	v_add_f32_e32 v2, 0x358637bd, v2
	v_div_scale_f32 v3, s[2:3], v2, v2, 1.0
	v_rcp_f32_e32 v5, v3
	v_div_scale_f32 v6, vcc, 1.0, v2, 1.0
	s_movk_i32 s2, 0x7f
	v_fma_f32 v7, -v3, v5, 1.0
	v_fmac_f32_e32 v5, v7, v5
	v_mul_f32_e32 v7, v6, v5
	v_fma_f32 v8, -v3, v7, v6
	v_fmac_f32_e32 v7, v8, v5
	v_fma_f32 v3, -v3, v7, v6
	v_div_fmas_f32 v3, v3, v5, v7
	v_xad_u32 v5, v0, -1, s37
	v_div_fixup_f32 v2, v3, v2, 1.0
	v_cmp_lt_u32_e32 vcc, s2, v5
	s_mov_b64 s[8:9], -1
	v_mov_b32_e32 v3, v0
	s_and_saveexec_b64 s[2:3], vcc
	s_cbranch_execz .LBB310_153
; %bb.145:
	v_lshrrev_b32_e32 v5, 7, v5
	v_add_u32_e32 v7, -1, v5
	v_lshrrev_b32_e32 v6, 1, v7
	v_mov_b32_e32 v3, v2
	v_add_u32_e32 v6, 1, v6
	v_cmp_lt_u32_e32 vcc, 13, v7
	v_mov_b32_e32 v9, 0
	s_and_saveexec_b64 s[8:9], vcc
	s_cbranch_execz .LBB310_149
; %bb.146:
	v_mov_b32_e32 v8, 0xf0
	v_and_b32_e32 v7, -8, v6
	v_lshl_add_u32 v8, v0, 2, v8
	s_mov_b32 s18, 0
	s_mov_b64 s[12:13], 0
.LBB310_147:                            ; =>This Inner Loop Header: Depth=1
	ds_read2st64_b32 v[10:11], v8 offset1:2
	ds_read2st64_b32 v[12:13], v8 offset0:4 offset1:6
	ds_read2st64_b32 v[14:15], v8 offset0:8 offset1:10
	;; [unrolled: 1-line block ×3, first 2 shown]
	v_add_u32_e32 v7, -8, v7
	s_waitcnt lgkmcnt(3)
	v_pk_mul_f32 v[10:11], v[2:3], v[10:11]
	s_waitcnt lgkmcnt(2)
	v_pk_mul_f32 v[12:13], v[2:3], v[12:13]
	ds_write2st64_b32 v8, v10, v11 offset1:2
	ds_write2st64_b32 v8, v12, v13 offset0:4 offset1:6
	ds_read2st64_b32 v[12:13], v8 offset0:16 offset1:18
	s_waitcnt lgkmcnt(4)
	v_pk_mul_f32 v[10:11], v[2:3], v[14:15]
	ds_write2st64_b32 v8, v10, v11 offset0:8 offset1:10
	s_waitcnt lgkmcnt(4)
	v_pk_mul_f32 v[10:11], v[2:3], v[16:17]
	ds_write2st64_b32 v8, v10, v11 offset0:12 offset1:14
	ds_read2st64_b32 v[10:11], v8 offset0:20 offset1:22
	s_waitcnt lgkmcnt(3)
	v_pk_mul_f32 v[12:13], v[2:3], v[12:13]
	ds_read2st64_b32 v[14:15], v8 offset0:24 offset1:26
	ds_write2st64_b32 v8, v12, v13 offset0:16 offset1:18
	ds_read2st64_b32 v[12:13], v8 offset0:28 offset1:30
	s_waitcnt lgkmcnt(3)
	v_pk_mul_f32 v[10:11], v[2:3], v[10:11]
	ds_write2st64_b32 v8, v10, v11 offset0:20 offset1:22
	s_waitcnt lgkmcnt(3)
	v_pk_mul_f32 v[10:11], v[2:3], v[14:15]
	ds_write2st64_b32 v8, v10, v11 offset0:24 offset1:26
	s_waitcnt lgkmcnt(2)
	v_pk_mul_f32 v[10:11], v[2:3], v[12:13]
	s_add_i32 s18, s18, 16
	v_cmp_eq_u32_e32 vcc, 0, v7
	ds_write2st64_b32 v8, v10, v11 offset0:28 offset1:30
	v_add_u32_e32 v8, 0x2000, v8
	s_or_b64 s[12:13], vcc, s[12:13]
	v_mov_b32_e32 v9, s18
	s_andn2_b64 exec, exec, s[12:13]
	s_cbranch_execnz .LBB310_147
; %bb.148:
	s_or_b64 exec, exec, s[12:13]
.LBB310_149:
	s_or_b64 exec, exec, s[8:9]
	v_and_b32_e32 v6, 7, v6
	v_cmp_ne_u32_e32 vcc, 0, v6
	s_and_saveexec_b64 s[8:9], vcc
	s_cbranch_execz .LBB310_152
; %bb.150:
	v_lshlrev_b32_e32 v7, 9, v9
	v_lshlrev_b32_e32 v8, 2, v0
	s_movk_i32 s12, 0xf0
	v_add3_u32 v7, v7, v8, s12
	s_mov_b64 s[12:13], 0
.LBB310_151:                            ; =>This Inner Loop Header: Depth=1
	ds_read2st64_b32 v[8:9], v7 offset1:2
	v_add_u32_e32 v6, -1, v6
	v_cmp_eq_u32_e32 vcc, 0, v6
	s_or_b64 s[12:13], vcc, s[12:13]
	s_waitcnt lgkmcnt(0)
	v_pk_mul_f32 v[8:9], v[2:3], v[8:9]
	ds_write2st64_b32 v7, v8, v9 offset1:2
	v_add_u32_e32 v7, 0x400, v7
	s_andn2_b64 exec, exec, s[12:13]
	s_cbranch_execnz .LBB310_151
.LBB310_152:
	s_or_b64 exec, exec, s[8:9]
	v_add_u32_e32 v5, 1, v5
	v_and_b32_e32 v6, 0x3fffffe, v5
	v_cmp_ne_u32_e32 vcc, v5, v6
	v_lshl_add_u32 v3, v6, 7, v0
	s_orn2_b64 s[8:9], vcc, exec
.LBB310_153:
	s_or_b64 exec, exec, s[2:3]
	s_and_b64 exec, exec, s[8:9]
	s_cbranch_execz .LBB310_156
; %bb.154:
	v_mov_b32_e32 v5, 0xf0
	v_lshl_add_u32 v5, v3, 2, v5
	s_mov_b64 s[2:3], 0
.LBB310_155:                            ; =>This Inner Loop Header: Depth=1
	ds_read_b32 v6, v5
	v_add_u32_e32 v3, 0x80, v3
	v_cmp_le_i32_e32 vcc, s37, v3
	s_or_b64 s[2:3], vcc, s[2:3]
	s_waitcnt lgkmcnt(0)
	v_mul_f32_e32 v6, v2, v6
	ds_write_b32 v5, v6
	v_add_u32_e32 v5, 0x200, v5
	s_andn2_b64 exec, exec, s[2:3]
	s_cbranch_execnz .LBB310_155
.LBB310_156:
	s_or_b64 exec, exec, s[0:1]
	v_mov_b32_e32 v11, 0
	v_lshrrev_b32_e32 v22, 1, v4
	v_and_b32_e32 v21, 1, v0
	v_mov_b32_e32 v10, 0
	v_mov_b32_e32 v15, 0
	v_mov_b32_e32 v14, 0
	s_waitcnt lgkmcnt(0)
	s_barrier
	s_and_saveexec_b64 s[8:9], s[6:7]
	s_cbranch_execz .LBB310_460
; %bb.157:
	s_sub_i32 s37, s16, s21
	s_ashr_i32 s0, s20, 31
	s_add_u32 s6, s34, s20
	v_lshlrev_b32_e32 v2, 3, v0
	s_addc_u32 s7, s35, s0
	s_abs_i32 s22, s22
	v_and_b32_e32 v23, 8, v2
	v_cvt_f32_u32_e32 v2, s22
	v_or_b32_e32 v3, 0x60, v22
	s_movk_i32 s0, 0x70
	v_cmp_gt_u32_e32 vcc, s0, v3
	v_rcp_iflag_f32_e32 v2, v2
	s_sub_i32 s0, 0, s22
	s_add_i32 s34, s43, -1
	v_lshl_or_b32 v16, v3, 4, v23
	v_mul_f32_e32 v2, 0x4f7ffffe, v2
	v_cvt_u32_f32_e32 v2, v2
	v_mov_b32_e32 v13, 0
	s_mov_b32 s38, s17
	v_lshl_or_b32 v12, v22, 4, v23
	v_mul_lo_u32 v3, s0, v2
	s_lshl_b64 s[0:1], s[30:31], 2
	v_mul_hi_u32 v3, v2, v3
	s_add_u32 s0, s28, s0
	v_add_u32_e32 v25, v2, v3
	v_and_b32_e32 v2, 60, v26
	v_mov_b32_e32 v3, v13
	s_addc_u32 s1, s29, s1
	v_lshl_add_u64 v[18:19], s[0:1], 0, v[2:3]
	v_lshlrev_b32_e32 v2, 5, v21
	v_lshl_or_b32 v2, v1, 6, v2
	v_mov_b32_e32 v17, v13
	v_add_u32_e32 v26, 0xf0, v2
	s_mov_b64 s[12:13], 0
	s_mov_b32 s28, 0x7f800000
	s_movk_i32 s29, 0x7fff
	v_mov_b32_e32 v14, v13
	v_mov_b32_e32 v15, v13
	;; [unrolled: 1-line block ×4, first 2 shown]
	s_branch .LBB310_161
.LBB310_158:                            ;   in Loop: Header=BB310_161 Depth=1
	s_or_b64 exec, exec, s[2:3]
	v_and_b32_e32 v41, 0xffff0000, v39
	v_and_b32_e32 v40, 0xffff0000, v37
	;; [unrolled: 1-line block ×8, first 2 shown]
	v_pk_add_f32 v[2:3], v[34:35], v[38:39]
	v_pk_add_f32 v[34:35], v[36:37], v[40:41]
	v_add_f32_e32 v2, v2, v3
	v_add_f32_e32 v2, v2, v34
	;; [unrolled: 1-line block ×4, first 2 shown]
.LBB310_159:                            ;   in Loop: Header=BB310_161 Depth=1
	s_or_b64 exec, exec, s[18:19]
	v_and_b32_e32 v2, 0xffff0000, v30
	v_and_b32_e32 v30, 0xffff0000, v29
	;; [unrolled: 1-line block ×8, first 2 shown]
	v_pk_add_f32 v[8:9], v[8:9], v[28:29]
	v_pk_add_f32 v[2:3], v[30:31], v[2:3]
	v_add_f32_e32 v8, v8, v9
	v_add_f32_e32 v2, v8, v2
	;; [unrolled: 1-line block ×3, first 2 shown]
	v_and_b32_e32 v29, 0xffff0000, v43
	v_and_b32_e32 v28, 0xffff0000, v7
	;; [unrolled: 1-line block ×4, first 2 shown]
	v_add_f32_e32 v14, v14, v2
	v_and_b32_e32 v3, 0xffff0000, v47
	v_and_b32_e32 v2, 0xffff0000, v45
	;; [unrolled: 1-line block ×4, first 2 shown]
	v_pk_add_f32 v[6:7], v[6:7], v[28:29]
	v_pk_add_f32 v[2:3], v[8:9], v[2:3]
	v_add_f32_e32 v6, v6, v7
	v_add_f32_e32 v2, v6, v2
	;; [unrolled: 1-line block ×3, first 2 shown]
	v_and_b32_e32 v9, 0xffff0000, v49
	v_and_b32_e32 v8, 0xffff0000, v5
	;; [unrolled: 1-line block ×4, first 2 shown]
	v_add_f32_e32 v15, v15, v2
	v_and_b32_e32 v3, 0xffff0000, v53
	v_and_b32_e32 v2, 0xffff0000, v51
	;; [unrolled: 1-line block ×4, first 2 shown]
	v_pk_add_f32 v[4:5], v[4:5], v[8:9]
	v_pk_add_f32 v[2:3], v[6:7], v[2:3]
	v_add_f32_e32 v4, v4, v5
	v_add_f32_e32 v2, v4, v2
	;; [unrolled: 1-line block ×4, first 2 shown]
.LBB310_160:                            ;   in Loop: Header=BB310_161 Depth=1
	s_or_b64 exec, exec, s[16:17]
	v_add_u32_e32 v1, 2, v1
	v_cmp_le_i32_e64 s[0:1], s43, v1
	v_lshl_add_u64 v[18:19], v[18:19], 0, 8
	v_add_u32_e32 v24, 32, v24
	s_or_b64 s[12:13], s[0:1], s[12:13]
	v_add_u32_e32 v26, 0x80, v26
	s_andn2_b64 exec, exec, s[12:13]
	s_cbranch_execz .LBB310_459
.LBB310_161:                            ; =>This Inner Loop Header: Depth=1
	v_mul_hi_u32 v2, v24, s42
	v_mul_lo_u32 v3, v2, s25
	v_sub_u32_e32 v3, v24, v3
	v_add_u32_e32 v4, 1, v2
	v_cmp_le_u32_e64 s[0:1], s25, v3
	s_nop 1
	v_cndmask_b32_e64 v2, v2, v4, s[0:1]
	v_subrev_u32_e32 v4, s25, v3
	v_cndmask_b32_e64 v3, v3, v4, s[0:1]
	v_add_u32_e32 v4, 1, v2
	v_cmp_le_u32_e64 s[0:1], s25, v3
	s_nop 1
	v_cndmask_b32_e64 v2, v2, v4, s[0:1]
	v_xor_b32_e32 v2, s23, v2
	v_subrev_u32_e32 v2, s23, v2
	v_add_u32_e32 v3, s36, v2
	v_sub_u32_e32 v5, 0, v3
	v_ashrrev_i32_e32 v4, 31, v3
	v_max_i32_e32 v3, v3, v5
	v_mul_hi_u32 v5, v3, v25
	v_mul_lo_u32 v5, v5, s22
	v_sub_u32_e32 v3, v3, v5
	v_subrev_u32_e32 v5, s22, v3
	v_cmp_le_u32_e64 s[0:1], s22, v3
	v_cmp_lt_i32_e64 s[2:3], s37, v2
	s_nop 0
	v_cndmask_b32_e64 v3, v3, v5, s[0:1]
	v_subrev_u32_e32 v5, s22, v3
	v_cmp_le_u32_e64 s[0:1], s22, v3
	s_nop 1
	v_cndmask_b32_e64 v3, v3, v5, s[0:1]
	v_xor_b32_e32 v3, v3, v4
	v_sub_u32_e32 v3, v3, v4
	v_cmp_eq_u32_e64 s[0:1], 0, v3
	s_or_b64 s[0:1], s[0:1], s[2:3]
	s_and_saveexec_b64 s[16:17], s[0:1]
	s_cbranch_execz .LBB310_160
; %bb.162:                              ;   in Loop: Header=BB310_161 Depth=1
	global_load_dword v33, v[18:19], off
	ds_read2_b64 v[6:9], v26 offset1:1
	ds_read2_b64 v[2:5], v26 offset0:2 offset1:3
                                        ; implicit-def: $vgpr34
	s_waitcnt lgkmcnt(1)
	v_and_b32_e32 v27, 0x7f800000, v6
	v_cmp_ne_u32_e64 s[0:1], s28, v27
	s_and_saveexec_b64 s[2:3], s[0:1]
	s_xor_b64 s[0:1], exec, s[2:3]
; %bb.163:                              ;   in Loop: Header=BB310_161 Depth=1
	v_bfe_u32 v27, v6, 16, 1
	v_add3_u32 v34, v6, v27, s29
; %bb.164:                              ;   in Loop: Header=BB310_161 Depth=1
	s_andn2_saveexec_b64 s[2:3], s[0:1]
; %bb.165:                              ;   in Loop: Header=BB310_161 Depth=1
	v_or_b32_e32 v27, 0x10000, v6
	v_cmp_eq_u32_sdwa s[0:1], v6, v13 src0_sel:WORD_0 src1_sel:DWORD
	s_nop 1
	v_cndmask_b32_e64 v34, v27, v6, s[0:1]
; %bb.166:                              ;   in Loop: Header=BB310_161 Depth=1
	s_or_b64 exec, exec, s[2:3]
	v_and_b32_e32 v6, 0x7f800000, v7
	v_cmp_ne_u32_e64 s[0:1], s28, v6
                                        ; implicit-def: $vgpr35
	s_and_saveexec_b64 s[2:3], s[0:1]
	s_xor_b64 s[0:1], exec, s[2:3]
; %bb.167:                              ;   in Loop: Header=BB310_161 Depth=1
	v_bfe_u32 v6, v7, 16, 1
	v_add3_u32 v35, v7, v6, s29
; %bb.168:                              ;   in Loop: Header=BB310_161 Depth=1
	s_andn2_saveexec_b64 s[2:3], s[0:1]
; %bb.169:                              ;   in Loop: Header=BB310_161 Depth=1
	v_or_b32_e32 v6, 0x10000, v7
	v_cmp_eq_u32_sdwa s[0:1], v7, v13 src0_sel:WORD_0 src1_sel:DWORD
	s_nop 1
	v_cndmask_b32_e64 v35, v6, v7, s[0:1]
; %bb.170:                              ;   in Loop: Header=BB310_161 Depth=1
	s_or_b64 exec, exec, s[2:3]
	v_and_b32_e32 v6, 0x7f800000, v8
	v_cmp_ne_u32_e64 s[0:1], s28, v6
                                        ; implicit-def: $vgpr27
	s_and_saveexec_b64 s[2:3], s[0:1]
	s_xor_b64 s[0:1], exec, s[2:3]
; %bb.171:                              ;   in Loop: Header=BB310_161 Depth=1
	v_bfe_u32 v6, v8, 16, 1
	v_add3_u32 v27, v8, v6, s29
; %bb.172:                              ;   in Loop: Header=BB310_161 Depth=1
	s_andn2_saveexec_b64 s[2:3], s[0:1]
; %bb.173:                              ;   in Loop: Header=BB310_161 Depth=1
	v_or_b32_e32 v6, 0x10000, v8
	v_cmp_eq_u32_sdwa s[0:1], v8, v13 src0_sel:WORD_0 src1_sel:DWORD
	s_nop 1
	v_cndmask_b32_e64 v27, v6, v8, s[0:1]
; %bb.174:                              ;   in Loop: Header=BB310_161 Depth=1
	s_or_b64 exec, exec, s[2:3]
	v_and_b32_e32 v6, 0x7f800000, v9
	v_cmp_ne_u32_e64 s[0:1], s28, v6
                                        ; implicit-def: $vgpr28
	s_and_saveexec_b64 s[2:3], s[0:1]
	s_xor_b64 s[0:1], exec, s[2:3]
; %bb.175:                              ;   in Loop: Header=BB310_161 Depth=1
	v_bfe_u32 v6, v9, 16, 1
	v_add3_u32 v28, v9, v6, s29
                                        ; implicit-def: $vgpr6_vgpr7_vgpr8_vgpr9
; %bb.176:                              ;   in Loop: Header=BB310_161 Depth=1
	s_andn2_saveexec_b64 s[2:3], s[0:1]
; %bb.177:                              ;   in Loop: Header=BB310_161 Depth=1
	v_or_b32_e32 v6, 0x10000, v9
	v_cmp_eq_u32_sdwa s[0:1], v9, v13 src0_sel:WORD_0 src1_sel:DWORD
	s_nop 1
	v_cndmask_b32_e64 v28, v6, v9, s[0:1]
; %bb.178:                              ;   in Loop: Header=BB310_161 Depth=1
	s_or_b64 exec, exec, s[2:3]
	s_waitcnt lgkmcnt(0)
	v_and_b32_e32 v6, 0x7f800000, v2
	v_cmp_ne_u32_e64 s[0:1], s28, v6
                                        ; implicit-def: $vgpr29
	s_and_saveexec_b64 s[2:3], s[0:1]
	s_xor_b64 s[0:1], exec, s[2:3]
; %bb.179:                              ;   in Loop: Header=BB310_161 Depth=1
	v_bfe_u32 v6, v2, 16, 1
	v_add3_u32 v29, v2, v6, s29
; %bb.180:                              ;   in Loop: Header=BB310_161 Depth=1
	s_andn2_saveexec_b64 s[2:3], s[0:1]
; %bb.181:                              ;   in Loop: Header=BB310_161 Depth=1
	v_or_b32_e32 v6, 0x10000, v2
	v_cmp_eq_u32_sdwa s[0:1], v2, v13 src0_sel:WORD_0 src1_sel:DWORD
	s_nop 1
	v_cndmask_b32_e64 v29, v6, v2, s[0:1]
; %bb.182:                              ;   in Loop: Header=BB310_161 Depth=1
	s_or_b64 exec, exec, s[2:3]
	v_and_b32_e32 v2, 0x7f800000, v3
	v_cmp_ne_u32_e64 s[0:1], s28, v2
                                        ; implicit-def: $vgpr30
	s_and_saveexec_b64 s[2:3], s[0:1]
	s_xor_b64 s[0:1], exec, s[2:3]
; %bb.183:                              ;   in Loop: Header=BB310_161 Depth=1
	v_bfe_u32 v2, v3, 16, 1
	v_add3_u32 v30, v3, v2, s29
; %bb.184:                              ;   in Loop: Header=BB310_161 Depth=1
	s_andn2_saveexec_b64 s[2:3], s[0:1]
; %bb.185:                              ;   in Loop: Header=BB310_161 Depth=1
	v_or_b32_e32 v2, 0x10000, v3
	v_cmp_eq_u32_sdwa s[0:1], v3, v13 src0_sel:WORD_0 src1_sel:DWORD
	s_nop 1
	v_cndmask_b32_e64 v30, v2, v3, s[0:1]
; %bb.186:                              ;   in Loop: Header=BB310_161 Depth=1
	s_or_b64 exec, exec, s[2:3]
	v_and_b32_e32 v2, 0x7f800000, v4
	v_cmp_ne_u32_e64 s[0:1], s28, v2
                                        ; implicit-def: $vgpr31
	s_and_saveexec_b64 s[2:3], s[0:1]
	s_xor_b64 s[0:1], exec, s[2:3]
; %bb.187:                              ;   in Loop: Header=BB310_161 Depth=1
	v_bfe_u32 v2, v4, 16, 1
	v_add3_u32 v31, v4, v2, s29
; %bb.188:                              ;   in Loop: Header=BB310_161 Depth=1
	s_andn2_saveexec_b64 s[2:3], s[0:1]
; %bb.189:                              ;   in Loop: Header=BB310_161 Depth=1
	v_or_b32_e32 v2, 0x10000, v4
	v_cmp_eq_u32_sdwa s[0:1], v4, v13 src0_sel:WORD_0 src1_sel:DWORD
	s_nop 1
	v_cndmask_b32_e64 v31, v2, v4, s[0:1]
; %bb.190:                              ;   in Loop: Header=BB310_161 Depth=1
	s_or_b64 exec, exec, s[2:3]
	v_and_b32_e32 v2, 0x7f800000, v5
	v_cmp_ne_u32_e64 s[0:1], s28, v2
                                        ; implicit-def: $vgpr32
	s_and_saveexec_b64 s[2:3], s[0:1]
	s_xor_b64 s[0:1], exec, s[2:3]
; %bb.191:                              ;   in Loop: Header=BB310_161 Depth=1
	v_bfe_u32 v2, v5, 16, 1
	v_add3_u32 v32, v5, v2, s29
                                        ; implicit-def: $vgpr2_vgpr3_vgpr4_vgpr5
; %bb.192:                              ;   in Loop: Header=BB310_161 Depth=1
	s_andn2_saveexec_b64 s[2:3], s[0:1]
; %bb.193:                              ;   in Loop: Header=BB310_161 Depth=1
	v_or_b32_e32 v2, 0x10000, v5
	v_cmp_eq_u32_sdwa s[0:1], v5, v13 src0_sel:WORD_0 src1_sel:DWORD
	s_nop 1
	v_cndmask_b32_e64 v32, v2, v5, s[0:1]
; %bb.194:                              ;   in Loop: Header=BB310_161 Depth=1
	s_or_b64 exec, exec, s[2:3]
	v_mov_b64_e32 v[2:3], s[6:7]
	s_waitcnt vmcnt(0)
	v_mad_i64_i32 v[2:3], s[0:1], v33, s38, v[2:3]
	v_lshl_add_u64 v[4:5], v[2:3], 0, v[12:13]
	global_load_dwordx2 v[6:7], v[4:5], off
	s_load_dword s30, s[14:15], 0x0
	s_waitcnt vmcnt(0)
	v_and_b32_e32 v8, 0xff, v6
	v_cvt_f32_fp8_sdwa v8, v8 src0_sel:BYTE_0
	s_waitcnt lgkmcnt(0)
	v_mul_f32_e32 v9, s30, v8
	v_and_b32_e32 v8, 0x7f800000, v9
	v_cmp_ne_u32_e64 s[0:1], s28, v8
                                        ; implicit-def: $vgpr8
	s_and_saveexec_b64 s[2:3], s[0:1]
	s_xor_b64 s[0:1], exec, s[2:3]
; %bb.195:                              ;   in Loop: Header=BB310_161 Depth=1
	v_bfe_u32 v8, v9, 16, 1
	v_add3_u32 v8, v9, v8, s29
                                        ; implicit-def: $vgpr9
; %bb.196:                              ;   in Loop: Header=BB310_161 Depth=1
	s_andn2_saveexec_b64 s[2:3], s[0:1]
; %bb.197:                              ;   in Loop: Header=BB310_161 Depth=1
	v_or_b32_e32 v8, 0x10000, v9
	v_cmp_eq_u32_sdwa s[0:1], v9, v13 src0_sel:WORD_0 src1_sel:DWORD
	s_nop 1
	v_cndmask_b32_e64 v8, v8, v9, s[0:1]
; %bb.198:                              ;   in Loop: Header=BB310_161 Depth=1
	s_or_b64 exec, exec, s[2:3]
	v_bfe_u32 v9, v6, 8, 8
	v_cvt_f32_fp8_sdwa v9, v9 src0_sel:BYTE_0
	s_nop 0
	v_mul_f32_e32 v33, s30, v9
	v_and_b32_e32 v9, 0x7f800000, v33
	v_cmp_ne_u32_e64 s[0:1], s28, v9
                                        ; implicit-def: $vgpr9
	s_and_saveexec_b64 s[2:3], s[0:1]
	s_xor_b64 s[0:1], exec, s[2:3]
; %bb.199:                              ;   in Loop: Header=BB310_161 Depth=1
	v_bfe_u32 v9, v33, 16, 1
	v_add3_u32 v9, v33, v9, s29
                                        ; implicit-def: $vgpr33
; %bb.200:                              ;   in Loop: Header=BB310_161 Depth=1
	s_andn2_saveexec_b64 s[2:3], s[0:1]
; %bb.201:                              ;   in Loop: Header=BB310_161 Depth=1
	v_or_b32_e32 v9, 0x10000, v33
	v_cmp_eq_u32_sdwa s[0:1], v33, v13 src0_sel:WORD_0 src1_sel:DWORD
	s_nop 1
	v_cndmask_b32_e64 v9, v9, v33, s[0:1]
; %bb.202:                              ;   in Loop: Header=BB310_161 Depth=1
	s_or_b64 exec, exec, s[2:3]
	v_bfe_u32 v33, v6, 16, 8
	v_cvt_f32_fp8_sdwa v33, v33 src0_sel:BYTE_0
	s_nop 0
	v_mul_f32_e32 v33, s30, v33
	v_and_b32_e32 v36, 0x7f800000, v33
	v_cmp_ne_u32_e64 s[0:1], s28, v36
                                        ; implicit-def: $vgpr36
	s_and_saveexec_b64 s[2:3], s[0:1]
	s_xor_b64 s[0:1], exec, s[2:3]
; %bb.203:                              ;   in Loop: Header=BB310_161 Depth=1
	v_bfe_u32 v36, v33, 16, 1
	v_add3_u32 v36, v33, v36, s29
                                        ; implicit-def: $vgpr33
; %bb.204:                              ;   in Loop: Header=BB310_161 Depth=1
	s_andn2_saveexec_b64 s[2:3], s[0:1]
; %bb.205:                              ;   in Loop: Header=BB310_161 Depth=1
	v_or_b32_e32 v36, 0x10000, v33
	v_cmp_eq_u32_sdwa s[0:1], v33, v13 src0_sel:WORD_0 src1_sel:DWORD
	s_nop 1
	v_cndmask_b32_e64 v36, v36, v33, s[0:1]
; %bb.206:                              ;   in Loop: Header=BB310_161 Depth=1
	s_or_b64 exec, exec, s[2:3]
	v_lshrrev_b32_e32 v6, 24, v6
	v_cvt_f32_fp8_sdwa v6, v6 src0_sel:BYTE_0
	s_nop 0
	v_mul_f32_e32 v33, s30, v6
	v_and_b32_e32 v6, 0x7f800000, v33
	v_cmp_ne_u32_e64 s[0:1], s28, v6
                                        ; implicit-def: $vgpr6
	s_and_saveexec_b64 s[2:3], s[0:1]
	s_xor_b64 s[0:1], exec, s[2:3]
; %bb.207:                              ;   in Loop: Header=BB310_161 Depth=1
	v_bfe_u32 v6, v33, 16, 1
	v_add3_u32 v6, v33, v6, s29
                                        ; implicit-def: $vgpr33
; %bb.208:                              ;   in Loop: Header=BB310_161 Depth=1
	s_andn2_saveexec_b64 s[2:3], s[0:1]
; %bb.209:                              ;   in Loop: Header=BB310_161 Depth=1
	v_or_b32_e32 v6, 0x10000, v33
	v_cmp_eq_u32_sdwa s[0:1], v33, v13 src0_sel:WORD_0 src1_sel:DWORD
	s_nop 1
	v_cndmask_b32_e64 v6, v6, v33, s[0:1]
; %bb.210:                              ;   in Loop: Header=BB310_161 Depth=1
	s_or_b64 exec, exec, s[2:3]
	v_and_b32_e32 v33, 0xff, v7
	v_cvt_f32_fp8_sdwa v33, v33 src0_sel:BYTE_0
	s_nop 0
	v_mul_f32_e32 v33, s30, v33
	v_and_b32_e32 v37, 0x7f800000, v33
	v_cmp_ne_u32_e64 s[0:1], s28, v37
                                        ; implicit-def: $vgpr37
	s_and_saveexec_b64 s[2:3], s[0:1]
	s_xor_b64 s[0:1], exec, s[2:3]
; %bb.211:                              ;   in Loop: Header=BB310_161 Depth=1
	v_bfe_u32 v37, v33, 16, 1
	v_add3_u32 v37, v33, v37, s29
                                        ; implicit-def: $vgpr33
; %bb.212:                              ;   in Loop: Header=BB310_161 Depth=1
	s_andn2_saveexec_b64 s[2:3], s[0:1]
; %bb.213:                              ;   in Loop: Header=BB310_161 Depth=1
	v_or_b32_e32 v37, 0x10000, v33
	v_cmp_eq_u32_sdwa s[0:1], v33, v13 src0_sel:WORD_0 src1_sel:DWORD
	s_nop 1
	v_cndmask_b32_e64 v37, v37, v33, s[0:1]
; %bb.214:                              ;   in Loop: Header=BB310_161 Depth=1
	s_or_b64 exec, exec, s[2:3]
	v_bfe_u32 v33, v7, 8, 8
	v_cvt_f32_fp8_sdwa v33, v33 src0_sel:BYTE_0
	s_nop 0
	v_mul_f32_e32 v33, s30, v33
	v_and_b32_e32 v38, 0x7f800000, v33
	v_cmp_ne_u32_e64 s[0:1], s28, v38
                                        ; implicit-def: $vgpr38
	s_and_saveexec_b64 s[2:3], s[0:1]
	s_xor_b64 s[0:1], exec, s[2:3]
; %bb.215:                              ;   in Loop: Header=BB310_161 Depth=1
	v_bfe_u32 v38, v33, 16, 1
	v_add3_u32 v38, v33, v38, s29
                                        ; implicit-def: $vgpr33
; %bb.216:                              ;   in Loop: Header=BB310_161 Depth=1
	s_andn2_saveexec_b64 s[2:3], s[0:1]
; %bb.217:                              ;   in Loop: Header=BB310_161 Depth=1
	v_or_b32_e32 v38, 0x10000, v33
	v_cmp_eq_u32_sdwa s[0:1], v33, v13 src0_sel:WORD_0 src1_sel:DWORD
	s_nop 1
	v_cndmask_b32_e64 v38, v38, v33, s[0:1]
; %bb.218:                              ;   in Loop: Header=BB310_161 Depth=1
	s_or_b64 exec, exec, s[2:3]
	v_bfe_u32 v33, v7, 16, 8
	v_cvt_f32_fp8_sdwa v33, v33 src0_sel:BYTE_0
                                        ; implicit-def: $vgpr41
	s_nop 0
	v_mul_f32_e32 v33, s30, v33
	v_and_b32_e32 v39, 0x7f800000, v33
	v_cmp_ne_u32_e64 s[0:1], s28, v39
	s_and_saveexec_b64 s[2:3], s[0:1]
	s_xor_b64 s[0:1], exec, s[2:3]
; %bb.219:                              ;   in Loop: Header=BB310_161 Depth=1
	v_bfe_u32 v39, v33, 16, 1
	v_add3_u32 v41, v33, v39, s29
                                        ; implicit-def: $vgpr33
; %bb.220:                              ;   in Loop: Header=BB310_161 Depth=1
	s_andn2_saveexec_b64 s[2:3], s[0:1]
; %bb.221:                              ;   in Loop: Header=BB310_161 Depth=1
	v_or_b32_e32 v39, 0x10000, v33
	v_cmp_eq_u32_sdwa s[0:1], v33, v13 src0_sel:WORD_0 src1_sel:DWORD
	s_nop 1
	v_cndmask_b32_e64 v41, v39, v33, s[0:1]
; %bb.222:                              ;   in Loop: Header=BB310_161 Depth=1
	s_or_b64 exec, exec, s[2:3]
	v_lshrrev_b32_e32 v7, 24, v7
	v_cvt_f32_fp8_sdwa v7, v7 src0_sel:BYTE_0
                                        ; implicit-def: $vgpr42
	s_nop 0
	v_mul_f32_e32 v7, s30, v7
	v_and_b32_e32 v33, 0x7f800000, v7
	v_cmp_ne_u32_e64 s[0:1], s28, v33
	s_and_saveexec_b64 s[2:3], s[0:1]
	s_xor_b64 s[0:1], exec, s[2:3]
; %bb.223:                              ;   in Loop: Header=BB310_161 Depth=1
	v_bfe_u32 v33, v7, 16, 1
	v_add3_u32 v42, v7, v33, s29
                                        ; implicit-def: $vgpr7
; %bb.224:                              ;   in Loop: Header=BB310_161 Depth=1
	s_andn2_saveexec_b64 s[2:3], s[0:1]
; %bb.225:                              ;   in Loop: Header=BB310_161 Depth=1
	v_or_b32_e32 v33, 0x10000, v7
	v_cmp_eq_u32_sdwa s[0:1], v7, v13 src0_sel:WORD_0 src1_sel:DWORD
	s_nop 1
	v_cndmask_b32_e64 v42, v33, v7, s[0:1]
; %bb.226:                              ;   in Loop: Header=BB310_161 Depth=1
	s_or_b64 exec, exec, s[2:3]
	v_cmp_eq_u32_e64 s[0:1], s34, v1
	v_add_u32_e32 v33, v23, v24
	v_lshrrev_b32_e32 v40, 16, v38
	v_lshrrev_b32_e32 v39, 16, v37
	v_lshrrev_b32_e32 v38, 16, v6
	v_lshrrev_b32_e32 v37, 16, v36
	v_lshrrev_b32_e32 v9, 16, v9
	v_lshrrev_b32_e32 v8, 16, v8
	v_lshrrev_b32_e32 v7, 16, v41
	v_lshrrev_b32_e32 v6, 16, v42
	s_and_saveexec_b64 s[18:19], s[0:1]
	s_cbranch_execz .LBB310_228
; %bb.227:                              ;   in Loop: Header=BB310_161 Depth=1
	v_cmp_gt_i32_e64 s[2:3], s33, v33
	v_add_u32_e32 v36, 1, v33
	s_nop 0
	v_cndmask_b32_e64 v8, 0, v8, s[2:3]
	v_cmp_gt_i32_e64 s[2:3], s33, v36
	v_add_u32_e32 v36, 2, v33
	s_nop 0
	v_cndmask_b32_e64 v9, 0, v9, s[2:3]
	;; [unrolled: 4-line block ×7, first 2 shown]
	v_cmp_gt_i32_e64 s[2:3], s33, v36
	s_nop 1
	v_cndmask_b32_e64 v6, 0, v6, s[2:3]
.LBB310_228:                            ;   in Loop: Header=BB310_161 Depth=1
	s_or_b64 exec, exec, s[18:19]
	v_and_b32_e32 v34, 0xffff0000, v34
	v_lshlrev_b32_e32 v8, 16, v8
	v_mul_f32_e32 v36, v34, v8
	v_and_b32_e32 v8, 0x7f800000, v36
	v_cmp_ne_u32_e64 s[2:3], s28, v8
                                        ; implicit-def: $vgpr8
	s_and_saveexec_b64 s[18:19], s[2:3]
	s_xor_b64 s[2:3], exec, s[18:19]
; %bb.229:                              ;   in Loop: Header=BB310_161 Depth=1
	v_bfe_u32 v8, v36, 16, 1
	v_add3_u32 v8, v36, v8, s29
                                        ; implicit-def: $vgpr36
; %bb.230:                              ;   in Loop: Header=BB310_161 Depth=1
	s_andn2_saveexec_b64 s[18:19], s[2:3]
; %bb.231:                              ;   in Loop: Header=BB310_161 Depth=1
	v_or_b32_e32 v8, 0x10000, v36
	v_cmp_eq_u32_sdwa s[2:3], v36, v13 src0_sel:WORD_0 src1_sel:DWORD
	s_nop 1
	v_cndmask_b32_e64 v8, v8, v36, s[2:3]
; %bb.232:                              ;   in Loop: Header=BB310_161 Depth=1
	s_or_b64 exec, exec, s[18:19]
	v_and_b32_e32 v35, 0xffff0000, v35
	v_lshlrev_b32_e32 v9, 16, v9
	v_mul_f32_e32 v36, v35, v9
	v_and_b32_e32 v9, 0x7f800000, v36
	v_cmp_ne_u32_e64 s[2:3], s28, v9
                                        ; implicit-def: $vgpr9
	s_and_saveexec_b64 s[18:19], s[2:3]
	s_xor_b64 s[2:3], exec, s[18:19]
; %bb.233:                              ;   in Loop: Header=BB310_161 Depth=1
	v_bfe_u32 v9, v36, 16, 1
	v_add3_u32 v9, v36, v9, s29
                                        ; implicit-def: $vgpr36
; %bb.234:                              ;   in Loop: Header=BB310_161 Depth=1
	s_andn2_saveexec_b64 s[18:19], s[2:3]
; %bb.235:                              ;   in Loop: Header=BB310_161 Depth=1
	v_or_b32_e32 v9, 0x10000, v36
	v_cmp_eq_u32_sdwa s[2:3], v36, v13 src0_sel:WORD_0 src1_sel:DWORD
	s_nop 1
	v_cndmask_b32_e64 v9, v9, v36, s[2:3]
; %bb.236:                              ;   in Loop: Header=BB310_161 Depth=1
	s_or_b64 exec, exec, s[18:19]
	v_and_b32_e32 v36, 0xffff0000, v27
	v_lshlrev_b32_e32 v27, 16, v37
	v_mul_f32_e32 v37, v36, v27
	v_and_b32_e32 v27, 0x7f800000, v37
	v_cmp_ne_u32_e64 s[2:3], s28, v27
                                        ; implicit-def: $vgpr27
	s_and_saveexec_b64 s[18:19], s[2:3]
	s_xor_b64 s[2:3], exec, s[18:19]
; %bb.237:                              ;   in Loop: Header=BB310_161 Depth=1
	v_bfe_u32 v27, v37, 16, 1
	v_add3_u32 v27, v37, v27, s29
                                        ; implicit-def: $vgpr37
; %bb.238:                              ;   in Loop: Header=BB310_161 Depth=1
	s_andn2_saveexec_b64 s[18:19], s[2:3]
; %bb.239:                              ;   in Loop: Header=BB310_161 Depth=1
	v_or_b32_e32 v27, 0x10000, v37
	v_cmp_eq_u32_sdwa s[2:3], v37, v13 src0_sel:WORD_0 src1_sel:DWORD
	s_nop 1
	v_cndmask_b32_e64 v27, v27, v37, s[2:3]
; %bb.240:                              ;   in Loop: Header=BB310_161 Depth=1
	s_or_b64 exec, exec, s[18:19]
	v_and_b32_e32 v37, 0xffff0000, v28
	v_lshlrev_b32_e32 v28, 16, v38
	v_mul_f32_e32 v38, v37, v28
	v_and_b32_e32 v28, 0x7f800000, v38
	v_cmp_ne_u32_e64 s[2:3], s28, v28
                                        ; implicit-def: $vgpr28
	s_and_saveexec_b64 s[18:19], s[2:3]
	s_xor_b64 s[2:3], exec, s[18:19]
; %bb.241:                              ;   in Loop: Header=BB310_161 Depth=1
	v_bfe_u32 v28, v38, 16, 1
	v_add3_u32 v28, v38, v28, s29
                                        ; implicit-def: $vgpr38
; %bb.242:                              ;   in Loop: Header=BB310_161 Depth=1
	s_andn2_saveexec_b64 s[18:19], s[2:3]
; %bb.243:                              ;   in Loop: Header=BB310_161 Depth=1
	v_or_b32_e32 v28, 0x10000, v38
	v_cmp_eq_u32_sdwa s[2:3], v38, v13 src0_sel:WORD_0 src1_sel:DWORD
	s_nop 1
	v_cndmask_b32_e64 v28, v28, v38, s[2:3]
; %bb.244:                              ;   in Loop: Header=BB310_161 Depth=1
	s_or_b64 exec, exec, s[18:19]
	v_and_b32_e32 v38, 0xffff0000, v29
	v_lshlrev_b32_e32 v29, 16, v39
	v_mul_f32_e32 v39, v38, v29
	v_and_b32_e32 v29, 0x7f800000, v39
	v_cmp_ne_u32_e64 s[2:3], s28, v29
                                        ; implicit-def: $vgpr29
	s_and_saveexec_b64 s[18:19], s[2:3]
	s_xor_b64 s[2:3], exec, s[18:19]
; %bb.245:                              ;   in Loop: Header=BB310_161 Depth=1
	v_bfe_u32 v29, v39, 16, 1
	v_add3_u32 v29, v39, v29, s29
                                        ; implicit-def: $vgpr39
; %bb.246:                              ;   in Loop: Header=BB310_161 Depth=1
	s_andn2_saveexec_b64 s[18:19], s[2:3]
; %bb.247:                              ;   in Loop: Header=BB310_161 Depth=1
	v_or_b32_e32 v29, 0x10000, v39
	v_cmp_eq_u32_sdwa s[2:3], v39, v13 src0_sel:WORD_0 src1_sel:DWORD
	s_nop 1
	v_cndmask_b32_e64 v29, v29, v39, s[2:3]
; %bb.248:                              ;   in Loop: Header=BB310_161 Depth=1
	s_or_b64 exec, exec, s[18:19]
	v_and_b32_e32 v39, 0xffff0000, v30
	v_lshlrev_b32_e32 v30, 16, v40
	v_mul_f32_e32 v40, v39, v30
	v_and_b32_e32 v30, 0x7f800000, v40
	v_cmp_ne_u32_e64 s[2:3], s28, v30
                                        ; implicit-def: $vgpr30
	s_and_saveexec_b64 s[18:19], s[2:3]
	s_xor_b64 s[2:3], exec, s[18:19]
; %bb.249:                              ;   in Loop: Header=BB310_161 Depth=1
	v_bfe_u32 v30, v40, 16, 1
	v_add3_u32 v30, v40, v30, s29
                                        ; implicit-def: $vgpr40
; %bb.250:                              ;   in Loop: Header=BB310_161 Depth=1
	s_andn2_saveexec_b64 s[18:19], s[2:3]
; %bb.251:                              ;   in Loop: Header=BB310_161 Depth=1
	v_or_b32_e32 v30, 0x10000, v40
	v_cmp_eq_u32_sdwa s[2:3], v40, v13 src0_sel:WORD_0 src1_sel:DWORD
	s_nop 1
	v_cndmask_b32_e64 v30, v30, v40, s[2:3]
; %bb.252:                              ;   in Loop: Header=BB310_161 Depth=1
	s_or_b64 exec, exec, s[18:19]
	v_and_b32_e32 v40, 0xffff0000, v31
	v_lshlrev_b32_e32 v7, 16, v7
	v_mul_f32_e32 v7, v40, v7
	v_and_b32_e32 v31, 0x7f800000, v7
	v_cmp_ne_u32_e64 s[2:3], s28, v31
                                        ; implicit-def: $vgpr31
	s_and_saveexec_b64 s[18:19], s[2:3]
	s_xor_b64 s[2:3], exec, s[18:19]
; %bb.253:                              ;   in Loop: Header=BB310_161 Depth=1
	v_bfe_u32 v31, v7, 16, 1
	v_add3_u32 v31, v7, v31, s29
                                        ; implicit-def: $vgpr7
; %bb.254:                              ;   in Loop: Header=BB310_161 Depth=1
	s_andn2_saveexec_b64 s[18:19], s[2:3]
; %bb.255:                              ;   in Loop: Header=BB310_161 Depth=1
	v_or_b32_e32 v31, 0x10000, v7
	v_cmp_eq_u32_sdwa s[2:3], v7, v13 src0_sel:WORD_0 src1_sel:DWORD
	s_nop 1
	v_cndmask_b32_e64 v31, v31, v7, s[2:3]
; %bb.256:                              ;   in Loop: Header=BB310_161 Depth=1
	s_or_b64 exec, exec, s[18:19]
	v_and_b32_e32 v41, 0xffff0000, v32
	v_lshlrev_b32_e32 v6, 16, v6
	v_mul_f32_e32 v6, v41, v6
	v_and_b32_e32 v7, 0x7f800000, v6
	v_cmp_ne_u32_e64 s[2:3], s28, v7
                                        ; implicit-def: $vgpr32
	s_and_saveexec_b64 s[18:19], s[2:3]
	s_xor_b64 s[2:3], exec, s[18:19]
; %bb.257:                              ;   in Loop: Header=BB310_161 Depth=1
	v_bfe_u32 v7, v6, 16, 1
	v_add3_u32 v32, v6, v7, s29
                                        ; implicit-def: $vgpr6
; %bb.258:                              ;   in Loop: Header=BB310_161 Depth=1
	s_andn2_saveexec_b64 s[18:19], s[2:3]
; %bb.259:                              ;   in Loop: Header=BB310_161 Depth=1
	v_or_b32_e32 v7, 0x10000, v6
	v_cmp_eq_u32_sdwa s[2:3], v6, v13 src0_sel:WORD_0 src1_sel:DWORD
	s_nop 1
	v_cndmask_b32_e64 v32, v7, v6, s[2:3]
; %bb.260:                              ;   in Loop: Header=BB310_161 Depth=1
	s_or_b64 exec, exec, s[18:19]
	global_load_dwordx2 v[6:7], v[4:5], off offset:512
	s_waitcnt vmcnt(0)
	v_and_b32_e32 v42, 0xff, v6
	v_cvt_f32_fp8_sdwa v42, v42 src0_sel:BYTE_0
	s_nop 0
	v_mul_f32_e32 v43, s30, v42
	v_and_b32_e32 v42, 0x7f800000, v43
	v_cmp_ne_u32_e64 s[2:3], s28, v42
                                        ; implicit-def: $vgpr42
	s_and_saveexec_b64 s[18:19], s[2:3]
	s_xor_b64 s[2:3], exec, s[18:19]
; %bb.261:                              ;   in Loop: Header=BB310_161 Depth=1
	v_bfe_u32 v42, v43, 16, 1
	v_add3_u32 v42, v43, v42, s29
                                        ; implicit-def: $vgpr43
; %bb.262:                              ;   in Loop: Header=BB310_161 Depth=1
	s_andn2_saveexec_b64 s[18:19], s[2:3]
; %bb.263:                              ;   in Loop: Header=BB310_161 Depth=1
	v_or_b32_e32 v42, 0x10000, v43
	v_cmp_eq_u32_sdwa s[2:3], v43, v13 src0_sel:WORD_0 src1_sel:DWORD
	s_nop 1
	v_cndmask_b32_e64 v42, v42, v43, s[2:3]
; %bb.264:                              ;   in Loop: Header=BB310_161 Depth=1
	s_or_b64 exec, exec, s[18:19]
	v_bfe_u32 v43, v6, 8, 8
	v_cvt_f32_fp8_sdwa v43, v43 src0_sel:BYTE_0
	s_nop 0
	v_mul_f32_e32 v44, s30, v43
	v_and_b32_e32 v43, 0x7f800000, v44
	v_cmp_ne_u32_e64 s[2:3], s28, v43
                                        ; implicit-def: $vgpr43
	s_and_saveexec_b64 s[18:19], s[2:3]
	s_xor_b64 s[2:3], exec, s[18:19]
; %bb.265:                              ;   in Loop: Header=BB310_161 Depth=1
	v_bfe_u32 v43, v44, 16, 1
	v_add3_u32 v43, v44, v43, s29
                                        ; implicit-def: $vgpr44
; %bb.266:                              ;   in Loop: Header=BB310_161 Depth=1
	s_andn2_saveexec_b64 s[18:19], s[2:3]
; %bb.267:                              ;   in Loop: Header=BB310_161 Depth=1
	v_or_b32_e32 v43, 0x10000, v44
	v_cmp_eq_u32_sdwa s[2:3], v44, v13 src0_sel:WORD_0 src1_sel:DWORD
	s_nop 1
	v_cndmask_b32_e64 v43, v43, v44, s[2:3]
; %bb.268:                              ;   in Loop: Header=BB310_161 Depth=1
	s_or_b64 exec, exec, s[18:19]
	v_bfe_u32 v44, v6, 16, 8
	v_cvt_f32_fp8_sdwa v44, v44 src0_sel:BYTE_0
	s_nop 0
	v_mul_f32_e32 v45, s30, v44
	v_and_b32_e32 v44, 0x7f800000, v45
	v_cmp_ne_u32_e64 s[2:3], s28, v44
                                        ; implicit-def: $vgpr44
	s_and_saveexec_b64 s[18:19], s[2:3]
	s_xor_b64 s[2:3], exec, s[18:19]
; %bb.269:                              ;   in Loop: Header=BB310_161 Depth=1
	v_bfe_u32 v44, v45, 16, 1
	v_add3_u32 v44, v45, v44, s29
                                        ; implicit-def: $vgpr45
; %bb.270:                              ;   in Loop: Header=BB310_161 Depth=1
	s_andn2_saveexec_b64 s[18:19], s[2:3]
; %bb.271:                              ;   in Loop: Header=BB310_161 Depth=1
	v_or_b32_e32 v44, 0x10000, v45
	v_cmp_eq_u32_sdwa s[2:3], v45, v13 src0_sel:WORD_0 src1_sel:DWORD
	s_nop 1
	v_cndmask_b32_e64 v44, v44, v45, s[2:3]
; %bb.272:                              ;   in Loop: Header=BB310_161 Depth=1
	s_or_b64 exec, exec, s[18:19]
	v_lshrrev_b32_e32 v6, 24, v6
	v_cvt_f32_fp8_sdwa v6, v6 src0_sel:BYTE_0
	s_nop 0
	v_mul_f32_e32 v45, s30, v6
	v_and_b32_e32 v6, 0x7f800000, v45
	v_cmp_ne_u32_e64 s[2:3], s28, v6
                                        ; implicit-def: $vgpr6
	s_and_saveexec_b64 s[18:19], s[2:3]
	s_xor_b64 s[2:3], exec, s[18:19]
; %bb.273:                              ;   in Loop: Header=BB310_161 Depth=1
	v_bfe_u32 v6, v45, 16, 1
	v_add3_u32 v6, v45, v6, s29
                                        ; implicit-def: $vgpr45
; %bb.274:                              ;   in Loop: Header=BB310_161 Depth=1
	s_andn2_saveexec_b64 s[18:19], s[2:3]
; %bb.275:                              ;   in Loop: Header=BB310_161 Depth=1
	v_or_b32_e32 v6, 0x10000, v45
	v_cmp_eq_u32_sdwa s[2:3], v45, v13 src0_sel:WORD_0 src1_sel:DWORD
	s_nop 1
	v_cndmask_b32_e64 v6, v6, v45, s[2:3]
; %bb.276:                              ;   in Loop: Header=BB310_161 Depth=1
	s_or_b64 exec, exec, s[18:19]
	v_and_b32_e32 v45, 0xff, v7
	v_cvt_f32_fp8_sdwa v45, v45 src0_sel:BYTE_0
	s_nop 0
	v_mul_f32_e32 v45, s30, v45
	v_and_b32_e32 v46, 0x7f800000, v45
	v_cmp_ne_u32_e64 s[2:3], s28, v46
                                        ; implicit-def: $vgpr46
	s_and_saveexec_b64 s[18:19], s[2:3]
	s_xor_b64 s[2:3], exec, s[18:19]
; %bb.277:                              ;   in Loop: Header=BB310_161 Depth=1
	v_bfe_u32 v46, v45, 16, 1
	v_add3_u32 v46, v45, v46, s29
                                        ; implicit-def: $vgpr45
; %bb.278:                              ;   in Loop: Header=BB310_161 Depth=1
	s_andn2_saveexec_b64 s[18:19], s[2:3]
; %bb.279:                              ;   in Loop: Header=BB310_161 Depth=1
	v_or_b32_e32 v46, 0x10000, v45
	v_cmp_eq_u32_sdwa s[2:3], v45, v13 src0_sel:WORD_0 src1_sel:DWORD
	s_nop 1
	v_cndmask_b32_e64 v46, v46, v45, s[2:3]
; %bb.280:                              ;   in Loop: Header=BB310_161 Depth=1
	s_or_b64 exec, exec, s[18:19]
	v_bfe_u32 v45, v7, 8, 8
	v_cvt_f32_fp8_sdwa v45, v45 src0_sel:BYTE_0
	s_nop 0
	v_mul_f32_e32 v47, s30, v45
	v_and_b32_e32 v45, 0x7f800000, v47
	v_cmp_ne_u32_e64 s[2:3], s28, v45
                                        ; implicit-def: $vgpr45
	s_and_saveexec_b64 s[18:19], s[2:3]
	s_xor_b64 s[2:3], exec, s[18:19]
; %bb.281:                              ;   in Loop: Header=BB310_161 Depth=1
	v_bfe_u32 v45, v47, 16, 1
	v_add3_u32 v45, v47, v45, s29
                                        ; implicit-def: $vgpr47
; %bb.282:                              ;   in Loop: Header=BB310_161 Depth=1
	s_andn2_saveexec_b64 s[18:19], s[2:3]
; %bb.283:                              ;   in Loop: Header=BB310_161 Depth=1
	v_or_b32_e32 v45, 0x10000, v47
	v_cmp_eq_u32_sdwa s[2:3], v47, v13 src0_sel:WORD_0 src1_sel:DWORD
	s_nop 1
	v_cndmask_b32_e64 v45, v45, v47, s[2:3]
; %bb.284:                              ;   in Loop: Header=BB310_161 Depth=1
	s_or_b64 exec, exec, s[18:19]
	v_bfe_u32 v47, v7, 16, 8
	v_cvt_f32_fp8_sdwa v47, v47 src0_sel:BYTE_0
	s_nop 0
	v_mul_f32_e32 v48, s30, v47
	v_and_b32_e32 v47, 0x7f800000, v48
	v_cmp_ne_u32_e64 s[2:3], s28, v47
                                        ; implicit-def: $vgpr47
	s_and_saveexec_b64 s[18:19], s[2:3]
	s_xor_b64 s[2:3], exec, s[18:19]
; %bb.285:                              ;   in Loop: Header=BB310_161 Depth=1
	v_bfe_u32 v47, v48, 16, 1
	v_add3_u32 v47, v48, v47, s29
                                        ; implicit-def: $vgpr48
; %bb.286:                              ;   in Loop: Header=BB310_161 Depth=1
	s_andn2_saveexec_b64 s[18:19], s[2:3]
; %bb.287:                              ;   in Loop: Header=BB310_161 Depth=1
	v_or_b32_e32 v47, 0x10000, v48
	v_cmp_eq_u32_sdwa s[2:3], v48, v13 src0_sel:WORD_0 src1_sel:DWORD
	s_nop 1
	v_cndmask_b32_e64 v47, v47, v48, s[2:3]
; %bb.288:                              ;   in Loop: Header=BB310_161 Depth=1
	s_or_b64 exec, exec, s[18:19]
	v_lshrrev_b32_e32 v7, 24, v7
	v_cvt_f32_fp8_sdwa v7, v7 src0_sel:BYTE_0
                                        ; implicit-def: $vgpr50
	s_nop 0
	v_mul_f32_e32 v7, s30, v7
	v_and_b32_e32 v48, 0x7f800000, v7
	v_cmp_ne_u32_e64 s[2:3], s28, v48
	s_and_saveexec_b64 s[18:19], s[2:3]
	s_xor_b64 s[2:3], exec, s[18:19]
; %bb.289:                              ;   in Loop: Header=BB310_161 Depth=1
	v_bfe_u32 v48, v7, 16, 1
	v_add3_u32 v50, v7, v48, s29
                                        ; implicit-def: $vgpr7
; %bb.290:                              ;   in Loop: Header=BB310_161 Depth=1
	s_andn2_saveexec_b64 s[18:19], s[2:3]
; %bb.291:                              ;   in Loop: Header=BB310_161 Depth=1
	v_or_b32_e32 v48, 0x10000, v7
	v_cmp_eq_u32_sdwa s[2:3], v7, v13 src0_sel:WORD_0 src1_sel:DWORD
	s_nop 1
	v_cndmask_b32_e64 v50, v48, v7, s[2:3]
; %bb.292:                              ;   in Loop: Header=BB310_161 Depth=1
	s_or_b64 exec, exec, s[18:19]
	v_lshrrev_b32_e32 v45, 16, v45
	v_lshrrev_b32_e32 v48, 16, v46
	;; [unrolled: 1-line block ×8, first 2 shown]
	s_and_saveexec_b64 s[18:19], s[0:1]
	s_cbranch_execz .LBB310_294
; %bb.293:                              ;   in Loop: Header=BB310_161 Depth=1
	v_cmp_gt_i32_e64 s[2:3], s33, v33
	v_add_u32_e32 v42, 1, v33
	s_nop 0
	v_cndmask_b32_e64 v6, 0, v6, s[2:3]
	v_cmp_gt_i32_e64 s[2:3], s33, v42
	v_add_u32_e32 v42, 2, v33
	s_nop 0
	v_cndmask_b32_e64 v7, 0, v7, s[2:3]
	;; [unrolled: 4-line block ×7, first 2 shown]
	v_cmp_gt_i32_e64 s[2:3], s33, v42
	s_nop 1
	v_cndmask_b32_e64 v47, 0, v47, s[2:3]
.LBB310_294:                            ;   in Loop: Header=BB310_161 Depth=1
	s_or_b64 exec, exec, s[18:19]
	v_lshlrev_b32_e32 v6, 16, v6
	v_mul_f32_e32 v42, v34, v6
	v_and_b32_e32 v6, 0x7f800000, v42
	v_cmp_ne_u32_e64 s[2:3], s28, v6
                                        ; implicit-def: $vgpr6
	s_and_saveexec_b64 s[18:19], s[2:3]
	s_xor_b64 s[2:3], exec, s[18:19]
; %bb.295:                              ;   in Loop: Header=BB310_161 Depth=1
	v_bfe_u32 v6, v42, 16, 1
	v_add3_u32 v6, v42, v6, s29
                                        ; implicit-def: $vgpr42
; %bb.296:                              ;   in Loop: Header=BB310_161 Depth=1
	s_andn2_saveexec_b64 s[18:19], s[2:3]
; %bb.297:                              ;   in Loop: Header=BB310_161 Depth=1
	v_or_b32_e32 v6, 0x10000, v42
	v_cmp_eq_u32_sdwa s[2:3], v42, v13 src0_sel:WORD_0 src1_sel:DWORD
	s_nop 1
	v_cndmask_b32_e64 v6, v6, v42, s[2:3]
; %bb.298:                              ;   in Loop: Header=BB310_161 Depth=1
	s_or_b64 exec, exec, s[18:19]
	v_lshlrev_b32_e32 v7, 16, v7
	v_mul_f32_e32 v42, v35, v7
	v_and_b32_e32 v7, 0x7f800000, v42
	v_cmp_ne_u32_e64 s[2:3], s28, v7
                                        ; implicit-def: $vgpr7
	s_and_saveexec_b64 s[18:19], s[2:3]
	s_xor_b64 s[2:3], exec, s[18:19]
; %bb.299:                              ;   in Loop: Header=BB310_161 Depth=1
	v_bfe_u32 v7, v42, 16, 1
	v_add3_u32 v7, v42, v7, s29
                                        ; implicit-def: $vgpr42
; %bb.300:                              ;   in Loop: Header=BB310_161 Depth=1
	s_andn2_saveexec_b64 s[18:19], s[2:3]
; %bb.301:                              ;   in Loop: Header=BB310_161 Depth=1
	v_or_b32_e32 v7, 0x10000, v42
	v_cmp_eq_u32_sdwa s[2:3], v42, v13 src0_sel:WORD_0 src1_sel:DWORD
	s_nop 1
	v_cndmask_b32_e64 v7, v7, v42, s[2:3]
; %bb.302:                              ;   in Loop: Header=BB310_161 Depth=1
	s_or_b64 exec, exec, s[18:19]
	v_lshlrev_b32_e32 v42, 16, v44
	v_mul_f32_e32 v43, v36, v42
	v_and_b32_e32 v42, 0x7f800000, v43
	v_cmp_ne_u32_e64 s[2:3], s28, v42
                                        ; implicit-def: $vgpr42
	s_and_saveexec_b64 s[18:19], s[2:3]
	s_xor_b64 s[2:3], exec, s[18:19]
; %bb.303:                              ;   in Loop: Header=BB310_161 Depth=1
	v_bfe_u32 v42, v43, 16, 1
	v_add3_u32 v42, v43, v42, s29
                                        ; implicit-def: $vgpr43
; %bb.304:                              ;   in Loop: Header=BB310_161 Depth=1
	s_andn2_saveexec_b64 s[18:19], s[2:3]
; %bb.305:                              ;   in Loop: Header=BB310_161 Depth=1
	v_or_b32_e32 v42, 0x10000, v43
	v_cmp_eq_u32_sdwa s[2:3], v43, v13 src0_sel:WORD_0 src1_sel:DWORD
	s_nop 1
	v_cndmask_b32_e64 v42, v42, v43, s[2:3]
; %bb.306:                              ;   in Loop: Header=BB310_161 Depth=1
	s_or_b64 exec, exec, s[18:19]
	v_lshlrev_b32_e32 v43, 16, v49
	v_mul_f32_e32 v44, v37, v43
	v_and_b32_e32 v43, 0x7f800000, v44
	v_cmp_ne_u32_e64 s[2:3], s28, v43
                                        ; implicit-def: $vgpr43
	s_and_saveexec_b64 s[18:19], s[2:3]
	s_xor_b64 s[2:3], exec, s[18:19]
; %bb.307:                              ;   in Loop: Header=BB310_161 Depth=1
	v_bfe_u32 v43, v44, 16, 1
	v_add3_u32 v43, v44, v43, s29
                                        ; implicit-def: $vgpr44
; %bb.308:                              ;   in Loop: Header=BB310_161 Depth=1
	s_andn2_saveexec_b64 s[18:19], s[2:3]
; %bb.309:                              ;   in Loop: Header=BB310_161 Depth=1
	v_or_b32_e32 v43, 0x10000, v44
	v_cmp_eq_u32_sdwa s[2:3], v44, v13 src0_sel:WORD_0 src1_sel:DWORD
	s_nop 1
	v_cndmask_b32_e64 v43, v43, v44, s[2:3]
; %bb.310:                              ;   in Loop: Header=BB310_161 Depth=1
	s_or_b64 exec, exec, s[18:19]
	v_lshlrev_b32_e32 v44, 16, v48
	v_mul_f32_e32 v48, v38, v44
	v_and_b32_e32 v44, 0x7f800000, v48
	v_cmp_ne_u32_e64 s[2:3], s28, v44
                                        ; implicit-def: $vgpr44
	s_and_saveexec_b64 s[18:19], s[2:3]
	s_xor_b64 s[2:3], exec, s[18:19]
; %bb.311:                              ;   in Loop: Header=BB310_161 Depth=1
	v_bfe_u32 v44, v48, 16, 1
	v_add3_u32 v44, v48, v44, s29
                                        ; implicit-def: $vgpr48
; %bb.312:                              ;   in Loop: Header=BB310_161 Depth=1
	s_andn2_saveexec_b64 s[18:19], s[2:3]
; %bb.313:                              ;   in Loop: Header=BB310_161 Depth=1
	v_or_b32_e32 v44, 0x10000, v48
	v_cmp_eq_u32_sdwa s[2:3], v48, v13 src0_sel:WORD_0 src1_sel:DWORD
	s_nop 1
	v_cndmask_b32_e64 v44, v44, v48, s[2:3]
; %bb.314:                              ;   in Loop: Header=BB310_161 Depth=1
	s_or_b64 exec, exec, s[18:19]
	v_lshlrev_b32_e32 v45, 16, v45
	v_mul_f32_e32 v48, v39, v45
	v_and_b32_e32 v45, 0x7f800000, v48
	v_cmp_ne_u32_e64 s[2:3], s28, v45
                                        ; implicit-def: $vgpr45
	s_and_saveexec_b64 s[18:19], s[2:3]
	s_xor_b64 s[2:3], exec, s[18:19]
; %bb.315:                              ;   in Loop: Header=BB310_161 Depth=1
	v_bfe_u32 v45, v48, 16, 1
	v_add3_u32 v45, v48, v45, s29
                                        ; implicit-def: $vgpr48
; %bb.316:                              ;   in Loop: Header=BB310_161 Depth=1
	s_andn2_saveexec_b64 s[18:19], s[2:3]
; %bb.317:                              ;   in Loop: Header=BB310_161 Depth=1
	v_or_b32_e32 v45, 0x10000, v48
	v_cmp_eq_u32_sdwa s[2:3], v48, v13 src0_sel:WORD_0 src1_sel:DWORD
	s_nop 1
	v_cndmask_b32_e64 v45, v45, v48, s[2:3]
; %bb.318:                              ;   in Loop: Header=BB310_161 Depth=1
	s_or_b64 exec, exec, s[18:19]
	v_lshlrev_b32_e32 v46, 16, v46
	v_mul_f32_e32 v48, v40, v46
	v_and_b32_e32 v46, 0x7f800000, v48
	v_cmp_ne_u32_e64 s[2:3], s28, v46
                                        ; implicit-def: $vgpr46
	s_and_saveexec_b64 s[18:19], s[2:3]
	s_xor_b64 s[2:3], exec, s[18:19]
; %bb.319:                              ;   in Loop: Header=BB310_161 Depth=1
	v_bfe_u32 v46, v48, 16, 1
	v_add3_u32 v46, v48, v46, s29
                                        ; implicit-def: $vgpr48
; %bb.320:                              ;   in Loop: Header=BB310_161 Depth=1
	s_andn2_saveexec_b64 s[18:19], s[2:3]
; %bb.321:                              ;   in Loop: Header=BB310_161 Depth=1
	v_or_b32_e32 v46, 0x10000, v48
	v_cmp_eq_u32_sdwa s[2:3], v48, v13 src0_sel:WORD_0 src1_sel:DWORD
	s_nop 1
	v_cndmask_b32_e64 v46, v46, v48, s[2:3]
; %bb.322:                              ;   in Loop: Header=BB310_161 Depth=1
	s_or_b64 exec, exec, s[18:19]
	v_lshlrev_b32_e32 v47, 16, v47
	v_mul_f32_e32 v48, v41, v47
	v_and_b32_e32 v47, 0x7f800000, v48
	v_cmp_ne_u32_e64 s[2:3], s28, v47
                                        ; implicit-def: $vgpr47
	s_and_saveexec_b64 s[18:19], s[2:3]
	s_xor_b64 s[2:3], exec, s[18:19]
; %bb.323:                              ;   in Loop: Header=BB310_161 Depth=1
	v_bfe_u32 v47, v48, 16, 1
	v_add3_u32 v47, v48, v47, s29
                                        ; implicit-def: $vgpr48
; %bb.324:                              ;   in Loop: Header=BB310_161 Depth=1
	s_andn2_saveexec_b64 s[18:19], s[2:3]
; %bb.325:                              ;   in Loop: Header=BB310_161 Depth=1
	v_or_b32_e32 v47, 0x10000, v48
	v_cmp_eq_u32_sdwa s[2:3], v48, v13 src0_sel:WORD_0 src1_sel:DWORD
	s_nop 1
	v_cndmask_b32_e64 v47, v47, v48, s[2:3]
; %bb.326:                              ;   in Loop: Header=BB310_161 Depth=1
	s_or_b64 exec, exec, s[18:19]
	global_load_dwordx2 v[4:5], v[4:5], off offset:1024
	s_waitcnt vmcnt(0)
	v_and_b32_e32 v48, 0xff, v4
	v_cvt_f32_fp8_sdwa v48, v48 src0_sel:BYTE_0
	s_nop 0
	v_mul_f32_e32 v49, s30, v48
	v_and_b32_e32 v48, 0x7f800000, v49
	v_cmp_ne_u32_e64 s[2:3], s28, v48
                                        ; implicit-def: $vgpr48
	s_and_saveexec_b64 s[18:19], s[2:3]
	s_xor_b64 s[2:3], exec, s[18:19]
; %bb.327:                              ;   in Loop: Header=BB310_161 Depth=1
	v_bfe_u32 v48, v49, 16, 1
	v_add3_u32 v48, v49, v48, s29
                                        ; implicit-def: $vgpr49
; %bb.328:                              ;   in Loop: Header=BB310_161 Depth=1
	s_andn2_saveexec_b64 s[18:19], s[2:3]
; %bb.329:                              ;   in Loop: Header=BB310_161 Depth=1
	v_or_b32_e32 v48, 0x10000, v49
	v_cmp_eq_u32_sdwa s[2:3], v49, v13 src0_sel:WORD_0 src1_sel:DWORD
	s_nop 1
	v_cndmask_b32_e64 v48, v48, v49, s[2:3]
; %bb.330:                              ;   in Loop: Header=BB310_161 Depth=1
	s_or_b64 exec, exec, s[18:19]
	v_bfe_u32 v49, v4, 8, 8
	v_cvt_f32_fp8_sdwa v49, v49 src0_sel:BYTE_0
	s_nop 0
	v_mul_f32_e32 v50, s30, v49
	v_and_b32_e32 v49, 0x7f800000, v50
	v_cmp_ne_u32_e64 s[2:3], s28, v49
                                        ; implicit-def: $vgpr49
	s_and_saveexec_b64 s[18:19], s[2:3]
	s_xor_b64 s[2:3], exec, s[18:19]
; %bb.331:                              ;   in Loop: Header=BB310_161 Depth=1
	v_bfe_u32 v49, v50, 16, 1
	v_add3_u32 v49, v50, v49, s29
                                        ; implicit-def: $vgpr50
; %bb.332:                              ;   in Loop: Header=BB310_161 Depth=1
	s_andn2_saveexec_b64 s[18:19], s[2:3]
; %bb.333:                              ;   in Loop: Header=BB310_161 Depth=1
	v_or_b32_e32 v49, 0x10000, v50
	v_cmp_eq_u32_sdwa s[2:3], v50, v13 src0_sel:WORD_0 src1_sel:DWORD
	s_nop 1
	v_cndmask_b32_e64 v49, v49, v50, s[2:3]
; %bb.334:                              ;   in Loop: Header=BB310_161 Depth=1
	s_or_b64 exec, exec, s[18:19]
	v_bfe_u32 v50, v4, 16, 8
	v_cvt_f32_fp8_sdwa v50, v50 src0_sel:BYTE_0
	s_nop 0
	v_mul_f32_e32 v51, s30, v50
	v_and_b32_e32 v50, 0x7f800000, v51
	v_cmp_ne_u32_e64 s[2:3], s28, v50
                                        ; implicit-def: $vgpr50
	s_and_saveexec_b64 s[18:19], s[2:3]
	s_xor_b64 s[2:3], exec, s[18:19]
; %bb.335:                              ;   in Loop: Header=BB310_161 Depth=1
	v_bfe_u32 v50, v51, 16, 1
	v_add3_u32 v50, v51, v50, s29
                                        ; implicit-def: $vgpr51
; %bb.336:                              ;   in Loop: Header=BB310_161 Depth=1
	s_andn2_saveexec_b64 s[18:19], s[2:3]
; %bb.337:                              ;   in Loop: Header=BB310_161 Depth=1
	v_or_b32_e32 v50, 0x10000, v51
	v_cmp_eq_u32_sdwa s[2:3], v51, v13 src0_sel:WORD_0 src1_sel:DWORD
	s_nop 1
	v_cndmask_b32_e64 v50, v50, v51, s[2:3]
; %bb.338:                              ;   in Loop: Header=BB310_161 Depth=1
	s_or_b64 exec, exec, s[18:19]
	v_lshrrev_b32_e32 v4, 24, v4
	v_cvt_f32_fp8_sdwa v4, v4 src0_sel:BYTE_0
	s_nop 0
	v_mul_f32_e32 v51, s30, v4
	v_and_b32_e32 v4, 0x7f800000, v51
	v_cmp_ne_u32_e64 s[2:3], s28, v4
                                        ; implicit-def: $vgpr4
	s_and_saveexec_b64 s[18:19], s[2:3]
	s_xor_b64 s[2:3], exec, s[18:19]
; %bb.339:                              ;   in Loop: Header=BB310_161 Depth=1
	v_bfe_u32 v4, v51, 16, 1
	v_add3_u32 v4, v51, v4, s29
                                        ; implicit-def: $vgpr51
; %bb.340:                              ;   in Loop: Header=BB310_161 Depth=1
	s_andn2_saveexec_b64 s[18:19], s[2:3]
; %bb.341:                              ;   in Loop: Header=BB310_161 Depth=1
	v_or_b32_e32 v4, 0x10000, v51
	v_cmp_eq_u32_sdwa s[2:3], v51, v13 src0_sel:WORD_0 src1_sel:DWORD
	s_nop 1
	v_cndmask_b32_e64 v4, v4, v51, s[2:3]
; %bb.342:                              ;   in Loop: Header=BB310_161 Depth=1
	s_or_b64 exec, exec, s[18:19]
	v_and_b32_e32 v51, 0xff, v5
	v_cvt_f32_fp8_sdwa v51, v51 src0_sel:BYTE_0
	s_nop 0
	v_mul_f32_e32 v51, s30, v51
	v_and_b32_e32 v52, 0x7f800000, v51
	v_cmp_ne_u32_e64 s[2:3], s28, v52
                                        ; implicit-def: $vgpr52
	s_and_saveexec_b64 s[18:19], s[2:3]
	s_xor_b64 s[2:3], exec, s[18:19]
; %bb.343:                              ;   in Loop: Header=BB310_161 Depth=1
	v_bfe_u32 v52, v51, 16, 1
	v_add3_u32 v52, v51, v52, s29
                                        ; implicit-def: $vgpr51
; %bb.344:                              ;   in Loop: Header=BB310_161 Depth=1
	s_andn2_saveexec_b64 s[18:19], s[2:3]
; %bb.345:                              ;   in Loop: Header=BB310_161 Depth=1
	v_or_b32_e32 v52, 0x10000, v51
	v_cmp_eq_u32_sdwa s[2:3], v51, v13 src0_sel:WORD_0 src1_sel:DWORD
	s_nop 1
	v_cndmask_b32_e64 v52, v52, v51, s[2:3]
; %bb.346:                              ;   in Loop: Header=BB310_161 Depth=1
	s_or_b64 exec, exec, s[18:19]
	v_bfe_u32 v51, v5, 8, 8
	v_cvt_f32_fp8_sdwa v51, v51 src0_sel:BYTE_0
	s_nop 0
	v_mul_f32_e32 v53, s30, v51
	v_and_b32_e32 v51, 0x7f800000, v53
	v_cmp_ne_u32_e64 s[2:3], s28, v51
                                        ; implicit-def: $vgpr51
	s_and_saveexec_b64 s[18:19], s[2:3]
	s_xor_b64 s[2:3], exec, s[18:19]
; %bb.347:                              ;   in Loop: Header=BB310_161 Depth=1
	v_bfe_u32 v51, v53, 16, 1
	v_add3_u32 v51, v53, v51, s29
                                        ; implicit-def: $vgpr53
; %bb.348:                              ;   in Loop: Header=BB310_161 Depth=1
	s_andn2_saveexec_b64 s[18:19], s[2:3]
; %bb.349:                              ;   in Loop: Header=BB310_161 Depth=1
	v_or_b32_e32 v51, 0x10000, v53
	v_cmp_eq_u32_sdwa s[2:3], v53, v13 src0_sel:WORD_0 src1_sel:DWORD
	s_nop 1
	v_cndmask_b32_e64 v51, v51, v53, s[2:3]
; %bb.350:                              ;   in Loop: Header=BB310_161 Depth=1
	s_or_b64 exec, exec, s[18:19]
	v_bfe_u32 v53, v5, 16, 8
	v_cvt_f32_fp8_sdwa v53, v53 src0_sel:BYTE_0
	s_nop 0
	v_mul_f32_e32 v54, s30, v53
	v_and_b32_e32 v53, 0x7f800000, v54
	v_cmp_ne_u32_e64 s[2:3], s28, v53
                                        ; implicit-def: $vgpr53
	s_and_saveexec_b64 s[18:19], s[2:3]
	s_xor_b64 s[2:3], exec, s[18:19]
; %bb.351:                              ;   in Loop: Header=BB310_161 Depth=1
	v_bfe_u32 v53, v54, 16, 1
	v_add3_u32 v53, v54, v53, s29
                                        ; implicit-def: $vgpr54
; %bb.352:                              ;   in Loop: Header=BB310_161 Depth=1
	s_andn2_saveexec_b64 s[18:19], s[2:3]
; %bb.353:                              ;   in Loop: Header=BB310_161 Depth=1
	v_or_b32_e32 v53, 0x10000, v54
	v_cmp_eq_u32_sdwa s[2:3], v54, v13 src0_sel:WORD_0 src1_sel:DWORD
	s_nop 1
	v_cndmask_b32_e64 v53, v53, v54, s[2:3]
; %bb.354:                              ;   in Loop: Header=BB310_161 Depth=1
	s_or_b64 exec, exec, s[18:19]
	v_lshrrev_b32_e32 v5, 24, v5
	v_cvt_f32_fp8_sdwa v5, v5 src0_sel:BYTE_0
                                        ; implicit-def: $vgpr56
	s_nop 0
	v_mul_f32_e32 v5, s30, v5
	v_and_b32_e32 v54, 0x7f800000, v5
	v_cmp_ne_u32_e64 s[2:3], s28, v54
	s_and_saveexec_b64 s[18:19], s[2:3]
	s_xor_b64 s[2:3], exec, s[18:19]
; %bb.355:                              ;   in Loop: Header=BB310_161 Depth=1
	v_bfe_u32 v54, v5, 16, 1
	v_add3_u32 v56, v5, v54, s29
                                        ; implicit-def: $vgpr5
; %bb.356:                              ;   in Loop: Header=BB310_161 Depth=1
	s_andn2_saveexec_b64 s[18:19], s[2:3]
; %bb.357:                              ;   in Loop: Header=BB310_161 Depth=1
	v_or_b32_e32 v54, 0x10000, v5
	v_cmp_eq_u32_sdwa s[2:3], v5, v13 src0_sel:WORD_0 src1_sel:DWORD
	s_nop 1
	v_cndmask_b32_e64 v56, v54, v5, s[2:3]
; %bb.358:                              ;   in Loop: Header=BB310_161 Depth=1
	s_or_b64 exec, exec, s[18:19]
	v_lshrrev_b32_e32 v51, 16, v51
	v_lshrrev_b32_e32 v54, 16, v52
	;; [unrolled: 1-line block ×8, first 2 shown]
	s_and_saveexec_b64 s[18:19], s[0:1]
	s_cbranch_execz .LBB310_360
; %bb.359:                              ;   in Loop: Header=BB310_161 Depth=1
	v_cmp_gt_i32_e64 s[2:3], s33, v33
	v_add_u32_e32 v48, 1, v33
	s_nop 0
	v_cndmask_b32_e64 v4, 0, v4, s[2:3]
	v_cmp_gt_i32_e64 s[2:3], s33, v48
	v_add_u32_e32 v48, 2, v33
	s_nop 0
	v_cndmask_b32_e64 v5, 0, v5, s[2:3]
	;; [unrolled: 4-line block ×7, first 2 shown]
	v_cmp_gt_i32_e64 s[2:3], s33, v48
	s_nop 1
	v_cndmask_b32_e64 v53, 0, v53, s[2:3]
.LBB310_360:                            ;   in Loop: Header=BB310_161 Depth=1
	s_or_b64 exec, exec, s[18:19]
	v_lshlrev_b32_e32 v4, 16, v4
	v_mul_f32_e32 v48, v34, v4
	v_and_b32_e32 v4, 0x7f800000, v48
	v_cmp_ne_u32_e64 s[2:3], s28, v4
                                        ; implicit-def: $vgpr4
	s_and_saveexec_b64 s[18:19], s[2:3]
	s_xor_b64 s[2:3], exec, s[18:19]
; %bb.361:                              ;   in Loop: Header=BB310_161 Depth=1
	v_bfe_u32 v4, v48, 16, 1
	v_add3_u32 v4, v48, v4, s29
                                        ; implicit-def: $vgpr48
; %bb.362:                              ;   in Loop: Header=BB310_161 Depth=1
	s_andn2_saveexec_b64 s[18:19], s[2:3]
; %bb.363:                              ;   in Loop: Header=BB310_161 Depth=1
	v_or_b32_e32 v4, 0x10000, v48
	v_cmp_eq_u32_sdwa s[2:3], v48, v13 src0_sel:WORD_0 src1_sel:DWORD
	s_nop 1
	v_cndmask_b32_e64 v4, v4, v48, s[2:3]
; %bb.364:                              ;   in Loop: Header=BB310_161 Depth=1
	s_or_b64 exec, exec, s[18:19]
	v_lshlrev_b32_e32 v5, 16, v5
	v_mul_f32_e32 v48, v35, v5
	v_and_b32_e32 v5, 0x7f800000, v48
	v_cmp_ne_u32_e64 s[2:3], s28, v5
                                        ; implicit-def: $vgpr5
	s_and_saveexec_b64 s[18:19], s[2:3]
	s_xor_b64 s[2:3], exec, s[18:19]
; %bb.365:                              ;   in Loop: Header=BB310_161 Depth=1
	v_bfe_u32 v5, v48, 16, 1
	v_add3_u32 v5, v48, v5, s29
                                        ; implicit-def: $vgpr48
; %bb.366:                              ;   in Loop: Header=BB310_161 Depth=1
	s_andn2_saveexec_b64 s[18:19], s[2:3]
; %bb.367:                              ;   in Loop: Header=BB310_161 Depth=1
	v_or_b32_e32 v5, 0x10000, v48
	v_cmp_eq_u32_sdwa s[2:3], v48, v13 src0_sel:WORD_0 src1_sel:DWORD
	s_nop 1
	v_cndmask_b32_e64 v5, v5, v48, s[2:3]
; %bb.368:                              ;   in Loop: Header=BB310_161 Depth=1
	s_or_b64 exec, exec, s[18:19]
	v_lshlrev_b32_e32 v48, 16, v50
	v_mul_f32_e32 v49, v36, v48
	v_and_b32_e32 v48, 0x7f800000, v49
	v_cmp_ne_u32_e64 s[2:3], s28, v48
                                        ; implicit-def: $vgpr48
	s_and_saveexec_b64 s[18:19], s[2:3]
	s_xor_b64 s[2:3], exec, s[18:19]
; %bb.369:                              ;   in Loop: Header=BB310_161 Depth=1
	v_bfe_u32 v48, v49, 16, 1
	v_add3_u32 v48, v49, v48, s29
                                        ; implicit-def: $vgpr49
; %bb.370:                              ;   in Loop: Header=BB310_161 Depth=1
	s_andn2_saveexec_b64 s[18:19], s[2:3]
; %bb.371:                              ;   in Loop: Header=BB310_161 Depth=1
	v_or_b32_e32 v48, 0x10000, v49
	v_cmp_eq_u32_sdwa s[2:3], v49, v13 src0_sel:WORD_0 src1_sel:DWORD
	s_nop 1
	v_cndmask_b32_e64 v48, v48, v49, s[2:3]
; %bb.372:                              ;   in Loop: Header=BB310_161 Depth=1
	s_or_b64 exec, exec, s[18:19]
	v_lshlrev_b32_e32 v49, 16, v55
	v_mul_f32_e32 v50, v37, v49
	v_and_b32_e32 v49, 0x7f800000, v50
	v_cmp_ne_u32_e64 s[2:3], s28, v49
                                        ; implicit-def: $vgpr49
	s_and_saveexec_b64 s[18:19], s[2:3]
	s_xor_b64 s[2:3], exec, s[18:19]
; %bb.373:                              ;   in Loop: Header=BB310_161 Depth=1
	v_bfe_u32 v49, v50, 16, 1
	v_add3_u32 v49, v50, v49, s29
                                        ; implicit-def: $vgpr50
; %bb.374:                              ;   in Loop: Header=BB310_161 Depth=1
	s_andn2_saveexec_b64 s[18:19], s[2:3]
; %bb.375:                              ;   in Loop: Header=BB310_161 Depth=1
	v_or_b32_e32 v49, 0x10000, v50
	v_cmp_eq_u32_sdwa s[2:3], v50, v13 src0_sel:WORD_0 src1_sel:DWORD
	s_nop 1
	v_cndmask_b32_e64 v49, v49, v50, s[2:3]
; %bb.376:                              ;   in Loop: Header=BB310_161 Depth=1
	s_or_b64 exec, exec, s[18:19]
	v_lshlrev_b32_e32 v50, 16, v54
	v_mul_f32_e32 v54, v38, v50
	v_and_b32_e32 v50, 0x7f800000, v54
	v_cmp_ne_u32_e64 s[2:3], s28, v50
                                        ; implicit-def: $vgpr50
	s_and_saveexec_b64 s[18:19], s[2:3]
	s_xor_b64 s[2:3], exec, s[18:19]
; %bb.377:                              ;   in Loop: Header=BB310_161 Depth=1
	v_bfe_u32 v50, v54, 16, 1
	v_add3_u32 v50, v54, v50, s29
                                        ; implicit-def: $vgpr54
; %bb.378:                              ;   in Loop: Header=BB310_161 Depth=1
	s_andn2_saveexec_b64 s[18:19], s[2:3]
; %bb.379:                              ;   in Loop: Header=BB310_161 Depth=1
	v_or_b32_e32 v50, 0x10000, v54
	v_cmp_eq_u32_sdwa s[2:3], v54, v13 src0_sel:WORD_0 src1_sel:DWORD
	s_nop 1
	v_cndmask_b32_e64 v50, v50, v54, s[2:3]
; %bb.380:                              ;   in Loop: Header=BB310_161 Depth=1
	s_or_b64 exec, exec, s[18:19]
	v_lshlrev_b32_e32 v51, 16, v51
	v_mul_f32_e32 v54, v39, v51
	v_and_b32_e32 v51, 0x7f800000, v54
	v_cmp_ne_u32_e64 s[2:3], s28, v51
                                        ; implicit-def: $vgpr51
	s_and_saveexec_b64 s[18:19], s[2:3]
	s_xor_b64 s[2:3], exec, s[18:19]
; %bb.381:                              ;   in Loop: Header=BB310_161 Depth=1
	v_bfe_u32 v51, v54, 16, 1
	v_add3_u32 v51, v54, v51, s29
                                        ; implicit-def: $vgpr54
; %bb.382:                              ;   in Loop: Header=BB310_161 Depth=1
	s_andn2_saveexec_b64 s[18:19], s[2:3]
; %bb.383:                              ;   in Loop: Header=BB310_161 Depth=1
	v_or_b32_e32 v51, 0x10000, v54
	v_cmp_eq_u32_sdwa s[2:3], v54, v13 src0_sel:WORD_0 src1_sel:DWORD
	s_nop 1
	v_cndmask_b32_e64 v51, v51, v54, s[2:3]
; %bb.384:                              ;   in Loop: Header=BB310_161 Depth=1
	s_or_b64 exec, exec, s[18:19]
	v_lshlrev_b32_e32 v52, 16, v52
	v_mul_f32_e32 v54, v40, v52
	v_and_b32_e32 v52, 0x7f800000, v54
	v_cmp_ne_u32_e64 s[2:3], s28, v52
                                        ; implicit-def: $vgpr52
	s_and_saveexec_b64 s[18:19], s[2:3]
	s_xor_b64 s[2:3], exec, s[18:19]
; %bb.385:                              ;   in Loop: Header=BB310_161 Depth=1
	v_bfe_u32 v52, v54, 16, 1
	v_add3_u32 v52, v54, v52, s29
                                        ; implicit-def: $vgpr54
; %bb.386:                              ;   in Loop: Header=BB310_161 Depth=1
	s_andn2_saveexec_b64 s[18:19], s[2:3]
; %bb.387:                              ;   in Loop: Header=BB310_161 Depth=1
	v_or_b32_e32 v52, 0x10000, v54
	v_cmp_eq_u32_sdwa s[2:3], v54, v13 src0_sel:WORD_0 src1_sel:DWORD
	s_nop 1
	v_cndmask_b32_e64 v52, v52, v54, s[2:3]
; %bb.388:                              ;   in Loop: Header=BB310_161 Depth=1
	s_or_b64 exec, exec, s[18:19]
	v_lshlrev_b32_e32 v53, 16, v53
	v_mul_f32_e32 v54, v41, v53
	v_and_b32_e32 v53, 0x7f800000, v54
	v_cmp_ne_u32_e64 s[2:3], s28, v53
                                        ; implicit-def: $vgpr53
	s_and_saveexec_b64 s[18:19], s[2:3]
	s_xor_b64 s[2:3], exec, s[18:19]
	s_cbranch_execnz .LBB310_391
; %bb.389:                              ;   in Loop: Header=BB310_161 Depth=1
	s_andn2_saveexec_b64 s[18:19], s[2:3]
	s_cbranch_execnz .LBB310_392
.LBB310_390:                            ;   in Loop: Header=BB310_161 Depth=1
	s_or_b64 exec, exec, s[18:19]
	s_and_saveexec_b64 s[18:19], vcc
	s_cbranch_execz .LBB310_159
	s_branch .LBB310_393
.LBB310_391:                            ;   in Loop: Header=BB310_161 Depth=1
	v_bfe_u32 v53, v54, 16, 1
	v_add3_u32 v53, v54, v53, s29
                                        ; implicit-def: $vgpr54
	s_andn2_saveexec_b64 s[18:19], s[2:3]
	s_cbranch_execz .LBB310_390
.LBB310_392:                            ;   in Loop: Header=BB310_161 Depth=1
	v_or_b32_e32 v53, 0x10000, v54
	v_cmp_eq_u32_sdwa s[2:3], v54, v13 src0_sel:WORD_0 src1_sel:DWORD
	s_nop 1
	v_cndmask_b32_e64 v53, v53, v54, s[2:3]
	s_or_b64 exec, exec, s[18:19]
	s_and_saveexec_b64 s[18:19], vcc
	s_cbranch_execz .LBB310_159
.LBB310_393:                            ;   in Loop: Header=BB310_161 Depth=1
	v_lshl_add_u64 v[2:3], v[2:3], 0, v[16:17]
	global_load_dwordx2 v[2:3], v[2:3], off
	s_waitcnt vmcnt(0)
	v_and_b32_e32 v54, 0xff, v2
	v_cvt_f32_fp8_sdwa v54, v54 src0_sel:BYTE_0
	s_nop 0
	v_mul_f32_e32 v55, s30, v54
	v_and_b32_e32 v54, 0x7f800000, v55
	v_cmp_ne_u32_e64 s[2:3], s28, v54
                                        ; implicit-def: $vgpr54
	s_and_saveexec_b64 s[20:21], s[2:3]
	s_xor_b64 s[2:3], exec, s[20:21]
; %bb.394:                              ;   in Loop: Header=BB310_161 Depth=1
	v_bfe_u32 v54, v55, 16, 1
	v_add3_u32 v54, v55, v54, s29
                                        ; implicit-def: $vgpr55
; %bb.395:                              ;   in Loop: Header=BB310_161 Depth=1
	s_andn2_saveexec_b64 s[20:21], s[2:3]
; %bb.396:                              ;   in Loop: Header=BB310_161 Depth=1
	v_or_b32_e32 v54, 0x10000, v55
	v_cmp_eq_u32_sdwa s[2:3], v55, v13 src0_sel:WORD_0 src1_sel:DWORD
	s_nop 1
	v_cndmask_b32_e64 v54, v54, v55, s[2:3]
; %bb.397:                              ;   in Loop: Header=BB310_161 Depth=1
	s_or_b64 exec, exec, s[20:21]
	v_bfe_u32 v55, v2, 8, 8
	v_cvt_f32_fp8_sdwa v55, v55 src0_sel:BYTE_0
	s_nop 0
	v_mul_f32_e32 v56, s30, v55
	v_and_b32_e32 v55, 0x7f800000, v56
	v_cmp_ne_u32_e64 s[2:3], s28, v55
                                        ; implicit-def: $vgpr55
	s_and_saveexec_b64 s[20:21], s[2:3]
	s_xor_b64 s[2:3], exec, s[20:21]
; %bb.398:                              ;   in Loop: Header=BB310_161 Depth=1
	v_bfe_u32 v55, v56, 16, 1
	v_add3_u32 v55, v56, v55, s29
                                        ; implicit-def: $vgpr56
; %bb.399:                              ;   in Loop: Header=BB310_161 Depth=1
	s_andn2_saveexec_b64 s[20:21], s[2:3]
; %bb.400:                              ;   in Loop: Header=BB310_161 Depth=1
	v_or_b32_e32 v55, 0x10000, v56
	v_cmp_eq_u32_sdwa s[2:3], v56, v13 src0_sel:WORD_0 src1_sel:DWORD
	s_nop 1
	v_cndmask_b32_e64 v55, v55, v56, s[2:3]
; %bb.401:                              ;   in Loop: Header=BB310_161 Depth=1
	s_or_b64 exec, exec, s[20:21]
	v_bfe_u32 v56, v2, 16, 8
	v_cvt_f32_fp8_sdwa v56, v56 src0_sel:BYTE_0
	s_nop 0
	v_mul_f32_e32 v56, s30, v56
	v_and_b32_e32 v57, 0x7f800000, v56
	v_cmp_ne_u32_e64 s[2:3], s28, v57
                                        ; implicit-def: $vgpr57
	s_and_saveexec_b64 s[20:21], s[2:3]
	s_xor_b64 s[2:3], exec, s[20:21]
; %bb.402:                              ;   in Loop: Header=BB310_161 Depth=1
	v_bfe_u32 v57, v56, 16, 1
	v_add3_u32 v57, v56, v57, s29
                                        ; implicit-def: $vgpr56
; %bb.403:                              ;   in Loop: Header=BB310_161 Depth=1
	s_andn2_saveexec_b64 s[20:21], s[2:3]
; %bb.404:                              ;   in Loop: Header=BB310_161 Depth=1
	v_or_b32_e32 v57, 0x10000, v56
	v_cmp_eq_u32_sdwa s[2:3], v56, v13 src0_sel:WORD_0 src1_sel:DWORD
	s_nop 1
	v_cndmask_b32_e64 v57, v57, v56, s[2:3]
; %bb.405:                              ;   in Loop: Header=BB310_161 Depth=1
	s_or_b64 exec, exec, s[20:21]
	v_lshrrev_b32_e32 v2, 24, v2
	v_cvt_f32_fp8_sdwa v2, v2 src0_sel:BYTE_0
	s_nop 0
	v_mul_f32_e32 v56, s30, v2
	v_and_b32_e32 v2, 0x7f800000, v56
	v_cmp_ne_u32_e64 s[2:3], s28, v2
                                        ; implicit-def: $vgpr2
	s_and_saveexec_b64 s[20:21], s[2:3]
	s_xor_b64 s[2:3], exec, s[20:21]
; %bb.406:                              ;   in Loop: Header=BB310_161 Depth=1
	v_bfe_u32 v2, v56, 16, 1
	v_add3_u32 v2, v56, v2, s29
                                        ; implicit-def: $vgpr56
; %bb.407:                              ;   in Loop: Header=BB310_161 Depth=1
	s_andn2_saveexec_b64 s[20:21], s[2:3]
; %bb.408:                              ;   in Loop: Header=BB310_161 Depth=1
	v_or_b32_e32 v2, 0x10000, v56
	v_cmp_eq_u32_sdwa s[2:3], v56, v13 src0_sel:WORD_0 src1_sel:DWORD
	s_nop 1
	v_cndmask_b32_e64 v2, v2, v56, s[2:3]
; %bb.409:                              ;   in Loop: Header=BB310_161 Depth=1
	s_or_b64 exec, exec, s[20:21]
	v_and_b32_e32 v56, 0xff, v3
	v_cvt_f32_fp8_sdwa v56, v56 src0_sel:BYTE_0
	s_nop 0
	v_mul_f32_e32 v56, s30, v56
	v_and_b32_e32 v58, 0x7f800000, v56
	v_cmp_ne_u32_e64 s[2:3], s28, v58
                                        ; implicit-def: $vgpr58
	s_and_saveexec_b64 s[20:21], s[2:3]
	s_xor_b64 s[2:3], exec, s[20:21]
; %bb.410:                              ;   in Loop: Header=BB310_161 Depth=1
	v_bfe_u32 v58, v56, 16, 1
	v_add3_u32 v58, v56, v58, s29
                                        ; implicit-def: $vgpr56
; %bb.411:                              ;   in Loop: Header=BB310_161 Depth=1
	s_andn2_saveexec_b64 s[20:21], s[2:3]
; %bb.412:                              ;   in Loop: Header=BB310_161 Depth=1
	v_or_b32_e32 v58, 0x10000, v56
	v_cmp_eq_u32_sdwa s[2:3], v56, v13 src0_sel:WORD_0 src1_sel:DWORD
	s_nop 1
	v_cndmask_b32_e64 v58, v58, v56, s[2:3]
; %bb.413:                              ;   in Loop: Header=BB310_161 Depth=1
	s_or_b64 exec, exec, s[20:21]
	v_bfe_u32 v56, v3, 8, 8
	v_cvt_f32_fp8_sdwa v56, v56 src0_sel:BYTE_0
	s_nop 0
	v_mul_f32_e32 v59, s30, v56
	v_and_b32_e32 v56, 0x7f800000, v59
	v_cmp_ne_u32_e64 s[2:3], s28, v56
                                        ; implicit-def: $vgpr56
	s_and_saveexec_b64 s[20:21], s[2:3]
	s_xor_b64 s[2:3], exec, s[20:21]
; %bb.414:                              ;   in Loop: Header=BB310_161 Depth=1
	v_bfe_u32 v56, v59, 16, 1
	v_add3_u32 v56, v59, v56, s29
                                        ; implicit-def: $vgpr59
; %bb.415:                              ;   in Loop: Header=BB310_161 Depth=1
	s_andn2_saveexec_b64 s[20:21], s[2:3]
; %bb.416:                              ;   in Loop: Header=BB310_161 Depth=1
	v_or_b32_e32 v56, 0x10000, v59
	v_cmp_eq_u32_sdwa s[2:3], v59, v13 src0_sel:WORD_0 src1_sel:DWORD
	s_nop 1
	v_cndmask_b32_e64 v56, v56, v59, s[2:3]
; %bb.417:                              ;   in Loop: Header=BB310_161 Depth=1
	s_or_b64 exec, exec, s[20:21]
	v_bfe_u32 v59, v3, 16, 8
	v_cvt_f32_fp8_sdwa v59, v59 src0_sel:BYTE_0
	s_nop 0
	v_mul_f32_e32 v59, s30, v59
	v_and_b32_e32 v60, 0x7f800000, v59
	v_cmp_ne_u32_e64 s[2:3], s28, v60
                                        ; implicit-def: $vgpr60
	s_and_saveexec_b64 s[20:21], s[2:3]
	s_xor_b64 s[2:3], exec, s[20:21]
; %bb.418:                              ;   in Loop: Header=BB310_161 Depth=1
	v_bfe_u32 v60, v59, 16, 1
	v_add3_u32 v60, v59, v60, s29
                                        ; implicit-def: $vgpr59
; %bb.419:                              ;   in Loop: Header=BB310_161 Depth=1
	s_andn2_saveexec_b64 s[20:21], s[2:3]
; %bb.420:                              ;   in Loop: Header=BB310_161 Depth=1
	v_or_b32_e32 v60, 0x10000, v59
	v_cmp_eq_u32_sdwa s[2:3], v59, v13 src0_sel:WORD_0 src1_sel:DWORD
	s_nop 1
	v_cndmask_b32_e64 v60, v60, v59, s[2:3]
; %bb.421:                              ;   in Loop: Header=BB310_161 Depth=1
	s_or_b64 exec, exec, s[20:21]
	v_lshrrev_b32_e32 v3, 24, v3
	v_cvt_f32_fp8_sdwa v3, v3 src0_sel:BYTE_0
                                        ; implicit-def: $vgpr61
	s_nop 0
	v_mul_f32_e32 v3, s30, v3
	v_and_b32_e32 v59, 0x7f800000, v3
	v_cmp_ne_u32_e64 s[2:3], s28, v59
	s_and_saveexec_b64 s[20:21], s[2:3]
	s_xor_b64 s[2:3], exec, s[20:21]
; %bb.422:                              ;   in Loop: Header=BB310_161 Depth=1
	v_bfe_u32 v59, v3, 16, 1
	v_add3_u32 v61, v3, v59, s29
                                        ; implicit-def: $vgpr3
; %bb.423:                              ;   in Loop: Header=BB310_161 Depth=1
	s_andn2_saveexec_b64 s[20:21], s[2:3]
; %bb.424:                              ;   in Loop: Header=BB310_161 Depth=1
	v_or_b32_e32 v59, 0x10000, v3
	v_cmp_eq_u32_sdwa s[2:3], v3, v13 src0_sel:WORD_0 src1_sel:DWORD
	s_nop 1
	v_cndmask_b32_e64 v61, v59, v3, s[2:3]
; %bb.425:                              ;   in Loop: Header=BB310_161 Depth=1
	s_or_b64 exec, exec, s[20:21]
	v_lshrrev_b32_e32 v56, 16, v56
	v_lshrrev_b32_e32 v58, 16, v58
	;; [unrolled: 1-line block ×8, first 2 shown]
	s_and_saveexec_b64 s[2:3], s[0:1]
	s_cbranch_execz .LBB310_427
; %bb.426:                              ;   in Loop: Header=BB310_161 Depth=1
	v_cmp_gt_i32_e64 s[0:1], s33, v33
	v_add_u32_e32 v60, 1, v33
	s_nop 0
	v_cndmask_b32_e64 v3, 0, v3, s[0:1]
	v_cmp_gt_i32_e64 s[0:1], s33, v60
	v_add_u32_e32 v60, 2, v33
	s_nop 0
	v_cndmask_b32_e64 v55, 0, v55, s[0:1]
	;; [unrolled: 4-line block ×5, first 2 shown]
	v_cmp_gt_i32_e64 s[0:1], s33, v60
	v_add_u32_e32 v60, 6, v33
	v_add_u32_e32 v33, 7, v33
	v_cndmask_b32_e64 v56, 0, v56, s[0:1]
	v_cmp_gt_i32_e64 s[0:1], s33, v60
	s_nop 1
	v_cndmask_b32_e64 v54, 0, v54, s[0:1]
	v_cmp_gt_i32_e64 s[0:1], s33, v33
	s_nop 1
	v_cndmask_b32_e64 v2, 0, v2, s[0:1]
.LBB310_427:                            ;   in Loop: Header=BB310_161 Depth=1
	s_or_b64 exec, exec, s[2:3]
	v_lshlrev_b32_e32 v3, 16, v3
	v_mul_f32_e32 v33, v34, v3
	v_and_b32_e32 v3, 0x7f800000, v33
	v_cmp_ne_u32_e64 s[0:1], s28, v3
                                        ; implicit-def: $vgpr3
	s_and_saveexec_b64 s[2:3], s[0:1]
	s_xor_b64 s[0:1], exec, s[2:3]
; %bb.428:                              ;   in Loop: Header=BB310_161 Depth=1
	v_bfe_u32 v3, v33, 16, 1
	v_add3_u32 v3, v33, v3, s29
                                        ; implicit-def: $vgpr33
; %bb.429:                              ;   in Loop: Header=BB310_161 Depth=1
	s_andn2_saveexec_b64 s[2:3], s[0:1]
; %bb.430:                              ;   in Loop: Header=BB310_161 Depth=1
	v_or_b32_e32 v3, 0x10000, v33
	v_cmp_eq_u32_sdwa s[0:1], v33, v13 src0_sel:WORD_0 src1_sel:DWORD
	s_nop 1
	v_cndmask_b32_e64 v3, v3, v33, s[0:1]
; %bb.431:                              ;   in Loop: Header=BB310_161 Depth=1
	s_or_b64 exec, exec, s[2:3]
	v_lshlrev_b32_e32 v33, 16, v55
	v_mul_f32_e32 v34, v35, v33
	v_and_b32_e32 v33, 0x7f800000, v34
	v_cmp_ne_u32_e64 s[0:1], s28, v33
                                        ; implicit-def: $vgpr33
	s_and_saveexec_b64 s[2:3], s[0:1]
	s_xor_b64 s[0:1], exec, s[2:3]
; %bb.432:                              ;   in Loop: Header=BB310_161 Depth=1
	v_bfe_u32 v33, v34, 16, 1
	v_add3_u32 v33, v34, v33, s29
                                        ; implicit-def: $vgpr34
; %bb.433:                              ;   in Loop: Header=BB310_161 Depth=1
	s_andn2_saveexec_b64 s[2:3], s[0:1]
; %bb.434:                              ;   in Loop: Header=BB310_161 Depth=1
	v_or_b32_e32 v33, 0x10000, v34
	v_cmp_eq_u32_sdwa s[0:1], v34, v13 src0_sel:WORD_0 src1_sel:DWORD
	s_nop 1
	v_cndmask_b32_e64 v33, v33, v34, s[0:1]
; %bb.435:                              ;   in Loop: Header=BB310_161 Depth=1
	s_or_b64 exec, exec, s[2:3]
	v_lshlrev_b32_e32 v34, 16, v57
	v_mul_f32_e32 v35, v36, v34
	v_and_b32_e32 v34, 0x7f800000, v35
	v_cmp_ne_u32_e64 s[0:1], s28, v34
                                        ; implicit-def: $vgpr34
	s_and_saveexec_b64 s[2:3], s[0:1]
	s_xor_b64 s[0:1], exec, s[2:3]
; %bb.436:                              ;   in Loop: Header=BB310_161 Depth=1
	v_bfe_u32 v34, v35, 16, 1
	v_add3_u32 v34, v35, v34, s29
                                        ; implicit-def: $vgpr35
; %bb.437:                              ;   in Loop: Header=BB310_161 Depth=1
	s_andn2_saveexec_b64 s[2:3], s[0:1]
; %bb.438:                              ;   in Loop: Header=BB310_161 Depth=1
	v_or_b32_e32 v34, 0x10000, v35
	v_cmp_eq_u32_sdwa s[0:1], v35, v13 src0_sel:WORD_0 src1_sel:DWORD
	s_nop 1
	v_cndmask_b32_e64 v34, v34, v35, s[0:1]
; %bb.439:                              ;   in Loop: Header=BB310_161 Depth=1
	s_or_b64 exec, exec, s[2:3]
	v_lshlrev_b32_e32 v35, 16, v59
	v_mul_f32_e32 v36, v37, v35
	v_and_b32_e32 v35, 0x7f800000, v36
	v_cmp_ne_u32_e64 s[0:1], s28, v35
                                        ; implicit-def: $vgpr35
	s_and_saveexec_b64 s[2:3], s[0:1]
	s_xor_b64 s[0:1], exec, s[2:3]
; %bb.440:                              ;   in Loop: Header=BB310_161 Depth=1
	v_bfe_u32 v35, v36, 16, 1
	v_add3_u32 v35, v36, v35, s29
                                        ; implicit-def: $vgpr36
; %bb.441:                              ;   in Loop: Header=BB310_161 Depth=1
	s_andn2_saveexec_b64 s[2:3], s[0:1]
; %bb.442:                              ;   in Loop: Header=BB310_161 Depth=1
	v_or_b32_e32 v35, 0x10000, v36
	v_cmp_eq_u32_sdwa s[0:1], v36, v13 src0_sel:WORD_0 src1_sel:DWORD
	s_nop 1
	v_cndmask_b32_e64 v35, v35, v36, s[0:1]
; %bb.443:                              ;   in Loop: Header=BB310_161 Depth=1
	s_or_b64 exec, exec, s[2:3]
	v_lshlrev_b32_e32 v36, 16, v58
	v_mul_f32_e32 v37, v38, v36
	v_and_b32_e32 v36, 0x7f800000, v37
	v_cmp_ne_u32_e64 s[0:1], s28, v36
                                        ; implicit-def: $vgpr36
	s_and_saveexec_b64 s[2:3], s[0:1]
	s_xor_b64 s[0:1], exec, s[2:3]
; %bb.444:                              ;   in Loop: Header=BB310_161 Depth=1
	v_bfe_u32 v36, v37, 16, 1
	v_add3_u32 v36, v37, v36, s29
                                        ; implicit-def: $vgpr37
; %bb.445:                              ;   in Loop: Header=BB310_161 Depth=1
	s_andn2_saveexec_b64 s[2:3], s[0:1]
; %bb.446:                              ;   in Loop: Header=BB310_161 Depth=1
	v_or_b32_e32 v36, 0x10000, v37
	v_cmp_eq_u32_sdwa s[0:1], v37, v13 src0_sel:WORD_0 src1_sel:DWORD
	s_nop 1
	v_cndmask_b32_e64 v36, v36, v37, s[0:1]
; %bb.447:                              ;   in Loop: Header=BB310_161 Depth=1
	s_or_b64 exec, exec, s[2:3]
	v_lshlrev_b32_e32 v37, 16, v56
	v_mul_f32_e32 v38, v39, v37
	v_and_b32_e32 v37, 0x7f800000, v38
	v_cmp_ne_u32_e64 s[0:1], s28, v37
                                        ; implicit-def: $vgpr37
	s_and_saveexec_b64 s[2:3], s[0:1]
	s_xor_b64 s[0:1], exec, s[2:3]
; %bb.448:                              ;   in Loop: Header=BB310_161 Depth=1
	v_bfe_u32 v37, v38, 16, 1
	v_add3_u32 v37, v38, v37, s29
                                        ; implicit-def: $vgpr38
; %bb.449:                              ;   in Loop: Header=BB310_161 Depth=1
	s_andn2_saveexec_b64 s[2:3], s[0:1]
; %bb.450:                              ;   in Loop: Header=BB310_161 Depth=1
	v_or_b32_e32 v37, 0x10000, v38
	v_cmp_eq_u32_sdwa s[0:1], v38, v13 src0_sel:WORD_0 src1_sel:DWORD
	s_nop 1
	v_cndmask_b32_e64 v37, v37, v38, s[0:1]
; %bb.451:                              ;   in Loop: Header=BB310_161 Depth=1
	s_or_b64 exec, exec, s[2:3]
	v_lshlrev_b32_e32 v38, 16, v54
	v_mul_f32_e32 v39, v40, v38
	v_and_b32_e32 v38, 0x7f800000, v39
	v_cmp_ne_u32_e64 s[0:1], s28, v38
                                        ; implicit-def: $vgpr38
	s_and_saveexec_b64 s[2:3], s[0:1]
	s_xor_b64 s[0:1], exec, s[2:3]
; %bb.452:                              ;   in Loop: Header=BB310_161 Depth=1
	v_bfe_u32 v38, v39, 16, 1
	v_add3_u32 v38, v39, v38, s29
                                        ; implicit-def: $vgpr39
; %bb.453:                              ;   in Loop: Header=BB310_161 Depth=1
	s_andn2_saveexec_b64 s[2:3], s[0:1]
; %bb.454:                              ;   in Loop: Header=BB310_161 Depth=1
	v_or_b32_e32 v38, 0x10000, v39
	v_cmp_eq_u32_sdwa s[0:1], v39, v13 src0_sel:WORD_0 src1_sel:DWORD
	s_nop 1
	v_cndmask_b32_e64 v38, v38, v39, s[0:1]
; %bb.455:                              ;   in Loop: Header=BB310_161 Depth=1
	s_or_b64 exec, exec, s[2:3]
	v_lshlrev_b32_e32 v2, 16, v2
	v_mul_f32_e32 v2, v41, v2
	v_and_b32_e32 v39, 0x7f800000, v2
	v_cmp_ne_u32_e64 s[0:1], s28, v39
                                        ; implicit-def: $vgpr39
	s_and_saveexec_b64 s[2:3], s[0:1]
	s_xor_b64 s[0:1], exec, s[2:3]
; %bb.456:                              ;   in Loop: Header=BB310_161 Depth=1
	v_bfe_u32 v39, v2, 16, 1
	v_add3_u32 v39, v2, v39, s29
                                        ; implicit-def: $vgpr2
; %bb.457:                              ;   in Loop: Header=BB310_161 Depth=1
	s_andn2_saveexec_b64 s[2:3], s[0:1]
	s_cbranch_execz .LBB310_158
; %bb.458:                              ;   in Loop: Header=BB310_161 Depth=1
	v_or_b32_e32 v39, 0x10000, v2
	v_cmp_eq_u32_sdwa s[0:1], v2, v13 src0_sel:WORD_0 src1_sel:DWORD
	s_nop 1
	v_cndmask_b32_e64 v39, v39, v2, s[0:1]
	s_branch .LBB310_158
.LBB310_459:
	s_or_b64 exec, exec, s[12:13]
.LBB310_460:
	s_or_b64 exec, exec, s[8:9]
	ds_bpermute_b32 v2, v20, v14
	ds_bpermute_b32 v3, v20, v15
	;; [unrolled: 1-line block ×4, first 2 shown]
	v_and_b32_e32 v1, 0x3c0, v0
	v_cmp_eq_u32_e32 vcc, 64, v1
	s_waitcnt lgkmcnt(2)
	v_pk_add_f32 v[4:5], v[14:15], v[2:3]
	s_waitcnt lgkmcnt(0)
	v_pk_add_f32 v[2:3], v[10:11], v[6:7]
	s_barrier
	s_and_saveexec_b64 s[2:3], vcc
	s_cbranch_execz .LBB310_465
; %bb.461:
	v_cmp_eq_u32_e32 vcc, 0, v21
	s_and_saveexec_b64 s[0:1], vcc
	s_cbranch_execz .LBB310_463
; %bb.462:
	v_mov_b32_e32 v1, 0xf0
	v_lshl_add_u32 v1, v22, 2, v1
	ds_write2_b32 v1, v4, v5 offset1:32
	ds_write_b32 v1, v2 offset:256
.LBB310_463:
	s_or_b64 exec, exec, s[0:1]
	v_or_b32_e32 v1, 0x60, v22
	s_movk_i32 s0, 0x70
	v_cmp_gt_u32_e64 s[0:1], s0, v1
	s_and_b64 s[0:1], vcc, s[0:1]
	s_and_b64 exec, exec, s[0:1]
	s_cbranch_execz .LBB310_465
; %bb.464:
	v_mov_b32_e32 v1, 0xf0
	v_lshl_add_u32 v1, v22, 2, v1
	ds_write_b32 v1, v3 offset:384
.LBB310_465:
	s_or_b64 exec, exec, s[2:3]
	v_cmp_gt_u32_e32 vcc, 64, v0
	v_lshrrev_b32_e32 v6, 1, v0
	s_waitcnt lgkmcnt(0)
	s_barrier
	s_and_saveexec_b64 s[6:7], vcc
	s_cbranch_execz .LBB310_473
; %bb.466:
	v_cmp_eq_u32_e64 s[0:1], 0, v21
	s_and_saveexec_b64 s[2:3], s[0:1]
	s_cbranch_execnz .LBB310_495
; %bb.467:
	s_or_b64 exec, exec, s[2:3]
	s_and_saveexec_b64 s[2:3], s[0:1]
	s_cbranch_execnz .LBB310_496
.LBB310_468:
	s_or_b64 exec, exec, s[2:3]
	s_and_saveexec_b64 s[2:3], s[0:1]
	s_cbranch_execz .LBB310_470
.LBB310_469:
	v_mov_b32_e32 v0, 0xf0
	v_lshl_add_u32 v0, v6, 2, v0
	ds_read_b32 v0, v0 offset:256
	s_waitcnt lgkmcnt(0)
	v_add_f32_e32 v2, v2, v0
.LBB310_470:
	s_or_b64 exec, exec, s[2:3]
	v_or_b32_e32 v0, 0x60, v6
	s_movk_i32 s2, 0x70
	v_cmp_gt_u32_e64 s[2:3], s2, v0
	s_and_b64 s[2:3], s[0:1], s[2:3]
	s_and_saveexec_b64 s[0:1], s[2:3]
	s_cbranch_execz .LBB310_472
; %bb.471:
	v_mov_b32_e32 v0, 0xf0
	v_lshl_add_u32 v0, v6, 2, v0
	ds_read_b32 v0, v0 offset:384
	s_waitcnt lgkmcnt(0)
	v_add_f32_e32 v3, v3, v0
.LBB310_472:
	s_or_b64 exec, exec, s[0:1]
.LBB310_473:
	s_or_b64 exec, exec, s[6:7]
	s_barrier
	s_and_saveexec_b64 s[0:1], vcc
	s_cbranch_execz .LBB310_494
; %bb.474:
	s_mul_i32 s0, s10, s11
	s_mul_i32 s0, s0, s5
	s_mulk_i32 s0, 0x70
	s_ashr_i32 s1, s0, 31
	s_lshl_b64 s[0:1], s[0:1], 1
	s_add_u32 s2, s26, s0
	s_mul_i32 s0, s11, s24
	s_addc_u32 s3, s27, s1
	s_ashr_i32 s1, s0, 31
	s_lshl_b64 s[0:1], s[0:1], 1
	s_add_u32 s2, s2, s0
	s_mul_i32 s0, s4, 0x70
	s_addc_u32 s3, s3, s1
	s_ashr_i32 s1, s0, 31
	s_lshl_b64 s[0:1], s[0:1], 1
	s_add_u32 s2, s2, s0
	s_addc_u32 s3, s3, s1
	v_cmp_eq_u32_e32 vcc, 0, v21
	s_and_saveexec_b64 s[4:5], vcc
	s_cbranch_execz .LBB310_488
; %bb.475:
	s_mov_b32 s0, 0x7f800000
	v_and_b32_e32 v0, 0x7f800000, v4
	v_cmp_ne_u32_e64 s[0:1], s0, v0
                                        ; implicit-def: $vgpr7
	s_and_saveexec_b64 s[6:7], s[0:1]
	s_xor_b64 s[0:1], exec, s[6:7]
; %bb.476:
	v_bfe_u32 v0, v4, 16, 1
	s_movk_i32 s6, 0x7fff
	v_add3_u32 v7, v4, v0, s6
; %bb.477:
	s_andn2_saveexec_b64 s[6:7], s[0:1]
; %bb.478:
	v_mov_b32_e32 v0, 0
	v_or_b32_e32 v1, 0x10000, v4
	v_cmp_eq_u32_sdwa s[0:1], v4, v0 src0_sel:WORD_0 src1_sel:DWORD
	s_nop 1
	v_cndmask_b32_e64 v7, v1, v4, s[0:1]
; %bb.479:
	s_or_b64 exec, exec, s[6:7]
	s_mov_b32 s0, 0x7f800000
	v_and_b32_e32 v4, 0x7f800000, v5
	v_lshlrev_b32_e32 v0, 1, v6
	v_mov_b32_e32 v1, 0
	v_cmp_ne_u32_e64 s[0:1], s0, v4
	global_store_short_d16_hi v0, v7, s[2:3]
                                        ; implicit-def: $vgpr4
	s_and_saveexec_b64 s[6:7], s[0:1]
	s_xor_b64 s[0:1], exec, s[6:7]
; %bb.480:
	v_bfe_u32 v4, v5, 16, 1
	s_movk_i32 s6, 0x7fff
	v_add3_u32 v4, v5, v4, s6
; %bb.481:
	s_or_saveexec_b64 s[6:7], s[0:1]
	v_lshl_add_u64 v[0:1], s[2:3], 0, v[0:1]
	s_xor_b64 exec, exec, s[6:7]
; %bb.482:
	v_mov_b32_e32 v4, 0
	v_or_b32_e32 v7, 0x10000, v5
	v_cmp_eq_u32_sdwa s[0:1], v5, v4 src0_sel:WORD_0 src1_sel:DWORD
	s_nop 1
	v_cndmask_b32_e64 v4, v7, v5, s[0:1]
; %bb.483:
	s_or_b64 exec, exec, s[6:7]
	global_store_short_d16_hi v[0:1], v4, off offset:64
	s_mov_b32 s0, 0x7f800000
	v_and_b32_e32 v4, 0x7f800000, v2
	v_cmp_ne_u32_e64 s[0:1], s0, v4
                                        ; implicit-def: $vgpr4
	s_and_saveexec_b64 s[6:7], s[0:1]
	s_xor_b64 s[0:1], exec, s[6:7]
; %bb.484:
	v_bfe_u32 v4, v2, 16, 1
	s_movk_i32 s6, 0x7fff
	v_add3_u32 v4, v2, v4, s6
; %bb.485:
	s_andn2_saveexec_b64 s[6:7], s[0:1]
; %bb.486:
	v_mov_b32_e32 v4, 0
	v_or_b32_e32 v5, 0x10000, v2
	v_cmp_eq_u32_sdwa s[0:1], v2, v4 src0_sel:WORD_0 src1_sel:DWORD
	s_nop 1
	v_cndmask_b32_e64 v4, v5, v2, s[0:1]
; %bb.487:
	s_or_b64 exec, exec, s[6:7]
	global_store_short_d16_hi v[0:1], v4, off offset:128
.LBB310_488:
	s_or_b64 exec, exec, s[4:5]
	v_or_b32_e32 v0, 0x60, v6
	s_movk_i32 s0, 0x70
	v_cmp_gt_u32_e64 s[0:1], s0, v0
	s_and_b64 s[0:1], vcc, s[0:1]
	s_and_b64 exec, exec, s[0:1]
	s_cbranch_execz .LBB310_494
; %bb.489:
	s_mov_b32 s0, 0x7f800000
	v_and_b32_e32 v0, 0x7f800000, v3
	v_cmp_ne_u32_e32 vcc, s0, v0
                                        ; implicit-def: $vgpr4
	s_and_saveexec_b64 s[0:1], vcc
	s_xor_b64 s[0:1], exec, s[0:1]
; %bb.490:
	v_bfe_u32 v0, v3, 16, 1
	s_movk_i32 s4, 0x7fff
	v_add3_u32 v4, v3, v0, s4
                                        ; implicit-def: $vgpr0_vgpr1_vgpr2_vgpr3
; %bb.491:
	s_andn2_saveexec_b64 s[0:1], s[0:1]
; %bb.492:
	v_mov_b32_e32 v0, 0
	v_or_b32_e32 v1, 0x10000, v3
	v_cmp_eq_u32_sdwa vcc, v3, v0 src0_sel:WORD_0 src1_sel:DWORD
	s_nop 1
	v_cndmask_b32_e32 v4, v1, v3, vcc
; %bb.493:
	s_or_b64 exec, exec, s[0:1]
	v_lshlrev_b32_e32 v0, 1, v6
	global_store_short_d16_hi v0, v4, s[2:3] offset:192
.LBB310_494:
	s_endpgm
.LBB310_495:
	v_mov_b32_e32 v0, 0xf0
	v_lshl_add_u32 v0, v6, 2, v0
	ds_read_b32 v0, v0
	s_waitcnt lgkmcnt(0)
	v_add_f32_e32 v4, v4, v0
	s_or_b64 exec, exec, s[2:3]
	s_and_saveexec_b64 s[2:3], s[0:1]
	s_cbranch_execz .LBB310_468
.LBB310_496:
	v_mov_b32_e32 v0, 0xf0
	v_lshl_add_u32 v0, v6, 2, v0
	ds_read_b32 v0, v0 offset:128
	s_waitcnt lgkmcnt(0)
	v_add_f32_e32 v5, v5, v0
	s_or_b64 exec, exec, s[2:3]
	s_and_saveexec_b64 s[2:3], s[0:1]
	s_cbranch_execnz .LBB310_469
	s_branch .LBB310_470
	.section	.rodata,"a",@progbits
	.p2align	6, 0x0
	.amdhsa_kernel _ZN4vllm25paged_attention_v1_kernelI14__hip_bfloat16hLi112ELi16ELi128ELNS_18Fp8KVCacheDataTypeE1ELb1EEEvPT_PKS3_PKT0_S9_ifPKiSB_iPKfiiiSD_SD_iiiii
		.amdhsa_group_segment_fixed_size 240
		.amdhsa_private_segment_fixed_size 0
		.amdhsa_kernarg_size 384
		.amdhsa_user_sgpr_count 2
		.amdhsa_user_sgpr_dispatch_ptr 0
		.amdhsa_user_sgpr_queue_ptr 0
		.amdhsa_user_sgpr_kernarg_segment_ptr 1
		.amdhsa_user_sgpr_dispatch_id 0
		.amdhsa_user_sgpr_kernarg_preload_length 0
		.amdhsa_user_sgpr_kernarg_preload_offset 0
		.amdhsa_user_sgpr_private_segment_size 0
		.amdhsa_uses_dynamic_stack 0
		.amdhsa_enable_private_segment 0
		.amdhsa_system_sgpr_workgroup_id_x 1
		.amdhsa_system_sgpr_workgroup_id_y 1
		.amdhsa_system_sgpr_workgroup_id_z 1
		.amdhsa_system_sgpr_workgroup_info 0
		.amdhsa_system_vgpr_workitem_id 0
		.amdhsa_next_free_vgpr 79
		.amdhsa_next_free_sgpr 52
		.amdhsa_accum_offset 80
		.amdhsa_reserve_vcc 1
		.amdhsa_float_round_mode_32 0
		.amdhsa_float_round_mode_16_64 0
		.amdhsa_float_denorm_mode_32 3
		.amdhsa_float_denorm_mode_16_64 3
		.amdhsa_dx10_clamp 1
		.amdhsa_ieee_mode 1
		.amdhsa_fp16_overflow 0
		.amdhsa_tg_split 0
		.amdhsa_exception_fp_ieee_invalid_op 0
		.amdhsa_exception_fp_denorm_src 0
		.amdhsa_exception_fp_ieee_div_zero 0
		.amdhsa_exception_fp_ieee_overflow 0
		.amdhsa_exception_fp_ieee_underflow 0
		.amdhsa_exception_fp_ieee_inexact 0
		.amdhsa_exception_int_div_zero 0
	.end_amdhsa_kernel
	.section	.text._ZN4vllm25paged_attention_v1_kernelI14__hip_bfloat16hLi112ELi16ELi128ELNS_18Fp8KVCacheDataTypeE1ELb1EEEvPT_PKS3_PKT0_S9_ifPKiSB_iPKfiiiSD_SD_iiiii,"axG",@progbits,_ZN4vllm25paged_attention_v1_kernelI14__hip_bfloat16hLi112ELi16ELi128ELNS_18Fp8KVCacheDataTypeE1ELb1EEEvPT_PKS3_PKT0_S9_ifPKiSB_iPKfiiiSD_SD_iiiii,comdat
.Lfunc_end310:
	.size	_ZN4vllm25paged_attention_v1_kernelI14__hip_bfloat16hLi112ELi16ELi128ELNS_18Fp8KVCacheDataTypeE1ELb1EEEvPT_PKS3_PKT0_S9_ifPKiSB_iPKfiiiSD_SD_iiiii, .Lfunc_end310-_ZN4vllm25paged_attention_v1_kernelI14__hip_bfloat16hLi112ELi16ELi128ELNS_18Fp8KVCacheDataTypeE1ELb1EEEvPT_PKS3_PKT0_S9_ifPKiSB_iPKfiiiSD_SD_iiiii
                                        ; -- End function
	.section	.AMDGPU.csdata,"",@progbits
; Kernel info:
; codeLenInByte = 15856
; NumSgprs: 58
; NumVgprs: 79
; NumAgprs: 0
; TotalNumVgprs: 79
; ScratchSize: 0
; MemoryBound: 0
; FloatMode: 240
; IeeeMode: 1
; LDSByteSize: 240 bytes/workgroup (compile time only)
; SGPRBlocks: 7
; VGPRBlocks: 9
; NumSGPRsForWavesPerEU: 58
; NumVGPRsForWavesPerEU: 79
; AccumOffset: 80
; Occupancy: 6
; WaveLimiterHint : 1
; COMPUTE_PGM_RSRC2:SCRATCH_EN: 0
; COMPUTE_PGM_RSRC2:USER_SGPR: 2
; COMPUTE_PGM_RSRC2:TRAP_HANDLER: 0
; COMPUTE_PGM_RSRC2:TGID_X_EN: 1
; COMPUTE_PGM_RSRC2:TGID_Y_EN: 1
; COMPUTE_PGM_RSRC2:TGID_Z_EN: 1
; COMPUTE_PGM_RSRC2:TIDIG_COMP_CNT: 0
; COMPUTE_PGM_RSRC3_GFX90A:ACCUM_OFFSET: 19
; COMPUTE_PGM_RSRC3_GFX90A:TG_SPLIT: 0
	.section	.text._ZN4vllm25paged_attention_v1_kernelI14__hip_bfloat16hLi120ELi16ELi128ELNS_18Fp8KVCacheDataTypeE1ELb1EEEvPT_PKS3_PKT0_S9_ifPKiSB_iPKfiiiSD_SD_iiiii,"axG",@progbits,_ZN4vllm25paged_attention_v1_kernelI14__hip_bfloat16hLi120ELi16ELi128ELNS_18Fp8KVCacheDataTypeE1ELb1EEEvPT_PKS3_PKT0_S9_ifPKiSB_iPKfiiiSD_SD_iiiii,comdat
	.protected	_ZN4vllm25paged_attention_v1_kernelI14__hip_bfloat16hLi120ELi16ELi128ELNS_18Fp8KVCacheDataTypeE1ELb1EEEvPT_PKS3_PKT0_S9_ifPKiSB_iPKfiiiSD_SD_iiiii ; -- Begin function _ZN4vllm25paged_attention_v1_kernelI14__hip_bfloat16hLi120ELi16ELi128ELNS_18Fp8KVCacheDataTypeE1ELb1EEEvPT_PKS3_PKT0_S9_ifPKiSB_iPKfiiiSD_SD_iiiii
	.globl	_ZN4vllm25paged_attention_v1_kernelI14__hip_bfloat16hLi120ELi16ELi128ELNS_18Fp8KVCacheDataTypeE1ELb1EEEvPT_PKS3_PKT0_S9_ifPKiSB_iPKfiiiSD_SD_iiiii
	.p2align	8
	.type	_ZN4vllm25paged_attention_v1_kernelI14__hip_bfloat16hLi120ELi16ELi128ELNS_18Fp8KVCacheDataTypeE1ELb1EEEvPT_PKS3_PKT0_S9_ifPKiSB_iPKfiiiSD_SD_iiiii,@function
_ZN4vllm25paged_attention_v1_kernelI14__hip_bfloat16hLi120ELi16ELi128ELNS_18Fp8KVCacheDataTypeE1ELb1EEEvPT_PKS3_PKT0_S9_ifPKiSB_iPKfiiiSD_SD_iiiii: ; @_ZN4vllm25paged_attention_v1_kernelI14__hip_bfloat16hLi120ELi16ELi128ELNS_18Fp8KVCacheDataTypeE1ELb1EEEvPT_PKS3_PKT0_S9_ifPKiSB_iPKfiiiSD_SD_iiiii
; %bb.0:
	s_load_dword s5, s[0:1], 0x80
	s_load_dwordx2 s[6:7], s[0:1], 0x30
	s_load_dwordx2 s[36:37], s[0:1], 0x20
	s_mov_b32 s10, s3
	s_ashr_i32 s11, s3, 31
	s_lshl_b64 s[8:9], s[10:11], 2
	s_waitcnt lgkmcnt(0)
	s_add_u32 s6, s6, s8
	s_addc_u32 s7, s7, s9
	s_abs_i32 s3, s36
	v_cvt_f32_u32_e32 v1, s3
	s_sub_i32 s11, 0, s3
	s_abs_i32 s9, s5
	s_xor_b32 s8, s5, s36
	v_rcp_iflag_f32_e32 v1, v1
	s_ashr_i32 s8, s8, 31
	s_mov_b32 s44, 0
	v_mul_f32_e32 v1, 0x4f7ffffe, v1
	v_cvt_u32_f32_e32 v1, v1
	s_nop 0
	v_readfirstlane_b32 s12, v1
	s_mul_i32 s11, s11, s12
	s_mul_hi_u32 s11, s12, s11
	s_add_i32 s12, s12, s11
	s_mul_hi_u32 s11, s9, s12
	s_mul_i32 s12, s11, s3
	s_sub_i32 s9, s9, s12
	s_add_i32 s12, s11, 1
	s_sub_i32 s13, s9, s3
	s_cmp_ge_u32 s9, s3
	s_cselect_b32 s11, s12, s11
	s_cselect_b32 s9, s13, s9
	s_add_i32 s12, s11, 1
	s_cmp_ge_u32 s9, s3
	s_cselect_b32 s3, s12, s11
	s_xor_b32 s3, s3, s8
	s_sub_i32 s14, s3, s8
	s_abs_i32 s11, s14
	v_cvt_f32_u32_e32 v1, s11
	s_load_dwordx2 s[8:9], s[0:1], 0x40
	s_sub_i32 s3, 0, s11
	s_abs_i32 s12, s2
	v_rcp_iflag_f32_e32 v1, v1
	s_nop 0
	v_mul_f32_e32 v1, 0x4f7ffffe, v1
	v_cvt_u32_f32_e32 v1, v1
	s_nop 0
	v_readfirstlane_b32 s13, v1
	s_mul_i32 s3, s3, s13
	s_mul_hi_u32 s3, s13, s3
	s_add_i32 s13, s13, s3
	s_waitcnt lgkmcnt(0)
	s_cmp_eq_u64 s[8:9], 0
	s_mul_hi_u32 s13, s12, s13
	s_cbranch_scc1 .LBB311_2
; %bb.1:
	s_ashr_i32 s3, s2, 31
	s_lshl_b64 s[16:17], s[2:3], 2
	s_add_u32 s8, s8, s16
	s_addc_u32 s9, s9, s17
	s_load_dword s44, s[8:9], 0x0
.LBB311_2:
	s_load_dword s33, s[6:7], 0x0
	s_load_dwordx4 s[16:19], s[0:1], 0x48
	s_ashr_i32 s3, s2, 31
	s_ashr_i32 s9, s14, 31
	v_and_b32_e32 v6, 3, v0
	s_mul_i32 s24, s2, 0x78
	v_cmp_gt_u32_e32 vcc, 60, v0
	s_and_saveexec_b64 s[6:7], vcc
	s_cbranch_execz .LBB311_4
; %bb.3:
	s_load_dwordx2 s[14:15], s[0:1], 0x8
	s_waitcnt lgkmcnt(0)
	s_mul_i32 s20, s10, s16
	s_ashr_i32 s21, s20, 31
	s_lshl_b64 s[20:21], s[20:21], 1
	v_lshlrev_b32_e32 v1, 2, v0
	s_add_u32 s8, s14, s20
	s_addc_u32 s16, s15, s21
	s_ashr_i32 s25, s24, 31
	s_lshl_b64 s[14:15], s[24:25], 1
	s_add_u32 s14, s8, s14
	s_addc_u32 s15, s16, s15
	global_load_dword v1, v1, s[14:15]
	v_and_b32_e32 v2, 0x3fc, v0
	v_mad_u32_u24 v2, v6, 60, v2
	s_waitcnt vmcnt(0)
	ds_write_b32 v2, v1
.LBB311_4:
	s_or_b64 exec, exec, s[6:7]
	s_mul_i32 s6, s13, s11
	s_sub_i32 s6, s12, s6
	s_xor_b32 s3, s3, s9
	s_add_i32 s7, s13, 1
	s_sub_i32 s9, s6, s11
	s_load_dwordx4 s[20:23], s[0:1], 0x68
	s_load_dword s8, s[0:1], 0x78
	s_cmp_ge_u32 s6, s11
	s_cselect_b32 s7, s7, s13
	s_cselect_b32 s6, s9, s6
	s_add_i32 s9, s7, 1
	s_cmp_ge_u32 s6, s11
	s_cselect_b32 s6, s9, s7
	s_waitcnt lgkmcnt(0)
	s_abs_i32 s25, s23
	v_cvt_f32_u32_e32 v1, s25
	s_xor_b32 s6, s6, s3
	s_sub_i32 s3, s6, s3
	s_sub_i32 s6, 0, s25
	v_rcp_iflag_f32_e32 v1, v1
	s_add_i32 s11, s33, -1
	s_abs_i32 s9, s11
	v_mul_f32_e32 v1, 0x4f7ffffe, v1
	v_cvt_u32_f32_e32 v1, v1
	s_barrier
	v_readfirstlane_b32 s42, v1
	s_mul_i32 s6, s6, s42
	s_mul_hi_u32 s6, s42, s6
	s_add_i32 s42, s42, s6
	s_cmp_lt_i32 s8, 0
	s_mul_hi_u32 s16, s9, s42
	s_cbranch_scc0 .LBB311_6
; %bb.5:
	s_mul_i32 s6, s20, s36
	s_add_i32 s6, s3, s6
	s_mul_i32 s6, s6, s8
	s_sub_i32 s36, 1, s6
	s_mov_b64 s[6:7], 0
	s_branch .LBB311_7
.LBB311_6:
	s_mov_b64 s[6:7], -1
                                        ; implicit-def: $sgpr36
.LBB311_7:
	s_load_dwordx2 s[28:29], s[0:1], 0x28
	s_ashr_i32 s19, s11, 31
	s_andn2_b64 vcc, exec, s[6:7]
	s_ashr_i32 s23, s23, 31
	s_cbranch_vccnz .LBB311_9
; %bb.8:
	s_mul_i32 s6, s5, s20
	s_add_i32 s2, s6, s2
	s_mul_i32 s2, s2, s8
	s_add_i32 s36, s2, 1
.LBB311_9:
	s_load_dword s2, s[0:1], 0x38
	s_load_dwordx2 s[26:27], s[0:1], 0x0
	s_load_dwordx2 s[34:35], s[0:1], 0x18
	s_load_dword s11, s[0:1], 0x88
	s_load_dwordx4 s[12:15], s[0:1], 0x58
	s_mul_i32 s6, s16, s25
	s_waitcnt lgkmcnt(0)
	s_mul_i32 s30, s10, s2
	s_sub_i32 s6, s9, s6
	s_ashr_i32 s31, s30, 31
	s_xor_b32 s2, s19, s23
	s_add_i32 s7, s16, 1
	s_sub_i32 s8, s6, s25
	s_cmp_ge_u32 s6, s25
	s_cselect_b32 s7, s7, s16
	s_cselect_b32 s6, s8, s6
	s_add_i32 s8, s7, 1
	s_cmp_ge_u32 s6, s25
	s_cselect_b32 s6, s8, s7
	s_xor_b32 s6, s6, s2
	s_sub_i32 s16, s6, s2
	s_add_i32 s2, s33, 15
	s_ashr_i32 s6, s2, 31
	s_lshr_b32 s6, s6, 28
	s_add_i32 s2, s2, s6
	s_ashr_i32 s43, s2, 4
	v_lshrrev_b32_e32 v1, 6, v0
	v_cmp_gt_i32_e64 s[6:7], s43, v1
	v_mov_b32_e32 v29, 0xff7fffff
	s_mul_i32 s20, s3, s18
	v_lshrrev_b32_e32 v26, 4, v0
	v_lshlrev_b32_e32 v24, 4, v1
	v_mbcnt_lo_u32_b32 v25, -1, 0
	s_and_saveexec_b64 s[18:19], s[6:7]
	s_cbranch_execz .LBB311_139
; %bb.10:
	s_load_dwordx2 s[0:1], s[0:1], 0x10
	s_sub_i32 s45, s16, s21
	s_ashr_i32 s2, s20, 31
	v_bfe_u32 v27, v0, 2, 4
	v_mov_b32_e32 v3, 0
	s_waitcnt lgkmcnt(0)
	s_add_u32 s0, s0, s20
	s_addc_u32 s1, s1, s2
	s_abs_i32 s46, s22
	v_cvt_f32_u32_e32 v2, s46
	v_cmp_eq_u32_e32 vcc, 0, v6
	v_mul_u32_u24_e32 v28, 60, v6
	v_lshlrev_b32_e32 v8, 2, v27
	v_rcp_iflag_f32_e32 v4, v2
	v_lshlrev_b32_e32 v2, 4, v27
	v_lshl_or_b32 v8, v1, 6, v8
	v_add_u32_e32 v32, 0x100, v8
	v_mul_f32_e32 v4, 0x4f7ffffe, v4
	v_cvt_u32_f32_e32 v7, v4
	v_lshl_add_u64 v[4:5], s[0:1], 0, v[2:3]
	s_sub_i32 s0, 0, s46
	v_lshlrev_b32_e32 v2, 1, v6
	v_mul_lo_u32 v6, s0, v7
	s_lshl_b64 s[0:1], s[30:31], 2
	v_mul_hi_u32 v6, v7, v6
	s_add_u32 s0, s28, s0
	v_add_u32_e32 v30, v7, v6
	v_and_b32_e32 v6, 60, v26
	v_mov_b32_e32 v7, v3
	s_addc_u32 s1, s29, s1
	v_subrev_u32_e32 v8, s33, v27
	s_mov_b32 s47, s17
	v_cmp_neq_f32_e64 s[2:3], s44, 0
	v_lshl_add_u64 v[6:7], s[0:1], 0, v[6:7]
	v_lshlrev_b32_e32 v31, 4, v1
	v_add_u32_e32 v33, 1, v8
	s_mov_b64 s[38:39], 0
	v_mov_b32_e32 v34, 0xff7fffff
	s_mov_b32 s48, 0xffff
	s_mov_b32 s49, 0x7f800000
	s_movk_i32 s50, 0x7fff
	v_mbcnt_hi_u32_b32 v35, -1, v25
	v_mov_b32_e32 v29, 0xff7fffff
	v_mov_b32_e32 v36, v1
	s_branch .LBB311_13
.LBB311_11:                             ;   in Loop: Header=BB311_13 Depth=1
	s_or_b64 exec, exec, s[40:41]
.LBB311_12:                             ;   in Loop: Header=BB311_13 Depth=1
	s_or_b64 exec, exec, s[8:9]
	v_add_u32_e32 v36, 2, v36
	v_cmp_le_i32_e64 s[0:1], s43, v36
	v_lshl_add_u64 v[6:7], v[6:7], 0, 8
	v_add_u32_e32 v31, 32, v31
	s_or_b64 s[38:39], s[0:1], s[38:39]
	v_add_u32_e32 v32, 0x80, v32
	s_andn2_b64 exec, exec, s[38:39]
	s_cbranch_execz .LBB311_138
.LBB311_13:                             ; =>This Inner Loop Header: Depth=1
	v_mul_hi_u32 v8, v31, s42
	s_waitcnt lgkmcnt(0)
	v_mul_lo_u32 v9, v8, s25
	v_sub_u32_e32 v9, v31, v9
	v_add_u32_e32 v10, 1, v8
	v_cmp_le_u32_e64 s[0:1], s25, v9
	s_nop 1
	v_cndmask_b32_e64 v8, v8, v10, s[0:1]
	v_subrev_u32_e32 v10, s25, v9
	v_cndmask_b32_e64 v9, v9, v10, s[0:1]
	v_add_u32_e32 v10, 1, v8
	v_cmp_le_u32_e64 s[0:1], s25, v9
	s_nop 1
	v_cndmask_b32_e64 v8, v8, v10, s[0:1]
	v_xor_b32_e32 v8, s23, v8
	v_subrev_u32_e32 v8, s23, v8
	v_add_u32_e32 v9, s36, v8
	v_sub_u32_e32 v11, 0, v9
	v_ashrrev_i32_e32 v10, 31, v9
	v_max_i32_e32 v9, v9, v11
	v_mul_hi_u32 v11, v9, v30
	v_mul_lo_u32 v11, v11, s46
	v_sub_u32_e32 v9, v9, v11
	v_subrev_u32_e32 v11, s46, v9
	v_cmp_le_u32_e64 s[0:1], s46, v9
	v_cmp_ge_i32_e64 s[8:9], s45, v8
	s_nop 0
	v_cndmask_b32_e64 v9, v9, v11, s[0:1]
	v_subrev_u32_e32 v11, s46, v9
	v_cmp_le_u32_e64 s[0:1], s46, v9
	s_nop 1
	v_cndmask_b32_e64 v9, v9, v11, s[0:1]
	v_xor_b32_e32 v9, v9, v10
	v_sub_u32_e32 v9, v9, v10
	v_cmp_ne_u32_e64 s[0:1], 0, v9
	s_and_b64 s[0:1], s[0:1], s[8:9]
	s_and_b64 s[40:41], vcc, s[0:1]
	s_and_saveexec_b64 s[8:9], s[40:41]
	s_cbranch_execz .LBB311_15
; %bb.14:                               ;   in Loop: Header=BB311_13 Depth=1
	ds_write_b32 v32, v34
.LBB311_15:                             ;   in Loop: Header=BB311_13 Depth=1
	s_or_b64 exec, exec, s[8:9]
	s_xor_b64 s[0:1], s[0:1], -1
	s_and_saveexec_b64 s[8:9], s[0:1]
	s_cbranch_execz .LBB311_12
; %bb.16:                               ;   in Loop: Header=BB311_13 Depth=1
	global_load_dword v8, v[6:7], off
	s_waitcnt vmcnt(0)
	v_mad_i64_i32 v[8:9], s[0:1], v8, s47, v[4:5]
	v_lshl_add_u64 v[22:23], v[8:9], 0, v[2:3]
	global_load_ushort v39, v[22:23], off
	ds_read2_b32 v[20:21], v28 offset1:1
	ds_read2_b32 v[16:17], v28 offset0:2 offset1:3
	ds_read2_b32 v[12:13], v28 offset0:4 offset1:5
	;; [unrolled: 1-line block ×3, first 2 shown]
	s_load_dword s51, s[12:13], 0x0
	s_waitcnt vmcnt(0)
	v_and_b32_sdwa v10, s48, v39 dst_sel:DWORD dst_unused:UNUSED_PAD src0_sel:DWORD src1_sel:BYTE_0
	v_cvt_f32_fp8_sdwa v38, v10 src0_sel:BYTE_0
	ds_read2_b32 v[18:19], v28 offset0:8 offset1:9
	ds_read2_b32 v[14:15], v28 offset0:10 offset1:11
	;; [unrolled: 1-line block ×3, first 2 shown]
	ds_read_b32 v37, v28 offset:56
	s_waitcnt lgkmcnt(0)
	v_mul_f32_e32 v40, s51, v38
	v_and_b32_e32 v38, 0x7f800000, v40
	v_cmp_ne_u32_e64 s[0:1], s49, v38
                                        ; implicit-def: $vgpr38
	s_and_saveexec_b64 s[40:41], s[0:1]
	s_xor_b64 s[0:1], exec, s[40:41]
; %bb.17:                               ;   in Loop: Header=BB311_13 Depth=1
	v_bfe_u32 v38, v40, 16, 1
	v_add3_u32 v38, v40, v38, s50
                                        ; implicit-def: $vgpr40
; %bb.18:                               ;   in Loop: Header=BB311_13 Depth=1
	s_andn2_saveexec_b64 s[40:41], s[0:1]
; %bb.19:                               ;   in Loop: Header=BB311_13 Depth=1
	v_or_b32_e32 v38, 0x10000, v40
	v_cmp_eq_u32_sdwa s[0:1], v40, v3 src0_sel:WORD_0 src1_sel:DWORD
	s_nop 1
	v_cndmask_b32_e64 v38, v38, v40, s[0:1]
; %bb.20:                               ;   in Loop: Header=BB311_13 Depth=1
	s_or_b64 exec, exec, s[40:41]
	v_lshrrev_b16_e32 v39, 8, v39
	v_cvt_f32_fp8_sdwa v39, v39 src0_sel:BYTE_0
	s_nop 0
	v_mul_f32_e32 v40, s51, v39
	v_and_b32_e32 v39, 0x7f800000, v40
	v_cmp_ne_u32_e64 s[0:1], s49, v39
                                        ; implicit-def: $vgpr39
	s_and_saveexec_b64 s[40:41], s[0:1]
	s_xor_b64 s[0:1], exec, s[40:41]
; %bb.21:                               ;   in Loop: Header=BB311_13 Depth=1
	v_bfe_u32 v39, v40, 16, 1
	v_add3_u32 v39, v40, v39, s50
                                        ; implicit-def: $vgpr40
; %bb.22:                               ;   in Loop: Header=BB311_13 Depth=1
	s_andn2_saveexec_b64 s[40:41], s[0:1]
; %bb.23:                               ;   in Loop: Header=BB311_13 Depth=1
	v_or_b32_e32 v39, 0x10000, v40
	v_cmp_eq_u32_sdwa s[0:1], v40, v3 src0_sel:WORD_0 src1_sel:DWORD
	s_nop 1
	v_cndmask_b32_e64 v39, v39, v40, s[0:1]
; %bb.24:                               ;   in Loop: Header=BB311_13 Depth=1
	s_or_b64 exec, exec, s[40:41]
	global_load_ushort v41, v[22:23], off offset:8
	s_waitcnt vmcnt(0)
	v_and_b32_sdwa v40, s48, v41 dst_sel:DWORD dst_unused:UNUSED_PAD src0_sel:DWORD src1_sel:BYTE_0
	v_cvt_f32_fp8_sdwa v40, v40 src0_sel:BYTE_0
	s_nop 0
	v_mul_f32_e32 v42, s51, v40
	v_and_b32_e32 v40, 0x7f800000, v42
	v_cmp_ne_u32_e64 s[0:1], s49, v40
                                        ; implicit-def: $vgpr40
	s_and_saveexec_b64 s[40:41], s[0:1]
	s_xor_b64 s[0:1], exec, s[40:41]
; %bb.25:                               ;   in Loop: Header=BB311_13 Depth=1
	v_bfe_u32 v40, v42, 16, 1
	v_add3_u32 v40, v42, v40, s50
                                        ; implicit-def: $vgpr42
; %bb.26:                               ;   in Loop: Header=BB311_13 Depth=1
	s_andn2_saveexec_b64 s[40:41], s[0:1]
; %bb.27:                               ;   in Loop: Header=BB311_13 Depth=1
	v_or_b32_e32 v40, 0x10000, v42
	v_cmp_eq_u32_sdwa s[0:1], v42, v3 src0_sel:WORD_0 src1_sel:DWORD
	s_nop 1
	v_cndmask_b32_e64 v40, v40, v42, s[0:1]
; %bb.28:                               ;   in Loop: Header=BB311_13 Depth=1
	s_or_b64 exec, exec, s[40:41]
	v_lshrrev_b16_e32 v41, 8, v41
	v_cvt_f32_fp8_sdwa v41, v41 src0_sel:BYTE_0
	s_nop 0
	v_mul_f32_e32 v42, s51, v41
	v_and_b32_e32 v41, 0x7f800000, v42
	v_cmp_ne_u32_e64 s[0:1], s49, v41
                                        ; implicit-def: $vgpr41
	s_and_saveexec_b64 s[40:41], s[0:1]
	s_xor_b64 s[0:1], exec, s[40:41]
; %bb.29:                               ;   in Loop: Header=BB311_13 Depth=1
	v_bfe_u32 v41, v42, 16, 1
	v_add3_u32 v41, v42, v41, s50
                                        ; implicit-def: $vgpr42
; %bb.30:                               ;   in Loop: Header=BB311_13 Depth=1
	s_andn2_saveexec_b64 s[40:41], s[0:1]
; %bb.31:                               ;   in Loop: Header=BB311_13 Depth=1
	v_or_b32_e32 v41, 0x10000, v42
	v_cmp_eq_u32_sdwa s[0:1], v42, v3 src0_sel:WORD_0 src1_sel:DWORD
	s_nop 1
	v_cndmask_b32_e64 v41, v41, v42, s[0:1]
; %bb.32:                               ;   in Loop: Header=BB311_13 Depth=1
	s_or_b64 exec, exec, s[40:41]
	global_load_ushort v43, v[22:23], off offset:256
	s_waitcnt vmcnt(0)
	v_and_b32_sdwa v42, s48, v43 dst_sel:DWORD dst_unused:UNUSED_PAD src0_sel:DWORD src1_sel:BYTE_0
	v_cvt_f32_fp8_sdwa v42, v42 src0_sel:BYTE_0
	s_nop 0
	v_mul_f32_e32 v44, s51, v42
	v_and_b32_e32 v42, 0x7f800000, v44
	v_cmp_ne_u32_e64 s[0:1], s49, v42
                                        ; implicit-def: $vgpr42
	s_and_saveexec_b64 s[40:41], s[0:1]
	s_xor_b64 s[0:1], exec, s[40:41]
; %bb.33:                               ;   in Loop: Header=BB311_13 Depth=1
	v_bfe_u32 v42, v44, 16, 1
	v_add3_u32 v42, v44, v42, s50
                                        ; implicit-def: $vgpr44
; %bb.34:                               ;   in Loop: Header=BB311_13 Depth=1
	s_andn2_saveexec_b64 s[40:41], s[0:1]
; %bb.35:                               ;   in Loop: Header=BB311_13 Depth=1
	v_or_b32_e32 v42, 0x10000, v44
	v_cmp_eq_u32_sdwa s[0:1], v44, v3 src0_sel:WORD_0 src1_sel:DWORD
	s_nop 1
	v_cndmask_b32_e64 v42, v42, v44, s[0:1]
; %bb.36:                               ;   in Loop: Header=BB311_13 Depth=1
	s_or_b64 exec, exec, s[40:41]
	v_lshrrev_b16_e32 v43, 8, v43
	v_cvt_f32_fp8_sdwa v43, v43 src0_sel:BYTE_0
	s_nop 0
	v_mul_f32_e32 v44, s51, v43
	v_and_b32_e32 v43, 0x7f800000, v44
	v_cmp_ne_u32_e64 s[0:1], s49, v43
                                        ; implicit-def: $vgpr43
	s_and_saveexec_b64 s[40:41], s[0:1]
	s_xor_b64 s[0:1], exec, s[40:41]
; %bb.37:                               ;   in Loop: Header=BB311_13 Depth=1
	v_bfe_u32 v43, v44, 16, 1
	v_add3_u32 v43, v44, v43, s50
                                        ; implicit-def: $vgpr44
; %bb.38:                               ;   in Loop: Header=BB311_13 Depth=1
	s_andn2_saveexec_b64 s[40:41], s[0:1]
; %bb.39:                               ;   in Loop: Header=BB311_13 Depth=1
	v_or_b32_e32 v43, 0x10000, v44
	v_cmp_eq_u32_sdwa s[0:1], v44, v3 src0_sel:WORD_0 src1_sel:DWORD
	s_nop 1
	v_cndmask_b32_e64 v43, v43, v44, s[0:1]
; %bb.40:                               ;   in Loop: Header=BB311_13 Depth=1
	s_or_b64 exec, exec, s[40:41]
	global_load_ushort v45, v[22:23], off offset:264
	s_waitcnt vmcnt(0)
	v_and_b32_sdwa v44, s48, v45 dst_sel:DWORD dst_unused:UNUSED_PAD src0_sel:DWORD src1_sel:BYTE_0
	v_cvt_f32_fp8_sdwa v44, v44 src0_sel:BYTE_0
	s_nop 0
	v_mul_f32_e32 v46, s51, v44
	v_and_b32_e32 v44, 0x7f800000, v46
	v_cmp_ne_u32_e64 s[0:1], s49, v44
                                        ; implicit-def: $vgpr44
	s_and_saveexec_b64 s[40:41], s[0:1]
	s_xor_b64 s[0:1], exec, s[40:41]
; %bb.41:                               ;   in Loop: Header=BB311_13 Depth=1
	v_bfe_u32 v44, v46, 16, 1
	v_add3_u32 v44, v46, v44, s50
                                        ; implicit-def: $vgpr46
; %bb.42:                               ;   in Loop: Header=BB311_13 Depth=1
	s_andn2_saveexec_b64 s[40:41], s[0:1]
; %bb.43:                               ;   in Loop: Header=BB311_13 Depth=1
	v_or_b32_e32 v44, 0x10000, v46
	v_cmp_eq_u32_sdwa s[0:1], v46, v3 src0_sel:WORD_0 src1_sel:DWORD
	s_nop 1
	v_cndmask_b32_e64 v44, v44, v46, s[0:1]
; %bb.44:                               ;   in Loop: Header=BB311_13 Depth=1
	s_or_b64 exec, exec, s[40:41]
	v_lshrrev_b16_e32 v45, 8, v45
	v_cvt_f32_fp8_sdwa v45, v45 src0_sel:BYTE_0
	s_nop 0
	v_mul_f32_e32 v46, s51, v45
	v_and_b32_e32 v45, 0x7f800000, v46
	v_cmp_ne_u32_e64 s[0:1], s49, v45
                                        ; implicit-def: $vgpr45
	s_and_saveexec_b64 s[40:41], s[0:1]
	s_xor_b64 s[0:1], exec, s[40:41]
; %bb.45:                               ;   in Loop: Header=BB311_13 Depth=1
	v_bfe_u32 v45, v46, 16, 1
	v_add3_u32 v45, v46, v45, s50
                                        ; implicit-def: $vgpr46
; %bb.46:                               ;   in Loop: Header=BB311_13 Depth=1
	s_andn2_saveexec_b64 s[40:41], s[0:1]
; %bb.47:                               ;   in Loop: Header=BB311_13 Depth=1
	v_or_b32_e32 v45, 0x10000, v46
	v_cmp_eq_u32_sdwa s[0:1], v46, v3 src0_sel:WORD_0 src1_sel:DWORD
	s_nop 1
	v_cndmask_b32_e64 v45, v45, v46, s[0:1]
; %bb.48:                               ;   in Loop: Header=BB311_13 Depth=1
	s_or_b64 exec, exec, s[40:41]
	global_load_ushort v47, v[22:23], off offset:512
	s_waitcnt vmcnt(0)
	v_and_b32_sdwa v46, s48, v47 dst_sel:DWORD dst_unused:UNUSED_PAD src0_sel:DWORD src1_sel:BYTE_0
	v_cvt_f32_fp8_sdwa v46, v46 src0_sel:BYTE_0
	s_nop 0
	v_mul_f32_e32 v48, s51, v46
	v_and_b32_e32 v46, 0x7f800000, v48
	v_cmp_ne_u32_e64 s[0:1], s49, v46
                                        ; implicit-def: $vgpr46
	s_and_saveexec_b64 s[40:41], s[0:1]
	s_xor_b64 s[0:1], exec, s[40:41]
; %bb.49:                               ;   in Loop: Header=BB311_13 Depth=1
	v_bfe_u32 v46, v48, 16, 1
	v_add3_u32 v46, v48, v46, s50
                                        ; implicit-def: $vgpr48
; %bb.50:                               ;   in Loop: Header=BB311_13 Depth=1
	s_andn2_saveexec_b64 s[40:41], s[0:1]
; %bb.51:                               ;   in Loop: Header=BB311_13 Depth=1
	v_or_b32_e32 v46, 0x10000, v48
	v_cmp_eq_u32_sdwa s[0:1], v48, v3 src0_sel:WORD_0 src1_sel:DWORD
	s_nop 1
	v_cndmask_b32_e64 v46, v46, v48, s[0:1]
; %bb.52:                               ;   in Loop: Header=BB311_13 Depth=1
	s_or_b64 exec, exec, s[40:41]
	v_lshrrev_b16_e32 v47, 8, v47
	v_cvt_f32_fp8_sdwa v47, v47 src0_sel:BYTE_0
	s_nop 0
	v_mul_f32_e32 v48, s51, v47
	v_and_b32_e32 v47, 0x7f800000, v48
	v_cmp_ne_u32_e64 s[0:1], s49, v47
                                        ; implicit-def: $vgpr47
	s_and_saveexec_b64 s[40:41], s[0:1]
	s_xor_b64 s[0:1], exec, s[40:41]
; %bb.53:                               ;   in Loop: Header=BB311_13 Depth=1
	v_bfe_u32 v47, v48, 16, 1
	v_add3_u32 v47, v48, v47, s50
                                        ; implicit-def: $vgpr48
; %bb.54:                               ;   in Loop: Header=BB311_13 Depth=1
	s_andn2_saveexec_b64 s[40:41], s[0:1]
; %bb.55:                               ;   in Loop: Header=BB311_13 Depth=1
	v_or_b32_e32 v47, 0x10000, v48
	v_cmp_eq_u32_sdwa s[0:1], v48, v3 src0_sel:WORD_0 src1_sel:DWORD
	s_nop 1
	v_cndmask_b32_e64 v47, v47, v48, s[0:1]
; %bb.56:                               ;   in Loop: Header=BB311_13 Depth=1
	s_or_b64 exec, exec, s[40:41]
	global_load_ushort v49, v[22:23], off offset:520
	s_waitcnt vmcnt(0)
	v_and_b32_sdwa v48, s48, v49 dst_sel:DWORD dst_unused:UNUSED_PAD src0_sel:DWORD src1_sel:BYTE_0
	v_cvt_f32_fp8_sdwa v48, v48 src0_sel:BYTE_0
	s_nop 0
	v_mul_f32_e32 v50, s51, v48
	v_and_b32_e32 v48, 0x7f800000, v50
	v_cmp_ne_u32_e64 s[0:1], s49, v48
                                        ; implicit-def: $vgpr48
	s_and_saveexec_b64 s[40:41], s[0:1]
	s_xor_b64 s[0:1], exec, s[40:41]
; %bb.57:                               ;   in Loop: Header=BB311_13 Depth=1
	v_bfe_u32 v48, v50, 16, 1
	v_add3_u32 v48, v50, v48, s50
                                        ; implicit-def: $vgpr50
; %bb.58:                               ;   in Loop: Header=BB311_13 Depth=1
	s_andn2_saveexec_b64 s[40:41], s[0:1]
; %bb.59:                               ;   in Loop: Header=BB311_13 Depth=1
	v_or_b32_e32 v48, 0x10000, v50
	v_cmp_eq_u32_sdwa s[0:1], v50, v3 src0_sel:WORD_0 src1_sel:DWORD
	s_nop 1
	v_cndmask_b32_e64 v48, v48, v50, s[0:1]
; %bb.60:                               ;   in Loop: Header=BB311_13 Depth=1
	s_or_b64 exec, exec, s[40:41]
	v_lshrrev_b16_e32 v49, 8, v49
	v_cvt_f32_fp8_sdwa v49, v49 src0_sel:BYTE_0
	s_nop 0
	v_mul_f32_e32 v50, s51, v49
	v_and_b32_e32 v49, 0x7f800000, v50
	v_cmp_ne_u32_e64 s[0:1], s49, v49
                                        ; implicit-def: $vgpr49
	s_and_saveexec_b64 s[40:41], s[0:1]
	s_xor_b64 s[0:1], exec, s[40:41]
; %bb.61:                               ;   in Loop: Header=BB311_13 Depth=1
	v_bfe_u32 v49, v50, 16, 1
	v_add3_u32 v49, v50, v49, s50
                                        ; implicit-def: $vgpr50
; %bb.62:                               ;   in Loop: Header=BB311_13 Depth=1
	s_andn2_saveexec_b64 s[40:41], s[0:1]
; %bb.63:                               ;   in Loop: Header=BB311_13 Depth=1
	v_or_b32_e32 v49, 0x10000, v50
	v_cmp_eq_u32_sdwa s[0:1], v50, v3 src0_sel:WORD_0 src1_sel:DWORD
	s_nop 1
	v_cndmask_b32_e64 v49, v49, v50, s[0:1]
; %bb.64:                               ;   in Loop: Header=BB311_13 Depth=1
	s_or_b64 exec, exec, s[40:41]
	global_load_ushort v51, v[22:23], off offset:768
	s_waitcnt vmcnt(0)
	v_and_b32_sdwa v50, s48, v51 dst_sel:DWORD dst_unused:UNUSED_PAD src0_sel:DWORD src1_sel:BYTE_0
	v_cvt_f32_fp8_sdwa v50, v50 src0_sel:BYTE_0
	s_nop 0
	v_mul_f32_e32 v52, s51, v50
	v_and_b32_e32 v50, 0x7f800000, v52
	v_cmp_ne_u32_e64 s[0:1], s49, v50
                                        ; implicit-def: $vgpr50
	s_and_saveexec_b64 s[40:41], s[0:1]
	s_xor_b64 s[0:1], exec, s[40:41]
; %bb.65:                               ;   in Loop: Header=BB311_13 Depth=1
	v_bfe_u32 v50, v52, 16, 1
	v_add3_u32 v50, v52, v50, s50
                                        ; implicit-def: $vgpr52
; %bb.66:                               ;   in Loop: Header=BB311_13 Depth=1
	s_andn2_saveexec_b64 s[40:41], s[0:1]
; %bb.67:                               ;   in Loop: Header=BB311_13 Depth=1
	v_or_b32_e32 v50, 0x10000, v52
	v_cmp_eq_u32_sdwa s[0:1], v52, v3 src0_sel:WORD_0 src1_sel:DWORD
	s_nop 1
	v_cndmask_b32_e64 v50, v50, v52, s[0:1]
; %bb.68:                               ;   in Loop: Header=BB311_13 Depth=1
	s_or_b64 exec, exec, s[40:41]
	v_lshrrev_b16_e32 v51, 8, v51
	v_cvt_f32_fp8_sdwa v51, v51 src0_sel:BYTE_0
	s_nop 0
	v_mul_f32_e32 v52, s51, v51
	v_and_b32_e32 v51, 0x7f800000, v52
	v_cmp_ne_u32_e64 s[0:1], s49, v51
                                        ; implicit-def: $vgpr51
	s_and_saveexec_b64 s[40:41], s[0:1]
	s_xor_b64 s[0:1], exec, s[40:41]
; %bb.69:                               ;   in Loop: Header=BB311_13 Depth=1
	v_bfe_u32 v51, v52, 16, 1
	v_add3_u32 v51, v52, v51, s50
                                        ; implicit-def: $vgpr52
; %bb.70:                               ;   in Loop: Header=BB311_13 Depth=1
	s_andn2_saveexec_b64 s[40:41], s[0:1]
; %bb.71:                               ;   in Loop: Header=BB311_13 Depth=1
	v_or_b32_e32 v51, 0x10000, v52
	v_cmp_eq_u32_sdwa s[0:1], v52, v3 src0_sel:WORD_0 src1_sel:DWORD
	s_nop 1
	v_cndmask_b32_e64 v51, v51, v52, s[0:1]
; %bb.72:                               ;   in Loop: Header=BB311_13 Depth=1
	s_or_b64 exec, exec, s[40:41]
	global_load_ushort v53, v[22:23], off offset:776
	s_waitcnt vmcnt(0)
	v_and_b32_sdwa v52, s48, v53 dst_sel:DWORD dst_unused:UNUSED_PAD src0_sel:DWORD src1_sel:BYTE_0
	v_cvt_f32_fp8_sdwa v52, v52 src0_sel:BYTE_0
	s_nop 0
	v_mul_f32_e32 v54, s51, v52
	v_and_b32_e32 v52, 0x7f800000, v54
	v_cmp_ne_u32_e64 s[0:1], s49, v52
                                        ; implicit-def: $vgpr52
	s_and_saveexec_b64 s[40:41], s[0:1]
	s_xor_b64 s[0:1], exec, s[40:41]
; %bb.73:                               ;   in Loop: Header=BB311_13 Depth=1
	v_bfe_u32 v52, v54, 16, 1
	v_add3_u32 v52, v54, v52, s50
                                        ; implicit-def: $vgpr54
; %bb.74:                               ;   in Loop: Header=BB311_13 Depth=1
	s_andn2_saveexec_b64 s[40:41], s[0:1]
; %bb.75:                               ;   in Loop: Header=BB311_13 Depth=1
	v_or_b32_e32 v52, 0x10000, v54
	v_cmp_eq_u32_sdwa s[0:1], v54, v3 src0_sel:WORD_0 src1_sel:DWORD
	s_nop 1
	v_cndmask_b32_e64 v52, v52, v54, s[0:1]
; %bb.76:                               ;   in Loop: Header=BB311_13 Depth=1
	s_or_b64 exec, exec, s[40:41]
	v_lshrrev_b16_e32 v53, 8, v53
	v_cvt_f32_fp8_sdwa v53, v53 src0_sel:BYTE_0
	s_nop 0
	v_mul_f32_e32 v54, s51, v53
	v_and_b32_e32 v53, 0x7f800000, v54
	v_cmp_ne_u32_e64 s[0:1], s49, v53
                                        ; implicit-def: $vgpr53
	s_and_saveexec_b64 s[40:41], s[0:1]
	s_xor_b64 s[0:1], exec, s[40:41]
; %bb.77:                               ;   in Loop: Header=BB311_13 Depth=1
	v_bfe_u32 v53, v54, 16, 1
	v_add3_u32 v53, v54, v53, s50
                                        ; implicit-def: $vgpr54
; %bb.78:                               ;   in Loop: Header=BB311_13 Depth=1
	s_andn2_saveexec_b64 s[40:41], s[0:1]
; %bb.79:                               ;   in Loop: Header=BB311_13 Depth=1
	v_or_b32_e32 v53, 0x10000, v54
	v_cmp_eq_u32_sdwa s[0:1], v54, v3 src0_sel:WORD_0 src1_sel:DWORD
	s_nop 1
	v_cndmask_b32_e64 v53, v53, v54, s[0:1]
; %bb.80:                               ;   in Loop: Header=BB311_13 Depth=1
	s_or_b64 exec, exec, s[40:41]
	global_load_ushort v55, v[22:23], off offset:1024
	s_waitcnt vmcnt(0)
	v_and_b32_sdwa v54, s48, v55 dst_sel:DWORD dst_unused:UNUSED_PAD src0_sel:DWORD src1_sel:BYTE_0
	v_cvt_f32_fp8_sdwa v54, v54 src0_sel:BYTE_0
	s_nop 0
	v_mul_f32_e32 v56, s51, v54
	v_and_b32_e32 v54, 0x7f800000, v56
	v_cmp_ne_u32_e64 s[0:1], s49, v54
                                        ; implicit-def: $vgpr54
	s_and_saveexec_b64 s[40:41], s[0:1]
	s_xor_b64 s[0:1], exec, s[40:41]
; %bb.81:                               ;   in Loop: Header=BB311_13 Depth=1
	v_bfe_u32 v54, v56, 16, 1
	v_add3_u32 v54, v56, v54, s50
                                        ; implicit-def: $vgpr56
; %bb.82:                               ;   in Loop: Header=BB311_13 Depth=1
	s_andn2_saveexec_b64 s[40:41], s[0:1]
; %bb.83:                               ;   in Loop: Header=BB311_13 Depth=1
	v_or_b32_e32 v54, 0x10000, v56
	v_cmp_eq_u32_sdwa s[0:1], v56, v3 src0_sel:WORD_0 src1_sel:DWORD
	s_nop 1
	v_cndmask_b32_e64 v54, v54, v56, s[0:1]
; %bb.84:                               ;   in Loop: Header=BB311_13 Depth=1
	s_or_b64 exec, exec, s[40:41]
	v_lshrrev_b16_e32 v55, 8, v55
	v_cvt_f32_fp8_sdwa v55, v55 src0_sel:BYTE_0
	s_nop 0
	v_mul_f32_e32 v56, s51, v55
	v_and_b32_e32 v55, 0x7f800000, v56
	v_cmp_ne_u32_e64 s[0:1], s49, v55
                                        ; implicit-def: $vgpr55
	s_and_saveexec_b64 s[40:41], s[0:1]
	s_xor_b64 s[0:1], exec, s[40:41]
; %bb.85:                               ;   in Loop: Header=BB311_13 Depth=1
	v_bfe_u32 v55, v56, 16, 1
	v_add3_u32 v55, v56, v55, s50
                                        ; implicit-def: $vgpr56
; %bb.86:                               ;   in Loop: Header=BB311_13 Depth=1
	s_andn2_saveexec_b64 s[40:41], s[0:1]
; %bb.87:                               ;   in Loop: Header=BB311_13 Depth=1
	v_or_b32_e32 v55, 0x10000, v56
	v_cmp_eq_u32_sdwa s[0:1], v56, v3 src0_sel:WORD_0 src1_sel:DWORD
	s_nop 1
	v_cndmask_b32_e64 v55, v55, v56, s[0:1]
; %bb.88:                               ;   in Loop: Header=BB311_13 Depth=1
	s_or_b64 exec, exec, s[40:41]
	global_load_ushort v57, v[22:23], off offset:1032
	s_waitcnt vmcnt(0)
	v_and_b32_sdwa v56, s48, v57 dst_sel:DWORD dst_unused:UNUSED_PAD src0_sel:DWORD src1_sel:BYTE_0
	v_cvt_f32_fp8_sdwa v56, v56 src0_sel:BYTE_0
	s_nop 0
	v_mul_f32_e32 v58, s51, v56
	v_and_b32_e32 v56, 0x7f800000, v58
	v_cmp_ne_u32_e64 s[0:1], s49, v56
                                        ; implicit-def: $vgpr56
	s_and_saveexec_b64 s[40:41], s[0:1]
	s_xor_b64 s[0:1], exec, s[40:41]
; %bb.89:                               ;   in Loop: Header=BB311_13 Depth=1
	v_bfe_u32 v56, v58, 16, 1
	v_add3_u32 v56, v58, v56, s50
                                        ; implicit-def: $vgpr58
; %bb.90:                               ;   in Loop: Header=BB311_13 Depth=1
	s_andn2_saveexec_b64 s[40:41], s[0:1]
; %bb.91:                               ;   in Loop: Header=BB311_13 Depth=1
	v_or_b32_e32 v56, 0x10000, v58
	v_cmp_eq_u32_sdwa s[0:1], v58, v3 src0_sel:WORD_0 src1_sel:DWORD
	s_nop 1
	v_cndmask_b32_e64 v56, v56, v58, s[0:1]
; %bb.92:                               ;   in Loop: Header=BB311_13 Depth=1
	s_or_b64 exec, exec, s[40:41]
	v_lshrrev_b16_e32 v57, 8, v57
	v_cvt_f32_fp8_sdwa v57, v57 src0_sel:BYTE_0
	s_nop 0
	v_mul_f32_e32 v58, s51, v57
	v_and_b32_e32 v57, 0x7f800000, v58
	v_cmp_ne_u32_e64 s[0:1], s49, v57
                                        ; implicit-def: $vgpr57
	s_and_saveexec_b64 s[40:41], s[0:1]
	s_xor_b64 s[0:1], exec, s[40:41]
; %bb.93:                               ;   in Loop: Header=BB311_13 Depth=1
	v_bfe_u32 v57, v58, 16, 1
	v_add3_u32 v57, v58, v57, s50
                                        ; implicit-def: $vgpr58
; %bb.94:                               ;   in Loop: Header=BB311_13 Depth=1
	s_andn2_saveexec_b64 s[40:41], s[0:1]
; %bb.95:                               ;   in Loop: Header=BB311_13 Depth=1
	v_or_b32_e32 v57, 0x10000, v58
	v_cmp_eq_u32_sdwa s[0:1], v58, v3 src0_sel:WORD_0 src1_sel:DWORD
	s_nop 1
	v_cndmask_b32_e64 v57, v57, v58, s[0:1]
; %bb.96:                               ;   in Loop: Header=BB311_13 Depth=1
	s_or_b64 exec, exec, s[40:41]
	global_load_ushort v59, v[22:23], off offset:1280
	s_waitcnt vmcnt(0)
	v_and_b32_sdwa v58, s48, v59 dst_sel:DWORD dst_unused:UNUSED_PAD src0_sel:DWORD src1_sel:BYTE_0
	v_cvt_f32_fp8_sdwa v58, v58 src0_sel:BYTE_0
	s_nop 0
	v_mul_f32_e32 v60, s51, v58
	v_and_b32_e32 v58, 0x7f800000, v60
	v_cmp_ne_u32_e64 s[0:1], s49, v58
                                        ; implicit-def: $vgpr58
	s_and_saveexec_b64 s[40:41], s[0:1]
	s_xor_b64 s[0:1], exec, s[40:41]
; %bb.97:                               ;   in Loop: Header=BB311_13 Depth=1
	v_bfe_u32 v58, v60, 16, 1
	v_add3_u32 v58, v60, v58, s50
                                        ; implicit-def: $vgpr60
; %bb.98:                               ;   in Loop: Header=BB311_13 Depth=1
	s_andn2_saveexec_b64 s[40:41], s[0:1]
; %bb.99:                               ;   in Loop: Header=BB311_13 Depth=1
	v_or_b32_e32 v58, 0x10000, v60
	v_cmp_eq_u32_sdwa s[0:1], v60, v3 src0_sel:WORD_0 src1_sel:DWORD
	s_nop 1
	v_cndmask_b32_e64 v58, v58, v60, s[0:1]
; %bb.100:                              ;   in Loop: Header=BB311_13 Depth=1
	s_or_b64 exec, exec, s[40:41]
	v_lshrrev_b16_e32 v59, 8, v59
	v_cvt_f32_fp8_sdwa v59, v59 src0_sel:BYTE_0
	s_nop 0
	v_mul_f32_e32 v60, s51, v59
	v_and_b32_e32 v59, 0x7f800000, v60
	v_cmp_ne_u32_e64 s[0:1], s49, v59
                                        ; implicit-def: $vgpr59
	s_and_saveexec_b64 s[40:41], s[0:1]
	s_xor_b64 s[0:1], exec, s[40:41]
; %bb.101:                              ;   in Loop: Header=BB311_13 Depth=1
	v_bfe_u32 v59, v60, 16, 1
	v_add3_u32 v59, v60, v59, s50
                                        ; implicit-def: $vgpr60
; %bb.102:                              ;   in Loop: Header=BB311_13 Depth=1
	s_andn2_saveexec_b64 s[40:41], s[0:1]
; %bb.103:                              ;   in Loop: Header=BB311_13 Depth=1
	v_or_b32_e32 v59, 0x10000, v60
	v_cmp_eq_u32_sdwa s[0:1], v60, v3 src0_sel:WORD_0 src1_sel:DWORD
	s_nop 1
	v_cndmask_b32_e64 v59, v59, v60, s[0:1]
; %bb.104:                              ;   in Loop: Header=BB311_13 Depth=1
	s_or_b64 exec, exec, s[40:41]
	global_load_ushort v61, v[22:23], off offset:1288
	s_waitcnt vmcnt(0)
	v_and_b32_sdwa v60, s48, v61 dst_sel:DWORD dst_unused:UNUSED_PAD src0_sel:DWORD src1_sel:BYTE_0
	v_cvt_f32_fp8_sdwa v60, v60 src0_sel:BYTE_0
	s_nop 0
	v_mul_f32_e32 v62, s51, v60
	v_and_b32_e32 v60, 0x7f800000, v62
	v_cmp_ne_u32_e64 s[0:1], s49, v60
                                        ; implicit-def: $vgpr60
	s_and_saveexec_b64 s[40:41], s[0:1]
	s_xor_b64 s[0:1], exec, s[40:41]
; %bb.105:                              ;   in Loop: Header=BB311_13 Depth=1
	v_bfe_u32 v60, v62, 16, 1
	v_add3_u32 v60, v62, v60, s50
                                        ; implicit-def: $vgpr62
; %bb.106:                              ;   in Loop: Header=BB311_13 Depth=1
	s_andn2_saveexec_b64 s[40:41], s[0:1]
; %bb.107:                              ;   in Loop: Header=BB311_13 Depth=1
	v_or_b32_e32 v60, 0x10000, v62
	v_cmp_eq_u32_sdwa s[0:1], v62, v3 src0_sel:WORD_0 src1_sel:DWORD
	s_nop 1
	v_cndmask_b32_e64 v60, v60, v62, s[0:1]
; %bb.108:                              ;   in Loop: Header=BB311_13 Depth=1
	s_or_b64 exec, exec, s[40:41]
	v_lshrrev_b16_e32 v61, 8, v61
	v_cvt_f32_fp8_sdwa v61, v61 src0_sel:BYTE_0
	s_nop 0
	v_mul_f32_e32 v62, s51, v61
	v_and_b32_e32 v61, 0x7f800000, v62
	v_cmp_ne_u32_e64 s[0:1], s49, v61
                                        ; implicit-def: $vgpr61
	s_and_saveexec_b64 s[40:41], s[0:1]
	s_xor_b64 s[0:1], exec, s[40:41]
; %bb.109:                              ;   in Loop: Header=BB311_13 Depth=1
	v_bfe_u32 v61, v62, 16, 1
	v_add3_u32 v61, v62, v61, s50
                                        ; implicit-def: $vgpr62
; %bb.110:                              ;   in Loop: Header=BB311_13 Depth=1
	s_andn2_saveexec_b64 s[40:41], s[0:1]
; %bb.111:                              ;   in Loop: Header=BB311_13 Depth=1
	v_or_b32_e32 v61, 0x10000, v62
	v_cmp_eq_u32_sdwa s[0:1], v62, v3 src0_sel:WORD_0 src1_sel:DWORD
	s_nop 1
	v_cndmask_b32_e64 v61, v61, v62, s[0:1]
; %bb.112:                              ;   in Loop: Header=BB311_13 Depth=1
	s_or_b64 exec, exec, s[40:41]
	global_load_ushort v63, v[22:23], off offset:1536
	s_waitcnt vmcnt(0)
	v_and_b32_sdwa v62, s48, v63 dst_sel:DWORD dst_unused:UNUSED_PAD src0_sel:DWORD src1_sel:BYTE_0
	v_cvt_f32_fp8_sdwa v62, v62 src0_sel:BYTE_0
	s_nop 0
	v_mul_f32_e32 v64, s51, v62
	v_and_b32_e32 v62, 0x7f800000, v64
	v_cmp_ne_u32_e64 s[0:1], s49, v62
                                        ; implicit-def: $vgpr62
	s_and_saveexec_b64 s[40:41], s[0:1]
	s_xor_b64 s[0:1], exec, s[40:41]
; %bb.113:                              ;   in Loop: Header=BB311_13 Depth=1
	v_bfe_u32 v62, v64, 16, 1
	v_add3_u32 v62, v64, v62, s50
                                        ; implicit-def: $vgpr64
; %bb.114:                              ;   in Loop: Header=BB311_13 Depth=1
	s_andn2_saveexec_b64 s[40:41], s[0:1]
; %bb.115:                              ;   in Loop: Header=BB311_13 Depth=1
	v_or_b32_e32 v62, 0x10000, v64
	v_cmp_eq_u32_sdwa s[0:1], v64, v3 src0_sel:WORD_0 src1_sel:DWORD
	s_nop 1
	v_cndmask_b32_e64 v62, v62, v64, s[0:1]
; %bb.116:                              ;   in Loop: Header=BB311_13 Depth=1
	s_or_b64 exec, exec, s[40:41]
	v_lshrrev_b16_e32 v63, 8, v63
	v_cvt_f32_fp8_sdwa v63, v63 src0_sel:BYTE_0
	s_nop 0
	v_mul_f32_e32 v64, s51, v63
	v_and_b32_e32 v63, 0x7f800000, v64
	v_cmp_ne_u32_e64 s[0:1], s49, v63
                                        ; implicit-def: $vgpr63
	s_and_saveexec_b64 s[40:41], s[0:1]
	s_xor_b64 s[0:1], exec, s[40:41]
; %bb.117:                              ;   in Loop: Header=BB311_13 Depth=1
	v_bfe_u32 v63, v64, 16, 1
	v_add3_u32 v63, v64, v63, s50
                                        ; implicit-def: $vgpr64
; %bb.118:                              ;   in Loop: Header=BB311_13 Depth=1
	s_andn2_saveexec_b64 s[40:41], s[0:1]
; %bb.119:                              ;   in Loop: Header=BB311_13 Depth=1
	v_or_b32_e32 v63, 0x10000, v64
	v_cmp_eq_u32_sdwa s[0:1], v64, v3 src0_sel:WORD_0 src1_sel:DWORD
	s_nop 1
	v_cndmask_b32_e64 v63, v63, v64, s[0:1]
; %bb.120:                              ;   in Loop: Header=BB311_13 Depth=1
	s_or_b64 exec, exec, s[40:41]
	global_load_ushort v65, v[22:23], off offset:1544
	s_waitcnt vmcnt(0)
	v_and_b32_sdwa v64, s48, v65 dst_sel:DWORD dst_unused:UNUSED_PAD src0_sel:DWORD src1_sel:BYTE_0
	v_cvt_f32_fp8_sdwa v64, v64 src0_sel:BYTE_0
	s_nop 0
	v_mul_f32_e32 v66, s51, v64
	v_and_b32_e32 v64, 0x7f800000, v66
	v_cmp_ne_u32_e64 s[0:1], s49, v64
                                        ; implicit-def: $vgpr64
	s_and_saveexec_b64 s[40:41], s[0:1]
	s_xor_b64 s[0:1], exec, s[40:41]
; %bb.121:                              ;   in Loop: Header=BB311_13 Depth=1
	v_bfe_u32 v64, v66, 16, 1
	v_add3_u32 v64, v66, v64, s50
                                        ; implicit-def: $vgpr66
; %bb.122:                              ;   in Loop: Header=BB311_13 Depth=1
	s_andn2_saveexec_b64 s[40:41], s[0:1]
; %bb.123:                              ;   in Loop: Header=BB311_13 Depth=1
	v_or_b32_e32 v64, 0x10000, v66
	v_cmp_eq_u32_sdwa s[0:1], v66, v3 src0_sel:WORD_0 src1_sel:DWORD
	s_nop 1
	v_cndmask_b32_e64 v64, v64, v66, s[0:1]
; %bb.124:                              ;   in Loop: Header=BB311_13 Depth=1
	s_or_b64 exec, exec, s[40:41]
	v_lshrrev_b16_e32 v65, 8, v65
	v_cvt_f32_fp8_sdwa v65, v65 src0_sel:BYTE_0
	s_nop 0
	v_mul_f32_e32 v66, s51, v65
	v_and_b32_e32 v65, 0x7f800000, v66
	v_cmp_ne_u32_e64 s[0:1], s49, v65
                                        ; implicit-def: $vgpr65
	s_and_saveexec_b64 s[40:41], s[0:1]
	s_xor_b64 s[0:1], exec, s[40:41]
; %bb.125:                              ;   in Loop: Header=BB311_13 Depth=1
	v_bfe_u32 v65, v66, 16, 1
	v_add3_u32 v65, v66, v65, s50
                                        ; implicit-def: $vgpr66
; %bb.126:                              ;   in Loop: Header=BB311_13 Depth=1
	s_andn2_saveexec_b64 s[40:41], s[0:1]
; %bb.127:                              ;   in Loop: Header=BB311_13 Depth=1
	v_or_b32_e32 v65, 0x10000, v66
	v_cmp_eq_u32_sdwa s[0:1], v66, v3 src0_sel:WORD_0 src1_sel:DWORD
	s_nop 1
	v_cndmask_b32_e64 v65, v65, v66, s[0:1]
; %bb.128:                              ;   in Loop: Header=BB311_13 Depth=1
	s_or_b64 exec, exec, s[40:41]
	global_load_ushort v22, v[22:23], off offset:1792
	s_waitcnt vmcnt(0)
	v_and_b32_sdwa v23, s48, v22 dst_sel:DWORD dst_unused:UNUSED_PAD src0_sel:DWORD src1_sel:BYTE_0
	v_cvt_f32_fp8_sdwa v23, v23 src0_sel:BYTE_0
	s_nop 0
	v_mul_f32_e32 v66, s51, v23
	v_and_b32_e32 v23, 0x7f800000, v66
	v_cmp_ne_u32_e64 s[0:1], s49, v23
                                        ; implicit-def: $vgpr23
	s_and_saveexec_b64 s[40:41], s[0:1]
	s_xor_b64 s[0:1], exec, s[40:41]
; %bb.129:                              ;   in Loop: Header=BB311_13 Depth=1
	v_bfe_u32 v23, v66, 16, 1
	v_add3_u32 v23, v66, v23, s50
                                        ; implicit-def: $vgpr66
; %bb.130:                              ;   in Loop: Header=BB311_13 Depth=1
	s_andn2_saveexec_b64 s[40:41], s[0:1]
; %bb.131:                              ;   in Loop: Header=BB311_13 Depth=1
	v_or_b32_e32 v23, 0x10000, v66
	v_cmp_eq_u32_sdwa s[0:1], v66, v3 src0_sel:WORD_0 src1_sel:DWORD
	s_nop 1
	v_cndmask_b32_e64 v23, v23, v66, s[0:1]
; %bb.132:                              ;   in Loop: Header=BB311_13 Depth=1
	s_or_b64 exec, exec, s[40:41]
	v_lshrrev_b16_e32 v22, 8, v22
	v_cvt_f32_fp8_sdwa v22, v22 src0_sel:BYTE_0
	s_nop 0
	v_mul_f32_e32 v66, s51, v22
	v_and_b32_e32 v22, 0x7f800000, v66
	v_cmp_ne_u32_e64 s[0:1], s49, v22
                                        ; implicit-def: $vgpr22
	s_and_saveexec_b64 s[40:41], s[0:1]
	s_xor_b64 s[0:1], exec, s[40:41]
; %bb.133:                              ;   in Loop: Header=BB311_13 Depth=1
	v_bfe_u32 v22, v66, 16, 1
	v_add3_u32 v22, v66, v22, s50
                                        ; implicit-def: $vgpr66
; %bb.134:                              ;   in Loop: Header=BB311_13 Depth=1
	s_andn2_saveexec_b64 s[40:41], s[0:1]
; %bb.135:                              ;   in Loop: Header=BB311_13 Depth=1
	v_or_b32_e32 v22, 0x10000, v66
	v_cmp_eq_u32_sdwa s[0:1], v66, v3 src0_sel:WORD_0 src1_sel:DWORD
	s_nop 1
	v_cndmask_b32_e64 v22, v22, v66, s[0:1]
; %bb.136:                              ;   in Loop: Header=BB311_13 Depth=1
	s_or_b64 exec, exec, s[40:41]
	v_and_b32_e32 v41, 0xffff0000, v41
	v_and_b32_e32 v40, 0xffff0000, v40
	v_lshlrev_b32_e32 v67, 16, v21
	v_and_b32_e32 v21, 0xffff0000, v21
	v_and_b32_e32 v39, 0xffff0000, v39
	;; [unrolled: 1-line block ×3, first 2 shown]
	v_lshlrev_b32_e32 v66, 16, v20
	v_and_b32_e32 v20, 0xffff0000, v20
	v_mul_f32_e32 v40, v67, v40
	v_mul_f32_e32 v21, v21, v41
	v_and_b32_e32 v43, 0xffff0000, v43
	v_and_b32_e32 v42, 0xffff0000, v42
	v_lshlrev_b32_e32 v68, 16, v16
	v_and_b32_e32 v16, 0xffff0000, v16
	v_fmac_f32_e32 v40, v66, v38
	v_fmac_f32_e32 v21, v20, v39
	v_and_b32_e32 v45, 0xffff0000, v45
	v_and_b32_e32 v44, 0xffff0000, v44
	v_lshlrev_b32_e32 v69, 16, v17
	v_and_b32_e32 v17, 0xffff0000, v17
	v_fmac_f32_e32 v40, v68, v42
	v_fmac_f32_e32 v21, v16, v43
	;; [unrolled: 6-line block ×10, first 2 shown]
	v_and_b32_e32 v63, 0xffff0000, v63
	v_and_b32_e32 v62, 0xffff0000, v62
	v_lshlrev_b32_e32 v78, 16, v10
	v_and_b32_e32 v81, 64, v35
	v_and_b32_e32 v10, 0xffff0000, v10
	v_fmac_f32_e32 v40, v77, v60
	v_fmac_f32_e32 v21, v15, v61
	v_and_b32_e32 v65, 0xffff0000, v65
	v_and_b32_e32 v64, 0xffff0000, v64
	v_lshlrev_b32_e32 v79, 16, v11
	v_add_u32_e32 v81, 64, v81
	v_xor_b32_e32 v82, 2, v35
	v_and_b32_e32 v11, 0xffff0000, v11
	v_fmac_f32_e32 v40, v78, v62
	v_fmac_f32_e32 v21, v10, v63
	v_and_b32_e32 v23, 0xffff0000, v23
	v_lshlrev_b32_e32 v80, 16, v37
	v_cmp_lt_i32_e64 s[0:1], v82, v81
	v_and_b32_e32 v22, 0xffff0000, v22
	v_and_b32_e32 v37, 0xffff0000, v37
	v_fmac_f32_e32 v40, v79, v64
	v_fmac_f32_e32 v21, v11, v65
	v_cndmask_b32_e64 v82, v35, v82, s[0:1]
	v_fmac_f32_e32 v40, v80, v23
	v_fmac_f32_e32 v21, v37, v22
	v_lshlrev_b32_e32 v82, 2, v82
	v_add_f32_e32 v8, v40, v21
	ds_bpermute_b32 v9, v82, v8
	v_xor_b32_e32 v10, 1, v35
	v_cmp_lt_i32_e64 s[0:1], v10, v81
	s_waitcnt lgkmcnt(0)
	v_add_f32_e32 v8, v8, v9
	v_cndmask_b32_e64 v10, v35, v10, s[0:1]
	v_lshlrev_b32_e32 v10, 2, v10
	ds_bpermute_b32 v9, v10, v8
	s_and_saveexec_b64 s[40:41], vcc
	s_cbranch_execz .LBB311_11
; %bb.137:                              ;   in Loop: Header=BB311_13 Depth=1
	v_add_u32_e32 v10, v33, v31
	v_cvt_f32_i32_e32 v10, v10
	s_waitcnt lgkmcnt(0)
	v_add_f32_e32 v8, v8, v9
	v_add_u32_e32 v11, v27, v31
	v_cmp_gt_i32_e64 s[0:1], s33, v11
	v_mul_f32_e32 v9, s44, v10
	v_cndmask_b32_e64 v9, 0, v9, s[2:3]
	v_fmac_f32_e32 v9, s37, v8
	v_cndmask_b32_e64 v8, 0, v9, s[0:1]
	ds_write_b32 v32, v8
	v_max_f32_e32 v8, v29, v29
	v_max_f32_e32 v8, v8, v9
	v_cndmask_b32_e64 v29, v29, v8, s[0:1]
	s_branch .LBB311_11
.LBB311_138:
	s_or_b64 exec, exec, s[38:39]
.LBB311_139:
	s_or_b64 exec, exec, s[18:19]
	v_mbcnt_hi_u32_b32 v2, -1, v25
	v_and_b32_e32 v3, 64, v2
	v_add_u32_e32 v3, 64, v3
	v_xor_b32_e32 v4, 32, v2
	v_cmp_lt_i32_e32 vcc, v4, v3
	v_xor_b32_e32 v7, 16, v2
	v_max_f32_e32 v6, v29, v29
	v_cndmask_b32_e32 v4, v2, v4, vcc
	v_lshlrev_b32_e32 v5, 2, v4
	ds_bpermute_b32 v4, v5, v29
	v_cmp_lt_i32_e32 vcc, v7, v3
	v_xor_b32_e32 v8, 8, v2
	v_xor_b32_e32 v10, 4, v2
	s_waitcnt lgkmcnt(0)
	v_max_f32_e32 v4, v4, v4
	v_max_f32_e32 v4, v6, v4
	v_cndmask_b32_e32 v6, v2, v7, vcc
	v_lshlrev_b32_e32 v6, 2, v6
	ds_bpermute_b32 v7, v6, v4
	v_cmp_lt_i32_e32 vcc, v8, v3
	s_waitcnt lgkmcnt(0)
	v_max_f32_e32 v7, v7, v7
	v_max_f32_e32 v4, v4, v7
	v_cndmask_b32_e32 v7, v2, v8, vcc
	v_lshlrev_b32_e32 v9, 2, v7
	ds_bpermute_b32 v7, v9, v4
	v_cmp_lt_i32_e32 vcc, v10, v3
	s_waitcnt lgkmcnt(0)
	v_max_f32_e32 v7, v7, v7
	v_max_f32_e32 v8, v4, v7
	v_cndmask_b32_e32 v4, v2, v10, vcc
	v_lshlrev_b32_e32 v10, 2, v4
	ds_bpermute_b32 v11, v10, v8
	v_and_b32_e32 v4, 63, v0
	v_cmp_eq_u32_e32 vcc, 0, v4
	v_lshlrev_b32_e32 v7, 2, v1
	s_and_saveexec_b64 s[0:1], vcc
	s_cbranch_execz .LBB311_141
; %bb.140:
	s_waitcnt lgkmcnt(0)
	v_max_f32_e32 v11, v11, v11
	v_max_f32_e32 v8, v8, v8
	;; [unrolled: 1-line block ×3, first 2 shown]
	ds_write_b32 v7, v8 offset:240
.LBB311_141:
	s_or_b64 exec, exec, s[0:1]
	v_cmp_gt_u32_e64 s[0:1], 2, v4
	s_waitcnt lgkmcnt(0)
	v_mov_b32_e32 v11, 0xff7fffff
	v_lshlrev_b32_e32 v8, 2, v4
	s_barrier
	s_and_saveexec_b64 s[2:3], s[0:1]
	s_cbranch_execz .LBB311_143
; %bb.142:
	ds_read_b32 v11, v8 offset:240
.LBB311_143:
	s_or_b64 exec, exec, s[2:3]
	v_xor_b32_e32 v12, 1, v2
	v_cmp_lt_i32_e64 s[2:3], v12, v3
	v_lshlrev_b32_e32 v13, 2, v2
	s_nop 0
	v_cndmask_b32_e64 v12, v2, v12, s[2:3]
	v_lshlrev_b32_e32 v20, 2, v12
	s_waitcnt lgkmcnt(0)
	ds_bpermute_b32 v12, v20, v11
	v_max_f32_e32 v11, v11, v11
	s_lshl_b32 s2, s43, 4
	s_min_i32 s37, s2, s33
	v_cmp_gt_i32_e64 s[2:3], s37, v0
	s_waitcnt lgkmcnt(0)
	v_max_f32_e32 v12, v12, v12
	v_max_f32_e32 v12, v11, v12
	v_and_b32_e32 v11, 0x100, v13
	ds_bpermute_b32 v13, v11, v12
	v_mov_b32_e32 v12, 0
	s_and_saveexec_b64 s[12:13], s[2:3]
	s_cbranch_execz .LBB311_147
; %bb.144:
	v_mov_b32_e32 v12, 0x100
	v_lshl_add_u32 v14, v0, 2, v12
	s_mov_b64 s[18:19], 0
	v_mov_b32_e32 v12, 0
	v_mov_b32_e32 v15, v0
.LBB311_145:                            ; =>This Inner Loop Header: Depth=1
	ds_read_b32 v16, v14
	v_add_u32_e32 v15, 0x80, v15
	v_cmp_le_i32_e64 s[8:9], s37, v15
	s_or_b64 s[18:19], s[8:9], s[18:19]
	s_waitcnt lgkmcnt(0)
	v_sub_f32_e32 v16, v16, v13
	v_mul_f32_e32 v16, 0x3fb8aa3b, v16
	v_exp_f32_e32 v16, v16
	ds_write_b32 v14, v16
	v_add_f32_e32 v12, v12, v16
	v_add_u32_e32 v14, 0x200, v14
	s_andn2_b64 exec, exec, s[18:19]
	s_cbranch_execnz .LBB311_145
; %bb.146:
	s_or_b64 exec, exec, s[18:19]
.LBB311_147:
	s_or_b64 exec, exec, s[12:13]
	ds_bpermute_b32 v5, v5, v12
	s_waitcnt lgkmcnt(0)
	v_add_f32_e32 v5, v12, v5
	ds_bpermute_b32 v6, v6, v5
	s_waitcnt lgkmcnt(0)
	v_add_f32_e32 v5, v5, v6
	ds_bpermute_b32 v6, v9, v5
	v_xor_b32_e32 v9, 2, v2
	v_cmp_lt_i32_e64 s[8:9], v9, v3
	s_waitcnt lgkmcnt(0)
	v_add_f32_e32 v5, v5, v6
	ds_bpermute_b32 v6, v10, v5
	v_cndmask_b32_e64 v2, v2, v9, s[8:9]
	v_lshlrev_b32_e32 v2, 2, v2
	s_waitcnt lgkmcnt(0)
	v_add_f32_e32 v3, v5, v6
	ds_bpermute_b32 v2, v2, v3
	s_waitcnt lgkmcnt(0)
	v_add_f32_e32 v2, v3, v2
	ds_bpermute_b32 v3, v20, v2
	s_waitcnt lgkmcnt(0)
	v_add_f32_e32 v2, v2, v3
	s_and_saveexec_b64 s[8:9], vcc
	s_cbranch_execz .LBB311_149
; %bb.148:
	ds_write_b32 v7, v2 offset:248
.LBB311_149:
	s_or_b64 exec, exec, s[8:9]
	s_waitcnt lgkmcnt(0)
	s_barrier
	s_and_saveexec_b64 s[8:9], s[0:1]
	s_cbranch_execz .LBB311_151
; %bb.150:
	ds_read_b32 v2, v8 offset:248
.LBB311_151:
	s_or_b64 exec, exec, s[8:9]
	s_waitcnt lgkmcnt(0)
	ds_bpermute_b32 v3, v20, v2
	s_waitcnt lgkmcnt(0)
	v_add_f32_e32 v2, v2, v3
	ds_bpermute_b32 v2, v11, v2
	s_and_saveexec_b64 s[0:1], s[2:3]
	s_cbranch_execz .LBB311_164
; %bb.152:
	s_waitcnt lgkmcnt(0)
	v_add_f32_e32 v2, 0x358637bd, v2
	v_div_scale_f32 v3, s[2:3], v2, v2, 1.0
	v_rcp_f32_e32 v5, v3
	v_div_scale_f32 v6, vcc, 1.0, v2, 1.0
	s_movk_i32 s2, 0x7f
	v_fma_f32 v7, -v3, v5, 1.0
	v_fmac_f32_e32 v5, v7, v5
	v_mul_f32_e32 v7, v6, v5
	v_fma_f32 v8, -v3, v7, v6
	v_fmac_f32_e32 v7, v8, v5
	v_fma_f32 v3, -v3, v7, v6
	v_div_fmas_f32 v3, v3, v5, v7
	v_xad_u32 v5, v0, -1, s37
	v_div_fixup_f32 v2, v3, v2, 1.0
	v_cmp_lt_u32_e32 vcc, s2, v5
	s_mov_b64 s[8:9], -1
	v_mov_b32_e32 v3, v0
	s_and_saveexec_b64 s[2:3], vcc
	s_cbranch_execz .LBB311_161
; %bb.153:
	v_lshrrev_b32_e32 v5, 7, v5
	v_add_u32_e32 v7, -1, v5
	v_lshrrev_b32_e32 v6, 1, v7
	v_mov_b32_e32 v3, v2
	v_add_u32_e32 v6, 1, v6
	v_cmp_lt_u32_e32 vcc, 13, v7
	v_mov_b32_e32 v9, 0
	s_and_saveexec_b64 s[8:9], vcc
	s_cbranch_execz .LBB311_157
; %bb.154:
	v_mov_b32_e32 v8, 0x100
	v_and_b32_e32 v7, -8, v6
	v_lshl_add_u32 v8, v0, 2, v8
	s_mov_b32 s18, 0
	s_mov_b64 s[12:13], 0
.LBB311_155:                            ; =>This Inner Loop Header: Depth=1
	ds_read2st64_b32 v[10:11], v8 offset1:2
	ds_read2st64_b32 v[12:13], v8 offset0:4 offset1:6
	ds_read2st64_b32 v[14:15], v8 offset0:8 offset1:10
	;; [unrolled: 1-line block ×3, first 2 shown]
	v_add_u32_e32 v7, -8, v7
	s_waitcnt lgkmcnt(3)
	v_pk_mul_f32 v[10:11], v[2:3], v[10:11]
	s_waitcnt lgkmcnt(2)
	v_pk_mul_f32 v[12:13], v[2:3], v[12:13]
	ds_write2st64_b32 v8, v10, v11 offset1:2
	ds_write2st64_b32 v8, v12, v13 offset0:4 offset1:6
	ds_read2st64_b32 v[12:13], v8 offset0:16 offset1:18
	s_waitcnt lgkmcnt(4)
	v_pk_mul_f32 v[10:11], v[2:3], v[14:15]
	ds_write2st64_b32 v8, v10, v11 offset0:8 offset1:10
	s_waitcnt lgkmcnt(4)
	v_pk_mul_f32 v[10:11], v[2:3], v[16:17]
	ds_write2st64_b32 v8, v10, v11 offset0:12 offset1:14
	ds_read2st64_b32 v[10:11], v8 offset0:20 offset1:22
	s_waitcnt lgkmcnt(3)
	v_pk_mul_f32 v[12:13], v[2:3], v[12:13]
	ds_read2st64_b32 v[14:15], v8 offset0:24 offset1:26
	ds_write2st64_b32 v8, v12, v13 offset0:16 offset1:18
	ds_read2st64_b32 v[12:13], v8 offset0:28 offset1:30
	s_waitcnt lgkmcnt(3)
	v_pk_mul_f32 v[10:11], v[2:3], v[10:11]
	ds_write2st64_b32 v8, v10, v11 offset0:20 offset1:22
	s_waitcnt lgkmcnt(3)
	v_pk_mul_f32 v[10:11], v[2:3], v[14:15]
	ds_write2st64_b32 v8, v10, v11 offset0:24 offset1:26
	s_waitcnt lgkmcnt(2)
	v_pk_mul_f32 v[10:11], v[2:3], v[12:13]
	s_add_i32 s18, s18, 16
	v_cmp_eq_u32_e32 vcc, 0, v7
	ds_write2st64_b32 v8, v10, v11 offset0:28 offset1:30
	v_add_u32_e32 v8, 0x2000, v8
	s_or_b64 s[12:13], vcc, s[12:13]
	v_mov_b32_e32 v9, s18
	s_andn2_b64 exec, exec, s[12:13]
	s_cbranch_execnz .LBB311_155
; %bb.156:
	s_or_b64 exec, exec, s[12:13]
.LBB311_157:
	s_or_b64 exec, exec, s[8:9]
	v_and_b32_e32 v6, 7, v6
	v_cmp_ne_u32_e32 vcc, 0, v6
	s_and_saveexec_b64 s[8:9], vcc
	s_cbranch_execz .LBB311_160
; %bb.158:
	v_lshlrev_b32_e32 v7, 9, v9
	v_lshlrev_b32_e32 v8, 2, v0
	s_movk_i32 s12, 0x100
	v_add3_u32 v7, v7, v8, s12
	s_mov_b64 s[12:13], 0
.LBB311_159:                            ; =>This Inner Loop Header: Depth=1
	ds_read2st64_b32 v[8:9], v7 offset1:2
	v_add_u32_e32 v6, -1, v6
	v_cmp_eq_u32_e32 vcc, 0, v6
	s_or_b64 s[12:13], vcc, s[12:13]
	s_waitcnt lgkmcnt(0)
	v_pk_mul_f32 v[8:9], v[2:3], v[8:9]
	ds_write2st64_b32 v7, v8, v9 offset1:2
	v_add_u32_e32 v7, 0x400, v7
	s_andn2_b64 exec, exec, s[12:13]
	s_cbranch_execnz .LBB311_159
.LBB311_160:
	s_or_b64 exec, exec, s[8:9]
	v_add_u32_e32 v5, 1, v5
	v_and_b32_e32 v6, 0x3fffffe, v5
	v_cmp_ne_u32_e32 vcc, v5, v6
	v_lshl_add_u32 v3, v6, 7, v0
	s_orn2_b64 s[8:9], vcc, exec
.LBB311_161:
	s_or_b64 exec, exec, s[2:3]
	s_and_b64 exec, exec, s[8:9]
	s_cbranch_execz .LBB311_164
; %bb.162:
	v_mov_b32_e32 v5, 0x100
	v_lshl_add_u32 v5, v3, 2, v5
	s_mov_b64 s[2:3], 0
.LBB311_163:                            ; =>This Inner Loop Header: Depth=1
	ds_read_b32 v6, v5
	v_add_u32_e32 v3, 0x80, v3
	v_cmp_le_i32_e32 vcc, s37, v3
	s_or_b64 s[2:3], vcc, s[2:3]
	s_waitcnt lgkmcnt(0)
	v_mul_f32_e32 v6, v2, v6
	ds_write_b32 v5, v6
	v_add_u32_e32 v5, 0x200, v5
	s_andn2_b64 exec, exec, s[2:3]
	s_cbranch_execnz .LBB311_163
.LBB311_164:
	s_or_b64 exec, exec, s[0:1]
	v_mov_b32_e32 v11, 0
	v_lshrrev_b32_e32 v22, 1, v4
	v_and_b32_e32 v21, 1, v0
	v_mov_b32_e32 v10, 0
	v_mov_b32_e32 v15, 0
	;; [unrolled: 1-line block ×3, first 2 shown]
	s_waitcnt lgkmcnt(0)
	s_barrier
	s_and_saveexec_b64 s[8:9], s[6:7]
	s_cbranch_execz .LBB311_468
; %bb.165:
	s_sub_i32 s37, s16, s21
	s_ashr_i32 s0, s20, 31
	s_add_u32 s6, s34, s20
	v_lshlrev_b32_e32 v2, 3, v0
	s_addc_u32 s7, s35, s0
	s_abs_i32 s22, s22
	v_and_b32_e32 v23, 8, v2
	v_cvt_f32_u32_e32 v2, s22
	v_or_b32_e32 v3, 0x60, v22
	s_movk_i32 s0, 0x78
	v_cmp_gt_u32_e32 vcc, s0, v3
	v_rcp_iflag_f32_e32 v2, v2
	s_sub_i32 s0, 0, s22
	s_add_i32 s34, s43, -1
	v_lshl_or_b32 v16, v3, 4, v23
	v_mul_f32_e32 v2, 0x4f7ffffe, v2
	v_cvt_u32_f32_e32 v2, v2
	v_mov_b32_e32 v13, 0
	s_mov_b32 s38, s17
	v_lshl_or_b32 v12, v22, 4, v23
	v_mul_lo_u32 v3, s0, v2
	s_lshl_b64 s[0:1], s[30:31], 2
	v_mul_hi_u32 v3, v2, v3
	s_add_u32 s0, s28, s0
	v_add_u32_e32 v25, v2, v3
	v_and_b32_e32 v2, 60, v26
	v_mov_b32_e32 v3, v13
	s_addc_u32 s1, s29, s1
	v_lshl_add_u64 v[18:19], s[0:1], 0, v[2:3]
	v_lshlrev_b32_e32 v2, 5, v21
	v_lshl_or_b32 v2, v1, 6, v2
	v_mov_b32_e32 v17, v13
	v_add_u32_e32 v26, 0x100, v2
	s_mov_b64 s[12:13], 0
	s_mov_b32 s28, 0x7f800000
	s_movk_i32 s29, 0x7fff
	v_mov_b32_e32 v14, v13
	v_mov_b32_e32 v15, v13
	v_mov_b32_e32 v10, v13
	v_mov_b32_e32 v11, v13
	s_branch .LBB311_169
.LBB311_166:                            ;   in Loop: Header=BB311_169 Depth=1
	s_or_b64 exec, exec, s[2:3]
	v_and_b32_e32 v41, 0xffff0000, v39
	v_and_b32_e32 v40, 0xffff0000, v37
	;; [unrolled: 1-line block ×8, first 2 shown]
	v_pk_add_f32 v[2:3], v[34:35], v[38:39]
	v_pk_add_f32 v[34:35], v[36:37], v[40:41]
	v_add_f32_e32 v2, v2, v3
	v_add_f32_e32 v2, v2, v34
	;; [unrolled: 1-line block ×4, first 2 shown]
.LBB311_167:                            ;   in Loop: Header=BB311_169 Depth=1
	s_or_b64 exec, exec, s[18:19]
	v_and_b32_e32 v2, 0xffff0000, v30
	v_and_b32_e32 v30, 0xffff0000, v29
	;; [unrolled: 1-line block ×8, first 2 shown]
	v_pk_add_f32 v[8:9], v[8:9], v[28:29]
	v_pk_add_f32 v[2:3], v[30:31], v[2:3]
	v_add_f32_e32 v8, v8, v9
	v_add_f32_e32 v2, v8, v2
	;; [unrolled: 1-line block ×3, first 2 shown]
	v_and_b32_e32 v29, 0xffff0000, v43
	v_and_b32_e32 v28, 0xffff0000, v7
	;; [unrolled: 1-line block ×4, first 2 shown]
	v_add_f32_e32 v14, v14, v2
	v_and_b32_e32 v3, 0xffff0000, v47
	v_and_b32_e32 v2, 0xffff0000, v45
	;; [unrolled: 1-line block ×4, first 2 shown]
	v_pk_add_f32 v[6:7], v[6:7], v[28:29]
	v_pk_add_f32 v[2:3], v[8:9], v[2:3]
	v_add_f32_e32 v6, v6, v7
	v_add_f32_e32 v2, v6, v2
	;; [unrolled: 1-line block ×3, first 2 shown]
	v_and_b32_e32 v9, 0xffff0000, v49
	v_and_b32_e32 v8, 0xffff0000, v5
	;; [unrolled: 1-line block ×4, first 2 shown]
	v_add_f32_e32 v15, v15, v2
	v_and_b32_e32 v3, 0xffff0000, v53
	v_and_b32_e32 v2, 0xffff0000, v51
	;; [unrolled: 1-line block ×4, first 2 shown]
	v_pk_add_f32 v[4:5], v[4:5], v[8:9]
	v_pk_add_f32 v[2:3], v[6:7], v[2:3]
	v_add_f32_e32 v4, v4, v5
	v_add_f32_e32 v2, v4, v2
	;; [unrolled: 1-line block ×4, first 2 shown]
.LBB311_168:                            ;   in Loop: Header=BB311_169 Depth=1
	s_or_b64 exec, exec, s[16:17]
	v_add_u32_e32 v1, 2, v1
	v_cmp_le_i32_e64 s[0:1], s43, v1
	v_lshl_add_u64 v[18:19], v[18:19], 0, 8
	v_add_u32_e32 v24, 32, v24
	s_or_b64 s[12:13], s[0:1], s[12:13]
	v_add_u32_e32 v26, 0x80, v26
	s_andn2_b64 exec, exec, s[12:13]
	s_cbranch_execz .LBB311_467
.LBB311_169:                            ; =>This Inner Loop Header: Depth=1
	v_mul_hi_u32 v2, v24, s42
	v_mul_lo_u32 v3, v2, s25
	v_sub_u32_e32 v3, v24, v3
	v_add_u32_e32 v4, 1, v2
	v_cmp_le_u32_e64 s[0:1], s25, v3
	s_nop 1
	v_cndmask_b32_e64 v2, v2, v4, s[0:1]
	v_subrev_u32_e32 v4, s25, v3
	v_cndmask_b32_e64 v3, v3, v4, s[0:1]
	v_add_u32_e32 v4, 1, v2
	v_cmp_le_u32_e64 s[0:1], s25, v3
	s_nop 1
	v_cndmask_b32_e64 v2, v2, v4, s[0:1]
	v_xor_b32_e32 v2, s23, v2
	v_subrev_u32_e32 v2, s23, v2
	v_add_u32_e32 v3, s36, v2
	v_sub_u32_e32 v5, 0, v3
	v_ashrrev_i32_e32 v4, 31, v3
	v_max_i32_e32 v3, v3, v5
	v_mul_hi_u32 v5, v3, v25
	v_mul_lo_u32 v5, v5, s22
	v_sub_u32_e32 v3, v3, v5
	v_subrev_u32_e32 v5, s22, v3
	v_cmp_le_u32_e64 s[0:1], s22, v3
	v_cmp_lt_i32_e64 s[2:3], s37, v2
	s_nop 0
	v_cndmask_b32_e64 v3, v3, v5, s[0:1]
	v_subrev_u32_e32 v5, s22, v3
	v_cmp_le_u32_e64 s[0:1], s22, v3
	s_nop 1
	v_cndmask_b32_e64 v3, v3, v5, s[0:1]
	v_xor_b32_e32 v3, v3, v4
	v_sub_u32_e32 v3, v3, v4
	v_cmp_eq_u32_e64 s[0:1], 0, v3
	s_or_b64 s[0:1], s[0:1], s[2:3]
	s_and_saveexec_b64 s[16:17], s[0:1]
	s_cbranch_execz .LBB311_168
; %bb.170:                              ;   in Loop: Header=BB311_169 Depth=1
	global_load_dword v33, v[18:19], off
	ds_read2_b64 v[6:9], v26 offset1:1
	ds_read2_b64 v[2:5], v26 offset0:2 offset1:3
                                        ; implicit-def: $vgpr34
	s_waitcnt lgkmcnt(1)
	v_and_b32_e32 v27, 0x7f800000, v6
	v_cmp_ne_u32_e64 s[0:1], s28, v27
	s_and_saveexec_b64 s[2:3], s[0:1]
	s_xor_b64 s[0:1], exec, s[2:3]
; %bb.171:                              ;   in Loop: Header=BB311_169 Depth=1
	v_bfe_u32 v27, v6, 16, 1
	v_add3_u32 v34, v6, v27, s29
; %bb.172:                              ;   in Loop: Header=BB311_169 Depth=1
	s_andn2_saveexec_b64 s[2:3], s[0:1]
; %bb.173:                              ;   in Loop: Header=BB311_169 Depth=1
	v_or_b32_e32 v27, 0x10000, v6
	v_cmp_eq_u32_sdwa s[0:1], v6, v13 src0_sel:WORD_0 src1_sel:DWORD
	s_nop 1
	v_cndmask_b32_e64 v34, v27, v6, s[0:1]
; %bb.174:                              ;   in Loop: Header=BB311_169 Depth=1
	s_or_b64 exec, exec, s[2:3]
	v_and_b32_e32 v6, 0x7f800000, v7
	v_cmp_ne_u32_e64 s[0:1], s28, v6
                                        ; implicit-def: $vgpr35
	s_and_saveexec_b64 s[2:3], s[0:1]
	s_xor_b64 s[0:1], exec, s[2:3]
; %bb.175:                              ;   in Loop: Header=BB311_169 Depth=1
	v_bfe_u32 v6, v7, 16, 1
	v_add3_u32 v35, v7, v6, s29
; %bb.176:                              ;   in Loop: Header=BB311_169 Depth=1
	s_andn2_saveexec_b64 s[2:3], s[0:1]
; %bb.177:                              ;   in Loop: Header=BB311_169 Depth=1
	v_or_b32_e32 v6, 0x10000, v7
	v_cmp_eq_u32_sdwa s[0:1], v7, v13 src0_sel:WORD_0 src1_sel:DWORD
	s_nop 1
	v_cndmask_b32_e64 v35, v6, v7, s[0:1]
; %bb.178:                              ;   in Loop: Header=BB311_169 Depth=1
	s_or_b64 exec, exec, s[2:3]
	v_and_b32_e32 v6, 0x7f800000, v8
	v_cmp_ne_u32_e64 s[0:1], s28, v6
                                        ; implicit-def: $vgpr27
	s_and_saveexec_b64 s[2:3], s[0:1]
	s_xor_b64 s[0:1], exec, s[2:3]
; %bb.179:                              ;   in Loop: Header=BB311_169 Depth=1
	v_bfe_u32 v6, v8, 16, 1
	v_add3_u32 v27, v8, v6, s29
; %bb.180:                              ;   in Loop: Header=BB311_169 Depth=1
	s_andn2_saveexec_b64 s[2:3], s[0:1]
; %bb.181:                              ;   in Loop: Header=BB311_169 Depth=1
	v_or_b32_e32 v6, 0x10000, v8
	v_cmp_eq_u32_sdwa s[0:1], v8, v13 src0_sel:WORD_0 src1_sel:DWORD
	s_nop 1
	v_cndmask_b32_e64 v27, v6, v8, s[0:1]
; %bb.182:                              ;   in Loop: Header=BB311_169 Depth=1
	s_or_b64 exec, exec, s[2:3]
	v_and_b32_e32 v6, 0x7f800000, v9
	v_cmp_ne_u32_e64 s[0:1], s28, v6
                                        ; implicit-def: $vgpr28
	s_and_saveexec_b64 s[2:3], s[0:1]
	s_xor_b64 s[0:1], exec, s[2:3]
; %bb.183:                              ;   in Loop: Header=BB311_169 Depth=1
	v_bfe_u32 v6, v9, 16, 1
	v_add3_u32 v28, v9, v6, s29
                                        ; implicit-def: $vgpr6_vgpr7_vgpr8_vgpr9
; %bb.184:                              ;   in Loop: Header=BB311_169 Depth=1
	s_andn2_saveexec_b64 s[2:3], s[0:1]
; %bb.185:                              ;   in Loop: Header=BB311_169 Depth=1
	v_or_b32_e32 v6, 0x10000, v9
	v_cmp_eq_u32_sdwa s[0:1], v9, v13 src0_sel:WORD_0 src1_sel:DWORD
	s_nop 1
	v_cndmask_b32_e64 v28, v6, v9, s[0:1]
; %bb.186:                              ;   in Loop: Header=BB311_169 Depth=1
	s_or_b64 exec, exec, s[2:3]
	s_waitcnt lgkmcnt(0)
	v_and_b32_e32 v6, 0x7f800000, v2
	v_cmp_ne_u32_e64 s[0:1], s28, v6
                                        ; implicit-def: $vgpr29
	s_and_saveexec_b64 s[2:3], s[0:1]
	s_xor_b64 s[0:1], exec, s[2:3]
; %bb.187:                              ;   in Loop: Header=BB311_169 Depth=1
	v_bfe_u32 v6, v2, 16, 1
	v_add3_u32 v29, v2, v6, s29
; %bb.188:                              ;   in Loop: Header=BB311_169 Depth=1
	s_andn2_saveexec_b64 s[2:3], s[0:1]
; %bb.189:                              ;   in Loop: Header=BB311_169 Depth=1
	v_or_b32_e32 v6, 0x10000, v2
	v_cmp_eq_u32_sdwa s[0:1], v2, v13 src0_sel:WORD_0 src1_sel:DWORD
	s_nop 1
	v_cndmask_b32_e64 v29, v6, v2, s[0:1]
; %bb.190:                              ;   in Loop: Header=BB311_169 Depth=1
	s_or_b64 exec, exec, s[2:3]
	v_and_b32_e32 v2, 0x7f800000, v3
	v_cmp_ne_u32_e64 s[0:1], s28, v2
                                        ; implicit-def: $vgpr30
	s_and_saveexec_b64 s[2:3], s[0:1]
	s_xor_b64 s[0:1], exec, s[2:3]
; %bb.191:                              ;   in Loop: Header=BB311_169 Depth=1
	v_bfe_u32 v2, v3, 16, 1
	v_add3_u32 v30, v3, v2, s29
; %bb.192:                              ;   in Loop: Header=BB311_169 Depth=1
	s_andn2_saveexec_b64 s[2:3], s[0:1]
; %bb.193:                              ;   in Loop: Header=BB311_169 Depth=1
	v_or_b32_e32 v2, 0x10000, v3
	v_cmp_eq_u32_sdwa s[0:1], v3, v13 src0_sel:WORD_0 src1_sel:DWORD
	s_nop 1
	v_cndmask_b32_e64 v30, v2, v3, s[0:1]
; %bb.194:                              ;   in Loop: Header=BB311_169 Depth=1
	s_or_b64 exec, exec, s[2:3]
	v_and_b32_e32 v2, 0x7f800000, v4
	v_cmp_ne_u32_e64 s[0:1], s28, v2
                                        ; implicit-def: $vgpr31
	s_and_saveexec_b64 s[2:3], s[0:1]
	s_xor_b64 s[0:1], exec, s[2:3]
; %bb.195:                              ;   in Loop: Header=BB311_169 Depth=1
	v_bfe_u32 v2, v4, 16, 1
	v_add3_u32 v31, v4, v2, s29
; %bb.196:                              ;   in Loop: Header=BB311_169 Depth=1
	s_andn2_saveexec_b64 s[2:3], s[0:1]
; %bb.197:                              ;   in Loop: Header=BB311_169 Depth=1
	v_or_b32_e32 v2, 0x10000, v4
	v_cmp_eq_u32_sdwa s[0:1], v4, v13 src0_sel:WORD_0 src1_sel:DWORD
	s_nop 1
	v_cndmask_b32_e64 v31, v2, v4, s[0:1]
; %bb.198:                              ;   in Loop: Header=BB311_169 Depth=1
	s_or_b64 exec, exec, s[2:3]
	v_and_b32_e32 v2, 0x7f800000, v5
	v_cmp_ne_u32_e64 s[0:1], s28, v2
                                        ; implicit-def: $vgpr32
	s_and_saveexec_b64 s[2:3], s[0:1]
	s_xor_b64 s[0:1], exec, s[2:3]
; %bb.199:                              ;   in Loop: Header=BB311_169 Depth=1
	v_bfe_u32 v2, v5, 16, 1
	v_add3_u32 v32, v5, v2, s29
                                        ; implicit-def: $vgpr2_vgpr3_vgpr4_vgpr5
; %bb.200:                              ;   in Loop: Header=BB311_169 Depth=1
	s_andn2_saveexec_b64 s[2:3], s[0:1]
; %bb.201:                              ;   in Loop: Header=BB311_169 Depth=1
	v_or_b32_e32 v2, 0x10000, v5
	v_cmp_eq_u32_sdwa s[0:1], v5, v13 src0_sel:WORD_0 src1_sel:DWORD
	s_nop 1
	v_cndmask_b32_e64 v32, v2, v5, s[0:1]
; %bb.202:                              ;   in Loop: Header=BB311_169 Depth=1
	s_or_b64 exec, exec, s[2:3]
	v_mov_b64_e32 v[2:3], s[6:7]
	s_waitcnt vmcnt(0)
	v_mad_i64_i32 v[2:3], s[0:1], v33, s38, v[2:3]
	v_lshl_add_u64 v[4:5], v[2:3], 0, v[12:13]
	global_load_dwordx2 v[6:7], v[4:5], off
	s_load_dword s30, s[14:15], 0x0
	s_waitcnt vmcnt(0)
	v_and_b32_e32 v8, 0xff, v6
	v_cvt_f32_fp8_sdwa v8, v8 src0_sel:BYTE_0
	s_waitcnt lgkmcnt(0)
	v_mul_f32_e32 v9, s30, v8
	v_and_b32_e32 v8, 0x7f800000, v9
	v_cmp_ne_u32_e64 s[0:1], s28, v8
                                        ; implicit-def: $vgpr8
	s_and_saveexec_b64 s[2:3], s[0:1]
	s_xor_b64 s[0:1], exec, s[2:3]
; %bb.203:                              ;   in Loop: Header=BB311_169 Depth=1
	v_bfe_u32 v8, v9, 16, 1
	v_add3_u32 v8, v9, v8, s29
                                        ; implicit-def: $vgpr9
; %bb.204:                              ;   in Loop: Header=BB311_169 Depth=1
	s_andn2_saveexec_b64 s[2:3], s[0:1]
; %bb.205:                              ;   in Loop: Header=BB311_169 Depth=1
	v_or_b32_e32 v8, 0x10000, v9
	v_cmp_eq_u32_sdwa s[0:1], v9, v13 src0_sel:WORD_0 src1_sel:DWORD
	s_nop 1
	v_cndmask_b32_e64 v8, v8, v9, s[0:1]
; %bb.206:                              ;   in Loop: Header=BB311_169 Depth=1
	s_or_b64 exec, exec, s[2:3]
	v_bfe_u32 v9, v6, 8, 8
	v_cvt_f32_fp8_sdwa v9, v9 src0_sel:BYTE_0
	s_nop 0
	v_mul_f32_e32 v33, s30, v9
	v_and_b32_e32 v9, 0x7f800000, v33
	v_cmp_ne_u32_e64 s[0:1], s28, v9
                                        ; implicit-def: $vgpr9
	s_and_saveexec_b64 s[2:3], s[0:1]
	s_xor_b64 s[0:1], exec, s[2:3]
; %bb.207:                              ;   in Loop: Header=BB311_169 Depth=1
	v_bfe_u32 v9, v33, 16, 1
	v_add3_u32 v9, v33, v9, s29
                                        ; implicit-def: $vgpr33
; %bb.208:                              ;   in Loop: Header=BB311_169 Depth=1
	s_andn2_saveexec_b64 s[2:3], s[0:1]
; %bb.209:                              ;   in Loop: Header=BB311_169 Depth=1
	v_or_b32_e32 v9, 0x10000, v33
	v_cmp_eq_u32_sdwa s[0:1], v33, v13 src0_sel:WORD_0 src1_sel:DWORD
	s_nop 1
	v_cndmask_b32_e64 v9, v9, v33, s[0:1]
; %bb.210:                              ;   in Loop: Header=BB311_169 Depth=1
	s_or_b64 exec, exec, s[2:3]
	v_bfe_u32 v33, v6, 16, 8
	v_cvt_f32_fp8_sdwa v33, v33 src0_sel:BYTE_0
	s_nop 0
	v_mul_f32_e32 v33, s30, v33
	v_and_b32_e32 v36, 0x7f800000, v33
	v_cmp_ne_u32_e64 s[0:1], s28, v36
                                        ; implicit-def: $vgpr36
	s_and_saveexec_b64 s[2:3], s[0:1]
	s_xor_b64 s[0:1], exec, s[2:3]
; %bb.211:                              ;   in Loop: Header=BB311_169 Depth=1
	v_bfe_u32 v36, v33, 16, 1
	v_add3_u32 v36, v33, v36, s29
                                        ; implicit-def: $vgpr33
; %bb.212:                              ;   in Loop: Header=BB311_169 Depth=1
	s_andn2_saveexec_b64 s[2:3], s[0:1]
; %bb.213:                              ;   in Loop: Header=BB311_169 Depth=1
	v_or_b32_e32 v36, 0x10000, v33
	v_cmp_eq_u32_sdwa s[0:1], v33, v13 src0_sel:WORD_0 src1_sel:DWORD
	s_nop 1
	v_cndmask_b32_e64 v36, v36, v33, s[0:1]
; %bb.214:                              ;   in Loop: Header=BB311_169 Depth=1
	s_or_b64 exec, exec, s[2:3]
	v_lshrrev_b32_e32 v6, 24, v6
	v_cvt_f32_fp8_sdwa v6, v6 src0_sel:BYTE_0
	s_nop 0
	v_mul_f32_e32 v33, s30, v6
	v_and_b32_e32 v6, 0x7f800000, v33
	v_cmp_ne_u32_e64 s[0:1], s28, v6
                                        ; implicit-def: $vgpr6
	s_and_saveexec_b64 s[2:3], s[0:1]
	s_xor_b64 s[0:1], exec, s[2:3]
; %bb.215:                              ;   in Loop: Header=BB311_169 Depth=1
	v_bfe_u32 v6, v33, 16, 1
	v_add3_u32 v6, v33, v6, s29
                                        ; implicit-def: $vgpr33
; %bb.216:                              ;   in Loop: Header=BB311_169 Depth=1
	s_andn2_saveexec_b64 s[2:3], s[0:1]
; %bb.217:                              ;   in Loop: Header=BB311_169 Depth=1
	v_or_b32_e32 v6, 0x10000, v33
	v_cmp_eq_u32_sdwa s[0:1], v33, v13 src0_sel:WORD_0 src1_sel:DWORD
	s_nop 1
	v_cndmask_b32_e64 v6, v6, v33, s[0:1]
; %bb.218:                              ;   in Loop: Header=BB311_169 Depth=1
	s_or_b64 exec, exec, s[2:3]
	v_and_b32_e32 v33, 0xff, v7
	v_cvt_f32_fp8_sdwa v33, v33 src0_sel:BYTE_0
	s_nop 0
	v_mul_f32_e32 v33, s30, v33
	v_and_b32_e32 v37, 0x7f800000, v33
	v_cmp_ne_u32_e64 s[0:1], s28, v37
                                        ; implicit-def: $vgpr37
	s_and_saveexec_b64 s[2:3], s[0:1]
	s_xor_b64 s[0:1], exec, s[2:3]
; %bb.219:                              ;   in Loop: Header=BB311_169 Depth=1
	v_bfe_u32 v37, v33, 16, 1
	v_add3_u32 v37, v33, v37, s29
                                        ; implicit-def: $vgpr33
; %bb.220:                              ;   in Loop: Header=BB311_169 Depth=1
	s_andn2_saveexec_b64 s[2:3], s[0:1]
; %bb.221:                              ;   in Loop: Header=BB311_169 Depth=1
	v_or_b32_e32 v37, 0x10000, v33
	v_cmp_eq_u32_sdwa s[0:1], v33, v13 src0_sel:WORD_0 src1_sel:DWORD
	s_nop 1
	v_cndmask_b32_e64 v37, v37, v33, s[0:1]
; %bb.222:                              ;   in Loop: Header=BB311_169 Depth=1
	s_or_b64 exec, exec, s[2:3]
	v_bfe_u32 v33, v7, 8, 8
	v_cvt_f32_fp8_sdwa v33, v33 src0_sel:BYTE_0
	s_nop 0
	v_mul_f32_e32 v33, s30, v33
	v_and_b32_e32 v38, 0x7f800000, v33
	v_cmp_ne_u32_e64 s[0:1], s28, v38
                                        ; implicit-def: $vgpr38
	s_and_saveexec_b64 s[2:3], s[0:1]
	s_xor_b64 s[0:1], exec, s[2:3]
; %bb.223:                              ;   in Loop: Header=BB311_169 Depth=1
	v_bfe_u32 v38, v33, 16, 1
	v_add3_u32 v38, v33, v38, s29
                                        ; implicit-def: $vgpr33
; %bb.224:                              ;   in Loop: Header=BB311_169 Depth=1
	s_andn2_saveexec_b64 s[2:3], s[0:1]
; %bb.225:                              ;   in Loop: Header=BB311_169 Depth=1
	v_or_b32_e32 v38, 0x10000, v33
	v_cmp_eq_u32_sdwa s[0:1], v33, v13 src0_sel:WORD_0 src1_sel:DWORD
	s_nop 1
	v_cndmask_b32_e64 v38, v38, v33, s[0:1]
; %bb.226:                              ;   in Loop: Header=BB311_169 Depth=1
	s_or_b64 exec, exec, s[2:3]
	v_bfe_u32 v33, v7, 16, 8
	v_cvt_f32_fp8_sdwa v33, v33 src0_sel:BYTE_0
                                        ; implicit-def: $vgpr41
	s_nop 0
	v_mul_f32_e32 v33, s30, v33
	v_and_b32_e32 v39, 0x7f800000, v33
	v_cmp_ne_u32_e64 s[0:1], s28, v39
	s_and_saveexec_b64 s[2:3], s[0:1]
	s_xor_b64 s[0:1], exec, s[2:3]
; %bb.227:                              ;   in Loop: Header=BB311_169 Depth=1
	v_bfe_u32 v39, v33, 16, 1
	v_add3_u32 v41, v33, v39, s29
                                        ; implicit-def: $vgpr33
; %bb.228:                              ;   in Loop: Header=BB311_169 Depth=1
	s_andn2_saveexec_b64 s[2:3], s[0:1]
; %bb.229:                              ;   in Loop: Header=BB311_169 Depth=1
	v_or_b32_e32 v39, 0x10000, v33
	v_cmp_eq_u32_sdwa s[0:1], v33, v13 src0_sel:WORD_0 src1_sel:DWORD
	s_nop 1
	v_cndmask_b32_e64 v41, v39, v33, s[0:1]
; %bb.230:                              ;   in Loop: Header=BB311_169 Depth=1
	s_or_b64 exec, exec, s[2:3]
	v_lshrrev_b32_e32 v7, 24, v7
	v_cvt_f32_fp8_sdwa v7, v7 src0_sel:BYTE_0
                                        ; implicit-def: $vgpr42
	s_nop 0
	v_mul_f32_e32 v7, s30, v7
	v_and_b32_e32 v33, 0x7f800000, v7
	v_cmp_ne_u32_e64 s[0:1], s28, v33
	s_and_saveexec_b64 s[2:3], s[0:1]
	s_xor_b64 s[0:1], exec, s[2:3]
; %bb.231:                              ;   in Loop: Header=BB311_169 Depth=1
	v_bfe_u32 v33, v7, 16, 1
	v_add3_u32 v42, v7, v33, s29
                                        ; implicit-def: $vgpr7
; %bb.232:                              ;   in Loop: Header=BB311_169 Depth=1
	s_andn2_saveexec_b64 s[2:3], s[0:1]
; %bb.233:                              ;   in Loop: Header=BB311_169 Depth=1
	v_or_b32_e32 v33, 0x10000, v7
	v_cmp_eq_u32_sdwa s[0:1], v7, v13 src0_sel:WORD_0 src1_sel:DWORD
	s_nop 1
	v_cndmask_b32_e64 v42, v33, v7, s[0:1]
; %bb.234:                              ;   in Loop: Header=BB311_169 Depth=1
	s_or_b64 exec, exec, s[2:3]
	v_cmp_eq_u32_e64 s[0:1], s34, v1
	v_add_u32_e32 v33, v23, v24
	v_lshrrev_b32_e32 v40, 16, v38
	v_lshrrev_b32_e32 v39, 16, v37
	;; [unrolled: 1-line block ×8, first 2 shown]
	s_and_saveexec_b64 s[18:19], s[0:1]
	s_cbranch_execz .LBB311_236
; %bb.235:                              ;   in Loop: Header=BB311_169 Depth=1
	v_cmp_gt_i32_e64 s[2:3], s33, v33
	v_add_u32_e32 v36, 1, v33
	s_nop 0
	v_cndmask_b32_e64 v8, 0, v8, s[2:3]
	v_cmp_gt_i32_e64 s[2:3], s33, v36
	v_add_u32_e32 v36, 2, v33
	s_nop 0
	v_cndmask_b32_e64 v9, 0, v9, s[2:3]
	;; [unrolled: 4-line block ×7, first 2 shown]
	v_cmp_gt_i32_e64 s[2:3], s33, v36
	s_nop 1
	v_cndmask_b32_e64 v6, 0, v6, s[2:3]
.LBB311_236:                            ;   in Loop: Header=BB311_169 Depth=1
	s_or_b64 exec, exec, s[18:19]
	v_and_b32_e32 v34, 0xffff0000, v34
	v_lshlrev_b32_e32 v8, 16, v8
	v_mul_f32_e32 v36, v34, v8
	v_and_b32_e32 v8, 0x7f800000, v36
	v_cmp_ne_u32_e64 s[2:3], s28, v8
                                        ; implicit-def: $vgpr8
	s_and_saveexec_b64 s[18:19], s[2:3]
	s_xor_b64 s[2:3], exec, s[18:19]
; %bb.237:                              ;   in Loop: Header=BB311_169 Depth=1
	v_bfe_u32 v8, v36, 16, 1
	v_add3_u32 v8, v36, v8, s29
                                        ; implicit-def: $vgpr36
; %bb.238:                              ;   in Loop: Header=BB311_169 Depth=1
	s_andn2_saveexec_b64 s[18:19], s[2:3]
; %bb.239:                              ;   in Loop: Header=BB311_169 Depth=1
	v_or_b32_e32 v8, 0x10000, v36
	v_cmp_eq_u32_sdwa s[2:3], v36, v13 src0_sel:WORD_0 src1_sel:DWORD
	s_nop 1
	v_cndmask_b32_e64 v8, v8, v36, s[2:3]
; %bb.240:                              ;   in Loop: Header=BB311_169 Depth=1
	s_or_b64 exec, exec, s[18:19]
	v_and_b32_e32 v35, 0xffff0000, v35
	v_lshlrev_b32_e32 v9, 16, v9
	v_mul_f32_e32 v36, v35, v9
	v_and_b32_e32 v9, 0x7f800000, v36
	v_cmp_ne_u32_e64 s[2:3], s28, v9
                                        ; implicit-def: $vgpr9
	s_and_saveexec_b64 s[18:19], s[2:3]
	s_xor_b64 s[2:3], exec, s[18:19]
; %bb.241:                              ;   in Loop: Header=BB311_169 Depth=1
	v_bfe_u32 v9, v36, 16, 1
	v_add3_u32 v9, v36, v9, s29
                                        ; implicit-def: $vgpr36
; %bb.242:                              ;   in Loop: Header=BB311_169 Depth=1
	s_andn2_saveexec_b64 s[18:19], s[2:3]
; %bb.243:                              ;   in Loop: Header=BB311_169 Depth=1
	v_or_b32_e32 v9, 0x10000, v36
	v_cmp_eq_u32_sdwa s[2:3], v36, v13 src0_sel:WORD_0 src1_sel:DWORD
	s_nop 1
	v_cndmask_b32_e64 v9, v9, v36, s[2:3]
; %bb.244:                              ;   in Loop: Header=BB311_169 Depth=1
	s_or_b64 exec, exec, s[18:19]
	v_and_b32_e32 v36, 0xffff0000, v27
	v_lshlrev_b32_e32 v27, 16, v37
	v_mul_f32_e32 v37, v36, v27
	v_and_b32_e32 v27, 0x7f800000, v37
	v_cmp_ne_u32_e64 s[2:3], s28, v27
                                        ; implicit-def: $vgpr27
	s_and_saveexec_b64 s[18:19], s[2:3]
	s_xor_b64 s[2:3], exec, s[18:19]
; %bb.245:                              ;   in Loop: Header=BB311_169 Depth=1
	v_bfe_u32 v27, v37, 16, 1
	v_add3_u32 v27, v37, v27, s29
                                        ; implicit-def: $vgpr37
; %bb.246:                              ;   in Loop: Header=BB311_169 Depth=1
	s_andn2_saveexec_b64 s[18:19], s[2:3]
; %bb.247:                              ;   in Loop: Header=BB311_169 Depth=1
	v_or_b32_e32 v27, 0x10000, v37
	v_cmp_eq_u32_sdwa s[2:3], v37, v13 src0_sel:WORD_0 src1_sel:DWORD
	s_nop 1
	v_cndmask_b32_e64 v27, v27, v37, s[2:3]
; %bb.248:                              ;   in Loop: Header=BB311_169 Depth=1
	s_or_b64 exec, exec, s[18:19]
	v_and_b32_e32 v37, 0xffff0000, v28
	v_lshlrev_b32_e32 v28, 16, v38
	v_mul_f32_e32 v38, v37, v28
	v_and_b32_e32 v28, 0x7f800000, v38
	v_cmp_ne_u32_e64 s[2:3], s28, v28
                                        ; implicit-def: $vgpr28
	s_and_saveexec_b64 s[18:19], s[2:3]
	s_xor_b64 s[2:3], exec, s[18:19]
; %bb.249:                              ;   in Loop: Header=BB311_169 Depth=1
	v_bfe_u32 v28, v38, 16, 1
	v_add3_u32 v28, v38, v28, s29
                                        ; implicit-def: $vgpr38
; %bb.250:                              ;   in Loop: Header=BB311_169 Depth=1
	s_andn2_saveexec_b64 s[18:19], s[2:3]
; %bb.251:                              ;   in Loop: Header=BB311_169 Depth=1
	v_or_b32_e32 v28, 0x10000, v38
	v_cmp_eq_u32_sdwa s[2:3], v38, v13 src0_sel:WORD_0 src1_sel:DWORD
	s_nop 1
	v_cndmask_b32_e64 v28, v28, v38, s[2:3]
; %bb.252:                              ;   in Loop: Header=BB311_169 Depth=1
	s_or_b64 exec, exec, s[18:19]
	v_and_b32_e32 v38, 0xffff0000, v29
	v_lshlrev_b32_e32 v29, 16, v39
	v_mul_f32_e32 v39, v38, v29
	v_and_b32_e32 v29, 0x7f800000, v39
	v_cmp_ne_u32_e64 s[2:3], s28, v29
                                        ; implicit-def: $vgpr29
	s_and_saveexec_b64 s[18:19], s[2:3]
	s_xor_b64 s[2:3], exec, s[18:19]
; %bb.253:                              ;   in Loop: Header=BB311_169 Depth=1
	v_bfe_u32 v29, v39, 16, 1
	v_add3_u32 v29, v39, v29, s29
                                        ; implicit-def: $vgpr39
; %bb.254:                              ;   in Loop: Header=BB311_169 Depth=1
	s_andn2_saveexec_b64 s[18:19], s[2:3]
; %bb.255:                              ;   in Loop: Header=BB311_169 Depth=1
	v_or_b32_e32 v29, 0x10000, v39
	v_cmp_eq_u32_sdwa s[2:3], v39, v13 src0_sel:WORD_0 src1_sel:DWORD
	s_nop 1
	v_cndmask_b32_e64 v29, v29, v39, s[2:3]
; %bb.256:                              ;   in Loop: Header=BB311_169 Depth=1
	s_or_b64 exec, exec, s[18:19]
	v_and_b32_e32 v39, 0xffff0000, v30
	v_lshlrev_b32_e32 v30, 16, v40
	v_mul_f32_e32 v40, v39, v30
	v_and_b32_e32 v30, 0x7f800000, v40
	v_cmp_ne_u32_e64 s[2:3], s28, v30
                                        ; implicit-def: $vgpr30
	s_and_saveexec_b64 s[18:19], s[2:3]
	s_xor_b64 s[2:3], exec, s[18:19]
; %bb.257:                              ;   in Loop: Header=BB311_169 Depth=1
	v_bfe_u32 v30, v40, 16, 1
	v_add3_u32 v30, v40, v30, s29
                                        ; implicit-def: $vgpr40
; %bb.258:                              ;   in Loop: Header=BB311_169 Depth=1
	s_andn2_saveexec_b64 s[18:19], s[2:3]
; %bb.259:                              ;   in Loop: Header=BB311_169 Depth=1
	v_or_b32_e32 v30, 0x10000, v40
	v_cmp_eq_u32_sdwa s[2:3], v40, v13 src0_sel:WORD_0 src1_sel:DWORD
	s_nop 1
	v_cndmask_b32_e64 v30, v30, v40, s[2:3]
; %bb.260:                              ;   in Loop: Header=BB311_169 Depth=1
	s_or_b64 exec, exec, s[18:19]
	v_and_b32_e32 v40, 0xffff0000, v31
	v_lshlrev_b32_e32 v7, 16, v7
	v_mul_f32_e32 v7, v40, v7
	v_and_b32_e32 v31, 0x7f800000, v7
	v_cmp_ne_u32_e64 s[2:3], s28, v31
                                        ; implicit-def: $vgpr31
	s_and_saveexec_b64 s[18:19], s[2:3]
	s_xor_b64 s[2:3], exec, s[18:19]
; %bb.261:                              ;   in Loop: Header=BB311_169 Depth=1
	v_bfe_u32 v31, v7, 16, 1
	v_add3_u32 v31, v7, v31, s29
                                        ; implicit-def: $vgpr7
; %bb.262:                              ;   in Loop: Header=BB311_169 Depth=1
	s_andn2_saveexec_b64 s[18:19], s[2:3]
; %bb.263:                              ;   in Loop: Header=BB311_169 Depth=1
	v_or_b32_e32 v31, 0x10000, v7
	v_cmp_eq_u32_sdwa s[2:3], v7, v13 src0_sel:WORD_0 src1_sel:DWORD
	s_nop 1
	v_cndmask_b32_e64 v31, v31, v7, s[2:3]
; %bb.264:                              ;   in Loop: Header=BB311_169 Depth=1
	s_or_b64 exec, exec, s[18:19]
	v_and_b32_e32 v41, 0xffff0000, v32
	v_lshlrev_b32_e32 v6, 16, v6
	v_mul_f32_e32 v6, v41, v6
	v_and_b32_e32 v7, 0x7f800000, v6
	v_cmp_ne_u32_e64 s[2:3], s28, v7
                                        ; implicit-def: $vgpr32
	s_and_saveexec_b64 s[18:19], s[2:3]
	s_xor_b64 s[2:3], exec, s[18:19]
; %bb.265:                              ;   in Loop: Header=BB311_169 Depth=1
	v_bfe_u32 v7, v6, 16, 1
	v_add3_u32 v32, v6, v7, s29
                                        ; implicit-def: $vgpr6
; %bb.266:                              ;   in Loop: Header=BB311_169 Depth=1
	s_andn2_saveexec_b64 s[18:19], s[2:3]
; %bb.267:                              ;   in Loop: Header=BB311_169 Depth=1
	v_or_b32_e32 v7, 0x10000, v6
	v_cmp_eq_u32_sdwa s[2:3], v6, v13 src0_sel:WORD_0 src1_sel:DWORD
	s_nop 1
	v_cndmask_b32_e64 v32, v7, v6, s[2:3]
; %bb.268:                              ;   in Loop: Header=BB311_169 Depth=1
	s_or_b64 exec, exec, s[18:19]
	global_load_dwordx2 v[6:7], v[4:5], off offset:512
	s_waitcnt vmcnt(0)
	v_and_b32_e32 v42, 0xff, v6
	v_cvt_f32_fp8_sdwa v42, v42 src0_sel:BYTE_0
	s_nop 0
	v_mul_f32_e32 v43, s30, v42
	v_and_b32_e32 v42, 0x7f800000, v43
	v_cmp_ne_u32_e64 s[2:3], s28, v42
                                        ; implicit-def: $vgpr42
	s_and_saveexec_b64 s[18:19], s[2:3]
	s_xor_b64 s[2:3], exec, s[18:19]
; %bb.269:                              ;   in Loop: Header=BB311_169 Depth=1
	v_bfe_u32 v42, v43, 16, 1
	v_add3_u32 v42, v43, v42, s29
                                        ; implicit-def: $vgpr43
; %bb.270:                              ;   in Loop: Header=BB311_169 Depth=1
	s_andn2_saveexec_b64 s[18:19], s[2:3]
; %bb.271:                              ;   in Loop: Header=BB311_169 Depth=1
	v_or_b32_e32 v42, 0x10000, v43
	v_cmp_eq_u32_sdwa s[2:3], v43, v13 src0_sel:WORD_0 src1_sel:DWORD
	s_nop 1
	v_cndmask_b32_e64 v42, v42, v43, s[2:3]
; %bb.272:                              ;   in Loop: Header=BB311_169 Depth=1
	s_or_b64 exec, exec, s[18:19]
	v_bfe_u32 v43, v6, 8, 8
	v_cvt_f32_fp8_sdwa v43, v43 src0_sel:BYTE_0
	s_nop 0
	v_mul_f32_e32 v44, s30, v43
	v_and_b32_e32 v43, 0x7f800000, v44
	v_cmp_ne_u32_e64 s[2:3], s28, v43
                                        ; implicit-def: $vgpr43
	s_and_saveexec_b64 s[18:19], s[2:3]
	s_xor_b64 s[2:3], exec, s[18:19]
; %bb.273:                              ;   in Loop: Header=BB311_169 Depth=1
	v_bfe_u32 v43, v44, 16, 1
	v_add3_u32 v43, v44, v43, s29
                                        ; implicit-def: $vgpr44
; %bb.274:                              ;   in Loop: Header=BB311_169 Depth=1
	s_andn2_saveexec_b64 s[18:19], s[2:3]
; %bb.275:                              ;   in Loop: Header=BB311_169 Depth=1
	v_or_b32_e32 v43, 0x10000, v44
	v_cmp_eq_u32_sdwa s[2:3], v44, v13 src0_sel:WORD_0 src1_sel:DWORD
	s_nop 1
	v_cndmask_b32_e64 v43, v43, v44, s[2:3]
; %bb.276:                              ;   in Loop: Header=BB311_169 Depth=1
	s_or_b64 exec, exec, s[18:19]
	v_bfe_u32 v44, v6, 16, 8
	v_cvt_f32_fp8_sdwa v44, v44 src0_sel:BYTE_0
	s_nop 0
	v_mul_f32_e32 v45, s30, v44
	v_and_b32_e32 v44, 0x7f800000, v45
	v_cmp_ne_u32_e64 s[2:3], s28, v44
                                        ; implicit-def: $vgpr44
	s_and_saveexec_b64 s[18:19], s[2:3]
	s_xor_b64 s[2:3], exec, s[18:19]
; %bb.277:                              ;   in Loop: Header=BB311_169 Depth=1
	v_bfe_u32 v44, v45, 16, 1
	v_add3_u32 v44, v45, v44, s29
                                        ; implicit-def: $vgpr45
; %bb.278:                              ;   in Loop: Header=BB311_169 Depth=1
	s_andn2_saveexec_b64 s[18:19], s[2:3]
; %bb.279:                              ;   in Loop: Header=BB311_169 Depth=1
	v_or_b32_e32 v44, 0x10000, v45
	v_cmp_eq_u32_sdwa s[2:3], v45, v13 src0_sel:WORD_0 src1_sel:DWORD
	s_nop 1
	v_cndmask_b32_e64 v44, v44, v45, s[2:3]
; %bb.280:                              ;   in Loop: Header=BB311_169 Depth=1
	s_or_b64 exec, exec, s[18:19]
	v_lshrrev_b32_e32 v6, 24, v6
	v_cvt_f32_fp8_sdwa v6, v6 src0_sel:BYTE_0
	s_nop 0
	v_mul_f32_e32 v45, s30, v6
	v_and_b32_e32 v6, 0x7f800000, v45
	v_cmp_ne_u32_e64 s[2:3], s28, v6
                                        ; implicit-def: $vgpr6
	s_and_saveexec_b64 s[18:19], s[2:3]
	s_xor_b64 s[2:3], exec, s[18:19]
; %bb.281:                              ;   in Loop: Header=BB311_169 Depth=1
	v_bfe_u32 v6, v45, 16, 1
	v_add3_u32 v6, v45, v6, s29
                                        ; implicit-def: $vgpr45
; %bb.282:                              ;   in Loop: Header=BB311_169 Depth=1
	s_andn2_saveexec_b64 s[18:19], s[2:3]
; %bb.283:                              ;   in Loop: Header=BB311_169 Depth=1
	v_or_b32_e32 v6, 0x10000, v45
	v_cmp_eq_u32_sdwa s[2:3], v45, v13 src0_sel:WORD_0 src1_sel:DWORD
	s_nop 1
	v_cndmask_b32_e64 v6, v6, v45, s[2:3]
; %bb.284:                              ;   in Loop: Header=BB311_169 Depth=1
	s_or_b64 exec, exec, s[18:19]
	v_and_b32_e32 v45, 0xff, v7
	v_cvt_f32_fp8_sdwa v45, v45 src0_sel:BYTE_0
	s_nop 0
	v_mul_f32_e32 v45, s30, v45
	v_and_b32_e32 v46, 0x7f800000, v45
	v_cmp_ne_u32_e64 s[2:3], s28, v46
                                        ; implicit-def: $vgpr46
	s_and_saveexec_b64 s[18:19], s[2:3]
	s_xor_b64 s[2:3], exec, s[18:19]
; %bb.285:                              ;   in Loop: Header=BB311_169 Depth=1
	v_bfe_u32 v46, v45, 16, 1
	v_add3_u32 v46, v45, v46, s29
                                        ; implicit-def: $vgpr45
; %bb.286:                              ;   in Loop: Header=BB311_169 Depth=1
	s_andn2_saveexec_b64 s[18:19], s[2:3]
; %bb.287:                              ;   in Loop: Header=BB311_169 Depth=1
	v_or_b32_e32 v46, 0x10000, v45
	v_cmp_eq_u32_sdwa s[2:3], v45, v13 src0_sel:WORD_0 src1_sel:DWORD
	s_nop 1
	v_cndmask_b32_e64 v46, v46, v45, s[2:3]
; %bb.288:                              ;   in Loop: Header=BB311_169 Depth=1
	s_or_b64 exec, exec, s[18:19]
	v_bfe_u32 v45, v7, 8, 8
	v_cvt_f32_fp8_sdwa v45, v45 src0_sel:BYTE_0
	s_nop 0
	v_mul_f32_e32 v47, s30, v45
	v_and_b32_e32 v45, 0x7f800000, v47
	v_cmp_ne_u32_e64 s[2:3], s28, v45
                                        ; implicit-def: $vgpr45
	s_and_saveexec_b64 s[18:19], s[2:3]
	s_xor_b64 s[2:3], exec, s[18:19]
; %bb.289:                              ;   in Loop: Header=BB311_169 Depth=1
	v_bfe_u32 v45, v47, 16, 1
	v_add3_u32 v45, v47, v45, s29
                                        ; implicit-def: $vgpr47
; %bb.290:                              ;   in Loop: Header=BB311_169 Depth=1
	s_andn2_saveexec_b64 s[18:19], s[2:3]
; %bb.291:                              ;   in Loop: Header=BB311_169 Depth=1
	v_or_b32_e32 v45, 0x10000, v47
	v_cmp_eq_u32_sdwa s[2:3], v47, v13 src0_sel:WORD_0 src1_sel:DWORD
	s_nop 1
	v_cndmask_b32_e64 v45, v45, v47, s[2:3]
; %bb.292:                              ;   in Loop: Header=BB311_169 Depth=1
	s_or_b64 exec, exec, s[18:19]
	v_bfe_u32 v47, v7, 16, 8
	v_cvt_f32_fp8_sdwa v47, v47 src0_sel:BYTE_0
	s_nop 0
	v_mul_f32_e32 v48, s30, v47
	v_and_b32_e32 v47, 0x7f800000, v48
	v_cmp_ne_u32_e64 s[2:3], s28, v47
                                        ; implicit-def: $vgpr47
	s_and_saveexec_b64 s[18:19], s[2:3]
	s_xor_b64 s[2:3], exec, s[18:19]
; %bb.293:                              ;   in Loop: Header=BB311_169 Depth=1
	v_bfe_u32 v47, v48, 16, 1
	v_add3_u32 v47, v48, v47, s29
                                        ; implicit-def: $vgpr48
; %bb.294:                              ;   in Loop: Header=BB311_169 Depth=1
	s_andn2_saveexec_b64 s[18:19], s[2:3]
; %bb.295:                              ;   in Loop: Header=BB311_169 Depth=1
	v_or_b32_e32 v47, 0x10000, v48
	v_cmp_eq_u32_sdwa s[2:3], v48, v13 src0_sel:WORD_0 src1_sel:DWORD
	s_nop 1
	v_cndmask_b32_e64 v47, v47, v48, s[2:3]
; %bb.296:                              ;   in Loop: Header=BB311_169 Depth=1
	s_or_b64 exec, exec, s[18:19]
	v_lshrrev_b32_e32 v7, 24, v7
	v_cvt_f32_fp8_sdwa v7, v7 src0_sel:BYTE_0
                                        ; implicit-def: $vgpr50
	s_nop 0
	v_mul_f32_e32 v7, s30, v7
	v_and_b32_e32 v48, 0x7f800000, v7
	v_cmp_ne_u32_e64 s[2:3], s28, v48
	s_and_saveexec_b64 s[18:19], s[2:3]
	s_xor_b64 s[2:3], exec, s[18:19]
; %bb.297:                              ;   in Loop: Header=BB311_169 Depth=1
	v_bfe_u32 v48, v7, 16, 1
	v_add3_u32 v50, v7, v48, s29
                                        ; implicit-def: $vgpr7
; %bb.298:                              ;   in Loop: Header=BB311_169 Depth=1
	s_andn2_saveexec_b64 s[18:19], s[2:3]
; %bb.299:                              ;   in Loop: Header=BB311_169 Depth=1
	v_or_b32_e32 v48, 0x10000, v7
	v_cmp_eq_u32_sdwa s[2:3], v7, v13 src0_sel:WORD_0 src1_sel:DWORD
	s_nop 1
	v_cndmask_b32_e64 v50, v48, v7, s[2:3]
; %bb.300:                              ;   in Loop: Header=BB311_169 Depth=1
	s_or_b64 exec, exec, s[18:19]
	v_lshrrev_b32_e32 v45, 16, v45
	v_lshrrev_b32_e32 v48, 16, v46
	;; [unrolled: 1-line block ×8, first 2 shown]
	s_and_saveexec_b64 s[18:19], s[0:1]
	s_cbranch_execz .LBB311_302
; %bb.301:                              ;   in Loop: Header=BB311_169 Depth=1
	v_cmp_gt_i32_e64 s[2:3], s33, v33
	v_add_u32_e32 v42, 1, v33
	s_nop 0
	v_cndmask_b32_e64 v6, 0, v6, s[2:3]
	v_cmp_gt_i32_e64 s[2:3], s33, v42
	v_add_u32_e32 v42, 2, v33
	s_nop 0
	v_cndmask_b32_e64 v7, 0, v7, s[2:3]
	v_cmp_gt_i32_e64 s[2:3], s33, v42
	v_add_u32_e32 v42, 3, v33
	s_nop 0
	v_cndmask_b32_e64 v44, 0, v44, s[2:3]
	v_cmp_gt_i32_e64 s[2:3], s33, v42
	v_add_u32_e32 v42, 4, v33
	s_nop 0
	v_cndmask_b32_e64 v49, 0, v49, s[2:3]
	v_cmp_gt_i32_e64 s[2:3], s33, v42
	v_add_u32_e32 v42, 5, v33
	s_nop 0
	v_cndmask_b32_e64 v48, 0, v48, s[2:3]
	v_cmp_gt_i32_e64 s[2:3], s33, v42
	v_add_u32_e32 v42, 6, v33
	s_nop 0
	v_cndmask_b32_e64 v45, 0, v45, s[2:3]
	v_cmp_gt_i32_e64 s[2:3], s33, v42
	v_add_u32_e32 v42, 7, v33
	s_nop 0
	v_cndmask_b32_e64 v46, 0, v46, s[2:3]
	v_cmp_gt_i32_e64 s[2:3], s33, v42
	s_nop 1
	v_cndmask_b32_e64 v47, 0, v47, s[2:3]
.LBB311_302:                            ;   in Loop: Header=BB311_169 Depth=1
	s_or_b64 exec, exec, s[18:19]
	v_lshlrev_b32_e32 v6, 16, v6
	v_mul_f32_e32 v42, v34, v6
	v_and_b32_e32 v6, 0x7f800000, v42
	v_cmp_ne_u32_e64 s[2:3], s28, v6
                                        ; implicit-def: $vgpr6
	s_and_saveexec_b64 s[18:19], s[2:3]
	s_xor_b64 s[2:3], exec, s[18:19]
; %bb.303:                              ;   in Loop: Header=BB311_169 Depth=1
	v_bfe_u32 v6, v42, 16, 1
	v_add3_u32 v6, v42, v6, s29
                                        ; implicit-def: $vgpr42
; %bb.304:                              ;   in Loop: Header=BB311_169 Depth=1
	s_andn2_saveexec_b64 s[18:19], s[2:3]
; %bb.305:                              ;   in Loop: Header=BB311_169 Depth=1
	v_or_b32_e32 v6, 0x10000, v42
	v_cmp_eq_u32_sdwa s[2:3], v42, v13 src0_sel:WORD_0 src1_sel:DWORD
	s_nop 1
	v_cndmask_b32_e64 v6, v6, v42, s[2:3]
; %bb.306:                              ;   in Loop: Header=BB311_169 Depth=1
	s_or_b64 exec, exec, s[18:19]
	v_lshlrev_b32_e32 v7, 16, v7
	v_mul_f32_e32 v42, v35, v7
	v_and_b32_e32 v7, 0x7f800000, v42
	v_cmp_ne_u32_e64 s[2:3], s28, v7
                                        ; implicit-def: $vgpr7
	s_and_saveexec_b64 s[18:19], s[2:3]
	s_xor_b64 s[2:3], exec, s[18:19]
; %bb.307:                              ;   in Loop: Header=BB311_169 Depth=1
	v_bfe_u32 v7, v42, 16, 1
	v_add3_u32 v7, v42, v7, s29
                                        ; implicit-def: $vgpr42
; %bb.308:                              ;   in Loop: Header=BB311_169 Depth=1
	s_andn2_saveexec_b64 s[18:19], s[2:3]
; %bb.309:                              ;   in Loop: Header=BB311_169 Depth=1
	v_or_b32_e32 v7, 0x10000, v42
	v_cmp_eq_u32_sdwa s[2:3], v42, v13 src0_sel:WORD_0 src1_sel:DWORD
	s_nop 1
	v_cndmask_b32_e64 v7, v7, v42, s[2:3]
; %bb.310:                              ;   in Loop: Header=BB311_169 Depth=1
	s_or_b64 exec, exec, s[18:19]
	v_lshlrev_b32_e32 v42, 16, v44
	v_mul_f32_e32 v43, v36, v42
	v_and_b32_e32 v42, 0x7f800000, v43
	v_cmp_ne_u32_e64 s[2:3], s28, v42
                                        ; implicit-def: $vgpr42
	s_and_saveexec_b64 s[18:19], s[2:3]
	s_xor_b64 s[2:3], exec, s[18:19]
; %bb.311:                              ;   in Loop: Header=BB311_169 Depth=1
	v_bfe_u32 v42, v43, 16, 1
	v_add3_u32 v42, v43, v42, s29
                                        ; implicit-def: $vgpr43
; %bb.312:                              ;   in Loop: Header=BB311_169 Depth=1
	s_andn2_saveexec_b64 s[18:19], s[2:3]
; %bb.313:                              ;   in Loop: Header=BB311_169 Depth=1
	v_or_b32_e32 v42, 0x10000, v43
	v_cmp_eq_u32_sdwa s[2:3], v43, v13 src0_sel:WORD_0 src1_sel:DWORD
	s_nop 1
	v_cndmask_b32_e64 v42, v42, v43, s[2:3]
; %bb.314:                              ;   in Loop: Header=BB311_169 Depth=1
	s_or_b64 exec, exec, s[18:19]
	v_lshlrev_b32_e32 v43, 16, v49
	v_mul_f32_e32 v44, v37, v43
	v_and_b32_e32 v43, 0x7f800000, v44
	v_cmp_ne_u32_e64 s[2:3], s28, v43
                                        ; implicit-def: $vgpr43
	s_and_saveexec_b64 s[18:19], s[2:3]
	s_xor_b64 s[2:3], exec, s[18:19]
; %bb.315:                              ;   in Loop: Header=BB311_169 Depth=1
	v_bfe_u32 v43, v44, 16, 1
	v_add3_u32 v43, v44, v43, s29
                                        ; implicit-def: $vgpr44
; %bb.316:                              ;   in Loop: Header=BB311_169 Depth=1
	s_andn2_saveexec_b64 s[18:19], s[2:3]
; %bb.317:                              ;   in Loop: Header=BB311_169 Depth=1
	v_or_b32_e32 v43, 0x10000, v44
	v_cmp_eq_u32_sdwa s[2:3], v44, v13 src0_sel:WORD_0 src1_sel:DWORD
	s_nop 1
	v_cndmask_b32_e64 v43, v43, v44, s[2:3]
; %bb.318:                              ;   in Loop: Header=BB311_169 Depth=1
	s_or_b64 exec, exec, s[18:19]
	v_lshlrev_b32_e32 v44, 16, v48
	v_mul_f32_e32 v48, v38, v44
	v_and_b32_e32 v44, 0x7f800000, v48
	v_cmp_ne_u32_e64 s[2:3], s28, v44
                                        ; implicit-def: $vgpr44
	s_and_saveexec_b64 s[18:19], s[2:3]
	s_xor_b64 s[2:3], exec, s[18:19]
; %bb.319:                              ;   in Loop: Header=BB311_169 Depth=1
	v_bfe_u32 v44, v48, 16, 1
	v_add3_u32 v44, v48, v44, s29
                                        ; implicit-def: $vgpr48
; %bb.320:                              ;   in Loop: Header=BB311_169 Depth=1
	s_andn2_saveexec_b64 s[18:19], s[2:3]
; %bb.321:                              ;   in Loop: Header=BB311_169 Depth=1
	v_or_b32_e32 v44, 0x10000, v48
	v_cmp_eq_u32_sdwa s[2:3], v48, v13 src0_sel:WORD_0 src1_sel:DWORD
	s_nop 1
	v_cndmask_b32_e64 v44, v44, v48, s[2:3]
; %bb.322:                              ;   in Loop: Header=BB311_169 Depth=1
	s_or_b64 exec, exec, s[18:19]
	v_lshlrev_b32_e32 v45, 16, v45
	v_mul_f32_e32 v48, v39, v45
	v_and_b32_e32 v45, 0x7f800000, v48
	v_cmp_ne_u32_e64 s[2:3], s28, v45
                                        ; implicit-def: $vgpr45
	s_and_saveexec_b64 s[18:19], s[2:3]
	s_xor_b64 s[2:3], exec, s[18:19]
; %bb.323:                              ;   in Loop: Header=BB311_169 Depth=1
	v_bfe_u32 v45, v48, 16, 1
	v_add3_u32 v45, v48, v45, s29
                                        ; implicit-def: $vgpr48
; %bb.324:                              ;   in Loop: Header=BB311_169 Depth=1
	s_andn2_saveexec_b64 s[18:19], s[2:3]
; %bb.325:                              ;   in Loop: Header=BB311_169 Depth=1
	v_or_b32_e32 v45, 0x10000, v48
	v_cmp_eq_u32_sdwa s[2:3], v48, v13 src0_sel:WORD_0 src1_sel:DWORD
	s_nop 1
	v_cndmask_b32_e64 v45, v45, v48, s[2:3]
; %bb.326:                              ;   in Loop: Header=BB311_169 Depth=1
	s_or_b64 exec, exec, s[18:19]
	v_lshlrev_b32_e32 v46, 16, v46
	v_mul_f32_e32 v48, v40, v46
	v_and_b32_e32 v46, 0x7f800000, v48
	v_cmp_ne_u32_e64 s[2:3], s28, v46
                                        ; implicit-def: $vgpr46
	s_and_saveexec_b64 s[18:19], s[2:3]
	s_xor_b64 s[2:3], exec, s[18:19]
; %bb.327:                              ;   in Loop: Header=BB311_169 Depth=1
	v_bfe_u32 v46, v48, 16, 1
	v_add3_u32 v46, v48, v46, s29
                                        ; implicit-def: $vgpr48
; %bb.328:                              ;   in Loop: Header=BB311_169 Depth=1
	s_andn2_saveexec_b64 s[18:19], s[2:3]
; %bb.329:                              ;   in Loop: Header=BB311_169 Depth=1
	v_or_b32_e32 v46, 0x10000, v48
	v_cmp_eq_u32_sdwa s[2:3], v48, v13 src0_sel:WORD_0 src1_sel:DWORD
	s_nop 1
	v_cndmask_b32_e64 v46, v46, v48, s[2:3]
; %bb.330:                              ;   in Loop: Header=BB311_169 Depth=1
	s_or_b64 exec, exec, s[18:19]
	v_lshlrev_b32_e32 v47, 16, v47
	v_mul_f32_e32 v48, v41, v47
	v_and_b32_e32 v47, 0x7f800000, v48
	v_cmp_ne_u32_e64 s[2:3], s28, v47
                                        ; implicit-def: $vgpr47
	s_and_saveexec_b64 s[18:19], s[2:3]
	s_xor_b64 s[2:3], exec, s[18:19]
; %bb.331:                              ;   in Loop: Header=BB311_169 Depth=1
	v_bfe_u32 v47, v48, 16, 1
	v_add3_u32 v47, v48, v47, s29
                                        ; implicit-def: $vgpr48
; %bb.332:                              ;   in Loop: Header=BB311_169 Depth=1
	s_andn2_saveexec_b64 s[18:19], s[2:3]
; %bb.333:                              ;   in Loop: Header=BB311_169 Depth=1
	v_or_b32_e32 v47, 0x10000, v48
	v_cmp_eq_u32_sdwa s[2:3], v48, v13 src0_sel:WORD_0 src1_sel:DWORD
	s_nop 1
	v_cndmask_b32_e64 v47, v47, v48, s[2:3]
; %bb.334:                              ;   in Loop: Header=BB311_169 Depth=1
	s_or_b64 exec, exec, s[18:19]
	global_load_dwordx2 v[4:5], v[4:5], off offset:1024
	s_waitcnt vmcnt(0)
	v_and_b32_e32 v48, 0xff, v4
	v_cvt_f32_fp8_sdwa v48, v48 src0_sel:BYTE_0
	s_nop 0
	v_mul_f32_e32 v49, s30, v48
	v_and_b32_e32 v48, 0x7f800000, v49
	v_cmp_ne_u32_e64 s[2:3], s28, v48
                                        ; implicit-def: $vgpr48
	s_and_saveexec_b64 s[18:19], s[2:3]
	s_xor_b64 s[2:3], exec, s[18:19]
; %bb.335:                              ;   in Loop: Header=BB311_169 Depth=1
	v_bfe_u32 v48, v49, 16, 1
	v_add3_u32 v48, v49, v48, s29
                                        ; implicit-def: $vgpr49
; %bb.336:                              ;   in Loop: Header=BB311_169 Depth=1
	s_andn2_saveexec_b64 s[18:19], s[2:3]
; %bb.337:                              ;   in Loop: Header=BB311_169 Depth=1
	v_or_b32_e32 v48, 0x10000, v49
	v_cmp_eq_u32_sdwa s[2:3], v49, v13 src0_sel:WORD_0 src1_sel:DWORD
	s_nop 1
	v_cndmask_b32_e64 v48, v48, v49, s[2:3]
; %bb.338:                              ;   in Loop: Header=BB311_169 Depth=1
	s_or_b64 exec, exec, s[18:19]
	v_bfe_u32 v49, v4, 8, 8
	v_cvt_f32_fp8_sdwa v49, v49 src0_sel:BYTE_0
	s_nop 0
	v_mul_f32_e32 v50, s30, v49
	v_and_b32_e32 v49, 0x7f800000, v50
	v_cmp_ne_u32_e64 s[2:3], s28, v49
                                        ; implicit-def: $vgpr49
	s_and_saveexec_b64 s[18:19], s[2:3]
	s_xor_b64 s[2:3], exec, s[18:19]
; %bb.339:                              ;   in Loop: Header=BB311_169 Depth=1
	v_bfe_u32 v49, v50, 16, 1
	v_add3_u32 v49, v50, v49, s29
                                        ; implicit-def: $vgpr50
; %bb.340:                              ;   in Loop: Header=BB311_169 Depth=1
	s_andn2_saveexec_b64 s[18:19], s[2:3]
; %bb.341:                              ;   in Loop: Header=BB311_169 Depth=1
	v_or_b32_e32 v49, 0x10000, v50
	v_cmp_eq_u32_sdwa s[2:3], v50, v13 src0_sel:WORD_0 src1_sel:DWORD
	s_nop 1
	v_cndmask_b32_e64 v49, v49, v50, s[2:3]
; %bb.342:                              ;   in Loop: Header=BB311_169 Depth=1
	s_or_b64 exec, exec, s[18:19]
	v_bfe_u32 v50, v4, 16, 8
	v_cvt_f32_fp8_sdwa v50, v50 src0_sel:BYTE_0
	s_nop 0
	v_mul_f32_e32 v51, s30, v50
	v_and_b32_e32 v50, 0x7f800000, v51
	v_cmp_ne_u32_e64 s[2:3], s28, v50
                                        ; implicit-def: $vgpr50
	s_and_saveexec_b64 s[18:19], s[2:3]
	s_xor_b64 s[2:3], exec, s[18:19]
; %bb.343:                              ;   in Loop: Header=BB311_169 Depth=1
	v_bfe_u32 v50, v51, 16, 1
	v_add3_u32 v50, v51, v50, s29
                                        ; implicit-def: $vgpr51
; %bb.344:                              ;   in Loop: Header=BB311_169 Depth=1
	s_andn2_saveexec_b64 s[18:19], s[2:3]
; %bb.345:                              ;   in Loop: Header=BB311_169 Depth=1
	v_or_b32_e32 v50, 0x10000, v51
	v_cmp_eq_u32_sdwa s[2:3], v51, v13 src0_sel:WORD_0 src1_sel:DWORD
	s_nop 1
	v_cndmask_b32_e64 v50, v50, v51, s[2:3]
; %bb.346:                              ;   in Loop: Header=BB311_169 Depth=1
	s_or_b64 exec, exec, s[18:19]
	v_lshrrev_b32_e32 v4, 24, v4
	v_cvt_f32_fp8_sdwa v4, v4 src0_sel:BYTE_0
	s_nop 0
	v_mul_f32_e32 v51, s30, v4
	v_and_b32_e32 v4, 0x7f800000, v51
	v_cmp_ne_u32_e64 s[2:3], s28, v4
                                        ; implicit-def: $vgpr4
	s_and_saveexec_b64 s[18:19], s[2:3]
	s_xor_b64 s[2:3], exec, s[18:19]
; %bb.347:                              ;   in Loop: Header=BB311_169 Depth=1
	v_bfe_u32 v4, v51, 16, 1
	v_add3_u32 v4, v51, v4, s29
                                        ; implicit-def: $vgpr51
; %bb.348:                              ;   in Loop: Header=BB311_169 Depth=1
	s_andn2_saveexec_b64 s[18:19], s[2:3]
; %bb.349:                              ;   in Loop: Header=BB311_169 Depth=1
	v_or_b32_e32 v4, 0x10000, v51
	v_cmp_eq_u32_sdwa s[2:3], v51, v13 src0_sel:WORD_0 src1_sel:DWORD
	s_nop 1
	v_cndmask_b32_e64 v4, v4, v51, s[2:3]
; %bb.350:                              ;   in Loop: Header=BB311_169 Depth=1
	s_or_b64 exec, exec, s[18:19]
	v_and_b32_e32 v51, 0xff, v5
	v_cvt_f32_fp8_sdwa v51, v51 src0_sel:BYTE_0
	s_nop 0
	v_mul_f32_e32 v51, s30, v51
	v_and_b32_e32 v52, 0x7f800000, v51
	v_cmp_ne_u32_e64 s[2:3], s28, v52
                                        ; implicit-def: $vgpr52
	s_and_saveexec_b64 s[18:19], s[2:3]
	s_xor_b64 s[2:3], exec, s[18:19]
; %bb.351:                              ;   in Loop: Header=BB311_169 Depth=1
	v_bfe_u32 v52, v51, 16, 1
	v_add3_u32 v52, v51, v52, s29
                                        ; implicit-def: $vgpr51
; %bb.352:                              ;   in Loop: Header=BB311_169 Depth=1
	s_andn2_saveexec_b64 s[18:19], s[2:3]
; %bb.353:                              ;   in Loop: Header=BB311_169 Depth=1
	v_or_b32_e32 v52, 0x10000, v51
	v_cmp_eq_u32_sdwa s[2:3], v51, v13 src0_sel:WORD_0 src1_sel:DWORD
	s_nop 1
	v_cndmask_b32_e64 v52, v52, v51, s[2:3]
; %bb.354:                              ;   in Loop: Header=BB311_169 Depth=1
	s_or_b64 exec, exec, s[18:19]
	v_bfe_u32 v51, v5, 8, 8
	v_cvt_f32_fp8_sdwa v51, v51 src0_sel:BYTE_0
	s_nop 0
	v_mul_f32_e32 v53, s30, v51
	v_and_b32_e32 v51, 0x7f800000, v53
	v_cmp_ne_u32_e64 s[2:3], s28, v51
                                        ; implicit-def: $vgpr51
	s_and_saveexec_b64 s[18:19], s[2:3]
	s_xor_b64 s[2:3], exec, s[18:19]
; %bb.355:                              ;   in Loop: Header=BB311_169 Depth=1
	v_bfe_u32 v51, v53, 16, 1
	v_add3_u32 v51, v53, v51, s29
                                        ; implicit-def: $vgpr53
; %bb.356:                              ;   in Loop: Header=BB311_169 Depth=1
	s_andn2_saveexec_b64 s[18:19], s[2:3]
; %bb.357:                              ;   in Loop: Header=BB311_169 Depth=1
	v_or_b32_e32 v51, 0x10000, v53
	v_cmp_eq_u32_sdwa s[2:3], v53, v13 src0_sel:WORD_0 src1_sel:DWORD
	s_nop 1
	v_cndmask_b32_e64 v51, v51, v53, s[2:3]
; %bb.358:                              ;   in Loop: Header=BB311_169 Depth=1
	s_or_b64 exec, exec, s[18:19]
	v_bfe_u32 v53, v5, 16, 8
	v_cvt_f32_fp8_sdwa v53, v53 src0_sel:BYTE_0
	s_nop 0
	v_mul_f32_e32 v54, s30, v53
	v_and_b32_e32 v53, 0x7f800000, v54
	v_cmp_ne_u32_e64 s[2:3], s28, v53
                                        ; implicit-def: $vgpr53
	s_and_saveexec_b64 s[18:19], s[2:3]
	s_xor_b64 s[2:3], exec, s[18:19]
; %bb.359:                              ;   in Loop: Header=BB311_169 Depth=1
	v_bfe_u32 v53, v54, 16, 1
	v_add3_u32 v53, v54, v53, s29
                                        ; implicit-def: $vgpr54
; %bb.360:                              ;   in Loop: Header=BB311_169 Depth=1
	s_andn2_saveexec_b64 s[18:19], s[2:3]
; %bb.361:                              ;   in Loop: Header=BB311_169 Depth=1
	v_or_b32_e32 v53, 0x10000, v54
	v_cmp_eq_u32_sdwa s[2:3], v54, v13 src0_sel:WORD_0 src1_sel:DWORD
	s_nop 1
	v_cndmask_b32_e64 v53, v53, v54, s[2:3]
; %bb.362:                              ;   in Loop: Header=BB311_169 Depth=1
	s_or_b64 exec, exec, s[18:19]
	v_lshrrev_b32_e32 v5, 24, v5
	v_cvt_f32_fp8_sdwa v5, v5 src0_sel:BYTE_0
                                        ; implicit-def: $vgpr56
	s_nop 0
	v_mul_f32_e32 v5, s30, v5
	v_and_b32_e32 v54, 0x7f800000, v5
	v_cmp_ne_u32_e64 s[2:3], s28, v54
	s_and_saveexec_b64 s[18:19], s[2:3]
	s_xor_b64 s[2:3], exec, s[18:19]
; %bb.363:                              ;   in Loop: Header=BB311_169 Depth=1
	v_bfe_u32 v54, v5, 16, 1
	v_add3_u32 v56, v5, v54, s29
                                        ; implicit-def: $vgpr5
; %bb.364:                              ;   in Loop: Header=BB311_169 Depth=1
	s_andn2_saveexec_b64 s[18:19], s[2:3]
; %bb.365:                              ;   in Loop: Header=BB311_169 Depth=1
	v_or_b32_e32 v54, 0x10000, v5
	v_cmp_eq_u32_sdwa s[2:3], v5, v13 src0_sel:WORD_0 src1_sel:DWORD
	s_nop 1
	v_cndmask_b32_e64 v56, v54, v5, s[2:3]
; %bb.366:                              ;   in Loop: Header=BB311_169 Depth=1
	s_or_b64 exec, exec, s[18:19]
	v_lshrrev_b32_e32 v51, 16, v51
	v_lshrrev_b32_e32 v54, 16, v52
	;; [unrolled: 1-line block ×8, first 2 shown]
	s_and_saveexec_b64 s[18:19], s[0:1]
	s_cbranch_execz .LBB311_368
; %bb.367:                              ;   in Loop: Header=BB311_169 Depth=1
	v_cmp_gt_i32_e64 s[2:3], s33, v33
	v_add_u32_e32 v48, 1, v33
	s_nop 0
	v_cndmask_b32_e64 v4, 0, v4, s[2:3]
	v_cmp_gt_i32_e64 s[2:3], s33, v48
	v_add_u32_e32 v48, 2, v33
	s_nop 0
	v_cndmask_b32_e64 v5, 0, v5, s[2:3]
	;; [unrolled: 4-line block ×7, first 2 shown]
	v_cmp_gt_i32_e64 s[2:3], s33, v48
	s_nop 1
	v_cndmask_b32_e64 v53, 0, v53, s[2:3]
.LBB311_368:                            ;   in Loop: Header=BB311_169 Depth=1
	s_or_b64 exec, exec, s[18:19]
	v_lshlrev_b32_e32 v4, 16, v4
	v_mul_f32_e32 v48, v34, v4
	v_and_b32_e32 v4, 0x7f800000, v48
	v_cmp_ne_u32_e64 s[2:3], s28, v4
                                        ; implicit-def: $vgpr4
	s_and_saveexec_b64 s[18:19], s[2:3]
	s_xor_b64 s[2:3], exec, s[18:19]
; %bb.369:                              ;   in Loop: Header=BB311_169 Depth=1
	v_bfe_u32 v4, v48, 16, 1
	v_add3_u32 v4, v48, v4, s29
                                        ; implicit-def: $vgpr48
; %bb.370:                              ;   in Loop: Header=BB311_169 Depth=1
	s_andn2_saveexec_b64 s[18:19], s[2:3]
; %bb.371:                              ;   in Loop: Header=BB311_169 Depth=1
	v_or_b32_e32 v4, 0x10000, v48
	v_cmp_eq_u32_sdwa s[2:3], v48, v13 src0_sel:WORD_0 src1_sel:DWORD
	s_nop 1
	v_cndmask_b32_e64 v4, v4, v48, s[2:3]
; %bb.372:                              ;   in Loop: Header=BB311_169 Depth=1
	s_or_b64 exec, exec, s[18:19]
	v_lshlrev_b32_e32 v5, 16, v5
	v_mul_f32_e32 v48, v35, v5
	v_and_b32_e32 v5, 0x7f800000, v48
	v_cmp_ne_u32_e64 s[2:3], s28, v5
                                        ; implicit-def: $vgpr5
	s_and_saveexec_b64 s[18:19], s[2:3]
	s_xor_b64 s[2:3], exec, s[18:19]
; %bb.373:                              ;   in Loop: Header=BB311_169 Depth=1
	v_bfe_u32 v5, v48, 16, 1
	v_add3_u32 v5, v48, v5, s29
                                        ; implicit-def: $vgpr48
; %bb.374:                              ;   in Loop: Header=BB311_169 Depth=1
	s_andn2_saveexec_b64 s[18:19], s[2:3]
; %bb.375:                              ;   in Loop: Header=BB311_169 Depth=1
	v_or_b32_e32 v5, 0x10000, v48
	v_cmp_eq_u32_sdwa s[2:3], v48, v13 src0_sel:WORD_0 src1_sel:DWORD
	s_nop 1
	v_cndmask_b32_e64 v5, v5, v48, s[2:3]
; %bb.376:                              ;   in Loop: Header=BB311_169 Depth=1
	s_or_b64 exec, exec, s[18:19]
	v_lshlrev_b32_e32 v48, 16, v50
	v_mul_f32_e32 v49, v36, v48
	v_and_b32_e32 v48, 0x7f800000, v49
	v_cmp_ne_u32_e64 s[2:3], s28, v48
                                        ; implicit-def: $vgpr48
	s_and_saveexec_b64 s[18:19], s[2:3]
	s_xor_b64 s[2:3], exec, s[18:19]
; %bb.377:                              ;   in Loop: Header=BB311_169 Depth=1
	v_bfe_u32 v48, v49, 16, 1
	v_add3_u32 v48, v49, v48, s29
                                        ; implicit-def: $vgpr49
; %bb.378:                              ;   in Loop: Header=BB311_169 Depth=1
	s_andn2_saveexec_b64 s[18:19], s[2:3]
; %bb.379:                              ;   in Loop: Header=BB311_169 Depth=1
	v_or_b32_e32 v48, 0x10000, v49
	v_cmp_eq_u32_sdwa s[2:3], v49, v13 src0_sel:WORD_0 src1_sel:DWORD
	s_nop 1
	v_cndmask_b32_e64 v48, v48, v49, s[2:3]
; %bb.380:                              ;   in Loop: Header=BB311_169 Depth=1
	s_or_b64 exec, exec, s[18:19]
	v_lshlrev_b32_e32 v49, 16, v55
	v_mul_f32_e32 v50, v37, v49
	v_and_b32_e32 v49, 0x7f800000, v50
	v_cmp_ne_u32_e64 s[2:3], s28, v49
                                        ; implicit-def: $vgpr49
	s_and_saveexec_b64 s[18:19], s[2:3]
	s_xor_b64 s[2:3], exec, s[18:19]
; %bb.381:                              ;   in Loop: Header=BB311_169 Depth=1
	v_bfe_u32 v49, v50, 16, 1
	v_add3_u32 v49, v50, v49, s29
                                        ; implicit-def: $vgpr50
; %bb.382:                              ;   in Loop: Header=BB311_169 Depth=1
	s_andn2_saveexec_b64 s[18:19], s[2:3]
; %bb.383:                              ;   in Loop: Header=BB311_169 Depth=1
	v_or_b32_e32 v49, 0x10000, v50
	v_cmp_eq_u32_sdwa s[2:3], v50, v13 src0_sel:WORD_0 src1_sel:DWORD
	s_nop 1
	v_cndmask_b32_e64 v49, v49, v50, s[2:3]
; %bb.384:                              ;   in Loop: Header=BB311_169 Depth=1
	s_or_b64 exec, exec, s[18:19]
	v_lshlrev_b32_e32 v50, 16, v54
	v_mul_f32_e32 v54, v38, v50
	v_and_b32_e32 v50, 0x7f800000, v54
	v_cmp_ne_u32_e64 s[2:3], s28, v50
                                        ; implicit-def: $vgpr50
	s_and_saveexec_b64 s[18:19], s[2:3]
	s_xor_b64 s[2:3], exec, s[18:19]
; %bb.385:                              ;   in Loop: Header=BB311_169 Depth=1
	v_bfe_u32 v50, v54, 16, 1
	v_add3_u32 v50, v54, v50, s29
                                        ; implicit-def: $vgpr54
; %bb.386:                              ;   in Loop: Header=BB311_169 Depth=1
	s_andn2_saveexec_b64 s[18:19], s[2:3]
; %bb.387:                              ;   in Loop: Header=BB311_169 Depth=1
	v_or_b32_e32 v50, 0x10000, v54
	v_cmp_eq_u32_sdwa s[2:3], v54, v13 src0_sel:WORD_0 src1_sel:DWORD
	s_nop 1
	v_cndmask_b32_e64 v50, v50, v54, s[2:3]
; %bb.388:                              ;   in Loop: Header=BB311_169 Depth=1
	s_or_b64 exec, exec, s[18:19]
	v_lshlrev_b32_e32 v51, 16, v51
	v_mul_f32_e32 v54, v39, v51
	v_and_b32_e32 v51, 0x7f800000, v54
	v_cmp_ne_u32_e64 s[2:3], s28, v51
                                        ; implicit-def: $vgpr51
	s_and_saveexec_b64 s[18:19], s[2:3]
	s_xor_b64 s[2:3], exec, s[18:19]
; %bb.389:                              ;   in Loop: Header=BB311_169 Depth=1
	v_bfe_u32 v51, v54, 16, 1
	v_add3_u32 v51, v54, v51, s29
                                        ; implicit-def: $vgpr54
; %bb.390:                              ;   in Loop: Header=BB311_169 Depth=1
	s_andn2_saveexec_b64 s[18:19], s[2:3]
; %bb.391:                              ;   in Loop: Header=BB311_169 Depth=1
	v_or_b32_e32 v51, 0x10000, v54
	v_cmp_eq_u32_sdwa s[2:3], v54, v13 src0_sel:WORD_0 src1_sel:DWORD
	s_nop 1
	v_cndmask_b32_e64 v51, v51, v54, s[2:3]
; %bb.392:                              ;   in Loop: Header=BB311_169 Depth=1
	s_or_b64 exec, exec, s[18:19]
	v_lshlrev_b32_e32 v52, 16, v52
	v_mul_f32_e32 v54, v40, v52
	v_and_b32_e32 v52, 0x7f800000, v54
	v_cmp_ne_u32_e64 s[2:3], s28, v52
                                        ; implicit-def: $vgpr52
	s_and_saveexec_b64 s[18:19], s[2:3]
	s_xor_b64 s[2:3], exec, s[18:19]
; %bb.393:                              ;   in Loop: Header=BB311_169 Depth=1
	v_bfe_u32 v52, v54, 16, 1
	v_add3_u32 v52, v54, v52, s29
                                        ; implicit-def: $vgpr54
; %bb.394:                              ;   in Loop: Header=BB311_169 Depth=1
	s_andn2_saveexec_b64 s[18:19], s[2:3]
; %bb.395:                              ;   in Loop: Header=BB311_169 Depth=1
	v_or_b32_e32 v52, 0x10000, v54
	v_cmp_eq_u32_sdwa s[2:3], v54, v13 src0_sel:WORD_0 src1_sel:DWORD
	s_nop 1
	v_cndmask_b32_e64 v52, v52, v54, s[2:3]
; %bb.396:                              ;   in Loop: Header=BB311_169 Depth=1
	s_or_b64 exec, exec, s[18:19]
	v_lshlrev_b32_e32 v53, 16, v53
	v_mul_f32_e32 v54, v41, v53
	v_and_b32_e32 v53, 0x7f800000, v54
	v_cmp_ne_u32_e64 s[2:3], s28, v53
                                        ; implicit-def: $vgpr53
	s_and_saveexec_b64 s[18:19], s[2:3]
	s_xor_b64 s[2:3], exec, s[18:19]
	s_cbranch_execnz .LBB311_399
; %bb.397:                              ;   in Loop: Header=BB311_169 Depth=1
	s_andn2_saveexec_b64 s[18:19], s[2:3]
	s_cbranch_execnz .LBB311_400
.LBB311_398:                            ;   in Loop: Header=BB311_169 Depth=1
	s_or_b64 exec, exec, s[18:19]
	s_and_saveexec_b64 s[18:19], vcc
	s_cbranch_execz .LBB311_167
	s_branch .LBB311_401
.LBB311_399:                            ;   in Loop: Header=BB311_169 Depth=1
	v_bfe_u32 v53, v54, 16, 1
	v_add3_u32 v53, v54, v53, s29
                                        ; implicit-def: $vgpr54
	s_andn2_saveexec_b64 s[18:19], s[2:3]
	s_cbranch_execz .LBB311_398
.LBB311_400:                            ;   in Loop: Header=BB311_169 Depth=1
	v_or_b32_e32 v53, 0x10000, v54
	v_cmp_eq_u32_sdwa s[2:3], v54, v13 src0_sel:WORD_0 src1_sel:DWORD
	s_nop 1
	v_cndmask_b32_e64 v53, v53, v54, s[2:3]
	s_or_b64 exec, exec, s[18:19]
	s_and_saveexec_b64 s[18:19], vcc
	s_cbranch_execz .LBB311_167
.LBB311_401:                            ;   in Loop: Header=BB311_169 Depth=1
	v_lshl_add_u64 v[2:3], v[2:3], 0, v[16:17]
	global_load_dwordx2 v[2:3], v[2:3], off
	s_waitcnt vmcnt(0)
	v_and_b32_e32 v54, 0xff, v2
	v_cvt_f32_fp8_sdwa v54, v54 src0_sel:BYTE_0
	s_nop 0
	v_mul_f32_e32 v55, s30, v54
	v_and_b32_e32 v54, 0x7f800000, v55
	v_cmp_ne_u32_e64 s[2:3], s28, v54
                                        ; implicit-def: $vgpr54
	s_and_saveexec_b64 s[20:21], s[2:3]
	s_xor_b64 s[2:3], exec, s[20:21]
; %bb.402:                              ;   in Loop: Header=BB311_169 Depth=1
	v_bfe_u32 v54, v55, 16, 1
	v_add3_u32 v54, v55, v54, s29
                                        ; implicit-def: $vgpr55
; %bb.403:                              ;   in Loop: Header=BB311_169 Depth=1
	s_andn2_saveexec_b64 s[20:21], s[2:3]
; %bb.404:                              ;   in Loop: Header=BB311_169 Depth=1
	v_or_b32_e32 v54, 0x10000, v55
	v_cmp_eq_u32_sdwa s[2:3], v55, v13 src0_sel:WORD_0 src1_sel:DWORD
	s_nop 1
	v_cndmask_b32_e64 v54, v54, v55, s[2:3]
; %bb.405:                              ;   in Loop: Header=BB311_169 Depth=1
	s_or_b64 exec, exec, s[20:21]
	v_bfe_u32 v55, v2, 8, 8
	v_cvt_f32_fp8_sdwa v55, v55 src0_sel:BYTE_0
	s_nop 0
	v_mul_f32_e32 v56, s30, v55
	v_and_b32_e32 v55, 0x7f800000, v56
	v_cmp_ne_u32_e64 s[2:3], s28, v55
                                        ; implicit-def: $vgpr55
	s_and_saveexec_b64 s[20:21], s[2:3]
	s_xor_b64 s[2:3], exec, s[20:21]
; %bb.406:                              ;   in Loop: Header=BB311_169 Depth=1
	v_bfe_u32 v55, v56, 16, 1
	v_add3_u32 v55, v56, v55, s29
                                        ; implicit-def: $vgpr56
; %bb.407:                              ;   in Loop: Header=BB311_169 Depth=1
	s_andn2_saveexec_b64 s[20:21], s[2:3]
; %bb.408:                              ;   in Loop: Header=BB311_169 Depth=1
	v_or_b32_e32 v55, 0x10000, v56
	v_cmp_eq_u32_sdwa s[2:3], v56, v13 src0_sel:WORD_0 src1_sel:DWORD
	s_nop 1
	v_cndmask_b32_e64 v55, v55, v56, s[2:3]
; %bb.409:                              ;   in Loop: Header=BB311_169 Depth=1
	s_or_b64 exec, exec, s[20:21]
	v_bfe_u32 v56, v2, 16, 8
	v_cvt_f32_fp8_sdwa v56, v56 src0_sel:BYTE_0
	s_nop 0
	v_mul_f32_e32 v56, s30, v56
	v_and_b32_e32 v57, 0x7f800000, v56
	v_cmp_ne_u32_e64 s[2:3], s28, v57
                                        ; implicit-def: $vgpr57
	s_and_saveexec_b64 s[20:21], s[2:3]
	s_xor_b64 s[2:3], exec, s[20:21]
; %bb.410:                              ;   in Loop: Header=BB311_169 Depth=1
	v_bfe_u32 v57, v56, 16, 1
	v_add3_u32 v57, v56, v57, s29
                                        ; implicit-def: $vgpr56
; %bb.411:                              ;   in Loop: Header=BB311_169 Depth=1
	s_andn2_saveexec_b64 s[20:21], s[2:3]
; %bb.412:                              ;   in Loop: Header=BB311_169 Depth=1
	v_or_b32_e32 v57, 0x10000, v56
	v_cmp_eq_u32_sdwa s[2:3], v56, v13 src0_sel:WORD_0 src1_sel:DWORD
	s_nop 1
	v_cndmask_b32_e64 v57, v57, v56, s[2:3]
; %bb.413:                              ;   in Loop: Header=BB311_169 Depth=1
	s_or_b64 exec, exec, s[20:21]
	v_lshrrev_b32_e32 v2, 24, v2
	v_cvt_f32_fp8_sdwa v2, v2 src0_sel:BYTE_0
	s_nop 0
	v_mul_f32_e32 v56, s30, v2
	v_and_b32_e32 v2, 0x7f800000, v56
	v_cmp_ne_u32_e64 s[2:3], s28, v2
                                        ; implicit-def: $vgpr2
	s_and_saveexec_b64 s[20:21], s[2:3]
	s_xor_b64 s[2:3], exec, s[20:21]
; %bb.414:                              ;   in Loop: Header=BB311_169 Depth=1
	v_bfe_u32 v2, v56, 16, 1
	v_add3_u32 v2, v56, v2, s29
                                        ; implicit-def: $vgpr56
; %bb.415:                              ;   in Loop: Header=BB311_169 Depth=1
	s_andn2_saveexec_b64 s[20:21], s[2:3]
; %bb.416:                              ;   in Loop: Header=BB311_169 Depth=1
	v_or_b32_e32 v2, 0x10000, v56
	v_cmp_eq_u32_sdwa s[2:3], v56, v13 src0_sel:WORD_0 src1_sel:DWORD
	s_nop 1
	v_cndmask_b32_e64 v2, v2, v56, s[2:3]
; %bb.417:                              ;   in Loop: Header=BB311_169 Depth=1
	s_or_b64 exec, exec, s[20:21]
	v_and_b32_e32 v56, 0xff, v3
	v_cvt_f32_fp8_sdwa v56, v56 src0_sel:BYTE_0
	s_nop 0
	v_mul_f32_e32 v56, s30, v56
	v_and_b32_e32 v58, 0x7f800000, v56
	v_cmp_ne_u32_e64 s[2:3], s28, v58
                                        ; implicit-def: $vgpr58
	s_and_saveexec_b64 s[20:21], s[2:3]
	s_xor_b64 s[2:3], exec, s[20:21]
; %bb.418:                              ;   in Loop: Header=BB311_169 Depth=1
	v_bfe_u32 v58, v56, 16, 1
	v_add3_u32 v58, v56, v58, s29
                                        ; implicit-def: $vgpr56
; %bb.419:                              ;   in Loop: Header=BB311_169 Depth=1
	s_andn2_saveexec_b64 s[20:21], s[2:3]
; %bb.420:                              ;   in Loop: Header=BB311_169 Depth=1
	v_or_b32_e32 v58, 0x10000, v56
	v_cmp_eq_u32_sdwa s[2:3], v56, v13 src0_sel:WORD_0 src1_sel:DWORD
	s_nop 1
	v_cndmask_b32_e64 v58, v58, v56, s[2:3]
; %bb.421:                              ;   in Loop: Header=BB311_169 Depth=1
	s_or_b64 exec, exec, s[20:21]
	v_bfe_u32 v56, v3, 8, 8
	v_cvt_f32_fp8_sdwa v56, v56 src0_sel:BYTE_0
	s_nop 0
	v_mul_f32_e32 v59, s30, v56
	v_and_b32_e32 v56, 0x7f800000, v59
	v_cmp_ne_u32_e64 s[2:3], s28, v56
                                        ; implicit-def: $vgpr56
	s_and_saveexec_b64 s[20:21], s[2:3]
	s_xor_b64 s[2:3], exec, s[20:21]
; %bb.422:                              ;   in Loop: Header=BB311_169 Depth=1
	v_bfe_u32 v56, v59, 16, 1
	v_add3_u32 v56, v59, v56, s29
                                        ; implicit-def: $vgpr59
; %bb.423:                              ;   in Loop: Header=BB311_169 Depth=1
	s_andn2_saveexec_b64 s[20:21], s[2:3]
; %bb.424:                              ;   in Loop: Header=BB311_169 Depth=1
	v_or_b32_e32 v56, 0x10000, v59
	v_cmp_eq_u32_sdwa s[2:3], v59, v13 src0_sel:WORD_0 src1_sel:DWORD
	s_nop 1
	v_cndmask_b32_e64 v56, v56, v59, s[2:3]
; %bb.425:                              ;   in Loop: Header=BB311_169 Depth=1
	s_or_b64 exec, exec, s[20:21]
	v_bfe_u32 v59, v3, 16, 8
	v_cvt_f32_fp8_sdwa v59, v59 src0_sel:BYTE_0
	s_nop 0
	v_mul_f32_e32 v59, s30, v59
	v_and_b32_e32 v60, 0x7f800000, v59
	v_cmp_ne_u32_e64 s[2:3], s28, v60
                                        ; implicit-def: $vgpr60
	s_and_saveexec_b64 s[20:21], s[2:3]
	s_xor_b64 s[2:3], exec, s[20:21]
; %bb.426:                              ;   in Loop: Header=BB311_169 Depth=1
	v_bfe_u32 v60, v59, 16, 1
	v_add3_u32 v60, v59, v60, s29
                                        ; implicit-def: $vgpr59
; %bb.427:                              ;   in Loop: Header=BB311_169 Depth=1
	s_andn2_saveexec_b64 s[20:21], s[2:3]
; %bb.428:                              ;   in Loop: Header=BB311_169 Depth=1
	v_or_b32_e32 v60, 0x10000, v59
	v_cmp_eq_u32_sdwa s[2:3], v59, v13 src0_sel:WORD_0 src1_sel:DWORD
	s_nop 1
	v_cndmask_b32_e64 v60, v60, v59, s[2:3]
; %bb.429:                              ;   in Loop: Header=BB311_169 Depth=1
	s_or_b64 exec, exec, s[20:21]
	v_lshrrev_b32_e32 v3, 24, v3
	v_cvt_f32_fp8_sdwa v3, v3 src0_sel:BYTE_0
                                        ; implicit-def: $vgpr61
	s_nop 0
	v_mul_f32_e32 v3, s30, v3
	v_and_b32_e32 v59, 0x7f800000, v3
	v_cmp_ne_u32_e64 s[2:3], s28, v59
	s_and_saveexec_b64 s[20:21], s[2:3]
	s_xor_b64 s[2:3], exec, s[20:21]
; %bb.430:                              ;   in Loop: Header=BB311_169 Depth=1
	v_bfe_u32 v59, v3, 16, 1
	v_add3_u32 v61, v3, v59, s29
                                        ; implicit-def: $vgpr3
; %bb.431:                              ;   in Loop: Header=BB311_169 Depth=1
	s_andn2_saveexec_b64 s[20:21], s[2:3]
; %bb.432:                              ;   in Loop: Header=BB311_169 Depth=1
	v_or_b32_e32 v59, 0x10000, v3
	v_cmp_eq_u32_sdwa s[2:3], v3, v13 src0_sel:WORD_0 src1_sel:DWORD
	s_nop 1
	v_cndmask_b32_e64 v61, v59, v3, s[2:3]
; %bb.433:                              ;   in Loop: Header=BB311_169 Depth=1
	s_or_b64 exec, exec, s[20:21]
	v_lshrrev_b32_e32 v56, 16, v56
	v_lshrrev_b32_e32 v58, 16, v58
	;; [unrolled: 1-line block ×8, first 2 shown]
	s_and_saveexec_b64 s[2:3], s[0:1]
	s_cbranch_execz .LBB311_435
; %bb.434:                              ;   in Loop: Header=BB311_169 Depth=1
	v_cmp_gt_i32_e64 s[0:1], s33, v33
	v_add_u32_e32 v60, 1, v33
	s_nop 0
	v_cndmask_b32_e64 v3, 0, v3, s[0:1]
	v_cmp_gt_i32_e64 s[0:1], s33, v60
	v_add_u32_e32 v60, 2, v33
	s_nop 0
	v_cndmask_b32_e64 v55, 0, v55, s[0:1]
	;; [unrolled: 4-line block ×5, first 2 shown]
	v_cmp_gt_i32_e64 s[0:1], s33, v60
	v_add_u32_e32 v60, 6, v33
	v_add_u32_e32 v33, 7, v33
	v_cndmask_b32_e64 v56, 0, v56, s[0:1]
	v_cmp_gt_i32_e64 s[0:1], s33, v60
	s_nop 1
	v_cndmask_b32_e64 v54, 0, v54, s[0:1]
	v_cmp_gt_i32_e64 s[0:1], s33, v33
	s_nop 1
	v_cndmask_b32_e64 v2, 0, v2, s[0:1]
.LBB311_435:                            ;   in Loop: Header=BB311_169 Depth=1
	s_or_b64 exec, exec, s[2:3]
	v_lshlrev_b32_e32 v3, 16, v3
	v_mul_f32_e32 v33, v34, v3
	v_and_b32_e32 v3, 0x7f800000, v33
	v_cmp_ne_u32_e64 s[0:1], s28, v3
                                        ; implicit-def: $vgpr3
	s_and_saveexec_b64 s[2:3], s[0:1]
	s_xor_b64 s[0:1], exec, s[2:3]
; %bb.436:                              ;   in Loop: Header=BB311_169 Depth=1
	v_bfe_u32 v3, v33, 16, 1
	v_add3_u32 v3, v33, v3, s29
                                        ; implicit-def: $vgpr33
; %bb.437:                              ;   in Loop: Header=BB311_169 Depth=1
	s_andn2_saveexec_b64 s[2:3], s[0:1]
; %bb.438:                              ;   in Loop: Header=BB311_169 Depth=1
	v_or_b32_e32 v3, 0x10000, v33
	v_cmp_eq_u32_sdwa s[0:1], v33, v13 src0_sel:WORD_0 src1_sel:DWORD
	s_nop 1
	v_cndmask_b32_e64 v3, v3, v33, s[0:1]
; %bb.439:                              ;   in Loop: Header=BB311_169 Depth=1
	s_or_b64 exec, exec, s[2:3]
	v_lshlrev_b32_e32 v33, 16, v55
	v_mul_f32_e32 v34, v35, v33
	v_and_b32_e32 v33, 0x7f800000, v34
	v_cmp_ne_u32_e64 s[0:1], s28, v33
                                        ; implicit-def: $vgpr33
	s_and_saveexec_b64 s[2:3], s[0:1]
	s_xor_b64 s[0:1], exec, s[2:3]
; %bb.440:                              ;   in Loop: Header=BB311_169 Depth=1
	v_bfe_u32 v33, v34, 16, 1
	v_add3_u32 v33, v34, v33, s29
                                        ; implicit-def: $vgpr34
; %bb.441:                              ;   in Loop: Header=BB311_169 Depth=1
	s_andn2_saveexec_b64 s[2:3], s[0:1]
; %bb.442:                              ;   in Loop: Header=BB311_169 Depth=1
	v_or_b32_e32 v33, 0x10000, v34
	v_cmp_eq_u32_sdwa s[0:1], v34, v13 src0_sel:WORD_0 src1_sel:DWORD
	s_nop 1
	v_cndmask_b32_e64 v33, v33, v34, s[0:1]
; %bb.443:                              ;   in Loop: Header=BB311_169 Depth=1
	s_or_b64 exec, exec, s[2:3]
	v_lshlrev_b32_e32 v34, 16, v57
	v_mul_f32_e32 v35, v36, v34
	v_and_b32_e32 v34, 0x7f800000, v35
	v_cmp_ne_u32_e64 s[0:1], s28, v34
                                        ; implicit-def: $vgpr34
	s_and_saveexec_b64 s[2:3], s[0:1]
	s_xor_b64 s[0:1], exec, s[2:3]
; %bb.444:                              ;   in Loop: Header=BB311_169 Depth=1
	v_bfe_u32 v34, v35, 16, 1
	v_add3_u32 v34, v35, v34, s29
                                        ; implicit-def: $vgpr35
; %bb.445:                              ;   in Loop: Header=BB311_169 Depth=1
	s_andn2_saveexec_b64 s[2:3], s[0:1]
; %bb.446:                              ;   in Loop: Header=BB311_169 Depth=1
	v_or_b32_e32 v34, 0x10000, v35
	v_cmp_eq_u32_sdwa s[0:1], v35, v13 src0_sel:WORD_0 src1_sel:DWORD
	s_nop 1
	v_cndmask_b32_e64 v34, v34, v35, s[0:1]
; %bb.447:                              ;   in Loop: Header=BB311_169 Depth=1
	s_or_b64 exec, exec, s[2:3]
	v_lshlrev_b32_e32 v35, 16, v59
	v_mul_f32_e32 v36, v37, v35
	v_and_b32_e32 v35, 0x7f800000, v36
	v_cmp_ne_u32_e64 s[0:1], s28, v35
                                        ; implicit-def: $vgpr35
	s_and_saveexec_b64 s[2:3], s[0:1]
	s_xor_b64 s[0:1], exec, s[2:3]
; %bb.448:                              ;   in Loop: Header=BB311_169 Depth=1
	v_bfe_u32 v35, v36, 16, 1
	v_add3_u32 v35, v36, v35, s29
                                        ; implicit-def: $vgpr36
; %bb.449:                              ;   in Loop: Header=BB311_169 Depth=1
	s_andn2_saveexec_b64 s[2:3], s[0:1]
; %bb.450:                              ;   in Loop: Header=BB311_169 Depth=1
	v_or_b32_e32 v35, 0x10000, v36
	v_cmp_eq_u32_sdwa s[0:1], v36, v13 src0_sel:WORD_0 src1_sel:DWORD
	s_nop 1
	v_cndmask_b32_e64 v35, v35, v36, s[0:1]
; %bb.451:                              ;   in Loop: Header=BB311_169 Depth=1
	s_or_b64 exec, exec, s[2:3]
	v_lshlrev_b32_e32 v36, 16, v58
	v_mul_f32_e32 v37, v38, v36
	v_and_b32_e32 v36, 0x7f800000, v37
	v_cmp_ne_u32_e64 s[0:1], s28, v36
                                        ; implicit-def: $vgpr36
	s_and_saveexec_b64 s[2:3], s[0:1]
	s_xor_b64 s[0:1], exec, s[2:3]
; %bb.452:                              ;   in Loop: Header=BB311_169 Depth=1
	v_bfe_u32 v36, v37, 16, 1
	v_add3_u32 v36, v37, v36, s29
                                        ; implicit-def: $vgpr37
; %bb.453:                              ;   in Loop: Header=BB311_169 Depth=1
	s_andn2_saveexec_b64 s[2:3], s[0:1]
; %bb.454:                              ;   in Loop: Header=BB311_169 Depth=1
	v_or_b32_e32 v36, 0x10000, v37
	v_cmp_eq_u32_sdwa s[0:1], v37, v13 src0_sel:WORD_0 src1_sel:DWORD
	s_nop 1
	v_cndmask_b32_e64 v36, v36, v37, s[0:1]
; %bb.455:                              ;   in Loop: Header=BB311_169 Depth=1
	s_or_b64 exec, exec, s[2:3]
	v_lshlrev_b32_e32 v37, 16, v56
	v_mul_f32_e32 v38, v39, v37
	v_and_b32_e32 v37, 0x7f800000, v38
	v_cmp_ne_u32_e64 s[0:1], s28, v37
                                        ; implicit-def: $vgpr37
	s_and_saveexec_b64 s[2:3], s[0:1]
	s_xor_b64 s[0:1], exec, s[2:3]
; %bb.456:                              ;   in Loop: Header=BB311_169 Depth=1
	v_bfe_u32 v37, v38, 16, 1
	v_add3_u32 v37, v38, v37, s29
                                        ; implicit-def: $vgpr38
; %bb.457:                              ;   in Loop: Header=BB311_169 Depth=1
	s_andn2_saveexec_b64 s[2:3], s[0:1]
; %bb.458:                              ;   in Loop: Header=BB311_169 Depth=1
	v_or_b32_e32 v37, 0x10000, v38
	v_cmp_eq_u32_sdwa s[0:1], v38, v13 src0_sel:WORD_0 src1_sel:DWORD
	s_nop 1
	v_cndmask_b32_e64 v37, v37, v38, s[0:1]
; %bb.459:                              ;   in Loop: Header=BB311_169 Depth=1
	s_or_b64 exec, exec, s[2:3]
	v_lshlrev_b32_e32 v38, 16, v54
	v_mul_f32_e32 v39, v40, v38
	v_and_b32_e32 v38, 0x7f800000, v39
	v_cmp_ne_u32_e64 s[0:1], s28, v38
                                        ; implicit-def: $vgpr38
	s_and_saveexec_b64 s[2:3], s[0:1]
	s_xor_b64 s[0:1], exec, s[2:3]
; %bb.460:                              ;   in Loop: Header=BB311_169 Depth=1
	v_bfe_u32 v38, v39, 16, 1
	v_add3_u32 v38, v39, v38, s29
                                        ; implicit-def: $vgpr39
; %bb.461:                              ;   in Loop: Header=BB311_169 Depth=1
	s_andn2_saveexec_b64 s[2:3], s[0:1]
; %bb.462:                              ;   in Loop: Header=BB311_169 Depth=1
	v_or_b32_e32 v38, 0x10000, v39
	v_cmp_eq_u32_sdwa s[0:1], v39, v13 src0_sel:WORD_0 src1_sel:DWORD
	s_nop 1
	v_cndmask_b32_e64 v38, v38, v39, s[0:1]
; %bb.463:                              ;   in Loop: Header=BB311_169 Depth=1
	s_or_b64 exec, exec, s[2:3]
	v_lshlrev_b32_e32 v2, 16, v2
	v_mul_f32_e32 v2, v41, v2
	v_and_b32_e32 v39, 0x7f800000, v2
	v_cmp_ne_u32_e64 s[0:1], s28, v39
                                        ; implicit-def: $vgpr39
	s_and_saveexec_b64 s[2:3], s[0:1]
	s_xor_b64 s[0:1], exec, s[2:3]
; %bb.464:                              ;   in Loop: Header=BB311_169 Depth=1
	v_bfe_u32 v39, v2, 16, 1
	v_add3_u32 v39, v2, v39, s29
                                        ; implicit-def: $vgpr2
; %bb.465:                              ;   in Loop: Header=BB311_169 Depth=1
	s_andn2_saveexec_b64 s[2:3], s[0:1]
	s_cbranch_execz .LBB311_166
; %bb.466:                              ;   in Loop: Header=BB311_169 Depth=1
	v_or_b32_e32 v39, 0x10000, v2
	v_cmp_eq_u32_sdwa s[0:1], v2, v13 src0_sel:WORD_0 src1_sel:DWORD
	s_nop 1
	v_cndmask_b32_e64 v39, v39, v2, s[0:1]
	s_branch .LBB311_166
.LBB311_467:
	s_or_b64 exec, exec, s[12:13]
.LBB311_468:
	s_or_b64 exec, exec, s[8:9]
	ds_bpermute_b32 v2, v20, v14
	ds_bpermute_b32 v3, v20, v15
	;; [unrolled: 1-line block ×4, first 2 shown]
	v_and_b32_e32 v1, 0x3c0, v0
	v_cmp_eq_u32_e32 vcc, 64, v1
	s_waitcnt lgkmcnt(2)
	v_pk_add_f32 v[4:5], v[14:15], v[2:3]
	s_waitcnt lgkmcnt(0)
	v_pk_add_f32 v[2:3], v[10:11], v[6:7]
	s_barrier
	s_and_saveexec_b64 s[2:3], vcc
	s_cbranch_execz .LBB311_473
; %bb.469:
	v_cmp_eq_u32_e32 vcc, 0, v21
	s_and_saveexec_b64 s[0:1], vcc
	s_cbranch_execz .LBB311_471
; %bb.470:
	v_mov_b32_e32 v1, 0x100
	v_lshl_add_u32 v1, v22, 2, v1
	ds_write2_b32 v1, v4, v5 offset1:32
	ds_write_b32 v1, v2 offset:256
.LBB311_471:
	s_or_b64 exec, exec, s[0:1]
	v_or_b32_e32 v1, 0x60, v22
	s_movk_i32 s0, 0x78
	v_cmp_gt_u32_e64 s[0:1], s0, v1
	s_and_b64 s[0:1], vcc, s[0:1]
	s_and_b64 exec, exec, s[0:1]
	s_cbranch_execz .LBB311_473
; %bb.472:
	v_mov_b32_e32 v1, 0x100
	v_lshl_add_u32 v1, v22, 2, v1
	ds_write_b32 v1, v3 offset:384
.LBB311_473:
	s_or_b64 exec, exec, s[2:3]
	v_cmp_gt_u32_e32 vcc, 64, v0
	v_lshrrev_b32_e32 v6, 1, v0
	s_waitcnt lgkmcnt(0)
	s_barrier
	s_and_saveexec_b64 s[6:7], vcc
	s_cbranch_execz .LBB311_481
; %bb.474:
	v_cmp_eq_u32_e64 s[0:1], 0, v21
	s_and_saveexec_b64 s[2:3], s[0:1]
	s_cbranch_execnz .LBB311_503
; %bb.475:
	s_or_b64 exec, exec, s[2:3]
	s_and_saveexec_b64 s[2:3], s[0:1]
	s_cbranch_execnz .LBB311_504
.LBB311_476:
	s_or_b64 exec, exec, s[2:3]
	s_and_saveexec_b64 s[2:3], s[0:1]
	s_cbranch_execz .LBB311_478
.LBB311_477:
	v_mov_b32_e32 v0, 0x100
	v_lshl_add_u32 v0, v6, 2, v0
	ds_read_b32 v0, v0 offset:256
	s_waitcnt lgkmcnt(0)
	v_add_f32_e32 v2, v2, v0
.LBB311_478:
	s_or_b64 exec, exec, s[2:3]
	v_or_b32_e32 v0, 0x60, v6
	s_movk_i32 s2, 0x78
	v_cmp_gt_u32_e64 s[2:3], s2, v0
	s_and_b64 s[2:3], s[0:1], s[2:3]
	s_and_saveexec_b64 s[0:1], s[2:3]
	s_cbranch_execz .LBB311_480
; %bb.479:
	v_mov_b32_e32 v0, 0x100
	v_lshl_add_u32 v0, v6, 2, v0
	ds_read_b32 v0, v0 offset:384
	s_waitcnt lgkmcnt(0)
	v_add_f32_e32 v3, v3, v0
.LBB311_480:
	s_or_b64 exec, exec, s[0:1]
.LBB311_481:
	s_or_b64 exec, exec, s[6:7]
	s_barrier
	s_and_saveexec_b64 s[0:1], vcc
	s_cbranch_execz .LBB311_502
; %bb.482:
	s_mul_i32 s0, s10, s11
	s_mul_i32 s0, s0, s5
	s_mulk_i32 s0, 0x78
	s_ashr_i32 s1, s0, 31
	s_lshl_b64 s[0:1], s[0:1], 1
	s_add_u32 s2, s26, s0
	s_mul_i32 s0, s11, s24
	s_addc_u32 s3, s27, s1
	s_ashr_i32 s1, s0, 31
	s_lshl_b64 s[0:1], s[0:1], 1
	s_add_u32 s2, s2, s0
	s_mul_i32 s0, s4, 0x78
	s_addc_u32 s3, s3, s1
	s_ashr_i32 s1, s0, 31
	s_lshl_b64 s[0:1], s[0:1], 1
	s_add_u32 s2, s2, s0
	s_addc_u32 s3, s3, s1
	v_cmp_eq_u32_e32 vcc, 0, v21
	s_and_saveexec_b64 s[4:5], vcc
	s_cbranch_execz .LBB311_496
; %bb.483:
	s_mov_b32 s0, 0x7f800000
	v_and_b32_e32 v0, 0x7f800000, v4
	v_cmp_ne_u32_e64 s[0:1], s0, v0
                                        ; implicit-def: $vgpr7
	s_and_saveexec_b64 s[6:7], s[0:1]
	s_xor_b64 s[0:1], exec, s[6:7]
; %bb.484:
	v_bfe_u32 v0, v4, 16, 1
	s_movk_i32 s6, 0x7fff
	v_add3_u32 v7, v4, v0, s6
; %bb.485:
	s_andn2_saveexec_b64 s[6:7], s[0:1]
; %bb.486:
	v_mov_b32_e32 v0, 0
	v_or_b32_e32 v1, 0x10000, v4
	v_cmp_eq_u32_sdwa s[0:1], v4, v0 src0_sel:WORD_0 src1_sel:DWORD
	s_nop 1
	v_cndmask_b32_e64 v7, v1, v4, s[0:1]
; %bb.487:
	s_or_b64 exec, exec, s[6:7]
	s_mov_b32 s0, 0x7f800000
	v_and_b32_e32 v4, 0x7f800000, v5
	v_lshlrev_b32_e32 v0, 1, v6
	v_mov_b32_e32 v1, 0
	v_cmp_ne_u32_e64 s[0:1], s0, v4
	global_store_short_d16_hi v0, v7, s[2:3]
                                        ; implicit-def: $vgpr4
	s_and_saveexec_b64 s[6:7], s[0:1]
	s_xor_b64 s[0:1], exec, s[6:7]
; %bb.488:
	v_bfe_u32 v4, v5, 16, 1
	s_movk_i32 s6, 0x7fff
	v_add3_u32 v4, v5, v4, s6
; %bb.489:
	s_or_saveexec_b64 s[6:7], s[0:1]
	v_lshl_add_u64 v[0:1], s[2:3], 0, v[0:1]
	s_xor_b64 exec, exec, s[6:7]
; %bb.490:
	v_mov_b32_e32 v4, 0
	v_or_b32_e32 v7, 0x10000, v5
	v_cmp_eq_u32_sdwa s[0:1], v5, v4 src0_sel:WORD_0 src1_sel:DWORD
	s_nop 1
	v_cndmask_b32_e64 v4, v7, v5, s[0:1]
; %bb.491:
	s_or_b64 exec, exec, s[6:7]
	global_store_short_d16_hi v[0:1], v4, off offset:64
	s_mov_b32 s0, 0x7f800000
	v_and_b32_e32 v4, 0x7f800000, v2
	v_cmp_ne_u32_e64 s[0:1], s0, v4
                                        ; implicit-def: $vgpr4
	s_and_saveexec_b64 s[6:7], s[0:1]
	s_xor_b64 s[0:1], exec, s[6:7]
; %bb.492:
	v_bfe_u32 v4, v2, 16, 1
	s_movk_i32 s6, 0x7fff
	v_add3_u32 v4, v2, v4, s6
; %bb.493:
	s_andn2_saveexec_b64 s[6:7], s[0:1]
; %bb.494:
	v_mov_b32_e32 v4, 0
	v_or_b32_e32 v5, 0x10000, v2
	v_cmp_eq_u32_sdwa s[0:1], v2, v4 src0_sel:WORD_0 src1_sel:DWORD
	s_nop 1
	v_cndmask_b32_e64 v4, v5, v2, s[0:1]
; %bb.495:
	s_or_b64 exec, exec, s[6:7]
	global_store_short_d16_hi v[0:1], v4, off offset:128
.LBB311_496:
	s_or_b64 exec, exec, s[4:5]
	v_or_b32_e32 v0, 0x60, v6
	s_movk_i32 s0, 0x78
	v_cmp_gt_u32_e64 s[0:1], s0, v0
	s_and_b64 s[0:1], vcc, s[0:1]
	s_and_b64 exec, exec, s[0:1]
	s_cbranch_execz .LBB311_502
; %bb.497:
	s_mov_b32 s0, 0x7f800000
	v_and_b32_e32 v0, 0x7f800000, v3
	v_cmp_ne_u32_e32 vcc, s0, v0
                                        ; implicit-def: $vgpr4
	s_and_saveexec_b64 s[0:1], vcc
	s_xor_b64 s[0:1], exec, s[0:1]
; %bb.498:
	v_bfe_u32 v0, v3, 16, 1
	s_movk_i32 s4, 0x7fff
	v_add3_u32 v4, v3, v0, s4
                                        ; implicit-def: $vgpr0_vgpr1_vgpr2_vgpr3
; %bb.499:
	s_andn2_saveexec_b64 s[0:1], s[0:1]
; %bb.500:
	v_mov_b32_e32 v0, 0
	v_or_b32_e32 v1, 0x10000, v3
	v_cmp_eq_u32_sdwa vcc, v3, v0 src0_sel:WORD_0 src1_sel:DWORD
	s_nop 1
	v_cndmask_b32_e32 v4, v1, v3, vcc
; %bb.501:
	s_or_b64 exec, exec, s[0:1]
	v_lshlrev_b32_e32 v0, 1, v6
	global_store_short_d16_hi v0, v4, s[2:3] offset:192
.LBB311_502:
	s_endpgm
.LBB311_503:
	v_mov_b32_e32 v0, 0x100
	v_lshl_add_u32 v0, v6, 2, v0
	ds_read_b32 v0, v0
	s_waitcnt lgkmcnt(0)
	v_add_f32_e32 v4, v4, v0
	s_or_b64 exec, exec, s[2:3]
	s_and_saveexec_b64 s[2:3], s[0:1]
	s_cbranch_execz .LBB311_476
.LBB311_504:
	v_mov_b32_e32 v0, 0x100
	v_lshl_add_u32 v0, v6, 2, v0
	ds_read_b32 v0, v0 offset:128
	s_waitcnt lgkmcnt(0)
	v_add_f32_e32 v5, v5, v0
	s_or_b64 exec, exec, s[2:3]
	s_and_saveexec_b64 s[2:3], s[0:1]
	s_cbranch_execnz .LBB311_477
	s_branch .LBB311_478
	.section	.rodata,"a",@progbits
	.p2align	6, 0x0
	.amdhsa_kernel _ZN4vllm25paged_attention_v1_kernelI14__hip_bfloat16hLi120ELi16ELi128ELNS_18Fp8KVCacheDataTypeE1ELb1EEEvPT_PKS3_PKT0_S9_ifPKiSB_iPKfiiiSD_SD_iiiii
		.amdhsa_group_segment_fixed_size 256
		.amdhsa_private_segment_fixed_size 0
		.amdhsa_kernarg_size 384
		.amdhsa_user_sgpr_count 2
		.amdhsa_user_sgpr_dispatch_ptr 0
		.amdhsa_user_sgpr_queue_ptr 0
		.amdhsa_user_sgpr_kernarg_segment_ptr 1
		.amdhsa_user_sgpr_dispatch_id 0
		.amdhsa_user_sgpr_kernarg_preload_length 0
		.amdhsa_user_sgpr_kernarg_preload_offset 0
		.amdhsa_user_sgpr_private_segment_size 0
		.amdhsa_uses_dynamic_stack 0
		.amdhsa_enable_private_segment 0
		.amdhsa_system_sgpr_workgroup_id_x 1
		.amdhsa_system_sgpr_workgroup_id_y 1
		.amdhsa_system_sgpr_workgroup_id_z 1
		.amdhsa_system_sgpr_workgroup_info 0
		.amdhsa_system_vgpr_workitem_id 0
		.amdhsa_next_free_vgpr 83
		.amdhsa_next_free_sgpr 52
		.amdhsa_accum_offset 84
		.amdhsa_reserve_vcc 1
		.amdhsa_float_round_mode_32 0
		.amdhsa_float_round_mode_16_64 0
		.amdhsa_float_denorm_mode_32 3
		.amdhsa_float_denorm_mode_16_64 3
		.amdhsa_dx10_clamp 1
		.amdhsa_ieee_mode 1
		.amdhsa_fp16_overflow 0
		.amdhsa_tg_split 0
		.amdhsa_exception_fp_ieee_invalid_op 0
		.amdhsa_exception_fp_denorm_src 0
		.amdhsa_exception_fp_ieee_div_zero 0
		.amdhsa_exception_fp_ieee_overflow 0
		.amdhsa_exception_fp_ieee_underflow 0
		.amdhsa_exception_fp_ieee_inexact 0
		.amdhsa_exception_int_div_zero 0
	.end_amdhsa_kernel
	.section	.text._ZN4vllm25paged_attention_v1_kernelI14__hip_bfloat16hLi120ELi16ELi128ELNS_18Fp8KVCacheDataTypeE1ELb1EEEvPT_PKS3_PKT0_S9_ifPKiSB_iPKfiiiSD_SD_iiiii,"axG",@progbits,_ZN4vllm25paged_attention_v1_kernelI14__hip_bfloat16hLi120ELi16ELi128ELNS_18Fp8KVCacheDataTypeE1ELb1EEEvPT_PKS3_PKT0_S9_ifPKiSB_iPKfiiiSD_SD_iiiii,comdat
.Lfunc_end311:
	.size	_ZN4vllm25paged_attention_v1_kernelI14__hip_bfloat16hLi120ELi16ELi128ELNS_18Fp8KVCacheDataTypeE1ELb1EEEvPT_PKS3_PKT0_S9_ifPKiSB_iPKfiiiSD_SD_iiiii, .Lfunc_end311-_ZN4vllm25paged_attention_v1_kernelI14__hip_bfloat16hLi120ELi16ELi128ELNS_18Fp8KVCacheDataTypeE1ELb1EEEvPT_PKS3_PKT0_S9_ifPKiSB_iPKfiiiSD_SD_iiiii
                                        ; -- End function
	.section	.AMDGPU.csdata,"",@progbits
; Kernel info:
; codeLenInByte = 16128
; NumSgprs: 58
; NumVgprs: 83
; NumAgprs: 0
; TotalNumVgprs: 83
; ScratchSize: 0
; MemoryBound: 0
; FloatMode: 240
; IeeeMode: 1
; LDSByteSize: 256 bytes/workgroup (compile time only)
; SGPRBlocks: 7
; VGPRBlocks: 10
; NumSGPRsForWavesPerEU: 58
; NumVGPRsForWavesPerEU: 83
; AccumOffset: 84
; Occupancy: 5
; WaveLimiterHint : 1
; COMPUTE_PGM_RSRC2:SCRATCH_EN: 0
; COMPUTE_PGM_RSRC2:USER_SGPR: 2
; COMPUTE_PGM_RSRC2:TRAP_HANDLER: 0
; COMPUTE_PGM_RSRC2:TGID_X_EN: 1
; COMPUTE_PGM_RSRC2:TGID_Y_EN: 1
; COMPUTE_PGM_RSRC2:TGID_Z_EN: 1
; COMPUTE_PGM_RSRC2:TIDIG_COMP_CNT: 0
; COMPUTE_PGM_RSRC3_GFX90A:ACCUM_OFFSET: 20
; COMPUTE_PGM_RSRC3_GFX90A:TG_SPLIT: 0
	.section	.text._ZN4vllm25paged_attention_v1_kernelI14__hip_bfloat16hLi128ELi16ELi128ELNS_18Fp8KVCacheDataTypeE1ELb1EEEvPT_PKS3_PKT0_S9_ifPKiSB_iPKfiiiSD_SD_iiiii,"axG",@progbits,_ZN4vllm25paged_attention_v1_kernelI14__hip_bfloat16hLi128ELi16ELi128ELNS_18Fp8KVCacheDataTypeE1ELb1EEEvPT_PKS3_PKT0_S9_ifPKiSB_iPKfiiiSD_SD_iiiii,comdat
	.protected	_ZN4vllm25paged_attention_v1_kernelI14__hip_bfloat16hLi128ELi16ELi128ELNS_18Fp8KVCacheDataTypeE1ELb1EEEvPT_PKS3_PKT0_S9_ifPKiSB_iPKfiiiSD_SD_iiiii ; -- Begin function _ZN4vllm25paged_attention_v1_kernelI14__hip_bfloat16hLi128ELi16ELi128ELNS_18Fp8KVCacheDataTypeE1ELb1EEEvPT_PKS3_PKT0_S9_ifPKiSB_iPKfiiiSD_SD_iiiii
	.globl	_ZN4vllm25paged_attention_v1_kernelI14__hip_bfloat16hLi128ELi16ELi128ELNS_18Fp8KVCacheDataTypeE1ELb1EEEvPT_PKS3_PKT0_S9_ifPKiSB_iPKfiiiSD_SD_iiiii
	.p2align	8
	.type	_ZN4vllm25paged_attention_v1_kernelI14__hip_bfloat16hLi128ELi16ELi128ELNS_18Fp8KVCacheDataTypeE1ELb1EEEvPT_PKS3_PKT0_S9_ifPKiSB_iPKfiiiSD_SD_iiiii,@function
_ZN4vllm25paged_attention_v1_kernelI14__hip_bfloat16hLi128ELi16ELi128ELNS_18Fp8KVCacheDataTypeE1ELb1EEEvPT_PKS3_PKT0_S9_ifPKiSB_iPKfiiiSD_SD_iiiii: ; @_ZN4vllm25paged_attention_v1_kernelI14__hip_bfloat16hLi128ELi16ELi128ELNS_18Fp8KVCacheDataTypeE1ELb1EEEvPT_PKS3_PKT0_S9_ifPKiSB_iPKfiiiSD_SD_iiiii
; %bb.0:
	s_load_dword s5, s[0:1], 0x80
	s_load_dwordx2 s[6:7], s[0:1], 0x30
	s_load_dwordx2 s[38:39], s[0:1], 0x20
	s_mov_b32 s24, s3
	s_ashr_i32 s25, s3, 31
	s_lshl_b64 s[8:9], s[24:25], 2
	s_waitcnt lgkmcnt(0)
	s_add_u32 s6, s6, s8
	s_addc_u32 s7, s7, s9
	s_abs_i32 s3, s38
	v_cvt_f32_u32_e32 v1, s3
	s_sub_i32 s10, 0, s3
	s_abs_i32 s9, s5
	s_xor_b32 s8, s5, s38
	v_rcp_iflag_f32_e32 v1, v1
	s_ashr_i32 s8, s8, 31
	s_mov_b32 s46, 0
	v_mul_f32_e32 v1, 0x4f7ffffe, v1
	v_cvt_u32_f32_e32 v1, v1
	s_nop 0
	v_readfirstlane_b32 s11, v1
	s_mul_i32 s10, s10, s11
	s_mul_hi_u32 s10, s11, s10
	s_add_i32 s11, s11, s10
	s_mul_hi_u32 s10, s9, s11
	s_mul_i32 s11, s10, s3
	s_sub_i32 s9, s9, s11
	s_add_i32 s11, s10, 1
	s_sub_i32 s12, s9, s3
	s_cmp_ge_u32 s9, s3
	s_cselect_b32 s10, s11, s10
	s_cselect_b32 s9, s12, s9
	s_add_i32 s11, s10, 1
	s_cmp_ge_u32 s9, s3
	s_cselect_b32 s3, s11, s10
	s_xor_b32 s3, s3, s8
	s_sub_i32 s14, s3, s8
	s_abs_i32 s10, s14
	v_cvt_f32_u32_e32 v1, s10
	s_load_dwordx2 s[8:9], s[0:1], 0x40
	s_sub_i32 s3, 0, s10
	s_abs_i32 s11, s2
	v_rcp_iflag_f32_e32 v1, v1
	s_nop 0
	v_mul_f32_e32 v1, 0x4f7ffffe, v1
	v_cvt_u32_f32_e32 v1, v1
	s_nop 0
	v_readfirstlane_b32 s12, v1
	s_mul_i32 s3, s3, s12
	s_mul_hi_u32 s3, s12, s3
	s_add_i32 s12, s12, s3
	s_waitcnt lgkmcnt(0)
	s_cmp_eq_u64 s[8:9], 0
	s_mul_hi_u32 s12, s11, s12
	s_cbranch_scc1 .LBB312_2
; %bb.1:
	s_ashr_i32 s3, s2, 31
	s_lshl_b64 s[16:17], s[2:3], 2
	s_add_u32 s8, s8, s16
	s_addc_u32 s9, s9, s17
	s_load_dword s46, s[8:9], 0x0
.LBB312_2:
	s_load_dword s25, s[6:7], 0x0
	s_load_dwordx4 s[16:19], s[0:1], 0x48
	s_ashr_i32 s13, s2, 31
	s_ashr_i32 s14, s14, 31
	v_and_b32_e32 v2, 3, v0
	s_lshl_b32 s26, s2, 7
	v_cmp_gt_u32_e64 s[6:7], 64, v0
	s_and_saveexec_b64 s[8:9], s[6:7]
	s_cbranch_execz .LBB312_4
; %bb.3:
	s_load_dwordx2 s[20:21], s[0:1], 0x8
	s_waitcnt lgkmcnt(0)
	s_mul_i32 s22, s24, s16
	s_ashr_i32 s23, s22, 31
	s_lshl_b64 s[22:23], s[22:23], 1
	v_lshlrev_b32_e32 v1, 2, v0
	s_add_u32 s3, s20, s22
	s_addc_u32 s15, s21, s23
	s_ashr_i32 s27, s26, 31
	s_lshl_b64 s[20:21], s[26:27], 1
	s_add_u32 s20, s3, s20
	s_addc_u32 s21, s15, s21
	global_load_dword v1, v1, s[20:21]
	v_and_b32_e32 v3, 0x3fc, v0
	v_lshl_add_u32 v3, v2, 6, v3
	s_waitcnt vmcnt(0)
	ds_write_b32 v3, v1
.LBB312_4:
	s_or_b64 exec, exec, s[8:9]
	s_mul_i32 s9, s12, s10
	s_sub_i32 s9, s11, s9
	s_xor_b32 s8, s13, s14
	s_add_i32 s11, s12, 1
	s_sub_i32 s13, s9, s10
	s_load_dwordx4 s[20:23], s[0:1], 0x68
	s_load_dword s3, s[0:1], 0x78
	s_cmp_ge_u32 s9, s10
	s_cselect_b32 s11, s11, s12
	s_cselect_b32 s9, s13, s9
	s_add_i32 s12, s11, 1
	s_cmp_ge_u32 s9, s10
	s_cselect_b32 s9, s12, s11
	s_waitcnt lgkmcnt(0)
	s_abs_i32 s27, s23
	v_cvt_f32_u32_e32 v1, s27
	s_xor_b32 s9, s9, s8
	s_sub_i32 s45, s9, s8
	s_sub_i32 s8, 0, s27
	v_rcp_iflag_f32_e32 v1, v1
	s_add_i32 s12, s25, -1
	s_abs_i32 s10, s12
	v_mul_f32_e32 v1, 0x4f7ffffe, v1
	v_cvt_u32_f32_e32 v1, v1
	s_barrier
	v_readfirstlane_b32 s33, v1
	s_mul_i32 s8, s8, s33
	s_mul_hi_u32 s8, s33, s8
	s_add_i32 s33, s33, s8
	s_cmp_lt_i32 s3, 0
	s_mul_hi_u32 s11, s10, s33
	s_cbranch_scc0 .LBB312_6
; %bb.5:
	s_mul_i32 s8, s20, s38
	s_add_i32 s8, s45, s8
	s_mul_i32 s8, s8, s3
	s_sub_i32 s38, 1, s8
	s_mov_b64 s[8:9], 0
	s_branch .LBB312_7
.LBB312_6:
	s_mov_b64 s[8:9], -1
                                        ; implicit-def: $sgpr38
.LBB312_7:
	s_load_dwordx2 s[30:31], s[0:1], 0x28
	s_ashr_i32 s19, s12, 31
	s_andn2_b64 vcc, exec, s[8:9]
	s_ashr_i32 s23, s23, 31
	s_cbranch_vccnz .LBB312_9
; %bb.8:
	s_mul_i32 s8, s5, s20
	s_add_i32 s2, s8, s2
	s_mul_i32 s2, s2, s3
	s_add_i32 s38, s2, 1
.LBB312_9:
	s_load_dword s2, s[0:1], 0x38
	s_load_dwordx2 s[28:29], s[0:1], 0x0
	s_load_dwordx2 s[36:37], s[0:1], 0x18
	s_load_dword s16, s[0:1], 0x88
	s_load_dwordx4 s[12:15], s[0:1], 0x58
	s_mul_i32 s3, s11, s27
	s_waitcnt lgkmcnt(0)
	s_mul_i32 s34, s24, s2
	s_sub_i32 s3, s10, s3
	s_ashr_i32 s35, s34, 31
	s_xor_b32 s2, s19, s23
	s_add_i32 s8, s11, 1
	s_sub_i32 s9, s3, s27
	s_cmp_ge_u32 s3, s27
	s_cselect_b32 s8, s8, s11
	s_cselect_b32 s3, s9, s3
	s_add_i32 s9, s8, 1
	s_cmp_ge_u32 s3, s27
	s_cselect_b32 s3, s9, s8
	s_xor_b32 s3, s3, s2
	s_sub_i32 s44, s3, s2
	s_add_i32 s2, s25, 15
	s_ashr_i32 s3, s2, 31
	s_lshr_b32 s3, s3, 28
	s_add_i32 s2, s2, s3
	s_ashr_i32 s20, s2, 4
	v_lshrrev_b32_e32 v1, 6, v0
	v_cmp_gt_i32_e64 s[2:3], s20, v1
	v_mov_b32_e32 v31, 0xff7fffff
	s_mul_i32 s45, s45, s18
	v_lshrrev_b32_e32 v27, 4, v0
	v_lshlrev_b32_e32 v26, 4, v1
	v_mbcnt_lo_u32_b32 v28, -1, 0
	s_and_saveexec_b64 s[18:19], s[2:3]
	s_cbranch_execz .LBB312_147
; %bb.10:
	s_load_dwordx2 s[0:1], s[0:1], 0x10
	s_sub_i32 s47, s44, s21
	s_ashr_i32 s9, s45, 31
	v_bfe_u32 v29, v0, 2, 4
	v_mov_b32_e32 v19, 0
	s_waitcnt lgkmcnt(0)
	s_add_u32 s8, s0, s45
	s_addc_u32 s9, s1, s9
	s_abs_i32 s48, s22
	v_cvt_f32_u32_e32 v3, s48
	v_lshlrev_b32_e32 v18, 4, v29
	v_lshl_add_u64 v[20:21], s[8:9], 0, v[18:19]
	s_sub_i32 s8, 0, s48
	v_rcp_iflag_f32_e32 v3, v3
	v_cmp_eq_u32_e32 vcc, 0, v2
	v_lshlrev_b32_e32 v30, 6, v2
	v_lshlrev_b32_e32 v18, 1, v2
	v_mul_f32_e32 v3, 0x4f7ffffe, v3
	v_cvt_u32_f32_e32 v3, v3
	s_mov_b32 s49, s17
	v_cmp_neq_f32_e64 s[0:1], s46, 0
	v_lshlrev_b32_e32 v33, 4, v1
	v_mul_lo_u32 v2, s8, v3
	s_lshl_b64 s[8:9], s[34:35], 2
	v_mul_hi_u32 v2, v3, v2
	s_add_u32 s8, s30, s8
	v_add_u32_e32 v32, v3, v2
	v_and_b32_e32 v2, 60, v27
	v_mov_b32_e32 v3, v19
	s_addc_u32 s9, s31, s9
	v_lshl_add_u64 v[22:23], s[8:9], 0, v[2:3]
	v_lshlrev_b32_e32 v2, 2, v29
	v_lshl_or_b32 v2, v1, 6, v2
	v_add_u32_e32 v34, 0x110, v2
	v_subrev_u32_e32 v2, s25, v29
	v_add_u32_e32 v35, 1, v2
	s_mov_b64 s[40:41], 0
	v_mov_b32_e32 v36, 0xff7fffff
	s_mov_b32 s50, 0xffff
	s_mov_b32 s51, 0x7f800000
	s_movk_i32 s52, 0x7fff
	v_mbcnt_hi_u32_b32 v37, -1, v28
	v_mov_b32_e32 v31, 0xff7fffff
	v_mov_b32_e32 v38, v1
	s_branch .LBB312_13
.LBB312_11:                             ;   in Loop: Header=BB312_13 Depth=1
	s_or_b64 exec, exec, s[42:43]
.LBB312_12:                             ;   in Loop: Header=BB312_13 Depth=1
	s_or_b64 exec, exec, s[10:11]
	v_add_u32_e32 v38, 2, v38
	v_cmp_le_i32_e64 s[8:9], s20, v38
	v_lshl_add_u64 v[22:23], v[22:23], 0, 8
	v_add_u32_e32 v33, 32, v33
	s_or_b64 s[40:41], s[8:9], s[40:41]
	v_add_u32_e32 v34, 0x80, v34
	s_andn2_b64 exec, exec, s[40:41]
	s_cbranch_execz .LBB312_146
.LBB312_13:                             ; =>This Inner Loop Header: Depth=1
	v_mul_hi_u32 v2, v33, s33
	s_waitcnt lgkmcnt(0)
	v_mul_lo_u32 v3, v2, s27
	v_sub_u32_e32 v3, v33, v3
	v_add_u32_e32 v4, 1, v2
	v_cmp_le_u32_e64 s[8:9], s27, v3
	s_nop 1
	v_cndmask_b32_e64 v2, v2, v4, s[8:9]
	v_subrev_u32_e32 v4, s27, v3
	v_cndmask_b32_e64 v3, v3, v4, s[8:9]
	v_add_u32_e32 v4, 1, v2
	v_cmp_le_u32_e64 s[8:9], s27, v3
	s_nop 1
	v_cndmask_b32_e64 v2, v2, v4, s[8:9]
	v_xor_b32_e32 v2, s23, v2
	v_subrev_u32_e32 v2, s23, v2
	v_add_u32_e32 v3, s38, v2
	v_sub_u32_e32 v5, 0, v3
	v_ashrrev_i32_e32 v4, 31, v3
	v_max_i32_e32 v3, v3, v5
	v_mul_hi_u32 v5, v3, v32
	v_mul_lo_u32 v5, v5, s48
	v_sub_u32_e32 v3, v3, v5
	v_subrev_u32_e32 v5, s48, v3
	v_cmp_le_u32_e64 s[8:9], s48, v3
	v_cmp_ge_i32_e64 s[10:11], s47, v2
	s_nop 0
	v_cndmask_b32_e64 v3, v3, v5, s[8:9]
	v_subrev_u32_e32 v5, s48, v3
	v_cmp_le_u32_e64 s[8:9], s48, v3
	s_nop 1
	v_cndmask_b32_e64 v3, v3, v5, s[8:9]
	v_xor_b32_e32 v3, v3, v4
	v_sub_u32_e32 v3, v3, v4
	v_cmp_ne_u32_e64 s[8:9], 0, v3
	s_and_b64 s[8:9], s[8:9], s[10:11]
	s_and_b64 s[42:43], vcc, s[8:9]
	s_and_saveexec_b64 s[10:11], s[42:43]
	s_cbranch_execz .LBB312_15
; %bb.14:                               ;   in Loop: Header=BB312_13 Depth=1
	ds_write_b32 v34, v36
.LBB312_15:                             ;   in Loop: Header=BB312_13 Depth=1
	s_or_b64 exec, exec, s[10:11]
	s_xor_b64 s[8:9], s[8:9], -1
	s_and_saveexec_b64 s[10:11], s[8:9]
	s_cbranch_execz .LBB312_12
; %bb.16:                               ;   in Loop: Header=BB312_13 Depth=1
	global_load_dword v2, v[22:23], off
	s_waitcnt vmcnt(0)
	v_mad_i64_i32 v[2:3], s[8:9], v2, s49, v[20:21]
	v_lshl_add_u64 v[24:25], v[2:3], 0, v[18:19]
	global_load_ushort v40, v[24:25], off
	ds_read_b128 v[14:17], v30
	ds_read_b128 v[6:9], v30 offset:16
	s_load_dword s53, s[12:13], 0x0
	s_waitcnt vmcnt(0)
	v_and_b32_sdwa v2, s50, v40 dst_sel:DWORD dst_unused:UNUSED_PAD src0_sel:DWORD src1_sel:BYTE_0
	v_cvt_f32_fp8_sdwa v39, v2 src0_sel:BYTE_0
	ds_read_b128 v[10:13], v30 offset:32
	ds_read_b128 v[2:5], v30 offset:48
	s_waitcnt lgkmcnt(0)
	v_mul_f32_e32 v41, s53, v39
	v_and_b32_e32 v39, 0x7f800000, v41
	v_cmp_ne_u32_e64 s[8:9], s51, v39
                                        ; implicit-def: $vgpr39
	s_and_saveexec_b64 s[42:43], s[8:9]
	s_xor_b64 s[8:9], exec, s[42:43]
; %bb.17:                               ;   in Loop: Header=BB312_13 Depth=1
	v_bfe_u32 v39, v41, 16, 1
	v_add3_u32 v39, v41, v39, s52
                                        ; implicit-def: $vgpr41
; %bb.18:                               ;   in Loop: Header=BB312_13 Depth=1
	s_andn2_saveexec_b64 s[42:43], s[8:9]
; %bb.19:                               ;   in Loop: Header=BB312_13 Depth=1
	v_or_b32_e32 v39, 0x10000, v41
	v_cmp_eq_u32_sdwa s[8:9], v41, v19 src0_sel:WORD_0 src1_sel:DWORD
	s_nop 1
	v_cndmask_b32_e64 v39, v39, v41, s[8:9]
; %bb.20:                               ;   in Loop: Header=BB312_13 Depth=1
	s_or_b64 exec, exec, s[42:43]
	v_lshrrev_b16_e32 v40, 8, v40
	v_cvt_f32_fp8_sdwa v40, v40 src0_sel:BYTE_0
	s_nop 0
	v_mul_f32_e32 v41, s53, v40
	v_and_b32_e32 v40, 0x7f800000, v41
	v_cmp_ne_u32_e64 s[8:9], s51, v40
                                        ; implicit-def: $vgpr40
	s_and_saveexec_b64 s[42:43], s[8:9]
	s_xor_b64 s[8:9], exec, s[42:43]
; %bb.21:                               ;   in Loop: Header=BB312_13 Depth=1
	v_bfe_u32 v40, v41, 16, 1
	v_add3_u32 v40, v41, v40, s52
                                        ; implicit-def: $vgpr41
; %bb.22:                               ;   in Loop: Header=BB312_13 Depth=1
	s_andn2_saveexec_b64 s[42:43], s[8:9]
; %bb.23:                               ;   in Loop: Header=BB312_13 Depth=1
	v_or_b32_e32 v40, 0x10000, v41
	v_cmp_eq_u32_sdwa s[8:9], v41, v19 src0_sel:WORD_0 src1_sel:DWORD
	s_nop 1
	v_cndmask_b32_e64 v40, v40, v41, s[8:9]
; %bb.24:                               ;   in Loop: Header=BB312_13 Depth=1
	s_or_b64 exec, exec, s[42:43]
	global_load_ushort v42, v[24:25], off offset:8
	s_waitcnt vmcnt(0)
	v_and_b32_sdwa v41, s50, v42 dst_sel:DWORD dst_unused:UNUSED_PAD src0_sel:DWORD src1_sel:BYTE_0
	v_cvt_f32_fp8_sdwa v41, v41 src0_sel:BYTE_0
	s_nop 0
	v_mul_f32_e32 v43, s53, v41
	v_and_b32_e32 v41, 0x7f800000, v43
	v_cmp_ne_u32_e64 s[8:9], s51, v41
                                        ; implicit-def: $vgpr41
	s_and_saveexec_b64 s[42:43], s[8:9]
	s_xor_b64 s[8:9], exec, s[42:43]
; %bb.25:                               ;   in Loop: Header=BB312_13 Depth=1
	v_bfe_u32 v41, v43, 16, 1
	v_add3_u32 v41, v43, v41, s52
                                        ; implicit-def: $vgpr43
; %bb.26:                               ;   in Loop: Header=BB312_13 Depth=1
	s_andn2_saveexec_b64 s[42:43], s[8:9]
; %bb.27:                               ;   in Loop: Header=BB312_13 Depth=1
	v_or_b32_e32 v41, 0x10000, v43
	v_cmp_eq_u32_sdwa s[8:9], v43, v19 src0_sel:WORD_0 src1_sel:DWORD
	s_nop 1
	v_cndmask_b32_e64 v41, v41, v43, s[8:9]
; %bb.28:                               ;   in Loop: Header=BB312_13 Depth=1
	s_or_b64 exec, exec, s[42:43]
	v_lshrrev_b16_e32 v42, 8, v42
	v_cvt_f32_fp8_sdwa v42, v42 src0_sel:BYTE_0
	s_nop 0
	v_mul_f32_e32 v43, s53, v42
	v_and_b32_e32 v42, 0x7f800000, v43
	v_cmp_ne_u32_e64 s[8:9], s51, v42
                                        ; implicit-def: $vgpr42
	s_and_saveexec_b64 s[42:43], s[8:9]
	s_xor_b64 s[8:9], exec, s[42:43]
; %bb.29:                               ;   in Loop: Header=BB312_13 Depth=1
	v_bfe_u32 v42, v43, 16, 1
	v_add3_u32 v42, v43, v42, s52
                                        ; implicit-def: $vgpr43
; %bb.30:                               ;   in Loop: Header=BB312_13 Depth=1
	s_andn2_saveexec_b64 s[42:43], s[8:9]
; %bb.31:                               ;   in Loop: Header=BB312_13 Depth=1
	v_or_b32_e32 v42, 0x10000, v43
	v_cmp_eq_u32_sdwa s[8:9], v43, v19 src0_sel:WORD_0 src1_sel:DWORD
	s_nop 1
	v_cndmask_b32_e64 v42, v42, v43, s[8:9]
; %bb.32:                               ;   in Loop: Header=BB312_13 Depth=1
	s_or_b64 exec, exec, s[42:43]
	global_load_ushort v44, v[24:25], off offset:256
	s_waitcnt vmcnt(0)
	v_and_b32_sdwa v43, s50, v44 dst_sel:DWORD dst_unused:UNUSED_PAD src0_sel:DWORD src1_sel:BYTE_0
	v_cvt_f32_fp8_sdwa v43, v43 src0_sel:BYTE_0
	s_nop 0
	v_mul_f32_e32 v45, s53, v43
	v_and_b32_e32 v43, 0x7f800000, v45
	v_cmp_ne_u32_e64 s[8:9], s51, v43
                                        ; implicit-def: $vgpr43
	s_and_saveexec_b64 s[42:43], s[8:9]
	s_xor_b64 s[8:9], exec, s[42:43]
; %bb.33:                               ;   in Loop: Header=BB312_13 Depth=1
	v_bfe_u32 v43, v45, 16, 1
	v_add3_u32 v43, v45, v43, s52
                                        ; implicit-def: $vgpr45
; %bb.34:                               ;   in Loop: Header=BB312_13 Depth=1
	s_andn2_saveexec_b64 s[42:43], s[8:9]
; %bb.35:                               ;   in Loop: Header=BB312_13 Depth=1
	v_or_b32_e32 v43, 0x10000, v45
	v_cmp_eq_u32_sdwa s[8:9], v45, v19 src0_sel:WORD_0 src1_sel:DWORD
	s_nop 1
	v_cndmask_b32_e64 v43, v43, v45, s[8:9]
; %bb.36:                               ;   in Loop: Header=BB312_13 Depth=1
	s_or_b64 exec, exec, s[42:43]
	v_lshrrev_b16_e32 v44, 8, v44
	v_cvt_f32_fp8_sdwa v44, v44 src0_sel:BYTE_0
	s_nop 0
	v_mul_f32_e32 v45, s53, v44
	v_and_b32_e32 v44, 0x7f800000, v45
	v_cmp_ne_u32_e64 s[8:9], s51, v44
                                        ; implicit-def: $vgpr44
	s_and_saveexec_b64 s[42:43], s[8:9]
	s_xor_b64 s[8:9], exec, s[42:43]
; %bb.37:                               ;   in Loop: Header=BB312_13 Depth=1
	v_bfe_u32 v44, v45, 16, 1
	v_add3_u32 v44, v45, v44, s52
                                        ; implicit-def: $vgpr45
; %bb.38:                               ;   in Loop: Header=BB312_13 Depth=1
	s_andn2_saveexec_b64 s[42:43], s[8:9]
; %bb.39:                               ;   in Loop: Header=BB312_13 Depth=1
	v_or_b32_e32 v44, 0x10000, v45
	v_cmp_eq_u32_sdwa s[8:9], v45, v19 src0_sel:WORD_0 src1_sel:DWORD
	s_nop 1
	v_cndmask_b32_e64 v44, v44, v45, s[8:9]
; %bb.40:                               ;   in Loop: Header=BB312_13 Depth=1
	s_or_b64 exec, exec, s[42:43]
	global_load_ushort v46, v[24:25], off offset:264
	s_waitcnt vmcnt(0)
	v_and_b32_sdwa v45, s50, v46 dst_sel:DWORD dst_unused:UNUSED_PAD src0_sel:DWORD src1_sel:BYTE_0
	v_cvt_f32_fp8_sdwa v45, v45 src0_sel:BYTE_0
	s_nop 0
	v_mul_f32_e32 v47, s53, v45
	v_and_b32_e32 v45, 0x7f800000, v47
	v_cmp_ne_u32_e64 s[8:9], s51, v45
                                        ; implicit-def: $vgpr45
	s_and_saveexec_b64 s[42:43], s[8:9]
	s_xor_b64 s[8:9], exec, s[42:43]
; %bb.41:                               ;   in Loop: Header=BB312_13 Depth=1
	v_bfe_u32 v45, v47, 16, 1
	v_add3_u32 v45, v47, v45, s52
                                        ; implicit-def: $vgpr47
; %bb.42:                               ;   in Loop: Header=BB312_13 Depth=1
	s_andn2_saveexec_b64 s[42:43], s[8:9]
; %bb.43:                               ;   in Loop: Header=BB312_13 Depth=1
	v_or_b32_e32 v45, 0x10000, v47
	v_cmp_eq_u32_sdwa s[8:9], v47, v19 src0_sel:WORD_0 src1_sel:DWORD
	s_nop 1
	v_cndmask_b32_e64 v45, v45, v47, s[8:9]
; %bb.44:                               ;   in Loop: Header=BB312_13 Depth=1
	s_or_b64 exec, exec, s[42:43]
	v_lshrrev_b16_e32 v46, 8, v46
	v_cvt_f32_fp8_sdwa v46, v46 src0_sel:BYTE_0
	s_nop 0
	v_mul_f32_e32 v47, s53, v46
	v_and_b32_e32 v46, 0x7f800000, v47
	v_cmp_ne_u32_e64 s[8:9], s51, v46
                                        ; implicit-def: $vgpr46
	s_and_saveexec_b64 s[42:43], s[8:9]
	s_xor_b64 s[8:9], exec, s[42:43]
; %bb.45:                               ;   in Loop: Header=BB312_13 Depth=1
	v_bfe_u32 v46, v47, 16, 1
	v_add3_u32 v46, v47, v46, s52
                                        ; implicit-def: $vgpr47
; %bb.46:                               ;   in Loop: Header=BB312_13 Depth=1
	s_andn2_saveexec_b64 s[42:43], s[8:9]
; %bb.47:                               ;   in Loop: Header=BB312_13 Depth=1
	v_or_b32_e32 v46, 0x10000, v47
	v_cmp_eq_u32_sdwa s[8:9], v47, v19 src0_sel:WORD_0 src1_sel:DWORD
	s_nop 1
	v_cndmask_b32_e64 v46, v46, v47, s[8:9]
; %bb.48:                               ;   in Loop: Header=BB312_13 Depth=1
	s_or_b64 exec, exec, s[42:43]
	global_load_ushort v48, v[24:25], off offset:512
	s_waitcnt vmcnt(0)
	v_and_b32_sdwa v47, s50, v48 dst_sel:DWORD dst_unused:UNUSED_PAD src0_sel:DWORD src1_sel:BYTE_0
	v_cvt_f32_fp8_sdwa v47, v47 src0_sel:BYTE_0
	s_nop 0
	v_mul_f32_e32 v49, s53, v47
	v_and_b32_e32 v47, 0x7f800000, v49
	v_cmp_ne_u32_e64 s[8:9], s51, v47
                                        ; implicit-def: $vgpr47
	s_and_saveexec_b64 s[42:43], s[8:9]
	s_xor_b64 s[8:9], exec, s[42:43]
; %bb.49:                               ;   in Loop: Header=BB312_13 Depth=1
	v_bfe_u32 v47, v49, 16, 1
	v_add3_u32 v47, v49, v47, s52
                                        ; implicit-def: $vgpr49
; %bb.50:                               ;   in Loop: Header=BB312_13 Depth=1
	s_andn2_saveexec_b64 s[42:43], s[8:9]
; %bb.51:                               ;   in Loop: Header=BB312_13 Depth=1
	v_or_b32_e32 v47, 0x10000, v49
	v_cmp_eq_u32_sdwa s[8:9], v49, v19 src0_sel:WORD_0 src1_sel:DWORD
	s_nop 1
	v_cndmask_b32_e64 v47, v47, v49, s[8:9]
; %bb.52:                               ;   in Loop: Header=BB312_13 Depth=1
	s_or_b64 exec, exec, s[42:43]
	v_lshrrev_b16_e32 v48, 8, v48
	v_cvt_f32_fp8_sdwa v48, v48 src0_sel:BYTE_0
	s_nop 0
	v_mul_f32_e32 v49, s53, v48
	v_and_b32_e32 v48, 0x7f800000, v49
	v_cmp_ne_u32_e64 s[8:9], s51, v48
                                        ; implicit-def: $vgpr48
	s_and_saveexec_b64 s[42:43], s[8:9]
	s_xor_b64 s[8:9], exec, s[42:43]
; %bb.53:                               ;   in Loop: Header=BB312_13 Depth=1
	v_bfe_u32 v48, v49, 16, 1
	v_add3_u32 v48, v49, v48, s52
                                        ; implicit-def: $vgpr49
; %bb.54:                               ;   in Loop: Header=BB312_13 Depth=1
	s_andn2_saveexec_b64 s[42:43], s[8:9]
; %bb.55:                               ;   in Loop: Header=BB312_13 Depth=1
	v_or_b32_e32 v48, 0x10000, v49
	v_cmp_eq_u32_sdwa s[8:9], v49, v19 src0_sel:WORD_0 src1_sel:DWORD
	s_nop 1
	v_cndmask_b32_e64 v48, v48, v49, s[8:9]
; %bb.56:                               ;   in Loop: Header=BB312_13 Depth=1
	s_or_b64 exec, exec, s[42:43]
	global_load_ushort v50, v[24:25], off offset:520
	s_waitcnt vmcnt(0)
	v_and_b32_sdwa v49, s50, v50 dst_sel:DWORD dst_unused:UNUSED_PAD src0_sel:DWORD src1_sel:BYTE_0
	v_cvt_f32_fp8_sdwa v49, v49 src0_sel:BYTE_0
	s_nop 0
	v_mul_f32_e32 v51, s53, v49
	v_and_b32_e32 v49, 0x7f800000, v51
	v_cmp_ne_u32_e64 s[8:9], s51, v49
                                        ; implicit-def: $vgpr49
	s_and_saveexec_b64 s[42:43], s[8:9]
	s_xor_b64 s[8:9], exec, s[42:43]
; %bb.57:                               ;   in Loop: Header=BB312_13 Depth=1
	v_bfe_u32 v49, v51, 16, 1
	v_add3_u32 v49, v51, v49, s52
                                        ; implicit-def: $vgpr51
; %bb.58:                               ;   in Loop: Header=BB312_13 Depth=1
	s_andn2_saveexec_b64 s[42:43], s[8:9]
; %bb.59:                               ;   in Loop: Header=BB312_13 Depth=1
	v_or_b32_e32 v49, 0x10000, v51
	v_cmp_eq_u32_sdwa s[8:9], v51, v19 src0_sel:WORD_0 src1_sel:DWORD
	s_nop 1
	v_cndmask_b32_e64 v49, v49, v51, s[8:9]
; %bb.60:                               ;   in Loop: Header=BB312_13 Depth=1
	s_or_b64 exec, exec, s[42:43]
	v_lshrrev_b16_e32 v50, 8, v50
	v_cvt_f32_fp8_sdwa v50, v50 src0_sel:BYTE_0
	s_nop 0
	v_mul_f32_e32 v51, s53, v50
	v_and_b32_e32 v50, 0x7f800000, v51
	v_cmp_ne_u32_e64 s[8:9], s51, v50
                                        ; implicit-def: $vgpr50
	s_and_saveexec_b64 s[42:43], s[8:9]
	s_xor_b64 s[8:9], exec, s[42:43]
; %bb.61:                               ;   in Loop: Header=BB312_13 Depth=1
	v_bfe_u32 v50, v51, 16, 1
	v_add3_u32 v50, v51, v50, s52
                                        ; implicit-def: $vgpr51
; %bb.62:                               ;   in Loop: Header=BB312_13 Depth=1
	s_andn2_saveexec_b64 s[42:43], s[8:9]
; %bb.63:                               ;   in Loop: Header=BB312_13 Depth=1
	v_or_b32_e32 v50, 0x10000, v51
	v_cmp_eq_u32_sdwa s[8:9], v51, v19 src0_sel:WORD_0 src1_sel:DWORD
	s_nop 1
	v_cndmask_b32_e64 v50, v50, v51, s[8:9]
; %bb.64:                               ;   in Loop: Header=BB312_13 Depth=1
	s_or_b64 exec, exec, s[42:43]
	global_load_ushort v52, v[24:25], off offset:768
	s_waitcnt vmcnt(0)
	v_and_b32_sdwa v51, s50, v52 dst_sel:DWORD dst_unused:UNUSED_PAD src0_sel:DWORD src1_sel:BYTE_0
	v_cvt_f32_fp8_sdwa v51, v51 src0_sel:BYTE_0
	s_nop 0
	v_mul_f32_e32 v53, s53, v51
	v_and_b32_e32 v51, 0x7f800000, v53
	v_cmp_ne_u32_e64 s[8:9], s51, v51
                                        ; implicit-def: $vgpr51
	s_and_saveexec_b64 s[42:43], s[8:9]
	s_xor_b64 s[8:9], exec, s[42:43]
; %bb.65:                               ;   in Loop: Header=BB312_13 Depth=1
	v_bfe_u32 v51, v53, 16, 1
	v_add3_u32 v51, v53, v51, s52
                                        ; implicit-def: $vgpr53
; %bb.66:                               ;   in Loop: Header=BB312_13 Depth=1
	s_andn2_saveexec_b64 s[42:43], s[8:9]
; %bb.67:                               ;   in Loop: Header=BB312_13 Depth=1
	v_or_b32_e32 v51, 0x10000, v53
	v_cmp_eq_u32_sdwa s[8:9], v53, v19 src0_sel:WORD_0 src1_sel:DWORD
	s_nop 1
	v_cndmask_b32_e64 v51, v51, v53, s[8:9]
; %bb.68:                               ;   in Loop: Header=BB312_13 Depth=1
	s_or_b64 exec, exec, s[42:43]
	v_lshrrev_b16_e32 v52, 8, v52
	v_cvt_f32_fp8_sdwa v52, v52 src0_sel:BYTE_0
	s_nop 0
	v_mul_f32_e32 v53, s53, v52
	v_and_b32_e32 v52, 0x7f800000, v53
	v_cmp_ne_u32_e64 s[8:9], s51, v52
                                        ; implicit-def: $vgpr52
	s_and_saveexec_b64 s[42:43], s[8:9]
	s_xor_b64 s[8:9], exec, s[42:43]
; %bb.69:                               ;   in Loop: Header=BB312_13 Depth=1
	v_bfe_u32 v52, v53, 16, 1
	v_add3_u32 v52, v53, v52, s52
                                        ; implicit-def: $vgpr53
; %bb.70:                               ;   in Loop: Header=BB312_13 Depth=1
	s_andn2_saveexec_b64 s[42:43], s[8:9]
; %bb.71:                               ;   in Loop: Header=BB312_13 Depth=1
	v_or_b32_e32 v52, 0x10000, v53
	v_cmp_eq_u32_sdwa s[8:9], v53, v19 src0_sel:WORD_0 src1_sel:DWORD
	s_nop 1
	v_cndmask_b32_e64 v52, v52, v53, s[8:9]
; %bb.72:                               ;   in Loop: Header=BB312_13 Depth=1
	s_or_b64 exec, exec, s[42:43]
	global_load_ushort v54, v[24:25], off offset:776
	s_waitcnt vmcnt(0)
	v_and_b32_sdwa v53, s50, v54 dst_sel:DWORD dst_unused:UNUSED_PAD src0_sel:DWORD src1_sel:BYTE_0
	v_cvt_f32_fp8_sdwa v53, v53 src0_sel:BYTE_0
	s_nop 0
	v_mul_f32_e32 v55, s53, v53
	v_and_b32_e32 v53, 0x7f800000, v55
	v_cmp_ne_u32_e64 s[8:9], s51, v53
                                        ; implicit-def: $vgpr53
	s_and_saveexec_b64 s[42:43], s[8:9]
	s_xor_b64 s[8:9], exec, s[42:43]
; %bb.73:                               ;   in Loop: Header=BB312_13 Depth=1
	v_bfe_u32 v53, v55, 16, 1
	v_add3_u32 v53, v55, v53, s52
                                        ; implicit-def: $vgpr55
; %bb.74:                               ;   in Loop: Header=BB312_13 Depth=1
	s_andn2_saveexec_b64 s[42:43], s[8:9]
; %bb.75:                               ;   in Loop: Header=BB312_13 Depth=1
	v_or_b32_e32 v53, 0x10000, v55
	v_cmp_eq_u32_sdwa s[8:9], v55, v19 src0_sel:WORD_0 src1_sel:DWORD
	s_nop 1
	v_cndmask_b32_e64 v53, v53, v55, s[8:9]
; %bb.76:                               ;   in Loop: Header=BB312_13 Depth=1
	s_or_b64 exec, exec, s[42:43]
	v_lshrrev_b16_e32 v54, 8, v54
	v_cvt_f32_fp8_sdwa v54, v54 src0_sel:BYTE_0
	s_nop 0
	v_mul_f32_e32 v55, s53, v54
	v_and_b32_e32 v54, 0x7f800000, v55
	v_cmp_ne_u32_e64 s[8:9], s51, v54
                                        ; implicit-def: $vgpr54
	s_and_saveexec_b64 s[42:43], s[8:9]
	s_xor_b64 s[8:9], exec, s[42:43]
; %bb.77:                               ;   in Loop: Header=BB312_13 Depth=1
	v_bfe_u32 v54, v55, 16, 1
	v_add3_u32 v54, v55, v54, s52
                                        ; implicit-def: $vgpr55
; %bb.78:                               ;   in Loop: Header=BB312_13 Depth=1
	s_andn2_saveexec_b64 s[42:43], s[8:9]
; %bb.79:                               ;   in Loop: Header=BB312_13 Depth=1
	v_or_b32_e32 v54, 0x10000, v55
	v_cmp_eq_u32_sdwa s[8:9], v55, v19 src0_sel:WORD_0 src1_sel:DWORD
	s_nop 1
	v_cndmask_b32_e64 v54, v54, v55, s[8:9]
; %bb.80:                               ;   in Loop: Header=BB312_13 Depth=1
	s_or_b64 exec, exec, s[42:43]
	global_load_ushort v56, v[24:25], off offset:1024
	s_waitcnt vmcnt(0)
	v_and_b32_sdwa v55, s50, v56 dst_sel:DWORD dst_unused:UNUSED_PAD src0_sel:DWORD src1_sel:BYTE_0
	v_cvt_f32_fp8_sdwa v55, v55 src0_sel:BYTE_0
	s_nop 0
	v_mul_f32_e32 v57, s53, v55
	v_and_b32_e32 v55, 0x7f800000, v57
	v_cmp_ne_u32_e64 s[8:9], s51, v55
                                        ; implicit-def: $vgpr55
	s_and_saveexec_b64 s[42:43], s[8:9]
	s_xor_b64 s[8:9], exec, s[42:43]
; %bb.81:                               ;   in Loop: Header=BB312_13 Depth=1
	v_bfe_u32 v55, v57, 16, 1
	v_add3_u32 v55, v57, v55, s52
                                        ; implicit-def: $vgpr57
; %bb.82:                               ;   in Loop: Header=BB312_13 Depth=1
	s_andn2_saveexec_b64 s[42:43], s[8:9]
; %bb.83:                               ;   in Loop: Header=BB312_13 Depth=1
	v_or_b32_e32 v55, 0x10000, v57
	v_cmp_eq_u32_sdwa s[8:9], v57, v19 src0_sel:WORD_0 src1_sel:DWORD
	s_nop 1
	v_cndmask_b32_e64 v55, v55, v57, s[8:9]
; %bb.84:                               ;   in Loop: Header=BB312_13 Depth=1
	s_or_b64 exec, exec, s[42:43]
	v_lshrrev_b16_e32 v56, 8, v56
	v_cvt_f32_fp8_sdwa v56, v56 src0_sel:BYTE_0
	s_nop 0
	v_mul_f32_e32 v57, s53, v56
	v_and_b32_e32 v56, 0x7f800000, v57
	v_cmp_ne_u32_e64 s[8:9], s51, v56
                                        ; implicit-def: $vgpr56
	s_and_saveexec_b64 s[42:43], s[8:9]
	s_xor_b64 s[8:9], exec, s[42:43]
; %bb.85:                               ;   in Loop: Header=BB312_13 Depth=1
	v_bfe_u32 v56, v57, 16, 1
	v_add3_u32 v56, v57, v56, s52
                                        ; implicit-def: $vgpr57
; %bb.86:                               ;   in Loop: Header=BB312_13 Depth=1
	s_andn2_saveexec_b64 s[42:43], s[8:9]
; %bb.87:                               ;   in Loop: Header=BB312_13 Depth=1
	v_or_b32_e32 v56, 0x10000, v57
	v_cmp_eq_u32_sdwa s[8:9], v57, v19 src0_sel:WORD_0 src1_sel:DWORD
	s_nop 1
	v_cndmask_b32_e64 v56, v56, v57, s[8:9]
; %bb.88:                               ;   in Loop: Header=BB312_13 Depth=1
	s_or_b64 exec, exec, s[42:43]
	global_load_ushort v58, v[24:25], off offset:1032
	s_waitcnt vmcnt(0)
	v_and_b32_sdwa v57, s50, v58 dst_sel:DWORD dst_unused:UNUSED_PAD src0_sel:DWORD src1_sel:BYTE_0
	v_cvt_f32_fp8_sdwa v57, v57 src0_sel:BYTE_0
	s_nop 0
	v_mul_f32_e32 v59, s53, v57
	v_and_b32_e32 v57, 0x7f800000, v59
	v_cmp_ne_u32_e64 s[8:9], s51, v57
                                        ; implicit-def: $vgpr57
	s_and_saveexec_b64 s[42:43], s[8:9]
	s_xor_b64 s[8:9], exec, s[42:43]
; %bb.89:                               ;   in Loop: Header=BB312_13 Depth=1
	v_bfe_u32 v57, v59, 16, 1
	v_add3_u32 v57, v59, v57, s52
                                        ; implicit-def: $vgpr59
; %bb.90:                               ;   in Loop: Header=BB312_13 Depth=1
	s_andn2_saveexec_b64 s[42:43], s[8:9]
; %bb.91:                               ;   in Loop: Header=BB312_13 Depth=1
	v_or_b32_e32 v57, 0x10000, v59
	v_cmp_eq_u32_sdwa s[8:9], v59, v19 src0_sel:WORD_0 src1_sel:DWORD
	s_nop 1
	v_cndmask_b32_e64 v57, v57, v59, s[8:9]
; %bb.92:                               ;   in Loop: Header=BB312_13 Depth=1
	s_or_b64 exec, exec, s[42:43]
	v_lshrrev_b16_e32 v58, 8, v58
	v_cvt_f32_fp8_sdwa v58, v58 src0_sel:BYTE_0
	s_nop 0
	v_mul_f32_e32 v59, s53, v58
	v_and_b32_e32 v58, 0x7f800000, v59
	v_cmp_ne_u32_e64 s[8:9], s51, v58
                                        ; implicit-def: $vgpr58
	s_and_saveexec_b64 s[42:43], s[8:9]
	s_xor_b64 s[8:9], exec, s[42:43]
; %bb.93:                               ;   in Loop: Header=BB312_13 Depth=1
	v_bfe_u32 v58, v59, 16, 1
	v_add3_u32 v58, v59, v58, s52
                                        ; implicit-def: $vgpr59
; %bb.94:                               ;   in Loop: Header=BB312_13 Depth=1
	s_andn2_saveexec_b64 s[42:43], s[8:9]
; %bb.95:                               ;   in Loop: Header=BB312_13 Depth=1
	v_or_b32_e32 v58, 0x10000, v59
	v_cmp_eq_u32_sdwa s[8:9], v59, v19 src0_sel:WORD_0 src1_sel:DWORD
	s_nop 1
	v_cndmask_b32_e64 v58, v58, v59, s[8:9]
; %bb.96:                               ;   in Loop: Header=BB312_13 Depth=1
	s_or_b64 exec, exec, s[42:43]
	global_load_ushort v60, v[24:25], off offset:1280
	s_waitcnt vmcnt(0)
	v_and_b32_sdwa v59, s50, v60 dst_sel:DWORD dst_unused:UNUSED_PAD src0_sel:DWORD src1_sel:BYTE_0
	v_cvt_f32_fp8_sdwa v59, v59 src0_sel:BYTE_0
	s_nop 0
	v_mul_f32_e32 v61, s53, v59
	v_and_b32_e32 v59, 0x7f800000, v61
	v_cmp_ne_u32_e64 s[8:9], s51, v59
                                        ; implicit-def: $vgpr59
	s_and_saveexec_b64 s[42:43], s[8:9]
	s_xor_b64 s[8:9], exec, s[42:43]
; %bb.97:                               ;   in Loop: Header=BB312_13 Depth=1
	v_bfe_u32 v59, v61, 16, 1
	v_add3_u32 v59, v61, v59, s52
                                        ; implicit-def: $vgpr61
; %bb.98:                               ;   in Loop: Header=BB312_13 Depth=1
	s_andn2_saveexec_b64 s[42:43], s[8:9]
; %bb.99:                               ;   in Loop: Header=BB312_13 Depth=1
	v_or_b32_e32 v59, 0x10000, v61
	v_cmp_eq_u32_sdwa s[8:9], v61, v19 src0_sel:WORD_0 src1_sel:DWORD
	s_nop 1
	v_cndmask_b32_e64 v59, v59, v61, s[8:9]
; %bb.100:                              ;   in Loop: Header=BB312_13 Depth=1
	s_or_b64 exec, exec, s[42:43]
	v_lshrrev_b16_e32 v60, 8, v60
	v_cvt_f32_fp8_sdwa v60, v60 src0_sel:BYTE_0
	s_nop 0
	v_mul_f32_e32 v61, s53, v60
	v_and_b32_e32 v60, 0x7f800000, v61
	v_cmp_ne_u32_e64 s[8:9], s51, v60
                                        ; implicit-def: $vgpr60
	s_and_saveexec_b64 s[42:43], s[8:9]
	s_xor_b64 s[8:9], exec, s[42:43]
; %bb.101:                              ;   in Loop: Header=BB312_13 Depth=1
	v_bfe_u32 v60, v61, 16, 1
	v_add3_u32 v60, v61, v60, s52
                                        ; implicit-def: $vgpr61
; %bb.102:                              ;   in Loop: Header=BB312_13 Depth=1
	s_andn2_saveexec_b64 s[42:43], s[8:9]
; %bb.103:                              ;   in Loop: Header=BB312_13 Depth=1
	v_or_b32_e32 v60, 0x10000, v61
	v_cmp_eq_u32_sdwa s[8:9], v61, v19 src0_sel:WORD_0 src1_sel:DWORD
	s_nop 1
	v_cndmask_b32_e64 v60, v60, v61, s[8:9]
; %bb.104:                              ;   in Loop: Header=BB312_13 Depth=1
	s_or_b64 exec, exec, s[42:43]
	global_load_ushort v62, v[24:25], off offset:1288
	s_waitcnt vmcnt(0)
	v_and_b32_sdwa v61, s50, v62 dst_sel:DWORD dst_unused:UNUSED_PAD src0_sel:DWORD src1_sel:BYTE_0
	v_cvt_f32_fp8_sdwa v61, v61 src0_sel:BYTE_0
	s_nop 0
	v_mul_f32_e32 v63, s53, v61
	v_and_b32_e32 v61, 0x7f800000, v63
	v_cmp_ne_u32_e64 s[8:9], s51, v61
                                        ; implicit-def: $vgpr61
	s_and_saveexec_b64 s[42:43], s[8:9]
	s_xor_b64 s[8:9], exec, s[42:43]
; %bb.105:                              ;   in Loop: Header=BB312_13 Depth=1
	v_bfe_u32 v61, v63, 16, 1
	v_add3_u32 v61, v63, v61, s52
                                        ; implicit-def: $vgpr63
; %bb.106:                              ;   in Loop: Header=BB312_13 Depth=1
	s_andn2_saveexec_b64 s[42:43], s[8:9]
; %bb.107:                              ;   in Loop: Header=BB312_13 Depth=1
	v_or_b32_e32 v61, 0x10000, v63
	v_cmp_eq_u32_sdwa s[8:9], v63, v19 src0_sel:WORD_0 src1_sel:DWORD
	s_nop 1
	v_cndmask_b32_e64 v61, v61, v63, s[8:9]
; %bb.108:                              ;   in Loop: Header=BB312_13 Depth=1
	s_or_b64 exec, exec, s[42:43]
	v_lshrrev_b16_e32 v62, 8, v62
	v_cvt_f32_fp8_sdwa v62, v62 src0_sel:BYTE_0
	s_nop 0
	v_mul_f32_e32 v63, s53, v62
	v_and_b32_e32 v62, 0x7f800000, v63
	v_cmp_ne_u32_e64 s[8:9], s51, v62
                                        ; implicit-def: $vgpr62
	s_and_saveexec_b64 s[42:43], s[8:9]
	s_xor_b64 s[8:9], exec, s[42:43]
; %bb.109:                              ;   in Loop: Header=BB312_13 Depth=1
	v_bfe_u32 v62, v63, 16, 1
	v_add3_u32 v62, v63, v62, s52
                                        ; implicit-def: $vgpr63
; %bb.110:                              ;   in Loop: Header=BB312_13 Depth=1
	s_andn2_saveexec_b64 s[42:43], s[8:9]
; %bb.111:                              ;   in Loop: Header=BB312_13 Depth=1
	v_or_b32_e32 v62, 0x10000, v63
	v_cmp_eq_u32_sdwa s[8:9], v63, v19 src0_sel:WORD_0 src1_sel:DWORD
	s_nop 1
	v_cndmask_b32_e64 v62, v62, v63, s[8:9]
; %bb.112:                              ;   in Loop: Header=BB312_13 Depth=1
	s_or_b64 exec, exec, s[42:43]
	global_load_ushort v64, v[24:25], off offset:1536
	s_waitcnt vmcnt(0)
	v_and_b32_sdwa v63, s50, v64 dst_sel:DWORD dst_unused:UNUSED_PAD src0_sel:DWORD src1_sel:BYTE_0
	v_cvt_f32_fp8_sdwa v63, v63 src0_sel:BYTE_0
	s_nop 0
	v_mul_f32_e32 v65, s53, v63
	v_and_b32_e32 v63, 0x7f800000, v65
	v_cmp_ne_u32_e64 s[8:9], s51, v63
                                        ; implicit-def: $vgpr63
	s_and_saveexec_b64 s[42:43], s[8:9]
	s_xor_b64 s[8:9], exec, s[42:43]
; %bb.113:                              ;   in Loop: Header=BB312_13 Depth=1
	v_bfe_u32 v63, v65, 16, 1
	v_add3_u32 v63, v65, v63, s52
                                        ; implicit-def: $vgpr65
; %bb.114:                              ;   in Loop: Header=BB312_13 Depth=1
	s_andn2_saveexec_b64 s[42:43], s[8:9]
; %bb.115:                              ;   in Loop: Header=BB312_13 Depth=1
	v_or_b32_e32 v63, 0x10000, v65
	v_cmp_eq_u32_sdwa s[8:9], v65, v19 src0_sel:WORD_0 src1_sel:DWORD
	s_nop 1
	v_cndmask_b32_e64 v63, v63, v65, s[8:9]
; %bb.116:                              ;   in Loop: Header=BB312_13 Depth=1
	s_or_b64 exec, exec, s[42:43]
	v_lshrrev_b16_e32 v64, 8, v64
	v_cvt_f32_fp8_sdwa v64, v64 src0_sel:BYTE_0
	s_nop 0
	v_mul_f32_e32 v65, s53, v64
	v_and_b32_e32 v64, 0x7f800000, v65
	v_cmp_ne_u32_e64 s[8:9], s51, v64
                                        ; implicit-def: $vgpr64
	s_and_saveexec_b64 s[42:43], s[8:9]
	s_xor_b64 s[8:9], exec, s[42:43]
; %bb.117:                              ;   in Loop: Header=BB312_13 Depth=1
	v_bfe_u32 v64, v65, 16, 1
	v_add3_u32 v64, v65, v64, s52
                                        ; implicit-def: $vgpr65
; %bb.118:                              ;   in Loop: Header=BB312_13 Depth=1
	s_andn2_saveexec_b64 s[42:43], s[8:9]
; %bb.119:                              ;   in Loop: Header=BB312_13 Depth=1
	v_or_b32_e32 v64, 0x10000, v65
	v_cmp_eq_u32_sdwa s[8:9], v65, v19 src0_sel:WORD_0 src1_sel:DWORD
	s_nop 1
	v_cndmask_b32_e64 v64, v64, v65, s[8:9]
; %bb.120:                              ;   in Loop: Header=BB312_13 Depth=1
	s_or_b64 exec, exec, s[42:43]
	global_load_ushort v66, v[24:25], off offset:1544
	s_waitcnt vmcnt(0)
	v_and_b32_sdwa v65, s50, v66 dst_sel:DWORD dst_unused:UNUSED_PAD src0_sel:DWORD src1_sel:BYTE_0
	v_cvt_f32_fp8_sdwa v65, v65 src0_sel:BYTE_0
	s_nop 0
	v_mul_f32_e32 v67, s53, v65
	v_and_b32_e32 v65, 0x7f800000, v67
	v_cmp_ne_u32_e64 s[8:9], s51, v65
                                        ; implicit-def: $vgpr65
	s_and_saveexec_b64 s[42:43], s[8:9]
	s_xor_b64 s[8:9], exec, s[42:43]
; %bb.121:                              ;   in Loop: Header=BB312_13 Depth=1
	v_bfe_u32 v65, v67, 16, 1
	v_add3_u32 v65, v67, v65, s52
                                        ; implicit-def: $vgpr67
; %bb.122:                              ;   in Loop: Header=BB312_13 Depth=1
	s_andn2_saveexec_b64 s[42:43], s[8:9]
; %bb.123:                              ;   in Loop: Header=BB312_13 Depth=1
	v_or_b32_e32 v65, 0x10000, v67
	v_cmp_eq_u32_sdwa s[8:9], v67, v19 src0_sel:WORD_0 src1_sel:DWORD
	s_nop 1
	v_cndmask_b32_e64 v65, v65, v67, s[8:9]
; %bb.124:                              ;   in Loop: Header=BB312_13 Depth=1
	s_or_b64 exec, exec, s[42:43]
	v_lshrrev_b16_e32 v66, 8, v66
	v_cvt_f32_fp8_sdwa v66, v66 src0_sel:BYTE_0
	s_nop 0
	v_mul_f32_e32 v67, s53, v66
	v_and_b32_e32 v66, 0x7f800000, v67
	v_cmp_ne_u32_e64 s[8:9], s51, v66
                                        ; implicit-def: $vgpr66
	s_and_saveexec_b64 s[42:43], s[8:9]
	s_xor_b64 s[8:9], exec, s[42:43]
; %bb.125:                              ;   in Loop: Header=BB312_13 Depth=1
	v_bfe_u32 v66, v67, 16, 1
	v_add3_u32 v66, v67, v66, s52
                                        ; implicit-def: $vgpr67
; %bb.126:                              ;   in Loop: Header=BB312_13 Depth=1
	s_andn2_saveexec_b64 s[42:43], s[8:9]
; %bb.127:                              ;   in Loop: Header=BB312_13 Depth=1
	v_or_b32_e32 v66, 0x10000, v67
	v_cmp_eq_u32_sdwa s[8:9], v67, v19 src0_sel:WORD_0 src1_sel:DWORD
	s_nop 1
	v_cndmask_b32_e64 v66, v66, v67, s[8:9]
; %bb.128:                              ;   in Loop: Header=BB312_13 Depth=1
	s_or_b64 exec, exec, s[42:43]
	global_load_ushort v68, v[24:25], off offset:1792
	s_waitcnt vmcnt(0)
	v_and_b32_sdwa v67, s50, v68 dst_sel:DWORD dst_unused:UNUSED_PAD src0_sel:DWORD src1_sel:BYTE_0
	v_cvt_f32_fp8_sdwa v67, v67 src0_sel:BYTE_0
	s_nop 0
	v_mul_f32_e32 v69, s53, v67
	v_and_b32_e32 v67, 0x7f800000, v69
	v_cmp_ne_u32_e64 s[8:9], s51, v67
                                        ; implicit-def: $vgpr67
	s_and_saveexec_b64 s[42:43], s[8:9]
	s_xor_b64 s[8:9], exec, s[42:43]
; %bb.129:                              ;   in Loop: Header=BB312_13 Depth=1
	v_bfe_u32 v67, v69, 16, 1
	v_add3_u32 v67, v69, v67, s52
                                        ; implicit-def: $vgpr69
; %bb.130:                              ;   in Loop: Header=BB312_13 Depth=1
	s_andn2_saveexec_b64 s[42:43], s[8:9]
; %bb.131:                              ;   in Loop: Header=BB312_13 Depth=1
	v_or_b32_e32 v67, 0x10000, v69
	v_cmp_eq_u32_sdwa s[8:9], v69, v19 src0_sel:WORD_0 src1_sel:DWORD
	s_nop 1
	v_cndmask_b32_e64 v67, v67, v69, s[8:9]
; %bb.132:                              ;   in Loop: Header=BB312_13 Depth=1
	s_or_b64 exec, exec, s[42:43]
	v_lshrrev_b16_e32 v68, 8, v68
	v_cvt_f32_fp8_sdwa v68, v68 src0_sel:BYTE_0
	s_nop 0
	v_mul_f32_e32 v69, s53, v68
	v_and_b32_e32 v68, 0x7f800000, v69
	v_cmp_ne_u32_e64 s[8:9], s51, v68
                                        ; implicit-def: $vgpr68
	s_and_saveexec_b64 s[42:43], s[8:9]
	s_xor_b64 s[8:9], exec, s[42:43]
; %bb.133:                              ;   in Loop: Header=BB312_13 Depth=1
	v_bfe_u32 v68, v69, 16, 1
	v_add3_u32 v68, v69, v68, s52
                                        ; implicit-def: $vgpr69
; %bb.134:                              ;   in Loop: Header=BB312_13 Depth=1
	s_andn2_saveexec_b64 s[42:43], s[8:9]
; %bb.135:                              ;   in Loop: Header=BB312_13 Depth=1
	v_or_b32_e32 v68, 0x10000, v69
	v_cmp_eq_u32_sdwa s[8:9], v69, v19 src0_sel:WORD_0 src1_sel:DWORD
	s_nop 1
	v_cndmask_b32_e64 v68, v68, v69, s[8:9]
; %bb.136:                              ;   in Loop: Header=BB312_13 Depth=1
	s_or_b64 exec, exec, s[42:43]
	global_load_ushort v24, v[24:25], off offset:1800
	s_waitcnt vmcnt(0)
	v_and_b32_sdwa v25, s50, v24 dst_sel:DWORD dst_unused:UNUSED_PAD src0_sel:DWORD src1_sel:BYTE_0
	v_cvt_f32_fp8_sdwa v25, v25 src0_sel:BYTE_0
	s_nop 0
	v_mul_f32_e32 v69, s53, v25
	v_and_b32_e32 v25, 0x7f800000, v69
	v_cmp_ne_u32_e64 s[8:9], s51, v25
                                        ; implicit-def: $vgpr25
	s_and_saveexec_b64 s[42:43], s[8:9]
	s_xor_b64 s[8:9], exec, s[42:43]
; %bb.137:                              ;   in Loop: Header=BB312_13 Depth=1
	v_bfe_u32 v25, v69, 16, 1
	v_add3_u32 v25, v69, v25, s52
                                        ; implicit-def: $vgpr69
; %bb.138:                              ;   in Loop: Header=BB312_13 Depth=1
	s_andn2_saveexec_b64 s[42:43], s[8:9]
; %bb.139:                              ;   in Loop: Header=BB312_13 Depth=1
	v_or_b32_e32 v25, 0x10000, v69
	v_cmp_eq_u32_sdwa s[8:9], v69, v19 src0_sel:WORD_0 src1_sel:DWORD
	s_nop 1
	v_cndmask_b32_e64 v25, v25, v69, s[8:9]
; %bb.140:                              ;   in Loop: Header=BB312_13 Depth=1
	s_or_b64 exec, exec, s[42:43]
	v_lshrrev_b16_e32 v24, 8, v24
	v_cvt_f32_fp8_sdwa v24, v24 src0_sel:BYTE_0
	s_nop 0
	v_mul_f32_e32 v69, s53, v24
	v_and_b32_e32 v24, 0x7f800000, v69
	v_cmp_ne_u32_e64 s[8:9], s51, v24
                                        ; implicit-def: $vgpr24
	s_and_saveexec_b64 s[42:43], s[8:9]
	s_xor_b64 s[8:9], exec, s[42:43]
; %bb.141:                              ;   in Loop: Header=BB312_13 Depth=1
	v_bfe_u32 v24, v69, 16, 1
	v_add3_u32 v24, v69, v24, s52
                                        ; implicit-def: $vgpr69
; %bb.142:                              ;   in Loop: Header=BB312_13 Depth=1
	s_andn2_saveexec_b64 s[42:43], s[8:9]
; %bb.143:                              ;   in Loop: Header=BB312_13 Depth=1
	v_or_b32_e32 v24, 0x10000, v69
	v_cmp_eq_u32_sdwa s[8:9], v69, v19 src0_sel:WORD_0 src1_sel:DWORD
	s_nop 1
	v_cndmask_b32_e64 v24, v24, v69, s[8:9]
; %bb.144:                              ;   in Loop: Header=BB312_13 Depth=1
	s_or_b64 exec, exec, s[42:43]
	v_and_b32_e32 v42, 0xffff0000, v42
	v_and_b32_e32 v41, 0xffff0000, v41
	v_lshlrev_b32_e32 v70, 16, v15
	v_and_b32_e32 v15, 0xffff0000, v15
	v_and_b32_e32 v40, 0xffff0000, v40
	;; [unrolled: 1-line block ×3, first 2 shown]
	v_lshlrev_b32_e32 v69, 16, v14
	v_and_b32_e32 v14, 0xffff0000, v14
	v_mul_f32_e32 v41, v70, v41
	v_mul_f32_e32 v15, v15, v42
	v_and_b32_e32 v44, 0xffff0000, v44
	v_and_b32_e32 v43, 0xffff0000, v43
	v_lshlrev_b32_e32 v71, 16, v16
	v_and_b32_e32 v16, 0xffff0000, v16
	v_fmac_f32_e32 v41, v69, v39
	v_fmac_f32_e32 v15, v14, v40
	v_and_b32_e32 v46, 0xffff0000, v46
	v_and_b32_e32 v45, 0xffff0000, v45
	v_lshlrev_b32_e32 v72, 16, v17
	v_and_b32_e32 v17, 0xffff0000, v17
	v_fmac_f32_e32 v41, v71, v43
	v_fmac_f32_e32 v15, v16, v44
	;; [unrolled: 6-line block ×11, first 2 shown]
	v_and_b32_e32 v66, 0xffff0000, v66
	v_and_b32_e32 v65, 0xffff0000, v65
	v_lshlrev_b32_e32 v82, 16, v3
	v_and_b32_e32 v3, 0xffff0000, v3
	v_and_b32_e32 v85, 64, v37
	v_fmac_f32_e32 v41, v81, v63
	v_fmac_f32_e32 v15, v2, v64
	v_and_b32_e32 v68, 0xffff0000, v68
	v_and_b32_e32 v67, 0xffff0000, v67
	v_lshlrev_b32_e32 v83, 16, v4
	v_and_b32_e32 v4, 0xffff0000, v4
	v_add_u32_e32 v85, 64, v85
	v_xor_b32_e32 v86, 2, v37
	v_fmac_f32_e32 v41, v82, v65
	v_fmac_f32_e32 v15, v3, v66
	v_and_b32_e32 v25, 0xffff0000, v25
	v_lshlrev_b32_e32 v84, 16, v5
	v_and_b32_e32 v5, 0xffff0000, v5
	v_cmp_lt_i32_e64 s[8:9], v86, v85
	v_and_b32_e32 v24, 0xffff0000, v24
	v_fmac_f32_e32 v41, v83, v67
	v_fmac_f32_e32 v15, v4, v68
	v_cndmask_b32_e64 v86, v37, v86, s[8:9]
	v_fmac_f32_e32 v41, v84, v25
	v_fmac_f32_e32 v15, v5, v24
	v_lshlrev_b32_e32 v86, 2, v86
	v_add_f32_e32 v2, v41, v15
	ds_bpermute_b32 v3, v86, v2
	v_xor_b32_e32 v4, 1, v37
	v_cmp_lt_i32_e64 s[8:9], v4, v85
	s_waitcnt lgkmcnt(0)
	v_add_f32_e32 v2, v2, v3
	v_cndmask_b32_e64 v4, v37, v4, s[8:9]
	v_lshlrev_b32_e32 v4, 2, v4
	ds_bpermute_b32 v3, v4, v2
	s_and_saveexec_b64 s[42:43], vcc
	s_cbranch_execz .LBB312_11
; %bb.145:                              ;   in Loop: Header=BB312_13 Depth=1
	v_add_u32_e32 v4, v35, v33
	v_cvt_f32_i32_e32 v4, v4
	s_waitcnt lgkmcnt(0)
	v_add_f32_e32 v2, v2, v3
	v_add_u32_e32 v5, v29, v33
	v_cmp_gt_i32_e64 s[8:9], s25, v5
	v_mul_f32_e32 v3, s46, v4
	v_cndmask_b32_e64 v3, 0, v3, s[0:1]
	v_fmac_f32_e32 v3, s39, v2
	v_cndmask_b32_e64 v2, 0, v3, s[8:9]
	ds_write_b32 v34, v2
	v_max_f32_e32 v2, v31, v31
	v_max_f32_e32 v2, v2, v3
	v_cndmask_b32_e64 v31, v31, v2, s[8:9]
	s_branch .LBB312_11
.LBB312_146:
	s_or_b64 exec, exec, s[40:41]
.LBB312_147:
	s_or_b64 exec, exec, s[18:19]
	v_mbcnt_hi_u32_b32 v2, -1, v28
	s_waitcnt lgkmcnt(0)
	v_and_b32_e32 v3, 64, v2
	v_add_u32_e32 v3, 64, v3
	v_xor_b32_e32 v4, 32, v2
	v_cmp_lt_i32_e32 vcc, v4, v3
	v_xor_b32_e32 v7, 16, v2
	v_max_f32_e32 v6, v31, v31
	v_cndmask_b32_e32 v4, v2, v4, vcc
	v_lshlrev_b32_e32 v4, 2, v4
	ds_bpermute_b32 v5, v4, v31
	v_cmp_lt_i32_e32 vcc, v7, v3
	v_xor_b32_e32 v8, 8, v2
	v_xor_b32_e32 v9, 4, v2
	v_and_b32_e32 v20, 63, v0
	s_waitcnt lgkmcnt(0)
	v_max_f32_e32 v5, v5, v5
	v_max_f32_e32 v6, v6, v5
	v_cndmask_b32_e32 v5, v2, v7, vcc
	v_lshlrev_b32_e32 v5, 2, v5
	ds_bpermute_b32 v7, v5, v6
	v_cmp_lt_i32_e32 vcc, v8, v3
	s_waitcnt lgkmcnt(0)
	v_max_f32_e32 v7, v7, v7
	v_max_f32_e32 v6, v6, v7
	v_cndmask_b32_e32 v7, v2, v8, vcc
	v_lshlrev_b32_e32 v8, 2, v7
	ds_bpermute_b32 v7, v8, v6
	v_cmp_lt_i32_e32 vcc, v9, v3
	s_waitcnt lgkmcnt(0)
	v_max_f32_e32 v7, v7, v7
	v_max_f32_e32 v7, v6, v7
	v_cndmask_b32_e32 v6, v2, v9, vcc
	v_lshlrev_b32_e32 v9, 2, v6
	ds_bpermute_b32 v10, v9, v7
	v_cmp_eq_u32_e32 vcc, 0, v20
	v_lshlrev_b32_e32 v6, 2, v1
	s_and_saveexec_b64 s[0:1], vcc
	s_cbranch_execz .LBB312_149
; %bb.148:
	s_waitcnt lgkmcnt(0)
	v_max_f32_e32 v10, v10, v10
	v_max_f32_e32 v7, v7, v7
	;; [unrolled: 1-line block ×3, first 2 shown]
	ds_write_b32 v6, v7 offset:256
.LBB312_149:
	s_or_b64 exec, exec, s[0:1]
	v_cmp_gt_u32_e64 s[0:1], 2, v20
	s_waitcnt lgkmcnt(0)
	v_mov_b32_e32 v10, 0xff7fffff
	v_lshlrev_b32_e32 v7, 2, v20
	s_barrier
	s_and_saveexec_b64 s[8:9], s[0:1]
	s_cbranch_execz .LBB312_151
; %bb.150:
	ds_read_b32 v10, v7 offset:256
.LBB312_151:
	s_or_b64 exec, exec, s[8:9]
	v_xor_b32_e32 v11, 1, v2
	v_cmp_lt_i32_e64 s[8:9], v11, v3
	v_lshlrev_b32_e32 v12, 2, v2
	s_nop 0
	v_cndmask_b32_e64 v11, v2, v11, s[8:9]
	v_lshlrev_b32_e32 v21, 2, v11
	s_waitcnt lgkmcnt(0)
	ds_bpermute_b32 v11, v21, v10
	v_max_f32_e32 v10, v10, v10
	s_lshl_b32 s8, s20, 4
	s_min_i32 s39, s8, s25
	v_cmp_gt_i32_e64 s[8:9], s39, v0
	s_waitcnt lgkmcnt(0)
	v_max_f32_e32 v11, v11, v11
	v_max_f32_e32 v11, v10, v11
	v_and_b32_e32 v10, 0x100, v12
	ds_bpermute_b32 v12, v10, v11
	v_mov_b32_e32 v11, 0
	s_and_saveexec_b64 s[12:13], s[8:9]
	s_cbranch_execz .LBB312_155
; %bb.152:
	v_mov_b32_e32 v11, 0x110
	v_lshl_add_u32 v13, v0, 2, v11
	s_mov_b64 s[18:19], 0
	v_mov_b32_e32 v11, 0
	v_mov_b32_e32 v14, v0
.LBB312_153:                            ; =>This Inner Loop Header: Depth=1
	ds_read_b32 v15, v13
	v_add_u32_e32 v14, 0x80, v14
	v_cmp_le_i32_e64 s[10:11], s39, v14
	s_or_b64 s[18:19], s[10:11], s[18:19]
	s_waitcnt lgkmcnt(0)
	v_sub_f32_e32 v15, v15, v12
	v_mul_f32_e32 v15, 0x3fb8aa3b, v15
	v_exp_f32_e32 v15, v15
	ds_write_b32 v13, v15
	v_add_f32_e32 v11, v11, v15
	v_add_u32_e32 v13, 0x200, v13
	s_andn2_b64 exec, exec, s[18:19]
	s_cbranch_execnz .LBB312_153
; %bb.154:
	s_or_b64 exec, exec, s[18:19]
.LBB312_155:
	s_or_b64 exec, exec, s[12:13]
	ds_bpermute_b32 v4, v4, v11
	s_waitcnt lgkmcnt(0)
	v_add_f32_e32 v4, v11, v4
	ds_bpermute_b32 v5, v5, v4
	s_waitcnt lgkmcnt(0)
	v_add_f32_e32 v4, v4, v5
	ds_bpermute_b32 v5, v8, v4
	v_xor_b32_e32 v8, 2, v2
	v_cmp_lt_i32_e64 s[10:11], v8, v3
	s_waitcnt lgkmcnt(0)
	v_add_f32_e32 v4, v4, v5
	ds_bpermute_b32 v5, v9, v4
	v_cndmask_b32_e64 v2, v2, v8, s[10:11]
	v_lshlrev_b32_e32 v2, 2, v2
	s_waitcnt lgkmcnt(0)
	v_add_f32_e32 v3, v4, v5
	ds_bpermute_b32 v2, v2, v3
	s_waitcnt lgkmcnt(0)
	v_add_f32_e32 v2, v3, v2
	ds_bpermute_b32 v3, v21, v2
	s_waitcnt lgkmcnt(0)
	v_add_f32_e32 v2, v2, v3
	s_and_saveexec_b64 s[10:11], vcc
	s_cbranch_execz .LBB312_157
; %bb.156:
	ds_write_b32 v6, v2 offset:264
.LBB312_157:
	s_or_b64 exec, exec, s[10:11]
	s_waitcnt lgkmcnt(0)
	s_barrier
	s_and_saveexec_b64 s[10:11], s[0:1]
	s_cbranch_execz .LBB312_159
; %bb.158:
	ds_read_b32 v2, v7 offset:264
.LBB312_159:
	s_or_b64 exec, exec, s[10:11]
	s_waitcnt lgkmcnt(0)
	ds_bpermute_b32 v3, v21, v2
	s_waitcnt lgkmcnt(0)
	v_add_f32_e32 v2, v2, v3
	ds_bpermute_b32 v2, v10, v2
	s_and_saveexec_b64 s[0:1], s[8:9]
	s_cbranch_execz .LBB312_172
; %bb.160:
	s_waitcnt lgkmcnt(0)
	v_add_f32_e32 v2, 0x358637bd, v2
	v_div_scale_f32 v3, s[8:9], v2, v2, 1.0
	v_rcp_f32_e32 v4, v3
	v_div_scale_f32 v5, vcc, 1.0, v2, 1.0
	s_movk_i32 s8, 0x7f
	v_fma_f32 v6, -v3, v4, 1.0
	v_fmac_f32_e32 v4, v6, v4
	v_mul_f32_e32 v6, v5, v4
	v_fma_f32 v7, -v3, v6, v5
	v_fmac_f32_e32 v6, v7, v4
	v_fma_f32 v3, -v3, v6, v5
	v_div_fmas_f32 v3, v3, v4, v6
	v_xad_u32 v4, v0, -1, s39
	v_div_fixup_f32 v2, v3, v2, 1.0
	v_cmp_lt_u32_e32 vcc, s8, v4
	s_mov_b64 s[10:11], -1
	v_mov_b32_e32 v3, v0
	s_and_saveexec_b64 s[8:9], vcc
	s_cbranch_execz .LBB312_169
; %bb.161:
	v_lshrrev_b32_e32 v4, 7, v4
	v_add_u32_e32 v6, -1, v4
	v_lshrrev_b32_e32 v5, 1, v6
	v_mov_b32_e32 v3, v2
	v_add_u32_e32 v5, 1, v5
	v_cmp_lt_u32_e32 vcc, 13, v6
	v_mov_b32_e32 v8, 0
	s_and_saveexec_b64 s[10:11], vcc
	s_cbranch_execz .LBB312_165
; %bb.162:
	v_mov_b32_e32 v7, 0x110
	v_and_b32_e32 v6, -8, v5
	v_lshl_add_u32 v7, v0, 2, v7
	s_mov_b32 s18, 0
	s_mov_b64 s[12:13], 0
.LBB312_163:                            ; =>This Inner Loop Header: Depth=1
	ds_read2st64_b32 v[8:9], v7 offset1:2
	ds_read2st64_b32 v[10:11], v7 offset0:4 offset1:6
	ds_read2st64_b32 v[12:13], v7 offset0:8 offset1:10
	;; [unrolled: 1-line block ×3, first 2 shown]
	v_add_u32_e32 v6, -8, v6
	s_waitcnt lgkmcnt(3)
	v_pk_mul_f32 v[8:9], v[2:3], v[8:9]
	s_waitcnt lgkmcnt(2)
	v_pk_mul_f32 v[10:11], v[2:3], v[10:11]
	ds_write2st64_b32 v7, v8, v9 offset1:2
	ds_write2st64_b32 v7, v10, v11 offset0:4 offset1:6
	ds_read2st64_b32 v[10:11], v7 offset0:16 offset1:18
	s_waitcnt lgkmcnt(4)
	v_pk_mul_f32 v[8:9], v[2:3], v[12:13]
	ds_write2st64_b32 v7, v8, v9 offset0:8 offset1:10
	s_waitcnt lgkmcnt(4)
	v_pk_mul_f32 v[8:9], v[2:3], v[14:15]
	ds_write2st64_b32 v7, v8, v9 offset0:12 offset1:14
	ds_read2st64_b32 v[8:9], v7 offset0:20 offset1:22
	s_waitcnt lgkmcnt(3)
	v_pk_mul_f32 v[10:11], v[2:3], v[10:11]
	ds_read2st64_b32 v[12:13], v7 offset0:24 offset1:26
	ds_write2st64_b32 v7, v10, v11 offset0:16 offset1:18
	ds_read2st64_b32 v[10:11], v7 offset0:28 offset1:30
	s_waitcnt lgkmcnt(3)
	v_pk_mul_f32 v[8:9], v[2:3], v[8:9]
	ds_write2st64_b32 v7, v8, v9 offset0:20 offset1:22
	s_waitcnt lgkmcnt(3)
	v_pk_mul_f32 v[8:9], v[2:3], v[12:13]
	ds_write2st64_b32 v7, v8, v9 offset0:24 offset1:26
	s_waitcnt lgkmcnt(2)
	v_pk_mul_f32 v[8:9], v[2:3], v[10:11]
	s_add_i32 s18, s18, 16
	v_cmp_eq_u32_e32 vcc, 0, v6
	ds_write2st64_b32 v7, v8, v9 offset0:28 offset1:30
	v_add_u32_e32 v7, 0x2000, v7
	s_or_b64 s[12:13], vcc, s[12:13]
	v_mov_b32_e32 v8, s18
	s_andn2_b64 exec, exec, s[12:13]
	s_cbranch_execnz .LBB312_163
; %bb.164:
	s_or_b64 exec, exec, s[12:13]
.LBB312_165:
	s_or_b64 exec, exec, s[10:11]
	v_and_b32_e32 v5, 7, v5
	v_cmp_ne_u32_e32 vcc, 0, v5
	s_and_saveexec_b64 s[10:11], vcc
	s_cbranch_execz .LBB312_168
; %bb.166:
	v_lshlrev_b32_e32 v6, 9, v8
	v_lshlrev_b32_e32 v7, 2, v0
	s_movk_i32 s12, 0x110
	v_add3_u32 v6, v6, v7, s12
	s_mov_b64 s[12:13], 0
.LBB312_167:                            ; =>This Inner Loop Header: Depth=1
	ds_read2st64_b32 v[8:9], v6 offset1:2
	v_add_u32_e32 v5, -1, v5
	v_cmp_eq_u32_e32 vcc, 0, v5
	s_or_b64 s[12:13], vcc, s[12:13]
	s_waitcnt lgkmcnt(0)
	v_pk_mul_f32 v[8:9], v[2:3], v[8:9]
	ds_write2st64_b32 v6, v8, v9 offset1:2
	v_add_u32_e32 v6, 0x400, v6
	s_andn2_b64 exec, exec, s[12:13]
	s_cbranch_execnz .LBB312_167
.LBB312_168:
	s_or_b64 exec, exec, s[10:11]
	v_add_u32_e32 v4, 1, v4
	v_and_b32_e32 v5, 0x3fffffe, v4
	v_cmp_ne_u32_e32 vcc, v4, v5
	v_lshl_add_u32 v3, v5, 7, v0
	s_orn2_b64 s[10:11], vcc, exec
.LBB312_169:
	s_or_b64 exec, exec, s[8:9]
	s_and_b64 exec, exec, s[10:11]
	s_cbranch_execz .LBB312_172
; %bb.170:
	v_mov_b32_e32 v4, 0x110
	v_lshl_add_u32 v4, v3, 2, v4
	s_mov_b64 s[8:9], 0
.LBB312_171:                            ; =>This Inner Loop Header: Depth=1
	ds_read_b32 v5, v4
	v_add_u32_e32 v3, 0x80, v3
	v_cmp_le_i32_e32 vcc, s39, v3
	s_or_b64 s[8:9], vcc, s[8:9]
	s_waitcnt lgkmcnt(0)
	v_mul_f32_e32 v5, v2, v5
	ds_write_b32 v4, v5
	v_add_u32_e32 v4, 0x200, v4
	s_andn2_b64 exec, exec, s[8:9]
	s_cbranch_execnz .LBB312_171
.LBB312_172:
	s_or_b64 exec, exec, s[0:1]
	s_mov_b32 s0, 0
	v_mov_b32_e32 v5, 0
	v_and_b32_e32 v22, 1, v0
	v_mov_b32_e32 v4, 0
	v_mov_b32_e32 v3, 0
	s_waitcnt lgkmcnt(0)
	v_mov_b32_e32 v2, 0
	s_barrier
	s_and_saveexec_b64 s[8:9], s[2:3]
	s_cbranch_execz .LBB312_474
; %bb.173:
	s_sub_i32 s18, s44, s21
	s_ashr_i32 s1, s45, 31
	s_add_u32 s2, s36, s45
	s_addc_u32 s3, s37, s1
	s_abs_i32 s19, s22
	v_cvt_f32_u32_e32 v2, s19
	v_lshlrev_b32_e32 v3, 3, v0
	v_mov_b32_e32 v15, 0
	v_and_b32_e32 v14, 0x1f8, v3
	v_rcp_iflag_f32_e32 v2, v2
	s_sub_i32 s1, 0, s19
	v_and_b32_e32 v23, 8, v3
	s_add_i32 s21, s20, -1
	v_mul_f32_e32 v2, 0x4f7ffffe, v2
	v_cvt_u32_f32_e32 v2, v2
	v_lshl_add_u64 v[16:17], s[2:3], 0, v[14:15]
	s_lshl_b64 s[2:3], s[34:35], 2
	s_add_u32 s2, s30, s2
	v_mul_lo_u32 v3, s1, v2
	v_mul_hi_u32 v3, v2, v3
	v_add_u32_e32 v24, v2, v3
	v_and_b32_e32 v14, 60, v27
	s_addc_u32 s3, s31, s3
	v_lshlrev_b32_e32 v2, 5, v22
	v_lshl_add_u64 v[18:19], s[2:3], 0, v[14:15]
	v_lshl_or_b32 v2, v1, 6, v2
	s_mov_b32 s2, s0
	s_mov_b32 s3, s0
	v_add_u32_e32 v14, 0x110, v2
	s_mov_b32 s1, s0
	v_mov_b64_e32 v[4:5], s[2:3]
	s_mov_b64 s[10:11], 0
	v_mov_b64_e32 v[2:3], s[0:1]
	s_mov_b32 s22, 0x7f800000
	s_movk_i32 s30, 0x7fff
	s_branch .LBB312_176
.LBB312_174:                            ;   in Loop: Header=BB312_176 Depth=1
	s_or_b64 exec, exec, s[0:1]
	v_and_b32_e32 v41, 0xffff0000, v13
	v_and_b32_e32 v40, 0xffff0000, v11
	;; [unrolled: 1-line block ×8, first 2 shown]
	v_pk_add_f32 v[10:11], v[10:11], v[40:41]
	v_pk_add_f32 v[12:13], v[38:39], v[36:37]
	v_add_f32_e32 v10, v10, v11
	v_add_f32_e32 v10, v10, v12
	v_add_f32_e32 v10, v10, v13
	v_and_b32_e32 v37, 0xffff0000, v49
	v_and_b32_e32 v36, 0xffff0000, v47
	v_and_b32_e32 v39, 0xffff0000, v48
	v_and_b32_e32 v38, 0xffff0000, v46
	v_add_f32_e32 v2, v2, v10
	v_and_b32_e32 v11, 0xffff0000, v53
	v_and_b32_e32 v10, 0xffff0000, v51
	v_and_b32_e32 v13, 0xffff0000, v52
	v_and_b32_e32 v12, 0xffff0000, v50
	v_pk_add_f32 v[36:37], v[38:39], v[36:37]
	v_pk_add_f32 v[10:11], v[12:13], v[10:11]
	v_add_f32_e32 v12, v36, v37
	v_add_f32_e32 v10, v12, v10
	v_add_f32_e32 v10, v10, v11
	v_and_b32_e32 v37, 0xffff0000, v55
	v_and_b32_e32 v36, 0xffff0000, v9
	v_and_b32_e32 v9, 0xffff0000, v54
	v_and_b32_e32 v8, 0xffff0000, v8
	v_add_f32_e32 v3, v3, v10
	v_and_b32_e32 v11, 0xffff0000, v59
	v_and_b32_e32 v10, 0xffff0000, v57
	v_and_b32_e32 v13, 0xffff0000, v58
	v_and_b32_e32 v12, 0xffff0000, v56
	;; [unrolled: 14-line block ×3, first 2 shown]
	v_pk_add_f32 v[6:7], v[6:7], v[12:13]
	v_pk_add_f32 v[8:9], v[10:11], v[8:9]
	v_add_f32_e32 v6, v6, v7
	v_add_f32_e32 v6, v6, v8
	;; [unrolled: 1-line block ×4, first 2 shown]
.LBB312_175:                            ;   in Loop: Header=BB312_176 Depth=1
	s_or_b64 exec, exec, s[2:3]
	v_add_u32_e32 v1, 2, v1
	v_cmp_le_i32_e32 vcc, s20, v1
	v_lshl_add_u64 v[18:19], v[18:19], 0, 8
	v_add_u32_e32 v26, 32, v26
	s_or_b64 s[10:11], vcc, s[10:11]
	v_add_u32_e32 v14, 0x80, v14
	s_andn2_b64 exec, exec, s[10:11]
	s_cbranch_execz .LBB312_473
.LBB312_176:                            ; =>This Inner Loop Header: Depth=1
	v_mul_hi_u32 v6, v26, s33
	v_mul_lo_u32 v7, v6, s27
	v_sub_u32_e32 v7, v26, v7
	v_add_u32_e32 v8, 1, v6
	v_cmp_le_u32_e32 vcc, s27, v7
	s_nop 1
	v_cndmask_b32_e32 v6, v6, v8, vcc
	v_subrev_u32_e32 v8, s27, v7
	v_cndmask_b32_e32 v7, v7, v8, vcc
	v_add_u32_e32 v8, 1, v6
	v_cmp_le_u32_e32 vcc, s27, v7
	s_nop 1
	v_cndmask_b32_e32 v6, v6, v8, vcc
	v_xor_b32_e32 v6, s23, v6
	v_subrev_u32_e32 v6, s23, v6
	v_add_u32_e32 v7, s38, v6
	v_sub_u32_e32 v9, 0, v7
	v_ashrrev_i32_e32 v8, 31, v7
	v_max_i32_e32 v7, v7, v9
	v_mul_hi_u32 v9, v7, v24
	v_mul_lo_u32 v9, v9, s19
	v_sub_u32_e32 v7, v7, v9
	v_subrev_u32_e32 v9, s19, v7
	v_cmp_le_u32_e32 vcc, s19, v7
	v_cmp_lt_i32_e64 s[0:1], s18, v6
	s_nop 0
	v_cndmask_b32_e32 v7, v7, v9, vcc
	v_subrev_u32_e32 v9, s19, v7
	v_cmp_le_u32_e32 vcc, s19, v7
	s_nop 1
	v_cndmask_b32_e32 v7, v7, v9, vcc
	v_xor_b32_e32 v7, v7, v8
	v_sub_u32_e32 v7, v7, v8
	v_cmp_eq_u32_e32 vcc, 0, v7
	s_or_b64 s[0:1], vcc, s[0:1]
	s_and_saveexec_b64 s[2:3], s[0:1]
	s_cbranch_execz .LBB312_175
; %bb.177:                              ;   in Loop: Header=BB312_176 Depth=1
	global_load_dword v29, v[18:19], off
	ds_read2_b64 v[10:13], v14 offset1:1
	ds_read2_b64 v[6:9], v14 offset0:2 offset1:3
                                        ; implicit-def: $vgpr38
	s_waitcnt lgkmcnt(1)
	v_and_b32_e32 v25, 0x7f800000, v10
	v_cmp_ne_u32_e32 vcc, s22, v25
	s_and_saveexec_b64 s[0:1], vcc
	s_xor_b64 s[0:1], exec, s[0:1]
; %bb.178:                              ;   in Loop: Header=BB312_176 Depth=1
	v_bfe_u32 v25, v10, 16, 1
	v_add3_u32 v38, v10, v25, s30
; %bb.179:                              ;   in Loop: Header=BB312_176 Depth=1
	s_andn2_saveexec_b64 s[0:1], s[0:1]
; %bb.180:                              ;   in Loop: Header=BB312_176 Depth=1
	v_or_b32_e32 v25, 0x10000, v10
	v_cmp_eq_u32_sdwa vcc, v10, v15 src0_sel:WORD_0 src1_sel:DWORD
	s_nop 1
	v_cndmask_b32_e32 v38, v25, v10, vcc
; %bb.181:                              ;   in Loop: Header=BB312_176 Depth=1
	s_or_b64 exec, exec, s[0:1]
	v_and_b32_e32 v10, 0x7f800000, v11
	v_cmp_ne_u32_e32 vcc, s22, v10
                                        ; implicit-def: $vgpr39
	s_and_saveexec_b64 s[0:1], vcc
	s_xor_b64 s[0:1], exec, s[0:1]
; %bb.182:                              ;   in Loop: Header=BB312_176 Depth=1
	v_bfe_u32 v10, v11, 16, 1
	v_add3_u32 v39, v11, v10, s30
; %bb.183:                              ;   in Loop: Header=BB312_176 Depth=1
	s_andn2_saveexec_b64 s[0:1], s[0:1]
; %bb.184:                              ;   in Loop: Header=BB312_176 Depth=1
	v_or_b32_e32 v10, 0x10000, v11
	v_cmp_eq_u32_sdwa vcc, v11, v15 src0_sel:WORD_0 src1_sel:DWORD
	s_nop 1
	v_cndmask_b32_e32 v39, v10, v11, vcc
; %bb.185:                              ;   in Loop: Header=BB312_176 Depth=1
	s_or_b64 exec, exec, s[0:1]
	v_and_b32_e32 v10, 0x7f800000, v12
	v_cmp_ne_u32_e32 vcc, s22, v10
                                        ; implicit-def: $vgpr40
	s_and_saveexec_b64 s[0:1], vcc
	s_xor_b64 s[0:1], exec, s[0:1]
; %bb.186:                              ;   in Loop: Header=BB312_176 Depth=1
	v_bfe_u32 v10, v12, 16, 1
	v_add3_u32 v40, v12, v10, s30
; %bb.187:                              ;   in Loop: Header=BB312_176 Depth=1
	s_andn2_saveexec_b64 s[0:1], s[0:1]
; %bb.188:                              ;   in Loop: Header=BB312_176 Depth=1
	v_or_b32_e32 v10, 0x10000, v12
	v_cmp_eq_u32_sdwa vcc, v12, v15 src0_sel:WORD_0 src1_sel:DWORD
	s_nop 1
	v_cndmask_b32_e32 v40, v10, v12, vcc
; %bb.189:                              ;   in Loop: Header=BB312_176 Depth=1
	s_or_b64 exec, exec, s[0:1]
	v_and_b32_e32 v10, 0x7f800000, v13
	v_cmp_ne_u32_e32 vcc, s22, v10
                                        ; implicit-def: $vgpr41
	s_and_saveexec_b64 s[0:1], vcc
	s_xor_b64 s[0:1], exec, s[0:1]
; %bb.190:                              ;   in Loop: Header=BB312_176 Depth=1
	v_bfe_u32 v10, v13, 16, 1
	v_add3_u32 v41, v13, v10, s30
                                        ; implicit-def: $vgpr10_vgpr11_vgpr12_vgpr13
; %bb.191:                              ;   in Loop: Header=BB312_176 Depth=1
	s_andn2_saveexec_b64 s[0:1], s[0:1]
; %bb.192:                              ;   in Loop: Header=BB312_176 Depth=1
	v_or_b32_e32 v10, 0x10000, v13
	v_cmp_eq_u32_sdwa vcc, v13, v15 src0_sel:WORD_0 src1_sel:DWORD
	s_nop 1
	v_cndmask_b32_e32 v41, v10, v13, vcc
; %bb.193:                              ;   in Loop: Header=BB312_176 Depth=1
	s_or_b64 exec, exec, s[0:1]
	s_waitcnt lgkmcnt(0)
	v_and_b32_e32 v10, 0x7f800000, v6
	v_cmp_ne_u32_e32 vcc, s22, v10
                                        ; implicit-def: $vgpr25
	s_and_saveexec_b64 s[0:1], vcc
	s_xor_b64 s[0:1], exec, s[0:1]
; %bb.194:                              ;   in Loop: Header=BB312_176 Depth=1
	v_bfe_u32 v10, v6, 16, 1
	v_add3_u32 v25, v6, v10, s30
; %bb.195:                              ;   in Loop: Header=BB312_176 Depth=1
	s_andn2_saveexec_b64 s[0:1], s[0:1]
; %bb.196:                              ;   in Loop: Header=BB312_176 Depth=1
	v_or_b32_e32 v10, 0x10000, v6
	v_cmp_eq_u32_sdwa vcc, v6, v15 src0_sel:WORD_0 src1_sel:DWORD
	s_nop 1
	v_cndmask_b32_e32 v25, v10, v6, vcc
; %bb.197:                              ;   in Loop: Header=BB312_176 Depth=1
	s_or_b64 exec, exec, s[0:1]
	v_and_b32_e32 v6, 0x7f800000, v7
	v_cmp_ne_u32_e32 vcc, s22, v6
                                        ; implicit-def: $vgpr27
	s_and_saveexec_b64 s[0:1], vcc
	s_xor_b64 s[0:1], exec, s[0:1]
; %bb.198:                              ;   in Loop: Header=BB312_176 Depth=1
	v_bfe_u32 v6, v7, 16, 1
	v_add3_u32 v27, v7, v6, s30
; %bb.199:                              ;   in Loop: Header=BB312_176 Depth=1
	s_andn2_saveexec_b64 s[0:1], s[0:1]
; %bb.200:                              ;   in Loop: Header=BB312_176 Depth=1
	v_or_b32_e32 v6, 0x10000, v7
	v_cmp_eq_u32_sdwa vcc, v7, v15 src0_sel:WORD_0 src1_sel:DWORD
	s_nop 1
	v_cndmask_b32_e32 v27, v6, v7, vcc
; %bb.201:                              ;   in Loop: Header=BB312_176 Depth=1
	s_or_b64 exec, exec, s[0:1]
	v_and_b32_e32 v6, 0x7f800000, v8
	v_cmp_ne_u32_e32 vcc, s22, v6
                                        ; implicit-def: $vgpr28
	s_and_saveexec_b64 s[0:1], vcc
	s_xor_b64 s[0:1], exec, s[0:1]
; %bb.202:                              ;   in Loop: Header=BB312_176 Depth=1
	v_bfe_u32 v6, v8, 16, 1
	v_add3_u32 v28, v8, v6, s30
; %bb.203:                              ;   in Loop: Header=BB312_176 Depth=1
	s_andn2_saveexec_b64 s[0:1], s[0:1]
; %bb.204:                              ;   in Loop: Header=BB312_176 Depth=1
	v_or_b32_e32 v6, 0x10000, v8
	v_cmp_eq_u32_sdwa vcc, v8, v15 src0_sel:WORD_0 src1_sel:DWORD
	s_nop 1
	v_cndmask_b32_e32 v28, v6, v8, vcc
; %bb.205:                              ;   in Loop: Header=BB312_176 Depth=1
	s_or_b64 exec, exec, s[0:1]
	v_and_b32_e32 v6, 0x7f800000, v9
	v_cmp_ne_u32_e32 vcc, s22, v6
                                        ; implicit-def: $vgpr37
	s_and_saveexec_b64 s[0:1], vcc
	s_xor_b64 s[0:1], exec, s[0:1]
; %bb.206:                              ;   in Loop: Header=BB312_176 Depth=1
	v_bfe_u32 v6, v9, 16, 1
	v_add3_u32 v37, v9, v6, s30
                                        ; implicit-def: $vgpr6_vgpr7_vgpr8_vgpr9
; %bb.207:                              ;   in Loop: Header=BB312_176 Depth=1
	s_andn2_saveexec_b64 s[0:1], s[0:1]
; %bb.208:                              ;   in Loop: Header=BB312_176 Depth=1
	v_or_b32_e32 v6, 0x10000, v9
	v_cmp_eq_u32_sdwa vcc, v9, v15 src0_sel:WORD_0 src1_sel:DWORD
	s_nop 1
	v_cndmask_b32_e32 v37, v6, v9, vcc
; %bb.209:                              ;   in Loop: Header=BB312_176 Depth=1
	s_or_b64 exec, exec, s[0:1]
	s_waitcnt vmcnt(0)
	v_mad_i64_i32 v[6:7], s[0:1], v29, s17, v[16:17]
	global_load_dwordx2 v[8:9], v[6:7], off
	s_load_dword s31, s[14:15], 0x0
	s_waitcnt vmcnt(0)
	v_and_b32_e32 v10, 0xff, v8
	v_cvt_f32_fp8_sdwa v10, v10 src0_sel:BYTE_0
	s_waitcnt lgkmcnt(0)
	v_mul_f32_e32 v11, s31, v10
	v_and_b32_e32 v10, 0x7f800000, v11
	v_cmp_ne_u32_e32 vcc, s22, v10
                                        ; implicit-def: $vgpr10
	s_and_saveexec_b64 s[0:1], vcc
	s_xor_b64 s[0:1], exec, s[0:1]
; %bb.210:                              ;   in Loop: Header=BB312_176 Depth=1
	v_bfe_u32 v10, v11, 16, 1
	v_add3_u32 v10, v11, v10, s30
                                        ; implicit-def: $vgpr11
; %bb.211:                              ;   in Loop: Header=BB312_176 Depth=1
	s_andn2_saveexec_b64 s[0:1], s[0:1]
; %bb.212:                              ;   in Loop: Header=BB312_176 Depth=1
	v_or_b32_e32 v10, 0x10000, v11
	v_cmp_eq_u32_sdwa vcc, v11, v15 src0_sel:WORD_0 src1_sel:DWORD
	s_nop 1
	v_cndmask_b32_e32 v10, v10, v11, vcc
; %bb.213:                              ;   in Loop: Header=BB312_176 Depth=1
	s_or_b64 exec, exec, s[0:1]
	v_bfe_u32 v11, v8, 8, 8
	v_cvt_f32_fp8_sdwa v11, v11 src0_sel:BYTE_0
	s_nop 0
	v_mul_f32_e32 v12, s31, v11
	v_and_b32_e32 v11, 0x7f800000, v12
	v_cmp_ne_u32_e32 vcc, s22, v11
                                        ; implicit-def: $vgpr11
	s_and_saveexec_b64 s[0:1], vcc
	s_xor_b64 s[0:1], exec, s[0:1]
; %bb.214:                              ;   in Loop: Header=BB312_176 Depth=1
	v_bfe_u32 v11, v12, 16, 1
	v_add3_u32 v11, v12, v11, s30
                                        ; implicit-def: $vgpr12
; %bb.215:                              ;   in Loop: Header=BB312_176 Depth=1
	s_andn2_saveexec_b64 s[0:1], s[0:1]
; %bb.216:                              ;   in Loop: Header=BB312_176 Depth=1
	v_or_b32_e32 v11, 0x10000, v12
	v_cmp_eq_u32_sdwa vcc, v12, v15 src0_sel:WORD_0 src1_sel:DWORD
	s_nop 1
	v_cndmask_b32_e32 v11, v11, v12, vcc
; %bb.217:                              ;   in Loop: Header=BB312_176 Depth=1
	s_or_b64 exec, exec, s[0:1]
	v_bfe_u32 v12, v8, 16, 8
	v_cvt_f32_fp8_sdwa v12, v12 src0_sel:BYTE_0
	s_nop 0
	v_mul_f32_e32 v13, s31, v12
	v_and_b32_e32 v12, 0x7f800000, v13
	v_cmp_ne_u32_e32 vcc, s22, v12
                                        ; implicit-def: $vgpr12
	s_and_saveexec_b64 s[0:1], vcc
	s_xor_b64 s[0:1], exec, s[0:1]
; %bb.218:                              ;   in Loop: Header=BB312_176 Depth=1
	v_bfe_u32 v12, v13, 16, 1
	v_add3_u32 v12, v13, v12, s30
                                        ; implicit-def: $vgpr13
; %bb.219:                              ;   in Loop: Header=BB312_176 Depth=1
	s_andn2_saveexec_b64 s[0:1], s[0:1]
; %bb.220:                              ;   in Loop: Header=BB312_176 Depth=1
	v_or_b32_e32 v12, 0x10000, v13
	v_cmp_eq_u32_sdwa vcc, v13, v15 src0_sel:WORD_0 src1_sel:DWORD
	s_nop 1
	v_cndmask_b32_e32 v12, v12, v13, vcc
; %bb.221:                              ;   in Loop: Header=BB312_176 Depth=1
	s_or_b64 exec, exec, s[0:1]
	v_lshrrev_b32_e32 v8, 24, v8
	v_cvt_f32_fp8_sdwa v8, v8 src0_sel:BYTE_0
	s_nop 0
	v_mul_f32_e32 v13, s31, v8
	v_and_b32_e32 v8, 0x7f800000, v13
	v_cmp_ne_u32_e32 vcc, s22, v8
                                        ; implicit-def: $vgpr8
	s_and_saveexec_b64 s[0:1], vcc
	s_xor_b64 s[0:1], exec, s[0:1]
; %bb.222:                              ;   in Loop: Header=BB312_176 Depth=1
	v_bfe_u32 v8, v13, 16, 1
	v_add3_u32 v8, v13, v8, s30
                                        ; implicit-def: $vgpr13
; %bb.223:                              ;   in Loop: Header=BB312_176 Depth=1
	s_andn2_saveexec_b64 s[0:1], s[0:1]
; %bb.224:                              ;   in Loop: Header=BB312_176 Depth=1
	v_or_b32_e32 v8, 0x10000, v13
	v_cmp_eq_u32_sdwa vcc, v13, v15 src0_sel:WORD_0 src1_sel:DWORD
	s_nop 1
	v_cndmask_b32_e32 v8, v8, v13, vcc
; %bb.225:                              ;   in Loop: Header=BB312_176 Depth=1
	s_or_b64 exec, exec, s[0:1]
	v_and_b32_e32 v13, 0xff, v9
	v_cvt_f32_fp8_sdwa v13, v13 src0_sel:BYTE_0
	s_nop 0
	v_mul_f32_e32 v29, s31, v13
	v_and_b32_e32 v13, 0x7f800000, v29
	v_cmp_ne_u32_e32 vcc, s22, v13
                                        ; implicit-def: $vgpr13
	s_and_saveexec_b64 s[0:1], vcc
	s_xor_b64 s[0:1], exec, s[0:1]
; %bb.226:                              ;   in Loop: Header=BB312_176 Depth=1
	v_bfe_u32 v13, v29, 16, 1
	v_add3_u32 v13, v29, v13, s30
                                        ; implicit-def: $vgpr29
; %bb.227:                              ;   in Loop: Header=BB312_176 Depth=1
	s_andn2_saveexec_b64 s[0:1], s[0:1]
; %bb.228:                              ;   in Loop: Header=BB312_176 Depth=1
	v_or_b32_e32 v13, 0x10000, v29
	v_cmp_eq_u32_sdwa vcc, v29, v15 src0_sel:WORD_0 src1_sel:DWORD
	s_nop 1
	v_cndmask_b32_e32 v13, v13, v29, vcc
; %bb.229:                              ;   in Loop: Header=BB312_176 Depth=1
	s_or_b64 exec, exec, s[0:1]
	v_bfe_u32 v29, v9, 8, 8
	v_cvt_f32_fp8_sdwa v29, v29 src0_sel:BYTE_0
	s_nop 0
	v_mul_f32_e32 v29, s31, v29
	v_and_b32_e32 v30, 0x7f800000, v29
	v_cmp_ne_u32_e32 vcc, s22, v30
                                        ; implicit-def: $vgpr30
	s_and_saveexec_b64 s[0:1], vcc
	s_xor_b64 s[0:1], exec, s[0:1]
; %bb.230:                              ;   in Loop: Header=BB312_176 Depth=1
	v_bfe_u32 v30, v29, 16, 1
	v_add3_u32 v30, v29, v30, s30
                                        ; implicit-def: $vgpr29
; %bb.231:                              ;   in Loop: Header=BB312_176 Depth=1
	s_andn2_saveexec_b64 s[0:1], s[0:1]
; %bb.232:                              ;   in Loop: Header=BB312_176 Depth=1
	v_or_b32_e32 v30, 0x10000, v29
	v_cmp_eq_u32_sdwa vcc, v29, v15 src0_sel:WORD_0 src1_sel:DWORD
	s_nop 1
	v_cndmask_b32_e32 v30, v30, v29, vcc
; %bb.233:                              ;   in Loop: Header=BB312_176 Depth=1
	s_or_b64 exec, exec, s[0:1]
	v_bfe_u32 v29, v9, 16, 8
	v_cvt_f32_fp8_sdwa v29, v29 src0_sel:BYTE_0
	s_nop 0
	v_mul_f32_e32 v29, s31, v29
	v_and_b32_e32 v31, 0x7f800000, v29
	v_cmp_ne_u32_e32 vcc, s22, v31
                                        ; implicit-def: $vgpr31
	s_and_saveexec_b64 s[0:1], vcc
	s_xor_b64 s[0:1], exec, s[0:1]
; %bb.234:                              ;   in Loop: Header=BB312_176 Depth=1
	v_bfe_u32 v31, v29, 16, 1
	v_add3_u32 v31, v29, v31, s30
                                        ; implicit-def: $vgpr29
; %bb.235:                              ;   in Loop: Header=BB312_176 Depth=1
	s_andn2_saveexec_b64 s[0:1], s[0:1]
; %bb.236:                              ;   in Loop: Header=BB312_176 Depth=1
	v_or_b32_e32 v31, 0x10000, v29
	v_cmp_eq_u32_sdwa vcc, v29, v15 src0_sel:WORD_0 src1_sel:DWORD
	s_nop 1
	v_cndmask_b32_e32 v31, v31, v29, vcc
; %bb.237:                              ;   in Loop: Header=BB312_176 Depth=1
	s_or_b64 exec, exec, s[0:1]
	v_lshrrev_b32_e32 v9, 24, v9
	v_cvt_f32_fp8_sdwa v9, v9 src0_sel:BYTE_0
                                        ; implicit-def: $vgpr32
	s_nop 0
	v_mul_f32_e32 v9, s31, v9
	v_and_b32_e32 v29, 0x7f800000, v9
	v_cmp_ne_u32_e32 vcc, s22, v29
	s_and_saveexec_b64 s[0:1], vcc
	s_xor_b64 s[0:1], exec, s[0:1]
; %bb.238:                              ;   in Loop: Header=BB312_176 Depth=1
	v_bfe_u32 v29, v9, 16, 1
	v_add3_u32 v32, v9, v29, s30
                                        ; implicit-def: $vgpr9
; %bb.239:                              ;   in Loop: Header=BB312_176 Depth=1
	s_andn2_saveexec_b64 s[0:1], s[0:1]
; %bb.240:                              ;   in Loop: Header=BB312_176 Depth=1
	v_or_b32_e32 v29, 0x10000, v9
	v_cmp_eq_u32_sdwa vcc, v9, v15 src0_sel:WORD_0 src1_sel:DWORD
	s_nop 1
	v_cndmask_b32_e32 v32, v29, v9, vcc
; %bb.241:                              ;   in Loop: Header=BB312_176 Depth=1
	s_or_b64 exec, exec, s[0:1]
	v_add_u32_e32 v29, v23, v26
	v_cmp_eq_u32_e32 vcc, s21, v1
	v_lshrrev_b32_e32 v44, 16, v30
	v_lshrrev_b32_e32 v43, 16, v13
	;; [unrolled: 1-line block ×8, first 2 shown]
	v_add_u32_e32 v36, 1, v29
	v_add_u32_e32 v35, 2, v29
	;; [unrolled: 1-line block ×7, first 2 shown]
	s_and_saveexec_b64 s[12:13], vcc
	s_cbranch_execz .LBB312_243
; %bb.242:                              ;   in Loop: Header=BB312_176 Depth=1
	v_cmp_gt_i32_e64 s[0:1], s25, v29
	s_nop 1
	v_cndmask_b32_e64 v10, 0, v10, s[0:1]
	v_cmp_gt_i32_e64 s[0:1], s25, v36
	s_nop 1
	v_cndmask_b32_e64 v11, 0, v11, s[0:1]
	;; [unrolled: 3-line block ×8, first 2 shown]
.LBB312_243:                            ;   in Loop: Header=BB312_176 Depth=1
	s_or_b64 exec, exec, s[12:13]
	v_and_b32_e32 v38, 0xffff0000, v38
	v_lshlrev_b32_e32 v10, 16, v10
	v_mul_f32_e32 v42, v38, v10
	v_and_b32_e32 v10, 0x7f800000, v42
	v_cmp_ne_u32_e64 s[0:1], s22, v10
                                        ; implicit-def: $vgpr10
	s_and_saveexec_b64 s[12:13], s[0:1]
	s_xor_b64 s[0:1], exec, s[12:13]
; %bb.244:                              ;   in Loop: Header=BB312_176 Depth=1
	v_bfe_u32 v10, v42, 16, 1
	v_add3_u32 v10, v42, v10, s30
                                        ; implicit-def: $vgpr42
; %bb.245:                              ;   in Loop: Header=BB312_176 Depth=1
	s_andn2_saveexec_b64 s[12:13], s[0:1]
; %bb.246:                              ;   in Loop: Header=BB312_176 Depth=1
	v_or_b32_e32 v10, 0x10000, v42
	v_cmp_eq_u32_sdwa s[0:1], v42, v15 src0_sel:WORD_0 src1_sel:DWORD
	s_nop 1
	v_cndmask_b32_e64 v10, v10, v42, s[0:1]
; %bb.247:                              ;   in Loop: Header=BB312_176 Depth=1
	s_or_b64 exec, exec, s[12:13]
	v_and_b32_e32 v39, 0xffff0000, v39
	v_lshlrev_b32_e32 v11, 16, v11
	v_mul_f32_e32 v42, v39, v11
	v_and_b32_e32 v11, 0x7f800000, v42
	v_cmp_ne_u32_e64 s[0:1], s22, v11
                                        ; implicit-def: $vgpr11
	s_and_saveexec_b64 s[12:13], s[0:1]
	s_xor_b64 s[0:1], exec, s[12:13]
; %bb.248:                              ;   in Loop: Header=BB312_176 Depth=1
	v_bfe_u32 v11, v42, 16, 1
	v_add3_u32 v11, v42, v11, s30
                                        ; implicit-def: $vgpr42
; %bb.249:                              ;   in Loop: Header=BB312_176 Depth=1
	s_andn2_saveexec_b64 s[12:13], s[0:1]
; %bb.250:                              ;   in Loop: Header=BB312_176 Depth=1
	v_or_b32_e32 v11, 0x10000, v42
	v_cmp_eq_u32_sdwa s[0:1], v42, v15 src0_sel:WORD_0 src1_sel:DWORD
	s_nop 1
	v_cndmask_b32_e64 v11, v11, v42, s[0:1]
; %bb.251:                              ;   in Loop: Header=BB312_176 Depth=1
	s_or_b64 exec, exec, s[12:13]
	v_and_b32_e32 v40, 0xffff0000, v40
	v_lshlrev_b32_e32 v12, 16, v12
	v_mul_f32_e32 v42, v40, v12
	v_and_b32_e32 v12, 0x7f800000, v42
	v_cmp_ne_u32_e64 s[0:1], s22, v12
                                        ; implicit-def: $vgpr12
	s_and_saveexec_b64 s[12:13], s[0:1]
	s_xor_b64 s[0:1], exec, s[12:13]
; %bb.252:                              ;   in Loop: Header=BB312_176 Depth=1
	v_bfe_u32 v12, v42, 16, 1
	v_add3_u32 v12, v42, v12, s30
                                        ; implicit-def: $vgpr42
; %bb.253:                              ;   in Loop: Header=BB312_176 Depth=1
	s_andn2_saveexec_b64 s[12:13], s[0:1]
; %bb.254:                              ;   in Loop: Header=BB312_176 Depth=1
	v_or_b32_e32 v12, 0x10000, v42
	v_cmp_eq_u32_sdwa s[0:1], v42, v15 src0_sel:WORD_0 src1_sel:DWORD
	s_nop 1
	v_cndmask_b32_e64 v12, v12, v42, s[0:1]
; %bb.255:                              ;   in Loop: Header=BB312_176 Depth=1
	s_or_b64 exec, exec, s[12:13]
	v_and_b32_e32 v41, 0xffff0000, v41
	v_lshlrev_b32_e32 v13, 16, v13
	v_mul_f32_e32 v42, v41, v13
	v_and_b32_e32 v13, 0x7f800000, v42
	v_cmp_ne_u32_e64 s[0:1], s22, v13
                                        ; implicit-def: $vgpr13
	s_and_saveexec_b64 s[12:13], s[0:1]
	s_xor_b64 s[0:1], exec, s[12:13]
; %bb.256:                              ;   in Loop: Header=BB312_176 Depth=1
	v_bfe_u32 v13, v42, 16, 1
	v_add3_u32 v13, v42, v13, s30
                                        ; implicit-def: $vgpr42
; %bb.257:                              ;   in Loop: Header=BB312_176 Depth=1
	s_andn2_saveexec_b64 s[12:13], s[0:1]
; %bb.258:                              ;   in Loop: Header=BB312_176 Depth=1
	v_or_b32_e32 v13, 0x10000, v42
	v_cmp_eq_u32_sdwa s[0:1], v42, v15 src0_sel:WORD_0 src1_sel:DWORD
	s_nop 1
	v_cndmask_b32_e64 v13, v13, v42, s[0:1]
; %bb.259:                              ;   in Loop: Header=BB312_176 Depth=1
	s_or_b64 exec, exec, s[12:13]
	v_and_b32_e32 v42, 0xffff0000, v25
	v_lshlrev_b32_e32 v25, 16, v43
	v_mul_f32_e32 v43, v42, v25
	v_and_b32_e32 v25, 0x7f800000, v43
	v_cmp_ne_u32_e64 s[0:1], s22, v25
                                        ; implicit-def: $vgpr25
	s_and_saveexec_b64 s[12:13], s[0:1]
	s_xor_b64 s[0:1], exec, s[12:13]
; %bb.260:                              ;   in Loop: Header=BB312_176 Depth=1
	v_bfe_u32 v25, v43, 16, 1
	v_add3_u32 v25, v43, v25, s30
                                        ; implicit-def: $vgpr43
; %bb.261:                              ;   in Loop: Header=BB312_176 Depth=1
	s_andn2_saveexec_b64 s[12:13], s[0:1]
; %bb.262:                              ;   in Loop: Header=BB312_176 Depth=1
	v_or_b32_e32 v25, 0x10000, v43
	v_cmp_eq_u32_sdwa s[0:1], v43, v15 src0_sel:WORD_0 src1_sel:DWORD
	s_nop 1
	v_cndmask_b32_e64 v25, v25, v43, s[0:1]
; %bb.263:                              ;   in Loop: Header=BB312_176 Depth=1
	s_or_b64 exec, exec, s[12:13]
	v_and_b32_e32 v43, 0xffff0000, v27
	v_lshlrev_b32_e32 v27, 16, v44
	v_mul_f32_e32 v44, v43, v27
	v_and_b32_e32 v27, 0x7f800000, v44
	v_cmp_ne_u32_e64 s[0:1], s22, v27
                                        ; implicit-def: $vgpr27
	s_and_saveexec_b64 s[12:13], s[0:1]
	s_xor_b64 s[0:1], exec, s[12:13]
; %bb.264:                              ;   in Loop: Header=BB312_176 Depth=1
	v_bfe_u32 v27, v44, 16, 1
	v_add3_u32 v27, v44, v27, s30
                                        ; implicit-def: $vgpr44
; %bb.265:                              ;   in Loop: Header=BB312_176 Depth=1
	s_andn2_saveexec_b64 s[12:13], s[0:1]
; %bb.266:                              ;   in Loop: Header=BB312_176 Depth=1
	v_or_b32_e32 v27, 0x10000, v44
	v_cmp_eq_u32_sdwa s[0:1], v44, v15 src0_sel:WORD_0 src1_sel:DWORD
	s_nop 1
	v_cndmask_b32_e64 v27, v27, v44, s[0:1]
; %bb.267:                              ;   in Loop: Header=BB312_176 Depth=1
	s_or_b64 exec, exec, s[12:13]
	v_and_b32_e32 v44, 0xffff0000, v28
	v_lshlrev_b32_e32 v9, 16, v9
	v_mul_f32_e32 v9, v44, v9
	v_and_b32_e32 v28, 0x7f800000, v9
	v_cmp_ne_u32_e64 s[0:1], s22, v28
                                        ; implicit-def: $vgpr28
	s_and_saveexec_b64 s[12:13], s[0:1]
	s_xor_b64 s[0:1], exec, s[12:13]
; %bb.268:                              ;   in Loop: Header=BB312_176 Depth=1
	v_bfe_u32 v28, v9, 16, 1
	v_add3_u32 v28, v9, v28, s30
                                        ; implicit-def: $vgpr9
; %bb.269:                              ;   in Loop: Header=BB312_176 Depth=1
	s_andn2_saveexec_b64 s[12:13], s[0:1]
; %bb.270:                              ;   in Loop: Header=BB312_176 Depth=1
	v_or_b32_e32 v28, 0x10000, v9
	v_cmp_eq_u32_sdwa s[0:1], v9, v15 src0_sel:WORD_0 src1_sel:DWORD
	s_nop 1
	v_cndmask_b32_e64 v28, v28, v9, s[0:1]
; %bb.271:                              ;   in Loop: Header=BB312_176 Depth=1
	s_or_b64 exec, exec, s[12:13]
	v_and_b32_e32 v45, 0xffff0000, v37
	v_lshlrev_b32_e32 v8, 16, v8
	v_mul_f32_e32 v8, v45, v8
	v_and_b32_e32 v9, 0x7f800000, v8
	v_cmp_ne_u32_e64 s[0:1], s22, v9
                                        ; implicit-def: $vgpr37
	s_and_saveexec_b64 s[12:13], s[0:1]
	s_xor_b64 s[0:1], exec, s[12:13]
; %bb.272:                              ;   in Loop: Header=BB312_176 Depth=1
	v_bfe_u32 v9, v8, 16, 1
	v_add3_u32 v37, v8, v9, s30
                                        ; implicit-def: $vgpr8
; %bb.273:                              ;   in Loop: Header=BB312_176 Depth=1
	s_andn2_saveexec_b64 s[12:13], s[0:1]
; %bb.274:                              ;   in Loop: Header=BB312_176 Depth=1
	v_or_b32_e32 v9, 0x10000, v8
	v_cmp_eq_u32_sdwa s[0:1], v8, v15 src0_sel:WORD_0 src1_sel:DWORD
	s_nop 1
	v_cndmask_b32_e64 v37, v9, v8, s[0:1]
; %bb.275:                              ;   in Loop: Header=BB312_176 Depth=1
	s_or_b64 exec, exec, s[12:13]
	global_load_dwordx2 v[8:9], v[6:7], off offset:512
	s_waitcnt vmcnt(0)
	v_and_b32_e32 v46, 0xff, v8
	v_cvt_f32_fp8_sdwa v46, v46 src0_sel:BYTE_0
	s_nop 0
	v_mul_f32_e32 v47, s31, v46
	v_and_b32_e32 v46, 0x7f800000, v47
	v_cmp_ne_u32_e64 s[0:1], s22, v46
                                        ; implicit-def: $vgpr46
	s_and_saveexec_b64 s[12:13], s[0:1]
	s_xor_b64 s[0:1], exec, s[12:13]
; %bb.276:                              ;   in Loop: Header=BB312_176 Depth=1
	v_bfe_u32 v46, v47, 16, 1
	v_add3_u32 v46, v47, v46, s30
                                        ; implicit-def: $vgpr47
; %bb.277:                              ;   in Loop: Header=BB312_176 Depth=1
	s_andn2_saveexec_b64 s[12:13], s[0:1]
; %bb.278:                              ;   in Loop: Header=BB312_176 Depth=1
	v_or_b32_e32 v46, 0x10000, v47
	v_cmp_eq_u32_sdwa s[0:1], v47, v15 src0_sel:WORD_0 src1_sel:DWORD
	s_nop 1
	v_cndmask_b32_e64 v46, v46, v47, s[0:1]
; %bb.279:                              ;   in Loop: Header=BB312_176 Depth=1
	s_or_b64 exec, exec, s[12:13]
	v_bfe_u32 v47, v8, 8, 8
	v_cvt_f32_fp8_sdwa v47, v47 src0_sel:BYTE_0
	s_nop 0
	v_mul_f32_e32 v48, s31, v47
	v_and_b32_e32 v47, 0x7f800000, v48
	v_cmp_ne_u32_e64 s[0:1], s22, v47
                                        ; implicit-def: $vgpr47
	s_and_saveexec_b64 s[12:13], s[0:1]
	s_xor_b64 s[0:1], exec, s[12:13]
; %bb.280:                              ;   in Loop: Header=BB312_176 Depth=1
	v_bfe_u32 v47, v48, 16, 1
	v_add3_u32 v47, v48, v47, s30
                                        ; implicit-def: $vgpr48
; %bb.281:                              ;   in Loop: Header=BB312_176 Depth=1
	s_andn2_saveexec_b64 s[12:13], s[0:1]
; %bb.282:                              ;   in Loop: Header=BB312_176 Depth=1
	v_or_b32_e32 v47, 0x10000, v48
	v_cmp_eq_u32_sdwa s[0:1], v48, v15 src0_sel:WORD_0 src1_sel:DWORD
	s_nop 1
	v_cndmask_b32_e64 v47, v47, v48, s[0:1]
; %bb.283:                              ;   in Loop: Header=BB312_176 Depth=1
	s_or_b64 exec, exec, s[12:13]
	v_bfe_u32 v48, v8, 16, 8
	v_cvt_f32_fp8_sdwa v48, v48 src0_sel:BYTE_0
	s_nop 0
	v_mul_f32_e32 v49, s31, v48
	v_and_b32_e32 v48, 0x7f800000, v49
	v_cmp_ne_u32_e64 s[0:1], s22, v48
                                        ; implicit-def: $vgpr48
	s_and_saveexec_b64 s[12:13], s[0:1]
	s_xor_b64 s[0:1], exec, s[12:13]
; %bb.284:                              ;   in Loop: Header=BB312_176 Depth=1
	v_bfe_u32 v48, v49, 16, 1
	v_add3_u32 v48, v49, v48, s30
                                        ; implicit-def: $vgpr49
; %bb.285:                              ;   in Loop: Header=BB312_176 Depth=1
	s_andn2_saveexec_b64 s[12:13], s[0:1]
; %bb.286:                              ;   in Loop: Header=BB312_176 Depth=1
	v_or_b32_e32 v48, 0x10000, v49
	v_cmp_eq_u32_sdwa s[0:1], v49, v15 src0_sel:WORD_0 src1_sel:DWORD
	s_nop 1
	v_cndmask_b32_e64 v48, v48, v49, s[0:1]
; %bb.287:                              ;   in Loop: Header=BB312_176 Depth=1
	s_or_b64 exec, exec, s[12:13]
	v_lshrrev_b32_e32 v8, 24, v8
	v_cvt_f32_fp8_sdwa v8, v8 src0_sel:BYTE_0
	s_nop 0
	v_mul_f32_e32 v49, s31, v8
	v_and_b32_e32 v8, 0x7f800000, v49
	v_cmp_ne_u32_e64 s[0:1], s22, v8
                                        ; implicit-def: $vgpr8
	s_and_saveexec_b64 s[12:13], s[0:1]
	s_xor_b64 s[0:1], exec, s[12:13]
; %bb.288:                              ;   in Loop: Header=BB312_176 Depth=1
	v_bfe_u32 v8, v49, 16, 1
	v_add3_u32 v8, v49, v8, s30
                                        ; implicit-def: $vgpr49
; %bb.289:                              ;   in Loop: Header=BB312_176 Depth=1
	s_andn2_saveexec_b64 s[12:13], s[0:1]
; %bb.290:                              ;   in Loop: Header=BB312_176 Depth=1
	v_or_b32_e32 v8, 0x10000, v49
	v_cmp_eq_u32_sdwa s[0:1], v49, v15 src0_sel:WORD_0 src1_sel:DWORD
	s_nop 1
	v_cndmask_b32_e64 v8, v8, v49, s[0:1]
; %bb.291:                              ;   in Loop: Header=BB312_176 Depth=1
	s_or_b64 exec, exec, s[12:13]
	v_and_b32_e32 v49, 0xff, v9
	v_cvt_f32_fp8_sdwa v49, v49 src0_sel:BYTE_0
	s_nop 0
	v_mul_f32_e32 v50, s31, v49
	v_and_b32_e32 v49, 0x7f800000, v50
	v_cmp_ne_u32_e64 s[0:1], s22, v49
                                        ; implicit-def: $vgpr49
	s_and_saveexec_b64 s[12:13], s[0:1]
	s_xor_b64 s[0:1], exec, s[12:13]
; %bb.292:                              ;   in Loop: Header=BB312_176 Depth=1
	v_bfe_u32 v49, v50, 16, 1
	v_add3_u32 v49, v50, v49, s30
                                        ; implicit-def: $vgpr50
; %bb.293:                              ;   in Loop: Header=BB312_176 Depth=1
	s_andn2_saveexec_b64 s[12:13], s[0:1]
; %bb.294:                              ;   in Loop: Header=BB312_176 Depth=1
	v_or_b32_e32 v49, 0x10000, v50
	v_cmp_eq_u32_sdwa s[0:1], v50, v15 src0_sel:WORD_0 src1_sel:DWORD
	s_nop 1
	v_cndmask_b32_e64 v49, v49, v50, s[0:1]
; %bb.295:                              ;   in Loop: Header=BB312_176 Depth=1
	s_or_b64 exec, exec, s[12:13]
	v_bfe_u32 v50, v9, 8, 8
	v_cvt_f32_fp8_sdwa v50, v50 src0_sel:BYTE_0
	s_nop 0
	v_mul_f32_e32 v51, s31, v50
	v_and_b32_e32 v50, 0x7f800000, v51
	v_cmp_ne_u32_e64 s[0:1], s22, v50
                                        ; implicit-def: $vgpr50
	s_and_saveexec_b64 s[12:13], s[0:1]
	s_xor_b64 s[0:1], exec, s[12:13]
; %bb.296:                              ;   in Loop: Header=BB312_176 Depth=1
	v_bfe_u32 v50, v51, 16, 1
	v_add3_u32 v50, v51, v50, s30
                                        ; implicit-def: $vgpr51
; %bb.297:                              ;   in Loop: Header=BB312_176 Depth=1
	s_andn2_saveexec_b64 s[12:13], s[0:1]
; %bb.298:                              ;   in Loop: Header=BB312_176 Depth=1
	v_or_b32_e32 v50, 0x10000, v51
	v_cmp_eq_u32_sdwa s[0:1], v51, v15 src0_sel:WORD_0 src1_sel:DWORD
	s_nop 1
	v_cndmask_b32_e64 v50, v50, v51, s[0:1]
; %bb.299:                              ;   in Loop: Header=BB312_176 Depth=1
	s_or_b64 exec, exec, s[12:13]
	v_bfe_u32 v51, v9, 16, 8
	v_cvt_f32_fp8_sdwa v51, v51 src0_sel:BYTE_0
	s_nop 0
	v_mul_f32_e32 v51, s31, v51
	v_and_b32_e32 v52, 0x7f800000, v51
	v_cmp_ne_u32_e64 s[0:1], s22, v52
                                        ; implicit-def: $vgpr52
	s_and_saveexec_b64 s[12:13], s[0:1]
	s_xor_b64 s[0:1], exec, s[12:13]
; %bb.300:                              ;   in Loop: Header=BB312_176 Depth=1
	v_bfe_u32 v52, v51, 16, 1
	v_add3_u32 v52, v51, v52, s30
                                        ; implicit-def: $vgpr51
; %bb.301:                              ;   in Loop: Header=BB312_176 Depth=1
	s_andn2_saveexec_b64 s[12:13], s[0:1]
; %bb.302:                              ;   in Loop: Header=BB312_176 Depth=1
	v_or_b32_e32 v52, 0x10000, v51
	v_cmp_eq_u32_sdwa s[0:1], v51, v15 src0_sel:WORD_0 src1_sel:DWORD
	s_nop 1
	v_cndmask_b32_e64 v52, v52, v51, s[0:1]
; %bb.303:                              ;   in Loop: Header=BB312_176 Depth=1
	s_or_b64 exec, exec, s[12:13]
	v_lshrrev_b32_e32 v9, 24, v9
	v_cvt_f32_fp8_sdwa v9, v9 src0_sel:BYTE_0
                                        ; implicit-def: $vgpr53
	s_nop 0
	v_mul_f32_e32 v9, s31, v9
	v_and_b32_e32 v51, 0x7f800000, v9
	v_cmp_ne_u32_e64 s[0:1], s22, v51
	s_and_saveexec_b64 s[12:13], s[0:1]
	s_xor_b64 s[0:1], exec, s[12:13]
; %bb.304:                              ;   in Loop: Header=BB312_176 Depth=1
	v_bfe_u32 v51, v9, 16, 1
	v_add3_u32 v53, v9, v51, s30
                                        ; implicit-def: $vgpr9
; %bb.305:                              ;   in Loop: Header=BB312_176 Depth=1
	s_andn2_saveexec_b64 s[12:13], s[0:1]
; %bb.306:                              ;   in Loop: Header=BB312_176 Depth=1
	v_or_b32_e32 v51, 0x10000, v9
	v_cmp_eq_u32_sdwa s[0:1], v9, v15 src0_sel:WORD_0 src1_sel:DWORD
	s_nop 1
	v_cndmask_b32_e64 v53, v51, v9, s[0:1]
; %bb.307:                              ;   in Loop: Header=BB312_176 Depth=1
	s_or_b64 exec, exec, s[12:13]
	v_lshrrev_b32_e32 v51, 16, v50
	v_lshrrev_b32_e32 v50, 16, v49
	;; [unrolled: 1-line block ×8, first 2 shown]
	s_and_saveexec_b64 s[12:13], vcc
	s_cbranch_execz .LBB312_309
; %bb.308:                              ;   in Loop: Header=BB312_176 Depth=1
	v_cmp_gt_i32_e64 s[0:1], s25, v29
	s_nop 1
	v_cndmask_b32_e64 v46, 0, v46, s[0:1]
	v_cmp_gt_i32_e64 s[0:1], s25, v36
	s_nop 1
	v_cndmask_b32_e64 v47, 0, v47, s[0:1]
	;; [unrolled: 3-line block ×8, first 2 shown]
.LBB312_309:                            ;   in Loop: Header=BB312_176 Depth=1
	s_or_b64 exec, exec, s[12:13]
	v_lshlrev_b32_e32 v46, 16, v46
	v_mul_f32_e32 v52, v38, v46
	v_and_b32_e32 v46, 0x7f800000, v52
	v_cmp_ne_u32_e64 s[0:1], s22, v46
                                        ; implicit-def: $vgpr46
	s_and_saveexec_b64 s[12:13], s[0:1]
	s_xor_b64 s[0:1], exec, s[12:13]
; %bb.310:                              ;   in Loop: Header=BB312_176 Depth=1
	v_bfe_u32 v46, v52, 16, 1
	v_add3_u32 v46, v52, v46, s30
                                        ; implicit-def: $vgpr52
; %bb.311:                              ;   in Loop: Header=BB312_176 Depth=1
	s_andn2_saveexec_b64 s[12:13], s[0:1]
; %bb.312:                              ;   in Loop: Header=BB312_176 Depth=1
	v_or_b32_e32 v46, 0x10000, v52
	v_cmp_eq_u32_sdwa s[0:1], v52, v15 src0_sel:WORD_0 src1_sel:DWORD
	s_nop 1
	v_cndmask_b32_e64 v46, v46, v52, s[0:1]
; %bb.313:                              ;   in Loop: Header=BB312_176 Depth=1
	s_or_b64 exec, exec, s[12:13]
	v_lshlrev_b32_e32 v47, 16, v47
	v_mul_f32_e32 v52, v39, v47
	v_and_b32_e32 v47, 0x7f800000, v52
	v_cmp_ne_u32_e64 s[0:1], s22, v47
                                        ; implicit-def: $vgpr47
	s_and_saveexec_b64 s[12:13], s[0:1]
	s_xor_b64 s[0:1], exec, s[12:13]
; %bb.314:                              ;   in Loop: Header=BB312_176 Depth=1
	v_bfe_u32 v47, v52, 16, 1
	v_add3_u32 v47, v52, v47, s30
                                        ; implicit-def: $vgpr52
; %bb.315:                              ;   in Loop: Header=BB312_176 Depth=1
	s_andn2_saveexec_b64 s[12:13], s[0:1]
; %bb.316:                              ;   in Loop: Header=BB312_176 Depth=1
	v_or_b32_e32 v47, 0x10000, v52
	v_cmp_eq_u32_sdwa s[0:1], v52, v15 src0_sel:WORD_0 src1_sel:DWORD
	s_nop 1
	v_cndmask_b32_e64 v47, v47, v52, s[0:1]
; %bb.317:                              ;   in Loop: Header=BB312_176 Depth=1
	s_or_b64 exec, exec, s[12:13]
	v_lshlrev_b32_e32 v48, 16, v48
	v_mul_f32_e32 v52, v40, v48
	v_and_b32_e32 v48, 0x7f800000, v52
	v_cmp_ne_u32_e64 s[0:1], s22, v48
                                        ; implicit-def: $vgpr48
	s_and_saveexec_b64 s[12:13], s[0:1]
	s_xor_b64 s[0:1], exec, s[12:13]
; %bb.318:                              ;   in Loop: Header=BB312_176 Depth=1
	v_bfe_u32 v48, v52, 16, 1
	v_add3_u32 v48, v52, v48, s30
                                        ; implicit-def: $vgpr52
; %bb.319:                              ;   in Loop: Header=BB312_176 Depth=1
	s_andn2_saveexec_b64 s[12:13], s[0:1]
; %bb.320:                              ;   in Loop: Header=BB312_176 Depth=1
	v_or_b32_e32 v48, 0x10000, v52
	v_cmp_eq_u32_sdwa s[0:1], v52, v15 src0_sel:WORD_0 src1_sel:DWORD
	s_nop 1
	v_cndmask_b32_e64 v48, v48, v52, s[0:1]
; %bb.321:                              ;   in Loop: Header=BB312_176 Depth=1
	s_or_b64 exec, exec, s[12:13]
	v_lshlrev_b32_e32 v49, 16, v49
	v_mul_f32_e32 v52, v41, v49
	v_and_b32_e32 v49, 0x7f800000, v52
	v_cmp_ne_u32_e64 s[0:1], s22, v49
                                        ; implicit-def: $vgpr49
	s_and_saveexec_b64 s[12:13], s[0:1]
	s_xor_b64 s[0:1], exec, s[12:13]
; %bb.322:                              ;   in Loop: Header=BB312_176 Depth=1
	v_bfe_u32 v49, v52, 16, 1
	v_add3_u32 v49, v52, v49, s30
                                        ; implicit-def: $vgpr52
; %bb.323:                              ;   in Loop: Header=BB312_176 Depth=1
	s_andn2_saveexec_b64 s[12:13], s[0:1]
; %bb.324:                              ;   in Loop: Header=BB312_176 Depth=1
	v_or_b32_e32 v49, 0x10000, v52
	v_cmp_eq_u32_sdwa s[0:1], v52, v15 src0_sel:WORD_0 src1_sel:DWORD
	s_nop 1
	v_cndmask_b32_e64 v49, v49, v52, s[0:1]
; %bb.325:                              ;   in Loop: Header=BB312_176 Depth=1
	s_or_b64 exec, exec, s[12:13]
	v_lshlrev_b32_e32 v50, 16, v50
	v_mul_f32_e32 v52, v42, v50
	v_and_b32_e32 v50, 0x7f800000, v52
	v_cmp_ne_u32_e64 s[0:1], s22, v50
                                        ; implicit-def: $vgpr50
	s_and_saveexec_b64 s[12:13], s[0:1]
	s_xor_b64 s[0:1], exec, s[12:13]
; %bb.326:                              ;   in Loop: Header=BB312_176 Depth=1
	v_bfe_u32 v50, v52, 16, 1
	v_add3_u32 v50, v52, v50, s30
                                        ; implicit-def: $vgpr52
; %bb.327:                              ;   in Loop: Header=BB312_176 Depth=1
	s_andn2_saveexec_b64 s[12:13], s[0:1]
; %bb.328:                              ;   in Loop: Header=BB312_176 Depth=1
	v_or_b32_e32 v50, 0x10000, v52
	v_cmp_eq_u32_sdwa s[0:1], v52, v15 src0_sel:WORD_0 src1_sel:DWORD
	s_nop 1
	v_cndmask_b32_e64 v50, v50, v52, s[0:1]
; %bb.329:                              ;   in Loop: Header=BB312_176 Depth=1
	s_or_b64 exec, exec, s[12:13]
	v_lshlrev_b32_e32 v51, 16, v51
	v_mul_f32_e32 v52, v43, v51
	v_and_b32_e32 v51, 0x7f800000, v52
	v_cmp_ne_u32_e64 s[0:1], s22, v51
                                        ; implicit-def: $vgpr51
	s_and_saveexec_b64 s[12:13], s[0:1]
	s_xor_b64 s[0:1], exec, s[12:13]
; %bb.330:                              ;   in Loop: Header=BB312_176 Depth=1
	v_bfe_u32 v51, v52, 16, 1
	v_add3_u32 v51, v52, v51, s30
                                        ; implicit-def: $vgpr52
; %bb.331:                              ;   in Loop: Header=BB312_176 Depth=1
	s_andn2_saveexec_b64 s[12:13], s[0:1]
; %bb.332:                              ;   in Loop: Header=BB312_176 Depth=1
	v_or_b32_e32 v51, 0x10000, v52
	v_cmp_eq_u32_sdwa s[0:1], v52, v15 src0_sel:WORD_0 src1_sel:DWORD
	s_nop 1
	v_cndmask_b32_e64 v51, v51, v52, s[0:1]
; %bb.333:                              ;   in Loop: Header=BB312_176 Depth=1
	s_or_b64 exec, exec, s[12:13]
	v_lshlrev_b32_e32 v9, 16, v9
	v_mul_f32_e32 v9, v44, v9
	v_and_b32_e32 v52, 0x7f800000, v9
	v_cmp_ne_u32_e64 s[0:1], s22, v52
                                        ; implicit-def: $vgpr52
	s_and_saveexec_b64 s[12:13], s[0:1]
	s_xor_b64 s[0:1], exec, s[12:13]
; %bb.334:                              ;   in Loop: Header=BB312_176 Depth=1
	v_bfe_u32 v52, v9, 16, 1
	v_add3_u32 v52, v9, v52, s30
                                        ; implicit-def: $vgpr9
; %bb.335:                              ;   in Loop: Header=BB312_176 Depth=1
	s_andn2_saveexec_b64 s[12:13], s[0:1]
; %bb.336:                              ;   in Loop: Header=BB312_176 Depth=1
	v_or_b32_e32 v52, 0x10000, v9
	v_cmp_eq_u32_sdwa s[0:1], v9, v15 src0_sel:WORD_0 src1_sel:DWORD
	s_nop 1
	v_cndmask_b32_e64 v52, v52, v9, s[0:1]
; %bb.337:                              ;   in Loop: Header=BB312_176 Depth=1
	s_or_b64 exec, exec, s[12:13]
	v_lshlrev_b32_e32 v8, 16, v8
	v_mul_f32_e32 v8, v45, v8
	v_and_b32_e32 v9, 0x7f800000, v8
	v_cmp_ne_u32_e64 s[0:1], s22, v9
                                        ; implicit-def: $vgpr53
	s_and_saveexec_b64 s[12:13], s[0:1]
	s_xor_b64 s[0:1], exec, s[12:13]
; %bb.338:                              ;   in Loop: Header=BB312_176 Depth=1
	v_bfe_u32 v9, v8, 16, 1
	v_add3_u32 v53, v8, v9, s30
                                        ; implicit-def: $vgpr8
; %bb.339:                              ;   in Loop: Header=BB312_176 Depth=1
	s_andn2_saveexec_b64 s[12:13], s[0:1]
; %bb.340:                              ;   in Loop: Header=BB312_176 Depth=1
	v_or_b32_e32 v9, 0x10000, v8
	v_cmp_eq_u32_sdwa s[0:1], v8, v15 src0_sel:WORD_0 src1_sel:DWORD
	s_nop 1
	v_cndmask_b32_e64 v53, v9, v8, s[0:1]
; %bb.341:                              ;   in Loop: Header=BB312_176 Depth=1
	s_or_b64 exec, exec, s[12:13]
	global_load_dwordx2 v[8:9], v[6:7], off offset:1024
	s_waitcnt vmcnt(0)
	v_and_b32_e32 v54, 0xff, v8
	v_cvt_f32_fp8_sdwa v54, v54 src0_sel:BYTE_0
	s_nop 0
	v_mul_f32_e32 v55, s31, v54
	v_and_b32_e32 v54, 0x7f800000, v55
	v_cmp_ne_u32_e64 s[0:1], s22, v54
                                        ; implicit-def: $vgpr54
	s_and_saveexec_b64 s[12:13], s[0:1]
	s_xor_b64 s[0:1], exec, s[12:13]
; %bb.342:                              ;   in Loop: Header=BB312_176 Depth=1
	v_bfe_u32 v54, v55, 16, 1
	v_add3_u32 v54, v55, v54, s30
                                        ; implicit-def: $vgpr55
; %bb.343:                              ;   in Loop: Header=BB312_176 Depth=1
	s_andn2_saveexec_b64 s[12:13], s[0:1]
; %bb.344:                              ;   in Loop: Header=BB312_176 Depth=1
	v_or_b32_e32 v54, 0x10000, v55
	v_cmp_eq_u32_sdwa s[0:1], v55, v15 src0_sel:WORD_0 src1_sel:DWORD
	s_nop 1
	v_cndmask_b32_e64 v54, v54, v55, s[0:1]
; %bb.345:                              ;   in Loop: Header=BB312_176 Depth=1
	s_or_b64 exec, exec, s[12:13]
	v_bfe_u32 v55, v8, 8, 8
	v_cvt_f32_fp8_sdwa v55, v55 src0_sel:BYTE_0
	s_nop 0
	v_mul_f32_e32 v56, s31, v55
	v_and_b32_e32 v55, 0x7f800000, v56
	v_cmp_ne_u32_e64 s[0:1], s22, v55
                                        ; implicit-def: $vgpr55
	s_and_saveexec_b64 s[12:13], s[0:1]
	s_xor_b64 s[0:1], exec, s[12:13]
; %bb.346:                              ;   in Loop: Header=BB312_176 Depth=1
	v_bfe_u32 v55, v56, 16, 1
	v_add3_u32 v55, v56, v55, s30
                                        ; implicit-def: $vgpr56
; %bb.347:                              ;   in Loop: Header=BB312_176 Depth=1
	s_andn2_saveexec_b64 s[12:13], s[0:1]
; %bb.348:                              ;   in Loop: Header=BB312_176 Depth=1
	v_or_b32_e32 v55, 0x10000, v56
	v_cmp_eq_u32_sdwa s[0:1], v56, v15 src0_sel:WORD_0 src1_sel:DWORD
	s_nop 1
	v_cndmask_b32_e64 v55, v55, v56, s[0:1]
; %bb.349:                              ;   in Loop: Header=BB312_176 Depth=1
	s_or_b64 exec, exec, s[12:13]
	v_bfe_u32 v56, v8, 16, 8
	v_cvt_f32_fp8_sdwa v56, v56 src0_sel:BYTE_0
	s_nop 0
	v_mul_f32_e32 v57, s31, v56
	v_and_b32_e32 v56, 0x7f800000, v57
	v_cmp_ne_u32_e64 s[0:1], s22, v56
                                        ; implicit-def: $vgpr56
	s_and_saveexec_b64 s[12:13], s[0:1]
	s_xor_b64 s[0:1], exec, s[12:13]
; %bb.350:                              ;   in Loop: Header=BB312_176 Depth=1
	v_bfe_u32 v56, v57, 16, 1
	v_add3_u32 v56, v57, v56, s30
                                        ; implicit-def: $vgpr57
; %bb.351:                              ;   in Loop: Header=BB312_176 Depth=1
	s_andn2_saveexec_b64 s[12:13], s[0:1]
; %bb.352:                              ;   in Loop: Header=BB312_176 Depth=1
	v_or_b32_e32 v56, 0x10000, v57
	v_cmp_eq_u32_sdwa s[0:1], v57, v15 src0_sel:WORD_0 src1_sel:DWORD
	s_nop 1
	v_cndmask_b32_e64 v56, v56, v57, s[0:1]
; %bb.353:                              ;   in Loop: Header=BB312_176 Depth=1
	s_or_b64 exec, exec, s[12:13]
	v_lshrrev_b32_e32 v8, 24, v8
	v_cvt_f32_fp8_sdwa v8, v8 src0_sel:BYTE_0
	s_nop 0
	v_mul_f32_e32 v57, s31, v8
	v_and_b32_e32 v8, 0x7f800000, v57
	v_cmp_ne_u32_e64 s[0:1], s22, v8
                                        ; implicit-def: $vgpr8
	s_and_saveexec_b64 s[12:13], s[0:1]
	s_xor_b64 s[0:1], exec, s[12:13]
; %bb.354:                              ;   in Loop: Header=BB312_176 Depth=1
	v_bfe_u32 v8, v57, 16, 1
	v_add3_u32 v8, v57, v8, s30
                                        ; implicit-def: $vgpr57
; %bb.355:                              ;   in Loop: Header=BB312_176 Depth=1
	s_andn2_saveexec_b64 s[12:13], s[0:1]
; %bb.356:                              ;   in Loop: Header=BB312_176 Depth=1
	v_or_b32_e32 v8, 0x10000, v57
	v_cmp_eq_u32_sdwa s[0:1], v57, v15 src0_sel:WORD_0 src1_sel:DWORD
	s_nop 1
	v_cndmask_b32_e64 v8, v8, v57, s[0:1]
; %bb.357:                              ;   in Loop: Header=BB312_176 Depth=1
	s_or_b64 exec, exec, s[12:13]
	v_and_b32_e32 v57, 0xff, v9
	v_cvt_f32_fp8_sdwa v57, v57 src0_sel:BYTE_0
	s_nop 0
	v_mul_f32_e32 v57, s31, v57
	v_and_b32_e32 v58, 0x7f800000, v57
	v_cmp_ne_u32_e64 s[0:1], s22, v58
                                        ; implicit-def: $vgpr58
	s_and_saveexec_b64 s[12:13], s[0:1]
	s_xor_b64 s[0:1], exec, s[12:13]
; %bb.358:                              ;   in Loop: Header=BB312_176 Depth=1
	v_bfe_u32 v58, v57, 16, 1
	v_add3_u32 v58, v57, v58, s30
                                        ; implicit-def: $vgpr57
; %bb.359:                              ;   in Loop: Header=BB312_176 Depth=1
	s_andn2_saveexec_b64 s[12:13], s[0:1]
; %bb.360:                              ;   in Loop: Header=BB312_176 Depth=1
	v_or_b32_e32 v58, 0x10000, v57
	v_cmp_eq_u32_sdwa s[0:1], v57, v15 src0_sel:WORD_0 src1_sel:DWORD
	s_nop 1
	v_cndmask_b32_e64 v58, v58, v57, s[0:1]
; %bb.361:                              ;   in Loop: Header=BB312_176 Depth=1
	s_or_b64 exec, exec, s[12:13]
	v_bfe_u32 v57, v9, 8, 8
	v_cvt_f32_fp8_sdwa v57, v57 src0_sel:BYTE_0
	s_nop 0
	v_mul_f32_e32 v59, s31, v57
	v_and_b32_e32 v57, 0x7f800000, v59
	v_cmp_ne_u32_e64 s[0:1], s22, v57
                                        ; implicit-def: $vgpr57
	s_and_saveexec_b64 s[12:13], s[0:1]
	s_xor_b64 s[0:1], exec, s[12:13]
; %bb.362:                              ;   in Loop: Header=BB312_176 Depth=1
	v_bfe_u32 v57, v59, 16, 1
	v_add3_u32 v57, v59, v57, s30
                                        ; implicit-def: $vgpr59
; %bb.363:                              ;   in Loop: Header=BB312_176 Depth=1
	s_andn2_saveexec_b64 s[12:13], s[0:1]
; %bb.364:                              ;   in Loop: Header=BB312_176 Depth=1
	v_or_b32_e32 v57, 0x10000, v59
	v_cmp_eq_u32_sdwa s[0:1], v59, v15 src0_sel:WORD_0 src1_sel:DWORD
	s_nop 1
	v_cndmask_b32_e64 v57, v57, v59, s[0:1]
; %bb.365:                              ;   in Loop: Header=BB312_176 Depth=1
	s_or_b64 exec, exec, s[12:13]
	v_bfe_u32 v59, v9, 16, 8
	v_cvt_f32_fp8_sdwa v59, v59 src0_sel:BYTE_0
	s_nop 0
	v_mul_f32_e32 v60, s31, v59
	v_and_b32_e32 v59, 0x7f800000, v60
	v_cmp_ne_u32_e64 s[0:1], s22, v59
                                        ; implicit-def: $vgpr59
	s_and_saveexec_b64 s[12:13], s[0:1]
	s_xor_b64 s[0:1], exec, s[12:13]
; %bb.366:                              ;   in Loop: Header=BB312_176 Depth=1
	v_bfe_u32 v59, v60, 16, 1
	v_add3_u32 v59, v60, v59, s30
                                        ; implicit-def: $vgpr60
; %bb.367:                              ;   in Loop: Header=BB312_176 Depth=1
	s_andn2_saveexec_b64 s[12:13], s[0:1]
; %bb.368:                              ;   in Loop: Header=BB312_176 Depth=1
	v_or_b32_e32 v59, 0x10000, v60
	v_cmp_eq_u32_sdwa s[0:1], v60, v15 src0_sel:WORD_0 src1_sel:DWORD
	s_nop 1
	v_cndmask_b32_e64 v59, v59, v60, s[0:1]
; %bb.369:                              ;   in Loop: Header=BB312_176 Depth=1
	s_or_b64 exec, exec, s[12:13]
	v_lshrrev_b32_e32 v9, 24, v9
	v_cvt_f32_fp8_sdwa v9, v9 src0_sel:BYTE_0
                                        ; implicit-def: $vgpr62
	s_nop 0
	v_mul_f32_e32 v9, s31, v9
	v_and_b32_e32 v60, 0x7f800000, v9
	v_cmp_ne_u32_e64 s[0:1], s22, v60
	s_and_saveexec_b64 s[12:13], s[0:1]
	s_xor_b64 s[0:1], exec, s[12:13]
; %bb.370:                              ;   in Loop: Header=BB312_176 Depth=1
	v_bfe_u32 v60, v9, 16, 1
	v_add3_u32 v62, v9, v60, s30
                                        ; implicit-def: $vgpr9
; %bb.371:                              ;   in Loop: Header=BB312_176 Depth=1
	s_andn2_saveexec_b64 s[12:13], s[0:1]
; %bb.372:                              ;   in Loop: Header=BB312_176 Depth=1
	v_or_b32_e32 v60, 0x10000, v9
	v_cmp_eq_u32_sdwa s[0:1], v9, v15 src0_sel:WORD_0 src1_sel:DWORD
	s_nop 1
	v_cndmask_b32_e64 v62, v60, v9, s[0:1]
; %bb.373:                              ;   in Loop: Header=BB312_176 Depth=1
	s_or_b64 exec, exec, s[12:13]
	v_lshrrev_b32_e32 v57, 16, v57
	v_lshrrev_b32_e32 v60, 16, v58
	;; [unrolled: 1-line block ×8, first 2 shown]
	s_and_saveexec_b64 s[12:13], vcc
	s_cbranch_execz .LBB312_375
; %bb.374:                              ;   in Loop: Header=BB312_176 Depth=1
	v_cmp_gt_i32_e64 s[0:1], s25, v29
	s_nop 1
	v_cndmask_b32_e64 v8, 0, v8, s[0:1]
	v_cmp_gt_i32_e64 s[0:1], s25, v36
	s_nop 1
	v_cndmask_b32_e64 v9, 0, v9, s[0:1]
	v_cmp_gt_i32_e64 s[0:1], s25, v35
	s_nop 1
	v_cndmask_b32_e64 v56, 0, v56, s[0:1]
	v_cmp_gt_i32_e64 s[0:1], s25, v34
	s_nop 1
	v_cndmask_b32_e64 v61, 0, v61, s[0:1]
	v_cmp_gt_i32_e64 s[0:1], s25, v33
	s_nop 1
	v_cndmask_b32_e64 v60, 0, v60, s[0:1]
	v_cmp_gt_i32_e64 s[0:1], s25, v32
	s_nop 1
	v_cndmask_b32_e64 v57, 0, v57, s[0:1]
	v_cmp_gt_i32_e64 s[0:1], s25, v31
	s_nop 1
	v_cndmask_b32_e64 v58, 0, v58, s[0:1]
	v_cmp_gt_i32_e64 s[0:1], s25, v30
	s_nop 1
	v_cndmask_b32_e64 v59, 0, v59, s[0:1]
.LBB312_375:                            ;   in Loop: Header=BB312_176 Depth=1
	s_or_b64 exec, exec, s[12:13]
	v_lshlrev_b32_e32 v8, 16, v8
	v_mul_f32_e32 v54, v38, v8
	v_and_b32_e32 v8, 0x7f800000, v54
	v_cmp_ne_u32_e64 s[0:1], s22, v8
                                        ; implicit-def: $vgpr8
	s_and_saveexec_b64 s[12:13], s[0:1]
	s_xor_b64 s[0:1], exec, s[12:13]
; %bb.376:                              ;   in Loop: Header=BB312_176 Depth=1
	v_bfe_u32 v8, v54, 16, 1
	v_add3_u32 v8, v54, v8, s30
                                        ; implicit-def: $vgpr54
; %bb.377:                              ;   in Loop: Header=BB312_176 Depth=1
	s_andn2_saveexec_b64 s[12:13], s[0:1]
; %bb.378:                              ;   in Loop: Header=BB312_176 Depth=1
	v_or_b32_e32 v8, 0x10000, v54
	v_cmp_eq_u32_sdwa s[0:1], v54, v15 src0_sel:WORD_0 src1_sel:DWORD
	s_nop 1
	v_cndmask_b32_e64 v8, v8, v54, s[0:1]
; %bb.379:                              ;   in Loop: Header=BB312_176 Depth=1
	s_or_b64 exec, exec, s[12:13]
	v_lshlrev_b32_e32 v9, 16, v9
	v_mul_f32_e32 v54, v39, v9
	v_and_b32_e32 v9, 0x7f800000, v54
	v_cmp_ne_u32_e64 s[0:1], s22, v9
                                        ; implicit-def: $vgpr9
	s_and_saveexec_b64 s[12:13], s[0:1]
	s_xor_b64 s[0:1], exec, s[12:13]
; %bb.380:                              ;   in Loop: Header=BB312_176 Depth=1
	v_bfe_u32 v9, v54, 16, 1
	v_add3_u32 v9, v54, v9, s30
                                        ; implicit-def: $vgpr54
; %bb.381:                              ;   in Loop: Header=BB312_176 Depth=1
	s_andn2_saveexec_b64 s[12:13], s[0:1]
; %bb.382:                              ;   in Loop: Header=BB312_176 Depth=1
	v_or_b32_e32 v9, 0x10000, v54
	v_cmp_eq_u32_sdwa s[0:1], v54, v15 src0_sel:WORD_0 src1_sel:DWORD
	s_nop 1
	v_cndmask_b32_e64 v9, v9, v54, s[0:1]
; %bb.383:                              ;   in Loop: Header=BB312_176 Depth=1
	s_or_b64 exec, exec, s[12:13]
	v_lshlrev_b32_e32 v54, 16, v56
	v_mul_f32_e32 v55, v40, v54
	v_and_b32_e32 v54, 0x7f800000, v55
	v_cmp_ne_u32_e64 s[0:1], s22, v54
                                        ; implicit-def: $vgpr54
	s_and_saveexec_b64 s[12:13], s[0:1]
	s_xor_b64 s[0:1], exec, s[12:13]
; %bb.384:                              ;   in Loop: Header=BB312_176 Depth=1
	v_bfe_u32 v54, v55, 16, 1
	v_add3_u32 v54, v55, v54, s30
                                        ; implicit-def: $vgpr55
; %bb.385:                              ;   in Loop: Header=BB312_176 Depth=1
	s_andn2_saveexec_b64 s[12:13], s[0:1]
; %bb.386:                              ;   in Loop: Header=BB312_176 Depth=1
	v_or_b32_e32 v54, 0x10000, v55
	v_cmp_eq_u32_sdwa s[0:1], v55, v15 src0_sel:WORD_0 src1_sel:DWORD
	s_nop 1
	v_cndmask_b32_e64 v54, v54, v55, s[0:1]
; %bb.387:                              ;   in Loop: Header=BB312_176 Depth=1
	s_or_b64 exec, exec, s[12:13]
	v_lshlrev_b32_e32 v55, 16, v61
	v_mul_f32_e32 v56, v41, v55
	v_and_b32_e32 v55, 0x7f800000, v56
	v_cmp_ne_u32_e64 s[0:1], s22, v55
                                        ; implicit-def: $vgpr55
	s_and_saveexec_b64 s[12:13], s[0:1]
	s_xor_b64 s[0:1], exec, s[12:13]
; %bb.388:                              ;   in Loop: Header=BB312_176 Depth=1
	v_bfe_u32 v55, v56, 16, 1
	v_add3_u32 v55, v56, v55, s30
                                        ; implicit-def: $vgpr56
; %bb.389:                              ;   in Loop: Header=BB312_176 Depth=1
	s_andn2_saveexec_b64 s[12:13], s[0:1]
; %bb.390:                              ;   in Loop: Header=BB312_176 Depth=1
	v_or_b32_e32 v55, 0x10000, v56
	v_cmp_eq_u32_sdwa s[0:1], v56, v15 src0_sel:WORD_0 src1_sel:DWORD
	s_nop 1
	v_cndmask_b32_e64 v55, v55, v56, s[0:1]
; %bb.391:                              ;   in Loop: Header=BB312_176 Depth=1
	s_or_b64 exec, exec, s[12:13]
	v_lshlrev_b32_e32 v56, 16, v60
	v_mul_f32_e32 v60, v42, v56
	v_and_b32_e32 v56, 0x7f800000, v60
	v_cmp_ne_u32_e64 s[0:1], s22, v56
                                        ; implicit-def: $vgpr56
	s_and_saveexec_b64 s[12:13], s[0:1]
	s_xor_b64 s[0:1], exec, s[12:13]
; %bb.392:                              ;   in Loop: Header=BB312_176 Depth=1
	v_bfe_u32 v56, v60, 16, 1
	v_add3_u32 v56, v60, v56, s30
                                        ; implicit-def: $vgpr60
; %bb.393:                              ;   in Loop: Header=BB312_176 Depth=1
	s_andn2_saveexec_b64 s[12:13], s[0:1]
; %bb.394:                              ;   in Loop: Header=BB312_176 Depth=1
	v_or_b32_e32 v56, 0x10000, v60
	v_cmp_eq_u32_sdwa s[0:1], v60, v15 src0_sel:WORD_0 src1_sel:DWORD
	s_nop 1
	v_cndmask_b32_e64 v56, v56, v60, s[0:1]
; %bb.395:                              ;   in Loop: Header=BB312_176 Depth=1
	s_or_b64 exec, exec, s[12:13]
	v_lshlrev_b32_e32 v57, 16, v57
	v_mul_f32_e32 v60, v43, v57
	v_and_b32_e32 v57, 0x7f800000, v60
	v_cmp_ne_u32_e64 s[0:1], s22, v57
                                        ; implicit-def: $vgpr57
	s_and_saveexec_b64 s[12:13], s[0:1]
	s_xor_b64 s[0:1], exec, s[12:13]
; %bb.396:                              ;   in Loop: Header=BB312_176 Depth=1
	v_bfe_u32 v57, v60, 16, 1
	v_add3_u32 v57, v60, v57, s30
                                        ; implicit-def: $vgpr60
; %bb.397:                              ;   in Loop: Header=BB312_176 Depth=1
	s_andn2_saveexec_b64 s[12:13], s[0:1]
; %bb.398:                              ;   in Loop: Header=BB312_176 Depth=1
	v_or_b32_e32 v57, 0x10000, v60
	v_cmp_eq_u32_sdwa s[0:1], v60, v15 src0_sel:WORD_0 src1_sel:DWORD
	s_nop 1
	v_cndmask_b32_e64 v57, v57, v60, s[0:1]
; %bb.399:                              ;   in Loop: Header=BB312_176 Depth=1
	s_or_b64 exec, exec, s[12:13]
	v_lshlrev_b32_e32 v58, 16, v58
	v_mul_f32_e32 v60, v44, v58
	v_and_b32_e32 v58, 0x7f800000, v60
	v_cmp_ne_u32_e64 s[0:1], s22, v58
                                        ; implicit-def: $vgpr58
	s_and_saveexec_b64 s[12:13], s[0:1]
	s_xor_b64 s[0:1], exec, s[12:13]
; %bb.400:                              ;   in Loop: Header=BB312_176 Depth=1
	v_bfe_u32 v58, v60, 16, 1
	v_add3_u32 v58, v60, v58, s30
                                        ; implicit-def: $vgpr60
; %bb.401:                              ;   in Loop: Header=BB312_176 Depth=1
	s_andn2_saveexec_b64 s[12:13], s[0:1]
; %bb.402:                              ;   in Loop: Header=BB312_176 Depth=1
	v_or_b32_e32 v58, 0x10000, v60
	v_cmp_eq_u32_sdwa s[0:1], v60, v15 src0_sel:WORD_0 src1_sel:DWORD
	s_nop 1
	v_cndmask_b32_e64 v58, v58, v60, s[0:1]
; %bb.403:                              ;   in Loop: Header=BB312_176 Depth=1
	s_or_b64 exec, exec, s[12:13]
	v_lshlrev_b32_e32 v59, 16, v59
	v_mul_f32_e32 v60, v45, v59
	v_and_b32_e32 v59, 0x7f800000, v60
	v_cmp_ne_u32_e64 s[0:1], s22, v59
                                        ; implicit-def: $vgpr59
	s_and_saveexec_b64 s[12:13], s[0:1]
	s_xor_b64 s[0:1], exec, s[12:13]
; %bb.404:                              ;   in Loop: Header=BB312_176 Depth=1
	v_bfe_u32 v59, v60, 16, 1
	v_add3_u32 v59, v60, v59, s30
                                        ; implicit-def: $vgpr60
; %bb.405:                              ;   in Loop: Header=BB312_176 Depth=1
	s_andn2_saveexec_b64 s[12:13], s[0:1]
; %bb.406:                              ;   in Loop: Header=BB312_176 Depth=1
	v_or_b32_e32 v59, 0x10000, v60
	v_cmp_eq_u32_sdwa s[0:1], v60, v15 src0_sel:WORD_0 src1_sel:DWORD
	s_nop 1
	v_cndmask_b32_e64 v59, v59, v60, s[0:1]
; %bb.407:                              ;   in Loop: Header=BB312_176 Depth=1
	s_or_b64 exec, exec, s[12:13]
	global_load_dwordx2 v[6:7], v[6:7], off offset:1536
	s_waitcnt vmcnt(0)
	v_and_b32_e32 v60, 0xff, v6
	v_cvt_f32_fp8_sdwa v60, v60 src0_sel:BYTE_0
	s_nop 0
	v_mul_f32_e32 v61, s31, v60
	v_and_b32_e32 v60, 0x7f800000, v61
	v_cmp_ne_u32_e64 s[0:1], s22, v60
                                        ; implicit-def: $vgpr60
	s_and_saveexec_b64 s[12:13], s[0:1]
	s_xor_b64 s[0:1], exec, s[12:13]
; %bb.408:                              ;   in Loop: Header=BB312_176 Depth=1
	v_bfe_u32 v60, v61, 16, 1
	v_add3_u32 v60, v61, v60, s30
                                        ; implicit-def: $vgpr61
; %bb.409:                              ;   in Loop: Header=BB312_176 Depth=1
	s_andn2_saveexec_b64 s[12:13], s[0:1]
; %bb.410:                              ;   in Loop: Header=BB312_176 Depth=1
	v_or_b32_e32 v60, 0x10000, v61
	v_cmp_eq_u32_sdwa s[0:1], v61, v15 src0_sel:WORD_0 src1_sel:DWORD
	s_nop 1
	v_cndmask_b32_e64 v60, v60, v61, s[0:1]
; %bb.411:                              ;   in Loop: Header=BB312_176 Depth=1
	s_or_b64 exec, exec, s[12:13]
	v_bfe_u32 v61, v6, 8, 8
	v_cvt_f32_fp8_sdwa v61, v61 src0_sel:BYTE_0
	s_nop 0
	v_mul_f32_e32 v62, s31, v61
	v_and_b32_e32 v61, 0x7f800000, v62
	v_cmp_ne_u32_e64 s[0:1], s22, v61
                                        ; implicit-def: $vgpr61
	s_and_saveexec_b64 s[12:13], s[0:1]
	s_xor_b64 s[0:1], exec, s[12:13]
; %bb.412:                              ;   in Loop: Header=BB312_176 Depth=1
	v_bfe_u32 v61, v62, 16, 1
	v_add3_u32 v61, v62, v61, s30
                                        ; implicit-def: $vgpr62
; %bb.413:                              ;   in Loop: Header=BB312_176 Depth=1
	s_andn2_saveexec_b64 s[12:13], s[0:1]
; %bb.414:                              ;   in Loop: Header=BB312_176 Depth=1
	v_or_b32_e32 v61, 0x10000, v62
	v_cmp_eq_u32_sdwa s[0:1], v62, v15 src0_sel:WORD_0 src1_sel:DWORD
	s_nop 1
	v_cndmask_b32_e64 v61, v61, v62, s[0:1]
; %bb.415:                              ;   in Loop: Header=BB312_176 Depth=1
	s_or_b64 exec, exec, s[12:13]
	v_bfe_u32 v62, v6, 16, 8
	v_cvt_f32_fp8_sdwa v62, v62 src0_sel:BYTE_0
	s_nop 0
	v_mul_f32_e32 v62, s31, v62
	v_and_b32_e32 v63, 0x7f800000, v62
	v_cmp_ne_u32_e64 s[0:1], s22, v63
                                        ; implicit-def: $vgpr63
	s_and_saveexec_b64 s[12:13], s[0:1]
	s_xor_b64 s[0:1], exec, s[12:13]
; %bb.416:                              ;   in Loop: Header=BB312_176 Depth=1
	v_bfe_u32 v63, v62, 16, 1
	v_add3_u32 v63, v62, v63, s30
                                        ; implicit-def: $vgpr62
; %bb.417:                              ;   in Loop: Header=BB312_176 Depth=1
	s_andn2_saveexec_b64 s[12:13], s[0:1]
; %bb.418:                              ;   in Loop: Header=BB312_176 Depth=1
	v_or_b32_e32 v63, 0x10000, v62
	v_cmp_eq_u32_sdwa s[0:1], v62, v15 src0_sel:WORD_0 src1_sel:DWORD
	s_nop 1
	v_cndmask_b32_e64 v63, v63, v62, s[0:1]
; %bb.419:                              ;   in Loop: Header=BB312_176 Depth=1
	s_or_b64 exec, exec, s[12:13]
	v_lshrrev_b32_e32 v6, 24, v6
	v_cvt_f32_fp8_sdwa v6, v6 src0_sel:BYTE_0
	s_nop 0
	v_mul_f32_e32 v62, s31, v6
	v_and_b32_e32 v6, 0x7f800000, v62
	v_cmp_ne_u32_e64 s[0:1], s22, v6
                                        ; implicit-def: $vgpr6
	s_and_saveexec_b64 s[12:13], s[0:1]
	s_xor_b64 s[0:1], exec, s[12:13]
; %bb.420:                              ;   in Loop: Header=BB312_176 Depth=1
	v_bfe_u32 v6, v62, 16, 1
	v_add3_u32 v6, v62, v6, s30
                                        ; implicit-def: $vgpr62
; %bb.421:                              ;   in Loop: Header=BB312_176 Depth=1
	s_andn2_saveexec_b64 s[12:13], s[0:1]
; %bb.422:                              ;   in Loop: Header=BB312_176 Depth=1
	v_or_b32_e32 v6, 0x10000, v62
	v_cmp_eq_u32_sdwa s[0:1], v62, v15 src0_sel:WORD_0 src1_sel:DWORD
	s_nop 1
	v_cndmask_b32_e64 v6, v6, v62, s[0:1]
; %bb.423:                              ;   in Loop: Header=BB312_176 Depth=1
	s_or_b64 exec, exec, s[12:13]
	v_and_b32_e32 v62, 0xff, v7
	v_cvt_f32_fp8_sdwa v62, v62 src0_sel:BYTE_0
	s_nop 0
	v_mul_f32_e32 v62, s31, v62
	v_and_b32_e32 v64, 0x7f800000, v62
	v_cmp_ne_u32_e64 s[0:1], s22, v64
                                        ; implicit-def: $vgpr64
	s_and_saveexec_b64 s[12:13], s[0:1]
	s_xor_b64 s[0:1], exec, s[12:13]
; %bb.424:                              ;   in Loop: Header=BB312_176 Depth=1
	v_bfe_u32 v64, v62, 16, 1
	v_add3_u32 v64, v62, v64, s30
                                        ; implicit-def: $vgpr62
; %bb.425:                              ;   in Loop: Header=BB312_176 Depth=1
	s_andn2_saveexec_b64 s[12:13], s[0:1]
; %bb.426:                              ;   in Loop: Header=BB312_176 Depth=1
	v_or_b32_e32 v64, 0x10000, v62
	v_cmp_eq_u32_sdwa s[0:1], v62, v15 src0_sel:WORD_0 src1_sel:DWORD
	s_nop 1
	v_cndmask_b32_e64 v64, v64, v62, s[0:1]
; %bb.427:                              ;   in Loop: Header=BB312_176 Depth=1
	s_or_b64 exec, exec, s[12:13]
	v_bfe_u32 v62, v7, 8, 8
	v_cvt_f32_fp8_sdwa v62, v62 src0_sel:BYTE_0
	s_nop 0
	v_mul_f32_e32 v65, s31, v62
	v_and_b32_e32 v62, 0x7f800000, v65
	v_cmp_ne_u32_e64 s[0:1], s22, v62
                                        ; implicit-def: $vgpr62
	s_and_saveexec_b64 s[12:13], s[0:1]
	s_xor_b64 s[0:1], exec, s[12:13]
; %bb.428:                              ;   in Loop: Header=BB312_176 Depth=1
	v_bfe_u32 v62, v65, 16, 1
	v_add3_u32 v62, v65, v62, s30
                                        ; implicit-def: $vgpr65
; %bb.429:                              ;   in Loop: Header=BB312_176 Depth=1
	s_andn2_saveexec_b64 s[12:13], s[0:1]
; %bb.430:                              ;   in Loop: Header=BB312_176 Depth=1
	v_or_b32_e32 v62, 0x10000, v65
	v_cmp_eq_u32_sdwa s[0:1], v65, v15 src0_sel:WORD_0 src1_sel:DWORD
	s_nop 1
	v_cndmask_b32_e64 v62, v62, v65, s[0:1]
; %bb.431:                              ;   in Loop: Header=BB312_176 Depth=1
	s_or_b64 exec, exec, s[12:13]
	v_bfe_u32 v65, v7, 16, 8
	v_cvt_f32_fp8_sdwa v65, v65 src0_sel:BYTE_0
	s_nop 0
	v_mul_f32_e32 v65, s31, v65
	v_and_b32_e32 v66, 0x7f800000, v65
	v_cmp_ne_u32_e64 s[0:1], s22, v66
                                        ; implicit-def: $vgpr66
	s_and_saveexec_b64 s[12:13], s[0:1]
	s_xor_b64 s[0:1], exec, s[12:13]
; %bb.432:                              ;   in Loop: Header=BB312_176 Depth=1
	v_bfe_u32 v66, v65, 16, 1
	v_add3_u32 v66, v65, v66, s30
                                        ; implicit-def: $vgpr65
; %bb.433:                              ;   in Loop: Header=BB312_176 Depth=1
	s_andn2_saveexec_b64 s[12:13], s[0:1]
; %bb.434:                              ;   in Loop: Header=BB312_176 Depth=1
	v_or_b32_e32 v66, 0x10000, v65
	v_cmp_eq_u32_sdwa s[0:1], v65, v15 src0_sel:WORD_0 src1_sel:DWORD
	s_nop 1
	v_cndmask_b32_e64 v66, v66, v65, s[0:1]
; %bb.435:                              ;   in Loop: Header=BB312_176 Depth=1
	s_or_b64 exec, exec, s[12:13]
	v_lshrrev_b32_e32 v7, 24, v7
	v_cvt_f32_fp8_sdwa v7, v7 src0_sel:BYTE_0
                                        ; implicit-def: $vgpr67
	s_nop 0
	v_mul_f32_e32 v7, s31, v7
	v_and_b32_e32 v65, 0x7f800000, v7
	v_cmp_ne_u32_e64 s[0:1], s22, v65
	s_and_saveexec_b64 s[12:13], s[0:1]
	s_xor_b64 s[0:1], exec, s[12:13]
; %bb.436:                              ;   in Loop: Header=BB312_176 Depth=1
	v_bfe_u32 v65, v7, 16, 1
	v_add3_u32 v67, v7, v65, s30
                                        ; implicit-def: $vgpr7
; %bb.437:                              ;   in Loop: Header=BB312_176 Depth=1
	s_andn2_saveexec_b64 s[12:13], s[0:1]
; %bb.438:                              ;   in Loop: Header=BB312_176 Depth=1
	v_or_b32_e32 v65, 0x10000, v7
	v_cmp_eq_u32_sdwa s[0:1], v7, v15 src0_sel:WORD_0 src1_sel:DWORD
	s_nop 1
	v_cndmask_b32_e64 v67, v65, v7, s[0:1]
; %bb.439:                              ;   in Loop: Header=BB312_176 Depth=1
	s_or_b64 exec, exec, s[12:13]
	v_lshrrev_b32_e32 v62, 16, v62
	v_lshrrev_b32_e32 v64, 16, v64
	;; [unrolled: 1-line block ×8, first 2 shown]
	s_and_saveexec_b64 s[0:1], vcc
	s_cbranch_execz .LBB312_441
; %bb.440:                              ;   in Loop: Header=BB312_176 Depth=1
	v_cmp_gt_i32_e32 vcc, s25, v29
	s_nop 1
	v_cndmask_b32_e32 v6, 0, v6, vcc
	v_cmp_gt_i32_e32 vcc, s25, v36
	s_nop 1
	v_cndmask_b32_e32 v7, 0, v7, vcc
	;; [unrolled: 3-line block ×8, first 2 shown]
.LBB312_441:                            ;   in Loop: Header=BB312_176 Depth=1
	s_or_b64 exec, exec, s[0:1]
	v_lshlrev_b32_e32 v6, 16, v6
	v_mul_f32_e32 v29, v38, v6
	v_and_b32_e32 v6, 0x7f800000, v29
	v_cmp_ne_u32_e32 vcc, s22, v6
                                        ; implicit-def: $vgpr6
	s_and_saveexec_b64 s[0:1], vcc
	s_xor_b64 s[0:1], exec, s[0:1]
; %bb.442:                              ;   in Loop: Header=BB312_176 Depth=1
	v_bfe_u32 v6, v29, 16, 1
	v_add3_u32 v6, v29, v6, s30
                                        ; implicit-def: $vgpr29
; %bb.443:                              ;   in Loop: Header=BB312_176 Depth=1
	s_andn2_saveexec_b64 s[0:1], s[0:1]
; %bb.444:                              ;   in Loop: Header=BB312_176 Depth=1
	v_or_b32_e32 v6, 0x10000, v29
	v_cmp_eq_u32_sdwa vcc, v29, v15 src0_sel:WORD_0 src1_sel:DWORD
	s_nop 1
	v_cndmask_b32_e32 v6, v6, v29, vcc
; %bb.445:                              ;   in Loop: Header=BB312_176 Depth=1
	s_or_b64 exec, exec, s[0:1]
	v_lshlrev_b32_e32 v7, 16, v7
	v_mul_f32_e32 v29, v39, v7
	v_and_b32_e32 v7, 0x7f800000, v29
	v_cmp_ne_u32_e32 vcc, s22, v7
                                        ; implicit-def: $vgpr7
	s_and_saveexec_b64 s[0:1], vcc
	s_xor_b64 s[0:1], exec, s[0:1]
; %bb.446:                              ;   in Loop: Header=BB312_176 Depth=1
	v_bfe_u32 v7, v29, 16, 1
	v_add3_u32 v7, v29, v7, s30
                                        ; implicit-def: $vgpr29
; %bb.447:                              ;   in Loop: Header=BB312_176 Depth=1
	s_andn2_saveexec_b64 s[0:1], s[0:1]
; %bb.448:                              ;   in Loop: Header=BB312_176 Depth=1
	v_or_b32_e32 v7, 0x10000, v29
	v_cmp_eq_u32_sdwa vcc, v29, v15 src0_sel:WORD_0 src1_sel:DWORD
	s_nop 1
	v_cndmask_b32_e32 v7, v7, v29, vcc
; %bb.449:                              ;   in Loop: Header=BB312_176 Depth=1
	s_or_b64 exec, exec, s[0:1]
	v_lshlrev_b32_e32 v29, 16, v63
	v_mul_f32_e32 v30, v40, v29
	v_and_b32_e32 v29, 0x7f800000, v30
	v_cmp_ne_u32_e32 vcc, s22, v29
                                        ; implicit-def: $vgpr29
	s_and_saveexec_b64 s[0:1], vcc
	s_xor_b64 s[0:1], exec, s[0:1]
; %bb.450:                              ;   in Loop: Header=BB312_176 Depth=1
	v_bfe_u32 v29, v30, 16, 1
	v_add3_u32 v29, v30, v29, s30
                                        ; implicit-def: $vgpr30
; %bb.451:                              ;   in Loop: Header=BB312_176 Depth=1
	s_andn2_saveexec_b64 s[0:1], s[0:1]
; %bb.452:                              ;   in Loop: Header=BB312_176 Depth=1
	v_or_b32_e32 v29, 0x10000, v30
	v_cmp_eq_u32_sdwa vcc, v30, v15 src0_sel:WORD_0 src1_sel:DWORD
	s_nop 1
	v_cndmask_b32_e32 v29, v29, v30, vcc
; %bb.453:                              ;   in Loop: Header=BB312_176 Depth=1
	s_or_b64 exec, exec, s[0:1]
	v_lshlrev_b32_e32 v30, 16, v65
	v_mul_f32_e32 v31, v41, v30
	v_and_b32_e32 v30, 0x7f800000, v31
	v_cmp_ne_u32_e32 vcc, s22, v30
                                        ; implicit-def: $vgpr30
	s_and_saveexec_b64 s[0:1], vcc
	s_xor_b64 s[0:1], exec, s[0:1]
; %bb.454:                              ;   in Loop: Header=BB312_176 Depth=1
	v_bfe_u32 v30, v31, 16, 1
	v_add3_u32 v30, v31, v30, s30
                                        ; implicit-def: $vgpr31
; %bb.455:                              ;   in Loop: Header=BB312_176 Depth=1
	s_andn2_saveexec_b64 s[0:1], s[0:1]
; %bb.456:                              ;   in Loop: Header=BB312_176 Depth=1
	v_or_b32_e32 v30, 0x10000, v31
	v_cmp_eq_u32_sdwa vcc, v31, v15 src0_sel:WORD_0 src1_sel:DWORD
	s_nop 1
	v_cndmask_b32_e32 v30, v30, v31, vcc
; %bb.457:                              ;   in Loop: Header=BB312_176 Depth=1
	s_or_b64 exec, exec, s[0:1]
	v_lshlrev_b32_e32 v31, 16, v64
	v_mul_f32_e32 v32, v42, v31
	v_and_b32_e32 v31, 0x7f800000, v32
	v_cmp_ne_u32_e32 vcc, s22, v31
                                        ; implicit-def: $vgpr31
	s_and_saveexec_b64 s[0:1], vcc
	s_xor_b64 s[0:1], exec, s[0:1]
; %bb.458:                              ;   in Loop: Header=BB312_176 Depth=1
	v_bfe_u32 v31, v32, 16, 1
	v_add3_u32 v31, v32, v31, s30
                                        ; implicit-def: $vgpr32
; %bb.459:                              ;   in Loop: Header=BB312_176 Depth=1
	s_andn2_saveexec_b64 s[0:1], s[0:1]
; %bb.460:                              ;   in Loop: Header=BB312_176 Depth=1
	v_or_b32_e32 v31, 0x10000, v32
	v_cmp_eq_u32_sdwa vcc, v32, v15 src0_sel:WORD_0 src1_sel:DWORD
	s_nop 1
	v_cndmask_b32_e32 v31, v31, v32, vcc
; %bb.461:                              ;   in Loop: Header=BB312_176 Depth=1
	s_or_b64 exec, exec, s[0:1]
	v_lshlrev_b32_e32 v32, 16, v62
	v_mul_f32_e32 v33, v43, v32
	v_and_b32_e32 v32, 0x7f800000, v33
	v_cmp_ne_u32_e32 vcc, s22, v32
                                        ; implicit-def: $vgpr32
	s_and_saveexec_b64 s[0:1], vcc
	s_xor_b64 s[0:1], exec, s[0:1]
; %bb.462:                              ;   in Loop: Header=BB312_176 Depth=1
	v_bfe_u32 v32, v33, 16, 1
	v_add3_u32 v32, v33, v32, s30
                                        ; implicit-def: $vgpr33
; %bb.463:                              ;   in Loop: Header=BB312_176 Depth=1
	s_andn2_saveexec_b64 s[0:1], s[0:1]
; %bb.464:                              ;   in Loop: Header=BB312_176 Depth=1
	v_or_b32_e32 v32, 0x10000, v33
	v_cmp_eq_u32_sdwa vcc, v33, v15 src0_sel:WORD_0 src1_sel:DWORD
	s_nop 1
	v_cndmask_b32_e32 v32, v32, v33, vcc
; %bb.465:                              ;   in Loop: Header=BB312_176 Depth=1
	s_or_b64 exec, exec, s[0:1]
	v_lshlrev_b32_e32 v33, 16, v61
	v_mul_f32_e32 v34, v44, v33
	v_and_b32_e32 v33, 0x7f800000, v34
	v_cmp_ne_u32_e32 vcc, s22, v33
                                        ; implicit-def: $vgpr33
	s_and_saveexec_b64 s[0:1], vcc
	s_xor_b64 s[0:1], exec, s[0:1]
; %bb.466:                              ;   in Loop: Header=BB312_176 Depth=1
	v_bfe_u32 v33, v34, 16, 1
	v_add3_u32 v33, v34, v33, s30
                                        ; implicit-def: $vgpr34
; %bb.467:                              ;   in Loop: Header=BB312_176 Depth=1
	s_andn2_saveexec_b64 s[0:1], s[0:1]
; %bb.468:                              ;   in Loop: Header=BB312_176 Depth=1
	v_or_b32_e32 v33, 0x10000, v34
	v_cmp_eq_u32_sdwa vcc, v34, v15 src0_sel:WORD_0 src1_sel:DWORD
	s_nop 1
	v_cndmask_b32_e32 v33, v33, v34, vcc
; %bb.469:                              ;   in Loop: Header=BB312_176 Depth=1
	s_or_b64 exec, exec, s[0:1]
	v_lshlrev_b32_e32 v34, 16, v60
	v_mul_f32_e32 v35, v45, v34
	v_and_b32_e32 v34, 0x7f800000, v35
	v_cmp_ne_u32_e32 vcc, s22, v34
                                        ; implicit-def: $vgpr34
	s_and_saveexec_b64 s[0:1], vcc
	s_xor_b64 s[0:1], exec, s[0:1]
; %bb.470:                              ;   in Loop: Header=BB312_176 Depth=1
	v_bfe_u32 v34, v35, 16, 1
	v_add3_u32 v34, v35, v34, s30
                                        ; implicit-def: $vgpr35
; %bb.471:                              ;   in Loop: Header=BB312_176 Depth=1
	s_andn2_saveexec_b64 s[0:1], s[0:1]
	s_cbranch_execz .LBB312_174
; %bb.472:                              ;   in Loop: Header=BB312_176 Depth=1
	v_or_b32_e32 v34, 0x10000, v35
	v_cmp_eq_u32_sdwa vcc, v35, v15 src0_sel:WORD_0 src1_sel:DWORD
	s_nop 1
	v_cndmask_b32_e32 v34, v34, v35, vcc
	s_branch .LBB312_174
.LBB312_473:
	s_or_b64 exec, exec, s[10:11]
.LBB312_474:
	s_or_b64 exec, exec, s[8:9]
	ds_bpermute_b32 v6, v21, v2
	ds_bpermute_b32 v7, v21, v3
	ds_bpermute_b32 v8, v21, v4
	ds_bpermute_b32 v9, v21, v5
	v_and_b32_e32 v1, 0x3c1, v0
	v_cmp_eq_u32_e32 vcc, 64, v1
	s_waitcnt lgkmcnt(2)
	v_pk_add_f32 v[6:7], v[2:3], v[6:7]
	s_waitcnt lgkmcnt(0)
	v_pk_add_f32 v[2:3], v[4:5], v[8:9]
	s_barrier
	s_and_saveexec_b64 s[0:1], vcc
	s_cbranch_execz .LBB312_476
; %bb.475:
	v_mov_b32_e32 v1, 0x110
	v_lshl_add_u32 v1, v20, 1, v1
	ds_write2_b32 v1, v6, v7 offset1:32
	ds_write2_b32 v1, v2, v3 offset0:64 offset1:96
.LBB312_476:
	s_or_b64 exec, exec, s[0:1]
	s_waitcnt lgkmcnt(0)
	s_barrier
	s_and_saveexec_b64 s[0:1], s[6:7]
	s_cbranch_execz .LBB312_483
; %bb.477:
	v_cmp_eq_u32_e32 vcc, 0, v22
	v_lshrrev_b32_e32 v1, 1, v0
	s_and_saveexec_b64 s[2:3], vcc
	s_cbranch_execnz .LBB312_503
; %bb.478:
	s_or_b64 exec, exec, s[2:3]
	s_and_saveexec_b64 s[2:3], vcc
	s_cbranch_execnz .LBB312_504
.LBB312_479:
	s_or_b64 exec, exec, s[2:3]
	s_and_saveexec_b64 s[2:3], vcc
	s_cbranch_execnz .LBB312_505
.LBB312_480:
	s_or_b64 exec, exec, s[2:3]
	s_and_saveexec_b64 s[2:3], vcc
	s_cbranch_execz .LBB312_482
.LBB312_481:
	v_mov_b32_e32 v4, 0x110
	v_lshl_add_u32 v1, v1, 2, v4
	ds_read_b32 v1, v1 offset:384
	s_waitcnt lgkmcnt(0)
	v_add_f32_e32 v3, v3, v1
.LBB312_482:
	s_or_b64 exec, exec, s[2:3]
.LBB312_483:
	s_or_b64 exec, exec, s[0:1]
	s_barrier
	s_and_saveexec_b64 s[0:1], s[6:7]
	s_cbranch_execz .LBB312_502
; %bb.484:
	v_cmp_eq_u32_e32 vcc, 0, v22
	s_and_b64 exec, exec, vcc
	s_cbranch_execz .LBB312_502
; %bb.485:
	s_mov_b32 s0, 0x7f800000
	v_and_b32_e32 v1, 0x7f800000, v6
	v_cmp_ne_u32_e32 vcc, s0, v1
                                        ; implicit-def: $vgpr4
	s_and_saveexec_b64 s[0:1], vcc
	s_xor_b64 s[0:1], exec, s[0:1]
; %bb.486:
	v_bfe_u32 v1, v6, 16, 1
	s_movk_i32 s2, 0x7fff
	v_add3_u32 v4, v6, v1, s2
; %bb.487:
	s_andn2_saveexec_b64 s[0:1], s[0:1]
; %bb.488:
	v_mov_b32_e32 v1, 0
	v_or_b32_e32 v4, 0x10000, v6
	v_cmp_eq_u32_sdwa vcc, v6, v1 src0_sel:WORD_0 src1_sel:DWORD
	s_nop 1
	v_cndmask_b32_e32 v4, v4, v6, vcc
; %bb.489:
	s_or_b64 exec, exec, s[0:1]
	s_mul_i32 s0, s24, s16
	s_mul_i32 s0, s0, s5
	s_lshl_b32 s0, s0, 7
	s_ashr_i32 s1, s0, 31
	s_lshl_b64 s[0:1], s[0:1], 1
	s_add_u32 s2, s28, s0
	s_mul_i32 s0, s16, s26
	s_addc_u32 s3, s29, s1
	s_ashr_i32 s1, s0, 31
	s_lshl_b64 s[0:1], s[0:1], 1
	s_add_u32 s2, s2, s0
	s_addc_u32 s3, s3, s1
	s_lshl_b32 s0, s4, 7
	s_ashr_i32 s1, s0, 31
	s_lshl_b64 s[0:1], s[0:1], 1
	s_add_u32 s0, s2, s0
	s_addc_u32 s1, s3, s1
	v_and_b32_e32 v0, 0x3fe, v0
	global_store_short_d16_hi v0, v4, s[0:1]
	s_mov_b32 s2, 0x7f800000
	v_and_b32_e32 v4, 0x7f800000, v7
	v_mov_b32_e32 v1, 0
	v_cmp_ne_u32_e32 vcc, s2, v4
                                        ; implicit-def: $vgpr6
	s_and_saveexec_b64 s[2:3], vcc
	s_xor_b64 s[2:3], exec, s[2:3]
; %bb.490:
	v_bfe_u32 v4, v7, 16, 1
	s_movk_i32 s4, 0x7fff
	v_add3_u32 v6, v7, v4, s4
; %bb.491:
	s_or_saveexec_b64 s[2:3], s[2:3]
	v_lshl_add_u64 v[4:5], s[0:1], 0, v[0:1]
	s_xor_b64 exec, exec, s[2:3]
; %bb.492:
	v_mov_b32_e32 v0, 0
	v_or_b32_e32 v1, 0x10000, v7
	v_cmp_eq_u32_sdwa vcc, v7, v0 src0_sel:WORD_0 src1_sel:DWORD
	s_nop 1
	v_cndmask_b32_e32 v6, v1, v7, vcc
; %bb.493:
	s_or_b64 exec, exec, s[2:3]
	s_mov_b32 s0, 0x7f800000
	v_and_b32_e32 v0, 0x7f800000, v2
	v_cmp_ne_u32_e32 vcc, s0, v0
	global_store_short_d16_hi v[4:5], v6, off offset:64
                                        ; implicit-def: $vgpr0
	s_and_saveexec_b64 s[0:1], vcc
	s_xor_b64 s[0:1], exec, s[0:1]
; %bb.494:
	v_bfe_u32 v0, v2, 16, 1
	s_movk_i32 s2, 0x7fff
	v_add3_u32 v0, v2, v0, s2
; %bb.495:
	s_andn2_saveexec_b64 s[0:1], s[0:1]
; %bb.496:
	v_mov_b32_e32 v0, 0
	v_or_b32_e32 v1, 0x10000, v2
	v_cmp_eq_u32_sdwa vcc, v2, v0 src0_sel:WORD_0 src1_sel:DWORD
	s_nop 1
	v_cndmask_b32_e32 v0, v1, v2, vcc
; %bb.497:
	s_or_b64 exec, exec, s[0:1]
	global_store_short_d16_hi v[4:5], v0, off offset:128
	s_mov_b32 s0, 0x7f800000
	v_and_b32_e32 v0, 0x7f800000, v3
	v_cmp_ne_u32_e32 vcc, s0, v0
                                        ; implicit-def: $vgpr6
	s_and_saveexec_b64 s[0:1], vcc
	s_xor_b64 s[0:1], exec, s[0:1]
; %bb.498:
	v_bfe_u32 v0, v3, 16, 1
	s_movk_i32 s2, 0x7fff
	v_add3_u32 v6, v3, v0, s2
                                        ; implicit-def: $vgpr0_vgpr1_vgpr2_vgpr3
; %bb.499:
	s_andn2_saveexec_b64 s[0:1], s[0:1]
; %bb.500:
	v_mov_b32_e32 v0, 0
	v_or_b32_e32 v1, 0x10000, v3
	v_cmp_eq_u32_sdwa vcc, v3, v0 src0_sel:WORD_0 src1_sel:DWORD
	s_nop 1
	v_cndmask_b32_e32 v6, v1, v3, vcc
; %bb.501:
	s_or_b64 exec, exec, s[0:1]
	global_store_short_d16_hi v[4:5], v6, off offset:192
.LBB312_502:
	s_endpgm
.LBB312_503:
	v_mov_b32_e32 v4, 0x110
	v_lshl_add_u32 v4, v1, 2, v4
	ds_read_b32 v4, v4
	s_waitcnt lgkmcnt(0)
	v_add_f32_e32 v6, v6, v4
	s_or_b64 exec, exec, s[2:3]
	s_and_saveexec_b64 s[2:3], vcc
	s_cbranch_execz .LBB312_479
.LBB312_504:
	v_mov_b32_e32 v4, 0x110
	v_lshl_add_u32 v4, v1, 2, v4
	ds_read_b32 v4, v4 offset:128
	s_waitcnt lgkmcnt(0)
	v_add_f32_e32 v7, v7, v4
	s_or_b64 exec, exec, s[2:3]
	s_and_saveexec_b64 s[2:3], vcc
	s_cbranch_execz .LBB312_480
.LBB312_505:
	v_mov_b32_e32 v4, 0x110
	v_lshl_add_u32 v4, v1, 2, v4
	ds_read_b32 v4, v4 offset:256
	s_waitcnt lgkmcnt(0)
	v_add_f32_e32 v2, v2, v4
	s_or_b64 exec, exec, s[2:3]
	s_and_saveexec_b64 s[2:3], vcc
	s_cbranch_execnz .LBB312_481
	s_branch .LBB312_482
	.section	.rodata,"a",@progbits
	.p2align	6, 0x0
	.amdhsa_kernel _ZN4vllm25paged_attention_v1_kernelI14__hip_bfloat16hLi128ELi16ELi128ELNS_18Fp8KVCacheDataTypeE1ELb1EEEvPT_PKS3_PKT0_S9_ifPKiSB_iPKfiiiSD_SD_iiiii
		.amdhsa_group_segment_fixed_size 272
		.amdhsa_private_segment_fixed_size 0
		.amdhsa_kernarg_size 384
		.amdhsa_user_sgpr_count 2
		.amdhsa_user_sgpr_dispatch_ptr 0
		.amdhsa_user_sgpr_queue_ptr 0
		.amdhsa_user_sgpr_kernarg_segment_ptr 1
		.amdhsa_user_sgpr_dispatch_id 0
		.amdhsa_user_sgpr_kernarg_preload_length 0
		.amdhsa_user_sgpr_kernarg_preload_offset 0
		.amdhsa_user_sgpr_private_segment_size 0
		.amdhsa_uses_dynamic_stack 0
		.amdhsa_enable_private_segment 0
		.amdhsa_system_sgpr_workgroup_id_x 1
		.amdhsa_system_sgpr_workgroup_id_y 1
		.amdhsa_system_sgpr_workgroup_id_z 1
		.amdhsa_system_sgpr_workgroup_info 0
		.amdhsa_system_vgpr_workitem_id 0
		.amdhsa_next_free_vgpr 87
		.amdhsa_next_free_sgpr 54
		.amdhsa_accum_offset 88
		.amdhsa_reserve_vcc 1
		.amdhsa_float_round_mode_32 0
		.amdhsa_float_round_mode_16_64 0
		.amdhsa_float_denorm_mode_32 3
		.amdhsa_float_denorm_mode_16_64 3
		.amdhsa_dx10_clamp 1
		.amdhsa_ieee_mode 1
		.amdhsa_fp16_overflow 0
		.amdhsa_tg_split 0
		.amdhsa_exception_fp_ieee_invalid_op 0
		.amdhsa_exception_fp_denorm_src 0
		.amdhsa_exception_fp_ieee_div_zero 0
		.amdhsa_exception_fp_ieee_overflow 0
		.amdhsa_exception_fp_ieee_underflow 0
		.amdhsa_exception_fp_ieee_inexact 0
		.amdhsa_exception_int_div_zero 0
	.end_amdhsa_kernel
	.section	.text._ZN4vllm25paged_attention_v1_kernelI14__hip_bfloat16hLi128ELi16ELi128ELNS_18Fp8KVCacheDataTypeE1ELb1EEEvPT_PKS3_PKT0_S9_ifPKiSB_iPKfiiiSD_SD_iiiii,"axG",@progbits,_ZN4vllm25paged_attention_v1_kernelI14__hip_bfloat16hLi128ELi16ELi128ELNS_18Fp8KVCacheDataTypeE1ELb1EEEvPT_PKS3_PKT0_S9_ifPKiSB_iPKfiiiSD_SD_iiiii,comdat
.Lfunc_end312:
	.size	_ZN4vllm25paged_attention_v1_kernelI14__hip_bfloat16hLi128ELi16ELi128ELNS_18Fp8KVCacheDataTypeE1ELb1EEEvPT_PKS3_PKT0_S9_ifPKiSB_iPKfiiiSD_SD_iiiii, .Lfunc_end312-_ZN4vllm25paged_attention_v1_kernelI14__hip_bfloat16hLi128ELi16ELi128ELNS_18Fp8KVCacheDataTypeE1ELb1EEEvPT_PKS3_PKT0_S9_ifPKiSB_iPKfiiiSD_SD_iiiii
                                        ; -- End function
	.section	.AMDGPU.csdata,"",@progbits
; Kernel info:
; codeLenInByte = 15716
; NumSgprs: 60
; NumVgprs: 87
; NumAgprs: 0
; TotalNumVgprs: 87
; ScratchSize: 0
; MemoryBound: 0
; FloatMode: 240
; IeeeMode: 1
; LDSByteSize: 272 bytes/workgroup (compile time only)
; SGPRBlocks: 7
; VGPRBlocks: 10
; NumSGPRsForWavesPerEU: 60
; NumVGPRsForWavesPerEU: 87
; AccumOffset: 88
; Occupancy: 5
; WaveLimiterHint : 1
; COMPUTE_PGM_RSRC2:SCRATCH_EN: 0
; COMPUTE_PGM_RSRC2:USER_SGPR: 2
; COMPUTE_PGM_RSRC2:TRAP_HANDLER: 0
; COMPUTE_PGM_RSRC2:TGID_X_EN: 1
; COMPUTE_PGM_RSRC2:TGID_Y_EN: 1
; COMPUTE_PGM_RSRC2:TGID_Z_EN: 1
; COMPUTE_PGM_RSRC2:TIDIG_COMP_CNT: 0
; COMPUTE_PGM_RSRC3_GFX90A:ACCUM_OFFSET: 21
; COMPUTE_PGM_RSRC3_GFX90A:TG_SPLIT: 0
	.section	.text._ZN4vllm25paged_attention_v1_kernelI14__hip_bfloat16hLi192ELi16ELi128ELNS_18Fp8KVCacheDataTypeE1ELb1EEEvPT_PKS3_PKT0_S9_ifPKiSB_iPKfiiiSD_SD_iiiii,"axG",@progbits,_ZN4vllm25paged_attention_v1_kernelI14__hip_bfloat16hLi192ELi16ELi128ELNS_18Fp8KVCacheDataTypeE1ELb1EEEvPT_PKS3_PKT0_S9_ifPKiSB_iPKfiiiSD_SD_iiiii,comdat
	.protected	_ZN4vllm25paged_attention_v1_kernelI14__hip_bfloat16hLi192ELi16ELi128ELNS_18Fp8KVCacheDataTypeE1ELb1EEEvPT_PKS3_PKT0_S9_ifPKiSB_iPKfiiiSD_SD_iiiii ; -- Begin function _ZN4vllm25paged_attention_v1_kernelI14__hip_bfloat16hLi192ELi16ELi128ELNS_18Fp8KVCacheDataTypeE1ELb1EEEvPT_PKS3_PKT0_S9_ifPKiSB_iPKfiiiSD_SD_iiiii
	.globl	_ZN4vllm25paged_attention_v1_kernelI14__hip_bfloat16hLi192ELi16ELi128ELNS_18Fp8KVCacheDataTypeE1ELb1EEEvPT_PKS3_PKT0_S9_ifPKiSB_iPKfiiiSD_SD_iiiii
	.p2align	8
	.type	_ZN4vllm25paged_attention_v1_kernelI14__hip_bfloat16hLi192ELi16ELi128ELNS_18Fp8KVCacheDataTypeE1ELb1EEEvPT_PKS3_PKT0_S9_ifPKiSB_iPKfiiiSD_SD_iiiii,@function
_ZN4vllm25paged_attention_v1_kernelI14__hip_bfloat16hLi192ELi16ELi128ELNS_18Fp8KVCacheDataTypeE1ELb1EEEvPT_PKS3_PKT0_S9_ifPKiSB_iPKfiiiSD_SD_iiiii: ; @_ZN4vllm25paged_attention_v1_kernelI14__hip_bfloat16hLi192ELi16ELi128ELNS_18Fp8KVCacheDataTypeE1ELb1EEEvPT_PKS3_PKT0_S9_ifPKiSB_iPKfiiiSD_SD_iiiii
; %bb.0:
	s_load_dword s5, s[0:1], 0x80
	s_load_dwordx2 s[6:7], s[0:1], 0x30
	s_load_dwordx2 s[36:37], s[0:1], 0x20
	s_mov_b32 s10, s3
	s_ashr_i32 s11, s3, 31
	s_lshl_b64 s[8:9], s[10:11], 2
	s_waitcnt lgkmcnt(0)
	s_add_u32 s6, s6, s8
	s_addc_u32 s7, s7, s9
	s_abs_i32 s3, s36
	v_cvt_f32_u32_e32 v1, s3
	s_sub_i32 s11, 0, s3
	s_abs_i32 s9, s5
	s_xor_b32 s8, s5, s36
	v_rcp_iflag_f32_e32 v1, v1
	s_ashr_i32 s8, s8, 31
	s_mov_b32 s44, 0
	v_mul_f32_e32 v1, 0x4f7ffffe, v1
	v_cvt_u32_f32_e32 v1, v1
	s_nop 0
	v_readfirstlane_b32 s12, v1
	s_mul_i32 s11, s11, s12
	s_mul_hi_u32 s11, s12, s11
	s_add_i32 s12, s12, s11
	s_mul_hi_u32 s11, s9, s12
	s_mul_i32 s12, s11, s3
	s_sub_i32 s9, s9, s12
	s_add_i32 s12, s11, 1
	s_sub_i32 s13, s9, s3
	s_cmp_ge_u32 s9, s3
	s_cselect_b32 s11, s12, s11
	s_cselect_b32 s9, s13, s9
	s_add_i32 s12, s11, 1
	s_cmp_ge_u32 s9, s3
	s_cselect_b32 s3, s12, s11
	s_xor_b32 s3, s3, s8
	s_sub_i32 s14, s3, s8
	s_abs_i32 s11, s14
	v_cvt_f32_u32_e32 v1, s11
	s_load_dwordx2 s[8:9], s[0:1], 0x40
	s_sub_i32 s3, 0, s11
	s_abs_i32 s12, s2
	v_rcp_iflag_f32_e32 v1, v1
	s_nop 0
	v_mul_f32_e32 v1, 0x4f7ffffe, v1
	v_cvt_u32_f32_e32 v1, v1
	s_nop 0
	v_readfirstlane_b32 s13, v1
	s_mul_i32 s3, s3, s13
	s_mul_hi_u32 s3, s13, s3
	s_add_i32 s13, s13, s3
	s_waitcnt lgkmcnt(0)
	s_cmp_eq_u64 s[8:9], 0
	s_mul_hi_u32 s13, s12, s13
	s_cbranch_scc1 .LBB313_2
; %bb.1:
	s_ashr_i32 s3, s2, 31
	s_lshl_b64 s[16:17], s[2:3], 2
	s_add_u32 s8, s8, s16
	s_addc_u32 s9, s9, s17
	s_load_dword s44, s[8:9], 0x0
.LBB313_2:
	s_load_dword s33, s[6:7], 0x0
	s_load_dwordx4 s[16:19], s[0:1], 0x48
	s_movk_i32 s3, 0x60
	s_ashr_i32 s8, s2, 31
	s_ashr_i32 s9, s14, 31
	v_and_b32_e32 v2, 3, v0
	s_mul_i32 s24, s2, 0xc0
	v_cmp_gt_u32_e32 vcc, s3, v0
	s_and_saveexec_b64 s[6:7], vcc
	s_cbranch_execz .LBB313_4
; %bb.3:
	s_load_dwordx2 s[14:15], s[0:1], 0x8
	s_waitcnt lgkmcnt(0)
	s_mul_i32 s20, s10, s16
	s_ashr_i32 s21, s20, 31
	s_lshl_b64 s[20:21], s[20:21], 1
	v_lshlrev_b32_e32 v1, 2, v0
	s_add_u32 s16, s14, s20
	s_addc_u32 s19, s15, s21
	s_ashr_i32 s25, s24, 31
	s_lshl_b64 s[14:15], s[24:25], 1
	s_add_u32 s14, s16, s14
	s_addc_u32 s15, s19, s15
	global_load_dword v1, v1, s[14:15]
	v_and_b32_e32 v3, 0x3fc, v0
	v_mad_u32_u24 v3, v2, s3, v3
	s_waitcnt vmcnt(0)
	ds_write_b32 v3, v1
.LBB313_4:
	s_or_b64 exec, exec, s[6:7]
	s_mul_i32 s7, s13, s11
	s_sub_i32 s7, s12, s7
	s_xor_b32 s6, s8, s9
	s_add_i32 s8, s13, 1
	s_sub_i32 s9, s7, s11
	s_load_dwordx4 s[20:23], s[0:1], 0x68
	s_load_dword s3, s[0:1], 0x78
	s_cmp_ge_u32 s7, s11
	s_cselect_b32 s8, s8, s13
	s_cselect_b32 s7, s9, s7
	s_add_i32 s9, s8, 1
	s_cmp_ge_u32 s7, s11
	s_cselect_b32 s7, s9, s8
	s_waitcnt lgkmcnt(0)
	s_abs_i32 s16, s23
	v_cvt_f32_u32_e32 v1, s16
	s_xor_b32 s7, s7, s6
	s_sub_i32 s43, s7, s6
	s_sub_i32 s6, 0, s16
	v_rcp_iflag_f32_e32 v1, v1
	s_add_i32 s11, s33, -1
	s_abs_i32 s8, s11
	v_mul_f32_e32 v1, 0x4f7ffffe, v1
	v_cvt_u32_f32_e32 v1, v1
	s_barrier
	v_readfirstlane_b32 s25, v1
	s_mul_i32 s6, s6, s25
	s_mul_hi_u32 s6, s25, s6
	s_add_i32 s25, s25, s6
	s_cmp_lt_i32 s3, 0
	s_mul_hi_u32 s9, s8, s25
	s_cbranch_scc0 .LBB313_6
; %bb.5:
	s_mul_i32 s6, s20, s36
	s_add_i32 s6, s43, s6
	s_mul_i32 s6, s6, s3
	s_sub_i32 s36, 1, s6
	s_mov_b64 s[6:7], 0
	s_branch .LBB313_7
.LBB313_6:
	s_mov_b64 s[6:7], -1
                                        ; implicit-def: $sgpr36
.LBB313_7:
	s_load_dwordx2 s[28:29], s[0:1], 0x28
	s_ashr_i32 s19, s11, 31
	s_andn2_b64 vcc, exec, s[6:7]
	s_ashr_i32 s23, s23, 31
	s_cbranch_vccnz .LBB313_9
; %bb.8:
	s_mul_i32 s6, s5, s20
	s_add_i32 s2, s6, s2
	s_mul_i32 s2, s2, s3
	s_add_i32 s36, s2, 1
.LBB313_9:
	s_load_dword s2, s[0:1], 0x38
	s_load_dwordx2 s[26:27], s[0:1], 0x0
	s_load_dwordx2 s[34:35], s[0:1], 0x18
	s_load_dword s11, s[0:1], 0x88
	s_load_dwordx4 s[12:15], s[0:1], 0x58
	s_mul_i32 s3, s9, s16
	s_waitcnt lgkmcnt(0)
	s_mul_i32 s30, s10, s2
	s_sub_i32 s3, s8, s3
	s_ashr_i32 s31, s30, 31
	s_xor_b32 s2, s19, s23
	s_add_i32 s6, s9, 1
	s_sub_i32 s7, s3, s16
	s_cmp_ge_u32 s3, s16
	s_cselect_b32 s6, s6, s9
	s_cselect_b32 s3, s7, s3
	s_add_i32 s7, s6, 1
	s_cmp_ge_u32 s3, s16
	s_cselect_b32 s3, s7, s6
	s_xor_b32 s3, s3, s2
	s_sub_i32 s42, s3, s2
	s_add_i32 s2, s33, 15
	s_ashr_i32 s3, s2, 31
	s_lshr_b32 s3, s3, 28
	s_add_i32 s2, s2, s3
	s_ashr_i32 s20, s2, 4
	v_lshrrev_b32_e32 v1, 6, v0
	v_cmp_gt_i32_e64 s[6:7], s20, v1
	v_mov_b32_e32 v39, 0xff7fffff
	s_mul_i32 s43, s43, s18
	v_lshrrev_b32_e32 v35, 4, v0
	v_lshlrev_b32_e32 v34, 4, v1
	v_mbcnt_lo_u32_b32 v36, -1, 0
	s_and_saveexec_b64 s[18:19], s[6:7]
	s_cbranch_execz .LBB313_211
; %bb.10:
	s_load_dwordx2 s[0:1], s[0:1], 0x10
	s_sub_i32 s45, s42, s21
	s_ashr_i32 s2, s43, 31
	v_bfe_u32 v37, v0, 2, 4
	v_mov_b32_e32 v27, 0
	s_waitcnt lgkmcnt(0)
	s_add_u32 s0, s0, s43
	s_addc_u32 s1, s1, s2
	s_abs_i32 s46, s22
	v_cvt_f32_u32_e32 v3, s46
	v_lshlrev_b32_e32 v26, 4, v37
	v_lshl_add_u64 v[28:29], s[0:1], 0, v[26:27]
	s_sub_i32 s0, 0, s46
	v_rcp_iflag_f32_e32 v3, v3
	v_cmp_eq_u32_e32 vcc, 0, v2
	v_mul_u32_u24_e32 v38, 0x60, v2
	v_lshlrev_b32_e32 v26, 1, v2
	v_mul_f32_e32 v3, 0x4f7ffffe, v3
	v_cvt_u32_f32_e32 v3, v3
	s_mov_b32 s47, s17
	v_cmp_neq_f32_e64 s[2:3], s44, 0
	v_lshlrev_b32_e32 v41, 4, v1
	v_mul_lo_u32 v2, s0, v3
	s_lshl_b64 s[0:1], s[30:31], 2
	v_mul_hi_u32 v2, v3, v2
	s_add_u32 s0, s28, s0
	v_add_u32_e32 v40, v3, v2
	v_and_b32_e32 v2, 60, v35
	v_mov_b32_e32 v3, v27
	s_addc_u32 s1, s29, s1
	v_lshl_add_u64 v[30:31], s[0:1], 0, v[2:3]
	v_lshlrev_b32_e32 v2, 2, v37
	v_lshl_or_b32 v2, v1, 6, v2
	v_add_u32_e32 v42, 0x190, v2
	v_subrev_u32_e32 v2, s33, v37
	v_add_u32_e32 v43, 1, v2
	s_mov_b64 s[38:39], 0
	v_mov_b32_e32 v44, 0xff7fffff
	s_mov_b32 s48, 0xffff
	s_mov_b32 s49, 0x7f800000
	s_movk_i32 s50, 0x7fff
	v_mbcnt_hi_u32_b32 v45, -1, v36
	v_mov_b32_e32 v39, 0xff7fffff
	v_mov_b32_e32 v46, v1
	s_branch .LBB313_13
.LBB313_11:                             ;   in Loop: Header=BB313_13 Depth=1
	s_or_b64 exec, exec, s[40:41]
.LBB313_12:                             ;   in Loop: Header=BB313_13 Depth=1
	s_or_b64 exec, exec, s[8:9]
	v_add_u32_e32 v46, 2, v46
	v_cmp_le_i32_e64 s[0:1], s20, v46
	v_lshl_add_u64 v[30:31], v[30:31], 0, 8
	v_add_u32_e32 v41, 32, v41
	s_or_b64 s[38:39], s[0:1], s[38:39]
	v_add_u32_e32 v42, 0x80, v42
	s_andn2_b64 exec, exec, s[38:39]
	s_cbranch_execz .LBB313_210
.LBB313_13:                             ; =>This Inner Loop Header: Depth=1
	v_mul_hi_u32 v2, v41, s25
	s_waitcnt lgkmcnt(0)
	v_mul_lo_u32 v3, v2, s16
	v_sub_u32_e32 v3, v41, v3
	v_add_u32_e32 v4, 1, v2
	v_cmp_le_u32_e64 s[0:1], s16, v3
	s_nop 1
	v_cndmask_b32_e64 v2, v2, v4, s[0:1]
	v_subrev_u32_e32 v4, s16, v3
	v_cndmask_b32_e64 v3, v3, v4, s[0:1]
	v_add_u32_e32 v4, 1, v2
	v_cmp_le_u32_e64 s[0:1], s16, v3
	s_nop 1
	v_cndmask_b32_e64 v2, v2, v4, s[0:1]
	v_xor_b32_e32 v2, s23, v2
	v_subrev_u32_e32 v2, s23, v2
	v_add_u32_e32 v3, s36, v2
	v_sub_u32_e32 v5, 0, v3
	v_ashrrev_i32_e32 v4, 31, v3
	v_max_i32_e32 v3, v3, v5
	v_mul_hi_u32 v5, v3, v40
	v_mul_lo_u32 v5, v5, s46
	v_sub_u32_e32 v3, v3, v5
	v_subrev_u32_e32 v5, s46, v3
	v_cmp_le_u32_e64 s[0:1], s46, v3
	v_cmp_ge_i32_e64 s[8:9], s45, v2
	s_nop 0
	v_cndmask_b32_e64 v3, v3, v5, s[0:1]
	v_subrev_u32_e32 v5, s46, v3
	v_cmp_le_u32_e64 s[0:1], s46, v3
	s_nop 1
	v_cndmask_b32_e64 v3, v3, v5, s[0:1]
	v_xor_b32_e32 v3, v3, v4
	v_sub_u32_e32 v3, v3, v4
	v_cmp_ne_u32_e64 s[0:1], 0, v3
	s_and_b64 s[0:1], s[0:1], s[8:9]
	s_and_b64 s[40:41], vcc, s[0:1]
	s_and_saveexec_b64 s[8:9], s[40:41]
	s_cbranch_execz .LBB313_15
; %bb.14:                               ;   in Loop: Header=BB313_13 Depth=1
	ds_write_b32 v42, v44
.LBB313_15:                             ;   in Loop: Header=BB313_13 Depth=1
	s_or_b64 exec, exec, s[8:9]
	s_xor_b64 s[0:1], s[0:1], -1
	s_and_saveexec_b64 s[8:9], s[0:1]
	s_cbranch_execz .LBB313_12
; %bb.16:                               ;   in Loop: Header=BB313_13 Depth=1
	global_load_dword v2, v[30:31], off
	s_waitcnt vmcnt(0)
	v_mad_i64_i32 v[2:3], s[0:1], v2, s47, v[28:29]
	v_lshl_add_u64 v[32:33], v[2:3], 0, v[26:27]
	global_load_ushort v48, v[32:33], off
	ds_read_b128 v[22:25], v38
	ds_read_b128 v[18:21], v38 offset:16
	ds_read_b128 v[14:17], v38 offset:32
	;; [unrolled: 1-line block ×3, first 2 shown]
	s_load_dword s51, s[12:13], 0x0
	s_waitcnt vmcnt(0)
	v_and_b32_sdwa v2, s48, v48 dst_sel:DWORD dst_unused:UNUSED_PAD src0_sel:DWORD src1_sel:BYTE_0
	v_cvt_f32_fp8_sdwa v47, v2 src0_sel:BYTE_0
	ds_read_b128 v[6:9], v38 offset:64
	ds_read_b128 v[2:5], v38 offset:80
	s_waitcnt lgkmcnt(0)
	v_mul_f32_e32 v49, s51, v47
	v_and_b32_e32 v47, 0x7f800000, v49
	v_cmp_ne_u32_e64 s[0:1], s49, v47
                                        ; implicit-def: $vgpr47
	s_and_saveexec_b64 s[40:41], s[0:1]
	s_xor_b64 s[0:1], exec, s[40:41]
; %bb.17:                               ;   in Loop: Header=BB313_13 Depth=1
	v_bfe_u32 v47, v49, 16, 1
	v_add3_u32 v47, v49, v47, s50
                                        ; implicit-def: $vgpr49
; %bb.18:                               ;   in Loop: Header=BB313_13 Depth=1
	s_andn2_saveexec_b64 s[40:41], s[0:1]
; %bb.19:                               ;   in Loop: Header=BB313_13 Depth=1
	v_or_b32_e32 v47, 0x10000, v49
	v_cmp_eq_u32_sdwa s[0:1], v49, v27 src0_sel:WORD_0 src1_sel:DWORD
	s_nop 1
	v_cndmask_b32_e64 v47, v47, v49, s[0:1]
; %bb.20:                               ;   in Loop: Header=BB313_13 Depth=1
	s_or_b64 exec, exec, s[40:41]
	v_lshrrev_b16_e32 v48, 8, v48
	v_cvt_f32_fp8_sdwa v48, v48 src0_sel:BYTE_0
	s_nop 0
	v_mul_f32_e32 v49, s51, v48
	v_and_b32_e32 v48, 0x7f800000, v49
	v_cmp_ne_u32_e64 s[0:1], s49, v48
                                        ; implicit-def: $vgpr48
	s_and_saveexec_b64 s[40:41], s[0:1]
	s_xor_b64 s[0:1], exec, s[40:41]
; %bb.21:                               ;   in Loop: Header=BB313_13 Depth=1
	v_bfe_u32 v48, v49, 16, 1
	v_add3_u32 v48, v49, v48, s50
                                        ; implicit-def: $vgpr49
; %bb.22:                               ;   in Loop: Header=BB313_13 Depth=1
	s_andn2_saveexec_b64 s[40:41], s[0:1]
; %bb.23:                               ;   in Loop: Header=BB313_13 Depth=1
	v_or_b32_e32 v48, 0x10000, v49
	v_cmp_eq_u32_sdwa s[0:1], v49, v27 src0_sel:WORD_0 src1_sel:DWORD
	s_nop 1
	v_cndmask_b32_e64 v48, v48, v49, s[0:1]
; %bb.24:                               ;   in Loop: Header=BB313_13 Depth=1
	s_or_b64 exec, exec, s[40:41]
	global_load_ushort v50, v[32:33], off offset:8
	s_waitcnt vmcnt(0)
	v_and_b32_sdwa v49, s48, v50 dst_sel:DWORD dst_unused:UNUSED_PAD src0_sel:DWORD src1_sel:BYTE_0
	v_cvt_f32_fp8_sdwa v49, v49 src0_sel:BYTE_0
	s_nop 0
	v_mul_f32_e32 v51, s51, v49
	v_and_b32_e32 v49, 0x7f800000, v51
	v_cmp_ne_u32_e64 s[0:1], s49, v49
                                        ; implicit-def: $vgpr49
	s_and_saveexec_b64 s[40:41], s[0:1]
	s_xor_b64 s[0:1], exec, s[40:41]
; %bb.25:                               ;   in Loop: Header=BB313_13 Depth=1
	v_bfe_u32 v49, v51, 16, 1
	v_add3_u32 v49, v51, v49, s50
                                        ; implicit-def: $vgpr51
; %bb.26:                               ;   in Loop: Header=BB313_13 Depth=1
	s_andn2_saveexec_b64 s[40:41], s[0:1]
; %bb.27:                               ;   in Loop: Header=BB313_13 Depth=1
	v_or_b32_e32 v49, 0x10000, v51
	v_cmp_eq_u32_sdwa s[0:1], v51, v27 src0_sel:WORD_0 src1_sel:DWORD
	s_nop 1
	v_cndmask_b32_e64 v49, v49, v51, s[0:1]
; %bb.28:                               ;   in Loop: Header=BB313_13 Depth=1
	s_or_b64 exec, exec, s[40:41]
	v_lshrrev_b16_e32 v50, 8, v50
	v_cvt_f32_fp8_sdwa v50, v50 src0_sel:BYTE_0
	s_nop 0
	v_mul_f32_e32 v50, s51, v50
	v_and_b32_e32 v51, 0x7f800000, v50
	v_cmp_ne_u32_e64 s[0:1], s49, v51
                                        ; implicit-def: $vgpr51
	s_and_saveexec_b64 s[40:41], s[0:1]
	s_xor_b64 s[0:1], exec, s[40:41]
; %bb.29:                               ;   in Loop: Header=BB313_13 Depth=1
	v_bfe_u32 v51, v50, 16, 1
	v_add3_u32 v51, v50, v51, s50
                                        ; implicit-def: $vgpr50
; %bb.30:                               ;   in Loop: Header=BB313_13 Depth=1
	s_andn2_saveexec_b64 s[40:41], s[0:1]
; %bb.31:                               ;   in Loop: Header=BB313_13 Depth=1
	v_or_b32_e32 v51, 0x10000, v50
	v_cmp_eq_u32_sdwa s[0:1], v50, v27 src0_sel:WORD_0 src1_sel:DWORD
	s_nop 1
	v_cndmask_b32_e64 v51, v51, v50, s[0:1]
; %bb.32:                               ;   in Loop: Header=BB313_13 Depth=1
	s_or_b64 exec, exec, s[40:41]
	global_load_ushort v52, v[32:33], off offset:256
	s_waitcnt vmcnt(0)
	v_and_b32_sdwa v50, s48, v52 dst_sel:DWORD dst_unused:UNUSED_PAD src0_sel:DWORD src1_sel:BYTE_0
	v_cvt_f32_fp8_sdwa v50, v50 src0_sel:BYTE_0
	s_nop 0
	v_mul_f32_e32 v53, s51, v50
	v_and_b32_e32 v50, 0x7f800000, v53
	v_cmp_ne_u32_e64 s[0:1], s49, v50
                                        ; implicit-def: $vgpr50
	s_and_saveexec_b64 s[40:41], s[0:1]
	s_xor_b64 s[0:1], exec, s[40:41]
; %bb.33:                               ;   in Loop: Header=BB313_13 Depth=1
	v_bfe_u32 v50, v53, 16, 1
	v_add3_u32 v50, v53, v50, s50
                                        ; implicit-def: $vgpr53
; %bb.34:                               ;   in Loop: Header=BB313_13 Depth=1
	s_andn2_saveexec_b64 s[40:41], s[0:1]
; %bb.35:                               ;   in Loop: Header=BB313_13 Depth=1
	v_or_b32_e32 v50, 0x10000, v53
	v_cmp_eq_u32_sdwa s[0:1], v53, v27 src0_sel:WORD_0 src1_sel:DWORD
	s_nop 1
	v_cndmask_b32_e64 v50, v50, v53, s[0:1]
; %bb.36:                               ;   in Loop: Header=BB313_13 Depth=1
	s_or_b64 exec, exec, s[40:41]
	v_lshrrev_b16_e32 v52, 8, v52
	v_cvt_f32_fp8_sdwa v52, v52 src0_sel:BYTE_0
	s_nop 0
	v_mul_f32_e32 v53, s51, v52
	v_and_b32_e32 v52, 0x7f800000, v53
	v_cmp_ne_u32_e64 s[0:1], s49, v52
                                        ; implicit-def: $vgpr52
	s_and_saveexec_b64 s[40:41], s[0:1]
	s_xor_b64 s[0:1], exec, s[40:41]
; %bb.37:                               ;   in Loop: Header=BB313_13 Depth=1
	v_bfe_u32 v52, v53, 16, 1
	v_add3_u32 v52, v53, v52, s50
                                        ; implicit-def: $vgpr53
; %bb.38:                               ;   in Loop: Header=BB313_13 Depth=1
	s_andn2_saveexec_b64 s[40:41], s[0:1]
; %bb.39:                               ;   in Loop: Header=BB313_13 Depth=1
	v_or_b32_e32 v52, 0x10000, v53
	v_cmp_eq_u32_sdwa s[0:1], v53, v27 src0_sel:WORD_0 src1_sel:DWORD
	s_nop 1
	v_cndmask_b32_e64 v52, v52, v53, s[0:1]
; %bb.40:                               ;   in Loop: Header=BB313_13 Depth=1
	s_or_b64 exec, exec, s[40:41]
	global_load_ushort v53, v[32:33], off offset:264
	s_waitcnt vmcnt(0)
	v_and_b32_sdwa v54, s48, v53 dst_sel:DWORD dst_unused:UNUSED_PAD src0_sel:DWORD src1_sel:BYTE_0
	v_cvt_f32_fp8_sdwa v54, v54 src0_sel:BYTE_0
	s_nop 0
	v_mul_f32_e32 v55, s51, v54
	v_and_b32_e32 v54, 0x7f800000, v55
	v_cmp_ne_u32_e64 s[0:1], s49, v54
                                        ; implicit-def: $vgpr54
	s_and_saveexec_b64 s[40:41], s[0:1]
	s_xor_b64 s[0:1], exec, s[40:41]
; %bb.41:                               ;   in Loop: Header=BB313_13 Depth=1
	v_bfe_u32 v54, v55, 16, 1
	v_add3_u32 v54, v55, v54, s50
                                        ; implicit-def: $vgpr55
; %bb.42:                               ;   in Loop: Header=BB313_13 Depth=1
	s_andn2_saveexec_b64 s[40:41], s[0:1]
; %bb.43:                               ;   in Loop: Header=BB313_13 Depth=1
	v_or_b32_e32 v54, 0x10000, v55
	v_cmp_eq_u32_sdwa s[0:1], v55, v27 src0_sel:WORD_0 src1_sel:DWORD
	s_nop 1
	v_cndmask_b32_e64 v54, v54, v55, s[0:1]
; %bb.44:                               ;   in Loop: Header=BB313_13 Depth=1
	s_or_b64 exec, exec, s[40:41]
	v_lshrrev_b16_e32 v53, 8, v53
	v_cvt_f32_fp8_sdwa v53, v53 src0_sel:BYTE_0
	s_nop 0
	v_mul_f32_e32 v55, s51, v53
	v_and_b32_e32 v53, 0x7f800000, v55
	v_cmp_ne_u32_e64 s[0:1], s49, v53
                                        ; implicit-def: $vgpr53
	s_and_saveexec_b64 s[40:41], s[0:1]
	s_xor_b64 s[0:1], exec, s[40:41]
; %bb.45:                               ;   in Loop: Header=BB313_13 Depth=1
	v_bfe_u32 v53, v55, 16, 1
	v_add3_u32 v53, v55, v53, s50
                                        ; implicit-def: $vgpr55
; %bb.46:                               ;   in Loop: Header=BB313_13 Depth=1
	s_andn2_saveexec_b64 s[40:41], s[0:1]
; %bb.47:                               ;   in Loop: Header=BB313_13 Depth=1
	v_or_b32_e32 v53, 0x10000, v55
	v_cmp_eq_u32_sdwa s[0:1], v55, v27 src0_sel:WORD_0 src1_sel:DWORD
	s_nop 1
	v_cndmask_b32_e64 v53, v53, v55, s[0:1]
; %bb.48:                               ;   in Loop: Header=BB313_13 Depth=1
	s_or_b64 exec, exec, s[40:41]
	global_load_ushort v56, v[32:33], off offset:512
	s_waitcnt vmcnt(0)
	v_and_b32_sdwa v55, s48, v56 dst_sel:DWORD dst_unused:UNUSED_PAD src0_sel:DWORD src1_sel:BYTE_0
	v_cvt_f32_fp8_sdwa v55, v55 src0_sel:BYTE_0
	s_nop 0
	v_mul_f32_e32 v57, s51, v55
	v_and_b32_e32 v55, 0x7f800000, v57
	v_cmp_ne_u32_e64 s[0:1], s49, v55
                                        ; implicit-def: $vgpr55
	s_and_saveexec_b64 s[40:41], s[0:1]
	s_xor_b64 s[0:1], exec, s[40:41]
; %bb.49:                               ;   in Loop: Header=BB313_13 Depth=1
	v_bfe_u32 v55, v57, 16, 1
	v_add3_u32 v55, v57, v55, s50
                                        ; implicit-def: $vgpr57
; %bb.50:                               ;   in Loop: Header=BB313_13 Depth=1
	s_andn2_saveexec_b64 s[40:41], s[0:1]
; %bb.51:                               ;   in Loop: Header=BB313_13 Depth=1
	v_or_b32_e32 v55, 0x10000, v57
	v_cmp_eq_u32_sdwa s[0:1], v57, v27 src0_sel:WORD_0 src1_sel:DWORD
	s_nop 1
	v_cndmask_b32_e64 v55, v55, v57, s[0:1]
; %bb.52:                               ;   in Loop: Header=BB313_13 Depth=1
	s_or_b64 exec, exec, s[40:41]
	v_lshrrev_b16_e32 v56, 8, v56
	v_cvt_f32_fp8_sdwa v56, v56 src0_sel:BYTE_0
	s_nop 0
	v_mul_f32_e32 v57, s51, v56
	v_and_b32_e32 v56, 0x7f800000, v57
	v_cmp_ne_u32_e64 s[0:1], s49, v56
                                        ; implicit-def: $vgpr56
	s_and_saveexec_b64 s[40:41], s[0:1]
	s_xor_b64 s[0:1], exec, s[40:41]
; %bb.53:                               ;   in Loop: Header=BB313_13 Depth=1
	v_bfe_u32 v56, v57, 16, 1
	v_add3_u32 v56, v57, v56, s50
                                        ; implicit-def: $vgpr57
; %bb.54:                               ;   in Loop: Header=BB313_13 Depth=1
	s_andn2_saveexec_b64 s[40:41], s[0:1]
; %bb.55:                               ;   in Loop: Header=BB313_13 Depth=1
	v_or_b32_e32 v56, 0x10000, v57
	v_cmp_eq_u32_sdwa s[0:1], v57, v27 src0_sel:WORD_0 src1_sel:DWORD
	s_nop 1
	v_cndmask_b32_e64 v56, v56, v57, s[0:1]
; %bb.56:                               ;   in Loop: Header=BB313_13 Depth=1
	s_or_b64 exec, exec, s[40:41]
	global_load_ushort v58, v[32:33], off offset:520
	s_waitcnt vmcnt(0)
	v_and_b32_sdwa v57, s48, v58 dst_sel:DWORD dst_unused:UNUSED_PAD src0_sel:DWORD src1_sel:BYTE_0
	v_cvt_f32_fp8_sdwa v57, v57 src0_sel:BYTE_0
	s_nop 0
	v_mul_f32_e32 v59, s51, v57
	v_and_b32_e32 v57, 0x7f800000, v59
	v_cmp_ne_u32_e64 s[0:1], s49, v57
                                        ; implicit-def: $vgpr57
	s_and_saveexec_b64 s[40:41], s[0:1]
	s_xor_b64 s[0:1], exec, s[40:41]
; %bb.57:                               ;   in Loop: Header=BB313_13 Depth=1
	v_bfe_u32 v57, v59, 16, 1
	v_add3_u32 v57, v59, v57, s50
                                        ; implicit-def: $vgpr59
; %bb.58:                               ;   in Loop: Header=BB313_13 Depth=1
	s_andn2_saveexec_b64 s[40:41], s[0:1]
; %bb.59:                               ;   in Loop: Header=BB313_13 Depth=1
	v_or_b32_e32 v57, 0x10000, v59
	v_cmp_eq_u32_sdwa s[0:1], v59, v27 src0_sel:WORD_0 src1_sel:DWORD
	s_nop 1
	v_cndmask_b32_e64 v57, v57, v59, s[0:1]
; %bb.60:                               ;   in Loop: Header=BB313_13 Depth=1
	s_or_b64 exec, exec, s[40:41]
	v_lshrrev_b16_e32 v58, 8, v58
	v_cvt_f32_fp8_sdwa v58, v58 src0_sel:BYTE_0
	s_nop 0
	v_mul_f32_e32 v59, s51, v58
	v_and_b32_e32 v58, 0x7f800000, v59
	v_cmp_ne_u32_e64 s[0:1], s49, v58
                                        ; implicit-def: $vgpr58
	s_and_saveexec_b64 s[40:41], s[0:1]
	s_xor_b64 s[0:1], exec, s[40:41]
; %bb.61:                               ;   in Loop: Header=BB313_13 Depth=1
	v_bfe_u32 v58, v59, 16, 1
	v_add3_u32 v58, v59, v58, s50
                                        ; implicit-def: $vgpr59
; %bb.62:                               ;   in Loop: Header=BB313_13 Depth=1
	s_andn2_saveexec_b64 s[40:41], s[0:1]
; %bb.63:                               ;   in Loop: Header=BB313_13 Depth=1
	v_or_b32_e32 v58, 0x10000, v59
	v_cmp_eq_u32_sdwa s[0:1], v59, v27 src0_sel:WORD_0 src1_sel:DWORD
	s_nop 1
	v_cndmask_b32_e64 v58, v58, v59, s[0:1]
; %bb.64:                               ;   in Loop: Header=BB313_13 Depth=1
	s_or_b64 exec, exec, s[40:41]
	global_load_ushort v60, v[32:33], off offset:768
	s_waitcnt vmcnt(0)
	v_and_b32_sdwa v59, s48, v60 dst_sel:DWORD dst_unused:UNUSED_PAD src0_sel:DWORD src1_sel:BYTE_0
	v_cvt_f32_fp8_sdwa v59, v59 src0_sel:BYTE_0
	s_nop 0
	v_mul_f32_e32 v61, s51, v59
	v_and_b32_e32 v59, 0x7f800000, v61
	v_cmp_ne_u32_e64 s[0:1], s49, v59
                                        ; implicit-def: $vgpr59
	s_and_saveexec_b64 s[40:41], s[0:1]
	s_xor_b64 s[0:1], exec, s[40:41]
; %bb.65:                               ;   in Loop: Header=BB313_13 Depth=1
	v_bfe_u32 v59, v61, 16, 1
	v_add3_u32 v59, v61, v59, s50
                                        ; implicit-def: $vgpr61
; %bb.66:                               ;   in Loop: Header=BB313_13 Depth=1
	s_andn2_saveexec_b64 s[40:41], s[0:1]
; %bb.67:                               ;   in Loop: Header=BB313_13 Depth=1
	v_or_b32_e32 v59, 0x10000, v61
	v_cmp_eq_u32_sdwa s[0:1], v61, v27 src0_sel:WORD_0 src1_sel:DWORD
	s_nop 1
	v_cndmask_b32_e64 v59, v59, v61, s[0:1]
; %bb.68:                               ;   in Loop: Header=BB313_13 Depth=1
	s_or_b64 exec, exec, s[40:41]
	v_lshrrev_b16_e32 v60, 8, v60
	v_cvt_f32_fp8_sdwa v60, v60 src0_sel:BYTE_0
	s_nop 0
	v_mul_f32_e32 v61, s51, v60
	v_and_b32_e32 v60, 0x7f800000, v61
	v_cmp_ne_u32_e64 s[0:1], s49, v60
                                        ; implicit-def: $vgpr60
	s_and_saveexec_b64 s[40:41], s[0:1]
	s_xor_b64 s[0:1], exec, s[40:41]
; %bb.69:                               ;   in Loop: Header=BB313_13 Depth=1
	v_bfe_u32 v60, v61, 16, 1
	v_add3_u32 v60, v61, v60, s50
                                        ; implicit-def: $vgpr61
; %bb.70:                               ;   in Loop: Header=BB313_13 Depth=1
	s_andn2_saveexec_b64 s[40:41], s[0:1]
; %bb.71:                               ;   in Loop: Header=BB313_13 Depth=1
	v_or_b32_e32 v60, 0x10000, v61
	v_cmp_eq_u32_sdwa s[0:1], v61, v27 src0_sel:WORD_0 src1_sel:DWORD
	s_nop 1
	v_cndmask_b32_e64 v60, v60, v61, s[0:1]
; %bb.72:                               ;   in Loop: Header=BB313_13 Depth=1
	s_or_b64 exec, exec, s[40:41]
	global_load_ushort v62, v[32:33], off offset:776
	s_waitcnt vmcnt(0)
	v_and_b32_sdwa v61, s48, v62 dst_sel:DWORD dst_unused:UNUSED_PAD src0_sel:DWORD src1_sel:BYTE_0
	v_cvt_f32_fp8_sdwa v61, v61 src0_sel:BYTE_0
	s_nop 0
	v_mul_f32_e32 v63, s51, v61
	v_and_b32_e32 v61, 0x7f800000, v63
	v_cmp_ne_u32_e64 s[0:1], s49, v61
                                        ; implicit-def: $vgpr61
	s_and_saveexec_b64 s[40:41], s[0:1]
	s_xor_b64 s[0:1], exec, s[40:41]
; %bb.73:                               ;   in Loop: Header=BB313_13 Depth=1
	v_bfe_u32 v61, v63, 16, 1
	v_add3_u32 v61, v63, v61, s50
                                        ; implicit-def: $vgpr63
; %bb.74:                               ;   in Loop: Header=BB313_13 Depth=1
	s_andn2_saveexec_b64 s[40:41], s[0:1]
; %bb.75:                               ;   in Loop: Header=BB313_13 Depth=1
	v_or_b32_e32 v61, 0x10000, v63
	v_cmp_eq_u32_sdwa s[0:1], v63, v27 src0_sel:WORD_0 src1_sel:DWORD
	s_nop 1
	v_cndmask_b32_e64 v61, v61, v63, s[0:1]
; %bb.76:                               ;   in Loop: Header=BB313_13 Depth=1
	s_or_b64 exec, exec, s[40:41]
	v_lshrrev_b16_e32 v62, 8, v62
	v_cvt_f32_fp8_sdwa v62, v62 src0_sel:BYTE_0
	s_nop 0
	v_mul_f32_e32 v63, s51, v62
	v_and_b32_e32 v62, 0x7f800000, v63
	v_cmp_ne_u32_e64 s[0:1], s49, v62
                                        ; implicit-def: $vgpr62
	s_and_saveexec_b64 s[40:41], s[0:1]
	s_xor_b64 s[0:1], exec, s[40:41]
; %bb.77:                               ;   in Loop: Header=BB313_13 Depth=1
	v_bfe_u32 v62, v63, 16, 1
	v_add3_u32 v62, v63, v62, s50
                                        ; implicit-def: $vgpr63
; %bb.78:                               ;   in Loop: Header=BB313_13 Depth=1
	s_andn2_saveexec_b64 s[40:41], s[0:1]
; %bb.79:                               ;   in Loop: Header=BB313_13 Depth=1
	v_or_b32_e32 v62, 0x10000, v63
	v_cmp_eq_u32_sdwa s[0:1], v63, v27 src0_sel:WORD_0 src1_sel:DWORD
	s_nop 1
	v_cndmask_b32_e64 v62, v62, v63, s[0:1]
; %bb.80:                               ;   in Loop: Header=BB313_13 Depth=1
	s_or_b64 exec, exec, s[40:41]
	global_load_ushort v64, v[32:33], off offset:1024
	s_waitcnt vmcnt(0)
	v_and_b32_sdwa v63, s48, v64 dst_sel:DWORD dst_unused:UNUSED_PAD src0_sel:DWORD src1_sel:BYTE_0
	v_cvt_f32_fp8_sdwa v63, v63 src0_sel:BYTE_0
	s_nop 0
	v_mul_f32_e32 v65, s51, v63
	v_and_b32_e32 v63, 0x7f800000, v65
	v_cmp_ne_u32_e64 s[0:1], s49, v63
                                        ; implicit-def: $vgpr63
	s_and_saveexec_b64 s[40:41], s[0:1]
	s_xor_b64 s[0:1], exec, s[40:41]
; %bb.81:                               ;   in Loop: Header=BB313_13 Depth=1
	v_bfe_u32 v63, v65, 16, 1
	v_add3_u32 v63, v65, v63, s50
                                        ; implicit-def: $vgpr65
; %bb.82:                               ;   in Loop: Header=BB313_13 Depth=1
	s_andn2_saveexec_b64 s[40:41], s[0:1]
; %bb.83:                               ;   in Loop: Header=BB313_13 Depth=1
	v_or_b32_e32 v63, 0x10000, v65
	v_cmp_eq_u32_sdwa s[0:1], v65, v27 src0_sel:WORD_0 src1_sel:DWORD
	s_nop 1
	v_cndmask_b32_e64 v63, v63, v65, s[0:1]
; %bb.84:                               ;   in Loop: Header=BB313_13 Depth=1
	s_or_b64 exec, exec, s[40:41]
	v_lshrrev_b16_e32 v64, 8, v64
	v_cvt_f32_fp8_sdwa v64, v64 src0_sel:BYTE_0
	s_nop 0
	v_mul_f32_e32 v65, s51, v64
	v_and_b32_e32 v64, 0x7f800000, v65
	v_cmp_ne_u32_e64 s[0:1], s49, v64
                                        ; implicit-def: $vgpr64
	s_and_saveexec_b64 s[40:41], s[0:1]
	s_xor_b64 s[0:1], exec, s[40:41]
; %bb.85:                               ;   in Loop: Header=BB313_13 Depth=1
	v_bfe_u32 v64, v65, 16, 1
	v_add3_u32 v64, v65, v64, s50
                                        ; implicit-def: $vgpr65
; %bb.86:                               ;   in Loop: Header=BB313_13 Depth=1
	s_andn2_saveexec_b64 s[40:41], s[0:1]
; %bb.87:                               ;   in Loop: Header=BB313_13 Depth=1
	v_or_b32_e32 v64, 0x10000, v65
	v_cmp_eq_u32_sdwa s[0:1], v65, v27 src0_sel:WORD_0 src1_sel:DWORD
	s_nop 1
	v_cndmask_b32_e64 v64, v64, v65, s[0:1]
; %bb.88:                               ;   in Loop: Header=BB313_13 Depth=1
	s_or_b64 exec, exec, s[40:41]
	global_load_ushort v66, v[32:33], off offset:1032
	s_waitcnt vmcnt(0)
	v_and_b32_sdwa v65, s48, v66 dst_sel:DWORD dst_unused:UNUSED_PAD src0_sel:DWORD src1_sel:BYTE_0
	v_cvt_f32_fp8_sdwa v65, v65 src0_sel:BYTE_0
	s_nop 0
	v_mul_f32_e32 v67, s51, v65
	v_and_b32_e32 v65, 0x7f800000, v67
	v_cmp_ne_u32_e64 s[0:1], s49, v65
                                        ; implicit-def: $vgpr65
	s_and_saveexec_b64 s[40:41], s[0:1]
	s_xor_b64 s[0:1], exec, s[40:41]
; %bb.89:                               ;   in Loop: Header=BB313_13 Depth=1
	v_bfe_u32 v65, v67, 16, 1
	v_add3_u32 v65, v67, v65, s50
                                        ; implicit-def: $vgpr67
; %bb.90:                               ;   in Loop: Header=BB313_13 Depth=1
	s_andn2_saveexec_b64 s[40:41], s[0:1]
; %bb.91:                               ;   in Loop: Header=BB313_13 Depth=1
	v_or_b32_e32 v65, 0x10000, v67
	v_cmp_eq_u32_sdwa s[0:1], v67, v27 src0_sel:WORD_0 src1_sel:DWORD
	s_nop 1
	v_cndmask_b32_e64 v65, v65, v67, s[0:1]
; %bb.92:                               ;   in Loop: Header=BB313_13 Depth=1
	s_or_b64 exec, exec, s[40:41]
	v_lshrrev_b16_e32 v66, 8, v66
	v_cvt_f32_fp8_sdwa v66, v66 src0_sel:BYTE_0
	s_nop 0
	v_mul_f32_e32 v67, s51, v66
	v_and_b32_e32 v66, 0x7f800000, v67
	v_cmp_ne_u32_e64 s[0:1], s49, v66
                                        ; implicit-def: $vgpr66
	s_and_saveexec_b64 s[40:41], s[0:1]
	s_xor_b64 s[0:1], exec, s[40:41]
; %bb.93:                               ;   in Loop: Header=BB313_13 Depth=1
	v_bfe_u32 v66, v67, 16, 1
	v_add3_u32 v66, v67, v66, s50
                                        ; implicit-def: $vgpr67
; %bb.94:                               ;   in Loop: Header=BB313_13 Depth=1
	s_andn2_saveexec_b64 s[40:41], s[0:1]
; %bb.95:                               ;   in Loop: Header=BB313_13 Depth=1
	v_or_b32_e32 v66, 0x10000, v67
	v_cmp_eq_u32_sdwa s[0:1], v67, v27 src0_sel:WORD_0 src1_sel:DWORD
	s_nop 1
	v_cndmask_b32_e64 v66, v66, v67, s[0:1]
; %bb.96:                               ;   in Loop: Header=BB313_13 Depth=1
	s_or_b64 exec, exec, s[40:41]
	global_load_ushort v68, v[32:33], off offset:1280
	s_waitcnt vmcnt(0)
	v_and_b32_sdwa v67, s48, v68 dst_sel:DWORD dst_unused:UNUSED_PAD src0_sel:DWORD src1_sel:BYTE_0
	v_cvt_f32_fp8_sdwa v67, v67 src0_sel:BYTE_0
	s_nop 0
	v_mul_f32_e32 v69, s51, v67
	v_and_b32_e32 v67, 0x7f800000, v69
	v_cmp_ne_u32_e64 s[0:1], s49, v67
                                        ; implicit-def: $vgpr67
	s_and_saveexec_b64 s[40:41], s[0:1]
	s_xor_b64 s[0:1], exec, s[40:41]
; %bb.97:                               ;   in Loop: Header=BB313_13 Depth=1
	v_bfe_u32 v67, v69, 16, 1
	v_add3_u32 v67, v69, v67, s50
                                        ; implicit-def: $vgpr69
; %bb.98:                               ;   in Loop: Header=BB313_13 Depth=1
	s_andn2_saveexec_b64 s[40:41], s[0:1]
; %bb.99:                               ;   in Loop: Header=BB313_13 Depth=1
	v_or_b32_e32 v67, 0x10000, v69
	v_cmp_eq_u32_sdwa s[0:1], v69, v27 src0_sel:WORD_0 src1_sel:DWORD
	s_nop 1
	v_cndmask_b32_e64 v67, v67, v69, s[0:1]
; %bb.100:                              ;   in Loop: Header=BB313_13 Depth=1
	s_or_b64 exec, exec, s[40:41]
	v_lshrrev_b16_e32 v68, 8, v68
	v_cvt_f32_fp8_sdwa v68, v68 src0_sel:BYTE_0
	s_nop 0
	v_mul_f32_e32 v69, s51, v68
	v_and_b32_e32 v68, 0x7f800000, v69
	v_cmp_ne_u32_e64 s[0:1], s49, v68
                                        ; implicit-def: $vgpr68
	s_and_saveexec_b64 s[40:41], s[0:1]
	s_xor_b64 s[0:1], exec, s[40:41]
; %bb.101:                              ;   in Loop: Header=BB313_13 Depth=1
	v_bfe_u32 v68, v69, 16, 1
	v_add3_u32 v68, v69, v68, s50
                                        ; implicit-def: $vgpr69
; %bb.102:                              ;   in Loop: Header=BB313_13 Depth=1
	s_andn2_saveexec_b64 s[40:41], s[0:1]
; %bb.103:                              ;   in Loop: Header=BB313_13 Depth=1
	v_or_b32_e32 v68, 0x10000, v69
	v_cmp_eq_u32_sdwa s[0:1], v69, v27 src0_sel:WORD_0 src1_sel:DWORD
	s_nop 1
	v_cndmask_b32_e64 v68, v68, v69, s[0:1]
; %bb.104:                              ;   in Loop: Header=BB313_13 Depth=1
	s_or_b64 exec, exec, s[40:41]
	global_load_ushort v70, v[32:33], off offset:1288
	s_waitcnt vmcnt(0)
	v_and_b32_sdwa v69, s48, v70 dst_sel:DWORD dst_unused:UNUSED_PAD src0_sel:DWORD src1_sel:BYTE_0
	v_cvt_f32_fp8_sdwa v69, v69 src0_sel:BYTE_0
	s_nop 0
	v_mul_f32_e32 v71, s51, v69
	v_and_b32_e32 v69, 0x7f800000, v71
	v_cmp_ne_u32_e64 s[0:1], s49, v69
                                        ; implicit-def: $vgpr69
	s_and_saveexec_b64 s[40:41], s[0:1]
	s_xor_b64 s[0:1], exec, s[40:41]
; %bb.105:                              ;   in Loop: Header=BB313_13 Depth=1
	v_bfe_u32 v69, v71, 16, 1
	v_add3_u32 v69, v71, v69, s50
                                        ; implicit-def: $vgpr71
; %bb.106:                              ;   in Loop: Header=BB313_13 Depth=1
	s_andn2_saveexec_b64 s[40:41], s[0:1]
; %bb.107:                              ;   in Loop: Header=BB313_13 Depth=1
	v_or_b32_e32 v69, 0x10000, v71
	v_cmp_eq_u32_sdwa s[0:1], v71, v27 src0_sel:WORD_0 src1_sel:DWORD
	s_nop 1
	v_cndmask_b32_e64 v69, v69, v71, s[0:1]
; %bb.108:                              ;   in Loop: Header=BB313_13 Depth=1
	s_or_b64 exec, exec, s[40:41]
	v_lshrrev_b16_e32 v70, 8, v70
	v_cvt_f32_fp8_sdwa v70, v70 src0_sel:BYTE_0
	s_nop 0
	v_mul_f32_e32 v71, s51, v70
	v_and_b32_e32 v70, 0x7f800000, v71
	v_cmp_ne_u32_e64 s[0:1], s49, v70
                                        ; implicit-def: $vgpr70
	s_and_saveexec_b64 s[40:41], s[0:1]
	s_xor_b64 s[0:1], exec, s[40:41]
; %bb.109:                              ;   in Loop: Header=BB313_13 Depth=1
	v_bfe_u32 v70, v71, 16, 1
	v_add3_u32 v70, v71, v70, s50
                                        ; implicit-def: $vgpr71
; %bb.110:                              ;   in Loop: Header=BB313_13 Depth=1
	s_andn2_saveexec_b64 s[40:41], s[0:1]
; %bb.111:                              ;   in Loop: Header=BB313_13 Depth=1
	v_or_b32_e32 v70, 0x10000, v71
	v_cmp_eq_u32_sdwa s[0:1], v71, v27 src0_sel:WORD_0 src1_sel:DWORD
	s_nop 1
	v_cndmask_b32_e64 v70, v70, v71, s[0:1]
; %bb.112:                              ;   in Loop: Header=BB313_13 Depth=1
	s_or_b64 exec, exec, s[40:41]
	global_load_ushort v72, v[32:33], off offset:1536
	s_waitcnt vmcnt(0)
	v_and_b32_sdwa v71, s48, v72 dst_sel:DWORD dst_unused:UNUSED_PAD src0_sel:DWORD src1_sel:BYTE_0
	v_cvt_f32_fp8_sdwa v71, v71 src0_sel:BYTE_0
	s_nop 0
	v_mul_f32_e32 v73, s51, v71
	v_and_b32_e32 v71, 0x7f800000, v73
	v_cmp_ne_u32_e64 s[0:1], s49, v71
                                        ; implicit-def: $vgpr71
	s_and_saveexec_b64 s[40:41], s[0:1]
	s_xor_b64 s[0:1], exec, s[40:41]
; %bb.113:                              ;   in Loop: Header=BB313_13 Depth=1
	v_bfe_u32 v71, v73, 16, 1
	v_add3_u32 v71, v73, v71, s50
                                        ; implicit-def: $vgpr73
; %bb.114:                              ;   in Loop: Header=BB313_13 Depth=1
	s_andn2_saveexec_b64 s[40:41], s[0:1]
; %bb.115:                              ;   in Loop: Header=BB313_13 Depth=1
	v_or_b32_e32 v71, 0x10000, v73
	v_cmp_eq_u32_sdwa s[0:1], v73, v27 src0_sel:WORD_0 src1_sel:DWORD
	s_nop 1
	v_cndmask_b32_e64 v71, v71, v73, s[0:1]
; %bb.116:                              ;   in Loop: Header=BB313_13 Depth=1
	s_or_b64 exec, exec, s[40:41]
	v_lshrrev_b16_e32 v72, 8, v72
	v_cvt_f32_fp8_sdwa v72, v72 src0_sel:BYTE_0
	s_nop 0
	v_mul_f32_e32 v73, s51, v72
	v_and_b32_e32 v72, 0x7f800000, v73
	v_cmp_ne_u32_e64 s[0:1], s49, v72
                                        ; implicit-def: $vgpr72
	s_and_saveexec_b64 s[40:41], s[0:1]
	s_xor_b64 s[0:1], exec, s[40:41]
; %bb.117:                              ;   in Loop: Header=BB313_13 Depth=1
	v_bfe_u32 v72, v73, 16, 1
	v_add3_u32 v72, v73, v72, s50
                                        ; implicit-def: $vgpr73
; %bb.118:                              ;   in Loop: Header=BB313_13 Depth=1
	s_andn2_saveexec_b64 s[40:41], s[0:1]
; %bb.119:                              ;   in Loop: Header=BB313_13 Depth=1
	v_or_b32_e32 v72, 0x10000, v73
	v_cmp_eq_u32_sdwa s[0:1], v73, v27 src0_sel:WORD_0 src1_sel:DWORD
	s_nop 1
	v_cndmask_b32_e64 v72, v72, v73, s[0:1]
; %bb.120:                              ;   in Loop: Header=BB313_13 Depth=1
	s_or_b64 exec, exec, s[40:41]
	global_load_ushort v74, v[32:33], off offset:1544
	s_waitcnt vmcnt(0)
	v_and_b32_sdwa v73, s48, v74 dst_sel:DWORD dst_unused:UNUSED_PAD src0_sel:DWORD src1_sel:BYTE_0
	v_cvt_f32_fp8_sdwa v73, v73 src0_sel:BYTE_0
	s_nop 0
	v_mul_f32_e32 v75, s51, v73
	v_and_b32_e32 v73, 0x7f800000, v75
	v_cmp_ne_u32_e64 s[0:1], s49, v73
                                        ; implicit-def: $vgpr73
	s_and_saveexec_b64 s[40:41], s[0:1]
	s_xor_b64 s[0:1], exec, s[40:41]
; %bb.121:                              ;   in Loop: Header=BB313_13 Depth=1
	v_bfe_u32 v73, v75, 16, 1
	v_add3_u32 v73, v75, v73, s50
                                        ; implicit-def: $vgpr75
; %bb.122:                              ;   in Loop: Header=BB313_13 Depth=1
	s_andn2_saveexec_b64 s[40:41], s[0:1]
; %bb.123:                              ;   in Loop: Header=BB313_13 Depth=1
	v_or_b32_e32 v73, 0x10000, v75
	v_cmp_eq_u32_sdwa s[0:1], v75, v27 src0_sel:WORD_0 src1_sel:DWORD
	s_nop 1
	v_cndmask_b32_e64 v73, v73, v75, s[0:1]
; %bb.124:                              ;   in Loop: Header=BB313_13 Depth=1
	s_or_b64 exec, exec, s[40:41]
	v_lshrrev_b16_e32 v74, 8, v74
	v_cvt_f32_fp8_sdwa v74, v74 src0_sel:BYTE_0
	s_nop 0
	v_mul_f32_e32 v75, s51, v74
	v_and_b32_e32 v74, 0x7f800000, v75
	v_cmp_ne_u32_e64 s[0:1], s49, v74
                                        ; implicit-def: $vgpr74
	s_and_saveexec_b64 s[40:41], s[0:1]
	s_xor_b64 s[0:1], exec, s[40:41]
; %bb.125:                              ;   in Loop: Header=BB313_13 Depth=1
	v_bfe_u32 v74, v75, 16, 1
	v_add3_u32 v74, v75, v74, s50
                                        ; implicit-def: $vgpr75
; %bb.126:                              ;   in Loop: Header=BB313_13 Depth=1
	s_andn2_saveexec_b64 s[40:41], s[0:1]
; %bb.127:                              ;   in Loop: Header=BB313_13 Depth=1
	v_or_b32_e32 v74, 0x10000, v75
	v_cmp_eq_u32_sdwa s[0:1], v75, v27 src0_sel:WORD_0 src1_sel:DWORD
	s_nop 1
	v_cndmask_b32_e64 v74, v74, v75, s[0:1]
; %bb.128:                              ;   in Loop: Header=BB313_13 Depth=1
	s_or_b64 exec, exec, s[40:41]
	global_load_ushort v76, v[32:33], off offset:1792
	s_waitcnt vmcnt(0)
	v_and_b32_sdwa v75, s48, v76 dst_sel:DWORD dst_unused:UNUSED_PAD src0_sel:DWORD src1_sel:BYTE_0
	v_cvt_f32_fp8_sdwa v75, v75 src0_sel:BYTE_0
	s_nop 0
	v_mul_f32_e32 v77, s51, v75
	v_and_b32_e32 v75, 0x7f800000, v77
	v_cmp_ne_u32_e64 s[0:1], s49, v75
                                        ; implicit-def: $vgpr75
	s_and_saveexec_b64 s[40:41], s[0:1]
	s_xor_b64 s[0:1], exec, s[40:41]
; %bb.129:                              ;   in Loop: Header=BB313_13 Depth=1
	v_bfe_u32 v75, v77, 16, 1
	v_add3_u32 v75, v77, v75, s50
                                        ; implicit-def: $vgpr77
; %bb.130:                              ;   in Loop: Header=BB313_13 Depth=1
	s_andn2_saveexec_b64 s[40:41], s[0:1]
; %bb.131:                              ;   in Loop: Header=BB313_13 Depth=1
	v_or_b32_e32 v75, 0x10000, v77
	v_cmp_eq_u32_sdwa s[0:1], v77, v27 src0_sel:WORD_0 src1_sel:DWORD
	s_nop 1
	v_cndmask_b32_e64 v75, v75, v77, s[0:1]
; %bb.132:                              ;   in Loop: Header=BB313_13 Depth=1
	s_or_b64 exec, exec, s[40:41]
	v_lshrrev_b16_e32 v76, 8, v76
	v_cvt_f32_fp8_sdwa v76, v76 src0_sel:BYTE_0
	s_nop 0
	v_mul_f32_e32 v77, s51, v76
	v_and_b32_e32 v76, 0x7f800000, v77
	v_cmp_ne_u32_e64 s[0:1], s49, v76
                                        ; implicit-def: $vgpr76
	s_and_saveexec_b64 s[40:41], s[0:1]
	s_xor_b64 s[0:1], exec, s[40:41]
; %bb.133:                              ;   in Loop: Header=BB313_13 Depth=1
	v_bfe_u32 v76, v77, 16, 1
	v_add3_u32 v76, v77, v76, s50
                                        ; implicit-def: $vgpr77
; %bb.134:                              ;   in Loop: Header=BB313_13 Depth=1
	s_andn2_saveexec_b64 s[40:41], s[0:1]
; %bb.135:                              ;   in Loop: Header=BB313_13 Depth=1
	v_or_b32_e32 v76, 0x10000, v77
	v_cmp_eq_u32_sdwa s[0:1], v77, v27 src0_sel:WORD_0 src1_sel:DWORD
	s_nop 1
	v_cndmask_b32_e64 v76, v76, v77, s[0:1]
; %bb.136:                              ;   in Loop: Header=BB313_13 Depth=1
	s_or_b64 exec, exec, s[40:41]
	global_load_ushort v78, v[32:33], off offset:1800
	s_waitcnt vmcnt(0)
	v_and_b32_sdwa v77, s48, v78 dst_sel:DWORD dst_unused:UNUSED_PAD src0_sel:DWORD src1_sel:BYTE_0
	v_cvt_f32_fp8_sdwa v77, v77 src0_sel:BYTE_0
	s_nop 0
	v_mul_f32_e32 v79, s51, v77
	v_and_b32_e32 v77, 0x7f800000, v79
	v_cmp_ne_u32_e64 s[0:1], s49, v77
                                        ; implicit-def: $vgpr77
	s_and_saveexec_b64 s[40:41], s[0:1]
	s_xor_b64 s[0:1], exec, s[40:41]
; %bb.137:                              ;   in Loop: Header=BB313_13 Depth=1
	v_bfe_u32 v77, v79, 16, 1
	v_add3_u32 v77, v79, v77, s50
                                        ; implicit-def: $vgpr79
; %bb.138:                              ;   in Loop: Header=BB313_13 Depth=1
	s_andn2_saveexec_b64 s[40:41], s[0:1]
; %bb.139:                              ;   in Loop: Header=BB313_13 Depth=1
	v_or_b32_e32 v77, 0x10000, v79
	v_cmp_eq_u32_sdwa s[0:1], v79, v27 src0_sel:WORD_0 src1_sel:DWORD
	s_nop 1
	v_cndmask_b32_e64 v77, v77, v79, s[0:1]
; %bb.140:                              ;   in Loop: Header=BB313_13 Depth=1
	s_or_b64 exec, exec, s[40:41]
	v_lshrrev_b16_e32 v78, 8, v78
	v_cvt_f32_fp8_sdwa v78, v78 src0_sel:BYTE_0
	s_nop 0
	v_mul_f32_e32 v79, s51, v78
	v_and_b32_e32 v78, 0x7f800000, v79
	v_cmp_ne_u32_e64 s[0:1], s49, v78
                                        ; implicit-def: $vgpr78
	s_and_saveexec_b64 s[40:41], s[0:1]
	s_xor_b64 s[0:1], exec, s[40:41]
; %bb.141:                              ;   in Loop: Header=BB313_13 Depth=1
	v_bfe_u32 v78, v79, 16, 1
	v_add3_u32 v78, v79, v78, s50
                                        ; implicit-def: $vgpr79
; %bb.142:                              ;   in Loop: Header=BB313_13 Depth=1
	s_andn2_saveexec_b64 s[40:41], s[0:1]
; %bb.143:                              ;   in Loop: Header=BB313_13 Depth=1
	v_or_b32_e32 v78, 0x10000, v79
	v_cmp_eq_u32_sdwa s[0:1], v79, v27 src0_sel:WORD_0 src1_sel:DWORD
	s_nop 1
	v_cndmask_b32_e64 v78, v78, v79, s[0:1]
; %bb.144:                              ;   in Loop: Header=BB313_13 Depth=1
	s_or_b64 exec, exec, s[40:41]
	global_load_ushort v80, v[32:33], off offset:2048
	s_waitcnt vmcnt(0)
	v_and_b32_sdwa v79, s48, v80 dst_sel:DWORD dst_unused:UNUSED_PAD src0_sel:DWORD src1_sel:BYTE_0
	v_cvt_f32_fp8_sdwa v79, v79 src0_sel:BYTE_0
	s_nop 0
	v_mul_f32_e32 v81, s51, v79
	v_and_b32_e32 v79, 0x7f800000, v81
	v_cmp_ne_u32_e64 s[0:1], s49, v79
                                        ; implicit-def: $vgpr79
	s_and_saveexec_b64 s[40:41], s[0:1]
	s_xor_b64 s[0:1], exec, s[40:41]
; %bb.145:                              ;   in Loop: Header=BB313_13 Depth=1
	v_bfe_u32 v79, v81, 16, 1
	v_add3_u32 v79, v81, v79, s50
                                        ; implicit-def: $vgpr81
; %bb.146:                              ;   in Loop: Header=BB313_13 Depth=1
	s_andn2_saveexec_b64 s[40:41], s[0:1]
; %bb.147:                              ;   in Loop: Header=BB313_13 Depth=1
	v_or_b32_e32 v79, 0x10000, v81
	v_cmp_eq_u32_sdwa s[0:1], v81, v27 src0_sel:WORD_0 src1_sel:DWORD
	s_nop 1
	v_cndmask_b32_e64 v79, v79, v81, s[0:1]
; %bb.148:                              ;   in Loop: Header=BB313_13 Depth=1
	s_or_b64 exec, exec, s[40:41]
	v_lshrrev_b16_e32 v80, 8, v80
	v_cvt_f32_fp8_sdwa v80, v80 src0_sel:BYTE_0
	s_nop 0
	v_mul_f32_e32 v81, s51, v80
	v_and_b32_e32 v80, 0x7f800000, v81
	v_cmp_ne_u32_e64 s[0:1], s49, v80
                                        ; implicit-def: $vgpr80
	s_and_saveexec_b64 s[40:41], s[0:1]
	s_xor_b64 s[0:1], exec, s[40:41]
; %bb.149:                              ;   in Loop: Header=BB313_13 Depth=1
	v_bfe_u32 v80, v81, 16, 1
	v_add3_u32 v80, v81, v80, s50
                                        ; implicit-def: $vgpr81
; %bb.150:                              ;   in Loop: Header=BB313_13 Depth=1
	s_andn2_saveexec_b64 s[40:41], s[0:1]
; %bb.151:                              ;   in Loop: Header=BB313_13 Depth=1
	v_or_b32_e32 v80, 0x10000, v81
	v_cmp_eq_u32_sdwa s[0:1], v81, v27 src0_sel:WORD_0 src1_sel:DWORD
	s_nop 1
	v_cndmask_b32_e64 v80, v80, v81, s[0:1]
; %bb.152:                              ;   in Loop: Header=BB313_13 Depth=1
	s_or_b64 exec, exec, s[40:41]
	global_load_ushort v82, v[32:33], off offset:2056
	s_waitcnt vmcnt(0)
	v_and_b32_sdwa v81, s48, v82 dst_sel:DWORD dst_unused:UNUSED_PAD src0_sel:DWORD src1_sel:BYTE_0
	v_cvt_f32_fp8_sdwa v81, v81 src0_sel:BYTE_0
	s_nop 0
	v_mul_f32_e32 v83, s51, v81
	v_and_b32_e32 v81, 0x7f800000, v83
	v_cmp_ne_u32_e64 s[0:1], s49, v81
                                        ; implicit-def: $vgpr81
	s_and_saveexec_b64 s[40:41], s[0:1]
	s_xor_b64 s[0:1], exec, s[40:41]
; %bb.153:                              ;   in Loop: Header=BB313_13 Depth=1
	v_bfe_u32 v81, v83, 16, 1
	v_add3_u32 v81, v83, v81, s50
                                        ; implicit-def: $vgpr83
; %bb.154:                              ;   in Loop: Header=BB313_13 Depth=1
	s_andn2_saveexec_b64 s[40:41], s[0:1]
; %bb.155:                              ;   in Loop: Header=BB313_13 Depth=1
	v_or_b32_e32 v81, 0x10000, v83
	v_cmp_eq_u32_sdwa s[0:1], v83, v27 src0_sel:WORD_0 src1_sel:DWORD
	s_nop 1
	v_cndmask_b32_e64 v81, v81, v83, s[0:1]
; %bb.156:                              ;   in Loop: Header=BB313_13 Depth=1
	s_or_b64 exec, exec, s[40:41]
	v_lshrrev_b16_e32 v82, 8, v82
	v_cvt_f32_fp8_sdwa v82, v82 src0_sel:BYTE_0
	s_nop 0
	v_mul_f32_e32 v83, s51, v82
	v_and_b32_e32 v82, 0x7f800000, v83
	v_cmp_ne_u32_e64 s[0:1], s49, v82
                                        ; implicit-def: $vgpr82
	s_and_saveexec_b64 s[40:41], s[0:1]
	s_xor_b64 s[0:1], exec, s[40:41]
; %bb.157:                              ;   in Loop: Header=BB313_13 Depth=1
	v_bfe_u32 v82, v83, 16, 1
	v_add3_u32 v82, v83, v82, s50
                                        ; implicit-def: $vgpr83
; %bb.158:                              ;   in Loop: Header=BB313_13 Depth=1
	s_andn2_saveexec_b64 s[40:41], s[0:1]
; %bb.159:                              ;   in Loop: Header=BB313_13 Depth=1
	v_or_b32_e32 v82, 0x10000, v83
	v_cmp_eq_u32_sdwa s[0:1], v83, v27 src0_sel:WORD_0 src1_sel:DWORD
	s_nop 1
	v_cndmask_b32_e64 v82, v82, v83, s[0:1]
; %bb.160:                              ;   in Loop: Header=BB313_13 Depth=1
	s_or_b64 exec, exec, s[40:41]
	global_load_ushort v84, v[32:33], off offset:2304
	s_waitcnt vmcnt(0)
	v_and_b32_sdwa v83, s48, v84 dst_sel:DWORD dst_unused:UNUSED_PAD src0_sel:DWORD src1_sel:BYTE_0
	v_cvt_f32_fp8_sdwa v83, v83 src0_sel:BYTE_0
	s_nop 0
	v_mul_f32_e32 v85, s51, v83
	v_and_b32_e32 v83, 0x7f800000, v85
	v_cmp_ne_u32_e64 s[0:1], s49, v83
                                        ; implicit-def: $vgpr83
	s_and_saveexec_b64 s[40:41], s[0:1]
	s_xor_b64 s[0:1], exec, s[40:41]
; %bb.161:                              ;   in Loop: Header=BB313_13 Depth=1
	v_bfe_u32 v83, v85, 16, 1
	v_add3_u32 v83, v85, v83, s50
                                        ; implicit-def: $vgpr85
; %bb.162:                              ;   in Loop: Header=BB313_13 Depth=1
	s_andn2_saveexec_b64 s[40:41], s[0:1]
; %bb.163:                              ;   in Loop: Header=BB313_13 Depth=1
	v_or_b32_e32 v83, 0x10000, v85
	v_cmp_eq_u32_sdwa s[0:1], v85, v27 src0_sel:WORD_0 src1_sel:DWORD
	s_nop 1
	v_cndmask_b32_e64 v83, v83, v85, s[0:1]
; %bb.164:                              ;   in Loop: Header=BB313_13 Depth=1
	s_or_b64 exec, exec, s[40:41]
	v_lshrrev_b16_e32 v84, 8, v84
	v_cvt_f32_fp8_sdwa v84, v84 src0_sel:BYTE_0
	s_nop 0
	v_mul_f32_e32 v85, s51, v84
	v_and_b32_e32 v84, 0x7f800000, v85
	v_cmp_ne_u32_e64 s[0:1], s49, v84
                                        ; implicit-def: $vgpr84
	s_and_saveexec_b64 s[40:41], s[0:1]
	s_xor_b64 s[0:1], exec, s[40:41]
; %bb.165:                              ;   in Loop: Header=BB313_13 Depth=1
	v_bfe_u32 v84, v85, 16, 1
	v_add3_u32 v84, v85, v84, s50
                                        ; implicit-def: $vgpr85
; %bb.166:                              ;   in Loop: Header=BB313_13 Depth=1
	s_andn2_saveexec_b64 s[40:41], s[0:1]
; %bb.167:                              ;   in Loop: Header=BB313_13 Depth=1
	v_or_b32_e32 v84, 0x10000, v85
	v_cmp_eq_u32_sdwa s[0:1], v85, v27 src0_sel:WORD_0 src1_sel:DWORD
	s_nop 1
	v_cndmask_b32_e64 v84, v84, v85, s[0:1]
; %bb.168:                              ;   in Loop: Header=BB313_13 Depth=1
	s_or_b64 exec, exec, s[40:41]
	global_load_ushort v86, v[32:33], off offset:2312
	s_waitcnt vmcnt(0)
	v_and_b32_sdwa v85, s48, v86 dst_sel:DWORD dst_unused:UNUSED_PAD src0_sel:DWORD src1_sel:BYTE_0
	v_cvt_f32_fp8_sdwa v85, v85 src0_sel:BYTE_0
	s_nop 0
	v_mul_f32_e32 v87, s51, v85
	v_and_b32_e32 v85, 0x7f800000, v87
	v_cmp_ne_u32_e64 s[0:1], s49, v85
                                        ; implicit-def: $vgpr85
	s_and_saveexec_b64 s[40:41], s[0:1]
	s_xor_b64 s[0:1], exec, s[40:41]
; %bb.169:                              ;   in Loop: Header=BB313_13 Depth=1
	v_bfe_u32 v85, v87, 16, 1
	v_add3_u32 v85, v87, v85, s50
                                        ; implicit-def: $vgpr87
; %bb.170:                              ;   in Loop: Header=BB313_13 Depth=1
	s_andn2_saveexec_b64 s[40:41], s[0:1]
; %bb.171:                              ;   in Loop: Header=BB313_13 Depth=1
	v_or_b32_e32 v85, 0x10000, v87
	v_cmp_eq_u32_sdwa s[0:1], v87, v27 src0_sel:WORD_0 src1_sel:DWORD
	s_nop 1
	v_cndmask_b32_e64 v85, v85, v87, s[0:1]
; %bb.172:                              ;   in Loop: Header=BB313_13 Depth=1
	s_or_b64 exec, exec, s[40:41]
	v_lshrrev_b16_e32 v86, 8, v86
	v_cvt_f32_fp8_sdwa v86, v86 src0_sel:BYTE_0
	s_nop 0
	v_mul_f32_e32 v87, s51, v86
	v_and_b32_e32 v86, 0x7f800000, v87
	v_cmp_ne_u32_e64 s[0:1], s49, v86
                                        ; implicit-def: $vgpr86
	s_and_saveexec_b64 s[40:41], s[0:1]
	s_xor_b64 s[0:1], exec, s[40:41]
; %bb.173:                              ;   in Loop: Header=BB313_13 Depth=1
	v_bfe_u32 v86, v87, 16, 1
	v_add3_u32 v86, v87, v86, s50
                                        ; implicit-def: $vgpr87
; %bb.174:                              ;   in Loop: Header=BB313_13 Depth=1
	s_andn2_saveexec_b64 s[40:41], s[0:1]
; %bb.175:                              ;   in Loop: Header=BB313_13 Depth=1
	v_or_b32_e32 v86, 0x10000, v87
	v_cmp_eq_u32_sdwa s[0:1], v87, v27 src0_sel:WORD_0 src1_sel:DWORD
	s_nop 1
	v_cndmask_b32_e64 v86, v86, v87, s[0:1]
; %bb.176:                              ;   in Loop: Header=BB313_13 Depth=1
	s_or_b64 exec, exec, s[40:41]
	global_load_ushort v88, v[32:33], off offset:2560
	s_waitcnt vmcnt(0)
	v_and_b32_sdwa v87, s48, v88 dst_sel:DWORD dst_unused:UNUSED_PAD src0_sel:DWORD src1_sel:BYTE_0
	v_cvt_f32_fp8_sdwa v87, v87 src0_sel:BYTE_0
	s_nop 0
	v_mul_f32_e32 v89, s51, v87
	v_and_b32_e32 v87, 0x7f800000, v89
	v_cmp_ne_u32_e64 s[0:1], s49, v87
                                        ; implicit-def: $vgpr87
	s_and_saveexec_b64 s[40:41], s[0:1]
	s_xor_b64 s[0:1], exec, s[40:41]
; %bb.177:                              ;   in Loop: Header=BB313_13 Depth=1
	v_bfe_u32 v87, v89, 16, 1
	v_add3_u32 v87, v89, v87, s50
                                        ; implicit-def: $vgpr89
; %bb.178:                              ;   in Loop: Header=BB313_13 Depth=1
	s_andn2_saveexec_b64 s[40:41], s[0:1]
; %bb.179:                              ;   in Loop: Header=BB313_13 Depth=1
	v_or_b32_e32 v87, 0x10000, v89
	v_cmp_eq_u32_sdwa s[0:1], v89, v27 src0_sel:WORD_0 src1_sel:DWORD
	s_nop 1
	v_cndmask_b32_e64 v87, v87, v89, s[0:1]
; %bb.180:                              ;   in Loop: Header=BB313_13 Depth=1
	s_or_b64 exec, exec, s[40:41]
	v_lshrrev_b16_e32 v88, 8, v88
	v_cvt_f32_fp8_sdwa v88, v88 src0_sel:BYTE_0
	s_nop 0
	v_mul_f32_e32 v89, s51, v88
	v_and_b32_e32 v88, 0x7f800000, v89
	v_cmp_ne_u32_e64 s[0:1], s49, v88
                                        ; implicit-def: $vgpr88
	s_and_saveexec_b64 s[40:41], s[0:1]
	s_xor_b64 s[0:1], exec, s[40:41]
; %bb.181:                              ;   in Loop: Header=BB313_13 Depth=1
	v_bfe_u32 v88, v89, 16, 1
	v_add3_u32 v88, v89, v88, s50
                                        ; implicit-def: $vgpr89
; %bb.182:                              ;   in Loop: Header=BB313_13 Depth=1
	s_andn2_saveexec_b64 s[40:41], s[0:1]
; %bb.183:                              ;   in Loop: Header=BB313_13 Depth=1
	v_or_b32_e32 v88, 0x10000, v89
	v_cmp_eq_u32_sdwa s[0:1], v89, v27 src0_sel:WORD_0 src1_sel:DWORD
	s_nop 1
	v_cndmask_b32_e64 v88, v88, v89, s[0:1]
; %bb.184:                              ;   in Loop: Header=BB313_13 Depth=1
	s_or_b64 exec, exec, s[40:41]
	global_load_ushort v90, v[32:33], off offset:2568
	s_waitcnt vmcnt(0)
	v_and_b32_sdwa v89, s48, v90 dst_sel:DWORD dst_unused:UNUSED_PAD src0_sel:DWORD src1_sel:BYTE_0
	v_cvt_f32_fp8_sdwa v89, v89 src0_sel:BYTE_0
	s_nop 0
	v_mul_f32_e32 v91, s51, v89
	v_and_b32_e32 v89, 0x7f800000, v91
	v_cmp_ne_u32_e64 s[0:1], s49, v89
                                        ; implicit-def: $vgpr89
	s_and_saveexec_b64 s[40:41], s[0:1]
	s_xor_b64 s[0:1], exec, s[40:41]
; %bb.185:                              ;   in Loop: Header=BB313_13 Depth=1
	v_bfe_u32 v89, v91, 16, 1
	v_add3_u32 v89, v91, v89, s50
                                        ; implicit-def: $vgpr91
; %bb.186:                              ;   in Loop: Header=BB313_13 Depth=1
	s_andn2_saveexec_b64 s[40:41], s[0:1]
; %bb.187:                              ;   in Loop: Header=BB313_13 Depth=1
	v_or_b32_e32 v89, 0x10000, v91
	v_cmp_eq_u32_sdwa s[0:1], v91, v27 src0_sel:WORD_0 src1_sel:DWORD
	s_nop 1
	v_cndmask_b32_e64 v89, v89, v91, s[0:1]
; %bb.188:                              ;   in Loop: Header=BB313_13 Depth=1
	s_or_b64 exec, exec, s[40:41]
	v_lshrrev_b16_e32 v90, 8, v90
	v_cvt_f32_fp8_sdwa v90, v90 src0_sel:BYTE_0
	s_nop 0
	v_mul_f32_e32 v91, s51, v90
	v_and_b32_e32 v90, 0x7f800000, v91
	v_cmp_ne_u32_e64 s[0:1], s49, v90
                                        ; implicit-def: $vgpr90
	s_and_saveexec_b64 s[40:41], s[0:1]
	s_xor_b64 s[0:1], exec, s[40:41]
; %bb.189:                              ;   in Loop: Header=BB313_13 Depth=1
	v_bfe_u32 v90, v91, 16, 1
	v_add3_u32 v90, v91, v90, s50
                                        ; implicit-def: $vgpr91
; %bb.190:                              ;   in Loop: Header=BB313_13 Depth=1
	s_andn2_saveexec_b64 s[40:41], s[0:1]
; %bb.191:                              ;   in Loop: Header=BB313_13 Depth=1
	v_or_b32_e32 v90, 0x10000, v91
	v_cmp_eq_u32_sdwa s[0:1], v91, v27 src0_sel:WORD_0 src1_sel:DWORD
	s_nop 1
	v_cndmask_b32_e64 v90, v90, v91, s[0:1]
; %bb.192:                              ;   in Loop: Header=BB313_13 Depth=1
	s_or_b64 exec, exec, s[40:41]
	global_load_ushort v92, v[32:33], off offset:2816
	s_waitcnt vmcnt(0)
	v_and_b32_sdwa v91, s48, v92 dst_sel:DWORD dst_unused:UNUSED_PAD src0_sel:DWORD src1_sel:BYTE_0
	v_cvt_f32_fp8_sdwa v91, v91 src0_sel:BYTE_0
	s_nop 0
	v_mul_f32_e32 v93, s51, v91
	v_and_b32_e32 v91, 0x7f800000, v93
	v_cmp_ne_u32_e64 s[0:1], s49, v91
                                        ; implicit-def: $vgpr91
	s_and_saveexec_b64 s[40:41], s[0:1]
	s_xor_b64 s[0:1], exec, s[40:41]
; %bb.193:                              ;   in Loop: Header=BB313_13 Depth=1
	v_bfe_u32 v91, v93, 16, 1
	v_add3_u32 v91, v93, v91, s50
                                        ; implicit-def: $vgpr93
; %bb.194:                              ;   in Loop: Header=BB313_13 Depth=1
	s_andn2_saveexec_b64 s[40:41], s[0:1]
; %bb.195:                              ;   in Loop: Header=BB313_13 Depth=1
	v_or_b32_e32 v91, 0x10000, v93
	v_cmp_eq_u32_sdwa s[0:1], v93, v27 src0_sel:WORD_0 src1_sel:DWORD
	s_nop 1
	v_cndmask_b32_e64 v91, v91, v93, s[0:1]
; %bb.196:                              ;   in Loop: Header=BB313_13 Depth=1
	s_or_b64 exec, exec, s[40:41]
	v_lshrrev_b16_e32 v92, 8, v92
	v_cvt_f32_fp8_sdwa v92, v92 src0_sel:BYTE_0
	s_nop 0
	v_mul_f32_e32 v93, s51, v92
	v_and_b32_e32 v92, 0x7f800000, v93
	v_cmp_ne_u32_e64 s[0:1], s49, v92
                                        ; implicit-def: $vgpr92
	s_and_saveexec_b64 s[40:41], s[0:1]
	s_xor_b64 s[0:1], exec, s[40:41]
; %bb.197:                              ;   in Loop: Header=BB313_13 Depth=1
	v_bfe_u32 v92, v93, 16, 1
	v_add3_u32 v92, v93, v92, s50
                                        ; implicit-def: $vgpr93
; %bb.198:                              ;   in Loop: Header=BB313_13 Depth=1
	s_andn2_saveexec_b64 s[40:41], s[0:1]
; %bb.199:                              ;   in Loop: Header=BB313_13 Depth=1
	v_or_b32_e32 v92, 0x10000, v93
	v_cmp_eq_u32_sdwa s[0:1], v93, v27 src0_sel:WORD_0 src1_sel:DWORD
	s_nop 1
	v_cndmask_b32_e64 v92, v92, v93, s[0:1]
; %bb.200:                              ;   in Loop: Header=BB313_13 Depth=1
	s_or_b64 exec, exec, s[40:41]
	global_load_ushort v32, v[32:33], off offset:2824
	s_waitcnt vmcnt(0)
	v_and_b32_sdwa v33, s48, v32 dst_sel:DWORD dst_unused:UNUSED_PAD src0_sel:DWORD src1_sel:BYTE_0
	v_cvt_f32_fp8_sdwa v33, v33 src0_sel:BYTE_0
	s_nop 0
	v_mul_f32_e32 v93, s51, v33
	v_and_b32_e32 v33, 0x7f800000, v93
	v_cmp_ne_u32_e64 s[0:1], s49, v33
                                        ; implicit-def: $vgpr33
	s_and_saveexec_b64 s[40:41], s[0:1]
	s_xor_b64 s[0:1], exec, s[40:41]
; %bb.201:                              ;   in Loop: Header=BB313_13 Depth=1
	v_bfe_u32 v33, v93, 16, 1
	v_add3_u32 v33, v93, v33, s50
                                        ; implicit-def: $vgpr93
; %bb.202:                              ;   in Loop: Header=BB313_13 Depth=1
	s_andn2_saveexec_b64 s[40:41], s[0:1]
; %bb.203:                              ;   in Loop: Header=BB313_13 Depth=1
	v_or_b32_e32 v33, 0x10000, v93
	v_cmp_eq_u32_sdwa s[0:1], v93, v27 src0_sel:WORD_0 src1_sel:DWORD
	s_nop 1
	v_cndmask_b32_e64 v33, v33, v93, s[0:1]
; %bb.204:                              ;   in Loop: Header=BB313_13 Depth=1
	s_or_b64 exec, exec, s[40:41]
	v_lshrrev_b16_e32 v32, 8, v32
	v_cvt_f32_fp8_sdwa v32, v32 src0_sel:BYTE_0
	s_nop 0
	v_mul_f32_e32 v93, s51, v32
	v_and_b32_e32 v32, 0x7f800000, v93
	v_cmp_ne_u32_e64 s[0:1], s49, v32
                                        ; implicit-def: $vgpr32
	s_and_saveexec_b64 s[40:41], s[0:1]
	s_xor_b64 s[0:1], exec, s[40:41]
; %bb.205:                              ;   in Loop: Header=BB313_13 Depth=1
	v_bfe_u32 v32, v93, 16, 1
	v_add3_u32 v32, v93, v32, s50
                                        ; implicit-def: $vgpr93
; %bb.206:                              ;   in Loop: Header=BB313_13 Depth=1
	s_andn2_saveexec_b64 s[40:41], s[0:1]
; %bb.207:                              ;   in Loop: Header=BB313_13 Depth=1
	v_or_b32_e32 v32, 0x10000, v93
	v_cmp_eq_u32_sdwa s[0:1], v93, v27 src0_sel:WORD_0 src1_sel:DWORD
	s_nop 1
	v_cndmask_b32_e64 v32, v32, v93, s[0:1]
; %bb.208:                              ;   in Loop: Header=BB313_13 Depth=1
	s_or_b64 exec, exec, s[40:41]
	v_lshlrev_b32_e32 v94, 16, v23
	v_and_b32_e32 v49, 0xffff0000, v49
	v_lshlrev_b32_e32 v93, 16, v22
	v_mul_f32_e32 v49, v94, v49
	v_and_b32_e32 v47, 0xffff0000, v47
	v_and_b32_e32 v23, 0xffff0000, v23
	v_fmac_f32_e32 v49, v93, v47
	v_and_b32_e32 v47, 0xffff0000, v51
	v_and_b32_e32 v22, 0xffff0000, v22
	v_mul_f32_e32 v23, v23, v47
	v_and_b32_e32 v47, 0xffff0000, v48
	v_lshlrev_b32_e32 v95, 16, v24
	v_fmac_f32_e32 v23, v22, v47
	v_and_b32_e32 v22, 0xffff0000, v50
	v_and_b32_e32 v24, 0xffff0000, v24
	v_fmac_f32_e32 v49, v95, v22
	v_and_b32_e32 v22, 0xffff0000, v52
	v_lshlrev_b32_e32 v96, 16, v25
	v_and_b32_e32 v25, 0xffff0000, v25
	v_fmac_f32_e32 v23, v24, v22
	v_and_b32_e32 v22, 0xffff0000, v54
	v_and_b32_e32 v53, 0xffff0000, v53
	v_lshlrev_b32_e32 v97, 16, v18
	v_and_b32_e32 v18, 0xffff0000, v18
	v_fmac_f32_e32 v49, v96, v22
	v_and_b32_e32 v56, 0xffff0000, v56
	v_and_b32_e32 v55, 0xffff0000, v55
	v_fmac_f32_e32 v23, v25, v53
	v_lshlrev_b32_e32 v98, 16, v19
	v_and_b32_e32 v19, 0xffff0000, v19
	v_and_b32_e32 v58, 0xffff0000, v58
	v_and_b32_e32 v57, 0xffff0000, v57
	v_fmac_f32_e32 v49, v97, v55
	v_fmac_f32_e32 v23, v18, v56
	v_lshlrev_b32_e32 v99, 16, v20
	v_and_b32_e32 v20, 0xffff0000, v20
	v_and_b32_e32 v60, 0xffff0000, v60
	v_and_b32_e32 v59, 0xffff0000, v59
	v_fmac_f32_e32 v49, v98, v57
	;; [unrolled: 6-line block ×16, first 2 shown]
	v_fmac_f32_e32 v23, v9, v52
	v_lshlrev_b32_e32 v114, 16, v3
	v_and_b32_e32 v3, 0xffff0000, v3
	v_and_b32_e32 v47, 0xffff0000, v90
	;; [unrolled: 1-line block ×4, first 2 shown]
	v_fmac_f32_e32 v49, v113, v51
	v_fmac_f32_e32 v23, v2, v50
	v_lshlrev_b32_e32 v115, 16, v4
	v_and_b32_e32 v4, 0xffff0000, v4
	v_and_b32_e32 v22, 0xffff0000, v33
	;; [unrolled: 1-line block ×4, first 2 shown]
	v_add_u32_e32 v25, 64, v25
	v_xor_b32_e32 v53, 2, v45
	v_fmac_f32_e32 v49, v114, v48
	v_fmac_f32_e32 v23, v3, v47
	v_lshlrev_b32_e32 v116, 16, v5
	v_and_b32_e32 v5, 0xffff0000, v5
	v_cmp_lt_i32_e64 s[0:1], v53, v25
	v_and_b32_e32 v32, 0xffff0000, v32
	v_fmac_f32_e32 v49, v115, v33
	v_fmac_f32_e32 v23, v4, v24
	v_cndmask_b32_e64 v53, v45, v53, s[0:1]
	v_fmac_f32_e32 v49, v116, v22
	v_fmac_f32_e32 v23, v5, v32
	v_lshlrev_b32_e32 v53, 2, v53
	v_add_f32_e32 v2, v49, v23
	ds_bpermute_b32 v3, v53, v2
	v_xor_b32_e32 v4, 1, v45
	v_cmp_lt_i32_e64 s[0:1], v4, v25
	s_waitcnt lgkmcnt(0)
	v_add_f32_e32 v2, v2, v3
	v_cndmask_b32_e64 v4, v45, v4, s[0:1]
	v_lshlrev_b32_e32 v4, 2, v4
	ds_bpermute_b32 v3, v4, v2
	s_and_saveexec_b64 s[40:41], vcc
	s_cbranch_execz .LBB313_11
; %bb.209:                              ;   in Loop: Header=BB313_13 Depth=1
	v_add_u32_e32 v4, v43, v41
	v_cvt_f32_i32_e32 v4, v4
	s_waitcnt lgkmcnt(0)
	v_add_f32_e32 v2, v2, v3
	v_add_u32_e32 v5, v37, v41
	v_cmp_gt_i32_e64 s[0:1], s33, v5
	v_mul_f32_e32 v3, s44, v4
	v_cndmask_b32_e64 v3, 0, v3, s[2:3]
	v_fmac_f32_e32 v3, s37, v2
	v_cndmask_b32_e64 v2, 0, v3, s[0:1]
	ds_write_b32 v42, v2
	v_max_f32_e32 v2, v39, v39
	v_max_f32_e32 v2, v2, v3
	v_cndmask_b32_e64 v39, v39, v2, s[0:1]
	s_branch .LBB313_11
.LBB313_210:
	s_or_b64 exec, exec, s[38:39]
.LBB313_211:
	s_or_b64 exec, exec, s[18:19]
	v_mbcnt_hi_u32_b32 v2, -1, v36
	s_waitcnt lgkmcnt(0)
	v_and_b32_e32 v3, 64, v2
	v_add_u32_e32 v3, 64, v3
	v_xor_b32_e32 v4, 32, v2
	v_cmp_lt_i32_e32 vcc, v4, v3
	v_xor_b32_e32 v7, 16, v2
	v_max_f32_e32 v6, v39, v39
	v_cndmask_b32_e32 v4, v2, v4, vcc
	v_lshlrev_b32_e32 v4, 2, v4
	ds_bpermute_b32 v5, v4, v39
	v_cmp_lt_i32_e32 vcc, v7, v3
	v_xor_b32_e32 v8, 8, v2
	v_xor_b32_e32 v9, 4, v2
	v_and_b32_e32 v22, 63, v0
	s_waitcnt lgkmcnt(0)
	v_max_f32_e32 v5, v5, v5
	v_max_f32_e32 v6, v6, v5
	v_cndmask_b32_e32 v5, v2, v7, vcc
	v_lshlrev_b32_e32 v5, 2, v5
	ds_bpermute_b32 v7, v5, v6
	v_cmp_lt_i32_e32 vcc, v8, v3
	s_waitcnt lgkmcnt(0)
	v_max_f32_e32 v7, v7, v7
	v_max_f32_e32 v6, v6, v7
	v_cndmask_b32_e32 v7, v2, v8, vcc
	v_lshlrev_b32_e32 v8, 2, v7
	ds_bpermute_b32 v7, v8, v6
	v_cmp_lt_i32_e32 vcc, v9, v3
	s_waitcnt lgkmcnt(0)
	v_max_f32_e32 v7, v7, v7
	v_max_f32_e32 v7, v6, v7
	v_cndmask_b32_e32 v6, v2, v9, vcc
	v_lshlrev_b32_e32 v9, 2, v6
	ds_bpermute_b32 v10, v9, v7
	v_cmp_eq_u32_e32 vcc, 0, v22
	v_lshlrev_b32_e32 v6, 2, v1
	s_and_saveexec_b64 s[0:1], vcc
	s_cbranch_execz .LBB313_213
; %bb.212:
	s_waitcnt lgkmcnt(0)
	v_max_f32_e32 v10, v10, v10
	v_max_f32_e32 v7, v7, v7
	v_max_f32_e32 v7, v7, v10
	ds_write_b32 v6, v7 offset:384
.LBB313_213:
	s_or_b64 exec, exec, s[0:1]
	v_cmp_gt_u32_e64 s[0:1], 2, v22
	s_waitcnt lgkmcnt(0)
	v_mov_b32_e32 v10, 0xff7fffff
	v_lshlrev_b32_e32 v7, 2, v22
	s_barrier
	s_and_saveexec_b64 s[2:3], s[0:1]
	s_cbranch_execz .LBB313_215
; %bb.214:
	ds_read_b32 v10, v7 offset:384
.LBB313_215:
	s_or_b64 exec, exec, s[2:3]
	v_xor_b32_e32 v11, 1, v2
	v_cmp_lt_i32_e64 s[2:3], v11, v3
	v_lshlrev_b32_e32 v12, 2, v2
	s_nop 0
	v_cndmask_b32_e64 v11, v2, v11, s[2:3]
	v_lshlrev_b32_e32 v23, 2, v11
	s_waitcnt lgkmcnt(0)
	ds_bpermute_b32 v11, v23, v10
	v_max_f32_e32 v10, v10, v10
	s_lshl_b32 s2, s20, 4
	s_min_i32 s37, s2, s33
	v_cmp_gt_i32_e64 s[2:3], s37, v0
	s_waitcnt lgkmcnt(0)
	v_max_f32_e32 v11, v11, v11
	v_max_f32_e32 v11, v10, v11
	v_and_b32_e32 v10, 0x100, v12
	ds_bpermute_b32 v12, v10, v11
	v_mov_b32_e32 v11, 0
	s_and_saveexec_b64 s[12:13], s[2:3]
	s_cbranch_execz .LBB313_219
; %bb.216:
	v_mov_b32_e32 v11, 0x190
	v_lshl_add_u32 v13, v0, 2, v11
	s_mov_b64 s[18:19], 0
	v_mov_b32_e32 v11, 0
	v_mov_b32_e32 v14, v0
.LBB313_217:                            ; =>This Inner Loop Header: Depth=1
	ds_read_b32 v15, v13
	v_add_u32_e32 v14, 0x80, v14
	v_cmp_le_i32_e64 s[8:9], s37, v14
	s_or_b64 s[18:19], s[8:9], s[18:19]
	s_waitcnt lgkmcnt(0)
	v_sub_f32_e32 v15, v15, v12
	v_mul_f32_e32 v15, 0x3fb8aa3b, v15
	v_exp_f32_e32 v15, v15
	ds_write_b32 v13, v15
	v_add_f32_e32 v11, v11, v15
	v_add_u32_e32 v13, 0x200, v13
	s_andn2_b64 exec, exec, s[18:19]
	s_cbranch_execnz .LBB313_217
; %bb.218:
	s_or_b64 exec, exec, s[18:19]
.LBB313_219:
	s_or_b64 exec, exec, s[12:13]
	ds_bpermute_b32 v4, v4, v11
	s_waitcnt lgkmcnt(0)
	v_add_f32_e32 v4, v11, v4
	ds_bpermute_b32 v5, v5, v4
	s_waitcnt lgkmcnt(0)
	v_add_f32_e32 v4, v4, v5
	ds_bpermute_b32 v5, v8, v4
	v_xor_b32_e32 v8, 2, v2
	v_cmp_lt_i32_e64 s[8:9], v8, v3
	s_waitcnt lgkmcnt(0)
	v_add_f32_e32 v4, v4, v5
	ds_bpermute_b32 v5, v9, v4
	v_cndmask_b32_e64 v2, v2, v8, s[8:9]
	v_lshlrev_b32_e32 v2, 2, v2
	s_waitcnt lgkmcnt(0)
	v_add_f32_e32 v3, v4, v5
	ds_bpermute_b32 v2, v2, v3
	s_waitcnt lgkmcnt(0)
	v_add_f32_e32 v2, v3, v2
	ds_bpermute_b32 v3, v23, v2
	s_waitcnt lgkmcnt(0)
	v_add_f32_e32 v2, v2, v3
	s_and_saveexec_b64 s[8:9], vcc
	s_cbranch_execz .LBB313_221
; %bb.220:
	ds_write_b32 v6, v2 offset:392
.LBB313_221:
	s_or_b64 exec, exec, s[8:9]
	s_waitcnt lgkmcnt(0)
	s_barrier
	s_and_saveexec_b64 s[8:9], s[0:1]
	s_cbranch_execz .LBB313_223
; %bb.222:
	ds_read_b32 v2, v7 offset:392
.LBB313_223:
	s_or_b64 exec, exec, s[8:9]
	s_waitcnt lgkmcnt(0)
	ds_bpermute_b32 v3, v23, v2
	s_waitcnt lgkmcnt(0)
	v_add_f32_e32 v2, v2, v3
	ds_bpermute_b32 v2, v10, v2
	s_and_saveexec_b64 s[0:1], s[2:3]
	s_cbranch_execz .LBB313_236
; %bb.224:
	s_waitcnt lgkmcnt(0)
	v_add_f32_e32 v2, 0x358637bd, v2
	v_div_scale_f32 v3, s[2:3], v2, v2, 1.0
	v_rcp_f32_e32 v4, v3
	v_div_scale_f32 v5, vcc, 1.0, v2, 1.0
	s_movk_i32 s2, 0x7f
	v_fma_f32 v6, -v3, v4, 1.0
	v_fmac_f32_e32 v4, v6, v4
	v_mul_f32_e32 v6, v5, v4
	v_fma_f32 v7, -v3, v6, v5
	v_fmac_f32_e32 v6, v7, v4
	v_fma_f32 v3, -v3, v6, v5
	v_div_fmas_f32 v3, v3, v4, v6
	v_xad_u32 v4, v0, -1, s37
	v_div_fixup_f32 v2, v3, v2, 1.0
	v_cmp_lt_u32_e32 vcc, s2, v4
	s_mov_b64 s[8:9], -1
	v_mov_b32_e32 v3, v0
	s_and_saveexec_b64 s[2:3], vcc
	s_cbranch_execz .LBB313_233
; %bb.225:
	v_lshrrev_b32_e32 v4, 7, v4
	v_add_u32_e32 v6, -1, v4
	v_lshrrev_b32_e32 v5, 1, v6
	v_mov_b32_e32 v3, v2
	v_add_u32_e32 v5, 1, v5
	v_cmp_lt_u32_e32 vcc, 13, v6
	v_mov_b32_e32 v8, 0
	s_and_saveexec_b64 s[8:9], vcc
	s_cbranch_execz .LBB313_229
; %bb.226:
	v_mov_b32_e32 v7, 0x190
	v_and_b32_e32 v6, -8, v5
	v_lshl_add_u32 v7, v0, 2, v7
	s_mov_b32 s18, 0
	s_mov_b64 s[12:13], 0
.LBB313_227:                            ; =>This Inner Loop Header: Depth=1
	ds_read2st64_b32 v[8:9], v7 offset1:2
	ds_read2st64_b32 v[10:11], v7 offset0:4 offset1:6
	ds_read2st64_b32 v[12:13], v7 offset0:8 offset1:10
	;; [unrolled: 1-line block ×3, first 2 shown]
	v_add_u32_e32 v6, -8, v6
	s_waitcnt lgkmcnt(3)
	v_pk_mul_f32 v[8:9], v[2:3], v[8:9]
	s_waitcnt lgkmcnt(2)
	v_pk_mul_f32 v[10:11], v[2:3], v[10:11]
	ds_write2st64_b32 v7, v8, v9 offset1:2
	ds_write2st64_b32 v7, v10, v11 offset0:4 offset1:6
	ds_read2st64_b32 v[10:11], v7 offset0:16 offset1:18
	s_waitcnt lgkmcnt(4)
	v_pk_mul_f32 v[8:9], v[2:3], v[12:13]
	ds_write2st64_b32 v7, v8, v9 offset0:8 offset1:10
	s_waitcnt lgkmcnt(4)
	v_pk_mul_f32 v[8:9], v[2:3], v[14:15]
	ds_write2st64_b32 v7, v8, v9 offset0:12 offset1:14
	ds_read2st64_b32 v[8:9], v7 offset0:20 offset1:22
	s_waitcnt lgkmcnt(3)
	v_pk_mul_f32 v[10:11], v[2:3], v[10:11]
	ds_read2st64_b32 v[12:13], v7 offset0:24 offset1:26
	ds_write2st64_b32 v7, v10, v11 offset0:16 offset1:18
	ds_read2st64_b32 v[10:11], v7 offset0:28 offset1:30
	s_waitcnt lgkmcnt(3)
	v_pk_mul_f32 v[8:9], v[2:3], v[8:9]
	ds_write2st64_b32 v7, v8, v9 offset0:20 offset1:22
	s_waitcnt lgkmcnt(3)
	v_pk_mul_f32 v[8:9], v[2:3], v[12:13]
	ds_write2st64_b32 v7, v8, v9 offset0:24 offset1:26
	s_waitcnt lgkmcnt(2)
	v_pk_mul_f32 v[8:9], v[2:3], v[10:11]
	s_add_i32 s18, s18, 16
	v_cmp_eq_u32_e32 vcc, 0, v6
	ds_write2st64_b32 v7, v8, v9 offset0:28 offset1:30
	v_add_u32_e32 v7, 0x2000, v7
	s_or_b64 s[12:13], vcc, s[12:13]
	v_mov_b32_e32 v8, s18
	s_andn2_b64 exec, exec, s[12:13]
	s_cbranch_execnz .LBB313_227
; %bb.228:
	s_or_b64 exec, exec, s[12:13]
.LBB313_229:
	s_or_b64 exec, exec, s[8:9]
	v_and_b32_e32 v5, 7, v5
	v_cmp_ne_u32_e32 vcc, 0, v5
	s_and_saveexec_b64 s[8:9], vcc
	s_cbranch_execz .LBB313_232
; %bb.230:
	v_lshlrev_b32_e32 v6, 9, v8
	v_lshlrev_b32_e32 v7, 2, v0
	s_movk_i32 s12, 0x190
	v_add3_u32 v6, v6, v7, s12
	s_mov_b64 s[12:13], 0
.LBB313_231:                            ; =>This Inner Loop Header: Depth=1
	ds_read2st64_b32 v[8:9], v6 offset1:2
	v_add_u32_e32 v5, -1, v5
	v_cmp_eq_u32_e32 vcc, 0, v5
	s_or_b64 s[12:13], vcc, s[12:13]
	s_waitcnt lgkmcnt(0)
	v_pk_mul_f32 v[8:9], v[2:3], v[8:9]
	ds_write2st64_b32 v6, v8, v9 offset1:2
	v_add_u32_e32 v6, 0x400, v6
	s_andn2_b64 exec, exec, s[12:13]
	s_cbranch_execnz .LBB313_231
.LBB313_232:
	s_or_b64 exec, exec, s[8:9]
	v_add_u32_e32 v4, 1, v4
	v_and_b32_e32 v5, 0x3fffffe, v4
	v_cmp_ne_u32_e32 vcc, v4, v5
	v_lshl_add_u32 v3, v5, 7, v0
	s_orn2_b64 s[8:9], vcc, exec
.LBB313_233:
	s_or_b64 exec, exec, s[2:3]
	s_and_b64 exec, exec, s[8:9]
	s_cbranch_execz .LBB313_236
; %bb.234:
	v_mov_b32_e32 v4, 0x190
	v_lshl_add_u32 v4, v3, 2, v4
	s_mov_b64 s[2:3], 0
.LBB313_235:                            ; =>This Inner Loop Header: Depth=1
	ds_read_b32 v5, v4
	v_add_u32_e32 v3, 0x80, v3
	v_cmp_le_i32_e32 vcc, s37, v3
	s_or_b64 s[2:3], vcc, s[2:3]
	s_waitcnt lgkmcnt(0)
	v_mul_f32_e32 v5, v2, v5
	ds_write_b32 v4, v5
	v_add_u32_e32 v4, 0x200, v4
	s_andn2_b64 exec, exec, s[2:3]
	s_cbranch_execnz .LBB313_235
.LBB313_236:
	s_or_b64 exec, exec, s[0:1]
	v_mov_b32_e32 v11, 0
	v_and_b32_e32 v24, 1, v0
	v_mov_b32_e32 v10, 0
	v_mov_b32_e32 v13, 0
	;; [unrolled: 1-line block ×5, first 2 shown]
	s_waitcnt lgkmcnt(0)
	s_barrier
	s_and_saveexec_b64 s[2:3], s[6:7]
	s_cbranch_execz .LBB313_670
; %bb.237:
	s_sub_i32 s18, s42, s21
	s_ashr_i32 s1, s43, 31
	s_add_u32 s0, s34, s43
	s_addc_u32 s1, s35, s1
	s_abs_i32 s19, s22
	v_cvt_f32_u32_e32 v2, s19
	v_lshlrev_b32_e32 v3, 3, v0
	s_sub_i32 s6, 0, s19
	v_mov_b32_e32 v17, 0
	v_rcp_iflag_f32_e32 v2, v2
	v_and_b32_e32 v25, 8, v3
	v_and_b32_e32 v16, 0x1f8, v3
	s_add_i32 s21, s20, -1
	v_mul_f32_e32 v2, 0x4f7ffffe, v2
	v_cvt_u32_f32_e32 v2, v2
	v_lshl_add_u64 v[18:19], s[0:1], 0, v[16:17]
	s_lshl_b64 s[0:1], s[30:31], 2
	s_add_u32 s0, s28, s0
	v_mul_lo_u32 v3, s6, v2
	v_mul_hi_u32 v3, v2, v3
	v_add_u32_e32 v26, v2, v3
	v_lshlrev_b32_e32 v2, 5, v24
	v_and_b32_e32 v16, 60, v35
	s_addc_u32 s1, s29, s1
	v_lshl_or_b32 v2, v1, 6, v2
	v_lshl_add_u64 v[20:21], s[0:1], 0, v[16:17]
	v_add_u32_e32 v16, 0x190, v2
	s_mov_b64 s[6:7], 0
	s_mov_b32 s22, 0x7f800000
	s_movk_i32 s28, 0x7fff
	v_mov_b32_e32 v14, 0
	v_mov_b32_e32 v15, 0
	;; [unrolled: 1-line block ×6, first 2 shown]
	s_branch .LBB313_240
.LBB313_238:                            ;   in Loop: Header=BB313_240 Depth=1
	s_or_b64 exec, exec, s[0:1]
	v_and_b32_e32 v43, 0xffff0000, v73
	v_and_b32_e32 v42, 0xffff0000, v5
	;; [unrolled: 1-line block ×8, first 2 shown]
	v_pk_add_f32 v[4:5], v[4:5], v[42:43]
	v_pk_add_f32 v[38:39], v[40:41], v[38:39]
	v_add_f32_e32 v4, v4, v5
	v_add_f32_e32 v4, v4, v38
	v_add_f32_e32 v4, v4, v39
	v_and_b32_e32 v41, 0xffff0000, v67
	v_and_b32_e32 v40, 0xffff0000, v65
	v_and_b32_e32 v43, 0xffff0000, v66
	v_and_b32_e32 v42, 0xffff0000, v64
	v_add_f32_e32 v10, v10, v4
	v_and_b32_e32 v5, 0xffff0000, v71
	v_and_b32_e32 v4, 0xffff0000, v69
	v_and_b32_e32 v39, 0xffff0000, v70
	v_and_b32_e32 v38, 0xffff0000, v68
	v_pk_add_f32 v[40:41], v[42:43], v[40:41]
	v_pk_add_f32 v[4:5], v[38:39], v[4:5]
	v_add_f32_e32 v38, v40, v41
	v_add_f32_e32 v4, v38, v4
	v_add_f32_e32 v4, v4, v5
	v_and_b32_e32 v41, 0xffff0000, v59
	v_and_b32_e32 v40, 0xffff0000, v57
	v_and_b32_e32 v43, 0xffff0000, v58
	v_and_b32_e32 v42, 0xffff0000, v56
	v_add_f32_e32 v13, v13, v4
	v_and_b32_e32 v5, 0xffff0000, v63
	v_and_b32_e32 v4, 0xffff0000, v61
	v_and_b32_e32 v39, 0xffff0000, v62
	v_and_b32_e32 v38, 0xffff0000, v60
	;; [unrolled: 14-line block ×5, first 2 shown]
	v_pk_add_f32 v[2:3], v[2:3], v[8:9]
	v_pk_add_f32 v[4:5], v[6:7], v[4:5]
	v_add_f32_e32 v2, v2, v3
	v_add_f32_e32 v2, v2, v4
	;; [unrolled: 1-line block ×4, first 2 shown]
.LBB313_239:                            ;   in Loop: Header=BB313_240 Depth=1
	s_or_b64 exec, exec, s[8:9]
	v_add_u32_e32 v1, 2, v1
	v_cmp_le_i32_e32 vcc, s20, v1
	v_lshl_add_u64 v[20:21], v[20:21], 0, 8
	v_add_u32_e32 v34, 32, v34
	s_or_b64 s[6:7], vcc, s[6:7]
	v_add_u32_e32 v16, 0x80, v16
	s_andn2_b64 exec, exec, s[6:7]
	s_cbranch_execz .LBB313_669
.LBB313_240:                            ; =>This Inner Loop Header: Depth=1
	v_mul_hi_u32 v2, v34, s25
	v_mul_lo_u32 v3, v2, s16
	v_sub_u32_e32 v3, v34, v3
	v_add_u32_e32 v4, 1, v2
	v_cmp_le_u32_e32 vcc, s16, v3
	s_nop 1
	v_cndmask_b32_e32 v2, v2, v4, vcc
	v_subrev_u32_e32 v4, s16, v3
	v_cndmask_b32_e32 v3, v3, v4, vcc
	v_add_u32_e32 v4, 1, v2
	v_cmp_le_u32_e32 vcc, s16, v3
	s_nop 1
	v_cndmask_b32_e32 v2, v2, v4, vcc
	v_xor_b32_e32 v2, s23, v2
	v_subrev_u32_e32 v2, s23, v2
	v_add_u32_e32 v3, s36, v2
	v_sub_u32_e32 v5, 0, v3
	v_ashrrev_i32_e32 v4, 31, v3
	v_max_i32_e32 v3, v3, v5
	v_mul_hi_u32 v5, v3, v26
	v_mul_lo_u32 v5, v5, s19
	v_sub_u32_e32 v3, v3, v5
	v_subrev_u32_e32 v5, s19, v3
	v_cmp_le_u32_e32 vcc, s19, v3
	v_cmp_lt_i32_e64 s[0:1], s18, v2
	s_nop 0
	v_cndmask_b32_e32 v3, v3, v5, vcc
	v_subrev_u32_e32 v5, s19, v3
	v_cmp_le_u32_e32 vcc, s19, v3
	s_nop 1
	v_cndmask_b32_e32 v3, v3, v5, vcc
	v_xor_b32_e32 v3, v3, v4
	v_sub_u32_e32 v3, v3, v4
	v_cmp_eq_u32_e32 vcc, 0, v3
	s_or_b64 s[0:1], vcc, s[0:1]
	s_and_saveexec_b64 s[8:9], s[0:1]
	s_cbranch_execz .LBB313_239
; %bb.241:                              ;   in Loop: Header=BB313_240 Depth=1
	global_load_dword v31, v[20:21], off
	ds_read2_b64 v[6:9], v16 offset1:1
	ds_read2_b64 v[2:5], v16 offset0:2 offset1:3
                                        ; implicit-def: $vgpr40
	s_waitcnt lgkmcnt(1)
	v_and_b32_e32 v27, 0x7f800000, v6
	v_cmp_ne_u32_e32 vcc, s22, v27
	s_and_saveexec_b64 s[0:1], vcc
	s_xor_b64 s[0:1], exec, s[0:1]
; %bb.242:                              ;   in Loop: Header=BB313_240 Depth=1
	v_bfe_u32 v27, v6, 16, 1
	v_add3_u32 v40, v6, v27, s28
; %bb.243:                              ;   in Loop: Header=BB313_240 Depth=1
	s_andn2_saveexec_b64 s[0:1], s[0:1]
; %bb.244:                              ;   in Loop: Header=BB313_240 Depth=1
	v_or_b32_e32 v27, 0x10000, v6
	v_cmp_eq_u32_sdwa vcc, v6, v17 src0_sel:WORD_0 src1_sel:DWORD
	s_nop 1
	v_cndmask_b32_e32 v40, v27, v6, vcc
; %bb.245:                              ;   in Loop: Header=BB313_240 Depth=1
	s_or_b64 exec, exec, s[0:1]
	v_and_b32_e32 v6, 0x7f800000, v7
	v_cmp_ne_u32_e32 vcc, s22, v6
                                        ; implicit-def: $vgpr41
	s_and_saveexec_b64 s[0:1], vcc
	s_xor_b64 s[0:1], exec, s[0:1]
; %bb.246:                              ;   in Loop: Header=BB313_240 Depth=1
	v_bfe_u32 v6, v7, 16, 1
	v_add3_u32 v41, v7, v6, s28
; %bb.247:                              ;   in Loop: Header=BB313_240 Depth=1
	s_andn2_saveexec_b64 s[0:1], s[0:1]
; %bb.248:                              ;   in Loop: Header=BB313_240 Depth=1
	v_or_b32_e32 v6, 0x10000, v7
	v_cmp_eq_u32_sdwa vcc, v7, v17 src0_sel:WORD_0 src1_sel:DWORD
	s_nop 1
	v_cndmask_b32_e32 v41, v6, v7, vcc
; %bb.249:                              ;   in Loop: Header=BB313_240 Depth=1
	s_or_b64 exec, exec, s[0:1]
	v_and_b32_e32 v6, 0x7f800000, v8
	v_cmp_ne_u32_e32 vcc, s22, v6
                                        ; implicit-def: $vgpr42
	s_and_saveexec_b64 s[0:1], vcc
	s_xor_b64 s[0:1], exec, s[0:1]
; %bb.250:                              ;   in Loop: Header=BB313_240 Depth=1
	v_bfe_u32 v6, v8, 16, 1
	v_add3_u32 v42, v8, v6, s28
; %bb.251:                              ;   in Loop: Header=BB313_240 Depth=1
	s_andn2_saveexec_b64 s[0:1], s[0:1]
; %bb.252:                              ;   in Loop: Header=BB313_240 Depth=1
	v_or_b32_e32 v6, 0x10000, v8
	v_cmp_eq_u32_sdwa vcc, v8, v17 src0_sel:WORD_0 src1_sel:DWORD
	s_nop 1
	v_cndmask_b32_e32 v42, v6, v8, vcc
; %bb.253:                              ;   in Loop: Header=BB313_240 Depth=1
	s_or_b64 exec, exec, s[0:1]
	v_and_b32_e32 v6, 0x7f800000, v9
	v_cmp_ne_u32_e32 vcc, s22, v6
                                        ; implicit-def: $vgpr43
	s_and_saveexec_b64 s[0:1], vcc
	s_xor_b64 s[0:1], exec, s[0:1]
; %bb.254:                              ;   in Loop: Header=BB313_240 Depth=1
	v_bfe_u32 v6, v9, 16, 1
	v_add3_u32 v43, v9, v6, s28
                                        ; implicit-def: $vgpr6_vgpr7_vgpr8_vgpr9
; %bb.255:                              ;   in Loop: Header=BB313_240 Depth=1
	s_andn2_saveexec_b64 s[0:1], s[0:1]
; %bb.256:                              ;   in Loop: Header=BB313_240 Depth=1
	v_or_b32_e32 v6, 0x10000, v9
	v_cmp_eq_u32_sdwa vcc, v9, v17 src0_sel:WORD_0 src1_sel:DWORD
	s_nop 1
	v_cndmask_b32_e32 v43, v6, v9, vcc
; %bb.257:                              ;   in Loop: Header=BB313_240 Depth=1
	s_or_b64 exec, exec, s[0:1]
	s_waitcnt lgkmcnt(0)
	v_and_b32_e32 v6, 0x7f800000, v2
	v_cmp_ne_u32_e32 vcc, s22, v6
                                        ; implicit-def: $vgpr27
	s_and_saveexec_b64 s[0:1], vcc
	s_xor_b64 s[0:1], exec, s[0:1]
; %bb.258:                              ;   in Loop: Header=BB313_240 Depth=1
	v_bfe_u32 v6, v2, 16, 1
	v_add3_u32 v27, v2, v6, s28
; %bb.259:                              ;   in Loop: Header=BB313_240 Depth=1
	s_andn2_saveexec_b64 s[0:1], s[0:1]
; %bb.260:                              ;   in Loop: Header=BB313_240 Depth=1
	v_or_b32_e32 v6, 0x10000, v2
	v_cmp_eq_u32_sdwa vcc, v2, v17 src0_sel:WORD_0 src1_sel:DWORD
	s_nop 1
	v_cndmask_b32_e32 v27, v6, v2, vcc
; %bb.261:                              ;   in Loop: Header=BB313_240 Depth=1
	s_or_b64 exec, exec, s[0:1]
	v_and_b32_e32 v2, 0x7f800000, v3
	v_cmp_ne_u32_e32 vcc, s22, v2
                                        ; implicit-def: $vgpr28
	s_and_saveexec_b64 s[0:1], vcc
	s_xor_b64 s[0:1], exec, s[0:1]
; %bb.262:                              ;   in Loop: Header=BB313_240 Depth=1
	v_bfe_u32 v2, v3, 16, 1
	v_add3_u32 v28, v3, v2, s28
; %bb.263:                              ;   in Loop: Header=BB313_240 Depth=1
	s_andn2_saveexec_b64 s[0:1], s[0:1]
; %bb.264:                              ;   in Loop: Header=BB313_240 Depth=1
	v_or_b32_e32 v2, 0x10000, v3
	v_cmp_eq_u32_sdwa vcc, v3, v17 src0_sel:WORD_0 src1_sel:DWORD
	s_nop 1
	v_cndmask_b32_e32 v28, v2, v3, vcc
; %bb.265:                              ;   in Loop: Header=BB313_240 Depth=1
	s_or_b64 exec, exec, s[0:1]
	v_and_b32_e32 v2, 0x7f800000, v4
	v_cmp_ne_u32_e32 vcc, s22, v2
                                        ; implicit-def: $vgpr29
	s_and_saveexec_b64 s[0:1], vcc
	s_xor_b64 s[0:1], exec, s[0:1]
; %bb.266:                              ;   in Loop: Header=BB313_240 Depth=1
	v_bfe_u32 v2, v4, 16, 1
	v_add3_u32 v29, v4, v2, s28
; %bb.267:                              ;   in Loop: Header=BB313_240 Depth=1
	s_andn2_saveexec_b64 s[0:1], s[0:1]
; %bb.268:                              ;   in Loop: Header=BB313_240 Depth=1
	v_or_b32_e32 v2, 0x10000, v4
	v_cmp_eq_u32_sdwa vcc, v4, v17 src0_sel:WORD_0 src1_sel:DWORD
	s_nop 1
	v_cndmask_b32_e32 v29, v2, v4, vcc
; %bb.269:                              ;   in Loop: Header=BB313_240 Depth=1
	s_or_b64 exec, exec, s[0:1]
	v_and_b32_e32 v2, 0x7f800000, v5
	v_cmp_ne_u32_e32 vcc, s22, v2
                                        ; implicit-def: $vgpr30
	s_and_saveexec_b64 s[0:1], vcc
	s_xor_b64 s[0:1], exec, s[0:1]
; %bb.270:                              ;   in Loop: Header=BB313_240 Depth=1
	v_bfe_u32 v2, v5, 16, 1
	v_add3_u32 v30, v5, v2, s28
                                        ; implicit-def: $vgpr2_vgpr3_vgpr4_vgpr5
; %bb.271:                              ;   in Loop: Header=BB313_240 Depth=1
	s_andn2_saveexec_b64 s[0:1], s[0:1]
; %bb.272:                              ;   in Loop: Header=BB313_240 Depth=1
	v_or_b32_e32 v2, 0x10000, v5
	v_cmp_eq_u32_sdwa vcc, v5, v17 src0_sel:WORD_0 src1_sel:DWORD
	s_nop 1
	v_cndmask_b32_e32 v30, v2, v5, vcc
; %bb.273:                              ;   in Loop: Header=BB313_240 Depth=1
	s_or_b64 exec, exec, s[0:1]
	s_waitcnt vmcnt(0)
	v_mad_i64_i32 v[2:3], s[0:1], v31, s17, v[18:19]
	global_load_dwordx2 v[4:5], v[2:3], off
	s_load_dword s29, s[14:15], 0x0
	s_waitcnt vmcnt(0)
	v_and_b32_e32 v6, 0xff, v4
	v_cvt_f32_fp8_sdwa v6, v6 src0_sel:BYTE_0
	s_waitcnt lgkmcnt(0)
	v_mul_f32_e32 v7, s29, v6
	v_and_b32_e32 v6, 0x7f800000, v7
	v_cmp_ne_u32_e32 vcc, s22, v6
                                        ; implicit-def: $vgpr6
	s_and_saveexec_b64 s[0:1], vcc
	s_xor_b64 s[0:1], exec, s[0:1]
; %bb.274:                              ;   in Loop: Header=BB313_240 Depth=1
	v_bfe_u32 v6, v7, 16, 1
	v_add3_u32 v6, v7, v6, s28
                                        ; implicit-def: $vgpr7
; %bb.275:                              ;   in Loop: Header=BB313_240 Depth=1
	s_andn2_saveexec_b64 s[0:1], s[0:1]
; %bb.276:                              ;   in Loop: Header=BB313_240 Depth=1
	v_or_b32_e32 v6, 0x10000, v7
	v_cmp_eq_u32_sdwa vcc, v7, v17 src0_sel:WORD_0 src1_sel:DWORD
	s_nop 1
	v_cndmask_b32_e32 v6, v6, v7, vcc
; %bb.277:                              ;   in Loop: Header=BB313_240 Depth=1
	s_or_b64 exec, exec, s[0:1]
	v_bfe_u32 v7, v4, 8, 8
	v_cvt_f32_fp8_sdwa v7, v7 src0_sel:BYTE_0
	s_nop 0
	v_mul_f32_e32 v8, s29, v7
	v_and_b32_e32 v7, 0x7f800000, v8
	v_cmp_ne_u32_e32 vcc, s22, v7
                                        ; implicit-def: $vgpr7
	s_and_saveexec_b64 s[0:1], vcc
	s_xor_b64 s[0:1], exec, s[0:1]
; %bb.278:                              ;   in Loop: Header=BB313_240 Depth=1
	v_bfe_u32 v7, v8, 16, 1
	v_add3_u32 v7, v8, v7, s28
                                        ; implicit-def: $vgpr8
; %bb.279:                              ;   in Loop: Header=BB313_240 Depth=1
	s_andn2_saveexec_b64 s[0:1], s[0:1]
; %bb.280:                              ;   in Loop: Header=BB313_240 Depth=1
	v_or_b32_e32 v7, 0x10000, v8
	v_cmp_eq_u32_sdwa vcc, v8, v17 src0_sel:WORD_0 src1_sel:DWORD
	s_nop 1
	v_cndmask_b32_e32 v7, v7, v8, vcc
; %bb.281:                              ;   in Loop: Header=BB313_240 Depth=1
	s_or_b64 exec, exec, s[0:1]
	v_bfe_u32 v8, v4, 16, 8
	v_cvt_f32_fp8_sdwa v8, v8 src0_sel:BYTE_0
	s_nop 0
	v_mul_f32_e32 v9, s29, v8
	v_and_b32_e32 v8, 0x7f800000, v9
	v_cmp_ne_u32_e32 vcc, s22, v8
                                        ; implicit-def: $vgpr8
	s_and_saveexec_b64 s[0:1], vcc
	s_xor_b64 s[0:1], exec, s[0:1]
; %bb.282:                              ;   in Loop: Header=BB313_240 Depth=1
	v_bfe_u32 v8, v9, 16, 1
	v_add3_u32 v8, v9, v8, s28
                                        ; implicit-def: $vgpr9
; %bb.283:                              ;   in Loop: Header=BB313_240 Depth=1
	s_andn2_saveexec_b64 s[0:1], s[0:1]
; %bb.284:                              ;   in Loop: Header=BB313_240 Depth=1
	v_or_b32_e32 v8, 0x10000, v9
	v_cmp_eq_u32_sdwa vcc, v9, v17 src0_sel:WORD_0 src1_sel:DWORD
	s_nop 1
	v_cndmask_b32_e32 v8, v8, v9, vcc
; %bb.285:                              ;   in Loop: Header=BB313_240 Depth=1
	s_or_b64 exec, exec, s[0:1]
	v_lshrrev_b32_e32 v4, 24, v4
	v_cvt_f32_fp8_sdwa v4, v4 src0_sel:BYTE_0
	s_nop 0
	v_mul_f32_e32 v9, s29, v4
	v_and_b32_e32 v4, 0x7f800000, v9
	v_cmp_ne_u32_e32 vcc, s22, v4
                                        ; implicit-def: $vgpr4
	s_and_saveexec_b64 s[0:1], vcc
	s_xor_b64 s[0:1], exec, s[0:1]
; %bb.286:                              ;   in Loop: Header=BB313_240 Depth=1
	v_bfe_u32 v4, v9, 16, 1
	v_add3_u32 v4, v9, v4, s28
                                        ; implicit-def: $vgpr9
; %bb.287:                              ;   in Loop: Header=BB313_240 Depth=1
	s_andn2_saveexec_b64 s[0:1], s[0:1]
; %bb.288:                              ;   in Loop: Header=BB313_240 Depth=1
	v_or_b32_e32 v4, 0x10000, v9
	v_cmp_eq_u32_sdwa vcc, v9, v17 src0_sel:WORD_0 src1_sel:DWORD
	s_nop 1
	v_cndmask_b32_e32 v4, v4, v9, vcc
; %bb.289:                              ;   in Loop: Header=BB313_240 Depth=1
	s_or_b64 exec, exec, s[0:1]
	v_and_b32_e32 v9, 0xff, v5
	v_cvt_f32_fp8_sdwa v9, v9 src0_sel:BYTE_0
	s_nop 0
	v_mul_f32_e32 v31, s29, v9
	v_and_b32_e32 v9, 0x7f800000, v31
	v_cmp_ne_u32_e32 vcc, s22, v9
                                        ; implicit-def: $vgpr9
	s_and_saveexec_b64 s[0:1], vcc
	s_xor_b64 s[0:1], exec, s[0:1]
; %bb.290:                              ;   in Loop: Header=BB313_240 Depth=1
	v_bfe_u32 v9, v31, 16, 1
	v_add3_u32 v9, v31, v9, s28
                                        ; implicit-def: $vgpr31
; %bb.291:                              ;   in Loop: Header=BB313_240 Depth=1
	s_andn2_saveexec_b64 s[0:1], s[0:1]
; %bb.292:                              ;   in Loop: Header=BB313_240 Depth=1
	v_or_b32_e32 v9, 0x10000, v31
	v_cmp_eq_u32_sdwa vcc, v31, v17 src0_sel:WORD_0 src1_sel:DWORD
	s_nop 1
	v_cndmask_b32_e32 v9, v9, v31, vcc
; %bb.293:                              ;   in Loop: Header=BB313_240 Depth=1
	s_or_b64 exec, exec, s[0:1]
	v_bfe_u32 v31, v5, 8, 8
	v_cvt_f32_fp8_sdwa v31, v31 src0_sel:BYTE_0
	s_nop 0
	v_mul_f32_e32 v31, s29, v31
	v_and_b32_e32 v32, 0x7f800000, v31
	v_cmp_ne_u32_e32 vcc, s22, v32
                                        ; implicit-def: $vgpr32
	s_and_saveexec_b64 s[0:1], vcc
	s_xor_b64 s[0:1], exec, s[0:1]
; %bb.294:                              ;   in Loop: Header=BB313_240 Depth=1
	v_bfe_u32 v32, v31, 16, 1
	v_add3_u32 v32, v31, v32, s28
                                        ; implicit-def: $vgpr31
; %bb.295:                              ;   in Loop: Header=BB313_240 Depth=1
	s_andn2_saveexec_b64 s[0:1], s[0:1]
; %bb.296:                              ;   in Loop: Header=BB313_240 Depth=1
	v_or_b32_e32 v32, 0x10000, v31
	v_cmp_eq_u32_sdwa vcc, v31, v17 src0_sel:WORD_0 src1_sel:DWORD
	s_nop 1
	v_cndmask_b32_e32 v32, v32, v31, vcc
; %bb.297:                              ;   in Loop: Header=BB313_240 Depth=1
	s_or_b64 exec, exec, s[0:1]
	v_bfe_u32 v31, v5, 16, 8
	v_cvt_f32_fp8_sdwa v31, v31 src0_sel:BYTE_0
	s_nop 0
	v_mul_f32_e32 v31, s29, v31
	v_and_b32_e32 v33, 0x7f800000, v31
	v_cmp_ne_u32_e32 vcc, s22, v33
                                        ; implicit-def: $vgpr33
	s_and_saveexec_b64 s[0:1], vcc
	s_xor_b64 s[0:1], exec, s[0:1]
; %bb.298:                              ;   in Loop: Header=BB313_240 Depth=1
	v_bfe_u32 v33, v31, 16, 1
	v_add3_u32 v33, v31, v33, s28
                                        ; implicit-def: $vgpr31
; %bb.299:                              ;   in Loop: Header=BB313_240 Depth=1
	s_andn2_saveexec_b64 s[0:1], s[0:1]
; %bb.300:                              ;   in Loop: Header=BB313_240 Depth=1
	v_or_b32_e32 v33, 0x10000, v31
	v_cmp_eq_u32_sdwa vcc, v31, v17 src0_sel:WORD_0 src1_sel:DWORD
	s_nop 1
	v_cndmask_b32_e32 v33, v33, v31, vcc
; %bb.301:                              ;   in Loop: Header=BB313_240 Depth=1
	s_or_b64 exec, exec, s[0:1]
	v_lshrrev_b32_e32 v5, 24, v5
	v_cvt_f32_fp8_sdwa v5, v5 src0_sel:BYTE_0
                                        ; implicit-def: $vgpr35
	s_nop 0
	v_mul_f32_e32 v5, s29, v5
	v_and_b32_e32 v31, 0x7f800000, v5
	v_cmp_ne_u32_e32 vcc, s22, v31
	s_and_saveexec_b64 s[0:1], vcc
	s_xor_b64 s[0:1], exec, s[0:1]
; %bb.302:                              ;   in Loop: Header=BB313_240 Depth=1
	v_bfe_u32 v31, v5, 16, 1
	v_add3_u32 v35, v5, v31, s28
                                        ; implicit-def: $vgpr5
; %bb.303:                              ;   in Loop: Header=BB313_240 Depth=1
	s_andn2_saveexec_b64 s[0:1], s[0:1]
; %bb.304:                              ;   in Loop: Header=BB313_240 Depth=1
	v_or_b32_e32 v31, 0x10000, v5
	v_cmp_eq_u32_sdwa vcc, v5, v17 src0_sel:WORD_0 src1_sel:DWORD
	s_nop 1
	v_cndmask_b32_e32 v35, v31, v5, vcc
; %bb.305:                              ;   in Loop: Header=BB313_240 Depth=1
	s_or_b64 exec, exec, s[0:1]
	v_add_u32_e32 v31, v25, v34
	v_cmp_eq_u32_e32 vcc, s21, v1
	v_lshrrev_b32_e32 v46, 16, v32
	v_lshrrev_b32_e32 v45, 16, v9
	;; [unrolled: 1-line block ×8, first 2 shown]
	v_add_u32_e32 v39, 1, v31
	v_add_u32_e32 v38, 2, v31
	;; [unrolled: 1-line block ×7, first 2 shown]
	s_and_saveexec_b64 s[12:13], vcc
	s_cbranch_execz .LBB313_307
; %bb.306:                              ;   in Loop: Header=BB313_240 Depth=1
	v_cmp_gt_i32_e64 s[0:1], s33, v31
	s_nop 1
	v_cndmask_b32_e64 v6, 0, v6, s[0:1]
	v_cmp_gt_i32_e64 s[0:1], s33, v39
	s_nop 1
	v_cndmask_b32_e64 v7, 0, v7, s[0:1]
	;; [unrolled: 3-line block ×8, first 2 shown]
.LBB313_307:                            ;   in Loop: Header=BB313_240 Depth=1
	s_or_b64 exec, exec, s[12:13]
	v_and_b32_e32 v40, 0xffff0000, v40
	v_lshlrev_b32_e32 v6, 16, v6
	v_mul_f32_e32 v44, v40, v6
	v_and_b32_e32 v6, 0x7f800000, v44
	v_cmp_ne_u32_e64 s[0:1], s22, v6
                                        ; implicit-def: $vgpr6
	s_and_saveexec_b64 s[12:13], s[0:1]
	s_xor_b64 s[0:1], exec, s[12:13]
; %bb.308:                              ;   in Loop: Header=BB313_240 Depth=1
	v_bfe_u32 v6, v44, 16, 1
	v_add3_u32 v6, v44, v6, s28
                                        ; implicit-def: $vgpr44
; %bb.309:                              ;   in Loop: Header=BB313_240 Depth=1
	s_andn2_saveexec_b64 s[12:13], s[0:1]
; %bb.310:                              ;   in Loop: Header=BB313_240 Depth=1
	v_or_b32_e32 v6, 0x10000, v44
	v_cmp_eq_u32_sdwa s[0:1], v44, v17 src0_sel:WORD_0 src1_sel:DWORD
	s_nop 1
	v_cndmask_b32_e64 v6, v6, v44, s[0:1]
; %bb.311:                              ;   in Loop: Header=BB313_240 Depth=1
	s_or_b64 exec, exec, s[12:13]
	v_and_b32_e32 v41, 0xffff0000, v41
	v_lshlrev_b32_e32 v7, 16, v7
	v_mul_f32_e32 v44, v41, v7
	v_and_b32_e32 v7, 0x7f800000, v44
	v_cmp_ne_u32_e64 s[0:1], s22, v7
                                        ; implicit-def: $vgpr7
	s_and_saveexec_b64 s[12:13], s[0:1]
	s_xor_b64 s[0:1], exec, s[12:13]
; %bb.312:                              ;   in Loop: Header=BB313_240 Depth=1
	v_bfe_u32 v7, v44, 16, 1
	v_add3_u32 v7, v44, v7, s28
                                        ; implicit-def: $vgpr44
; %bb.313:                              ;   in Loop: Header=BB313_240 Depth=1
	s_andn2_saveexec_b64 s[12:13], s[0:1]
; %bb.314:                              ;   in Loop: Header=BB313_240 Depth=1
	v_or_b32_e32 v7, 0x10000, v44
	v_cmp_eq_u32_sdwa s[0:1], v44, v17 src0_sel:WORD_0 src1_sel:DWORD
	s_nop 1
	v_cndmask_b32_e64 v7, v7, v44, s[0:1]
; %bb.315:                              ;   in Loop: Header=BB313_240 Depth=1
	s_or_b64 exec, exec, s[12:13]
	v_and_b32_e32 v42, 0xffff0000, v42
	v_lshlrev_b32_e32 v8, 16, v8
	v_mul_f32_e32 v44, v42, v8
	v_and_b32_e32 v8, 0x7f800000, v44
	v_cmp_ne_u32_e64 s[0:1], s22, v8
                                        ; implicit-def: $vgpr8
	s_and_saveexec_b64 s[12:13], s[0:1]
	s_xor_b64 s[0:1], exec, s[12:13]
; %bb.316:                              ;   in Loop: Header=BB313_240 Depth=1
	v_bfe_u32 v8, v44, 16, 1
	v_add3_u32 v8, v44, v8, s28
                                        ; implicit-def: $vgpr44
; %bb.317:                              ;   in Loop: Header=BB313_240 Depth=1
	s_andn2_saveexec_b64 s[12:13], s[0:1]
; %bb.318:                              ;   in Loop: Header=BB313_240 Depth=1
	v_or_b32_e32 v8, 0x10000, v44
	v_cmp_eq_u32_sdwa s[0:1], v44, v17 src0_sel:WORD_0 src1_sel:DWORD
	s_nop 1
	v_cndmask_b32_e64 v8, v8, v44, s[0:1]
; %bb.319:                              ;   in Loop: Header=BB313_240 Depth=1
	s_or_b64 exec, exec, s[12:13]
	v_and_b32_e32 v43, 0xffff0000, v43
	v_lshlrev_b32_e32 v9, 16, v9
	v_mul_f32_e32 v44, v43, v9
	v_and_b32_e32 v9, 0x7f800000, v44
	v_cmp_ne_u32_e64 s[0:1], s22, v9
                                        ; implicit-def: $vgpr9
	s_and_saveexec_b64 s[12:13], s[0:1]
	s_xor_b64 s[0:1], exec, s[12:13]
; %bb.320:                              ;   in Loop: Header=BB313_240 Depth=1
	v_bfe_u32 v9, v44, 16, 1
	v_add3_u32 v9, v44, v9, s28
                                        ; implicit-def: $vgpr44
; %bb.321:                              ;   in Loop: Header=BB313_240 Depth=1
	s_andn2_saveexec_b64 s[12:13], s[0:1]
; %bb.322:                              ;   in Loop: Header=BB313_240 Depth=1
	v_or_b32_e32 v9, 0x10000, v44
	v_cmp_eq_u32_sdwa s[0:1], v44, v17 src0_sel:WORD_0 src1_sel:DWORD
	s_nop 1
	v_cndmask_b32_e64 v9, v9, v44, s[0:1]
; %bb.323:                              ;   in Loop: Header=BB313_240 Depth=1
	s_or_b64 exec, exec, s[12:13]
	v_and_b32_e32 v44, 0xffff0000, v27
	v_lshlrev_b32_e32 v27, 16, v45
	v_mul_f32_e32 v45, v44, v27
	v_and_b32_e32 v27, 0x7f800000, v45
	v_cmp_ne_u32_e64 s[0:1], s22, v27
                                        ; implicit-def: $vgpr27
	s_and_saveexec_b64 s[12:13], s[0:1]
	s_xor_b64 s[0:1], exec, s[12:13]
; %bb.324:                              ;   in Loop: Header=BB313_240 Depth=1
	v_bfe_u32 v27, v45, 16, 1
	v_add3_u32 v27, v45, v27, s28
                                        ; implicit-def: $vgpr45
; %bb.325:                              ;   in Loop: Header=BB313_240 Depth=1
	s_andn2_saveexec_b64 s[12:13], s[0:1]
; %bb.326:                              ;   in Loop: Header=BB313_240 Depth=1
	v_or_b32_e32 v27, 0x10000, v45
	v_cmp_eq_u32_sdwa s[0:1], v45, v17 src0_sel:WORD_0 src1_sel:DWORD
	s_nop 1
	v_cndmask_b32_e64 v27, v27, v45, s[0:1]
; %bb.327:                              ;   in Loop: Header=BB313_240 Depth=1
	s_or_b64 exec, exec, s[12:13]
	v_and_b32_e32 v45, 0xffff0000, v28
	v_lshlrev_b32_e32 v28, 16, v46
	v_mul_f32_e32 v46, v45, v28
	v_and_b32_e32 v28, 0x7f800000, v46
	v_cmp_ne_u32_e64 s[0:1], s22, v28
                                        ; implicit-def: $vgpr28
	s_and_saveexec_b64 s[12:13], s[0:1]
	s_xor_b64 s[0:1], exec, s[12:13]
; %bb.328:                              ;   in Loop: Header=BB313_240 Depth=1
	v_bfe_u32 v28, v46, 16, 1
	v_add3_u32 v28, v46, v28, s28
                                        ; implicit-def: $vgpr46
; %bb.329:                              ;   in Loop: Header=BB313_240 Depth=1
	s_andn2_saveexec_b64 s[12:13], s[0:1]
; %bb.330:                              ;   in Loop: Header=BB313_240 Depth=1
	v_or_b32_e32 v28, 0x10000, v46
	v_cmp_eq_u32_sdwa s[0:1], v46, v17 src0_sel:WORD_0 src1_sel:DWORD
	s_nop 1
	v_cndmask_b32_e64 v28, v28, v46, s[0:1]
; %bb.331:                              ;   in Loop: Header=BB313_240 Depth=1
	s_or_b64 exec, exec, s[12:13]
	v_and_b32_e32 v46, 0xffff0000, v29
	v_lshlrev_b32_e32 v5, 16, v5
	v_mul_f32_e32 v5, v46, v5
	v_and_b32_e32 v29, 0x7f800000, v5
	v_cmp_ne_u32_e64 s[0:1], s22, v29
                                        ; implicit-def: $vgpr29
	s_and_saveexec_b64 s[12:13], s[0:1]
	s_xor_b64 s[0:1], exec, s[12:13]
; %bb.332:                              ;   in Loop: Header=BB313_240 Depth=1
	v_bfe_u32 v29, v5, 16, 1
	v_add3_u32 v29, v5, v29, s28
                                        ; implicit-def: $vgpr5
; %bb.333:                              ;   in Loop: Header=BB313_240 Depth=1
	s_andn2_saveexec_b64 s[12:13], s[0:1]
; %bb.334:                              ;   in Loop: Header=BB313_240 Depth=1
	v_or_b32_e32 v29, 0x10000, v5
	v_cmp_eq_u32_sdwa s[0:1], v5, v17 src0_sel:WORD_0 src1_sel:DWORD
	s_nop 1
	v_cndmask_b32_e64 v29, v29, v5, s[0:1]
; %bb.335:                              ;   in Loop: Header=BB313_240 Depth=1
	s_or_b64 exec, exec, s[12:13]
	v_and_b32_e32 v47, 0xffff0000, v30
	v_lshlrev_b32_e32 v4, 16, v4
	v_mul_f32_e32 v4, v47, v4
	v_and_b32_e32 v5, 0x7f800000, v4
	v_cmp_ne_u32_e64 s[0:1], s22, v5
                                        ; implicit-def: $vgpr30
	s_and_saveexec_b64 s[12:13], s[0:1]
	s_xor_b64 s[0:1], exec, s[12:13]
; %bb.336:                              ;   in Loop: Header=BB313_240 Depth=1
	v_bfe_u32 v5, v4, 16, 1
	v_add3_u32 v30, v4, v5, s28
                                        ; implicit-def: $vgpr4
; %bb.337:                              ;   in Loop: Header=BB313_240 Depth=1
	s_andn2_saveexec_b64 s[12:13], s[0:1]
; %bb.338:                              ;   in Loop: Header=BB313_240 Depth=1
	v_or_b32_e32 v5, 0x10000, v4
	v_cmp_eq_u32_sdwa s[0:1], v4, v17 src0_sel:WORD_0 src1_sel:DWORD
	s_nop 1
	v_cndmask_b32_e64 v30, v5, v4, s[0:1]
; %bb.339:                              ;   in Loop: Header=BB313_240 Depth=1
	s_or_b64 exec, exec, s[12:13]
	global_load_dwordx2 v[4:5], v[2:3], off offset:512
	s_waitcnt vmcnt(0)
	v_and_b32_e32 v48, 0xff, v4
	v_cvt_f32_fp8_sdwa v48, v48 src0_sel:BYTE_0
	s_nop 0
	v_mul_f32_e32 v49, s29, v48
	v_and_b32_e32 v48, 0x7f800000, v49
	v_cmp_ne_u32_e64 s[0:1], s22, v48
                                        ; implicit-def: $vgpr48
	s_and_saveexec_b64 s[12:13], s[0:1]
	s_xor_b64 s[0:1], exec, s[12:13]
; %bb.340:                              ;   in Loop: Header=BB313_240 Depth=1
	v_bfe_u32 v48, v49, 16, 1
	v_add3_u32 v48, v49, v48, s28
                                        ; implicit-def: $vgpr49
; %bb.341:                              ;   in Loop: Header=BB313_240 Depth=1
	s_andn2_saveexec_b64 s[12:13], s[0:1]
; %bb.342:                              ;   in Loop: Header=BB313_240 Depth=1
	v_or_b32_e32 v48, 0x10000, v49
	v_cmp_eq_u32_sdwa s[0:1], v49, v17 src0_sel:WORD_0 src1_sel:DWORD
	s_nop 1
	v_cndmask_b32_e64 v48, v48, v49, s[0:1]
; %bb.343:                              ;   in Loop: Header=BB313_240 Depth=1
	s_or_b64 exec, exec, s[12:13]
	v_bfe_u32 v49, v4, 8, 8
	v_cvt_f32_fp8_sdwa v49, v49 src0_sel:BYTE_0
	s_nop 0
	v_mul_f32_e32 v50, s29, v49
	v_and_b32_e32 v49, 0x7f800000, v50
	v_cmp_ne_u32_e64 s[0:1], s22, v49
                                        ; implicit-def: $vgpr49
	s_and_saveexec_b64 s[12:13], s[0:1]
	s_xor_b64 s[0:1], exec, s[12:13]
; %bb.344:                              ;   in Loop: Header=BB313_240 Depth=1
	v_bfe_u32 v49, v50, 16, 1
	v_add3_u32 v49, v50, v49, s28
                                        ; implicit-def: $vgpr50
; %bb.345:                              ;   in Loop: Header=BB313_240 Depth=1
	s_andn2_saveexec_b64 s[12:13], s[0:1]
; %bb.346:                              ;   in Loop: Header=BB313_240 Depth=1
	v_or_b32_e32 v49, 0x10000, v50
	v_cmp_eq_u32_sdwa s[0:1], v50, v17 src0_sel:WORD_0 src1_sel:DWORD
	s_nop 1
	v_cndmask_b32_e64 v49, v49, v50, s[0:1]
; %bb.347:                              ;   in Loop: Header=BB313_240 Depth=1
	s_or_b64 exec, exec, s[12:13]
	v_bfe_u32 v50, v4, 16, 8
	v_cvt_f32_fp8_sdwa v50, v50 src0_sel:BYTE_0
	s_nop 0
	v_mul_f32_e32 v51, s29, v50
	v_and_b32_e32 v50, 0x7f800000, v51
	v_cmp_ne_u32_e64 s[0:1], s22, v50
                                        ; implicit-def: $vgpr50
	s_and_saveexec_b64 s[12:13], s[0:1]
	s_xor_b64 s[0:1], exec, s[12:13]
; %bb.348:                              ;   in Loop: Header=BB313_240 Depth=1
	v_bfe_u32 v50, v51, 16, 1
	v_add3_u32 v50, v51, v50, s28
                                        ; implicit-def: $vgpr51
; %bb.349:                              ;   in Loop: Header=BB313_240 Depth=1
	s_andn2_saveexec_b64 s[12:13], s[0:1]
; %bb.350:                              ;   in Loop: Header=BB313_240 Depth=1
	v_or_b32_e32 v50, 0x10000, v51
	v_cmp_eq_u32_sdwa s[0:1], v51, v17 src0_sel:WORD_0 src1_sel:DWORD
	s_nop 1
	v_cndmask_b32_e64 v50, v50, v51, s[0:1]
; %bb.351:                              ;   in Loop: Header=BB313_240 Depth=1
	s_or_b64 exec, exec, s[12:13]
	v_lshrrev_b32_e32 v4, 24, v4
	v_cvt_f32_fp8_sdwa v4, v4 src0_sel:BYTE_0
	s_nop 0
	v_mul_f32_e32 v51, s29, v4
	v_and_b32_e32 v4, 0x7f800000, v51
	v_cmp_ne_u32_e64 s[0:1], s22, v4
                                        ; implicit-def: $vgpr4
	s_and_saveexec_b64 s[12:13], s[0:1]
	s_xor_b64 s[0:1], exec, s[12:13]
; %bb.352:                              ;   in Loop: Header=BB313_240 Depth=1
	v_bfe_u32 v4, v51, 16, 1
	v_add3_u32 v4, v51, v4, s28
                                        ; implicit-def: $vgpr51
; %bb.353:                              ;   in Loop: Header=BB313_240 Depth=1
	s_andn2_saveexec_b64 s[12:13], s[0:1]
; %bb.354:                              ;   in Loop: Header=BB313_240 Depth=1
	v_or_b32_e32 v4, 0x10000, v51
	v_cmp_eq_u32_sdwa s[0:1], v51, v17 src0_sel:WORD_0 src1_sel:DWORD
	s_nop 1
	v_cndmask_b32_e64 v4, v4, v51, s[0:1]
; %bb.355:                              ;   in Loop: Header=BB313_240 Depth=1
	s_or_b64 exec, exec, s[12:13]
	v_and_b32_e32 v51, 0xff, v5
	v_cvt_f32_fp8_sdwa v51, v51 src0_sel:BYTE_0
	s_nop 0
	v_mul_f32_e32 v52, s29, v51
	v_and_b32_e32 v51, 0x7f800000, v52
	v_cmp_ne_u32_e64 s[0:1], s22, v51
                                        ; implicit-def: $vgpr51
	s_and_saveexec_b64 s[12:13], s[0:1]
	s_xor_b64 s[0:1], exec, s[12:13]
; %bb.356:                              ;   in Loop: Header=BB313_240 Depth=1
	v_bfe_u32 v51, v52, 16, 1
	v_add3_u32 v51, v52, v51, s28
                                        ; implicit-def: $vgpr52
; %bb.357:                              ;   in Loop: Header=BB313_240 Depth=1
	s_andn2_saveexec_b64 s[12:13], s[0:1]
; %bb.358:                              ;   in Loop: Header=BB313_240 Depth=1
	v_or_b32_e32 v51, 0x10000, v52
	v_cmp_eq_u32_sdwa s[0:1], v52, v17 src0_sel:WORD_0 src1_sel:DWORD
	s_nop 1
	v_cndmask_b32_e64 v51, v51, v52, s[0:1]
; %bb.359:                              ;   in Loop: Header=BB313_240 Depth=1
	s_or_b64 exec, exec, s[12:13]
	v_bfe_u32 v52, v5, 8, 8
	v_cvt_f32_fp8_sdwa v52, v52 src0_sel:BYTE_0
	s_nop 0
	v_mul_f32_e32 v53, s29, v52
	v_and_b32_e32 v52, 0x7f800000, v53
	v_cmp_ne_u32_e64 s[0:1], s22, v52
                                        ; implicit-def: $vgpr52
	s_and_saveexec_b64 s[12:13], s[0:1]
	s_xor_b64 s[0:1], exec, s[12:13]
; %bb.360:                              ;   in Loop: Header=BB313_240 Depth=1
	v_bfe_u32 v52, v53, 16, 1
	v_add3_u32 v52, v53, v52, s28
                                        ; implicit-def: $vgpr53
; %bb.361:                              ;   in Loop: Header=BB313_240 Depth=1
	s_andn2_saveexec_b64 s[12:13], s[0:1]
; %bb.362:                              ;   in Loop: Header=BB313_240 Depth=1
	v_or_b32_e32 v52, 0x10000, v53
	v_cmp_eq_u32_sdwa s[0:1], v53, v17 src0_sel:WORD_0 src1_sel:DWORD
	s_nop 1
	v_cndmask_b32_e64 v52, v52, v53, s[0:1]
; %bb.363:                              ;   in Loop: Header=BB313_240 Depth=1
	s_or_b64 exec, exec, s[12:13]
	v_bfe_u32 v53, v5, 16, 8
	v_cvt_f32_fp8_sdwa v53, v53 src0_sel:BYTE_0
	s_nop 0
	v_mul_f32_e32 v53, s29, v53
	v_and_b32_e32 v54, 0x7f800000, v53
	v_cmp_ne_u32_e64 s[0:1], s22, v54
                                        ; implicit-def: $vgpr54
	s_and_saveexec_b64 s[12:13], s[0:1]
	s_xor_b64 s[0:1], exec, s[12:13]
; %bb.364:                              ;   in Loop: Header=BB313_240 Depth=1
	v_bfe_u32 v54, v53, 16, 1
	v_add3_u32 v54, v53, v54, s28
                                        ; implicit-def: $vgpr53
; %bb.365:                              ;   in Loop: Header=BB313_240 Depth=1
	s_andn2_saveexec_b64 s[12:13], s[0:1]
; %bb.366:                              ;   in Loop: Header=BB313_240 Depth=1
	v_or_b32_e32 v54, 0x10000, v53
	v_cmp_eq_u32_sdwa s[0:1], v53, v17 src0_sel:WORD_0 src1_sel:DWORD
	s_nop 1
	v_cndmask_b32_e64 v54, v54, v53, s[0:1]
; %bb.367:                              ;   in Loop: Header=BB313_240 Depth=1
	s_or_b64 exec, exec, s[12:13]
	v_lshrrev_b32_e32 v5, 24, v5
	v_cvt_f32_fp8_sdwa v5, v5 src0_sel:BYTE_0
                                        ; implicit-def: $vgpr55
	s_nop 0
	v_mul_f32_e32 v5, s29, v5
	v_and_b32_e32 v53, 0x7f800000, v5
	v_cmp_ne_u32_e64 s[0:1], s22, v53
	s_and_saveexec_b64 s[12:13], s[0:1]
	s_xor_b64 s[0:1], exec, s[12:13]
; %bb.368:                              ;   in Loop: Header=BB313_240 Depth=1
	v_bfe_u32 v53, v5, 16, 1
	v_add3_u32 v55, v5, v53, s28
                                        ; implicit-def: $vgpr5
; %bb.369:                              ;   in Loop: Header=BB313_240 Depth=1
	s_andn2_saveexec_b64 s[12:13], s[0:1]
; %bb.370:                              ;   in Loop: Header=BB313_240 Depth=1
	v_or_b32_e32 v53, 0x10000, v5
	v_cmp_eq_u32_sdwa s[0:1], v5, v17 src0_sel:WORD_0 src1_sel:DWORD
	s_nop 1
	v_cndmask_b32_e64 v55, v53, v5, s[0:1]
; %bb.371:                              ;   in Loop: Header=BB313_240 Depth=1
	s_or_b64 exec, exec, s[12:13]
	v_lshrrev_b32_e32 v53, 16, v52
	v_lshrrev_b32_e32 v52, 16, v51
	;; [unrolled: 1-line block ×8, first 2 shown]
	s_and_saveexec_b64 s[12:13], vcc
	s_cbranch_execz .LBB313_373
; %bb.372:                              ;   in Loop: Header=BB313_240 Depth=1
	v_cmp_gt_i32_e64 s[0:1], s33, v31
	s_nop 1
	v_cndmask_b32_e64 v48, 0, v48, s[0:1]
	v_cmp_gt_i32_e64 s[0:1], s33, v39
	s_nop 1
	v_cndmask_b32_e64 v49, 0, v49, s[0:1]
	;; [unrolled: 3-line block ×8, first 2 shown]
.LBB313_373:                            ;   in Loop: Header=BB313_240 Depth=1
	s_or_b64 exec, exec, s[12:13]
	v_lshlrev_b32_e32 v48, 16, v48
	v_mul_f32_e32 v54, v40, v48
	v_and_b32_e32 v48, 0x7f800000, v54
	v_cmp_ne_u32_e64 s[0:1], s22, v48
                                        ; implicit-def: $vgpr48
	s_and_saveexec_b64 s[12:13], s[0:1]
	s_xor_b64 s[0:1], exec, s[12:13]
; %bb.374:                              ;   in Loop: Header=BB313_240 Depth=1
	v_bfe_u32 v48, v54, 16, 1
	v_add3_u32 v48, v54, v48, s28
                                        ; implicit-def: $vgpr54
; %bb.375:                              ;   in Loop: Header=BB313_240 Depth=1
	s_andn2_saveexec_b64 s[12:13], s[0:1]
; %bb.376:                              ;   in Loop: Header=BB313_240 Depth=1
	v_or_b32_e32 v48, 0x10000, v54
	v_cmp_eq_u32_sdwa s[0:1], v54, v17 src0_sel:WORD_0 src1_sel:DWORD
	s_nop 1
	v_cndmask_b32_e64 v48, v48, v54, s[0:1]
; %bb.377:                              ;   in Loop: Header=BB313_240 Depth=1
	s_or_b64 exec, exec, s[12:13]
	v_lshlrev_b32_e32 v49, 16, v49
	v_mul_f32_e32 v54, v41, v49
	v_and_b32_e32 v49, 0x7f800000, v54
	v_cmp_ne_u32_e64 s[0:1], s22, v49
                                        ; implicit-def: $vgpr49
	s_and_saveexec_b64 s[12:13], s[0:1]
	s_xor_b64 s[0:1], exec, s[12:13]
; %bb.378:                              ;   in Loop: Header=BB313_240 Depth=1
	v_bfe_u32 v49, v54, 16, 1
	v_add3_u32 v49, v54, v49, s28
                                        ; implicit-def: $vgpr54
; %bb.379:                              ;   in Loop: Header=BB313_240 Depth=1
	s_andn2_saveexec_b64 s[12:13], s[0:1]
; %bb.380:                              ;   in Loop: Header=BB313_240 Depth=1
	v_or_b32_e32 v49, 0x10000, v54
	v_cmp_eq_u32_sdwa s[0:1], v54, v17 src0_sel:WORD_0 src1_sel:DWORD
	s_nop 1
	v_cndmask_b32_e64 v49, v49, v54, s[0:1]
; %bb.381:                              ;   in Loop: Header=BB313_240 Depth=1
	s_or_b64 exec, exec, s[12:13]
	v_lshlrev_b32_e32 v50, 16, v50
	v_mul_f32_e32 v54, v42, v50
	v_and_b32_e32 v50, 0x7f800000, v54
	v_cmp_ne_u32_e64 s[0:1], s22, v50
                                        ; implicit-def: $vgpr50
	s_and_saveexec_b64 s[12:13], s[0:1]
	s_xor_b64 s[0:1], exec, s[12:13]
; %bb.382:                              ;   in Loop: Header=BB313_240 Depth=1
	v_bfe_u32 v50, v54, 16, 1
	v_add3_u32 v50, v54, v50, s28
                                        ; implicit-def: $vgpr54
; %bb.383:                              ;   in Loop: Header=BB313_240 Depth=1
	s_andn2_saveexec_b64 s[12:13], s[0:1]
; %bb.384:                              ;   in Loop: Header=BB313_240 Depth=1
	v_or_b32_e32 v50, 0x10000, v54
	v_cmp_eq_u32_sdwa s[0:1], v54, v17 src0_sel:WORD_0 src1_sel:DWORD
	s_nop 1
	v_cndmask_b32_e64 v50, v50, v54, s[0:1]
; %bb.385:                              ;   in Loop: Header=BB313_240 Depth=1
	s_or_b64 exec, exec, s[12:13]
	v_lshlrev_b32_e32 v51, 16, v51
	v_mul_f32_e32 v54, v43, v51
	v_and_b32_e32 v51, 0x7f800000, v54
	v_cmp_ne_u32_e64 s[0:1], s22, v51
                                        ; implicit-def: $vgpr51
	s_and_saveexec_b64 s[12:13], s[0:1]
	s_xor_b64 s[0:1], exec, s[12:13]
; %bb.386:                              ;   in Loop: Header=BB313_240 Depth=1
	v_bfe_u32 v51, v54, 16, 1
	v_add3_u32 v51, v54, v51, s28
                                        ; implicit-def: $vgpr54
; %bb.387:                              ;   in Loop: Header=BB313_240 Depth=1
	s_andn2_saveexec_b64 s[12:13], s[0:1]
; %bb.388:                              ;   in Loop: Header=BB313_240 Depth=1
	v_or_b32_e32 v51, 0x10000, v54
	v_cmp_eq_u32_sdwa s[0:1], v54, v17 src0_sel:WORD_0 src1_sel:DWORD
	s_nop 1
	v_cndmask_b32_e64 v51, v51, v54, s[0:1]
; %bb.389:                              ;   in Loop: Header=BB313_240 Depth=1
	s_or_b64 exec, exec, s[12:13]
	v_lshlrev_b32_e32 v52, 16, v52
	v_mul_f32_e32 v54, v44, v52
	v_and_b32_e32 v52, 0x7f800000, v54
	v_cmp_ne_u32_e64 s[0:1], s22, v52
                                        ; implicit-def: $vgpr52
	s_and_saveexec_b64 s[12:13], s[0:1]
	s_xor_b64 s[0:1], exec, s[12:13]
; %bb.390:                              ;   in Loop: Header=BB313_240 Depth=1
	v_bfe_u32 v52, v54, 16, 1
	v_add3_u32 v52, v54, v52, s28
                                        ; implicit-def: $vgpr54
; %bb.391:                              ;   in Loop: Header=BB313_240 Depth=1
	s_andn2_saveexec_b64 s[12:13], s[0:1]
; %bb.392:                              ;   in Loop: Header=BB313_240 Depth=1
	v_or_b32_e32 v52, 0x10000, v54
	v_cmp_eq_u32_sdwa s[0:1], v54, v17 src0_sel:WORD_0 src1_sel:DWORD
	s_nop 1
	v_cndmask_b32_e64 v52, v52, v54, s[0:1]
; %bb.393:                              ;   in Loop: Header=BB313_240 Depth=1
	s_or_b64 exec, exec, s[12:13]
	v_lshlrev_b32_e32 v53, 16, v53
	v_mul_f32_e32 v54, v45, v53
	v_and_b32_e32 v53, 0x7f800000, v54
	v_cmp_ne_u32_e64 s[0:1], s22, v53
                                        ; implicit-def: $vgpr53
	s_and_saveexec_b64 s[12:13], s[0:1]
	s_xor_b64 s[0:1], exec, s[12:13]
; %bb.394:                              ;   in Loop: Header=BB313_240 Depth=1
	v_bfe_u32 v53, v54, 16, 1
	v_add3_u32 v53, v54, v53, s28
                                        ; implicit-def: $vgpr54
; %bb.395:                              ;   in Loop: Header=BB313_240 Depth=1
	s_andn2_saveexec_b64 s[12:13], s[0:1]
; %bb.396:                              ;   in Loop: Header=BB313_240 Depth=1
	v_or_b32_e32 v53, 0x10000, v54
	v_cmp_eq_u32_sdwa s[0:1], v54, v17 src0_sel:WORD_0 src1_sel:DWORD
	s_nop 1
	v_cndmask_b32_e64 v53, v53, v54, s[0:1]
; %bb.397:                              ;   in Loop: Header=BB313_240 Depth=1
	s_or_b64 exec, exec, s[12:13]
	v_lshlrev_b32_e32 v5, 16, v5
	v_mul_f32_e32 v5, v46, v5
	v_and_b32_e32 v54, 0x7f800000, v5
	v_cmp_ne_u32_e64 s[0:1], s22, v54
                                        ; implicit-def: $vgpr54
	s_and_saveexec_b64 s[12:13], s[0:1]
	s_xor_b64 s[0:1], exec, s[12:13]
; %bb.398:                              ;   in Loop: Header=BB313_240 Depth=1
	v_bfe_u32 v54, v5, 16, 1
	v_add3_u32 v54, v5, v54, s28
                                        ; implicit-def: $vgpr5
; %bb.399:                              ;   in Loop: Header=BB313_240 Depth=1
	s_andn2_saveexec_b64 s[12:13], s[0:1]
; %bb.400:                              ;   in Loop: Header=BB313_240 Depth=1
	v_or_b32_e32 v54, 0x10000, v5
	v_cmp_eq_u32_sdwa s[0:1], v5, v17 src0_sel:WORD_0 src1_sel:DWORD
	s_nop 1
	v_cndmask_b32_e64 v54, v54, v5, s[0:1]
; %bb.401:                              ;   in Loop: Header=BB313_240 Depth=1
	s_or_b64 exec, exec, s[12:13]
	v_lshlrev_b32_e32 v4, 16, v4
	v_mul_f32_e32 v4, v47, v4
	v_and_b32_e32 v5, 0x7f800000, v4
	v_cmp_ne_u32_e64 s[0:1], s22, v5
                                        ; implicit-def: $vgpr55
	s_and_saveexec_b64 s[12:13], s[0:1]
	s_xor_b64 s[0:1], exec, s[12:13]
; %bb.402:                              ;   in Loop: Header=BB313_240 Depth=1
	v_bfe_u32 v5, v4, 16, 1
	v_add3_u32 v55, v4, v5, s28
                                        ; implicit-def: $vgpr4
; %bb.403:                              ;   in Loop: Header=BB313_240 Depth=1
	s_andn2_saveexec_b64 s[12:13], s[0:1]
; %bb.404:                              ;   in Loop: Header=BB313_240 Depth=1
	v_or_b32_e32 v5, 0x10000, v4
	v_cmp_eq_u32_sdwa s[0:1], v4, v17 src0_sel:WORD_0 src1_sel:DWORD
	s_nop 1
	v_cndmask_b32_e64 v55, v5, v4, s[0:1]
; %bb.405:                              ;   in Loop: Header=BB313_240 Depth=1
	s_or_b64 exec, exec, s[12:13]
	global_load_dwordx2 v[4:5], v[2:3], off offset:1024
	s_waitcnt vmcnt(0)
	v_and_b32_e32 v56, 0xff, v4
	v_cvt_f32_fp8_sdwa v56, v56 src0_sel:BYTE_0
	s_nop 0
	v_mul_f32_e32 v57, s29, v56
	v_and_b32_e32 v56, 0x7f800000, v57
	v_cmp_ne_u32_e64 s[0:1], s22, v56
                                        ; implicit-def: $vgpr56
	s_and_saveexec_b64 s[12:13], s[0:1]
	s_xor_b64 s[0:1], exec, s[12:13]
; %bb.406:                              ;   in Loop: Header=BB313_240 Depth=1
	v_bfe_u32 v56, v57, 16, 1
	v_add3_u32 v56, v57, v56, s28
                                        ; implicit-def: $vgpr57
; %bb.407:                              ;   in Loop: Header=BB313_240 Depth=1
	s_andn2_saveexec_b64 s[12:13], s[0:1]
; %bb.408:                              ;   in Loop: Header=BB313_240 Depth=1
	v_or_b32_e32 v56, 0x10000, v57
	v_cmp_eq_u32_sdwa s[0:1], v57, v17 src0_sel:WORD_0 src1_sel:DWORD
	s_nop 1
	v_cndmask_b32_e64 v56, v56, v57, s[0:1]
; %bb.409:                              ;   in Loop: Header=BB313_240 Depth=1
	s_or_b64 exec, exec, s[12:13]
	v_bfe_u32 v57, v4, 8, 8
	v_cvt_f32_fp8_sdwa v57, v57 src0_sel:BYTE_0
	s_nop 0
	v_mul_f32_e32 v58, s29, v57
	v_and_b32_e32 v57, 0x7f800000, v58
	v_cmp_ne_u32_e64 s[0:1], s22, v57
                                        ; implicit-def: $vgpr57
	s_and_saveexec_b64 s[12:13], s[0:1]
	s_xor_b64 s[0:1], exec, s[12:13]
; %bb.410:                              ;   in Loop: Header=BB313_240 Depth=1
	v_bfe_u32 v57, v58, 16, 1
	v_add3_u32 v57, v58, v57, s28
                                        ; implicit-def: $vgpr58
; %bb.411:                              ;   in Loop: Header=BB313_240 Depth=1
	s_andn2_saveexec_b64 s[12:13], s[0:1]
; %bb.412:                              ;   in Loop: Header=BB313_240 Depth=1
	v_or_b32_e32 v57, 0x10000, v58
	v_cmp_eq_u32_sdwa s[0:1], v58, v17 src0_sel:WORD_0 src1_sel:DWORD
	s_nop 1
	v_cndmask_b32_e64 v57, v57, v58, s[0:1]
; %bb.413:                              ;   in Loop: Header=BB313_240 Depth=1
	s_or_b64 exec, exec, s[12:13]
	v_bfe_u32 v58, v4, 16, 8
	v_cvt_f32_fp8_sdwa v58, v58 src0_sel:BYTE_0
	s_nop 0
	v_mul_f32_e32 v59, s29, v58
	v_and_b32_e32 v58, 0x7f800000, v59
	v_cmp_ne_u32_e64 s[0:1], s22, v58
                                        ; implicit-def: $vgpr58
	s_and_saveexec_b64 s[12:13], s[0:1]
	s_xor_b64 s[0:1], exec, s[12:13]
; %bb.414:                              ;   in Loop: Header=BB313_240 Depth=1
	v_bfe_u32 v58, v59, 16, 1
	v_add3_u32 v58, v59, v58, s28
                                        ; implicit-def: $vgpr59
; %bb.415:                              ;   in Loop: Header=BB313_240 Depth=1
	s_andn2_saveexec_b64 s[12:13], s[0:1]
; %bb.416:                              ;   in Loop: Header=BB313_240 Depth=1
	v_or_b32_e32 v58, 0x10000, v59
	v_cmp_eq_u32_sdwa s[0:1], v59, v17 src0_sel:WORD_0 src1_sel:DWORD
	s_nop 1
	v_cndmask_b32_e64 v58, v58, v59, s[0:1]
; %bb.417:                              ;   in Loop: Header=BB313_240 Depth=1
	s_or_b64 exec, exec, s[12:13]
	v_lshrrev_b32_e32 v4, 24, v4
	v_cvt_f32_fp8_sdwa v4, v4 src0_sel:BYTE_0
	s_nop 0
	v_mul_f32_e32 v59, s29, v4
	v_and_b32_e32 v4, 0x7f800000, v59
	v_cmp_ne_u32_e64 s[0:1], s22, v4
                                        ; implicit-def: $vgpr4
	s_and_saveexec_b64 s[12:13], s[0:1]
	s_xor_b64 s[0:1], exec, s[12:13]
; %bb.418:                              ;   in Loop: Header=BB313_240 Depth=1
	v_bfe_u32 v4, v59, 16, 1
	v_add3_u32 v4, v59, v4, s28
                                        ; implicit-def: $vgpr59
; %bb.419:                              ;   in Loop: Header=BB313_240 Depth=1
	s_andn2_saveexec_b64 s[12:13], s[0:1]
; %bb.420:                              ;   in Loop: Header=BB313_240 Depth=1
	v_or_b32_e32 v4, 0x10000, v59
	v_cmp_eq_u32_sdwa s[0:1], v59, v17 src0_sel:WORD_0 src1_sel:DWORD
	s_nop 1
	v_cndmask_b32_e64 v4, v4, v59, s[0:1]
; %bb.421:                              ;   in Loop: Header=BB313_240 Depth=1
	s_or_b64 exec, exec, s[12:13]
	v_and_b32_e32 v59, 0xff, v5
	v_cvt_f32_fp8_sdwa v59, v59 src0_sel:BYTE_0
	s_nop 0
	v_mul_f32_e32 v60, s29, v59
	v_and_b32_e32 v59, 0x7f800000, v60
	v_cmp_ne_u32_e64 s[0:1], s22, v59
                                        ; implicit-def: $vgpr59
	s_and_saveexec_b64 s[12:13], s[0:1]
	s_xor_b64 s[0:1], exec, s[12:13]
; %bb.422:                              ;   in Loop: Header=BB313_240 Depth=1
	v_bfe_u32 v59, v60, 16, 1
	v_add3_u32 v59, v60, v59, s28
                                        ; implicit-def: $vgpr60
; %bb.423:                              ;   in Loop: Header=BB313_240 Depth=1
	s_andn2_saveexec_b64 s[12:13], s[0:1]
; %bb.424:                              ;   in Loop: Header=BB313_240 Depth=1
	v_or_b32_e32 v59, 0x10000, v60
	v_cmp_eq_u32_sdwa s[0:1], v60, v17 src0_sel:WORD_0 src1_sel:DWORD
	s_nop 1
	v_cndmask_b32_e64 v59, v59, v60, s[0:1]
; %bb.425:                              ;   in Loop: Header=BB313_240 Depth=1
	s_or_b64 exec, exec, s[12:13]
	v_bfe_u32 v60, v5, 8, 8
	v_cvt_f32_fp8_sdwa v60, v60 src0_sel:BYTE_0
	s_nop 0
	v_mul_f32_e32 v61, s29, v60
	v_and_b32_e32 v60, 0x7f800000, v61
	v_cmp_ne_u32_e64 s[0:1], s22, v60
                                        ; implicit-def: $vgpr60
	s_and_saveexec_b64 s[12:13], s[0:1]
	s_xor_b64 s[0:1], exec, s[12:13]
; %bb.426:                              ;   in Loop: Header=BB313_240 Depth=1
	v_bfe_u32 v60, v61, 16, 1
	v_add3_u32 v60, v61, v60, s28
                                        ; implicit-def: $vgpr61
; %bb.427:                              ;   in Loop: Header=BB313_240 Depth=1
	s_andn2_saveexec_b64 s[12:13], s[0:1]
; %bb.428:                              ;   in Loop: Header=BB313_240 Depth=1
	v_or_b32_e32 v60, 0x10000, v61
	v_cmp_eq_u32_sdwa s[0:1], v61, v17 src0_sel:WORD_0 src1_sel:DWORD
	s_nop 1
	v_cndmask_b32_e64 v60, v60, v61, s[0:1]
; %bb.429:                              ;   in Loop: Header=BB313_240 Depth=1
	s_or_b64 exec, exec, s[12:13]
	v_bfe_u32 v61, v5, 16, 8
	v_cvt_f32_fp8_sdwa v61, v61 src0_sel:BYTE_0
	s_nop 0
	v_mul_f32_e32 v61, s29, v61
	v_and_b32_e32 v62, 0x7f800000, v61
	v_cmp_ne_u32_e64 s[0:1], s22, v62
                                        ; implicit-def: $vgpr62
	s_and_saveexec_b64 s[12:13], s[0:1]
	s_xor_b64 s[0:1], exec, s[12:13]
; %bb.430:                              ;   in Loop: Header=BB313_240 Depth=1
	v_bfe_u32 v62, v61, 16, 1
	v_add3_u32 v62, v61, v62, s28
                                        ; implicit-def: $vgpr61
; %bb.431:                              ;   in Loop: Header=BB313_240 Depth=1
	s_andn2_saveexec_b64 s[12:13], s[0:1]
; %bb.432:                              ;   in Loop: Header=BB313_240 Depth=1
	v_or_b32_e32 v62, 0x10000, v61
	v_cmp_eq_u32_sdwa s[0:1], v61, v17 src0_sel:WORD_0 src1_sel:DWORD
	s_nop 1
	v_cndmask_b32_e64 v62, v62, v61, s[0:1]
; %bb.433:                              ;   in Loop: Header=BB313_240 Depth=1
	s_or_b64 exec, exec, s[12:13]
	v_lshrrev_b32_e32 v5, 24, v5
	v_cvt_f32_fp8_sdwa v5, v5 src0_sel:BYTE_0
                                        ; implicit-def: $vgpr63
	s_nop 0
	v_mul_f32_e32 v5, s29, v5
	v_and_b32_e32 v61, 0x7f800000, v5
	v_cmp_ne_u32_e64 s[0:1], s22, v61
	s_and_saveexec_b64 s[12:13], s[0:1]
	s_xor_b64 s[0:1], exec, s[12:13]
; %bb.434:                              ;   in Loop: Header=BB313_240 Depth=1
	v_bfe_u32 v61, v5, 16, 1
	v_add3_u32 v63, v5, v61, s28
                                        ; implicit-def: $vgpr5
; %bb.435:                              ;   in Loop: Header=BB313_240 Depth=1
	s_andn2_saveexec_b64 s[12:13], s[0:1]
; %bb.436:                              ;   in Loop: Header=BB313_240 Depth=1
	v_or_b32_e32 v61, 0x10000, v5
	v_cmp_eq_u32_sdwa s[0:1], v5, v17 src0_sel:WORD_0 src1_sel:DWORD
	s_nop 1
	v_cndmask_b32_e64 v63, v61, v5, s[0:1]
; %bb.437:                              ;   in Loop: Header=BB313_240 Depth=1
	s_or_b64 exec, exec, s[12:13]
	v_lshrrev_b32_e32 v61, 16, v60
	v_lshrrev_b32_e32 v60, 16, v59
	v_lshrrev_b32_e32 v59, 16, v4
	v_lshrrev_b32_e32 v58, 16, v58
	v_lshrrev_b32_e32 v57, 16, v57
	v_lshrrev_b32_e32 v56, 16, v56
	v_lshrrev_b32_e32 v5, 16, v62
	v_lshrrev_b32_e32 v4, 16, v63
	s_and_saveexec_b64 s[12:13], vcc
	s_cbranch_execz .LBB313_439
; %bb.438:                              ;   in Loop: Header=BB313_240 Depth=1
	v_cmp_gt_i32_e64 s[0:1], s33, v31
	s_nop 1
	v_cndmask_b32_e64 v56, 0, v56, s[0:1]
	v_cmp_gt_i32_e64 s[0:1], s33, v39
	s_nop 1
	v_cndmask_b32_e64 v57, 0, v57, s[0:1]
	;; [unrolled: 3-line block ×8, first 2 shown]
.LBB313_439:                            ;   in Loop: Header=BB313_240 Depth=1
	s_or_b64 exec, exec, s[12:13]
	v_lshlrev_b32_e32 v56, 16, v56
	v_mul_f32_e32 v62, v40, v56
	v_and_b32_e32 v56, 0x7f800000, v62
	v_cmp_ne_u32_e64 s[0:1], s22, v56
                                        ; implicit-def: $vgpr56
	s_and_saveexec_b64 s[12:13], s[0:1]
	s_xor_b64 s[0:1], exec, s[12:13]
; %bb.440:                              ;   in Loop: Header=BB313_240 Depth=1
	v_bfe_u32 v56, v62, 16, 1
	v_add3_u32 v56, v62, v56, s28
                                        ; implicit-def: $vgpr62
; %bb.441:                              ;   in Loop: Header=BB313_240 Depth=1
	s_andn2_saveexec_b64 s[12:13], s[0:1]
; %bb.442:                              ;   in Loop: Header=BB313_240 Depth=1
	v_or_b32_e32 v56, 0x10000, v62
	v_cmp_eq_u32_sdwa s[0:1], v62, v17 src0_sel:WORD_0 src1_sel:DWORD
	s_nop 1
	v_cndmask_b32_e64 v56, v56, v62, s[0:1]
; %bb.443:                              ;   in Loop: Header=BB313_240 Depth=1
	s_or_b64 exec, exec, s[12:13]
	v_lshlrev_b32_e32 v57, 16, v57
	v_mul_f32_e32 v62, v41, v57
	v_and_b32_e32 v57, 0x7f800000, v62
	v_cmp_ne_u32_e64 s[0:1], s22, v57
                                        ; implicit-def: $vgpr57
	s_and_saveexec_b64 s[12:13], s[0:1]
	s_xor_b64 s[0:1], exec, s[12:13]
; %bb.444:                              ;   in Loop: Header=BB313_240 Depth=1
	v_bfe_u32 v57, v62, 16, 1
	v_add3_u32 v57, v62, v57, s28
                                        ; implicit-def: $vgpr62
; %bb.445:                              ;   in Loop: Header=BB313_240 Depth=1
	s_andn2_saveexec_b64 s[12:13], s[0:1]
; %bb.446:                              ;   in Loop: Header=BB313_240 Depth=1
	v_or_b32_e32 v57, 0x10000, v62
	v_cmp_eq_u32_sdwa s[0:1], v62, v17 src0_sel:WORD_0 src1_sel:DWORD
	s_nop 1
	v_cndmask_b32_e64 v57, v57, v62, s[0:1]
; %bb.447:                              ;   in Loop: Header=BB313_240 Depth=1
	s_or_b64 exec, exec, s[12:13]
	v_lshlrev_b32_e32 v58, 16, v58
	v_mul_f32_e32 v62, v42, v58
	v_and_b32_e32 v58, 0x7f800000, v62
	v_cmp_ne_u32_e64 s[0:1], s22, v58
                                        ; implicit-def: $vgpr58
	s_and_saveexec_b64 s[12:13], s[0:1]
	s_xor_b64 s[0:1], exec, s[12:13]
; %bb.448:                              ;   in Loop: Header=BB313_240 Depth=1
	v_bfe_u32 v58, v62, 16, 1
	v_add3_u32 v58, v62, v58, s28
                                        ; implicit-def: $vgpr62
; %bb.449:                              ;   in Loop: Header=BB313_240 Depth=1
	s_andn2_saveexec_b64 s[12:13], s[0:1]
; %bb.450:                              ;   in Loop: Header=BB313_240 Depth=1
	v_or_b32_e32 v58, 0x10000, v62
	v_cmp_eq_u32_sdwa s[0:1], v62, v17 src0_sel:WORD_0 src1_sel:DWORD
	s_nop 1
	v_cndmask_b32_e64 v58, v58, v62, s[0:1]
; %bb.451:                              ;   in Loop: Header=BB313_240 Depth=1
	s_or_b64 exec, exec, s[12:13]
	v_lshlrev_b32_e32 v59, 16, v59
	v_mul_f32_e32 v62, v43, v59
	v_and_b32_e32 v59, 0x7f800000, v62
	v_cmp_ne_u32_e64 s[0:1], s22, v59
                                        ; implicit-def: $vgpr59
	s_and_saveexec_b64 s[12:13], s[0:1]
	s_xor_b64 s[0:1], exec, s[12:13]
; %bb.452:                              ;   in Loop: Header=BB313_240 Depth=1
	v_bfe_u32 v59, v62, 16, 1
	v_add3_u32 v59, v62, v59, s28
                                        ; implicit-def: $vgpr62
; %bb.453:                              ;   in Loop: Header=BB313_240 Depth=1
	s_andn2_saveexec_b64 s[12:13], s[0:1]
; %bb.454:                              ;   in Loop: Header=BB313_240 Depth=1
	v_or_b32_e32 v59, 0x10000, v62
	v_cmp_eq_u32_sdwa s[0:1], v62, v17 src0_sel:WORD_0 src1_sel:DWORD
	s_nop 1
	v_cndmask_b32_e64 v59, v59, v62, s[0:1]
; %bb.455:                              ;   in Loop: Header=BB313_240 Depth=1
	s_or_b64 exec, exec, s[12:13]
	v_lshlrev_b32_e32 v60, 16, v60
	v_mul_f32_e32 v62, v44, v60
	v_and_b32_e32 v60, 0x7f800000, v62
	v_cmp_ne_u32_e64 s[0:1], s22, v60
                                        ; implicit-def: $vgpr60
	s_and_saveexec_b64 s[12:13], s[0:1]
	s_xor_b64 s[0:1], exec, s[12:13]
; %bb.456:                              ;   in Loop: Header=BB313_240 Depth=1
	v_bfe_u32 v60, v62, 16, 1
	v_add3_u32 v60, v62, v60, s28
                                        ; implicit-def: $vgpr62
; %bb.457:                              ;   in Loop: Header=BB313_240 Depth=1
	s_andn2_saveexec_b64 s[12:13], s[0:1]
; %bb.458:                              ;   in Loop: Header=BB313_240 Depth=1
	v_or_b32_e32 v60, 0x10000, v62
	v_cmp_eq_u32_sdwa s[0:1], v62, v17 src0_sel:WORD_0 src1_sel:DWORD
	s_nop 1
	v_cndmask_b32_e64 v60, v60, v62, s[0:1]
; %bb.459:                              ;   in Loop: Header=BB313_240 Depth=1
	s_or_b64 exec, exec, s[12:13]
	v_lshlrev_b32_e32 v61, 16, v61
	v_mul_f32_e32 v62, v45, v61
	v_and_b32_e32 v61, 0x7f800000, v62
	v_cmp_ne_u32_e64 s[0:1], s22, v61
                                        ; implicit-def: $vgpr61
	s_and_saveexec_b64 s[12:13], s[0:1]
	s_xor_b64 s[0:1], exec, s[12:13]
; %bb.460:                              ;   in Loop: Header=BB313_240 Depth=1
	v_bfe_u32 v61, v62, 16, 1
	v_add3_u32 v61, v62, v61, s28
                                        ; implicit-def: $vgpr62
; %bb.461:                              ;   in Loop: Header=BB313_240 Depth=1
	s_andn2_saveexec_b64 s[12:13], s[0:1]
; %bb.462:                              ;   in Loop: Header=BB313_240 Depth=1
	v_or_b32_e32 v61, 0x10000, v62
	v_cmp_eq_u32_sdwa s[0:1], v62, v17 src0_sel:WORD_0 src1_sel:DWORD
	s_nop 1
	v_cndmask_b32_e64 v61, v61, v62, s[0:1]
; %bb.463:                              ;   in Loop: Header=BB313_240 Depth=1
	s_or_b64 exec, exec, s[12:13]
	v_lshlrev_b32_e32 v5, 16, v5
	v_mul_f32_e32 v5, v46, v5
	v_and_b32_e32 v62, 0x7f800000, v5
	v_cmp_ne_u32_e64 s[0:1], s22, v62
                                        ; implicit-def: $vgpr62
	s_and_saveexec_b64 s[12:13], s[0:1]
	s_xor_b64 s[0:1], exec, s[12:13]
; %bb.464:                              ;   in Loop: Header=BB313_240 Depth=1
	v_bfe_u32 v62, v5, 16, 1
	v_add3_u32 v62, v5, v62, s28
                                        ; implicit-def: $vgpr5
; %bb.465:                              ;   in Loop: Header=BB313_240 Depth=1
	s_andn2_saveexec_b64 s[12:13], s[0:1]
; %bb.466:                              ;   in Loop: Header=BB313_240 Depth=1
	v_or_b32_e32 v62, 0x10000, v5
	v_cmp_eq_u32_sdwa s[0:1], v5, v17 src0_sel:WORD_0 src1_sel:DWORD
	s_nop 1
	v_cndmask_b32_e64 v62, v62, v5, s[0:1]
; %bb.467:                              ;   in Loop: Header=BB313_240 Depth=1
	s_or_b64 exec, exec, s[12:13]
	v_lshlrev_b32_e32 v4, 16, v4
	v_mul_f32_e32 v4, v47, v4
	v_and_b32_e32 v5, 0x7f800000, v4
	v_cmp_ne_u32_e64 s[0:1], s22, v5
                                        ; implicit-def: $vgpr63
	s_and_saveexec_b64 s[12:13], s[0:1]
	s_xor_b64 s[0:1], exec, s[12:13]
; %bb.468:                              ;   in Loop: Header=BB313_240 Depth=1
	v_bfe_u32 v5, v4, 16, 1
	v_add3_u32 v63, v4, v5, s28
                                        ; implicit-def: $vgpr4
; %bb.469:                              ;   in Loop: Header=BB313_240 Depth=1
	s_andn2_saveexec_b64 s[12:13], s[0:1]
; %bb.470:                              ;   in Loop: Header=BB313_240 Depth=1
	v_or_b32_e32 v5, 0x10000, v4
	v_cmp_eq_u32_sdwa s[0:1], v4, v17 src0_sel:WORD_0 src1_sel:DWORD
	s_nop 1
	v_cndmask_b32_e64 v63, v5, v4, s[0:1]
; %bb.471:                              ;   in Loop: Header=BB313_240 Depth=1
	s_or_b64 exec, exec, s[12:13]
	global_load_dwordx2 v[4:5], v[2:3], off offset:1536
	s_waitcnt vmcnt(0)
	v_and_b32_e32 v64, 0xff, v4
	v_cvt_f32_fp8_sdwa v64, v64 src0_sel:BYTE_0
	s_nop 0
	v_mul_f32_e32 v65, s29, v64
	v_and_b32_e32 v64, 0x7f800000, v65
	v_cmp_ne_u32_e64 s[0:1], s22, v64
                                        ; implicit-def: $vgpr64
	s_and_saveexec_b64 s[12:13], s[0:1]
	s_xor_b64 s[0:1], exec, s[12:13]
; %bb.472:                              ;   in Loop: Header=BB313_240 Depth=1
	v_bfe_u32 v64, v65, 16, 1
	v_add3_u32 v64, v65, v64, s28
                                        ; implicit-def: $vgpr65
; %bb.473:                              ;   in Loop: Header=BB313_240 Depth=1
	s_andn2_saveexec_b64 s[12:13], s[0:1]
; %bb.474:                              ;   in Loop: Header=BB313_240 Depth=1
	v_or_b32_e32 v64, 0x10000, v65
	v_cmp_eq_u32_sdwa s[0:1], v65, v17 src0_sel:WORD_0 src1_sel:DWORD
	s_nop 1
	v_cndmask_b32_e64 v64, v64, v65, s[0:1]
; %bb.475:                              ;   in Loop: Header=BB313_240 Depth=1
	s_or_b64 exec, exec, s[12:13]
	v_bfe_u32 v65, v4, 8, 8
	v_cvt_f32_fp8_sdwa v65, v65 src0_sel:BYTE_0
	s_nop 0
	v_mul_f32_e32 v66, s29, v65
	v_and_b32_e32 v65, 0x7f800000, v66
	v_cmp_ne_u32_e64 s[0:1], s22, v65
                                        ; implicit-def: $vgpr65
	s_and_saveexec_b64 s[12:13], s[0:1]
	s_xor_b64 s[0:1], exec, s[12:13]
; %bb.476:                              ;   in Loop: Header=BB313_240 Depth=1
	v_bfe_u32 v65, v66, 16, 1
	v_add3_u32 v65, v66, v65, s28
                                        ; implicit-def: $vgpr66
; %bb.477:                              ;   in Loop: Header=BB313_240 Depth=1
	s_andn2_saveexec_b64 s[12:13], s[0:1]
; %bb.478:                              ;   in Loop: Header=BB313_240 Depth=1
	v_or_b32_e32 v65, 0x10000, v66
	v_cmp_eq_u32_sdwa s[0:1], v66, v17 src0_sel:WORD_0 src1_sel:DWORD
	s_nop 1
	v_cndmask_b32_e64 v65, v65, v66, s[0:1]
; %bb.479:                              ;   in Loop: Header=BB313_240 Depth=1
	s_or_b64 exec, exec, s[12:13]
	v_bfe_u32 v66, v4, 16, 8
	v_cvt_f32_fp8_sdwa v66, v66 src0_sel:BYTE_0
	s_nop 0
	v_mul_f32_e32 v67, s29, v66
	v_and_b32_e32 v66, 0x7f800000, v67
	v_cmp_ne_u32_e64 s[0:1], s22, v66
                                        ; implicit-def: $vgpr66
	s_and_saveexec_b64 s[12:13], s[0:1]
	s_xor_b64 s[0:1], exec, s[12:13]
; %bb.480:                              ;   in Loop: Header=BB313_240 Depth=1
	v_bfe_u32 v66, v67, 16, 1
	v_add3_u32 v66, v67, v66, s28
                                        ; implicit-def: $vgpr67
; %bb.481:                              ;   in Loop: Header=BB313_240 Depth=1
	s_andn2_saveexec_b64 s[12:13], s[0:1]
; %bb.482:                              ;   in Loop: Header=BB313_240 Depth=1
	v_or_b32_e32 v66, 0x10000, v67
	v_cmp_eq_u32_sdwa s[0:1], v67, v17 src0_sel:WORD_0 src1_sel:DWORD
	s_nop 1
	v_cndmask_b32_e64 v66, v66, v67, s[0:1]
; %bb.483:                              ;   in Loop: Header=BB313_240 Depth=1
	s_or_b64 exec, exec, s[12:13]
	v_lshrrev_b32_e32 v4, 24, v4
	v_cvt_f32_fp8_sdwa v4, v4 src0_sel:BYTE_0
	s_nop 0
	v_mul_f32_e32 v67, s29, v4
	v_and_b32_e32 v4, 0x7f800000, v67
	v_cmp_ne_u32_e64 s[0:1], s22, v4
                                        ; implicit-def: $vgpr4
	s_and_saveexec_b64 s[12:13], s[0:1]
	s_xor_b64 s[0:1], exec, s[12:13]
; %bb.484:                              ;   in Loop: Header=BB313_240 Depth=1
	v_bfe_u32 v4, v67, 16, 1
	v_add3_u32 v4, v67, v4, s28
                                        ; implicit-def: $vgpr67
; %bb.485:                              ;   in Loop: Header=BB313_240 Depth=1
	s_andn2_saveexec_b64 s[12:13], s[0:1]
; %bb.486:                              ;   in Loop: Header=BB313_240 Depth=1
	v_or_b32_e32 v4, 0x10000, v67
	v_cmp_eq_u32_sdwa s[0:1], v67, v17 src0_sel:WORD_0 src1_sel:DWORD
	s_nop 1
	v_cndmask_b32_e64 v4, v4, v67, s[0:1]
; %bb.487:                              ;   in Loop: Header=BB313_240 Depth=1
	s_or_b64 exec, exec, s[12:13]
	v_and_b32_e32 v67, 0xff, v5
	v_cvt_f32_fp8_sdwa v67, v67 src0_sel:BYTE_0
	s_nop 0
	v_mul_f32_e32 v68, s29, v67
	v_and_b32_e32 v67, 0x7f800000, v68
	v_cmp_ne_u32_e64 s[0:1], s22, v67
                                        ; implicit-def: $vgpr67
	s_and_saveexec_b64 s[12:13], s[0:1]
	s_xor_b64 s[0:1], exec, s[12:13]
; %bb.488:                              ;   in Loop: Header=BB313_240 Depth=1
	v_bfe_u32 v67, v68, 16, 1
	v_add3_u32 v67, v68, v67, s28
                                        ; implicit-def: $vgpr68
; %bb.489:                              ;   in Loop: Header=BB313_240 Depth=1
	s_andn2_saveexec_b64 s[12:13], s[0:1]
; %bb.490:                              ;   in Loop: Header=BB313_240 Depth=1
	v_or_b32_e32 v67, 0x10000, v68
	v_cmp_eq_u32_sdwa s[0:1], v68, v17 src0_sel:WORD_0 src1_sel:DWORD
	s_nop 1
	v_cndmask_b32_e64 v67, v67, v68, s[0:1]
; %bb.491:                              ;   in Loop: Header=BB313_240 Depth=1
	s_or_b64 exec, exec, s[12:13]
	v_bfe_u32 v68, v5, 8, 8
	v_cvt_f32_fp8_sdwa v68, v68 src0_sel:BYTE_0
	s_nop 0
	v_mul_f32_e32 v69, s29, v68
	v_and_b32_e32 v68, 0x7f800000, v69
	v_cmp_ne_u32_e64 s[0:1], s22, v68
                                        ; implicit-def: $vgpr68
	s_and_saveexec_b64 s[12:13], s[0:1]
	s_xor_b64 s[0:1], exec, s[12:13]
; %bb.492:                              ;   in Loop: Header=BB313_240 Depth=1
	v_bfe_u32 v68, v69, 16, 1
	v_add3_u32 v68, v69, v68, s28
                                        ; implicit-def: $vgpr69
; %bb.493:                              ;   in Loop: Header=BB313_240 Depth=1
	s_andn2_saveexec_b64 s[12:13], s[0:1]
; %bb.494:                              ;   in Loop: Header=BB313_240 Depth=1
	v_or_b32_e32 v68, 0x10000, v69
	v_cmp_eq_u32_sdwa s[0:1], v69, v17 src0_sel:WORD_0 src1_sel:DWORD
	s_nop 1
	v_cndmask_b32_e64 v68, v68, v69, s[0:1]
; %bb.495:                              ;   in Loop: Header=BB313_240 Depth=1
	s_or_b64 exec, exec, s[12:13]
	v_bfe_u32 v69, v5, 16, 8
	v_cvt_f32_fp8_sdwa v69, v69 src0_sel:BYTE_0
	s_nop 0
	v_mul_f32_e32 v69, s29, v69
	v_and_b32_e32 v70, 0x7f800000, v69
	v_cmp_ne_u32_e64 s[0:1], s22, v70
                                        ; implicit-def: $vgpr70
	s_and_saveexec_b64 s[12:13], s[0:1]
	s_xor_b64 s[0:1], exec, s[12:13]
; %bb.496:                              ;   in Loop: Header=BB313_240 Depth=1
	v_bfe_u32 v70, v69, 16, 1
	v_add3_u32 v70, v69, v70, s28
                                        ; implicit-def: $vgpr69
; %bb.497:                              ;   in Loop: Header=BB313_240 Depth=1
	s_andn2_saveexec_b64 s[12:13], s[0:1]
; %bb.498:                              ;   in Loop: Header=BB313_240 Depth=1
	v_or_b32_e32 v70, 0x10000, v69
	v_cmp_eq_u32_sdwa s[0:1], v69, v17 src0_sel:WORD_0 src1_sel:DWORD
	s_nop 1
	v_cndmask_b32_e64 v70, v70, v69, s[0:1]
; %bb.499:                              ;   in Loop: Header=BB313_240 Depth=1
	s_or_b64 exec, exec, s[12:13]
	v_lshrrev_b32_e32 v5, 24, v5
	v_cvt_f32_fp8_sdwa v5, v5 src0_sel:BYTE_0
                                        ; implicit-def: $vgpr71
	s_nop 0
	v_mul_f32_e32 v5, s29, v5
	v_and_b32_e32 v69, 0x7f800000, v5
	v_cmp_ne_u32_e64 s[0:1], s22, v69
	s_and_saveexec_b64 s[12:13], s[0:1]
	s_xor_b64 s[0:1], exec, s[12:13]
; %bb.500:                              ;   in Loop: Header=BB313_240 Depth=1
	v_bfe_u32 v69, v5, 16, 1
	v_add3_u32 v71, v5, v69, s28
                                        ; implicit-def: $vgpr5
; %bb.501:                              ;   in Loop: Header=BB313_240 Depth=1
	s_andn2_saveexec_b64 s[12:13], s[0:1]
; %bb.502:                              ;   in Loop: Header=BB313_240 Depth=1
	v_or_b32_e32 v69, 0x10000, v5
	v_cmp_eq_u32_sdwa s[0:1], v5, v17 src0_sel:WORD_0 src1_sel:DWORD
	s_nop 1
	v_cndmask_b32_e64 v71, v69, v5, s[0:1]
; %bb.503:                              ;   in Loop: Header=BB313_240 Depth=1
	s_or_b64 exec, exec, s[12:13]
	v_lshrrev_b32_e32 v69, 16, v68
	v_lshrrev_b32_e32 v68, 16, v67
	;; [unrolled: 1-line block ×8, first 2 shown]
	s_and_saveexec_b64 s[12:13], vcc
	s_cbranch_execz .LBB313_505
; %bb.504:                              ;   in Loop: Header=BB313_240 Depth=1
	v_cmp_gt_i32_e64 s[0:1], s33, v31
	s_nop 1
	v_cndmask_b32_e64 v64, 0, v64, s[0:1]
	v_cmp_gt_i32_e64 s[0:1], s33, v39
	s_nop 1
	v_cndmask_b32_e64 v65, 0, v65, s[0:1]
	v_cmp_gt_i32_e64 s[0:1], s33, v38
	s_nop 1
	v_cndmask_b32_e64 v66, 0, v66, s[0:1]
	v_cmp_gt_i32_e64 s[0:1], s33, v37
	s_nop 1
	v_cndmask_b32_e64 v67, 0, v67, s[0:1]
	v_cmp_gt_i32_e64 s[0:1], s33, v36
	s_nop 1
	v_cndmask_b32_e64 v68, 0, v68, s[0:1]
	v_cmp_gt_i32_e64 s[0:1], s33, v35
	s_nop 1
	v_cndmask_b32_e64 v69, 0, v69, s[0:1]
	v_cmp_gt_i32_e64 s[0:1], s33, v33
	s_nop 1
	v_cndmask_b32_e64 v5, 0, v5, s[0:1]
	v_cmp_gt_i32_e64 s[0:1], s33, v32
	s_nop 1
	v_cndmask_b32_e64 v4, 0, v4, s[0:1]
.LBB313_505:                            ;   in Loop: Header=BB313_240 Depth=1
	s_or_b64 exec, exec, s[12:13]
	v_lshlrev_b32_e32 v64, 16, v64
	v_mul_f32_e32 v70, v40, v64
	v_and_b32_e32 v64, 0x7f800000, v70
	v_cmp_ne_u32_e64 s[0:1], s22, v64
                                        ; implicit-def: $vgpr64
	s_and_saveexec_b64 s[12:13], s[0:1]
	s_xor_b64 s[0:1], exec, s[12:13]
; %bb.506:                              ;   in Loop: Header=BB313_240 Depth=1
	v_bfe_u32 v64, v70, 16, 1
	v_add3_u32 v64, v70, v64, s28
                                        ; implicit-def: $vgpr70
; %bb.507:                              ;   in Loop: Header=BB313_240 Depth=1
	s_andn2_saveexec_b64 s[12:13], s[0:1]
; %bb.508:                              ;   in Loop: Header=BB313_240 Depth=1
	v_or_b32_e32 v64, 0x10000, v70
	v_cmp_eq_u32_sdwa s[0:1], v70, v17 src0_sel:WORD_0 src1_sel:DWORD
	s_nop 1
	v_cndmask_b32_e64 v64, v64, v70, s[0:1]
; %bb.509:                              ;   in Loop: Header=BB313_240 Depth=1
	s_or_b64 exec, exec, s[12:13]
	v_lshlrev_b32_e32 v65, 16, v65
	v_mul_f32_e32 v70, v41, v65
	v_and_b32_e32 v65, 0x7f800000, v70
	v_cmp_ne_u32_e64 s[0:1], s22, v65
                                        ; implicit-def: $vgpr65
	s_and_saveexec_b64 s[12:13], s[0:1]
	s_xor_b64 s[0:1], exec, s[12:13]
; %bb.510:                              ;   in Loop: Header=BB313_240 Depth=1
	v_bfe_u32 v65, v70, 16, 1
	v_add3_u32 v65, v70, v65, s28
                                        ; implicit-def: $vgpr70
; %bb.511:                              ;   in Loop: Header=BB313_240 Depth=1
	s_andn2_saveexec_b64 s[12:13], s[0:1]
; %bb.512:                              ;   in Loop: Header=BB313_240 Depth=1
	v_or_b32_e32 v65, 0x10000, v70
	v_cmp_eq_u32_sdwa s[0:1], v70, v17 src0_sel:WORD_0 src1_sel:DWORD
	s_nop 1
	v_cndmask_b32_e64 v65, v65, v70, s[0:1]
; %bb.513:                              ;   in Loop: Header=BB313_240 Depth=1
	s_or_b64 exec, exec, s[12:13]
	v_lshlrev_b32_e32 v66, 16, v66
	v_mul_f32_e32 v70, v42, v66
	v_and_b32_e32 v66, 0x7f800000, v70
	v_cmp_ne_u32_e64 s[0:1], s22, v66
                                        ; implicit-def: $vgpr66
	s_and_saveexec_b64 s[12:13], s[0:1]
	s_xor_b64 s[0:1], exec, s[12:13]
; %bb.514:                              ;   in Loop: Header=BB313_240 Depth=1
	v_bfe_u32 v66, v70, 16, 1
	v_add3_u32 v66, v70, v66, s28
                                        ; implicit-def: $vgpr70
; %bb.515:                              ;   in Loop: Header=BB313_240 Depth=1
	s_andn2_saveexec_b64 s[12:13], s[0:1]
; %bb.516:                              ;   in Loop: Header=BB313_240 Depth=1
	v_or_b32_e32 v66, 0x10000, v70
	v_cmp_eq_u32_sdwa s[0:1], v70, v17 src0_sel:WORD_0 src1_sel:DWORD
	s_nop 1
	v_cndmask_b32_e64 v66, v66, v70, s[0:1]
; %bb.517:                              ;   in Loop: Header=BB313_240 Depth=1
	s_or_b64 exec, exec, s[12:13]
	v_lshlrev_b32_e32 v67, 16, v67
	v_mul_f32_e32 v70, v43, v67
	v_and_b32_e32 v67, 0x7f800000, v70
	v_cmp_ne_u32_e64 s[0:1], s22, v67
                                        ; implicit-def: $vgpr67
	s_and_saveexec_b64 s[12:13], s[0:1]
	s_xor_b64 s[0:1], exec, s[12:13]
; %bb.518:                              ;   in Loop: Header=BB313_240 Depth=1
	v_bfe_u32 v67, v70, 16, 1
	v_add3_u32 v67, v70, v67, s28
                                        ; implicit-def: $vgpr70
; %bb.519:                              ;   in Loop: Header=BB313_240 Depth=1
	s_andn2_saveexec_b64 s[12:13], s[0:1]
; %bb.520:                              ;   in Loop: Header=BB313_240 Depth=1
	v_or_b32_e32 v67, 0x10000, v70
	v_cmp_eq_u32_sdwa s[0:1], v70, v17 src0_sel:WORD_0 src1_sel:DWORD
	s_nop 1
	v_cndmask_b32_e64 v67, v67, v70, s[0:1]
; %bb.521:                              ;   in Loop: Header=BB313_240 Depth=1
	s_or_b64 exec, exec, s[12:13]
	v_lshlrev_b32_e32 v68, 16, v68
	v_mul_f32_e32 v70, v44, v68
	v_and_b32_e32 v68, 0x7f800000, v70
	v_cmp_ne_u32_e64 s[0:1], s22, v68
                                        ; implicit-def: $vgpr68
	s_and_saveexec_b64 s[12:13], s[0:1]
	s_xor_b64 s[0:1], exec, s[12:13]
; %bb.522:                              ;   in Loop: Header=BB313_240 Depth=1
	v_bfe_u32 v68, v70, 16, 1
	v_add3_u32 v68, v70, v68, s28
                                        ; implicit-def: $vgpr70
; %bb.523:                              ;   in Loop: Header=BB313_240 Depth=1
	s_andn2_saveexec_b64 s[12:13], s[0:1]
; %bb.524:                              ;   in Loop: Header=BB313_240 Depth=1
	v_or_b32_e32 v68, 0x10000, v70
	v_cmp_eq_u32_sdwa s[0:1], v70, v17 src0_sel:WORD_0 src1_sel:DWORD
	s_nop 1
	v_cndmask_b32_e64 v68, v68, v70, s[0:1]
; %bb.525:                              ;   in Loop: Header=BB313_240 Depth=1
	s_or_b64 exec, exec, s[12:13]
	v_lshlrev_b32_e32 v69, 16, v69
	v_mul_f32_e32 v70, v45, v69
	v_and_b32_e32 v69, 0x7f800000, v70
	v_cmp_ne_u32_e64 s[0:1], s22, v69
                                        ; implicit-def: $vgpr69
	s_and_saveexec_b64 s[12:13], s[0:1]
	s_xor_b64 s[0:1], exec, s[12:13]
; %bb.526:                              ;   in Loop: Header=BB313_240 Depth=1
	v_bfe_u32 v69, v70, 16, 1
	v_add3_u32 v69, v70, v69, s28
                                        ; implicit-def: $vgpr70
; %bb.527:                              ;   in Loop: Header=BB313_240 Depth=1
	s_andn2_saveexec_b64 s[12:13], s[0:1]
; %bb.528:                              ;   in Loop: Header=BB313_240 Depth=1
	v_or_b32_e32 v69, 0x10000, v70
	v_cmp_eq_u32_sdwa s[0:1], v70, v17 src0_sel:WORD_0 src1_sel:DWORD
	s_nop 1
	v_cndmask_b32_e64 v69, v69, v70, s[0:1]
; %bb.529:                              ;   in Loop: Header=BB313_240 Depth=1
	s_or_b64 exec, exec, s[12:13]
	v_lshlrev_b32_e32 v5, 16, v5
	v_mul_f32_e32 v5, v46, v5
	v_and_b32_e32 v70, 0x7f800000, v5
	v_cmp_ne_u32_e64 s[0:1], s22, v70
                                        ; implicit-def: $vgpr70
	s_and_saveexec_b64 s[12:13], s[0:1]
	s_xor_b64 s[0:1], exec, s[12:13]
; %bb.530:                              ;   in Loop: Header=BB313_240 Depth=1
	v_bfe_u32 v70, v5, 16, 1
	v_add3_u32 v70, v5, v70, s28
                                        ; implicit-def: $vgpr5
; %bb.531:                              ;   in Loop: Header=BB313_240 Depth=1
	s_andn2_saveexec_b64 s[12:13], s[0:1]
; %bb.532:                              ;   in Loop: Header=BB313_240 Depth=1
	v_or_b32_e32 v70, 0x10000, v5
	v_cmp_eq_u32_sdwa s[0:1], v5, v17 src0_sel:WORD_0 src1_sel:DWORD
	s_nop 1
	v_cndmask_b32_e64 v70, v70, v5, s[0:1]
; %bb.533:                              ;   in Loop: Header=BB313_240 Depth=1
	s_or_b64 exec, exec, s[12:13]
	v_lshlrev_b32_e32 v4, 16, v4
	v_mul_f32_e32 v4, v47, v4
	v_and_b32_e32 v5, 0x7f800000, v4
	v_cmp_ne_u32_e64 s[0:1], s22, v5
                                        ; implicit-def: $vgpr71
	s_and_saveexec_b64 s[12:13], s[0:1]
	s_xor_b64 s[0:1], exec, s[12:13]
; %bb.534:                              ;   in Loop: Header=BB313_240 Depth=1
	v_bfe_u32 v5, v4, 16, 1
	v_add3_u32 v71, v4, v5, s28
                                        ; implicit-def: $vgpr4
; %bb.535:                              ;   in Loop: Header=BB313_240 Depth=1
	s_andn2_saveexec_b64 s[12:13], s[0:1]
; %bb.536:                              ;   in Loop: Header=BB313_240 Depth=1
	v_or_b32_e32 v5, 0x10000, v4
	v_cmp_eq_u32_sdwa s[0:1], v4, v17 src0_sel:WORD_0 src1_sel:DWORD
	s_nop 1
	v_cndmask_b32_e64 v71, v5, v4, s[0:1]
; %bb.537:                              ;   in Loop: Header=BB313_240 Depth=1
	s_or_b64 exec, exec, s[12:13]
	global_load_dwordx2 v[4:5], v[2:3], off offset:2048
	s_waitcnt vmcnt(0)
	v_and_b32_e32 v72, 0xff, v4
	v_cvt_f32_fp8_sdwa v72, v72 src0_sel:BYTE_0
	s_nop 0
	v_mul_f32_e32 v73, s29, v72
	v_and_b32_e32 v72, 0x7f800000, v73
	v_cmp_ne_u32_e64 s[0:1], s22, v72
                                        ; implicit-def: $vgpr72
	s_and_saveexec_b64 s[12:13], s[0:1]
	s_xor_b64 s[0:1], exec, s[12:13]
; %bb.538:                              ;   in Loop: Header=BB313_240 Depth=1
	v_bfe_u32 v72, v73, 16, 1
	v_add3_u32 v72, v73, v72, s28
                                        ; implicit-def: $vgpr73
; %bb.539:                              ;   in Loop: Header=BB313_240 Depth=1
	s_andn2_saveexec_b64 s[12:13], s[0:1]
; %bb.540:                              ;   in Loop: Header=BB313_240 Depth=1
	v_or_b32_e32 v72, 0x10000, v73
	v_cmp_eq_u32_sdwa s[0:1], v73, v17 src0_sel:WORD_0 src1_sel:DWORD
	s_nop 1
	v_cndmask_b32_e64 v72, v72, v73, s[0:1]
; %bb.541:                              ;   in Loop: Header=BB313_240 Depth=1
	s_or_b64 exec, exec, s[12:13]
	v_bfe_u32 v73, v4, 8, 8
	v_cvt_f32_fp8_sdwa v73, v73 src0_sel:BYTE_0
	s_nop 0
	v_mul_f32_e32 v74, s29, v73
	v_and_b32_e32 v73, 0x7f800000, v74
	v_cmp_ne_u32_e64 s[0:1], s22, v73
                                        ; implicit-def: $vgpr73
	s_and_saveexec_b64 s[12:13], s[0:1]
	s_xor_b64 s[0:1], exec, s[12:13]
; %bb.542:                              ;   in Loop: Header=BB313_240 Depth=1
	v_bfe_u32 v73, v74, 16, 1
	v_add3_u32 v73, v74, v73, s28
                                        ; implicit-def: $vgpr74
; %bb.543:                              ;   in Loop: Header=BB313_240 Depth=1
	s_andn2_saveexec_b64 s[12:13], s[0:1]
; %bb.544:                              ;   in Loop: Header=BB313_240 Depth=1
	v_or_b32_e32 v73, 0x10000, v74
	v_cmp_eq_u32_sdwa s[0:1], v74, v17 src0_sel:WORD_0 src1_sel:DWORD
	s_nop 1
	v_cndmask_b32_e64 v73, v73, v74, s[0:1]
; %bb.545:                              ;   in Loop: Header=BB313_240 Depth=1
	s_or_b64 exec, exec, s[12:13]
	v_bfe_u32 v74, v4, 16, 8
	v_cvt_f32_fp8_sdwa v74, v74 src0_sel:BYTE_0
	s_nop 0
	v_mul_f32_e32 v75, s29, v74
	v_and_b32_e32 v74, 0x7f800000, v75
	v_cmp_ne_u32_e64 s[0:1], s22, v74
                                        ; implicit-def: $vgpr74
	s_and_saveexec_b64 s[12:13], s[0:1]
	s_xor_b64 s[0:1], exec, s[12:13]
; %bb.546:                              ;   in Loop: Header=BB313_240 Depth=1
	v_bfe_u32 v74, v75, 16, 1
	v_add3_u32 v74, v75, v74, s28
                                        ; implicit-def: $vgpr75
; %bb.547:                              ;   in Loop: Header=BB313_240 Depth=1
	s_andn2_saveexec_b64 s[12:13], s[0:1]
; %bb.548:                              ;   in Loop: Header=BB313_240 Depth=1
	v_or_b32_e32 v74, 0x10000, v75
	v_cmp_eq_u32_sdwa s[0:1], v75, v17 src0_sel:WORD_0 src1_sel:DWORD
	s_nop 1
	v_cndmask_b32_e64 v74, v74, v75, s[0:1]
; %bb.549:                              ;   in Loop: Header=BB313_240 Depth=1
	s_or_b64 exec, exec, s[12:13]
	v_lshrrev_b32_e32 v4, 24, v4
	v_cvt_f32_fp8_sdwa v4, v4 src0_sel:BYTE_0
	s_nop 0
	v_mul_f32_e32 v75, s29, v4
	v_and_b32_e32 v4, 0x7f800000, v75
	v_cmp_ne_u32_e64 s[0:1], s22, v4
                                        ; implicit-def: $vgpr4
	s_and_saveexec_b64 s[12:13], s[0:1]
	s_xor_b64 s[0:1], exec, s[12:13]
; %bb.550:                              ;   in Loop: Header=BB313_240 Depth=1
	v_bfe_u32 v4, v75, 16, 1
	v_add3_u32 v4, v75, v4, s28
                                        ; implicit-def: $vgpr75
; %bb.551:                              ;   in Loop: Header=BB313_240 Depth=1
	s_andn2_saveexec_b64 s[12:13], s[0:1]
; %bb.552:                              ;   in Loop: Header=BB313_240 Depth=1
	v_or_b32_e32 v4, 0x10000, v75
	v_cmp_eq_u32_sdwa s[0:1], v75, v17 src0_sel:WORD_0 src1_sel:DWORD
	s_nop 1
	v_cndmask_b32_e64 v4, v4, v75, s[0:1]
; %bb.553:                              ;   in Loop: Header=BB313_240 Depth=1
	s_or_b64 exec, exec, s[12:13]
	v_and_b32_e32 v75, 0xff, v5
	v_cvt_f32_fp8_sdwa v75, v75 src0_sel:BYTE_0
	s_nop 0
	v_mul_f32_e32 v75, s29, v75
	v_and_b32_e32 v76, 0x7f800000, v75
	v_cmp_ne_u32_e64 s[0:1], s22, v76
                                        ; implicit-def: $vgpr76
	s_and_saveexec_b64 s[12:13], s[0:1]
	s_xor_b64 s[0:1], exec, s[12:13]
; %bb.554:                              ;   in Loop: Header=BB313_240 Depth=1
	v_bfe_u32 v76, v75, 16, 1
	v_add3_u32 v76, v75, v76, s28
                                        ; implicit-def: $vgpr75
; %bb.555:                              ;   in Loop: Header=BB313_240 Depth=1
	s_andn2_saveexec_b64 s[12:13], s[0:1]
; %bb.556:                              ;   in Loop: Header=BB313_240 Depth=1
	v_or_b32_e32 v76, 0x10000, v75
	v_cmp_eq_u32_sdwa s[0:1], v75, v17 src0_sel:WORD_0 src1_sel:DWORD
	s_nop 1
	v_cndmask_b32_e64 v76, v76, v75, s[0:1]
; %bb.557:                              ;   in Loop: Header=BB313_240 Depth=1
	s_or_b64 exec, exec, s[12:13]
	v_bfe_u32 v75, v5, 8, 8
	v_cvt_f32_fp8_sdwa v75, v75 src0_sel:BYTE_0
	s_nop 0
	v_mul_f32_e32 v77, s29, v75
	v_and_b32_e32 v75, 0x7f800000, v77
	v_cmp_ne_u32_e64 s[0:1], s22, v75
                                        ; implicit-def: $vgpr75
	s_and_saveexec_b64 s[12:13], s[0:1]
	s_xor_b64 s[0:1], exec, s[12:13]
; %bb.558:                              ;   in Loop: Header=BB313_240 Depth=1
	v_bfe_u32 v75, v77, 16, 1
	v_add3_u32 v75, v77, v75, s28
                                        ; implicit-def: $vgpr77
; %bb.559:                              ;   in Loop: Header=BB313_240 Depth=1
	s_andn2_saveexec_b64 s[12:13], s[0:1]
; %bb.560:                              ;   in Loop: Header=BB313_240 Depth=1
	v_or_b32_e32 v75, 0x10000, v77
	v_cmp_eq_u32_sdwa s[0:1], v77, v17 src0_sel:WORD_0 src1_sel:DWORD
	s_nop 1
	v_cndmask_b32_e64 v75, v75, v77, s[0:1]
; %bb.561:                              ;   in Loop: Header=BB313_240 Depth=1
	s_or_b64 exec, exec, s[12:13]
	v_bfe_u32 v77, v5, 16, 8
	v_cvt_f32_fp8_sdwa v77, v77 src0_sel:BYTE_0
	s_nop 0
	v_mul_f32_e32 v78, s29, v77
	v_and_b32_e32 v77, 0x7f800000, v78
	v_cmp_ne_u32_e64 s[0:1], s22, v77
                                        ; implicit-def: $vgpr77
	s_and_saveexec_b64 s[12:13], s[0:1]
	s_xor_b64 s[0:1], exec, s[12:13]
; %bb.562:                              ;   in Loop: Header=BB313_240 Depth=1
	v_bfe_u32 v77, v78, 16, 1
	v_add3_u32 v77, v78, v77, s28
                                        ; implicit-def: $vgpr78
; %bb.563:                              ;   in Loop: Header=BB313_240 Depth=1
	s_andn2_saveexec_b64 s[12:13], s[0:1]
; %bb.564:                              ;   in Loop: Header=BB313_240 Depth=1
	v_or_b32_e32 v77, 0x10000, v78
	v_cmp_eq_u32_sdwa s[0:1], v78, v17 src0_sel:WORD_0 src1_sel:DWORD
	s_nop 1
	v_cndmask_b32_e64 v77, v77, v78, s[0:1]
; %bb.565:                              ;   in Loop: Header=BB313_240 Depth=1
	s_or_b64 exec, exec, s[12:13]
	v_lshrrev_b32_e32 v5, 24, v5
	v_cvt_f32_fp8_sdwa v5, v5 src0_sel:BYTE_0
                                        ; implicit-def: $vgpr80
	s_nop 0
	v_mul_f32_e32 v5, s29, v5
	v_and_b32_e32 v78, 0x7f800000, v5
	v_cmp_ne_u32_e64 s[0:1], s22, v78
	s_and_saveexec_b64 s[12:13], s[0:1]
	s_xor_b64 s[0:1], exec, s[12:13]
; %bb.566:                              ;   in Loop: Header=BB313_240 Depth=1
	v_bfe_u32 v78, v5, 16, 1
	v_add3_u32 v80, v5, v78, s28
                                        ; implicit-def: $vgpr5
; %bb.567:                              ;   in Loop: Header=BB313_240 Depth=1
	s_andn2_saveexec_b64 s[12:13], s[0:1]
; %bb.568:                              ;   in Loop: Header=BB313_240 Depth=1
	v_or_b32_e32 v78, 0x10000, v5
	v_cmp_eq_u32_sdwa s[0:1], v5, v17 src0_sel:WORD_0 src1_sel:DWORD
	s_nop 1
	v_cndmask_b32_e64 v80, v78, v5, s[0:1]
; %bb.569:                              ;   in Loop: Header=BB313_240 Depth=1
	s_or_b64 exec, exec, s[12:13]
	v_lshrrev_b32_e32 v75, 16, v75
	v_lshrrev_b32_e32 v78, 16, v76
	;; [unrolled: 1-line block ×8, first 2 shown]
	s_and_saveexec_b64 s[12:13], vcc
	s_cbranch_execz .LBB313_571
; %bb.570:                              ;   in Loop: Header=BB313_240 Depth=1
	v_cmp_gt_i32_e64 s[0:1], s33, v31
	s_nop 1
	v_cndmask_b32_e64 v4, 0, v4, s[0:1]
	v_cmp_gt_i32_e64 s[0:1], s33, v39
	s_nop 1
	v_cndmask_b32_e64 v5, 0, v5, s[0:1]
	;; [unrolled: 3-line block ×8, first 2 shown]
.LBB313_571:                            ;   in Loop: Header=BB313_240 Depth=1
	s_or_b64 exec, exec, s[12:13]
	v_lshlrev_b32_e32 v4, 16, v4
	v_mul_f32_e32 v72, v40, v4
	v_and_b32_e32 v4, 0x7f800000, v72
	v_cmp_ne_u32_e64 s[0:1], s22, v4
                                        ; implicit-def: $vgpr4
	s_and_saveexec_b64 s[12:13], s[0:1]
	s_xor_b64 s[0:1], exec, s[12:13]
; %bb.572:                              ;   in Loop: Header=BB313_240 Depth=1
	v_bfe_u32 v4, v72, 16, 1
	v_add3_u32 v4, v72, v4, s28
                                        ; implicit-def: $vgpr72
; %bb.573:                              ;   in Loop: Header=BB313_240 Depth=1
	s_andn2_saveexec_b64 s[12:13], s[0:1]
; %bb.574:                              ;   in Loop: Header=BB313_240 Depth=1
	v_or_b32_e32 v4, 0x10000, v72
	v_cmp_eq_u32_sdwa s[0:1], v72, v17 src0_sel:WORD_0 src1_sel:DWORD
	s_nop 1
	v_cndmask_b32_e64 v4, v4, v72, s[0:1]
; %bb.575:                              ;   in Loop: Header=BB313_240 Depth=1
	s_or_b64 exec, exec, s[12:13]
	v_lshlrev_b32_e32 v5, 16, v5
	v_mul_f32_e32 v72, v41, v5
	v_and_b32_e32 v5, 0x7f800000, v72
	v_cmp_ne_u32_e64 s[0:1], s22, v5
                                        ; implicit-def: $vgpr5
	s_and_saveexec_b64 s[12:13], s[0:1]
	s_xor_b64 s[0:1], exec, s[12:13]
; %bb.576:                              ;   in Loop: Header=BB313_240 Depth=1
	v_bfe_u32 v5, v72, 16, 1
	v_add3_u32 v5, v72, v5, s28
                                        ; implicit-def: $vgpr72
; %bb.577:                              ;   in Loop: Header=BB313_240 Depth=1
	s_andn2_saveexec_b64 s[12:13], s[0:1]
; %bb.578:                              ;   in Loop: Header=BB313_240 Depth=1
	v_or_b32_e32 v5, 0x10000, v72
	v_cmp_eq_u32_sdwa s[0:1], v72, v17 src0_sel:WORD_0 src1_sel:DWORD
	s_nop 1
	v_cndmask_b32_e64 v5, v5, v72, s[0:1]
; %bb.579:                              ;   in Loop: Header=BB313_240 Depth=1
	s_or_b64 exec, exec, s[12:13]
	v_lshlrev_b32_e32 v72, 16, v74
	v_mul_f32_e32 v73, v42, v72
	v_and_b32_e32 v72, 0x7f800000, v73
	v_cmp_ne_u32_e64 s[0:1], s22, v72
                                        ; implicit-def: $vgpr72
	s_and_saveexec_b64 s[12:13], s[0:1]
	s_xor_b64 s[0:1], exec, s[12:13]
; %bb.580:                              ;   in Loop: Header=BB313_240 Depth=1
	v_bfe_u32 v72, v73, 16, 1
	v_add3_u32 v72, v73, v72, s28
                                        ; implicit-def: $vgpr73
; %bb.581:                              ;   in Loop: Header=BB313_240 Depth=1
	s_andn2_saveexec_b64 s[12:13], s[0:1]
; %bb.582:                              ;   in Loop: Header=BB313_240 Depth=1
	v_or_b32_e32 v72, 0x10000, v73
	v_cmp_eq_u32_sdwa s[0:1], v73, v17 src0_sel:WORD_0 src1_sel:DWORD
	s_nop 1
	v_cndmask_b32_e64 v72, v72, v73, s[0:1]
; %bb.583:                              ;   in Loop: Header=BB313_240 Depth=1
	s_or_b64 exec, exec, s[12:13]
	v_lshlrev_b32_e32 v73, 16, v79
	v_mul_f32_e32 v74, v43, v73
	v_and_b32_e32 v73, 0x7f800000, v74
	v_cmp_ne_u32_e64 s[0:1], s22, v73
                                        ; implicit-def: $vgpr73
	s_and_saveexec_b64 s[12:13], s[0:1]
	s_xor_b64 s[0:1], exec, s[12:13]
; %bb.584:                              ;   in Loop: Header=BB313_240 Depth=1
	v_bfe_u32 v73, v74, 16, 1
	v_add3_u32 v73, v74, v73, s28
                                        ; implicit-def: $vgpr74
; %bb.585:                              ;   in Loop: Header=BB313_240 Depth=1
	s_andn2_saveexec_b64 s[12:13], s[0:1]
; %bb.586:                              ;   in Loop: Header=BB313_240 Depth=1
	v_or_b32_e32 v73, 0x10000, v74
	v_cmp_eq_u32_sdwa s[0:1], v74, v17 src0_sel:WORD_0 src1_sel:DWORD
	s_nop 1
	v_cndmask_b32_e64 v73, v73, v74, s[0:1]
; %bb.587:                              ;   in Loop: Header=BB313_240 Depth=1
	s_or_b64 exec, exec, s[12:13]
	v_lshlrev_b32_e32 v74, 16, v78
	v_mul_f32_e32 v78, v44, v74
	v_and_b32_e32 v74, 0x7f800000, v78
	v_cmp_ne_u32_e64 s[0:1], s22, v74
                                        ; implicit-def: $vgpr74
	s_and_saveexec_b64 s[12:13], s[0:1]
	s_xor_b64 s[0:1], exec, s[12:13]
; %bb.588:                              ;   in Loop: Header=BB313_240 Depth=1
	v_bfe_u32 v74, v78, 16, 1
	v_add3_u32 v74, v78, v74, s28
                                        ; implicit-def: $vgpr78
; %bb.589:                              ;   in Loop: Header=BB313_240 Depth=1
	s_andn2_saveexec_b64 s[12:13], s[0:1]
; %bb.590:                              ;   in Loop: Header=BB313_240 Depth=1
	v_or_b32_e32 v74, 0x10000, v78
	v_cmp_eq_u32_sdwa s[0:1], v78, v17 src0_sel:WORD_0 src1_sel:DWORD
	s_nop 1
	v_cndmask_b32_e64 v74, v74, v78, s[0:1]
; %bb.591:                              ;   in Loop: Header=BB313_240 Depth=1
	s_or_b64 exec, exec, s[12:13]
	v_lshlrev_b32_e32 v75, 16, v75
	v_mul_f32_e32 v78, v45, v75
	v_and_b32_e32 v75, 0x7f800000, v78
	v_cmp_ne_u32_e64 s[0:1], s22, v75
                                        ; implicit-def: $vgpr75
	s_and_saveexec_b64 s[12:13], s[0:1]
	s_xor_b64 s[0:1], exec, s[12:13]
; %bb.592:                              ;   in Loop: Header=BB313_240 Depth=1
	v_bfe_u32 v75, v78, 16, 1
	v_add3_u32 v75, v78, v75, s28
                                        ; implicit-def: $vgpr78
; %bb.593:                              ;   in Loop: Header=BB313_240 Depth=1
	s_andn2_saveexec_b64 s[12:13], s[0:1]
; %bb.594:                              ;   in Loop: Header=BB313_240 Depth=1
	v_or_b32_e32 v75, 0x10000, v78
	v_cmp_eq_u32_sdwa s[0:1], v78, v17 src0_sel:WORD_0 src1_sel:DWORD
	s_nop 1
	v_cndmask_b32_e64 v75, v75, v78, s[0:1]
; %bb.595:                              ;   in Loop: Header=BB313_240 Depth=1
	s_or_b64 exec, exec, s[12:13]
	v_lshlrev_b32_e32 v76, 16, v76
	v_mul_f32_e32 v78, v46, v76
	v_and_b32_e32 v76, 0x7f800000, v78
	v_cmp_ne_u32_e64 s[0:1], s22, v76
                                        ; implicit-def: $vgpr76
	s_and_saveexec_b64 s[12:13], s[0:1]
	s_xor_b64 s[0:1], exec, s[12:13]
; %bb.596:                              ;   in Loop: Header=BB313_240 Depth=1
	v_bfe_u32 v76, v78, 16, 1
	v_add3_u32 v76, v78, v76, s28
                                        ; implicit-def: $vgpr78
; %bb.597:                              ;   in Loop: Header=BB313_240 Depth=1
	s_andn2_saveexec_b64 s[12:13], s[0:1]
; %bb.598:                              ;   in Loop: Header=BB313_240 Depth=1
	v_or_b32_e32 v76, 0x10000, v78
	v_cmp_eq_u32_sdwa s[0:1], v78, v17 src0_sel:WORD_0 src1_sel:DWORD
	s_nop 1
	v_cndmask_b32_e64 v76, v76, v78, s[0:1]
; %bb.599:                              ;   in Loop: Header=BB313_240 Depth=1
	s_or_b64 exec, exec, s[12:13]
	v_lshlrev_b32_e32 v77, 16, v77
	v_mul_f32_e32 v78, v47, v77
	v_and_b32_e32 v77, 0x7f800000, v78
	v_cmp_ne_u32_e64 s[0:1], s22, v77
                                        ; implicit-def: $vgpr77
	s_and_saveexec_b64 s[12:13], s[0:1]
	s_xor_b64 s[0:1], exec, s[12:13]
; %bb.600:                              ;   in Loop: Header=BB313_240 Depth=1
	v_bfe_u32 v77, v78, 16, 1
	v_add3_u32 v77, v78, v77, s28
                                        ; implicit-def: $vgpr78
; %bb.601:                              ;   in Loop: Header=BB313_240 Depth=1
	s_andn2_saveexec_b64 s[12:13], s[0:1]
; %bb.602:                              ;   in Loop: Header=BB313_240 Depth=1
	v_or_b32_e32 v77, 0x10000, v78
	v_cmp_eq_u32_sdwa s[0:1], v78, v17 src0_sel:WORD_0 src1_sel:DWORD
	s_nop 1
	v_cndmask_b32_e64 v77, v77, v78, s[0:1]
; %bb.603:                              ;   in Loop: Header=BB313_240 Depth=1
	s_or_b64 exec, exec, s[12:13]
	global_load_dwordx2 v[2:3], v[2:3], off offset:2560
	s_waitcnt vmcnt(0)
	v_and_b32_e32 v78, 0xff, v2
	v_cvt_f32_fp8_sdwa v78, v78 src0_sel:BYTE_0
	s_nop 0
	v_mul_f32_e32 v79, s29, v78
	v_and_b32_e32 v78, 0x7f800000, v79
	v_cmp_ne_u32_e64 s[0:1], s22, v78
                                        ; implicit-def: $vgpr78
	s_and_saveexec_b64 s[12:13], s[0:1]
	s_xor_b64 s[0:1], exec, s[12:13]
; %bb.604:                              ;   in Loop: Header=BB313_240 Depth=1
	v_bfe_u32 v78, v79, 16, 1
	v_add3_u32 v78, v79, v78, s28
                                        ; implicit-def: $vgpr79
; %bb.605:                              ;   in Loop: Header=BB313_240 Depth=1
	s_andn2_saveexec_b64 s[12:13], s[0:1]
; %bb.606:                              ;   in Loop: Header=BB313_240 Depth=1
	v_or_b32_e32 v78, 0x10000, v79
	v_cmp_eq_u32_sdwa s[0:1], v79, v17 src0_sel:WORD_0 src1_sel:DWORD
	s_nop 1
	v_cndmask_b32_e64 v78, v78, v79, s[0:1]
; %bb.607:                              ;   in Loop: Header=BB313_240 Depth=1
	s_or_b64 exec, exec, s[12:13]
	v_bfe_u32 v79, v2, 8, 8
	v_cvt_f32_fp8_sdwa v79, v79 src0_sel:BYTE_0
	s_nop 0
	v_mul_f32_e32 v80, s29, v79
	v_and_b32_e32 v79, 0x7f800000, v80
	v_cmp_ne_u32_e64 s[0:1], s22, v79
                                        ; implicit-def: $vgpr79
	s_and_saveexec_b64 s[12:13], s[0:1]
	s_xor_b64 s[0:1], exec, s[12:13]
; %bb.608:                              ;   in Loop: Header=BB313_240 Depth=1
	v_bfe_u32 v79, v80, 16, 1
	v_add3_u32 v79, v80, v79, s28
                                        ; implicit-def: $vgpr80
; %bb.609:                              ;   in Loop: Header=BB313_240 Depth=1
	s_andn2_saveexec_b64 s[12:13], s[0:1]
; %bb.610:                              ;   in Loop: Header=BB313_240 Depth=1
	v_or_b32_e32 v79, 0x10000, v80
	v_cmp_eq_u32_sdwa s[0:1], v80, v17 src0_sel:WORD_0 src1_sel:DWORD
	s_nop 1
	v_cndmask_b32_e64 v79, v79, v80, s[0:1]
; %bb.611:                              ;   in Loop: Header=BB313_240 Depth=1
	s_or_b64 exec, exec, s[12:13]
	v_bfe_u32 v80, v2, 16, 8
	v_cvt_f32_fp8_sdwa v80, v80 src0_sel:BYTE_0
	s_nop 0
	v_mul_f32_e32 v80, s29, v80
	v_and_b32_e32 v81, 0x7f800000, v80
	v_cmp_ne_u32_e64 s[0:1], s22, v81
                                        ; implicit-def: $vgpr81
	s_and_saveexec_b64 s[12:13], s[0:1]
	s_xor_b64 s[0:1], exec, s[12:13]
; %bb.612:                              ;   in Loop: Header=BB313_240 Depth=1
	v_bfe_u32 v81, v80, 16, 1
	v_add3_u32 v81, v80, v81, s28
                                        ; implicit-def: $vgpr80
; %bb.613:                              ;   in Loop: Header=BB313_240 Depth=1
	s_andn2_saveexec_b64 s[12:13], s[0:1]
; %bb.614:                              ;   in Loop: Header=BB313_240 Depth=1
	v_or_b32_e32 v81, 0x10000, v80
	v_cmp_eq_u32_sdwa s[0:1], v80, v17 src0_sel:WORD_0 src1_sel:DWORD
	s_nop 1
	v_cndmask_b32_e64 v81, v81, v80, s[0:1]
; %bb.615:                              ;   in Loop: Header=BB313_240 Depth=1
	s_or_b64 exec, exec, s[12:13]
	v_lshrrev_b32_e32 v2, 24, v2
	v_cvt_f32_fp8_sdwa v2, v2 src0_sel:BYTE_0
	s_nop 0
	v_mul_f32_e32 v80, s29, v2
	v_and_b32_e32 v2, 0x7f800000, v80
	v_cmp_ne_u32_e64 s[0:1], s22, v2
                                        ; implicit-def: $vgpr2
	s_and_saveexec_b64 s[12:13], s[0:1]
	s_xor_b64 s[0:1], exec, s[12:13]
; %bb.616:                              ;   in Loop: Header=BB313_240 Depth=1
	v_bfe_u32 v2, v80, 16, 1
	v_add3_u32 v2, v80, v2, s28
                                        ; implicit-def: $vgpr80
; %bb.617:                              ;   in Loop: Header=BB313_240 Depth=1
	s_andn2_saveexec_b64 s[12:13], s[0:1]
; %bb.618:                              ;   in Loop: Header=BB313_240 Depth=1
	v_or_b32_e32 v2, 0x10000, v80
	v_cmp_eq_u32_sdwa s[0:1], v80, v17 src0_sel:WORD_0 src1_sel:DWORD
	s_nop 1
	v_cndmask_b32_e64 v2, v2, v80, s[0:1]
; %bb.619:                              ;   in Loop: Header=BB313_240 Depth=1
	s_or_b64 exec, exec, s[12:13]
	v_and_b32_e32 v80, 0xff, v3
	v_cvt_f32_fp8_sdwa v80, v80 src0_sel:BYTE_0
	s_nop 0
	v_mul_f32_e32 v80, s29, v80
	v_and_b32_e32 v82, 0x7f800000, v80
	v_cmp_ne_u32_e64 s[0:1], s22, v82
                                        ; implicit-def: $vgpr82
	s_and_saveexec_b64 s[12:13], s[0:1]
	s_xor_b64 s[0:1], exec, s[12:13]
; %bb.620:                              ;   in Loop: Header=BB313_240 Depth=1
	v_bfe_u32 v82, v80, 16, 1
	v_add3_u32 v82, v80, v82, s28
                                        ; implicit-def: $vgpr80
; %bb.621:                              ;   in Loop: Header=BB313_240 Depth=1
	s_andn2_saveexec_b64 s[12:13], s[0:1]
; %bb.622:                              ;   in Loop: Header=BB313_240 Depth=1
	v_or_b32_e32 v82, 0x10000, v80
	v_cmp_eq_u32_sdwa s[0:1], v80, v17 src0_sel:WORD_0 src1_sel:DWORD
	s_nop 1
	v_cndmask_b32_e64 v82, v82, v80, s[0:1]
; %bb.623:                              ;   in Loop: Header=BB313_240 Depth=1
	s_or_b64 exec, exec, s[12:13]
	v_bfe_u32 v80, v3, 8, 8
	v_cvt_f32_fp8_sdwa v80, v80 src0_sel:BYTE_0
	s_nop 0
	v_mul_f32_e32 v83, s29, v80
	v_and_b32_e32 v80, 0x7f800000, v83
	v_cmp_ne_u32_e64 s[0:1], s22, v80
                                        ; implicit-def: $vgpr80
	s_and_saveexec_b64 s[12:13], s[0:1]
	s_xor_b64 s[0:1], exec, s[12:13]
; %bb.624:                              ;   in Loop: Header=BB313_240 Depth=1
	v_bfe_u32 v80, v83, 16, 1
	v_add3_u32 v80, v83, v80, s28
                                        ; implicit-def: $vgpr83
; %bb.625:                              ;   in Loop: Header=BB313_240 Depth=1
	s_andn2_saveexec_b64 s[12:13], s[0:1]
; %bb.626:                              ;   in Loop: Header=BB313_240 Depth=1
	v_or_b32_e32 v80, 0x10000, v83
	v_cmp_eq_u32_sdwa s[0:1], v83, v17 src0_sel:WORD_0 src1_sel:DWORD
	s_nop 1
	v_cndmask_b32_e64 v80, v80, v83, s[0:1]
; %bb.627:                              ;   in Loop: Header=BB313_240 Depth=1
	s_or_b64 exec, exec, s[12:13]
	v_bfe_u32 v83, v3, 16, 8
	v_cvt_f32_fp8_sdwa v83, v83 src0_sel:BYTE_0
	s_nop 0
	v_mul_f32_e32 v83, s29, v83
	v_and_b32_e32 v84, 0x7f800000, v83
	v_cmp_ne_u32_e64 s[0:1], s22, v84
                                        ; implicit-def: $vgpr84
	s_and_saveexec_b64 s[12:13], s[0:1]
	s_xor_b64 s[0:1], exec, s[12:13]
; %bb.628:                              ;   in Loop: Header=BB313_240 Depth=1
	v_bfe_u32 v84, v83, 16, 1
	v_add3_u32 v84, v83, v84, s28
                                        ; implicit-def: $vgpr83
; %bb.629:                              ;   in Loop: Header=BB313_240 Depth=1
	s_andn2_saveexec_b64 s[12:13], s[0:1]
; %bb.630:                              ;   in Loop: Header=BB313_240 Depth=1
	v_or_b32_e32 v84, 0x10000, v83
	v_cmp_eq_u32_sdwa s[0:1], v83, v17 src0_sel:WORD_0 src1_sel:DWORD
	s_nop 1
	v_cndmask_b32_e64 v84, v84, v83, s[0:1]
; %bb.631:                              ;   in Loop: Header=BB313_240 Depth=1
	s_or_b64 exec, exec, s[12:13]
	v_lshrrev_b32_e32 v3, 24, v3
	v_cvt_f32_fp8_sdwa v3, v3 src0_sel:BYTE_0
                                        ; implicit-def: $vgpr85
	s_nop 0
	v_mul_f32_e32 v3, s29, v3
	v_and_b32_e32 v83, 0x7f800000, v3
	v_cmp_ne_u32_e64 s[0:1], s22, v83
	s_and_saveexec_b64 s[12:13], s[0:1]
	s_xor_b64 s[0:1], exec, s[12:13]
; %bb.632:                              ;   in Loop: Header=BB313_240 Depth=1
	v_bfe_u32 v83, v3, 16, 1
	v_add3_u32 v85, v3, v83, s28
                                        ; implicit-def: $vgpr3
; %bb.633:                              ;   in Loop: Header=BB313_240 Depth=1
	s_andn2_saveexec_b64 s[12:13], s[0:1]
; %bb.634:                              ;   in Loop: Header=BB313_240 Depth=1
	v_or_b32_e32 v83, 0x10000, v3
	v_cmp_eq_u32_sdwa s[0:1], v3, v17 src0_sel:WORD_0 src1_sel:DWORD
	s_nop 1
	v_cndmask_b32_e64 v85, v83, v3, s[0:1]
; %bb.635:                              ;   in Loop: Header=BB313_240 Depth=1
	s_or_b64 exec, exec, s[12:13]
	v_lshrrev_b32_e32 v80, 16, v80
	v_lshrrev_b32_e32 v82, 16, v82
	;; [unrolled: 1-line block ×8, first 2 shown]
	s_and_saveexec_b64 s[0:1], vcc
	s_cbranch_execz .LBB313_637
; %bb.636:                              ;   in Loop: Header=BB313_240 Depth=1
	v_cmp_gt_i32_e32 vcc, s33, v31
	s_nop 1
	v_cndmask_b32_e32 v2, 0, v2, vcc
	v_cmp_gt_i32_e32 vcc, s33, v39
	s_nop 1
	v_cndmask_b32_e32 v3, 0, v3, vcc
	;; [unrolled: 3-line block ×8, first 2 shown]
.LBB313_637:                            ;   in Loop: Header=BB313_240 Depth=1
	s_or_b64 exec, exec, s[0:1]
	v_lshlrev_b32_e32 v2, 16, v2
	v_mul_f32_e32 v31, v40, v2
	v_and_b32_e32 v2, 0x7f800000, v31
	v_cmp_ne_u32_e32 vcc, s22, v2
                                        ; implicit-def: $vgpr2
	s_and_saveexec_b64 s[0:1], vcc
	s_xor_b64 s[0:1], exec, s[0:1]
; %bb.638:                              ;   in Loop: Header=BB313_240 Depth=1
	v_bfe_u32 v2, v31, 16, 1
	v_add3_u32 v2, v31, v2, s28
                                        ; implicit-def: $vgpr31
; %bb.639:                              ;   in Loop: Header=BB313_240 Depth=1
	s_andn2_saveexec_b64 s[0:1], s[0:1]
; %bb.640:                              ;   in Loop: Header=BB313_240 Depth=1
	v_or_b32_e32 v2, 0x10000, v31
	v_cmp_eq_u32_sdwa vcc, v31, v17 src0_sel:WORD_0 src1_sel:DWORD
	s_nop 1
	v_cndmask_b32_e32 v2, v2, v31, vcc
; %bb.641:                              ;   in Loop: Header=BB313_240 Depth=1
	s_or_b64 exec, exec, s[0:1]
	v_lshlrev_b32_e32 v3, 16, v3
	v_mul_f32_e32 v31, v41, v3
	v_and_b32_e32 v3, 0x7f800000, v31
	v_cmp_ne_u32_e32 vcc, s22, v3
                                        ; implicit-def: $vgpr3
	s_and_saveexec_b64 s[0:1], vcc
	s_xor_b64 s[0:1], exec, s[0:1]
; %bb.642:                              ;   in Loop: Header=BB313_240 Depth=1
	v_bfe_u32 v3, v31, 16, 1
	v_add3_u32 v3, v31, v3, s28
                                        ; implicit-def: $vgpr31
; %bb.643:                              ;   in Loop: Header=BB313_240 Depth=1
	s_andn2_saveexec_b64 s[0:1], s[0:1]
; %bb.644:                              ;   in Loop: Header=BB313_240 Depth=1
	v_or_b32_e32 v3, 0x10000, v31
	v_cmp_eq_u32_sdwa vcc, v31, v17 src0_sel:WORD_0 src1_sel:DWORD
	s_nop 1
	v_cndmask_b32_e32 v3, v3, v31, vcc
; %bb.645:                              ;   in Loop: Header=BB313_240 Depth=1
	s_or_b64 exec, exec, s[0:1]
	v_lshlrev_b32_e32 v31, 16, v81
	v_mul_f32_e32 v32, v42, v31
	v_and_b32_e32 v31, 0x7f800000, v32
	v_cmp_ne_u32_e32 vcc, s22, v31
                                        ; implicit-def: $vgpr31
	s_and_saveexec_b64 s[0:1], vcc
	s_xor_b64 s[0:1], exec, s[0:1]
; %bb.646:                              ;   in Loop: Header=BB313_240 Depth=1
	v_bfe_u32 v31, v32, 16, 1
	v_add3_u32 v31, v32, v31, s28
                                        ; implicit-def: $vgpr32
; %bb.647:                              ;   in Loop: Header=BB313_240 Depth=1
	s_andn2_saveexec_b64 s[0:1], s[0:1]
; %bb.648:                              ;   in Loop: Header=BB313_240 Depth=1
	v_or_b32_e32 v31, 0x10000, v32
	v_cmp_eq_u32_sdwa vcc, v32, v17 src0_sel:WORD_0 src1_sel:DWORD
	s_nop 1
	v_cndmask_b32_e32 v31, v31, v32, vcc
; %bb.649:                              ;   in Loop: Header=BB313_240 Depth=1
	s_or_b64 exec, exec, s[0:1]
	v_lshlrev_b32_e32 v32, 16, v83
	v_mul_f32_e32 v33, v43, v32
	v_and_b32_e32 v32, 0x7f800000, v33
	v_cmp_ne_u32_e32 vcc, s22, v32
                                        ; implicit-def: $vgpr32
	s_and_saveexec_b64 s[0:1], vcc
	s_xor_b64 s[0:1], exec, s[0:1]
; %bb.650:                              ;   in Loop: Header=BB313_240 Depth=1
	v_bfe_u32 v32, v33, 16, 1
	v_add3_u32 v32, v33, v32, s28
                                        ; implicit-def: $vgpr33
; %bb.651:                              ;   in Loop: Header=BB313_240 Depth=1
	s_andn2_saveexec_b64 s[0:1], s[0:1]
; %bb.652:                              ;   in Loop: Header=BB313_240 Depth=1
	v_or_b32_e32 v32, 0x10000, v33
	v_cmp_eq_u32_sdwa vcc, v33, v17 src0_sel:WORD_0 src1_sel:DWORD
	s_nop 1
	v_cndmask_b32_e32 v32, v32, v33, vcc
; %bb.653:                              ;   in Loop: Header=BB313_240 Depth=1
	s_or_b64 exec, exec, s[0:1]
	v_lshlrev_b32_e32 v33, 16, v82
	v_mul_f32_e32 v35, v44, v33
	v_and_b32_e32 v33, 0x7f800000, v35
	v_cmp_ne_u32_e32 vcc, s22, v33
                                        ; implicit-def: $vgpr33
	s_and_saveexec_b64 s[0:1], vcc
	s_xor_b64 s[0:1], exec, s[0:1]
; %bb.654:                              ;   in Loop: Header=BB313_240 Depth=1
	v_bfe_u32 v33, v35, 16, 1
	v_add3_u32 v33, v35, v33, s28
                                        ; implicit-def: $vgpr35
; %bb.655:                              ;   in Loop: Header=BB313_240 Depth=1
	s_andn2_saveexec_b64 s[0:1], s[0:1]
; %bb.656:                              ;   in Loop: Header=BB313_240 Depth=1
	v_or_b32_e32 v33, 0x10000, v35
	v_cmp_eq_u32_sdwa vcc, v35, v17 src0_sel:WORD_0 src1_sel:DWORD
	s_nop 1
	v_cndmask_b32_e32 v33, v33, v35, vcc
; %bb.657:                              ;   in Loop: Header=BB313_240 Depth=1
	s_or_b64 exec, exec, s[0:1]
	v_lshlrev_b32_e32 v35, 16, v80
	v_mul_f32_e32 v36, v45, v35
	v_and_b32_e32 v35, 0x7f800000, v36
	v_cmp_ne_u32_e32 vcc, s22, v35
                                        ; implicit-def: $vgpr35
	s_and_saveexec_b64 s[0:1], vcc
	s_xor_b64 s[0:1], exec, s[0:1]
; %bb.658:                              ;   in Loop: Header=BB313_240 Depth=1
	v_bfe_u32 v35, v36, 16, 1
	v_add3_u32 v35, v36, v35, s28
                                        ; implicit-def: $vgpr36
; %bb.659:                              ;   in Loop: Header=BB313_240 Depth=1
	s_andn2_saveexec_b64 s[0:1], s[0:1]
; %bb.660:                              ;   in Loop: Header=BB313_240 Depth=1
	v_or_b32_e32 v35, 0x10000, v36
	v_cmp_eq_u32_sdwa vcc, v36, v17 src0_sel:WORD_0 src1_sel:DWORD
	s_nop 1
	v_cndmask_b32_e32 v35, v35, v36, vcc
; %bb.661:                              ;   in Loop: Header=BB313_240 Depth=1
	s_or_b64 exec, exec, s[0:1]
	v_lshlrev_b32_e32 v36, 16, v79
	v_mul_f32_e32 v37, v46, v36
	v_and_b32_e32 v36, 0x7f800000, v37
	v_cmp_ne_u32_e32 vcc, s22, v36
                                        ; implicit-def: $vgpr36
	s_and_saveexec_b64 s[0:1], vcc
	s_xor_b64 s[0:1], exec, s[0:1]
; %bb.662:                              ;   in Loop: Header=BB313_240 Depth=1
	v_bfe_u32 v36, v37, 16, 1
	v_add3_u32 v36, v37, v36, s28
                                        ; implicit-def: $vgpr37
; %bb.663:                              ;   in Loop: Header=BB313_240 Depth=1
	s_andn2_saveexec_b64 s[0:1], s[0:1]
; %bb.664:                              ;   in Loop: Header=BB313_240 Depth=1
	v_or_b32_e32 v36, 0x10000, v37
	v_cmp_eq_u32_sdwa vcc, v37, v17 src0_sel:WORD_0 src1_sel:DWORD
	s_nop 1
	v_cndmask_b32_e32 v36, v36, v37, vcc
; %bb.665:                              ;   in Loop: Header=BB313_240 Depth=1
	s_or_b64 exec, exec, s[0:1]
	v_lshlrev_b32_e32 v37, 16, v78
	v_mul_f32_e32 v38, v47, v37
	v_and_b32_e32 v37, 0x7f800000, v38
	v_cmp_ne_u32_e32 vcc, s22, v37
                                        ; implicit-def: $vgpr37
	s_and_saveexec_b64 s[0:1], vcc
	s_xor_b64 s[0:1], exec, s[0:1]
; %bb.666:                              ;   in Loop: Header=BB313_240 Depth=1
	v_bfe_u32 v37, v38, 16, 1
	v_add3_u32 v37, v38, v37, s28
                                        ; implicit-def: $vgpr38
; %bb.667:                              ;   in Loop: Header=BB313_240 Depth=1
	s_andn2_saveexec_b64 s[0:1], s[0:1]
	s_cbranch_execz .LBB313_238
; %bb.668:                              ;   in Loop: Header=BB313_240 Depth=1
	v_or_b32_e32 v37, 0x10000, v38
	v_cmp_eq_u32_sdwa vcc, v38, v17 src0_sel:WORD_0 src1_sel:DWORD
	s_nop 1
	v_cndmask_b32_e32 v37, v37, v38, vcc
	s_branch .LBB313_238
.LBB313_669:
	s_or_b64 exec, exec, s[6:7]
.LBB313_670:
	s_or_b64 exec, exec, s[2:3]
	ds_bpermute_b32 v2, v23, v14
	ds_bpermute_b32 v3, v23, v15
	;; [unrolled: 1-line block ×6, first 2 shown]
	v_and_b32_e32 v1, 0x3c1, v0
	s_waitcnt lgkmcnt(4)
	v_pk_add_f32 v[6:7], v[14:15], v[2:3]
	s_waitcnt lgkmcnt(2)
	v_pk_add_f32 v[2:3], v[12:13], v[4:5]
	v_cmp_eq_u32_e32 vcc, 64, v1
	s_waitcnt lgkmcnt(0)
	v_pk_add_f32 v[4:5], v[10:11], v[8:9]
	s_barrier
	s_and_saveexec_b64 s[0:1], vcc
	s_cbranch_execz .LBB313_672
; %bb.671:
	v_mov_b32_e32 v1, 0x190
	v_lshl_add_u32 v1, v22, 1, v1
	ds_write2_b32 v1, v6, v7 offset1:32
	ds_write2_b32 v1, v2, v3 offset0:64 offset1:96
	ds_write2_b32 v1, v4, v5 offset0:128 offset1:160
.LBB313_672:
	s_or_b64 exec, exec, s[0:1]
	v_cmp_gt_u32_e32 vcc, 64, v0
	s_waitcnt lgkmcnt(0)
	s_barrier
	s_and_saveexec_b64 s[2:3], vcc
	s_cbranch_execz .LBB313_681
; %bb.673:
	v_cmp_eq_u32_e64 s[0:1], 0, v24
	v_lshrrev_b32_e32 v1, 1, v0
	s_and_saveexec_b64 s[6:7], s[0:1]
	s_cbranch_execnz .LBB313_709
; %bb.674:
	s_or_b64 exec, exec, s[6:7]
	s_and_saveexec_b64 s[6:7], s[0:1]
	s_cbranch_execnz .LBB313_710
.LBB313_675:
	s_or_b64 exec, exec, s[6:7]
	s_and_saveexec_b64 s[6:7], s[0:1]
	s_cbranch_execnz .LBB313_711
.LBB313_676:
	s_or_b64 exec, exec, s[6:7]
	s_and_saveexec_b64 s[6:7], s[0:1]
	s_cbranch_execnz .LBB313_712
.LBB313_677:
	s_or_b64 exec, exec, s[6:7]
	s_and_saveexec_b64 s[6:7], s[0:1]
	s_cbranch_execnz .LBB313_713
.LBB313_678:
	s_or_b64 exec, exec, s[6:7]
	s_and_saveexec_b64 s[6:7], s[0:1]
	s_cbranch_execz .LBB313_680
.LBB313_679:
	v_mov_b32_e32 v8, 0x190
	v_lshl_add_u32 v1, v1, 2, v8
	ds_read_b32 v1, v1 offset:640
	s_waitcnt lgkmcnt(0)
	v_add_f32_e32 v5, v5, v1
.LBB313_680:
	s_or_b64 exec, exec, s[6:7]
.LBB313_681:
	s_or_b64 exec, exec, s[2:3]
	s_barrier
	s_and_saveexec_b64 s[0:1], vcc
	s_cbranch_execz .LBB313_708
; %bb.682:
	v_cmp_eq_u32_e32 vcc, 0, v24
	s_and_b64 exec, exec, vcc
	s_cbranch_execz .LBB313_708
; %bb.683:
	s_mov_b32 s0, 0x7f800000
	v_and_b32_e32 v1, 0x7f800000, v6
	v_cmp_ne_u32_e32 vcc, s0, v1
                                        ; implicit-def: $vgpr8
	s_and_saveexec_b64 s[0:1], vcc
	s_xor_b64 s[0:1], exec, s[0:1]
; %bb.684:
	v_bfe_u32 v1, v6, 16, 1
	s_movk_i32 s2, 0x7fff
	v_add3_u32 v8, v6, v1, s2
; %bb.685:
	s_andn2_saveexec_b64 s[0:1], s[0:1]
; %bb.686:
	v_mov_b32_e32 v1, 0
	v_or_b32_e32 v8, 0x10000, v6
	v_cmp_eq_u32_sdwa vcc, v6, v1 src0_sel:WORD_0 src1_sel:DWORD
	s_nop 1
	v_cndmask_b32_e32 v8, v8, v6, vcc
; %bb.687:
	s_or_b64 exec, exec, s[0:1]
	s_mul_i32 s0, s10, s11
	s_mul_i32 s0, s0, s5
	s_mulk_i32 s0, 0xc0
	s_ashr_i32 s1, s0, 31
	s_lshl_b64 s[0:1], s[0:1], 1
	s_add_u32 s2, s26, s0
	s_mul_i32 s0, s11, s24
	s_addc_u32 s3, s27, s1
	s_ashr_i32 s1, s0, 31
	s_lshl_b64 s[0:1], s[0:1], 1
	s_add_u32 s2, s2, s0
	s_mul_i32 s0, s4, 0xc0
	s_addc_u32 s3, s3, s1
	s_ashr_i32 s1, s0, 31
	s_lshl_b64 s[0:1], s[0:1], 1
	s_add_u32 s0, s2, s0
	s_mov_b32 s2, 0x7f800000
	v_and_b32_e32 v6, 0x7f800000, v7
	s_addc_u32 s1, s3, s1
	v_and_b32_e32 v0, 0x3fe, v0
	v_mov_b32_e32 v1, 0
	v_cmp_ne_u32_e32 vcc, s2, v6
	global_store_short_d16_hi v0, v8, s[0:1]
                                        ; implicit-def: $vgpr6
	s_and_saveexec_b64 s[2:3], vcc
	s_xor_b64 s[2:3], exec, s[2:3]
; %bb.688:
	v_bfe_u32 v6, v7, 16, 1
	s_movk_i32 s4, 0x7fff
	v_add3_u32 v6, v7, v6, s4
; %bb.689:
	s_or_saveexec_b64 s[2:3], s[2:3]
	v_lshl_add_u64 v[8:9], s[0:1], 0, v[0:1]
	s_xor_b64 exec, exec, s[2:3]
; %bb.690:
	v_mov_b32_e32 v0, 0
	v_or_b32_e32 v1, 0x10000, v7
	v_cmp_eq_u32_sdwa vcc, v7, v0 src0_sel:WORD_0 src1_sel:DWORD
	s_nop 1
	v_cndmask_b32_e32 v6, v1, v7, vcc
; %bb.691:
	s_or_b64 exec, exec, s[2:3]
	s_mov_b32 s0, 0x7f800000
	v_and_b32_e32 v0, 0x7f800000, v2
	v_cmp_ne_u32_e32 vcc, s0, v0
	global_store_short_d16_hi v[8:9], v6, off offset:64
                                        ; implicit-def: $vgpr0
	s_and_saveexec_b64 s[0:1], vcc
	s_xor_b64 s[0:1], exec, s[0:1]
; %bb.692:
	v_bfe_u32 v0, v2, 16, 1
	s_movk_i32 s2, 0x7fff
	v_add3_u32 v0, v2, v0, s2
; %bb.693:
	s_andn2_saveexec_b64 s[0:1], s[0:1]
; %bb.694:
	v_mov_b32_e32 v0, 0
	v_or_b32_e32 v1, 0x10000, v2
	v_cmp_eq_u32_sdwa vcc, v2, v0 src0_sel:WORD_0 src1_sel:DWORD
	s_nop 1
	v_cndmask_b32_e32 v0, v1, v2, vcc
; %bb.695:
	s_or_b64 exec, exec, s[0:1]
	global_store_short_d16_hi v[8:9], v0, off offset:128
	s_mov_b32 s0, 0x7f800000
	v_and_b32_e32 v0, 0x7f800000, v3
	v_cmp_ne_u32_e32 vcc, s0, v0
                                        ; implicit-def: $vgpr0
	s_and_saveexec_b64 s[0:1], vcc
	s_xor_b64 s[0:1], exec, s[0:1]
; %bb.696:
	v_bfe_u32 v0, v3, 16, 1
	s_movk_i32 s2, 0x7fff
	v_add3_u32 v0, v3, v0, s2
; %bb.697:
	s_andn2_saveexec_b64 s[0:1], s[0:1]
; %bb.698:
	v_mov_b32_e32 v0, 0
	v_or_b32_e32 v1, 0x10000, v3
	v_cmp_eq_u32_sdwa vcc, v3, v0 src0_sel:WORD_0 src1_sel:DWORD
	s_nop 1
	v_cndmask_b32_e32 v0, v1, v3, vcc
; %bb.699:
	s_or_b64 exec, exec, s[0:1]
	global_store_short_d16_hi v[8:9], v0, off offset:192
	s_mov_b32 s0, 0x7f800000
	v_and_b32_e32 v0, 0x7f800000, v4
	v_cmp_ne_u32_e32 vcc, s0, v0
	;; [unrolled: 21-line block ×3, first 2 shown]
                                        ; implicit-def: $vgpr6
	s_and_saveexec_b64 s[0:1], vcc
	s_xor_b64 s[0:1], exec, s[0:1]
; %bb.704:
	v_bfe_u32 v0, v5, 16, 1
	s_movk_i32 s2, 0x7fff
	v_add3_u32 v6, v5, v0, s2
                                        ; implicit-def: $vgpr0_vgpr1_vgpr2_vgpr3_vgpr4_vgpr5
; %bb.705:
	s_andn2_saveexec_b64 s[0:1], s[0:1]
; %bb.706:
	v_mov_b32_e32 v0, 0
	v_or_b32_e32 v1, 0x10000, v5
	v_cmp_eq_u32_sdwa vcc, v5, v0 src0_sel:WORD_0 src1_sel:DWORD
	s_nop 1
	v_cndmask_b32_e32 v6, v1, v5, vcc
; %bb.707:
	s_or_b64 exec, exec, s[0:1]
	global_store_short_d16_hi v[8:9], v6, off offset:320
.LBB313_708:
	s_endpgm
.LBB313_709:
	v_mov_b32_e32 v8, 0x190
	v_lshl_add_u32 v8, v1, 2, v8
	ds_read_b32 v8, v8
	s_waitcnt lgkmcnt(0)
	v_add_f32_e32 v6, v6, v8
	s_or_b64 exec, exec, s[6:7]
	s_and_saveexec_b64 s[6:7], s[0:1]
	s_cbranch_execz .LBB313_675
.LBB313_710:
	v_mov_b32_e32 v8, 0x190
	v_lshl_add_u32 v8, v1, 2, v8
	ds_read_b32 v8, v8 offset:128
	s_waitcnt lgkmcnt(0)
	v_add_f32_e32 v7, v7, v8
	s_or_b64 exec, exec, s[6:7]
	s_and_saveexec_b64 s[6:7], s[0:1]
	s_cbranch_execz .LBB313_676
.LBB313_711:
	v_mov_b32_e32 v8, 0x190
	v_lshl_add_u32 v8, v1, 2, v8
	ds_read_b32 v8, v8 offset:256
	s_waitcnt lgkmcnt(0)
	v_add_f32_e32 v2, v2, v8
	s_or_b64 exec, exec, s[6:7]
	s_and_saveexec_b64 s[6:7], s[0:1]
	s_cbranch_execz .LBB313_677
.LBB313_712:
	v_mov_b32_e32 v8, 0x190
	v_lshl_add_u32 v8, v1, 2, v8
	ds_read_b32 v8, v8 offset:384
	s_waitcnt lgkmcnt(0)
	v_add_f32_e32 v3, v3, v8
	s_or_b64 exec, exec, s[6:7]
	s_and_saveexec_b64 s[6:7], s[0:1]
	s_cbranch_execz .LBB313_678
.LBB313_713:
	v_mov_b32_e32 v8, 0x190
	v_lshl_add_u32 v8, v1, 2, v8
	ds_read_b32 v8, v8 offset:512
	s_waitcnt lgkmcnt(0)
	v_add_f32_e32 v4, v4, v8
	s_or_b64 exec, exec, s[6:7]
	s_and_saveexec_b64 s[6:7], s[0:1]
	s_cbranch_execnz .LBB313_679
	s_branch .LBB313_680
	.section	.rodata,"a",@progbits
	.p2align	6, 0x0
	.amdhsa_kernel _ZN4vllm25paged_attention_v1_kernelI14__hip_bfloat16hLi192ELi16ELi128ELNS_18Fp8KVCacheDataTypeE1ELb1EEEvPT_PKS3_PKT0_S9_ifPKiSB_iPKfiiiSD_SD_iiiii
		.amdhsa_group_segment_fixed_size 400
		.amdhsa_private_segment_fixed_size 0
		.amdhsa_kernarg_size 384
		.amdhsa_user_sgpr_count 2
		.amdhsa_user_sgpr_dispatch_ptr 0
		.amdhsa_user_sgpr_queue_ptr 0
		.amdhsa_user_sgpr_kernarg_segment_ptr 1
		.amdhsa_user_sgpr_dispatch_id 0
		.amdhsa_user_sgpr_kernarg_preload_length 0
		.amdhsa_user_sgpr_kernarg_preload_offset 0
		.amdhsa_user_sgpr_private_segment_size 0
		.amdhsa_uses_dynamic_stack 0
		.amdhsa_enable_private_segment 0
		.amdhsa_system_sgpr_workgroup_id_x 1
		.amdhsa_system_sgpr_workgroup_id_y 1
		.amdhsa_system_sgpr_workgroup_id_z 1
		.amdhsa_system_sgpr_workgroup_info 0
		.amdhsa_system_vgpr_workitem_id 0
		.amdhsa_next_free_vgpr 117
		.amdhsa_next_free_sgpr 52
		.amdhsa_accum_offset 120
		.amdhsa_reserve_vcc 1
		.amdhsa_float_round_mode_32 0
		.amdhsa_float_round_mode_16_64 0
		.amdhsa_float_denorm_mode_32 3
		.amdhsa_float_denorm_mode_16_64 3
		.amdhsa_dx10_clamp 1
		.amdhsa_ieee_mode 1
		.amdhsa_fp16_overflow 0
		.amdhsa_tg_split 0
		.amdhsa_exception_fp_ieee_invalid_op 0
		.amdhsa_exception_fp_denorm_src 0
		.amdhsa_exception_fp_ieee_div_zero 0
		.amdhsa_exception_fp_ieee_overflow 0
		.amdhsa_exception_fp_ieee_underflow 0
		.amdhsa_exception_fp_ieee_inexact 0
		.amdhsa_exception_int_div_zero 0
	.end_amdhsa_kernel
	.section	.text._ZN4vllm25paged_attention_v1_kernelI14__hip_bfloat16hLi192ELi16ELi128ELNS_18Fp8KVCacheDataTypeE1ELb1EEEvPT_PKS3_PKT0_S9_ifPKiSB_iPKfiiiSD_SD_iiiii,"axG",@progbits,_ZN4vllm25paged_attention_v1_kernelI14__hip_bfloat16hLi192ELi16ELi128ELNS_18Fp8KVCacheDataTypeE1ELb1EEEvPT_PKS3_PKT0_S9_ifPKiSB_iPKfiiiSD_SD_iiiii,comdat
.Lfunc_end313:
	.size	_ZN4vllm25paged_attention_v1_kernelI14__hip_bfloat16hLi192ELi16ELi128ELNS_18Fp8KVCacheDataTypeE1ELb1EEEvPT_PKS3_PKT0_S9_ifPKiSB_iPKfiiiSD_SD_iiiii, .Lfunc_end313-_ZN4vllm25paged_attention_v1_kernelI14__hip_bfloat16hLi192ELi16ELi128ELNS_18Fp8KVCacheDataTypeE1ELb1EEEvPT_PKS3_PKT0_S9_ifPKiSB_iPKfiiiSD_SD_iiiii
                                        ; -- End function
	.section	.AMDGPU.csdata,"",@progbits
; Kernel info:
; codeLenInByte = 21596
; NumSgprs: 58
; NumVgprs: 117
; NumAgprs: 0
; TotalNumVgprs: 117
; ScratchSize: 0
; MemoryBound: 0
; FloatMode: 240
; IeeeMode: 1
; LDSByteSize: 400 bytes/workgroup (compile time only)
; SGPRBlocks: 7
; VGPRBlocks: 14
; NumSGPRsForWavesPerEU: 58
; NumVGPRsForWavesPerEU: 117
; AccumOffset: 120
; Occupancy: 4
; WaveLimiterHint : 1
; COMPUTE_PGM_RSRC2:SCRATCH_EN: 0
; COMPUTE_PGM_RSRC2:USER_SGPR: 2
; COMPUTE_PGM_RSRC2:TRAP_HANDLER: 0
; COMPUTE_PGM_RSRC2:TGID_X_EN: 1
; COMPUTE_PGM_RSRC2:TGID_Y_EN: 1
; COMPUTE_PGM_RSRC2:TGID_Z_EN: 1
; COMPUTE_PGM_RSRC2:TIDIG_COMP_CNT: 0
; COMPUTE_PGM_RSRC3_GFX90A:ACCUM_OFFSET: 29
; COMPUTE_PGM_RSRC3_GFX90A:TG_SPLIT: 0
	.text
	.p2align	2                               ; -- Begin function _ZN4vllm22paged_attention_kernelI14__hip_bfloat16hLi256ELi16ELi128ELNS_18Fp8KVCacheDataTypeE1ELb1ELi0EEEvPfS3_PT_PKS4_PKT0_SA_ifPKiSC_iPKfiiiSE_SE_iiiii
	.type	_ZN4vllm22paged_attention_kernelI14__hip_bfloat16hLi256ELi16ELi128ELNS_18Fp8KVCacheDataTypeE1ELb1ELi0EEEvPfS3_PT_PKS4_PKT0_SA_ifPKiSC_iPKfiiiSE_SE_iiiii,@function
_ZN4vllm22paged_attention_kernelI14__hip_bfloat16hLi256ELi16ELi128ELNS_18Fp8KVCacheDataTypeE1ELb1ELi0EEEvPfS3_PT_PKS4_PKT0_SA_ifPKiSC_iPKfiiiSE_SE_iiiii: ; @_ZN4vllm22paged_attention_kernelI14__hip_bfloat16hLi256ELi16ELi128ELNS_18Fp8KVCacheDataTypeE1ELb1ELi0EEEvPfS3_PT_PKS4_PKT0_SA_ifPKiSC_iPKfiiiSE_SE_iiiii
; %bb.0:
	s_waitcnt vmcnt(0) expcnt(0) lgkmcnt(0)
	scratch_store_dword off, v40, s32 offset:188 ; 4-byte Folded Spill
	scratch_store_dword off, v41, s32 offset:184 ; 4-byte Folded Spill
	scratch_store_dword off, v42, s32 offset:180 ; 4-byte Folded Spill
	scratch_store_dword off, v43, s32 offset:176 ; 4-byte Folded Spill
	scratch_store_dword off, v44, s32 offset:172 ; 4-byte Folded Spill
	scratch_store_dword off, v45, s32 offset:168 ; 4-byte Folded Spill
	scratch_store_dword off, v46, s32 offset:164 ; 4-byte Folded Spill
	scratch_store_dword off, v47, s32 offset:160 ; 4-byte Folded Spill
	scratch_store_dword off, v56, s32 offset:156 ; 4-byte Folded Spill
	scratch_store_dword off, v57, s32 offset:152 ; 4-byte Folded Spill
	scratch_store_dword off, v58, s32 offset:148 ; 4-byte Folded Spill
	scratch_store_dword off, v59, s32 offset:144 ; 4-byte Folded Spill
	scratch_store_dword off, v60, s32 offset:140 ; 4-byte Folded Spill
	scratch_store_dword off, v61, s32 offset:136 ; 4-byte Folded Spill
	scratch_store_dword off, v62, s32 offset:132 ; 4-byte Folded Spill
	scratch_store_dword off, v63, s32 offset:128 ; 4-byte Folded Spill
	scratch_store_dword off, a32, s32 offset:124 ; 4-byte Folded Spill
	scratch_store_dword off, a33, s32 offset:120 ; 4-byte Folded Spill
	scratch_store_dword off, a34, s32 offset:116 ; 4-byte Folded Spill
	scratch_store_dword off, a35, s32 offset:112 ; 4-byte Folded Spill
	scratch_store_dword off, a36, s32 offset:108 ; 4-byte Folded Spill
	scratch_store_dword off, a37, s32 offset:104 ; 4-byte Folded Spill
	scratch_store_dword off, a38, s32 offset:100 ; 4-byte Folded Spill
	scratch_store_dword off, a39, s32 offset:96 ; 4-byte Folded Spill
	scratch_store_dword off, a40, s32 offset:92 ; 4-byte Folded Spill
	scratch_store_dword off, a41, s32 offset:88 ; 4-byte Folded Spill
	scratch_store_dword off, a42, s32 offset:84 ; 4-byte Folded Spill
	scratch_store_dword off, a43, s32 offset:80 ; 4-byte Folded Spill
	scratch_store_dword off, a44, s32 offset:76 ; 4-byte Folded Spill
	scratch_store_dword off, a45, s32 offset:72 ; 4-byte Folded Spill
	scratch_store_dword off, a46, s32 offset:68 ; 4-byte Folded Spill
	scratch_store_dword off, a47, s32 offset:64 ; 4-byte Folded Spill
	scratch_store_dword off, a48, s32 offset:60 ; 4-byte Folded Spill
	scratch_store_dword off, a49, s32 offset:56 ; 4-byte Folded Spill
	scratch_store_dword off, a50, s32 offset:52 ; 4-byte Folded Spill
	scratch_store_dword off, a51, s32 offset:48 ; 4-byte Folded Spill
	scratch_store_dword off, a52, s32 offset:44 ; 4-byte Folded Spill
	scratch_store_dword off, a53, s32 offset:40 ; 4-byte Folded Spill
	scratch_store_dword off, a54, s32 offset:36 ; 4-byte Folded Spill
	scratch_store_dword off, a55, s32 offset:32 ; 4-byte Folded Spill
	scratch_store_dword off, a56, s32 offset:28 ; 4-byte Folded Spill
	scratch_store_dword off, a57, s32 offset:24 ; 4-byte Folded Spill
	scratch_store_dword off, a58, s32 offset:20 ; 4-byte Folded Spill
	scratch_store_dword off, a59, s32 offset:16 ; 4-byte Folded Spill
	scratch_store_dword off, a60, s32 offset:12 ; 4-byte Folded Spill
	scratch_store_dword off, a61, s32 offset:8 ; 4-byte Folded Spill
	scratch_store_dword off, a62, s32 offset:4 ; 4-byte Folded Spill
	scratch_store_dword off, a63, s32       ; 4-byte Folded Spill
	s_mov_b32 s10, s13
	s_ashr_i32 s11, s13, 31
	scratch_store_dwordx2 off, v[22:23], s32 offset:252 ; 8-byte Folded Spill
	scratch_store_dwordx2 off, v[20:21], s32 offset:260 ; 8-byte Folded Spill
	;; [unrolled: 1-line block ×4, first 2 shown]
	scratch_store_dword off, v9, s32 offset:284 ; 4-byte Folded Spill
	scratch_store_dwordx2 off, v[0:1], s32 offset:316 ; 8-byte Folded Spill
	v_lshl_add_u64 v[0:1], s[10:11], 2, v[12:13]
	flat_load_dword v0, v[0:1]
	v_mov_b32_e32 v23, v7
	v_mov_b32_e32 v22, v6
	;; [unrolled: 1-line block ×4, first 2 shown]
	s_mov_b32 s16, s15
	s_waitcnt vmcnt(0) lgkmcnt(0)
	scratch_store_dword off, v0, s32 offset:192 ; 4-byte Folded Spill
	v_sub_u32_e32 v0, 0, v8
	v_max_i32_e32 v0, v8, v0
	v_cvt_f32_u32_e32 v1, v0
	s_load_dword s0, s[8:9], 0x10
	s_load_dword s2, s[8:9], 0x0
	v_sub_u32_e32 v7, 0, v0
	v_rcp_iflag_f32_e32 v1, v1
	s_waitcnt lgkmcnt(0)
	s_lshr_b32 s0, s0, 16
	s_cmp_lg_u32 s0, 0
	s_cselect_b64 s[0:1], -1, 0
	v_mul_f32_e32 v1, 0x4f7ffffe, v1
	v_cvt_u32_f32_e32 v1, v1
	s_cmp_lg_u64 s[0:1], 0
	s_addc_u32 s11, s2, 0
	s_abs_i32 s0, s11
	v_mul_lo_u32 v7, v7, v1
	v_mul_hi_u32 v7, v1, v7
	v_add_u32_e32 v1, v1, v7
	v_mul_hi_u32 v1, s0, v1
	v_mul_lo_u32 v7, v1, v0
	v_sub_u32_e32 v7, s0, v7
	v_add_u32_e32 v9, 1, v1
	v_cmp_ge_u32_e32 vcc, v7, v0
	v_xor_b32_e32 v6, s11, v8
	v_ashrrev_i32_e32 v6, 31, v6
	v_cndmask_b32_e32 v1, v1, v9, vcc
	v_sub_u32_e32 v9, v7, v0
	v_cndmask_b32_e32 v7, v7, v9, vcc
	v_add_u32_e32 v9, 1, v1
	v_cmp_ge_u32_e32 vcc, v7, v0
	s_abs_i32 s2, s12
	s_nop 0
	v_cndmask_b32_e32 v0, v1, v9, vcc
	v_xor_b32_e32 v0, v0, v6
	v_sub_u32_e32 v0, v0, v6
	v_sub_u32_e32 v1, 0, v0
	v_max_i32_e32 v1, v0, v1
	v_cvt_f32_u32_e32 v6, v1
	v_sub_u32_e32 v7, 0, v1
	v_cmp_ne_u64_e32 vcc, 0, v[32:33]
	v_rcp_iflag_f32_e32 v6, v6
	s_nop 0
	v_mul_f32_e32 v6, 0x4f7ffffe, v6
	v_cvt_u32_f32_e32 v6, v6
	v_mul_lo_u32 v7, v7, v6
	v_mul_hi_u32 v7, v6, v7
	v_add_u32_e32 v6, v6, v7
	v_mad_u64_u32 v[12:13], s[0:1], s2, v6, 0
	v_mov_b32_e32 v6, 0
	scratch_store_dword off, v6, s32 offset:280 ; 4-byte Folded Spill
	s_and_saveexec_b64 s[0:1], vcc
	s_cbranch_execz .LBB314_2
; %bb.1:
	s_ashr_i32 s13, s12, 31
	v_lshl_add_u64 v[6:7], s[12:13], 2, v[32:33]
	flat_load_dword v6, v[6:7]
	s_waitcnt vmcnt(0) lgkmcnt(0)
	scratch_store_dword off, v6, s32 offset:280 ; 4-byte Folded Spill
.LBB314_2:
	s_or_b64 exec, exec, s[0:1]
	v_and_b32_e32 v7, 0x3ff, v31
	s_movk_i32 s0, 0x80
	s_ashr_i32 s3, s12, 31
	v_ashrrev_i32_e32 v6, 31, v0
	v_and_b32_e32 v0, 3, v7
	s_lshl_b32 s18, s12, 8
	v_cmp_gt_u32_e32 vcc, s0, v7
	scratch_store_dword off, v7, s32 offset:288 ; 4-byte Folded Spill
	s_and_saveexec_b64 s[0:1], vcc
	s_cbranch_execz .LBB314_4
; %bb.3:
	scratch_load_dword v7, off, s32 offset:288 ; 4-byte Folded Reload
	v_mul_lo_u32 v10, s10, v17
	v_ashrrev_i32_e32 v11, 31, v10
	v_lshl_add_u64 v[2:3], v[10:11], 1, v[2:3]
	s_ashr_i32 s19, s18, 31
	v_lshl_add_u64 v[2:3], s[18:19], 1, v[2:3]
	v_mov_b32_e32 v11, 0
	s_waitcnt vmcnt(0)
	v_lshlrev_b32_e32 v10, 2, v7
	v_lshl_add_u64 v[2:3], v[2:3], 0, v[10:11]
	flat_load_dword v2, v[2:3]
	v_and_b32_e32 v3, 0x3fc, v7
	v_lshl_add_u32 v3, v0, 7, v3
	s_waitcnt vmcnt(0) lgkmcnt(0)
	ds_write_b32 v3, v2
.LBB314_4:
	s_or_b64 exec, exec, s[0:1]
	v_mul_lo_u32 v3, v13, v1
	v_sub_u32_e32 v3, s2, v3
	v_xor_b32_e32 v2, s3, v6
	v_add_u32_e32 v6, 1, v13
	v_cmp_ge_u32_e32 vcc, v3, v1
	v_sub_u32_e32 v7, v3, v1
	s_waitcnt lgkmcnt(0)
	v_cndmask_b32_e32 v6, v13, v6, vcc
	v_cndmask_b32_e32 v3, v3, v7, vcc
	v_add_u32_e32 v7, 1, v6
	v_cmp_ge_u32_e32 vcc, v3, v1
	v_sub_u32_e32 v3, 0, v27
	s_barrier
	v_cndmask_b32_e32 v1, v6, v7, vcc
	v_max_i32_e32 v7, v27, v3
	v_cvt_f32_u32_e32 v3, v7
	v_xor_b32_e32 v1, v1, v2
	v_sub_u32_e32 v2, v1, v2
	v_rcp_iflag_f32_e32 v1, v3
	scratch_load_dword v3, off, s32 offset:192 ; 4-byte Folded Reload
	v_cmp_gt_i32_e32 vcc, 0, v28
	scratch_store_dword off, v7, s32 offset:200 ; 4-byte Folded Spill
	v_mul_f32_e32 v1, 0x4f7ffffe, v1
	v_cvt_u32_f32_e32 v6, v1
	v_sub_u32_e32 v7, 0, v7
	v_mul_lo_u32 v7, v7, v6
	v_mul_hi_u32 v7, v6, v7
	v_add_u32_e32 v6, v6, v7
	scratch_store_dword off, v6, s32 offset:216 ; 4-byte Folded Spill
	s_waitcnt vmcnt(2)
	v_add_u32_e32 v3, -1, v3
	v_sub_u32_e32 v1, 0, v3
	v_max_i32_e32 v1, v3, v1
	v_mad_u64_u32 v[12:13], s[0:1], v1, v6, 0
                                        ; implicit-def: $vgpr6
	scratch_store_dwordx2 off, v[6:7], s32 offset:208 ; 8-byte Folded Spill
	s_and_saveexec_b64 s[0:1], vcc
	s_xor_b64 s[0:1], exec, s[0:1]
	s_cbranch_execz .LBB314_6
; %bb.5:
	v_mad_u64_u32 v[6:7], s[2:3], v24, v8, v[2:3]
	v_mul_lo_u32 v6, v6, v28
	v_sub_u32_e32 v6, 1, v6
	scratch_store_dwordx2 off, v[6:7], s32 offset:208 ; 8-byte Folded Spill
                                        ; implicit-def: $vgpr24
                                        ; implicit-def: $vgpr28
.LBB314_6:
	s_or_saveexec_b64 s[0:1], s[0:1]
	v_ashrrev_i32_e32 v3, 31, v3
	v_ashrrev_i32_e32 v6, 31, v27
	scratch_store_dword off, v6, s32 offset:204 ; 4-byte Folded Spill
	s_xor_b64 exec, exec, s[0:1]
	s_cbranch_execz .LBB314_8
; %bb.7:
	v_mul_lo_u32 v6, s11, v24
	v_add_u32_e32 v6, s12, v6
	v_mad_u64_u32 v[6:7], s[2:3], v6, v28, 1
	scratch_store_dwordx2 off, v[6:7], s32 offset:208 ; 8-byte Folded Spill
.LBB314_8:
	s_or_b64 exec, exec, s[0:1]
	s_load_dword s19, s[8:9], 0x14
	s_load_dword s15, s[8:9], 0x8
	scratch_load_dword v6, off, s32 offset:204 ; 4-byte Folded Reload
	scratch_load_dword v8, off, s32 offset:200 ; 4-byte Folded Reload
	v_mul_lo_u32 v28, s10, v14
	v_mul_lo_u32 v18, v2, v19
	v_ashrrev_i32_e32 v29, 31, v28
	v_ashrrev_i32_e32 v19, 31, v18
	v_sub_u32_e32 v27, 0, v26
	scratch_load_dword v16, off, s32 offset:288 ; 4-byte Folded Reload
	s_waitcnt vmcnt(2)
	v_xor_b32_e32 v3, v3, v6
	s_waitcnt vmcnt(1)
	v_mul_lo_u32 v6, v13, v8
	v_sub_u32_e32 v1, v1, v6
	v_add_u32_e32 v6, 1, v13
	v_cmp_ge_u32_e32 vcc, v1, v8
	v_sub_u32_e32 v7, v1, v8
	s_nop 0
	v_cndmask_b32_e32 v6, v13, v6, vcc
	v_cndmask_b32_e32 v1, v1, v7, vcc
	v_add_u32_e32 v7, 1, v6
	v_cmp_ge_u32_e32 vcc, v1, v8
	s_nop 1
	v_cndmask_b32_e32 v1, v6, v7, vcc
	v_xor_b32_e32 v1, v1, v3
	v_sub_u32_e32 v1, v1, v3
	scratch_load_dword v3, off, s32 offset:192 ; 4-byte Folded Reload
	v_sub_u32_e32 v1, v1, v25
	scratch_store_dword off, v1, s32 offset:220 ; 4-byte Folded Spill
	v_mov_b32_e32 v7, 0xff7fffff
	s_waitcnt vmcnt(1)
	v_add_u32_e32 v3, 15, v3
	v_ashrrev_i32_e32 v6, 31, v3
	v_lshrrev_b32_e32 v6, 28, v6
	v_add_u32_e32 v3, v3, v6
	v_lshrrev_b32_e32 v6, 6, v16
	v_ashrrev_i32_e32 v3, 4, v3
	v_lshlrev_b32_e32 v1, 4, v6
	v_cmp_lt_i32_e64 s[0:1], v6, v3
	v_accvgpr_write_b32 a12, v6
	scratch_store_dword off, v1, s32 offset:312 ; 4-byte Folded Spill
	v_lshrrev_b32_e32 v1, 4, v16
	v_mbcnt_lo_u32_b32 v6, -1, 0
	scratch_store_dword off, v3, s32 offset:196 ; 4-byte Folded Spill
	scratch_store_dword off, v1, s32 offset:300 ; 4-byte Folded Spill
	s_and_saveexec_b64 s[8:9], s[0:1]
	s_cbranch_execz .LBB314_274
; %bb.9:
	v_bfe_u32 v8, v16, 2, 4
	scratch_store_dwordx2 off, v[22:23], s32 offset:344 ; 8-byte Folded Spill
	scratch_store_dword off, v26, s32 offset:352 ; 4-byte Folded Spill
	scratch_store_dword off, v27, s32 offset:324 ; 4-byte Folded Spill
	v_lshl_add_u64 v[2:3], v[4:5], 0, v[18:19]
	v_lshlrev_b32_e32 v24, 4, v8
	v_mov_b32_e32 v25, 0
	v_cmp_eq_u32_e32 vcc, 0, v0
	v_lshl_add_u64 v[2:3], v[2:3], 0, v[24:25]
	v_lshlrev_b32_e32 v24, 1, v0
	v_lshlrev_b32_e32 v16, 7, v0
	scratch_load_dword v0, off, s32 offset:280 ; 4-byte Folded Reload
	v_max_i32_e32 v7, v26, v27
	v_cvt_f32_u32_e32 v1, v7
	scratch_store_dwordx2 off, v[18:19], s32 offset:328 ; 8-byte Folded Spill
	scratch_store_dwordx2 off, v[2:3], s32 offset:272 ; 8-byte Folded Spill
	scratch_store_dword off, v7, s32 offset:232 ; 4-byte Folded Spill
	v_rcp_iflag_f32_e32 v1, v1
	v_accvgpr_read_b32 v59, a12
	s_ashr_i32 s17, s16, 31
	s_lshl_b64 s[4:5], s[16:17], 2
	v_mul_f32_e32 v1, 0x4f7ffffe, v1
	v_cvt_u32_f32_e32 v1, v1
	s_getpc_b64 s[6:7]
	s_add_u32 s6, s6, llvm.amdgcn.dynlds.offset.table@rel32@lo+4
	s_addc_u32 s7, s7, llvm.amdgcn.dynlds.offset.table@rel32@hi+12
	s_add_u32 s12, s4, s6
	s_addc_u32 s13, s5, s7
	v_lshlrev_b32_e32 v43, 4, v59
	s_mov_b64 s[20:21], 0
	s_mov_b32 s17, 0xffff
	s_mov_b32 s24, 0x7f800000
	s_movk_i32 s25, 0x7fff
	s_waitcnt vmcnt(3)
	v_cmp_neq_f32_e64 s[2:3], 0, v0
	v_sub_u32_e32 v0, 0, v7
	v_mul_lo_u32 v0, v0, v1
	v_mul_hi_u32 v0, v1, v0
	v_add_u32_e32 v0, v1, v0
	scratch_store_dwordx2 off, v[0:1], s32 offset:236 ; 8-byte Folded Spill
	scratch_load_dword v0, off, s32 offset:192 ; 4-byte Folded Reload
	v_mov_b32_e32 v1, v25
	s_waitcnt vmcnt(0)
	v_sub_u32_e32 v0, v8, v0
	v_add_u32_e32 v0, 1, v0
	scratch_store_dword off, v0, s32 offset:292 ; 4-byte Folded Spill
	scratch_store_dword off, v8, s32 offset:296 ; 4-byte Folded Spill
	v_lshlrev_b32_e32 v0, 2, v8
	v_lshl_or_b32 v61, v59, 6, v0
	scratch_load_dword v0, off, s32 offset:300 ; 4-byte Folded Reload
	scratch_load_dwordx2 v[2:3], off, s32 offset:304 ; 8-byte Folded Reload
	s_waitcnt vmcnt(1)
	v_and_b32_e32 v0, 60, v0
	v_lshl_add_u64 v[0:1], v[28:29], 2, v[0:1]
	s_waitcnt vmcnt(0)
	v_lshl_add_u64 v[32:33], v[2:3], 0, v[0:1]
	v_mbcnt_hi_u32_b32 v0, -1, v6
	scratch_store_dword off, v0, s32 offset:268 ; 4-byte Folded Spill
	v_mov_b32_e32 v0, 0xff7fffff
	scratch_store_dwordx2 off, v[28:29], s32 offset:336 ; 8-byte Folded Spill
	scratch_store_dword off, v0, s32 offset:248 ; 4-byte Folded Spill
	s_branch .LBB314_12
.LBB314_10:                             ;   in Loop: Header=BB314_12 Depth=1
	s_or_b64 exec, exec, s[22:23]
.LBB314_11:                             ;   in Loop: Header=BB314_12 Depth=1
	s_or_b64 exec, exec, s[6:7]
	scratch_load_dword v0, off, s32 offset:196 ; 4-byte Folded Reload
	v_add_u32_e32 v59, 2, v59
	v_add_u32_e32 v43, 32, v43
	;; [unrolled: 1-line block ×3, first 2 shown]
	v_lshl_add_u64 v[32:33], v[32:33], 0, 8
	s_waitcnt vmcnt(0)
	v_cmp_ge_i32_e64 s[4:5], v59, v0
	s_or_b64 s[20:21], s[4:5], s[20:21]
	s_andn2_b64 exec, exec, s[20:21]
	s_cbranch_execz .LBB314_273
.LBB314_12:                             ; =>This Inner Loop Header: Depth=1
	scratch_load_dword v0, off, s32 offset:216 ; 4-byte Folded Reload
	scratch_load_dword v3, off, s32 offset:200 ; 4-byte Folded Reload
	scratch_load_dwordx2 v[4:5], off, s32 offset:236 ; 8-byte Folded Reload
	s_waitcnt vmcnt(2)
	v_mul_hi_u32 v0, v43, v0
	s_waitcnt vmcnt(1) lgkmcnt(0)
	v_mul_lo_u32 v1, v0, v3
	v_sub_u32_e32 v1, v43, v1
	v_add_u32_e32 v2, 1, v0
	v_cmp_ge_u32_e64 s[4:5], v1, v3
	s_nop 1
	v_cndmask_b32_e64 v0, v0, v2, s[4:5]
	v_sub_u32_e32 v2, v1, v3
	v_cndmask_b32_e64 v1, v1, v2, s[4:5]
	v_cmp_ge_u32_e64 s[4:5], v1, v3
	scratch_load_dword v1, off, s32 offset:204 ; 4-byte Folded Reload
	v_add_u32_e32 v2, 1, v0
	v_cndmask_b32_e64 v0, v0, v2, s[4:5]
	scratch_load_dwordx2 v[2:3], off, s32 offset:208 ; 8-byte Folded Reload
	s_waitcnt vmcnt(1)
	v_xor_b32_e32 v0, v0, v1
	v_sub_u32_e32 v0, v0, v1
	s_waitcnt vmcnt(0)
	v_add_u32_e32 v1, v0, v2
	v_sub_u32_e32 v3, 0, v1
	v_ashrrev_i32_e32 v2, 31, v1
	v_max_i32_e32 v1, v1, v3
	v_mul_hi_u32 v3, v1, v4
	scratch_load_dword v4, off, s32 offset:232 ; 4-byte Folded Reload
	s_waitcnt vmcnt(0)
	v_mul_lo_u32 v3, v3, v4
	v_sub_u32_e32 v1, v1, v3
	v_sub_u32_e32 v3, v1, v4
	v_cmp_ge_u32_e64 s[4:5], v1, v4
	s_nop 1
	v_cndmask_b32_e64 v1, v1, v3, s[4:5]
	v_sub_u32_e32 v3, v1, v4
	v_cmp_ge_u32_e64 s[4:5], v1, v4
	s_nop 1
	v_cndmask_b32_e64 v1, v1, v3, s[4:5]
	v_xor_b32_e32 v1, v1, v2
	v_sub_u32_e32 v1, v1, v2
	v_cmp_ne_u32_e64 s[4:5], 0, v1
	scratch_load_dword v1, off, s32 offset:220 ; 4-byte Folded Reload
	s_waitcnt vmcnt(0)
	v_cmp_le_i32_e64 s[6:7], v0, v1
	s_and_b64 s[4:5], s[4:5], s[6:7]
	s_and_b64 s[22:23], vcc, s[4:5]
	s_and_saveexec_b64 s[6:7], s[22:23]
	s_cbranch_execz .LBB314_14
; %bb.13:                               ;   in Loop: Header=BB314_12 Depth=1
	s_load_dword s22, s[12:13], 0x0
	v_mov_b32_e32 v1, 0xff7fffff
	s_waitcnt lgkmcnt(0)
	v_add_u32_e32 v0, s22, v61
	ds_write_b32 v0, v1
.LBB314_14:                             ;   in Loop: Header=BB314_12 Depth=1
	s_or_b64 exec, exec, s[6:7]
	s_xor_b64 s[4:5], s[4:5], -1
	s_and_saveexec_b64 s[6:7], s[4:5]
	s_cbranch_execz .LBB314_11
; %bb.15:                               ;   in Loop: Header=BB314_12 Depth=1
	flat_load_dword v0, v[32:33]
	scratch_load_dwordx2 v[2:3], off, s32 offset:224 ; 8-byte Folded Reload
	scratch_load_dwordx2 v[4:5], off, s32 offset:272 ; 8-byte Folded Reload
                                        ; implicit-def: $vgpr42
	s_waitcnt vmcnt(0) lgkmcnt(0)
	v_mad_i64_i32 v[0:1], s[4:5], v0, v2, v[4:5]
	v_lshl_add_u64 v[44:45], v[0:1], 0, v[24:25]
	flat_load_ushort v0, v[44:45]
	scratch_load_dwordx2 v[2:3], off, s32 offset:260 ; 8-byte Folded Reload
	s_waitcnt vmcnt(0) lgkmcnt(0)
	v_and_b32_sdwa v1, s17, v0 dst_sel:DWORD dst_unused:UNUSED_PAD src0_sel:DWORD src1_sel:BYTE_0
	flat_load_dword v23, v[2:3]
	ds_read_b128 v[48:51], v16
	ds_read_b128 v[36:39], v16 offset:16
	ds_read_b128 v[2:5], v16 offset:32
	ds_read_b128 v[54:57], v16 offset:48
	v_cvt_f32_fp8_sdwa v1, v1 src0_sel:BYTE_0
	ds_read_b128 a[42:45], v16 offset:64
	ds_read_b128 a[38:41], v16 offset:80
	ds_read_b32 v6, v16 offset:96
	s_waitcnt lgkmcnt(0)
	scratch_store_dword off, v6, s32 offset:244 ; 4-byte Folded Spill
	s_waitcnt vmcnt(0)
	v_mul_f32_e32 v1, v23, v1
	v_and_b32_e32 v6, 0x7f800000, v1
	v_cmp_ne_u32_e64 s[4:5], s24, v6
	s_and_saveexec_b64 s[22:23], s[4:5]
	s_xor_b64 s[4:5], exec, s[22:23]
; %bb.16:                               ;   in Loop: Header=BB314_12 Depth=1
	v_bfe_u32 v6, v1, 16, 1
	v_add3_u32 v42, v1, v6, s25
                                        ; implicit-def: $vgpr1
; %bb.17:                               ;   in Loop: Header=BB314_12 Depth=1
	s_andn2_saveexec_b64 s[22:23], s[4:5]
; %bb.18:                               ;   in Loop: Header=BB314_12 Depth=1
	v_or_b32_e32 v6, 0x10000, v1
	v_cmp_eq_u32_sdwa s[4:5], v1, v25 src0_sel:WORD_0 src1_sel:DWORD
	s_nop 1
	v_cndmask_b32_e64 v42, v6, v1, s[4:5]
; %bb.19:                               ;   in Loop: Header=BB314_12 Depth=1
	s_or_b64 exec, exec, s[22:23]
	v_lshrrev_b16_e32 v0, 8, v0
	v_cvt_f32_fp8_sdwa v0, v0 src0_sel:BYTE_0
                                        ; implicit-def: $vgpr30
	s_nop 0
	v_mul_f32_e32 v0, v23, v0
	v_and_b32_e32 v1, 0x7f800000, v0
	v_cmp_ne_u32_e64 s[4:5], s24, v1
	s_and_saveexec_b64 s[22:23], s[4:5]
	s_xor_b64 s[4:5], exec, s[22:23]
; %bb.20:                               ;   in Loop: Header=BB314_12 Depth=1
	v_bfe_u32 v1, v0, 16, 1
	v_add3_u32 v30, v0, v1, s25
                                        ; implicit-def: $vgpr0
; %bb.21:                               ;   in Loop: Header=BB314_12 Depth=1
	s_andn2_saveexec_b64 s[22:23], s[4:5]
; %bb.22:                               ;   in Loop: Header=BB314_12 Depth=1
	v_or_b32_e32 v1, 0x10000, v0
	v_cmp_eq_u32_sdwa s[4:5], v0, v25 src0_sel:WORD_0 src1_sel:DWORD
	s_nop 1
	v_cndmask_b32_e64 v30, v1, v0, s[4:5]
; %bb.23:                               ;   in Loop: Header=BB314_12 Depth=1
	s_or_b64 exec, exec, s[22:23]
	flat_load_ushort v0, v[44:45] offset:8
                                        ; implicit-def: $agpr47
	s_waitcnt vmcnt(0) lgkmcnt(0)
	v_and_b32_sdwa v1, s17, v0 dst_sel:DWORD dst_unused:UNUSED_PAD src0_sel:DWORD src1_sel:BYTE_0
	v_cvt_f32_fp8_sdwa v1, v1 src0_sel:BYTE_0
	s_nop 0
	v_mul_f32_e32 v1, v23, v1
	v_and_b32_e32 v6, 0x7f800000, v1
	v_cmp_ne_u32_e64 s[4:5], s24, v6
	s_and_saveexec_b64 s[22:23], s[4:5]
	s_xor_b64 s[4:5], exec, s[22:23]
; %bb.24:                               ;   in Loop: Header=BB314_12 Depth=1
	v_bfe_u32 v6, v1, 16, 1
	v_add3_u32 v1, v1, v6, s25
	v_accvgpr_write_b32 a47, v1
                                        ; implicit-def: $vgpr1
; %bb.25:                               ;   in Loop: Header=BB314_12 Depth=1
	s_andn2_saveexec_b64 s[22:23], s[4:5]
; %bb.26:                               ;   in Loop: Header=BB314_12 Depth=1
	v_or_b32_e32 v6, 0x10000, v1
	v_cmp_eq_u32_sdwa s[4:5], v1, v25 src0_sel:WORD_0 src1_sel:DWORD
	s_nop 1
	v_cndmask_b32_e64 v1, v6, v1, s[4:5]
	v_accvgpr_write_b32 a47, v1
; %bb.27:                               ;   in Loop: Header=BB314_12 Depth=1
	s_or_b64 exec, exec, s[22:23]
	v_lshrrev_b16_e32 v0, 8, v0
	v_cvt_f32_fp8_sdwa v0, v0 src0_sel:BYTE_0
                                        ; implicit-def: $agpr48
	s_nop 0
	v_mul_f32_e32 v0, v23, v0
	v_and_b32_e32 v1, 0x7f800000, v0
	v_cmp_ne_u32_e64 s[4:5], s24, v1
	s_and_saveexec_b64 s[22:23], s[4:5]
	s_xor_b64 s[4:5], exec, s[22:23]
; %bb.28:                               ;   in Loop: Header=BB314_12 Depth=1
	v_bfe_u32 v1, v0, 16, 1
	v_add3_u32 v0, v0, v1, s25
	v_accvgpr_write_b32 a48, v0
                                        ; implicit-def: $vgpr0
; %bb.29:                               ;   in Loop: Header=BB314_12 Depth=1
	s_andn2_saveexec_b64 s[22:23], s[4:5]
; %bb.30:                               ;   in Loop: Header=BB314_12 Depth=1
	v_or_b32_e32 v1, 0x10000, v0
	v_cmp_eq_u32_sdwa s[4:5], v0, v25 src0_sel:WORD_0 src1_sel:DWORD
	s_nop 1
	v_cndmask_b32_e64 v0, v1, v0, s[4:5]
	v_accvgpr_write_b32 a48, v0
; %bb.31:                               ;   in Loop: Header=BB314_12 Depth=1
	s_or_b64 exec, exec, s[22:23]
	flat_load_ushort v0, v[44:45] offset:256
                                        ; implicit-def: $agpr49
	s_waitcnt vmcnt(0) lgkmcnt(0)
	v_and_b32_sdwa v1, s17, v0 dst_sel:DWORD dst_unused:UNUSED_PAD src0_sel:DWORD src1_sel:BYTE_0
	v_cvt_f32_fp8_sdwa v1, v1 src0_sel:BYTE_0
	s_nop 0
	v_mul_f32_e32 v1, v23, v1
	v_and_b32_e32 v6, 0x7f800000, v1
	v_cmp_ne_u32_e64 s[4:5], s24, v6
	s_and_saveexec_b64 s[22:23], s[4:5]
	s_xor_b64 s[4:5], exec, s[22:23]
; %bb.32:                               ;   in Loop: Header=BB314_12 Depth=1
	v_bfe_u32 v6, v1, 16, 1
	v_add3_u32 v1, v1, v6, s25
	v_accvgpr_write_b32 a49, v1
                                        ; implicit-def: $vgpr1
; %bb.33:                               ;   in Loop: Header=BB314_12 Depth=1
	s_andn2_saveexec_b64 s[22:23], s[4:5]
; %bb.34:                               ;   in Loop: Header=BB314_12 Depth=1
	v_or_b32_e32 v6, 0x10000, v1
	v_cmp_eq_u32_sdwa s[4:5], v1, v25 src0_sel:WORD_0 src1_sel:DWORD
	s_nop 1
	v_cndmask_b32_e64 v1, v6, v1, s[4:5]
	v_accvgpr_write_b32 a49, v1
; %bb.35:                               ;   in Loop: Header=BB314_12 Depth=1
	s_or_b64 exec, exec, s[22:23]
	v_lshrrev_b16_e32 v0, 8, v0
	v_cvt_f32_fp8_sdwa v0, v0 src0_sel:BYTE_0
                                        ; implicit-def: $agpr50
	s_nop 0
	v_mul_f32_e32 v0, v23, v0
	v_and_b32_e32 v1, 0x7f800000, v0
	v_cmp_ne_u32_e64 s[4:5], s24, v1
	s_and_saveexec_b64 s[22:23], s[4:5]
	s_xor_b64 s[4:5], exec, s[22:23]
; %bb.36:                               ;   in Loop: Header=BB314_12 Depth=1
	v_bfe_u32 v1, v0, 16, 1
	v_add3_u32 v0, v0, v1, s25
	v_accvgpr_write_b32 a50, v0
                                        ; implicit-def: $vgpr0
; %bb.37:                               ;   in Loop: Header=BB314_12 Depth=1
	s_andn2_saveexec_b64 s[22:23], s[4:5]
; %bb.38:                               ;   in Loop: Header=BB314_12 Depth=1
	v_or_b32_e32 v1, 0x10000, v0
	v_cmp_eq_u32_sdwa s[4:5], v0, v25 src0_sel:WORD_0 src1_sel:DWORD
	s_nop 1
	v_cndmask_b32_e64 v0, v1, v0, s[4:5]
	v_accvgpr_write_b32 a50, v0
; %bb.39:                               ;   in Loop: Header=BB314_12 Depth=1
	s_or_b64 exec, exec, s[22:23]
	flat_load_ushort v0, v[44:45] offset:264
                                        ; implicit-def: $agpr51
	s_waitcnt vmcnt(0) lgkmcnt(0)
	v_and_b32_sdwa v1, s17, v0 dst_sel:DWORD dst_unused:UNUSED_PAD src0_sel:DWORD src1_sel:BYTE_0
	v_cvt_f32_fp8_sdwa v1, v1 src0_sel:BYTE_0
	s_nop 0
	v_mul_f32_e32 v1, v23, v1
	v_and_b32_e32 v6, 0x7f800000, v1
	v_cmp_ne_u32_e64 s[4:5], s24, v6
	s_and_saveexec_b64 s[22:23], s[4:5]
	s_xor_b64 s[4:5], exec, s[22:23]
; %bb.40:                               ;   in Loop: Header=BB314_12 Depth=1
	v_bfe_u32 v6, v1, 16, 1
	v_add3_u32 v1, v1, v6, s25
	v_accvgpr_write_b32 a51, v1
                                        ; implicit-def: $vgpr1
; %bb.41:                               ;   in Loop: Header=BB314_12 Depth=1
	s_andn2_saveexec_b64 s[22:23], s[4:5]
; %bb.42:                               ;   in Loop: Header=BB314_12 Depth=1
	v_or_b32_e32 v6, 0x10000, v1
	v_cmp_eq_u32_sdwa s[4:5], v1, v25 src0_sel:WORD_0 src1_sel:DWORD
	s_nop 1
	v_cndmask_b32_e64 v1, v6, v1, s[4:5]
	v_accvgpr_write_b32 a51, v1
; %bb.43:                               ;   in Loop: Header=BB314_12 Depth=1
	s_or_b64 exec, exec, s[22:23]
	v_lshrrev_b16_e32 v0, 8, v0
	v_cvt_f32_fp8_sdwa v0, v0 src0_sel:BYTE_0
                                        ; implicit-def: $agpr52
	s_nop 0
	v_mul_f32_e32 v0, v23, v0
	v_and_b32_e32 v1, 0x7f800000, v0
	v_cmp_ne_u32_e64 s[4:5], s24, v1
	s_and_saveexec_b64 s[22:23], s[4:5]
	s_xor_b64 s[4:5], exec, s[22:23]
; %bb.44:                               ;   in Loop: Header=BB314_12 Depth=1
	v_bfe_u32 v1, v0, 16, 1
	v_add3_u32 v0, v0, v1, s25
	v_accvgpr_write_b32 a52, v0
                                        ; implicit-def: $vgpr0
; %bb.45:                               ;   in Loop: Header=BB314_12 Depth=1
	s_andn2_saveexec_b64 s[22:23], s[4:5]
; %bb.46:                               ;   in Loop: Header=BB314_12 Depth=1
	v_or_b32_e32 v1, 0x10000, v0
	v_cmp_eq_u32_sdwa s[4:5], v0, v25 src0_sel:WORD_0 src1_sel:DWORD
	s_nop 1
	v_cndmask_b32_e64 v0, v1, v0, s[4:5]
	v_accvgpr_write_b32 a52, v0
; %bb.47:                               ;   in Loop: Header=BB314_12 Depth=1
	s_or_b64 exec, exec, s[22:23]
	flat_load_ushort v0, v[44:45] offset:512
                                        ; implicit-def: $agpr53
	s_waitcnt vmcnt(0) lgkmcnt(0)
	v_and_b32_sdwa v1, s17, v0 dst_sel:DWORD dst_unused:UNUSED_PAD src0_sel:DWORD src1_sel:BYTE_0
	v_cvt_f32_fp8_sdwa v1, v1 src0_sel:BYTE_0
	s_nop 0
	v_mul_f32_e32 v1, v23, v1
	v_and_b32_e32 v6, 0x7f800000, v1
	v_cmp_ne_u32_e64 s[4:5], s24, v6
	s_and_saveexec_b64 s[22:23], s[4:5]
	s_xor_b64 s[4:5], exec, s[22:23]
; %bb.48:                               ;   in Loop: Header=BB314_12 Depth=1
	v_bfe_u32 v6, v1, 16, 1
	v_add3_u32 v1, v1, v6, s25
	v_accvgpr_write_b32 a53, v1
                                        ; implicit-def: $vgpr1
; %bb.49:                               ;   in Loop: Header=BB314_12 Depth=1
	s_andn2_saveexec_b64 s[22:23], s[4:5]
; %bb.50:                               ;   in Loop: Header=BB314_12 Depth=1
	v_or_b32_e32 v6, 0x10000, v1
	v_cmp_eq_u32_sdwa s[4:5], v1, v25 src0_sel:WORD_0 src1_sel:DWORD
	s_nop 1
	v_cndmask_b32_e64 v1, v6, v1, s[4:5]
	v_accvgpr_write_b32 a53, v1
; %bb.51:                               ;   in Loop: Header=BB314_12 Depth=1
	s_or_b64 exec, exec, s[22:23]
	v_lshrrev_b16_e32 v0, 8, v0
	v_cvt_f32_fp8_sdwa v0, v0 src0_sel:BYTE_0
                                        ; implicit-def: $agpr54
	s_nop 0
	v_mul_f32_e32 v0, v23, v0
	v_and_b32_e32 v1, 0x7f800000, v0
	v_cmp_ne_u32_e64 s[4:5], s24, v1
	s_and_saveexec_b64 s[22:23], s[4:5]
	s_xor_b64 s[4:5], exec, s[22:23]
; %bb.52:                               ;   in Loop: Header=BB314_12 Depth=1
	v_bfe_u32 v1, v0, 16, 1
	v_add3_u32 v0, v0, v1, s25
	v_accvgpr_write_b32 a54, v0
                                        ; implicit-def: $vgpr0
; %bb.53:                               ;   in Loop: Header=BB314_12 Depth=1
	s_andn2_saveexec_b64 s[22:23], s[4:5]
; %bb.54:                               ;   in Loop: Header=BB314_12 Depth=1
	v_or_b32_e32 v1, 0x10000, v0
	v_cmp_eq_u32_sdwa s[4:5], v0, v25 src0_sel:WORD_0 src1_sel:DWORD
	s_nop 1
	v_cndmask_b32_e64 v0, v1, v0, s[4:5]
	v_accvgpr_write_b32 a54, v0
; %bb.55:                               ;   in Loop: Header=BB314_12 Depth=1
	s_or_b64 exec, exec, s[22:23]
	flat_load_ushort v0, v[44:45] offset:520
                                        ; implicit-def: $agpr55
	s_waitcnt vmcnt(0) lgkmcnt(0)
	v_and_b32_sdwa v1, s17, v0 dst_sel:DWORD dst_unused:UNUSED_PAD src0_sel:DWORD src1_sel:BYTE_0
	v_cvt_f32_fp8_sdwa v1, v1 src0_sel:BYTE_0
	s_nop 0
	v_mul_f32_e32 v1, v23, v1
	v_and_b32_e32 v6, 0x7f800000, v1
	v_cmp_ne_u32_e64 s[4:5], s24, v6
	s_and_saveexec_b64 s[22:23], s[4:5]
	s_xor_b64 s[4:5], exec, s[22:23]
; %bb.56:                               ;   in Loop: Header=BB314_12 Depth=1
	v_bfe_u32 v6, v1, 16, 1
	v_add3_u32 v1, v1, v6, s25
	v_accvgpr_write_b32 a55, v1
                                        ; implicit-def: $vgpr1
; %bb.57:                               ;   in Loop: Header=BB314_12 Depth=1
	s_andn2_saveexec_b64 s[22:23], s[4:5]
; %bb.58:                               ;   in Loop: Header=BB314_12 Depth=1
	v_or_b32_e32 v6, 0x10000, v1
	v_cmp_eq_u32_sdwa s[4:5], v1, v25 src0_sel:WORD_0 src1_sel:DWORD
	s_nop 1
	v_cndmask_b32_e64 v1, v6, v1, s[4:5]
	v_accvgpr_write_b32 a55, v1
; %bb.59:                               ;   in Loop: Header=BB314_12 Depth=1
	s_or_b64 exec, exec, s[22:23]
	v_lshrrev_b16_e32 v0, 8, v0
	v_cvt_f32_fp8_sdwa v0, v0 src0_sel:BYTE_0
                                        ; implicit-def: $agpr56
	s_nop 0
	v_mul_f32_e32 v0, v23, v0
	v_and_b32_e32 v1, 0x7f800000, v0
	v_cmp_ne_u32_e64 s[4:5], s24, v1
	s_and_saveexec_b64 s[22:23], s[4:5]
	s_xor_b64 s[4:5], exec, s[22:23]
; %bb.60:                               ;   in Loop: Header=BB314_12 Depth=1
	v_bfe_u32 v1, v0, 16, 1
	v_add3_u32 v0, v0, v1, s25
	v_accvgpr_write_b32 a56, v0
                                        ; implicit-def: $vgpr0
; %bb.61:                               ;   in Loop: Header=BB314_12 Depth=1
	s_andn2_saveexec_b64 s[22:23], s[4:5]
; %bb.62:                               ;   in Loop: Header=BB314_12 Depth=1
	v_or_b32_e32 v1, 0x10000, v0
	v_cmp_eq_u32_sdwa s[4:5], v0, v25 src0_sel:WORD_0 src1_sel:DWORD
	s_nop 1
	v_cndmask_b32_e64 v0, v1, v0, s[4:5]
	v_accvgpr_write_b32 a56, v0
; %bb.63:                               ;   in Loop: Header=BB314_12 Depth=1
	s_or_b64 exec, exec, s[22:23]
	flat_load_ushort v0, v[44:45] offset:768
                                        ; implicit-def: $agpr57
	s_waitcnt vmcnt(0) lgkmcnt(0)
	v_and_b32_sdwa v1, s17, v0 dst_sel:DWORD dst_unused:UNUSED_PAD src0_sel:DWORD src1_sel:BYTE_0
	v_cvt_f32_fp8_sdwa v1, v1 src0_sel:BYTE_0
	s_nop 0
	v_mul_f32_e32 v1, v23, v1
	v_and_b32_e32 v6, 0x7f800000, v1
	v_cmp_ne_u32_e64 s[4:5], s24, v6
	s_and_saveexec_b64 s[22:23], s[4:5]
	s_xor_b64 s[4:5], exec, s[22:23]
; %bb.64:                               ;   in Loop: Header=BB314_12 Depth=1
	v_bfe_u32 v6, v1, 16, 1
	v_add3_u32 v1, v1, v6, s25
	v_accvgpr_write_b32 a57, v1
                                        ; implicit-def: $vgpr1
; %bb.65:                               ;   in Loop: Header=BB314_12 Depth=1
	s_andn2_saveexec_b64 s[22:23], s[4:5]
; %bb.66:                               ;   in Loop: Header=BB314_12 Depth=1
	v_or_b32_e32 v6, 0x10000, v1
	v_cmp_eq_u32_sdwa s[4:5], v1, v25 src0_sel:WORD_0 src1_sel:DWORD
	s_nop 1
	v_cndmask_b32_e64 v1, v6, v1, s[4:5]
	v_accvgpr_write_b32 a57, v1
; %bb.67:                               ;   in Loop: Header=BB314_12 Depth=1
	s_or_b64 exec, exec, s[22:23]
	v_lshrrev_b16_e32 v0, 8, v0
	v_cvt_f32_fp8_sdwa v0, v0 src0_sel:BYTE_0
                                        ; implicit-def: $agpr58
	s_nop 0
	v_mul_f32_e32 v0, v23, v0
	v_and_b32_e32 v1, 0x7f800000, v0
	v_cmp_ne_u32_e64 s[4:5], s24, v1
	s_and_saveexec_b64 s[22:23], s[4:5]
	s_xor_b64 s[4:5], exec, s[22:23]
; %bb.68:                               ;   in Loop: Header=BB314_12 Depth=1
	v_bfe_u32 v1, v0, 16, 1
	v_add3_u32 v0, v0, v1, s25
	v_accvgpr_write_b32 a58, v0
                                        ; implicit-def: $vgpr0
; %bb.69:                               ;   in Loop: Header=BB314_12 Depth=1
	s_andn2_saveexec_b64 s[22:23], s[4:5]
; %bb.70:                               ;   in Loop: Header=BB314_12 Depth=1
	v_or_b32_e32 v1, 0x10000, v0
	v_cmp_eq_u32_sdwa s[4:5], v0, v25 src0_sel:WORD_0 src1_sel:DWORD
	s_nop 1
	v_cndmask_b32_e64 v0, v1, v0, s[4:5]
	v_accvgpr_write_b32 a58, v0
; %bb.71:                               ;   in Loop: Header=BB314_12 Depth=1
	s_or_b64 exec, exec, s[22:23]
	flat_load_ushort v0, v[44:45] offset:776
                                        ; implicit-def: $agpr59
	s_waitcnt vmcnt(0) lgkmcnt(0)
	v_and_b32_sdwa v1, s17, v0 dst_sel:DWORD dst_unused:UNUSED_PAD src0_sel:DWORD src1_sel:BYTE_0
	v_cvt_f32_fp8_sdwa v1, v1 src0_sel:BYTE_0
	s_nop 0
	v_mul_f32_e32 v1, v23, v1
	v_and_b32_e32 v6, 0x7f800000, v1
	v_cmp_ne_u32_e64 s[4:5], s24, v6
	s_and_saveexec_b64 s[22:23], s[4:5]
	s_xor_b64 s[4:5], exec, s[22:23]
; %bb.72:                               ;   in Loop: Header=BB314_12 Depth=1
	v_bfe_u32 v6, v1, 16, 1
	v_add3_u32 v1, v1, v6, s25
	v_accvgpr_write_b32 a59, v1
                                        ; implicit-def: $vgpr1
; %bb.73:                               ;   in Loop: Header=BB314_12 Depth=1
	s_andn2_saveexec_b64 s[22:23], s[4:5]
; %bb.74:                               ;   in Loop: Header=BB314_12 Depth=1
	v_or_b32_e32 v6, 0x10000, v1
	v_cmp_eq_u32_sdwa s[4:5], v1, v25 src0_sel:WORD_0 src1_sel:DWORD
	s_nop 1
	v_cndmask_b32_e64 v1, v6, v1, s[4:5]
	v_accvgpr_write_b32 a59, v1
; %bb.75:                               ;   in Loop: Header=BB314_12 Depth=1
	s_or_b64 exec, exec, s[22:23]
	v_lshrrev_b16_e32 v0, 8, v0
	v_cvt_f32_fp8_sdwa v0, v0 src0_sel:BYTE_0
                                        ; implicit-def: $agpr60
	s_nop 0
	v_mul_f32_e32 v0, v23, v0
	v_and_b32_e32 v1, 0x7f800000, v0
	v_cmp_ne_u32_e64 s[4:5], s24, v1
	s_and_saveexec_b64 s[22:23], s[4:5]
	s_xor_b64 s[4:5], exec, s[22:23]
; %bb.76:                               ;   in Loop: Header=BB314_12 Depth=1
	v_bfe_u32 v1, v0, 16, 1
	v_add3_u32 v0, v0, v1, s25
	v_accvgpr_write_b32 a60, v0
                                        ; implicit-def: $vgpr0
; %bb.77:                               ;   in Loop: Header=BB314_12 Depth=1
	s_andn2_saveexec_b64 s[22:23], s[4:5]
; %bb.78:                               ;   in Loop: Header=BB314_12 Depth=1
	v_or_b32_e32 v1, 0x10000, v0
	v_cmp_eq_u32_sdwa s[4:5], v0, v25 src0_sel:WORD_0 src1_sel:DWORD
	s_nop 1
	v_cndmask_b32_e64 v0, v1, v0, s[4:5]
	v_accvgpr_write_b32 a60, v0
; %bb.79:                               ;   in Loop: Header=BB314_12 Depth=1
	s_or_b64 exec, exec, s[22:23]
	flat_load_ushort v0, v[44:45] offset:1024
                                        ; implicit-def: $agpr61
	s_waitcnt vmcnt(0) lgkmcnt(0)
	v_and_b32_sdwa v1, s17, v0 dst_sel:DWORD dst_unused:UNUSED_PAD src0_sel:DWORD src1_sel:BYTE_0
	v_cvt_f32_fp8_sdwa v1, v1 src0_sel:BYTE_0
	s_nop 0
	v_mul_f32_e32 v1, v23, v1
	v_and_b32_e32 v6, 0x7f800000, v1
	v_cmp_ne_u32_e64 s[4:5], s24, v6
	s_and_saveexec_b64 s[22:23], s[4:5]
	s_xor_b64 s[4:5], exec, s[22:23]
; %bb.80:                               ;   in Loop: Header=BB314_12 Depth=1
	v_bfe_u32 v6, v1, 16, 1
	v_add3_u32 v1, v1, v6, s25
	v_accvgpr_write_b32 a61, v1
                                        ; implicit-def: $vgpr1
; %bb.81:                               ;   in Loop: Header=BB314_12 Depth=1
	s_andn2_saveexec_b64 s[22:23], s[4:5]
; %bb.82:                               ;   in Loop: Header=BB314_12 Depth=1
	v_or_b32_e32 v6, 0x10000, v1
	v_cmp_eq_u32_sdwa s[4:5], v1, v25 src0_sel:WORD_0 src1_sel:DWORD
	s_nop 1
	v_cndmask_b32_e64 v1, v6, v1, s[4:5]
	v_accvgpr_write_b32 a61, v1
; %bb.83:                               ;   in Loop: Header=BB314_12 Depth=1
	s_or_b64 exec, exec, s[22:23]
	v_lshrrev_b16_e32 v0, 8, v0
	v_cvt_f32_fp8_sdwa v0, v0 src0_sel:BYTE_0
                                        ; implicit-def: $agpr62
	s_nop 0
	v_mul_f32_e32 v0, v23, v0
	v_and_b32_e32 v1, 0x7f800000, v0
	v_cmp_ne_u32_e64 s[4:5], s24, v1
	s_and_saveexec_b64 s[22:23], s[4:5]
	s_xor_b64 s[4:5], exec, s[22:23]
; %bb.84:                               ;   in Loop: Header=BB314_12 Depth=1
	v_bfe_u32 v1, v0, 16, 1
	v_add3_u32 v0, v0, v1, s25
	v_accvgpr_write_b32 a62, v0
                                        ; implicit-def: $vgpr0
; %bb.85:                               ;   in Loop: Header=BB314_12 Depth=1
	s_andn2_saveexec_b64 s[22:23], s[4:5]
; %bb.86:                               ;   in Loop: Header=BB314_12 Depth=1
	v_or_b32_e32 v1, 0x10000, v0
	v_cmp_eq_u32_sdwa s[4:5], v0, v25 src0_sel:WORD_0 src1_sel:DWORD
	s_nop 1
	v_cndmask_b32_e64 v0, v1, v0, s[4:5]
	v_accvgpr_write_b32 a62, v0
; %bb.87:                               ;   in Loop: Header=BB314_12 Depth=1
	s_or_b64 exec, exec, s[22:23]
	flat_load_ushort v0, v[44:45] offset:1032
                                        ; implicit-def: $agpr63
	s_waitcnt vmcnt(0) lgkmcnt(0)
	v_and_b32_sdwa v1, s17, v0 dst_sel:DWORD dst_unused:UNUSED_PAD src0_sel:DWORD src1_sel:BYTE_0
	v_cvt_f32_fp8_sdwa v1, v1 src0_sel:BYTE_0
	s_nop 0
	v_mul_f32_e32 v1, v23, v1
	v_and_b32_e32 v6, 0x7f800000, v1
	v_cmp_ne_u32_e64 s[4:5], s24, v6
	s_and_saveexec_b64 s[22:23], s[4:5]
	s_xor_b64 s[4:5], exec, s[22:23]
; %bb.88:                               ;   in Loop: Header=BB314_12 Depth=1
	v_bfe_u32 v6, v1, 16, 1
	v_add3_u32 v1, v1, v6, s25
	v_accvgpr_write_b32 a63, v1
                                        ; implicit-def: $vgpr1
; %bb.89:                               ;   in Loop: Header=BB314_12 Depth=1
	s_andn2_saveexec_b64 s[22:23], s[4:5]
; %bb.90:                               ;   in Loop: Header=BB314_12 Depth=1
	v_or_b32_e32 v6, 0x10000, v1
	v_cmp_eq_u32_sdwa s[4:5], v1, v25 src0_sel:WORD_0 src1_sel:DWORD
	s_nop 1
	v_cndmask_b32_e64 v1, v6, v1, s[4:5]
	v_accvgpr_write_b32 a63, v1
; %bb.91:                               ;   in Loop: Header=BB314_12 Depth=1
	s_or_b64 exec, exec, s[22:23]
	v_lshrrev_b16_e32 v0, 8, v0
	v_cvt_f32_fp8_sdwa v0, v0 src0_sel:BYTE_0
                                        ; implicit-def: $agpr0
	s_nop 0
	v_mul_f32_e32 v0, v23, v0
	v_and_b32_e32 v1, 0x7f800000, v0
	v_cmp_ne_u32_e64 s[4:5], s24, v1
	s_and_saveexec_b64 s[22:23], s[4:5]
	s_xor_b64 s[4:5], exec, s[22:23]
; %bb.92:                               ;   in Loop: Header=BB314_12 Depth=1
	v_bfe_u32 v1, v0, 16, 1
	v_add3_u32 v0, v0, v1, s25
	v_accvgpr_write_b32 a0, v0
                                        ; implicit-def: $vgpr0
; %bb.93:                               ;   in Loop: Header=BB314_12 Depth=1
	s_andn2_saveexec_b64 s[22:23], s[4:5]
; %bb.94:                               ;   in Loop: Header=BB314_12 Depth=1
	v_or_b32_e32 v1, 0x10000, v0
	v_cmp_eq_u32_sdwa s[4:5], v0, v25 src0_sel:WORD_0 src1_sel:DWORD
	s_nop 1
	v_cndmask_b32_e64 v0, v1, v0, s[4:5]
	v_accvgpr_write_b32 a0, v0
; %bb.95:                               ;   in Loop: Header=BB314_12 Depth=1
	s_or_b64 exec, exec, s[22:23]
	flat_load_ushort v0, v[44:45] offset:1280
                                        ; implicit-def: $agpr1
	s_waitcnt vmcnt(0) lgkmcnt(0)
	v_and_b32_sdwa v1, s17, v0 dst_sel:DWORD dst_unused:UNUSED_PAD src0_sel:DWORD src1_sel:BYTE_0
	v_cvt_f32_fp8_sdwa v1, v1 src0_sel:BYTE_0
	s_nop 0
	v_mul_f32_e32 v1, v23, v1
	v_and_b32_e32 v6, 0x7f800000, v1
	v_cmp_ne_u32_e64 s[4:5], s24, v6
	s_and_saveexec_b64 s[22:23], s[4:5]
	s_xor_b64 s[4:5], exec, s[22:23]
; %bb.96:                               ;   in Loop: Header=BB314_12 Depth=1
	v_bfe_u32 v6, v1, 16, 1
	v_add3_u32 v1, v1, v6, s25
	v_accvgpr_write_b32 a1, v1
                                        ; implicit-def: $vgpr1
; %bb.97:                               ;   in Loop: Header=BB314_12 Depth=1
	s_andn2_saveexec_b64 s[22:23], s[4:5]
; %bb.98:                               ;   in Loop: Header=BB314_12 Depth=1
	v_or_b32_e32 v6, 0x10000, v1
	v_cmp_eq_u32_sdwa s[4:5], v1, v25 src0_sel:WORD_0 src1_sel:DWORD
	s_nop 1
	v_cndmask_b32_e64 v1, v6, v1, s[4:5]
	v_accvgpr_write_b32 a1, v1
; %bb.99:                               ;   in Loop: Header=BB314_12 Depth=1
	s_or_b64 exec, exec, s[22:23]
	v_lshrrev_b16_e32 v0, 8, v0
	v_cvt_f32_fp8_sdwa v0, v0 src0_sel:BYTE_0
                                        ; implicit-def: $agpr20
	s_nop 0
	v_mul_f32_e32 v0, v23, v0
	v_and_b32_e32 v1, 0x7f800000, v0
	v_cmp_ne_u32_e64 s[4:5], s24, v1
	s_and_saveexec_b64 s[22:23], s[4:5]
	s_xor_b64 s[4:5], exec, s[22:23]
; %bb.100:                              ;   in Loop: Header=BB314_12 Depth=1
	v_bfe_u32 v1, v0, 16, 1
	v_add3_u32 v0, v0, v1, s25
	v_accvgpr_write_b32 a20, v0
                                        ; implicit-def: $vgpr0
; %bb.101:                              ;   in Loop: Header=BB314_12 Depth=1
	s_andn2_saveexec_b64 s[22:23], s[4:5]
; %bb.102:                              ;   in Loop: Header=BB314_12 Depth=1
	v_or_b32_e32 v1, 0x10000, v0
	v_cmp_eq_u32_sdwa s[4:5], v0, v25 src0_sel:WORD_0 src1_sel:DWORD
	s_nop 1
	v_cndmask_b32_e64 v0, v1, v0, s[4:5]
	v_accvgpr_write_b32 a20, v0
; %bb.103:                              ;   in Loop: Header=BB314_12 Depth=1
	s_or_b64 exec, exec, s[22:23]
	flat_load_ushort v0, v[44:45] offset:1288
                                        ; implicit-def: $agpr22
	s_waitcnt vmcnt(0) lgkmcnt(0)
	v_and_b32_sdwa v1, s17, v0 dst_sel:DWORD dst_unused:UNUSED_PAD src0_sel:DWORD src1_sel:BYTE_0
	v_cvt_f32_fp8_sdwa v1, v1 src0_sel:BYTE_0
	s_nop 0
	v_mul_f32_e32 v1, v23, v1
	v_and_b32_e32 v6, 0x7f800000, v1
	v_cmp_ne_u32_e64 s[4:5], s24, v6
	s_and_saveexec_b64 s[22:23], s[4:5]
	s_xor_b64 s[4:5], exec, s[22:23]
; %bb.104:                              ;   in Loop: Header=BB314_12 Depth=1
	v_bfe_u32 v6, v1, 16, 1
	v_add3_u32 v1, v1, v6, s25
	v_accvgpr_write_b32 a22, v1
                                        ; implicit-def: $vgpr1
; %bb.105:                              ;   in Loop: Header=BB314_12 Depth=1
	s_andn2_saveexec_b64 s[22:23], s[4:5]
; %bb.106:                              ;   in Loop: Header=BB314_12 Depth=1
	v_or_b32_e32 v6, 0x10000, v1
	v_cmp_eq_u32_sdwa s[4:5], v1, v25 src0_sel:WORD_0 src1_sel:DWORD
	s_nop 1
	v_cndmask_b32_e64 v1, v6, v1, s[4:5]
	v_accvgpr_write_b32 a22, v1
; %bb.107:                              ;   in Loop: Header=BB314_12 Depth=1
	s_or_b64 exec, exec, s[22:23]
	v_lshrrev_b16_e32 v0, 8, v0
	v_cvt_f32_fp8_sdwa v0, v0 src0_sel:BYTE_0
                                        ; implicit-def: $agpr23
	s_nop 0
	v_mul_f32_e32 v0, v23, v0
	v_and_b32_e32 v1, 0x7f800000, v0
	v_cmp_ne_u32_e64 s[4:5], s24, v1
	s_and_saveexec_b64 s[22:23], s[4:5]
	s_xor_b64 s[4:5], exec, s[22:23]
; %bb.108:                              ;   in Loop: Header=BB314_12 Depth=1
	v_bfe_u32 v1, v0, 16, 1
	v_add3_u32 v0, v0, v1, s25
	v_accvgpr_write_b32 a23, v0
                                        ; implicit-def: $vgpr0
; %bb.109:                              ;   in Loop: Header=BB314_12 Depth=1
	s_andn2_saveexec_b64 s[22:23], s[4:5]
; %bb.110:                              ;   in Loop: Header=BB314_12 Depth=1
	v_or_b32_e32 v1, 0x10000, v0
	v_cmp_eq_u32_sdwa s[4:5], v0, v25 src0_sel:WORD_0 src1_sel:DWORD
	s_nop 1
	v_cndmask_b32_e64 v0, v1, v0, s[4:5]
	v_accvgpr_write_b32 a23, v0
; %bb.111:                              ;   in Loop: Header=BB314_12 Depth=1
	s_or_b64 exec, exec, s[22:23]
	flat_load_ushort v0, v[44:45] offset:1536
                                        ; implicit-def: $agpr18
	s_waitcnt vmcnt(0) lgkmcnt(0)
	v_and_b32_sdwa v1, s17, v0 dst_sel:DWORD dst_unused:UNUSED_PAD src0_sel:DWORD src1_sel:BYTE_0
	v_cvt_f32_fp8_sdwa v1, v1 src0_sel:BYTE_0
	s_nop 0
	v_mul_f32_e32 v1, v23, v1
	v_and_b32_e32 v6, 0x7f800000, v1
	v_cmp_ne_u32_e64 s[4:5], s24, v6
	s_and_saveexec_b64 s[22:23], s[4:5]
	s_xor_b64 s[4:5], exec, s[22:23]
; %bb.112:                              ;   in Loop: Header=BB314_12 Depth=1
	v_bfe_u32 v6, v1, 16, 1
	v_add3_u32 v1, v1, v6, s25
	v_accvgpr_write_b32 a18, v1
                                        ; implicit-def: $vgpr1
; %bb.113:                              ;   in Loop: Header=BB314_12 Depth=1
	s_andn2_saveexec_b64 s[22:23], s[4:5]
; %bb.114:                              ;   in Loop: Header=BB314_12 Depth=1
	v_or_b32_e32 v6, 0x10000, v1
	v_cmp_eq_u32_sdwa s[4:5], v1, v25 src0_sel:WORD_0 src1_sel:DWORD
	s_nop 1
	v_cndmask_b32_e64 v1, v6, v1, s[4:5]
	v_accvgpr_write_b32 a18, v1
; %bb.115:                              ;   in Loop: Header=BB314_12 Depth=1
	s_or_b64 exec, exec, s[22:23]
	v_lshrrev_b16_e32 v0, 8, v0
	v_cvt_f32_fp8_sdwa v0, v0 src0_sel:BYTE_0
                                        ; implicit-def: $agpr19
	s_nop 0
	v_mul_f32_e32 v0, v23, v0
	v_and_b32_e32 v1, 0x7f800000, v0
	v_cmp_ne_u32_e64 s[4:5], s24, v1
	s_and_saveexec_b64 s[22:23], s[4:5]
	s_xor_b64 s[4:5], exec, s[22:23]
; %bb.116:                              ;   in Loop: Header=BB314_12 Depth=1
	v_bfe_u32 v1, v0, 16, 1
	v_add3_u32 v0, v0, v1, s25
	v_accvgpr_write_b32 a19, v0
                                        ; implicit-def: $vgpr0
; %bb.117:                              ;   in Loop: Header=BB314_12 Depth=1
	s_andn2_saveexec_b64 s[22:23], s[4:5]
; %bb.118:                              ;   in Loop: Header=BB314_12 Depth=1
	v_or_b32_e32 v1, 0x10000, v0
	v_cmp_eq_u32_sdwa s[4:5], v0, v25 src0_sel:WORD_0 src1_sel:DWORD
	s_nop 1
	v_cndmask_b32_e64 v0, v1, v0, s[4:5]
	v_accvgpr_write_b32 a19, v0
; %bb.119:                              ;   in Loop: Header=BB314_12 Depth=1
	s_or_b64 exec, exec, s[22:23]
	flat_load_ushort v0, v[44:45] offset:1544
                                        ; implicit-def: $agpr29
	s_waitcnt vmcnt(0) lgkmcnt(0)
	v_and_b32_sdwa v1, s17, v0 dst_sel:DWORD dst_unused:UNUSED_PAD src0_sel:DWORD src1_sel:BYTE_0
	v_cvt_f32_fp8_sdwa v1, v1 src0_sel:BYTE_0
	s_nop 0
	v_mul_f32_e32 v1, v23, v1
	v_and_b32_e32 v6, 0x7f800000, v1
	v_cmp_ne_u32_e64 s[4:5], s24, v6
	s_and_saveexec_b64 s[22:23], s[4:5]
	s_xor_b64 s[4:5], exec, s[22:23]
; %bb.120:                              ;   in Loop: Header=BB314_12 Depth=1
	v_bfe_u32 v6, v1, 16, 1
	v_add3_u32 v1, v1, v6, s25
	v_accvgpr_write_b32 a29, v1
                                        ; implicit-def: $vgpr1
; %bb.121:                              ;   in Loop: Header=BB314_12 Depth=1
	s_andn2_saveexec_b64 s[22:23], s[4:5]
; %bb.122:                              ;   in Loop: Header=BB314_12 Depth=1
	v_or_b32_e32 v6, 0x10000, v1
	v_cmp_eq_u32_sdwa s[4:5], v1, v25 src0_sel:WORD_0 src1_sel:DWORD
	s_nop 1
	v_cndmask_b32_e64 v1, v6, v1, s[4:5]
	v_accvgpr_write_b32 a29, v1
; %bb.123:                              ;   in Loop: Header=BB314_12 Depth=1
	s_or_b64 exec, exec, s[22:23]
	v_lshrrev_b16_e32 v0, 8, v0
	v_cvt_f32_fp8_sdwa v0, v0 src0_sel:BYTE_0
                                        ; implicit-def: $agpr14
	s_nop 0
	v_mul_f32_e32 v0, v23, v0
	v_and_b32_e32 v1, 0x7f800000, v0
	v_cmp_ne_u32_e64 s[4:5], s24, v1
	s_and_saveexec_b64 s[22:23], s[4:5]
	s_xor_b64 s[4:5], exec, s[22:23]
; %bb.124:                              ;   in Loop: Header=BB314_12 Depth=1
	v_bfe_u32 v1, v0, 16, 1
	v_add3_u32 v0, v0, v1, s25
	v_accvgpr_write_b32 a14, v0
                                        ; implicit-def: $vgpr0
; %bb.125:                              ;   in Loop: Header=BB314_12 Depth=1
	s_andn2_saveexec_b64 s[22:23], s[4:5]
; %bb.126:                              ;   in Loop: Header=BB314_12 Depth=1
	v_or_b32_e32 v1, 0x10000, v0
	v_cmp_eq_u32_sdwa s[4:5], v0, v25 src0_sel:WORD_0 src1_sel:DWORD
	s_nop 1
	v_cndmask_b32_e64 v0, v1, v0, s[4:5]
	v_accvgpr_write_b32 a14, v0
; %bb.127:                              ;   in Loop: Header=BB314_12 Depth=1
	s_or_b64 exec, exec, s[22:23]
	flat_load_ushort v0, v[44:45] offset:1792
                                        ; implicit-def: $agpr21
	s_waitcnt vmcnt(0) lgkmcnt(0)
	v_and_b32_sdwa v1, s17, v0 dst_sel:DWORD dst_unused:UNUSED_PAD src0_sel:DWORD src1_sel:BYTE_0
	v_cvt_f32_fp8_sdwa v1, v1 src0_sel:BYTE_0
	s_nop 0
	v_mul_f32_e32 v1, v23, v1
	v_and_b32_e32 v6, 0x7f800000, v1
	v_cmp_ne_u32_e64 s[4:5], s24, v6
	s_and_saveexec_b64 s[22:23], s[4:5]
	s_xor_b64 s[4:5], exec, s[22:23]
; %bb.128:                              ;   in Loop: Header=BB314_12 Depth=1
	v_bfe_u32 v6, v1, 16, 1
	v_add3_u32 v1, v1, v6, s25
	v_accvgpr_write_b32 a21, v1
                                        ; implicit-def: $vgpr1
; %bb.129:                              ;   in Loop: Header=BB314_12 Depth=1
	s_andn2_saveexec_b64 s[22:23], s[4:5]
; %bb.130:                              ;   in Loop: Header=BB314_12 Depth=1
	v_or_b32_e32 v6, 0x10000, v1
	v_cmp_eq_u32_sdwa s[4:5], v1, v25 src0_sel:WORD_0 src1_sel:DWORD
	s_nop 1
	v_cndmask_b32_e64 v1, v6, v1, s[4:5]
	v_accvgpr_write_b32 a21, v1
; %bb.131:                              ;   in Loop: Header=BB314_12 Depth=1
	s_or_b64 exec, exec, s[22:23]
	v_lshrrev_b16_e32 v0, 8, v0
	v_cvt_f32_fp8_sdwa v0, v0 src0_sel:BYTE_0
                                        ; implicit-def: $agpr2
	s_nop 0
	v_mul_f32_e32 v0, v23, v0
	v_and_b32_e32 v1, 0x7f800000, v0
	v_cmp_ne_u32_e64 s[4:5], s24, v1
	s_and_saveexec_b64 s[22:23], s[4:5]
	s_xor_b64 s[4:5], exec, s[22:23]
; %bb.132:                              ;   in Loop: Header=BB314_12 Depth=1
	v_bfe_u32 v1, v0, 16, 1
	v_add3_u32 v0, v0, v1, s25
	v_accvgpr_write_b32 a2, v0
                                        ; implicit-def: $vgpr0
; %bb.133:                              ;   in Loop: Header=BB314_12 Depth=1
	s_andn2_saveexec_b64 s[22:23], s[4:5]
; %bb.134:                              ;   in Loop: Header=BB314_12 Depth=1
	v_or_b32_e32 v1, 0x10000, v0
	v_cmp_eq_u32_sdwa s[4:5], v0, v25 src0_sel:WORD_0 src1_sel:DWORD
	s_nop 1
	v_cndmask_b32_e64 v0, v1, v0, s[4:5]
	v_accvgpr_write_b32 a2, v0
; %bb.135:                              ;   in Loop: Header=BB314_12 Depth=1
	s_or_b64 exec, exec, s[22:23]
	flat_load_ushort v0, v[44:45] offset:1800
                                        ; implicit-def: $agpr16
	s_waitcnt vmcnt(0) lgkmcnt(0)
	v_and_b32_sdwa v1, s17, v0 dst_sel:DWORD dst_unused:UNUSED_PAD src0_sel:DWORD src1_sel:BYTE_0
	v_cvt_f32_fp8_sdwa v1, v1 src0_sel:BYTE_0
	s_nop 0
	v_mul_f32_e32 v1, v23, v1
	v_and_b32_e32 v6, 0x7f800000, v1
	v_cmp_ne_u32_e64 s[4:5], s24, v6
	s_and_saveexec_b64 s[22:23], s[4:5]
	s_xor_b64 s[4:5], exec, s[22:23]
; %bb.136:                              ;   in Loop: Header=BB314_12 Depth=1
	v_bfe_u32 v6, v1, 16, 1
	v_add3_u32 v1, v1, v6, s25
	v_accvgpr_write_b32 a16, v1
                                        ; implicit-def: $vgpr1
; %bb.137:                              ;   in Loop: Header=BB314_12 Depth=1
	s_andn2_saveexec_b64 s[22:23], s[4:5]
; %bb.138:                              ;   in Loop: Header=BB314_12 Depth=1
	v_or_b32_e32 v6, 0x10000, v1
	v_cmp_eq_u32_sdwa s[4:5], v1, v25 src0_sel:WORD_0 src1_sel:DWORD
	s_nop 1
	v_cndmask_b32_e64 v1, v6, v1, s[4:5]
	v_accvgpr_write_b32 a16, v1
; %bb.139:                              ;   in Loop: Header=BB314_12 Depth=1
	s_or_b64 exec, exec, s[22:23]
	v_lshrrev_b16_e32 v0, 8, v0
	v_cvt_f32_fp8_sdwa v0, v0 src0_sel:BYTE_0
                                        ; implicit-def: $agpr17
	s_nop 0
	v_mul_f32_e32 v0, v23, v0
	v_and_b32_e32 v1, 0x7f800000, v0
	v_cmp_ne_u32_e64 s[4:5], s24, v1
	s_and_saveexec_b64 s[22:23], s[4:5]
	s_xor_b64 s[4:5], exec, s[22:23]
; %bb.140:                              ;   in Loop: Header=BB314_12 Depth=1
	v_bfe_u32 v1, v0, 16, 1
	v_add3_u32 v0, v0, v1, s25
	v_accvgpr_write_b32 a17, v0
                                        ; implicit-def: $vgpr0
; %bb.141:                              ;   in Loop: Header=BB314_12 Depth=1
	s_andn2_saveexec_b64 s[22:23], s[4:5]
; %bb.142:                              ;   in Loop: Header=BB314_12 Depth=1
	v_or_b32_e32 v1, 0x10000, v0
	v_cmp_eq_u32_sdwa s[4:5], v0, v25 src0_sel:WORD_0 src1_sel:DWORD
	s_nop 1
	v_cndmask_b32_e64 v0, v1, v0, s[4:5]
	v_accvgpr_write_b32 a17, v0
; %bb.143:                              ;   in Loop: Header=BB314_12 Depth=1
	s_or_b64 exec, exec, s[22:23]
	flat_load_ushort v0, v[44:45] offset:2048
                                        ; implicit-def: $agpr15
	s_waitcnt vmcnt(0) lgkmcnt(0)
	v_and_b32_sdwa v1, s17, v0 dst_sel:DWORD dst_unused:UNUSED_PAD src0_sel:DWORD src1_sel:BYTE_0
	v_cvt_f32_fp8_sdwa v1, v1 src0_sel:BYTE_0
	s_nop 0
	v_mul_f32_e32 v1, v23, v1
	v_and_b32_e32 v6, 0x7f800000, v1
	v_cmp_ne_u32_e64 s[4:5], s24, v6
	s_and_saveexec_b64 s[22:23], s[4:5]
	s_xor_b64 s[4:5], exec, s[22:23]
; %bb.144:                              ;   in Loop: Header=BB314_12 Depth=1
	v_bfe_u32 v6, v1, 16, 1
	v_add3_u32 v1, v1, v6, s25
	v_accvgpr_write_b32 a15, v1
                                        ; implicit-def: $vgpr1
; %bb.145:                              ;   in Loop: Header=BB314_12 Depth=1
	s_andn2_saveexec_b64 s[22:23], s[4:5]
; %bb.146:                              ;   in Loop: Header=BB314_12 Depth=1
	v_or_b32_e32 v6, 0x10000, v1
	v_cmp_eq_u32_sdwa s[4:5], v1, v25 src0_sel:WORD_0 src1_sel:DWORD
	s_nop 1
	v_cndmask_b32_e64 v1, v6, v1, s[4:5]
	v_accvgpr_write_b32 a15, v1
; %bb.147:                              ;   in Loop: Header=BB314_12 Depth=1
	s_or_b64 exec, exec, s[22:23]
	v_lshrrev_b16_e32 v0, 8, v0
	v_cvt_f32_fp8_sdwa v0, v0 src0_sel:BYTE_0
                                        ; implicit-def: $agpr24
	s_nop 0
	v_mul_f32_e32 v0, v23, v0
	v_and_b32_e32 v1, 0x7f800000, v0
	v_cmp_ne_u32_e64 s[4:5], s24, v1
	s_and_saveexec_b64 s[22:23], s[4:5]
	s_xor_b64 s[4:5], exec, s[22:23]
; %bb.148:                              ;   in Loop: Header=BB314_12 Depth=1
	v_bfe_u32 v1, v0, 16, 1
	v_add3_u32 v0, v0, v1, s25
	v_accvgpr_write_b32 a24, v0
                                        ; implicit-def: $vgpr0
; %bb.149:                              ;   in Loop: Header=BB314_12 Depth=1
	s_andn2_saveexec_b64 s[22:23], s[4:5]
; %bb.150:                              ;   in Loop: Header=BB314_12 Depth=1
	v_or_b32_e32 v1, 0x10000, v0
	v_cmp_eq_u32_sdwa s[4:5], v0, v25 src0_sel:WORD_0 src1_sel:DWORD
	s_nop 1
	v_cndmask_b32_e64 v0, v1, v0, s[4:5]
	v_accvgpr_write_b32 a24, v0
; %bb.151:                              ;   in Loop: Header=BB314_12 Depth=1
	s_or_b64 exec, exec, s[22:23]
	flat_load_ushort v0, v[44:45] offset:2056
                                        ; implicit-def: $agpr25
	s_waitcnt vmcnt(0) lgkmcnt(0)
	v_and_b32_sdwa v1, s17, v0 dst_sel:DWORD dst_unused:UNUSED_PAD src0_sel:DWORD src1_sel:BYTE_0
	v_cvt_f32_fp8_sdwa v1, v1 src0_sel:BYTE_0
	s_nop 0
	v_mul_f32_e32 v1, v23, v1
	v_and_b32_e32 v6, 0x7f800000, v1
	v_cmp_ne_u32_e64 s[4:5], s24, v6
	s_and_saveexec_b64 s[22:23], s[4:5]
	s_xor_b64 s[4:5], exec, s[22:23]
; %bb.152:                              ;   in Loop: Header=BB314_12 Depth=1
	v_bfe_u32 v6, v1, 16, 1
	v_add3_u32 v1, v1, v6, s25
	v_accvgpr_write_b32 a25, v1
                                        ; implicit-def: $vgpr1
; %bb.153:                              ;   in Loop: Header=BB314_12 Depth=1
	s_andn2_saveexec_b64 s[22:23], s[4:5]
; %bb.154:                              ;   in Loop: Header=BB314_12 Depth=1
	v_or_b32_e32 v6, 0x10000, v1
	v_cmp_eq_u32_sdwa s[4:5], v1, v25 src0_sel:WORD_0 src1_sel:DWORD
	s_nop 1
	v_cndmask_b32_e64 v1, v6, v1, s[4:5]
	v_accvgpr_write_b32 a25, v1
; %bb.155:                              ;   in Loop: Header=BB314_12 Depth=1
	s_or_b64 exec, exec, s[22:23]
	v_lshrrev_b16_e32 v0, 8, v0
	v_cvt_f32_fp8_sdwa v0, v0 src0_sel:BYTE_0
                                        ; implicit-def: $agpr35
	s_nop 0
	v_mul_f32_e32 v0, v23, v0
	v_and_b32_e32 v1, 0x7f800000, v0
	v_cmp_ne_u32_e64 s[4:5], s24, v1
	s_and_saveexec_b64 s[22:23], s[4:5]
	s_xor_b64 s[4:5], exec, s[22:23]
; %bb.156:                              ;   in Loop: Header=BB314_12 Depth=1
	v_bfe_u32 v1, v0, 16, 1
	v_add3_u32 v0, v0, v1, s25
	v_accvgpr_write_b32 a35, v0
                                        ; implicit-def: $vgpr0
; %bb.157:                              ;   in Loop: Header=BB314_12 Depth=1
	s_andn2_saveexec_b64 s[22:23], s[4:5]
; %bb.158:                              ;   in Loop: Header=BB314_12 Depth=1
	v_or_b32_e32 v1, 0x10000, v0
	v_cmp_eq_u32_sdwa s[4:5], v0, v25 src0_sel:WORD_0 src1_sel:DWORD
	s_nop 1
	v_cndmask_b32_e64 v0, v1, v0, s[4:5]
	v_accvgpr_write_b32 a35, v0
; %bb.159:                              ;   in Loop: Header=BB314_12 Depth=1
	s_or_b64 exec, exec, s[22:23]
	flat_load_ushort v0, v[44:45] offset:2304
                                        ; implicit-def: $agpr31
	s_waitcnt vmcnt(0) lgkmcnt(0)
	v_and_b32_sdwa v1, s17, v0 dst_sel:DWORD dst_unused:UNUSED_PAD src0_sel:DWORD src1_sel:BYTE_0
	v_cvt_f32_fp8_sdwa v1, v1 src0_sel:BYTE_0
	s_nop 0
	v_mul_f32_e32 v1, v23, v1
	v_and_b32_e32 v6, 0x7f800000, v1
	v_cmp_ne_u32_e64 s[4:5], s24, v6
	s_and_saveexec_b64 s[22:23], s[4:5]
	s_xor_b64 s[4:5], exec, s[22:23]
; %bb.160:                              ;   in Loop: Header=BB314_12 Depth=1
	v_bfe_u32 v6, v1, 16, 1
	v_add3_u32 v1, v1, v6, s25
	v_accvgpr_write_b32 a31, v1
                                        ; implicit-def: $vgpr1
; %bb.161:                              ;   in Loop: Header=BB314_12 Depth=1
	s_andn2_saveexec_b64 s[22:23], s[4:5]
; %bb.162:                              ;   in Loop: Header=BB314_12 Depth=1
	v_or_b32_e32 v6, 0x10000, v1
	v_cmp_eq_u32_sdwa s[4:5], v1, v25 src0_sel:WORD_0 src1_sel:DWORD
	s_nop 1
	v_cndmask_b32_e64 v1, v6, v1, s[4:5]
	v_accvgpr_write_b32 a31, v1
; %bb.163:                              ;   in Loop: Header=BB314_12 Depth=1
	s_or_b64 exec, exec, s[22:23]
	v_lshrrev_b16_e32 v0, 8, v0
	v_cvt_f32_fp8_sdwa v0, v0 src0_sel:BYTE_0
                                        ; implicit-def: $agpr4
	s_nop 0
	v_mul_f32_e32 v0, v23, v0
	v_and_b32_e32 v1, 0x7f800000, v0
	v_cmp_ne_u32_e64 s[4:5], s24, v1
	s_and_saveexec_b64 s[22:23], s[4:5]
	s_xor_b64 s[4:5], exec, s[22:23]
; %bb.164:                              ;   in Loop: Header=BB314_12 Depth=1
	v_bfe_u32 v1, v0, 16, 1
	v_add3_u32 v0, v0, v1, s25
	v_accvgpr_write_b32 a4, v0
                                        ; implicit-def: $vgpr0
; %bb.165:                              ;   in Loop: Header=BB314_12 Depth=1
	s_andn2_saveexec_b64 s[22:23], s[4:5]
; %bb.166:                              ;   in Loop: Header=BB314_12 Depth=1
	v_or_b32_e32 v1, 0x10000, v0
	v_cmp_eq_u32_sdwa s[4:5], v0, v25 src0_sel:WORD_0 src1_sel:DWORD
	s_nop 1
	v_cndmask_b32_e64 v0, v1, v0, s[4:5]
	v_accvgpr_write_b32 a4, v0
; %bb.167:                              ;   in Loop: Header=BB314_12 Depth=1
	s_or_b64 exec, exec, s[22:23]
	flat_load_ushort v0, v[44:45] offset:2312
                                        ; implicit-def: $agpr5
	s_waitcnt vmcnt(0) lgkmcnt(0)
	v_and_b32_sdwa v1, s17, v0 dst_sel:DWORD dst_unused:UNUSED_PAD src0_sel:DWORD src1_sel:BYTE_0
	v_cvt_f32_fp8_sdwa v1, v1 src0_sel:BYTE_0
	s_nop 0
	v_mul_f32_e32 v1, v23, v1
	v_and_b32_e32 v6, 0x7f800000, v1
	v_cmp_ne_u32_e64 s[4:5], s24, v6
	s_and_saveexec_b64 s[22:23], s[4:5]
	s_xor_b64 s[4:5], exec, s[22:23]
; %bb.168:                              ;   in Loop: Header=BB314_12 Depth=1
	v_bfe_u32 v6, v1, 16, 1
	v_add3_u32 v1, v1, v6, s25
	v_accvgpr_write_b32 a5, v1
                                        ; implicit-def: $vgpr1
; %bb.169:                              ;   in Loop: Header=BB314_12 Depth=1
	s_andn2_saveexec_b64 s[22:23], s[4:5]
; %bb.170:                              ;   in Loop: Header=BB314_12 Depth=1
	v_or_b32_e32 v6, 0x10000, v1
	v_cmp_eq_u32_sdwa s[4:5], v1, v25 src0_sel:WORD_0 src1_sel:DWORD
	s_nop 1
	v_cndmask_b32_e64 v1, v6, v1, s[4:5]
	v_accvgpr_write_b32 a5, v1
; %bb.171:                              ;   in Loop: Header=BB314_12 Depth=1
	s_or_b64 exec, exec, s[22:23]
	v_lshrrev_b16_e32 v0, 8, v0
	v_cvt_f32_fp8_sdwa v0, v0 src0_sel:BYTE_0
                                        ; implicit-def: $agpr37
	s_nop 0
	v_mul_f32_e32 v0, v23, v0
	v_and_b32_e32 v1, 0x7f800000, v0
	v_cmp_ne_u32_e64 s[4:5], s24, v1
	s_and_saveexec_b64 s[22:23], s[4:5]
	s_xor_b64 s[4:5], exec, s[22:23]
; %bb.172:                              ;   in Loop: Header=BB314_12 Depth=1
	v_bfe_u32 v1, v0, 16, 1
	v_add3_u32 v0, v0, v1, s25
	v_accvgpr_write_b32 a37, v0
                                        ; implicit-def: $vgpr0
; %bb.173:                              ;   in Loop: Header=BB314_12 Depth=1
	s_andn2_saveexec_b64 s[22:23], s[4:5]
; %bb.174:                              ;   in Loop: Header=BB314_12 Depth=1
	v_or_b32_e32 v1, 0x10000, v0
	v_cmp_eq_u32_sdwa s[4:5], v0, v25 src0_sel:WORD_0 src1_sel:DWORD
	s_nop 1
	v_cndmask_b32_e64 v0, v1, v0, s[4:5]
	v_accvgpr_write_b32 a37, v0
; %bb.175:                              ;   in Loop: Header=BB314_12 Depth=1
	s_or_b64 exec, exec, s[22:23]
	flat_load_ushort v0, v[44:45] offset:2560
                                        ; implicit-def: $agpr28
	s_waitcnt vmcnt(0) lgkmcnt(0)
	v_and_b32_sdwa v1, s17, v0 dst_sel:DWORD dst_unused:UNUSED_PAD src0_sel:DWORD src1_sel:BYTE_0
	v_cvt_f32_fp8_sdwa v1, v1 src0_sel:BYTE_0
	s_nop 0
	v_mul_f32_e32 v1, v23, v1
	v_and_b32_e32 v6, 0x7f800000, v1
	v_cmp_ne_u32_e64 s[4:5], s24, v6
	s_and_saveexec_b64 s[22:23], s[4:5]
	s_xor_b64 s[4:5], exec, s[22:23]
; %bb.176:                              ;   in Loop: Header=BB314_12 Depth=1
	v_bfe_u32 v6, v1, 16, 1
	v_add3_u32 v1, v1, v6, s25
	v_accvgpr_write_b32 a28, v1
                                        ; implicit-def: $vgpr1
; %bb.177:                              ;   in Loop: Header=BB314_12 Depth=1
	s_andn2_saveexec_b64 s[22:23], s[4:5]
; %bb.178:                              ;   in Loop: Header=BB314_12 Depth=1
	v_or_b32_e32 v6, 0x10000, v1
	v_cmp_eq_u32_sdwa s[4:5], v1, v25 src0_sel:WORD_0 src1_sel:DWORD
	s_nop 1
	v_cndmask_b32_e64 v1, v6, v1, s[4:5]
	v_accvgpr_write_b32 a28, v1
; %bb.179:                              ;   in Loop: Header=BB314_12 Depth=1
	s_or_b64 exec, exec, s[22:23]
	v_lshrrev_b16_e32 v0, 8, v0
	v_cvt_f32_fp8_sdwa v0, v0 src0_sel:BYTE_0
                                        ; implicit-def: $agpr8
	s_nop 0
	v_mul_f32_e32 v0, v23, v0
	v_and_b32_e32 v1, 0x7f800000, v0
	v_cmp_ne_u32_e64 s[4:5], s24, v1
	s_and_saveexec_b64 s[22:23], s[4:5]
	s_xor_b64 s[4:5], exec, s[22:23]
; %bb.180:                              ;   in Loop: Header=BB314_12 Depth=1
	v_bfe_u32 v1, v0, 16, 1
	v_add3_u32 v0, v0, v1, s25
	v_accvgpr_write_b32 a8, v0
                                        ; implicit-def: $vgpr0
; %bb.181:                              ;   in Loop: Header=BB314_12 Depth=1
	s_andn2_saveexec_b64 s[22:23], s[4:5]
; %bb.182:                              ;   in Loop: Header=BB314_12 Depth=1
	v_or_b32_e32 v1, 0x10000, v0
	v_cmp_eq_u32_sdwa s[4:5], v0, v25 src0_sel:WORD_0 src1_sel:DWORD
	s_nop 1
	v_cndmask_b32_e64 v0, v1, v0, s[4:5]
	v_accvgpr_write_b32 a8, v0
; %bb.183:                              ;   in Loop: Header=BB314_12 Depth=1
	s_or_b64 exec, exec, s[22:23]
	flat_load_ushort v0, v[44:45] offset:2568
                                        ; implicit-def: $agpr13
	s_waitcnt vmcnt(0) lgkmcnt(0)
	v_and_b32_sdwa v1, s17, v0 dst_sel:DWORD dst_unused:UNUSED_PAD src0_sel:DWORD src1_sel:BYTE_0
	v_cvt_f32_fp8_sdwa v1, v1 src0_sel:BYTE_0
	s_nop 0
	v_mul_f32_e32 v1, v23, v1
	v_and_b32_e32 v6, 0x7f800000, v1
	v_cmp_ne_u32_e64 s[4:5], s24, v6
	s_and_saveexec_b64 s[22:23], s[4:5]
	s_xor_b64 s[4:5], exec, s[22:23]
; %bb.184:                              ;   in Loop: Header=BB314_12 Depth=1
	v_bfe_u32 v6, v1, 16, 1
	v_add3_u32 v1, v1, v6, s25
	v_accvgpr_write_b32 a13, v1
                                        ; implicit-def: $vgpr1
; %bb.185:                              ;   in Loop: Header=BB314_12 Depth=1
	s_andn2_saveexec_b64 s[22:23], s[4:5]
; %bb.186:                              ;   in Loop: Header=BB314_12 Depth=1
	v_or_b32_e32 v6, 0x10000, v1
	v_cmp_eq_u32_sdwa s[4:5], v1, v25 src0_sel:WORD_0 src1_sel:DWORD
	s_nop 1
	v_cndmask_b32_e64 v1, v6, v1, s[4:5]
	v_accvgpr_write_b32 a13, v1
; %bb.187:                              ;   in Loop: Header=BB314_12 Depth=1
	s_or_b64 exec, exec, s[22:23]
	v_lshrrev_b16_e32 v0, 8, v0
	v_cvt_f32_fp8_sdwa v0, v0 src0_sel:BYTE_0
                                        ; implicit-def: $agpr6
	s_nop 0
	v_mul_f32_e32 v0, v23, v0
	v_and_b32_e32 v1, 0x7f800000, v0
	v_cmp_ne_u32_e64 s[4:5], s24, v1
	s_and_saveexec_b64 s[22:23], s[4:5]
	s_xor_b64 s[4:5], exec, s[22:23]
; %bb.188:                              ;   in Loop: Header=BB314_12 Depth=1
	v_bfe_u32 v1, v0, 16, 1
	v_add3_u32 v0, v0, v1, s25
	v_accvgpr_write_b32 a6, v0
                                        ; implicit-def: $vgpr0
; %bb.189:                              ;   in Loop: Header=BB314_12 Depth=1
	s_andn2_saveexec_b64 s[22:23], s[4:5]
; %bb.190:                              ;   in Loop: Header=BB314_12 Depth=1
	v_or_b32_e32 v1, 0x10000, v0
	v_cmp_eq_u32_sdwa s[4:5], v0, v25 src0_sel:WORD_0 src1_sel:DWORD
	s_nop 1
	v_cndmask_b32_e64 v0, v1, v0, s[4:5]
	v_accvgpr_write_b32 a6, v0
; %bb.191:                              ;   in Loop: Header=BB314_12 Depth=1
	s_or_b64 exec, exec, s[22:23]
	flat_load_ushort v0, v[44:45] offset:2816
                                        ; implicit-def: $agpr7
	s_waitcnt vmcnt(0) lgkmcnt(0)
	v_and_b32_sdwa v1, s17, v0 dst_sel:DWORD dst_unused:UNUSED_PAD src0_sel:DWORD src1_sel:BYTE_0
	v_cvt_f32_fp8_sdwa v1, v1 src0_sel:BYTE_0
	s_nop 0
	v_mul_f32_e32 v1, v23, v1
	v_and_b32_e32 v6, 0x7f800000, v1
	v_cmp_ne_u32_e64 s[4:5], s24, v6
	s_and_saveexec_b64 s[22:23], s[4:5]
	s_xor_b64 s[4:5], exec, s[22:23]
; %bb.192:                              ;   in Loop: Header=BB314_12 Depth=1
	v_bfe_u32 v6, v1, 16, 1
	v_add3_u32 v1, v1, v6, s25
	v_accvgpr_write_b32 a7, v1
                                        ; implicit-def: $vgpr1
; %bb.193:                              ;   in Loop: Header=BB314_12 Depth=1
	s_andn2_saveexec_b64 s[22:23], s[4:5]
; %bb.194:                              ;   in Loop: Header=BB314_12 Depth=1
	v_or_b32_e32 v6, 0x10000, v1
	v_cmp_eq_u32_sdwa s[4:5], v1, v25 src0_sel:WORD_0 src1_sel:DWORD
	s_nop 1
	v_cndmask_b32_e64 v1, v6, v1, s[4:5]
	v_accvgpr_write_b32 a7, v1
; %bb.195:                              ;   in Loop: Header=BB314_12 Depth=1
	s_or_b64 exec, exec, s[22:23]
	v_lshrrev_b16_e32 v0, 8, v0
	v_cvt_f32_fp8_sdwa v0, v0 src0_sel:BYTE_0
                                        ; implicit-def: $agpr9
	s_nop 0
	v_mul_f32_e32 v0, v23, v0
	v_and_b32_e32 v1, 0x7f800000, v0
	v_cmp_ne_u32_e64 s[4:5], s24, v1
	s_and_saveexec_b64 s[22:23], s[4:5]
	s_xor_b64 s[4:5], exec, s[22:23]
; %bb.196:                              ;   in Loop: Header=BB314_12 Depth=1
	v_bfe_u32 v1, v0, 16, 1
	v_add3_u32 v0, v0, v1, s25
	v_accvgpr_write_b32 a9, v0
                                        ; implicit-def: $vgpr0
; %bb.197:                              ;   in Loop: Header=BB314_12 Depth=1
	s_andn2_saveexec_b64 s[22:23], s[4:5]
; %bb.198:                              ;   in Loop: Header=BB314_12 Depth=1
	v_or_b32_e32 v1, 0x10000, v0
	v_cmp_eq_u32_sdwa s[4:5], v0, v25 src0_sel:WORD_0 src1_sel:DWORD
	s_nop 1
	v_cndmask_b32_e64 v0, v1, v0, s[4:5]
	v_accvgpr_write_b32 a9, v0
; %bb.199:                              ;   in Loop: Header=BB314_12 Depth=1
	s_or_b64 exec, exec, s[22:23]
	flat_load_ushort v1, v[44:45] offset:2824
                                        ; implicit-def: $agpr11
	s_waitcnt vmcnt(0) lgkmcnt(0)
	v_and_b32_sdwa v0, s17, v1 dst_sel:DWORD dst_unused:UNUSED_PAD src0_sel:DWORD src1_sel:BYTE_0
	v_cvt_f32_fp8_sdwa v0, v0 src0_sel:BYTE_0
	s_nop 0
	v_mul_f32_e32 v6, v23, v0
	v_and_b32_e32 v0, 0x7f800000, v6
	v_cmp_ne_u32_e64 s[4:5], s24, v0
	s_and_saveexec_b64 s[22:23], s[4:5]
	s_xor_b64 s[4:5], exec, s[22:23]
; %bb.200:                              ;   in Loop: Header=BB314_12 Depth=1
	v_bfe_u32 v0, v6, 16, 1
	v_add3_u32 v0, v6, v0, s25
	v_accvgpr_write_b32 a11, v0
                                        ; implicit-def: $vgpr6
; %bb.201:                              ;   in Loop: Header=BB314_12 Depth=1
	s_andn2_saveexec_b64 s[22:23], s[4:5]
; %bb.202:                              ;   in Loop: Header=BB314_12 Depth=1
	v_or_b32_e32 v0, 0x10000, v6
	v_cmp_eq_u32_sdwa s[4:5], v6, v25 src0_sel:WORD_0 src1_sel:DWORD
	s_nop 1
	v_cndmask_b32_e64 v0, v0, v6, s[4:5]
	v_accvgpr_write_b32 a11, v0
; %bb.203:                              ;   in Loop: Header=BB314_12 Depth=1
	s_or_b64 exec, exec, s[22:23]
	v_lshrrev_b16_e32 v1, 8, v1
	v_cvt_f32_fp8_sdwa v1, v1 src0_sel:BYTE_0
                                        ; implicit-def: $agpr26
	s_nop 0
	v_mul_f32_e32 v6, v23, v1
	v_and_b32_e32 v1, 0x7f800000, v6
	v_cmp_ne_u32_e64 s[4:5], s24, v1
	s_and_saveexec_b64 s[22:23], s[4:5]
	s_xor_b64 s[4:5], exec, s[22:23]
; %bb.204:                              ;   in Loop: Header=BB314_12 Depth=1
	v_bfe_u32 v1, v6, 16, 1
	v_add3_u32 v0, v6, v1, s25
	v_accvgpr_write_b32 a26, v0
                                        ; implicit-def: $vgpr6
; %bb.205:                              ;   in Loop: Header=BB314_12 Depth=1
	s_andn2_saveexec_b64 s[22:23], s[4:5]
; %bb.206:                              ;   in Loop: Header=BB314_12 Depth=1
	v_or_b32_e32 v1, 0x10000, v6
	v_cmp_eq_u32_sdwa s[4:5], v6, v25 src0_sel:WORD_0 src1_sel:DWORD
	s_nop 1
	v_cndmask_b32_e64 v0, v1, v6, s[4:5]
	v_accvgpr_write_b32 a26, v0
; %bb.207:                              ;   in Loop: Header=BB314_12 Depth=1
	s_or_b64 exec, exec, s[22:23]
	flat_load_ushort v6, v[44:45] offset:3072
                                        ; implicit-def: $agpr27
	s_waitcnt vmcnt(0) lgkmcnt(0)
	v_and_b32_sdwa v7, s17, v6 dst_sel:DWORD dst_unused:UNUSED_PAD src0_sel:DWORD src1_sel:BYTE_0
	v_cvt_f32_fp8_sdwa v7, v7 src0_sel:BYTE_0
	s_nop 0
	v_mul_f32_e32 v7, v23, v7
	v_and_b32_e32 v10, 0x7f800000, v7
	v_cmp_ne_u32_e64 s[4:5], s24, v10
	s_and_saveexec_b64 s[22:23], s[4:5]
	s_xor_b64 s[4:5], exec, s[22:23]
; %bb.208:                              ;   in Loop: Header=BB314_12 Depth=1
	v_bfe_u32 v10, v7, 16, 1
	v_add3_u32 v0, v7, v10, s25
	v_accvgpr_write_b32 a27, v0
                                        ; implicit-def: $vgpr7
; %bb.209:                              ;   in Loop: Header=BB314_12 Depth=1
	s_andn2_saveexec_b64 s[22:23], s[4:5]
; %bb.210:                              ;   in Loop: Header=BB314_12 Depth=1
	v_or_b32_e32 v10, 0x10000, v7
	v_cmp_eq_u32_sdwa s[4:5], v7, v25 src0_sel:WORD_0 src1_sel:DWORD
	s_nop 1
	v_cndmask_b32_e64 v0, v10, v7, s[4:5]
	v_accvgpr_write_b32 a27, v0
; %bb.211:                              ;   in Loop: Header=BB314_12 Depth=1
	s_or_b64 exec, exec, s[22:23]
	v_lshrrev_b16_e32 v6, 8, v6
	v_cvt_f32_fp8_sdwa v6, v6 src0_sel:BYTE_0
                                        ; implicit-def: $agpr30
	s_nop 0
	v_mul_f32_e32 v6, v23, v6
	v_and_b32_e32 v7, 0x7f800000, v6
	v_cmp_ne_u32_e64 s[4:5], s24, v7
	s_and_saveexec_b64 s[22:23], s[4:5]
	s_xor_b64 s[4:5], exec, s[22:23]
; %bb.212:                              ;   in Loop: Header=BB314_12 Depth=1
	v_bfe_u32 v7, v6, 16, 1
	v_add3_u32 v0, v6, v7, s25
	v_accvgpr_write_b32 a30, v0
                                        ; implicit-def: $vgpr6
; %bb.213:                              ;   in Loop: Header=BB314_12 Depth=1
	s_andn2_saveexec_b64 s[22:23], s[4:5]
; %bb.214:                              ;   in Loop: Header=BB314_12 Depth=1
	v_or_b32_e32 v7, 0x10000, v6
	v_cmp_eq_u32_sdwa s[4:5], v6, v25 src0_sel:WORD_0 src1_sel:DWORD
	s_nop 1
	v_cndmask_b32_e64 v0, v7, v6, s[4:5]
	v_accvgpr_write_b32 a30, v0
; %bb.215:                              ;   in Loop: Header=BB314_12 Depth=1
	s_or_b64 exec, exec, s[22:23]
	flat_load_ushort v6, v[44:45] offset:3080
                                        ; implicit-def: $agpr32
	s_waitcnt vmcnt(0) lgkmcnt(0)
	v_and_b32_sdwa v7, s17, v6 dst_sel:DWORD dst_unused:UNUSED_PAD src0_sel:DWORD src1_sel:BYTE_0
	v_cvt_f32_fp8_sdwa v7, v7 src0_sel:BYTE_0
	s_nop 0
	v_mul_f32_e32 v7, v23, v7
	v_and_b32_e32 v10, 0x7f800000, v7
	v_cmp_ne_u32_e64 s[4:5], s24, v10
	s_and_saveexec_b64 s[22:23], s[4:5]
	s_xor_b64 s[4:5], exec, s[22:23]
; %bb.216:                              ;   in Loop: Header=BB314_12 Depth=1
	v_bfe_u32 v10, v7, 16, 1
	v_add3_u32 v0, v7, v10, s25
	v_accvgpr_write_b32 a32, v0
                                        ; implicit-def: $vgpr7
; %bb.217:                              ;   in Loop: Header=BB314_12 Depth=1
	s_andn2_saveexec_b64 s[22:23], s[4:5]
; %bb.218:                              ;   in Loop: Header=BB314_12 Depth=1
	v_or_b32_e32 v10, 0x10000, v7
	v_cmp_eq_u32_sdwa s[4:5], v7, v25 src0_sel:WORD_0 src1_sel:DWORD
	s_nop 1
	v_cndmask_b32_e64 v0, v10, v7, s[4:5]
	v_accvgpr_write_b32 a32, v0
; %bb.219:                              ;   in Loop: Header=BB314_12 Depth=1
	s_or_b64 exec, exec, s[22:23]
	v_lshrrev_b16_e32 v6, 8, v6
	v_cvt_f32_fp8_sdwa v6, v6 src0_sel:BYTE_0
                                        ; implicit-def: $agpr33
	s_nop 0
	v_mul_f32_e32 v6, v23, v6
	v_and_b32_e32 v7, 0x7f800000, v6
	v_cmp_ne_u32_e64 s[4:5], s24, v7
	s_and_saveexec_b64 s[22:23], s[4:5]
	s_xor_b64 s[4:5], exec, s[22:23]
; %bb.220:                              ;   in Loop: Header=BB314_12 Depth=1
	v_bfe_u32 v7, v6, 16, 1
	v_add3_u32 v0, v6, v7, s25
	v_accvgpr_write_b32 a33, v0
                                        ; implicit-def: $vgpr6
; %bb.221:                              ;   in Loop: Header=BB314_12 Depth=1
	s_andn2_saveexec_b64 s[22:23], s[4:5]
; %bb.222:                              ;   in Loop: Header=BB314_12 Depth=1
	v_or_b32_e32 v7, 0x10000, v6
	v_cmp_eq_u32_sdwa s[4:5], v6, v25 src0_sel:WORD_0 src1_sel:DWORD
	s_nop 1
	v_cndmask_b32_e64 v0, v7, v6, s[4:5]
	v_accvgpr_write_b32 a33, v0
; %bb.223:                              ;   in Loop: Header=BB314_12 Depth=1
	s_or_b64 exec, exec, s[22:23]
	flat_load_ushort v6, v[44:45] offset:3328
                                        ; implicit-def: $agpr10
	s_waitcnt vmcnt(0) lgkmcnt(0)
	v_and_b32_sdwa v7, s17, v6 dst_sel:DWORD dst_unused:UNUSED_PAD src0_sel:DWORD src1_sel:BYTE_0
	v_cvt_f32_fp8_sdwa v7, v7 src0_sel:BYTE_0
	s_nop 0
	v_mul_f32_e32 v7, v23, v7
	v_and_b32_e32 v10, 0x7f800000, v7
	v_cmp_ne_u32_e64 s[4:5], s24, v10
	s_and_saveexec_b64 s[22:23], s[4:5]
	s_xor_b64 s[4:5], exec, s[22:23]
; %bb.224:                              ;   in Loop: Header=BB314_12 Depth=1
	v_bfe_u32 v10, v7, 16, 1
	v_add3_u32 v0, v7, v10, s25
	v_accvgpr_write_b32 a10, v0
                                        ; implicit-def: $vgpr7
; %bb.225:                              ;   in Loop: Header=BB314_12 Depth=1
	s_andn2_saveexec_b64 s[22:23], s[4:5]
; %bb.226:                              ;   in Loop: Header=BB314_12 Depth=1
	v_or_b32_e32 v10, 0x10000, v7
	v_cmp_eq_u32_sdwa s[4:5], v7, v25 src0_sel:WORD_0 src1_sel:DWORD
	s_nop 1
	v_cndmask_b32_e64 v0, v10, v7, s[4:5]
	v_accvgpr_write_b32 a10, v0
; %bb.227:                              ;   in Loop: Header=BB314_12 Depth=1
	s_or_b64 exec, exec, s[22:23]
	v_lshrrev_b16_e32 v6, 8, v6
	v_cvt_f32_fp8_sdwa v6, v6 src0_sel:BYTE_0
                                        ; implicit-def: $agpr3
	s_nop 0
	v_mul_f32_e32 v6, v23, v6
	v_and_b32_e32 v7, 0x7f800000, v6
	v_cmp_ne_u32_e64 s[4:5], s24, v7
	s_and_saveexec_b64 s[22:23], s[4:5]
	s_xor_b64 s[4:5], exec, s[22:23]
; %bb.228:                              ;   in Loop: Header=BB314_12 Depth=1
	v_bfe_u32 v7, v6, 16, 1
	v_add3_u32 v0, v6, v7, s25
	v_accvgpr_write_b32 a3, v0
                                        ; implicit-def: $vgpr6
; %bb.229:                              ;   in Loop: Header=BB314_12 Depth=1
	s_andn2_saveexec_b64 s[22:23], s[4:5]
; %bb.230:                              ;   in Loop: Header=BB314_12 Depth=1
	v_or_b32_e32 v7, 0x10000, v6
	v_cmp_eq_u32_sdwa s[4:5], v6, v25 src0_sel:WORD_0 src1_sel:DWORD
	s_nop 1
	v_cndmask_b32_e64 v0, v7, v6, s[4:5]
	v_accvgpr_write_b32 a3, v0
; %bb.231:                              ;   in Loop: Header=BB314_12 Depth=1
	s_or_b64 exec, exec, s[22:23]
	flat_load_ushort v6, v[44:45] offset:3336
                                        ; implicit-def: $agpr36
	s_waitcnt vmcnt(0) lgkmcnt(0)
	v_and_b32_sdwa v7, s17, v6 dst_sel:DWORD dst_unused:UNUSED_PAD src0_sel:DWORD src1_sel:BYTE_0
	v_cvt_f32_fp8_sdwa v7, v7 src0_sel:BYTE_0
	s_nop 0
	v_mul_f32_e32 v10, v23, v7
	v_and_b32_e32 v7, 0x7f800000, v10
	v_cmp_ne_u32_e64 s[4:5], s24, v7
	s_and_saveexec_b64 s[22:23], s[4:5]
	s_xor_b64 s[4:5], exec, s[22:23]
; %bb.232:                              ;   in Loop: Header=BB314_12 Depth=1
	v_bfe_u32 v7, v10, 16, 1
	v_add3_u32 v0, v10, v7, s25
	v_accvgpr_write_b32 a36, v0
                                        ; implicit-def: $vgpr10
; %bb.233:                              ;   in Loop: Header=BB314_12 Depth=1
	s_andn2_saveexec_b64 s[22:23], s[4:5]
; %bb.234:                              ;   in Loop: Header=BB314_12 Depth=1
	v_or_b32_e32 v7, 0x10000, v10
	v_cmp_eq_u32_sdwa s[4:5], v10, v25 src0_sel:WORD_0 src1_sel:DWORD
	s_nop 1
	v_cndmask_b32_e64 v0, v7, v10, s[4:5]
	v_accvgpr_write_b32 a36, v0
; %bb.235:                              ;   in Loop: Header=BB314_12 Depth=1
	s_or_b64 exec, exec, s[22:23]
	v_lshrrev_b16_e32 v6, 8, v6
	v_cvt_f32_fp8_sdwa v6, v6 src0_sel:BYTE_0
                                        ; implicit-def: $agpr46
	s_nop 0
	v_mul_f32_e32 v10, v23, v6
	v_and_b32_e32 v6, 0x7f800000, v10
	v_cmp_ne_u32_e64 s[4:5], s24, v6
	s_and_saveexec_b64 s[22:23], s[4:5]
	s_xor_b64 s[4:5], exec, s[22:23]
; %bb.236:                              ;   in Loop: Header=BB314_12 Depth=1
	v_bfe_u32 v6, v10, 16, 1
	v_add3_u32 v0, v10, v6, s25
	v_accvgpr_write_b32 a46, v0
                                        ; implicit-def: $vgpr10
; %bb.237:                              ;   in Loop: Header=BB314_12 Depth=1
	s_andn2_saveexec_b64 s[22:23], s[4:5]
; %bb.238:                              ;   in Loop: Header=BB314_12 Depth=1
	v_or_b32_e32 v6, 0x10000, v10
	v_cmp_eq_u32_sdwa s[4:5], v10, v25 src0_sel:WORD_0 src1_sel:DWORD
	s_nop 1
	v_cndmask_b32_e64 v0, v6, v10, s[4:5]
	v_accvgpr_write_b32 a46, v0
; %bb.239:                              ;   in Loop: Header=BB314_12 Depth=1
	s_or_b64 exec, exec, s[22:23]
	flat_load_ushort v10, v[44:45] offset:3584
                                        ; implicit-def: $vgpr28
	s_waitcnt vmcnt(0) lgkmcnt(0)
	v_and_b32_sdwa v11, s17, v10 dst_sel:DWORD dst_unused:UNUSED_PAD src0_sel:DWORD src1_sel:BYTE_0
	v_cvt_f32_fp8_sdwa v11, v11 src0_sel:BYTE_0
	s_nop 0
	v_mul_f32_e32 v11, v23, v11
	v_and_b32_e32 v18, 0x7f800000, v11
	v_cmp_ne_u32_e64 s[4:5], s24, v18
	s_and_saveexec_b64 s[22:23], s[4:5]
	s_xor_b64 s[4:5], exec, s[22:23]
; %bb.240:                              ;   in Loop: Header=BB314_12 Depth=1
	v_bfe_u32 v18, v11, 16, 1
	v_add3_u32 v28, v11, v18, s25
                                        ; implicit-def: $vgpr11
; %bb.241:                              ;   in Loop: Header=BB314_12 Depth=1
	s_andn2_saveexec_b64 s[22:23], s[4:5]
; %bb.242:                              ;   in Loop: Header=BB314_12 Depth=1
	v_or_b32_e32 v18, 0x10000, v11
	v_cmp_eq_u32_sdwa s[4:5], v11, v25 src0_sel:WORD_0 src1_sel:DWORD
	s_nop 1
	v_cndmask_b32_e64 v28, v18, v11, s[4:5]
; %bb.243:                              ;   in Loop: Header=BB314_12 Depth=1
	s_or_b64 exec, exec, s[22:23]
	v_lshrrev_b16_e32 v10, 8, v10
	v_cvt_f32_fp8_sdwa v10, v10 src0_sel:BYTE_0
                                        ; implicit-def: $vgpr15
	s_nop 0
	v_mul_f32_e32 v10, v23, v10
	v_and_b32_e32 v11, 0x7f800000, v10
	v_cmp_ne_u32_e64 s[4:5], s24, v11
	s_and_saveexec_b64 s[22:23], s[4:5]
	s_xor_b64 s[4:5], exec, s[22:23]
; %bb.244:                              ;   in Loop: Header=BB314_12 Depth=1
	v_bfe_u32 v11, v10, 16, 1
	v_add3_u32 v15, v10, v11, s25
                                        ; implicit-def: $vgpr10
; %bb.245:                              ;   in Loop: Header=BB314_12 Depth=1
	s_andn2_saveexec_b64 s[22:23], s[4:5]
; %bb.246:                              ;   in Loop: Header=BB314_12 Depth=1
	v_or_b32_e32 v11, 0x10000, v10
	v_cmp_eq_u32_sdwa s[4:5], v10, v25 src0_sel:WORD_0 src1_sel:DWORD
	s_nop 1
	v_cndmask_b32_e64 v15, v11, v10, s[4:5]
; %bb.247:                              ;   in Loop: Header=BB314_12 Depth=1
	s_or_b64 exec, exec, s[22:23]
	flat_load_ushort v10, v[44:45] offset:3592
                                        ; implicit-def: $vgpr14
	s_waitcnt vmcnt(0) lgkmcnt(0)
	v_and_b32_sdwa v11, s17, v10 dst_sel:DWORD dst_unused:UNUSED_PAD src0_sel:DWORD src1_sel:BYTE_0
	v_cvt_f32_fp8_sdwa v11, v11 src0_sel:BYTE_0
	s_nop 0
	v_mul_f32_e32 v11, v23, v11
	v_and_b32_e32 v18, 0x7f800000, v11
	v_cmp_ne_u32_e64 s[4:5], s24, v18
	s_and_saveexec_b64 s[22:23], s[4:5]
	s_xor_b64 s[4:5], exec, s[22:23]
; %bb.248:                              ;   in Loop: Header=BB314_12 Depth=1
	v_bfe_u32 v18, v11, 16, 1
	v_add3_u32 v14, v11, v18, s25
                                        ; implicit-def: $vgpr11
; %bb.249:                              ;   in Loop: Header=BB314_12 Depth=1
	s_andn2_saveexec_b64 s[22:23], s[4:5]
; %bb.250:                              ;   in Loop: Header=BB314_12 Depth=1
	v_or_b32_e32 v18, 0x10000, v11
	v_cmp_eq_u32_sdwa s[4:5], v11, v25 src0_sel:WORD_0 src1_sel:DWORD
	s_nop 1
	v_cndmask_b32_e64 v14, v18, v11, s[4:5]
; %bb.251:                              ;   in Loop: Header=BB314_12 Depth=1
	s_or_b64 exec, exec, s[22:23]
	v_lshrrev_b16_e32 v10, 8, v10
	v_cvt_f32_fp8_sdwa v10, v10 src0_sel:BYTE_0
                                        ; implicit-def: $vgpr58
	s_nop 0
	v_mul_f32_e32 v10, v23, v10
	v_and_b32_e32 v11, 0x7f800000, v10
	v_cmp_ne_u32_e64 s[4:5], s24, v11
	s_and_saveexec_b64 s[22:23], s[4:5]
	s_xor_b64 s[4:5], exec, s[22:23]
; %bb.252:                              ;   in Loop: Header=BB314_12 Depth=1
	v_bfe_u32 v11, v10, 16, 1
	v_add3_u32 v58, v10, v11, s25
                                        ; implicit-def: $vgpr10
; %bb.253:                              ;   in Loop: Header=BB314_12 Depth=1
	s_andn2_saveexec_b64 s[22:23], s[4:5]
; %bb.254:                              ;   in Loop: Header=BB314_12 Depth=1
	v_or_b32_e32 v11, 0x10000, v10
	v_cmp_eq_u32_sdwa s[4:5], v10, v25 src0_sel:WORD_0 src1_sel:DWORD
	s_nop 1
	v_cndmask_b32_e64 v58, v11, v10, s[4:5]
; %bb.255:                              ;   in Loop: Header=BB314_12 Depth=1
	s_or_b64 exec, exec, s[22:23]
	flat_load_ushort v11, v[44:45] offset:3840
	s_waitcnt vmcnt(0) lgkmcnt(0)
	v_and_b32_sdwa v10, s17, v11 dst_sel:DWORD dst_unused:UNUSED_PAD src0_sel:DWORD src1_sel:BYTE_0
	v_cvt_f32_fp8_sdwa v10, v10 src0_sel:BYTE_0
	s_nop 0
	v_mul_f32_e32 v18, v23, v10
	v_and_b32_e32 v10, 0x7f800000, v18
	v_cmp_ne_u32_e64 s[4:5], s24, v10
                                        ; implicit-def: $vgpr10
	s_and_saveexec_b64 s[22:23], s[4:5]
	s_xor_b64 s[4:5], exec, s[22:23]
; %bb.256:                              ;   in Loop: Header=BB314_12 Depth=1
	v_bfe_u32 v10, v18, 16, 1
	v_add3_u32 v10, v18, v10, s25
                                        ; implicit-def: $vgpr18
; %bb.257:                              ;   in Loop: Header=BB314_12 Depth=1
	s_andn2_saveexec_b64 s[22:23], s[4:5]
; %bb.258:                              ;   in Loop: Header=BB314_12 Depth=1
	v_or_b32_e32 v10, 0x10000, v18
	v_cmp_eq_u32_sdwa s[4:5], v18, v25 src0_sel:WORD_0 src1_sel:DWORD
	s_nop 1
	v_cndmask_b32_e64 v10, v10, v18, s[4:5]
; %bb.259:                              ;   in Loop: Header=BB314_12 Depth=1
	s_or_b64 exec, exec, s[22:23]
	v_lshrrev_b16_e32 v11, 8, v11
	v_cvt_f32_fp8_sdwa v11, v11 src0_sel:BYTE_0
	s_nop 0
	v_mul_f32_e32 v18, v23, v11
	v_and_b32_e32 v11, 0x7f800000, v18
	v_cmp_ne_u32_e64 s[4:5], s24, v11
                                        ; implicit-def: $vgpr11
	s_and_saveexec_b64 s[22:23], s[4:5]
	s_xor_b64 s[4:5], exec, s[22:23]
; %bb.260:                              ;   in Loop: Header=BB314_12 Depth=1
	v_bfe_u32 v11, v18, 16, 1
	v_add3_u32 v11, v18, v11, s25
                                        ; implicit-def: $vgpr18
; %bb.261:                              ;   in Loop: Header=BB314_12 Depth=1
	s_andn2_saveexec_b64 s[22:23], s[4:5]
; %bb.262:                              ;   in Loop: Header=BB314_12 Depth=1
	v_or_b32_e32 v11, 0x10000, v18
	v_cmp_eq_u32_sdwa s[4:5], v18, v25 src0_sel:WORD_0 src1_sel:DWORD
	s_nop 1
	v_cndmask_b32_e64 v11, v11, v18, s[4:5]
; %bb.263:                              ;   in Loop: Header=BB314_12 Depth=1
	s_or_b64 exec, exec, s[22:23]
	flat_load_ushort v18, v[44:45] offset:3848
	s_waitcnt vmcnt(0) lgkmcnt(0)
	v_and_b32_sdwa v44, s17, v18 dst_sel:DWORD dst_unused:UNUSED_PAD src0_sel:DWORD src1_sel:BYTE_0
	v_cvt_f32_fp8_sdwa v44, v44 src0_sel:BYTE_0
	s_nop 0
	v_mul_f32_e32 v45, v23, v44
	v_and_b32_e32 v44, 0x7f800000, v45
	v_cmp_ne_u32_e64 s[4:5], s24, v44
                                        ; implicit-def: $vgpr44
	s_and_saveexec_b64 s[22:23], s[4:5]
	s_xor_b64 s[4:5], exec, s[22:23]
; %bb.264:                              ;   in Loop: Header=BB314_12 Depth=1
	v_bfe_u32 v44, v45, 16, 1
	v_add3_u32 v44, v45, v44, s25
                                        ; implicit-def: $vgpr45
; %bb.265:                              ;   in Loop: Header=BB314_12 Depth=1
	s_andn2_saveexec_b64 s[22:23], s[4:5]
; %bb.266:                              ;   in Loop: Header=BB314_12 Depth=1
	v_or_b32_e32 v44, 0x10000, v45
	v_cmp_eq_u32_sdwa s[4:5], v45, v25 src0_sel:WORD_0 src1_sel:DWORD
	s_nop 1
	v_cndmask_b32_e64 v44, v44, v45, s[4:5]
; %bb.267:                              ;   in Loop: Header=BB314_12 Depth=1
	s_or_b64 exec, exec, s[22:23]
	v_lshrrev_b16_e32 v18, 8, v18
	v_cvt_f32_fp8_sdwa v18, v18 src0_sel:BYTE_0
	s_nop 0
	v_mul_f32_e32 v18, v23, v18
	v_and_b32_e32 v23, 0x7f800000, v18
	v_cmp_ne_u32_e64 s[4:5], s24, v23
                                        ; implicit-def: $vgpr23
	s_and_saveexec_b64 s[22:23], s[4:5]
	s_xor_b64 s[4:5], exec, s[22:23]
; %bb.268:                              ;   in Loop: Header=BB314_12 Depth=1
	v_bfe_u32 v23, v18, 16, 1
	v_add3_u32 v23, v18, v23, s25
                                        ; implicit-def: $vgpr18
; %bb.269:                              ;   in Loop: Header=BB314_12 Depth=1
	s_or_saveexec_b64 s[22:23], s[4:5]
	v_accvgpr_write_b32 a34, v16
	s_xor_b64 exec, exec, s[22:23]
; %bb.270:                              ;   in Loop: Header=BB314_12 Depth=1
	v_or_b32_e32 v23, 0x10000, v18
	v_cmp_eq_u32_sdwa s[4:5], v18, v25 src0_sel:WORD_0 src1_sel:DWORD
	s_nop 1
	v_cndmask_b32_e64 v23, v23, v18, s[4:5]
; %bb.271:                              ;   in Loop: Header=BB314_12 Depth=1
	s_or_b64 exec, exec, s[22:23]
	v_lshlrev_b32_e32 v17, 16, v4
	v_lshlrev_b32_e32 v52, 16, v5
	v_and_b32_e32 v60, 0xffff0000, v4
	v_and_b32_e32 v26, 0xffff0000, v5
	v_lshlrev_b32_e32 v7, 16, v54
	v_lshlrev_b32_e32 v6, 16, v55
	;; [unrolled: 1-line block ×4, first 2 shown]
	v_and_b32_e32 v4, 0xffff0000, v54
	v_and_b32_e32 v5, 0xffff0000, v55
	;; [unrolled: 1-line block ×4, first 2 shown]
	v_accvgpr_read_b32 v57, a45
	v_accvgpr_read_b32 v56, a44
	;; [unrolled: 1-line block ×4, first 2 shown]
	v_lshlrev_b32_e32 v40, 16, v36
	v_lshlrev_b32_e32 v46, 16, v37
	;; [unrolled: 1-line block ×3, first 2 shown]
	v_and_b32_e32 v27, 0xffff0000, v36
	v_and_b32_e32 v21, 0xffff0000, v37
	;; [unrolled: 1-line block ×3, first 2 shown]
	v_lshlrev_b32_e32 v0, 16, v2
	v_and_b32_e32 v53, 0xffff0000, v2
	v_lshlrev_b32_e32 v38, 16, v54
	v_lshlrev_b32_e32 v35, 16, v55
	;; [unrolled: 1-line block ×4, first 2 shown]
	v_and_b32_e32 v37, 0xffff0000, v54
	v_and_b32_e32 v36, 0xffff0000, v55
	;; [unrolled: 1-line block ×4, first 2 shown]
	v_accvgpr_read_b32 v57, a41
	v_accvgpr_read_b32 v55, a39
	v_accvgpr_write_b32 a42, v2
	v_accvgpr_read_b32 v56, a40
	v_lshlrev_b32_e32 v2, 16, v55
	v_accvgpr_read_b32 v54, a38
	v_accvgpr_write_b32 a41, v2
	v_lshlrev_b32_e32 v2, 16, v56
	v_accvgpr_write_b32 a39, v2
	v_lshlrev_b32_e32 v2, 16, v57
	v_accvgpr_write_b32 a38, v2
	v_and_b32_e32 v2, 0xffff0000, v55
	v_accvgpr_write_b32 a43, v2
	v_and_b32_e32 v2, 0xffff0000, v56
	v_accvgpr_write_b32 a40, v2
	v_accvgpr_read_b32 v2, a47
	v_lshlrev_b32_e32 v9, 16, v49
	v_and_b32_e32 v2, 0xffff0000, v2
	v_lshlrev_b32_e32 v22, 16, v48
	v_lshlrev_b32_e32 v1, 16, v3
	v_and_b32_e32 v63, 0xffff0000, v3
	v_mul_f32_e32 v2, v9, v2
	v_and_b32_e32 v3, 0xffff0000, v42
	v_fmac_f32_e32 v2, v22, v3
	v_accvgpr_read_b32 v3, a48
	v_and_b32_e32 v49, 0xffff0000, v49
	v_and_b32_e32 v3, 0xffff0000, v3
	;; [unrolled: 1-line block ×3, first 2 shown]
	v_mul_f32_e32 v3, v49, v3
	v_and_b32_e32 v9, 0xffff0000, v30
	v_fmac_f32_e32 v3, v48, v9
	v_accvgpr_read_b32 v9, a49
	v_lshlrev_b32_e32 v16, 16, v50
	v_and_b32_e32 v9, 0xffff0000, v9
	v_fmac_f32_e32 v2, v16, v9
	v_accvgpr_read_b32 v9, a50
	v_and_b32_e32 v50, 0xffff0000, v50
	v_and_b32_e32 v9, 0xffff0000, v9
	v_fmac_f32_e32 v3, v50, v9
	v_accvgpr_read_b32 v9, a51
	v_lshlrev_b32_e32 v8, 16, v51
	v_and_b32_e32 v9, 0xffff0000, v9
	v_fmac_f32_e32 v2, v8, v9
	v_accvgpr_read_b32 v8, a52
	v_and_b32_e32 v51, 0xffff0000, v51
	v_and_b32_e32 v8, 0xffff0000, v8
	v_fmac_f32_e32 v3, v51, v8
	v_accvgpr_read_b32 v8, a53
	v_and_b32_e32 v8, 0xffff0000, v8
	v_fmac_f32_e32 v2, v40, v8
	v_accvgpr_read_b32 v8, a54
	;; [unrolled: 3-line block ×7, first 2 shown]
	v_lshlrev_b32_e32 v41, 16, v39
	v_and_b32_e32 v8, 0xffff0000, v8
	v_fmac_f32_e32 v2, v41, v8
	v_accvgpr_read_b32 v8, a60
	v_and_b32_e32 v39, 0xffff0000, v39
	v_and_b32_e32 v8, 0xffff0000, v8
	v_fmac_f32_e32 v3, v39, v8
	v_accvgpr_read_b32 v8, a61
	v_and_b32_e32 v8, 0xffff0000, v8
	v_fmac_f32_e32 v2, v0, v8
	v_accvgpr_read_b32 v0, a62
	;; [unrolled: 3-line block ×11, first 2 shown]
	scratch_load_dword v42, off, s32 offset:244 ; 4-byte Folded Reload
	v_and_b32_e32 v0, 0xffff0000, v0
	v_fmac_f32_e32 v2, v6, v0
	v_accvgpr_read_b32 v0, a14
	v_and_b32_e32 v0, 0xffff0000, v0
	v_fmac_f32_e32 v3, v5, v0
	scratch_load_dword v5, off, s32 offset:268 ; 4-byte Folded Reload
	v_accvgpr_read_b32 v0, a21
	v_and_b32_e32 v0, 0xffff0000, v0
	v_fmac_f32_e32 v2, v47, v0
	v_accvgpr_read_b32 v0, a46
	v_and_b32_e32 v6, 0xffff0000, v0
	v_accvgpr_read_b32 v0, a36
	v_and_b32_e32 v7, 0xffff0000, v0
	;; [unrolled: 2-line block ×4, first 2 shown]
	v_accvgpr_read_b32 v0, a33
	v_lshlrev_b32_e32 v13, 16, v54
	v_and_b32_e32 v12, 0xffff0000, v54
	v_and_b32_e32 v54, 0xffff0000, v0
	v_accvgpr_read_b32 v0, a32
	v_and_b32_e32 v53, 0xffff0000, v0
	v_accvgpr_read_b32 v0, a30
	;; [unrolled: 2-line block ×5, first 2 shown]
	v_and_b32_e32 v30, 0xffff0000, v44
	v_and_b32_e32 v44, 0xffff0000, v0
	v_accvgpr_read_b32 v0, a9
	v_and_b32_e32 v20, 0xffff0000, v0
	v_accvgpr_read_b32 v0, a7
	;; [unrolled: 2-line block ×14, first 2 shown]
	v_and_b32_e32 v39, 0xffff0000, v58
	v_and_b32_e32 v58, 0xffff0000, v0
	v_accvgpr_read_b32 v0, a17
	v_and_b32_e32 v60, 0xffff0000, v0
	v_accvgpr_read_b32 v0, a16
	;; [unrolled: 2-line block ×3, first 2 shown]
	v_and_b32_e32 v0, 0xffff0000, v0
	v_fmac_f32_e32 v3, v18, v0
	v_fmac_f32_e32 v2, v45, v63
	;; [unrolled: 1-line block ×6, first 2 shown]
	v_and_b32_e32 v48, 0xffff0000, v14
	v_fmac_f32_e32 v3, v36, v46
	v_fmac_f32_e32 v2, v29, v22
	v_accvgpr_read_b32 v14, a42
	v_fmac_f32_e32 v3, v34, v19
	v_fmac_f32_e32 v2, v14, v16
	;; [unrolled: 1-line block ×4, first 2 shown]
	v_accvgpr_read_b32 v4, a41
	v_accvgpr_read_b32 v16, a34
	v_fmac_f32_e32 v3, v12, v40
	v_fmac_f32_e32 v2, v4, v41
	v_accvgpr_read_b32 v4, a43
	ds_read2_b32 v[12:13], v16 offset0:25 offset1:26
	v_fmac_f32_e32 v3, v4, v27
	v_accvgpr_read_b32 v4, a39
	v_fmac_f32_e32 v2, v4, v21
	v_accvgpr_read_b32 v4, a40
	v_and_b32_e32 v57, 0xffff0000, v57
	v_fmac_f32_e32 v3, v4, v20
	v_accvgpr_read_b32 v4, a38
	v_and_b32_e32 v49, 0xffff0000, v15
	v_and_b32_e32 v50, 0xffff0000, v28
	s_waitcnt vmcnt(1)
	v_lshlrev_b32_e32 v28, 16, v42
	v_and_b32_e32 v18, 0xffff0000, v42
	v_fmac_f32_e32 v2, v4, v44
	v_fmac_f32_e32 v3, v57, v55
	ds_read2_b32 v[14:15], v16 offset0:27 offset1:28
	ds_read2_b32 v[20:21], v16 offset0:29 offset1:30
	ds_read_b32 v4, v16 offset:124
	v_fmac_f32_e32 v2, v28, v17
	v_fmac_f32_e32 v3, v18, v52
	s_waitcnt lgkmcnt(3)
	v_lshlrev_b32_e32 v9, 16, v12
	v_and_b32_e32 v12, 0xffff0000, v12
	v_fmac_f32_e32 v2, v9, v53
	v_fmac_f32_e32 v3, v12, v54
	v_lshlrev_b32_e32 v9, 16, v13
	v_and_b32_e32 v12, 0xffff0000, v13
	v_fmac_f32_e32 v2, v9, v51
	v_fmac_f32_e32 v3, v12, v26
	s_waitcnt lgkmcnt(2)
	v_lshlrev_b32_e32 v9, 16, v14
	v_and_b32_e32 v12, 0xffff0000, v14
	s_waitcnt vmcnt(0)
	v_and_b32_e32 v0, 64, v5
	v_fmac_f32_e32 v2, v9, v7
	v_fmac_f32_e32 v3, v12, v6
	v_lshlrev_b32_e32 v6, 16, v15
	v_and_b32_e32 v7, 0xffff0000, v15
	v_add_u32_e32 v0, 64, v0
	v_xor_b32_e32 v1, 2, v5
	v_fmac_f32_e32 v2, v6, v50
	v_fmac_f32_e32 v3, v7, v49
	s_waitcnt lgkmcnt(1)
	v_lshlrev_b32_e32 v6, 16, v20
	v_and_b32_e32 v7, 0xffff0000, v20
	v_and_b32_e32 v11, 0xffff0000, v11
	;; [unrolled: 1-line block ×3, first 2 shown]
	v_cmp_lt_i32_e64 s[4:5], v1, v0
	v_fmac_f32_e32 v2, v6, v48
	v_fmac_f32_e32 v3, v7, v39
	v_lshlrev_b32_e32 v6, 16, v21
	v_and_b32_e32 v7, 0xffff0000, v21
	v_cndmask_b32_e64 v8, v5, v1, s[4:5]
	v_and_b32_e32 v1, 0xffff0000, v23
	v_fmac_f32_e32 v2, v6, v10
	v_fmac_f32_e32 v3, v7, v11
	s_waitcnt lgkmcnt(0)
	v_lshlrev_b32_e32 v6, 16, v4
	v_and_b32_e32 v4, 0xffff0000, v4
	v_fmac_f32_e32 v2, v6, v30
	v_fmac_f32_e32 v3, v4, v1
	v_lshlrev_b32_e32 v8, 2, v8
	v_add_f32_e32 v1, v2, v3
	ds_bpermute_b32 v2, v8, v1
	v_xor_b32_e32 v3, 1, v5
	v_cmp_lt_i32_e64 s[4:5], v3, v0
	s_nop 1
	v_cndmask_b32_e64 v0, v5, v3, s[4:5]
	v_lshlrev_b32_e32 v3, 2, v0
	s_waitcnt lgkmcnt(0)
	v_add_f32_e32 v0, v1, v2
	ds_bpermute_b32 v1, v3, v0
	s_and_saveexec_b64 s[22:23], vcc
	s_cbranch_execz .LBB314_10
; %bb.272:                              ;   in Loop: Header=BB314_12 Depth=1
	scratch_load_dword v2, off, s32 offset:292 ; 4-byte Folded Reload
	scratch_load_dword v4, off, s32 offset:280 ; 4-byte Folded Reload
	s_waitcnt lgkmcnt(0)
	v_add_f32_e32 v0, v0, v1
	scratch_load_dword v1, off, s32 offset:284 ; 4-byte Folded Reload
	scratch_load_dword v3, off, s32 offset:296 ; 4-byte Folded Reload
	s_load_dword s4, s[12:13], 0x0
	s_waitcnt vmcnt(3)
	v_add_u32_e32 v2, v2, v43
	v_cvt_f32_i32_e32 v2, v2
	s_waitcnt vmcnt(2)
	v_mul_f32_e32 v2, v4, v2
	v_cndmask_b32_e64 v2, 0, v2, s[2:3]
	s_waitcnt vmcnt(1)
	v_fmac_f32_e32 v2, v0, v1
	scratch_load_dword v1, off, s32 offset:248 ; 4-byte Folded Reload
	scratch_load_dword v0, off, s32 offset:192 ; 4-byte Folded Reload
	s_waitcnt vmcnt(2)
	v_add_u32_e32 v3, v3, v43
	s_waitcnt lgkmcnt(0)
	v_add_u32_e32 v4, s4, v61
	s_waitcnt vmcnt(0)
	v_cmp_lt_i32_e64 s[4:5], v3, v0
	s_nop 1
	v_cndmask_b32_e64 v0, 0, v2, s[4:5]
	ds_write_b32 v4, v0
	v_max_f32_e32 v0, v1, v1
	v_max_f32_e32 v0, v0, v2
	v_cndmask_b32_e64 v1, v1, v0, s[4:5]
	scratch_store_dword off, v1, s32 offset:248 ; 4-byte Folded Spill
	s_branch .LBB314_10
.LBB314_273:
	s_or_b64 exec, exec, s[20:21]
	scratch_load_dword v16, off, s32 offset:288 ; 4-byte Folded Reload
	scratch_load_dword v26, off, s32 offset:352 ; 4-byte Folded Reload
	scratch_load_dwordx2 v[22:23], off, s32 offset:344 ; 8-byte Folded Reload
	scratch_load_dwordx2 v[28:29], off, s32 offset:336 ; 8-byte Folded Reload
	;; [unrolled: 1-line block ×3, first 2 shown]
	scratch_load_dword v27, off, s32 offset:324 ; 4-byte Folded Reload
	scratch_load_dword v7, off, s32 offset:248 ; 4-byte Folded Reload
	v_mbcnt_lo_u32_b32 v6, -1, 0
.LBB314_274:
	s_or_b64 exec, exec, s[8:9]
	s_waitcnt lgkmcnt(0)
	v_mbcnt_hi_u32_b32 v1, -1, v6
	v_and_b32_e32 v0, 64, v1
	v_add_u32_e32 v2, 64, v0
	v_xor_b32_e32 v0, 32, v1
	v_cmp_lt_i32_e32 vcc, v0, v2
	v_xor_b32_e32 v5, 16, v1
	s_waitcnt vmcnt(0)
	v_max_f32_e32 v4, v7, v7
	v_cndmask_b32_e32 v0, v1, v0, vcc
	v_lshlrev_b32_e32 v3, 2, v0
	ds_bpermute_b32 v0, v3, v7
	v_cmp_lt_i32_e32 vcc, v5, v2
	v_xor_b32_e32 v6, 8, v1
	v_and_b32_e32 v47, 63, v16
	s_lshr_b32 s19, s19, 16
	s_waitcnt lgkmcnt(0)
	v_max_f32_e32 v0, v0, v0
	v_max_f32_e32 v0, v4, v0
	v_cndmask_b32_e32 v4, v1, v5, vcc
	v_lshlrev_b32_e32 v4, 2, v4
	ds_bpermute_b32 v5, v4, v0
	v_cmp_lt_i32_e32 vcc, v6, v2
	s_waitcnt lgkmcnt(0)
	v_max_f32_e32 v5, v5, v5
	v_max_f32_e32 v0, v0, v5
	v_cndmask_b32_e32 v5, v1, v6, vcc
	v_lshlrev_b32_e32 v7, 2, v5
	ds_bpermute_b32 v5, v7, v0
	v_xor_b32_e32 v6, 4, v1
	v_cmp_lt_i32_e32 vcc, v6, v2
	s_waitcnt lgkmcnt(0)
	v_max_f32_e32 v5, v5, v5
	v_max_f32_e32 v0, v0, v5
	v_cndmask_b32_e32 v5, v1, v6, vcc
	v_lshlrev_b32_e32 v8, 2, v5
	ds_bpermute_b32 v6, v8, v0
	v_accvgpr_read_b32 v5, a12
	v_cmp_eq_u32_e32 vcc, 0, v47
	v_lshlrev_b32_e32 v5, 2, v5
	s_and_saveexec_b64 s[2:3], vcc
	s_cbranch_execz .LBB314_276
; %bb.275:
	s_waitcnt lgkmcnt(0)
	v_max_f32_e32 v6, v6, v6
	v_max_f32_e32 v0, v0, v0
	;; [unrolled: 1-line block ×3, first 2 shown]
	ds_write_b32 v5, v0 offset:512
.LBB314_276:
	s_or_b64 exec, exec, s[2:3]
	v_cmp_gt_u32_e64 s[2:3], 2, v47
	v_mov_b32_e32 v0, 0xff7fffff
	s_waitcnt lgkmcnt(0)
	v_lshlrev_b32_e32 v6, 2, v47
	s_barrier
	s_and_saveexec_b64 s[4:5], s[2:3]
	s_cbranch_execz .LBB314_278
; %bb.277:
	ds_read_b32 v0, v6 offset:512
.LBB314_278:
	s_or_b64 exec, exec, s[4:5]
	v_xor_b32_e32 v9, 1, v1
	v_cmp_lt_i32_e64 s[4:5], v9, v2
	v_lshlrev_b32_e32 v10, 2, v1
	scratch_load_dword v11, off, s32 offset:192 ; 4-byte Folded Reload
	v_cndmask_b32_e64 v9, v1, v9, s[4:5]
	v_lshlrev_b32_e32 v17, 2, v9
	s_waitcnt lgkmcnt(0)
	ds_bpermute_b32 v9, v17, v0
	v_max_f32_e32 v0, v0, v0
	s_waitcnt lgkmcnt(0)
	v_max_f32_e32 v9, v9, v9
	v_max_f32_e32 v0, v0, v9
	v_and_b32_e32 v9, 0x100, v10
	ds_bpermute_b32 v10, v9, v0
	scratch_load_dword v0, off, s32 offset:196 ; 4-byte Folded Reload
	s_waitcnt vmcnt(0)
	v_lshlrev_b32_e32 v0, 4, v0
	v_min_i32_e32 v0, v0, v11
	v_cmp_lt_i32_e64 s[4:5], v16, v0
	v_mov_b32_e32 v11, 0
	s_and_saveexec_b64 s[8:9], s[4:5]
	s_cbranch_execz .LBB314_282
; %bb.279:
	s_ashr_i32 s17, s16, 31
	s_lshl_b64 s[6:7], s[16:17], 2
	s_getpc_b64 s[12:13]
	s_add_u32 s12, s12, llvm.amdgcn.dynlds.offset.table@rel32@lo+4
	s_addc_u32 s13, s13, llvm.amdgcn.dynlds.offset.table@rel32@hi+12
	s_add_u32 s6, s6, s12
	s_addc_u32 s7, s7, s13
	s_load_dword s6, s[6:7], 0x0
	s_mov_b64 s[12:13], 0
	v_mov_b32_e32 v11, 0
	v_mov_b32_e32 v13, v16
	s_waitcnt lgkmcnt(0)
	v_lshl_add_u32 v12, v16, 2, s6
.LBB314_280:                            ; =>This Inner Loop Header: Depth=1
	ds_read_b32 v14, v12
	v_add_u32_e32 v13, 0x80, v13
	v_cmp_ge_i32_e64 s[6:7], v13, v0
	s_or_b64 s[12:13], s[6:7], s[12:13]
	s_waitcnt lgkmcnt(0)
	v_sub_f32_e32 v14, v14, v10
	v_mul_f32_e32 v14, 0x3fb8aa3b, v14
	v_exp_f32_e32 v14, v14
	ds_write_b32 v12, v14
	v_add_f32_e32 v11, v11, v14
	v_add_u32_e32 v12, 0x200, v12
	s_andn2_b64 exec, exec, s[12:13]
	s_cbranch_execnz .LBB314_280
; %bb.281:
	s_or_b64 exec, exec, s[12:13]
.LBB314_282:
	s_or_b64 exec, exec, s[8:9]
	ds_bpermute_b32 v3, v3, v11
	s_waitcnt lgkmcnt(0)
	v_add_f32_e32 v3, v11, v3
	ds_bpermute_b32 v4, v4, v3
	s_waitcnt lgkmcnt(0)
	v_add_f32_e32 v3, v3, v4
	ds_bpermute_b32 v4, v7, v3
	v_xor_b32_e32 v7, 2, v1
	v_cmp_lt_i32_e64 s[6:7], v7, v2
	s_waitcnt lgkmcnt(0)
	v_add_f32_e32 v3, v3, v4
	ds_bpermute_b32 v4, v8, v3
	v_cndmask_b32_e64 v1, v1, v7, s[6:7]
	v_lshlrev_b32_e32 v1, 2, v1
	s_waitcnt lgkmcnt(0)
	v_add_f32_e32 v2, v3, v4
	ds_bpermute_b32 v1, v1, v2
	s_waitcnt lgkmcnt(0)
	v_add_f32_e32 v1, v2, v1
	ds_bpermute_b32 v2, v17, v1
	s_waitcnt lgkmcnt(0)
	v_add_f32_e32 v1, v1, v2
	s_and_saveexec_b64 s[6:7], vcc
	s_cbranch_execz .LBB314_284
; %bb.283:
	ds_write_b32 v5, v1 offset:520
.LBB314_284:
	s_or_b64 exec, exec, s[6:7]
	s_waitcnt lgkmcnt(0)
	s_barrier
	s_and_saveexec_b64 s[6:7], s[2:3]
	s_cbranch_execz .LBB314_286
; %bb.285:
	ds_read_b32 v1, v6 offset:520
.LBB314_286:
	s_or_b64 exec, exec, s[6:7]
	s_waitcnt lgkmcnt(0)
	ds_bpermute_b32 v2, v17, v1
	s_waitcnt lgkmcnt(0)
	v_add_f32_e32 v1, v1, v2
	ds_bpermute_b32 v1, v9, v1
	s_and_saveexec_b64 s[2:3], s[4:5]
	s_cbranch_execz .LBB314_299
; %bb.287:
	s_waitcnt lgkmcnt(0)
	v_add_f32_e32 v1, 0x358637bd, v1
	v_div_scale_f32 v2, s[4:5], v1, v1, 1.0
	v_rcp_f32_e32 v3, v2
	v_div_scale_f32 v4, vcc, 1.0, v1, 1.0
	s_movk_i32 s4, 0x7f
	v_fma_f32 v5, -v2, v3, 1.0
	v_fmac_f32_e32 v3, v5, v3
	v_mul_f32_e32 v5, v4, v3
	v_fma_f32 v6, -v2, v5, v4
	v_fmac_f32_e32 v5, v6, v3
	v_fma_f32 v2, -v2, v5, v4
	v_div_fmas_f32 v2, v2, v3, v5
	v_xad_u32 v3, v16, -1, v0
	v_div_fixup_f32 v2, v2, v1, 1.0
	v_cmp_lt_u32_e32 vcc, s4, v3
	s_mov_b64 s[6:7], -1
	v_mov_b32_e32 v1, v16
	s_and_saveexec_b64 s[4:5], vcc
	s_cbranch_execz .LBB314_296
; %bb.288:
	v_lshrrev_b32_e32 v1, 7, v3
	v_add_u32_e32 v5, -1, v1
	v_lshrrev_b32_e32 v4, 1, v5
	v_mov_b32_e32 v3, v2
	v_add_u32_e32 v4, 1, v4
	v_cmp_lt_u32_e32 vcc, 13, v5
	v_mov_b32_e32 v7, 0
	s_and_saveexec_b64 s[6:7], vcc
	s_cbranch_execz .LBB314_292
; %bb.289:
	s_ashr_i32 s17, s16, 31
	s_lshl_b64 s[8:9], s[16:17], 2
	s_getpc_b64 s[12:13]
	s_add_u32 s12, s12, llvm.amdgcn.dynlds.offset.table@rel32@lo+4
	s_addc_u32 s13, s13, llvm.amdgcn.dynlds.offset.table@rel32@hi+12
	s_add_u32 s8, s8, s12
	s_addc_u32 s9, s9, s13
	s_load_dword s8, s[8:9], 0x0
	v_and_b32_e32 v5, -8, v4
	s_mov_b32 s12, 0
	s_waitcnt lgkmcnt(0)
	v_lshl_add_u32 v6, v16, 2, s8
	s_mov_b64 s[8:9], 0
.LBB314_290:                            ; =>This Inner Loop Header: Depth=1
	ds_read2st64_b32 v[8:9], v6 offset1:2
	ds_read2st64_b32 v[10:11], v6 offset0:4 offset1:6
	ds_read2st64_b32 v[12:13], v6 offset0:8 offset1:10
	;; [unrolled: 1-line block ×3, first 2 shown]
	v_add_u32_e32 v5, -8, v5
	s_waitcnt lgkmcnt(3)
	v_pk_mul_f32 v[8:9], v[2:3], v[8:9]
	s_waitcnt lgkmcnt(2)
	v_pk_mul_f32 v[10:11], v[2:3], v[10:11]
	ds_write2st64_b32 v6, v8, v9 offset1:2
	ds_write2st64_b32 v6, v10, v11 offset0:4 offset1:6
	ds_read2st64_b32 v[10:11], v6 offset0:16 offset1:18
	s_waitcnt lgkmcnt(4)
	v_pk_mul_f32 v[8:9], v[2:3], v[12:13]
	ds_write2st64_b32 v6, v8, v9 offset0:8 offset1:10
	s_waitcnt lgkmcnt(4)
	v_pk_mul_f32 v[8:9], v[2:3], v[14:15]
	ds_write2st64_b32 v6, v8, v9 offset0:12 offset1:14
	ds_read2st64_b32 v[8:9], v6 offset0:20 offset1:22
	s_waitcnt lgkmcnt(3)
	v_pk_mul_f32 v[10:11], v[2:3], v[10:11]
	ds_read2st64_b32 v[12:13], v6 offset0:24 offset1:26
	ds_write2st64_b32 v6, v10, v11 offset0:16 offset1:18
	ds_read2st64_b32 v[10:11], v6 offset0:28 offset1:30
	s_waitcnt lgkmcnt(3)
	v_pk_mul_f32 v[8:9], v[2:3], v[8:9]
	ds_write2st64_b32 v6, v8, v9 offset0:20 offset1:22
	s_waitcnt lgkmcnt(3)
	v_pk_mul_f32 v[8:9], v[2:3], v[12:13]
	ds_write2st64_b32 v6, v8, v9 offset0:24 offset1:26
	s_waitcnt lgkmcnt(2)
	v_pk_mul_f32 v[8:9], v[2:3], v[10:11]
	s_add_i32 s12, s12, 16
	v_cmp_eq_u32_e32 vcc, 0, v5
	ds_write2st64_b32 v6, v8, v9 offset0:28 offset1:30
	v_add_u32_e32 v6, 0x2000, v6
	s_or_b64 s[8:9], vcc, s[8:9]
	v_mov_b32_e32 v7, s12
	s_andn2_b64 exec, exec, s[8:9]
	s_cbranch_execnz .LBB314_290
; %bb.291:
	s_or_b64 exec, exec, s[8:9]
.LBB314_292:
	s_or_b64 exec, exec, s[6:7]
	v_and_b32_e32 v4, 7, v4
	v_cmp_ne_u32_e32 vcc, 0, v4
	s_and_saveexec_b64 s[6:7], vcc
	s_cbranch_execz .LBB314_295
; %bb.293:
	s_ashr_i32 s17, s16, 31
	s_lshl_b64 s[8:9], s[16:17], 2
	s_getpc_b64 s[12:13]
	s_add_u32 s12, s12, llvm.amdgcn.dynlds.offset.table@rel32@lo+4
	s_addc_u32 s13, s13, llvm.amdgcn.dynlds.offset.table@rel32@hi+12
	s_add_u32 s8, s8, s12
	s_addc_u32 s9, s9, s13
	s_load_dword s8, s[8:9], 0x0
	v_lshlrev_b32_e32 v5, 9, v7
	v_lshlrev_b32_e32 v6, 2, v16
	s_waitcnt lgkmcnt(0)
	v_add3_u32 v5, v5, v6, s8
	s_mov_b64 s[8:9], 0
.LBB314_294:                            ; =>This Inner Loop Header: Depth=1
	ds_read2st64_b32 v[6:7], v5 offset1:2
	v_add_u32_e32 v4, -1, v4
	v_cmp_eq_u32_e32 vcc, 0, v4
	s_or_b64 s[8:9], vcc, s[8:9]
	s_waitcnt lgkmcnt(0)
	v_pk_mul_f32 v[6:7], v[2:3], v[6:7]
	ds_write2st64_b32 v5, v6, v7 offset1:2
	v_add_u32_e32 v5, 0x400, v5
	s_andn2_b64 exec, exec, s[8:9]
	s_cbranch_execnz .LBB314_294
.LBB314_295:
	s_or_b64 exec, exec, s[6:7]
	v_add_u32_e32 v3, 1, v1
	v_and_b32_e32 v4, 0x3fffffe, v3
	v_cmp_ne_u32_e32 vcc, v3, v4
	v_lshl_add_u32 v1, v4, 7, v16
	s_orn2_b64 s[6:7], vcc, exec
.LBB314_296:
	s_or_b64 exec, exec, s[4:5]
	s_and_b64 exec, exec, s[6:7]
	s_cbranch_execz .LBB314_299
; %bb.297:
	s_ashr_i32 s17, s16, 31
	s_lshl_b64 s[4:5], s[16:17], 2
	s_getpc_b64 s[6:7]
	s_add_u32 s6, s6, llvm.amdgcn.dynlds.offset.table@rel32@lo+4
	s_addc_u32 s7, s7, llvm.amdgcn.dynlds.offset.table@rel32@hi+12
	s_add_u32 s4, s4, s6
	s_addc_u32 s5, s5, s7
	s_load_dword s4, s[4:5], 0x0
	s_waitcnt lgkmcnt(0)
	v_lshl_add_u32 v3, v1, 2, s4
	s_mov_b64 s[4:5], 0
.LBB314_298:                            ; =>This Inner Loop Header: Depth=1
	ds_read_b32 v4, v3
	v_add_u32_e32 v1, 0x80, v1
	v_cmp_ge_i32_e32 vcc, v1, v0
	s_or_b64 s[4:5], vcc, s[4:5]
	s_waitcnt lgkmcnt(0)
	v_mul_f32_e32 v4, v2, v4
	ds_write_b32 v3, v4
	v_add_u32_e32 v3, 0x200, v3
	s_andn2_b64 exec, exec, s[4:5]
	s_cbranch_execnz .LBB314_298
.LBB314_299:
	s_or_b64 exec, exec, s[2:3]
	v_mov_b32_e32 v13, 0
	v_and_b32_e32 v16, 1, v16
	v_mov_b32_e32 v12, 0
	v_mov_b32_e32 v15, 0
	;; [unrolled: 1-line block ×7, first 2 shown]
	s_waitcnt lgkmcnt(0)
	s_barrier
	s_and_saveexec_b64 s[2:3], s[0:1]
	s_cbranch_execz .LBB314_865
; %bb.300:
	scratch_load_dword v0, off, s32 offset:288 ; 4-byte Folded Reload
	scratch_load_dword v4, off, s32 offset:196 ; 4-byte Folded Reload
	v_max_i32_e32 v34, v26, v27
	v_cvt_f32_u32_e32 v2, v34
	v_mov_b32_e32 v27, 0
	s_ashr_i32 s17, s16, 31
	s_lshl_b64 s[0:1], s[16:17], 2
	v_rcp_iflag_f32_e32 v2, v2
	s_getpc_b64 s[4:5]
	s_add_u32 s4, s4, llvm.amdgcn.dynlds.offset.table@rel32@lo+4
	s_addc_u32 s5, s5, llvm.amdgcn.dynlds.offset.table@rel32@hi+12
	s_add_u32 s4, s0, s4
	v_accvgpr_write_b32 a15, v17
	v_mul_f32_e32 v2, 0x4f7ffffe, v2
	v_cvt_u32_f32_e32 v2, v2
	s_addc_u32 s5, s1, s5
	v_accvgpr_write_b32 a16, v16
	s_mov_b64 s[6:7], 0
	s_mov_b32 s17, 0x7f800000
	s_movk_i32 s20, 0x7fff
	v_mov_b32_e32 v24, 0
	v_mov_b32_e32 v25, 0
	;; [unrolled: 1-line block ×8, first 2 shown]
	s_waitcnt vmcnt(1)
	v_lshlrev_b32_e32 v3, 3, v0
	v_lshl_add_u64 v[0:1], v[22:23], 0, v[18:19]
	v_and_b32_e32 v26, 0x1f8, v3
	s_waitcnt vmcnt(0)
	v_add_u32_e32 v4, -1, v4
	v_lshl_add_u64 v[0:1], v[0:1], 0, v[26:27]
	v_accvgpr_write_b32 a17, v4
	v_and_b32_e32 v4, 8, v3
	v_sub_u32_e32 v3, 0, v34
	v_accvgpr_write_b32 a23, v1
	v_mul_lo_u32 v3, v3, v2
	v_accvgpr_write_b32 a22, v0
	v_lshlrev_b32_e32 v0, 5, v16
	v_accvgpr_read_b32 v1, a12
	v_mul_hi_u32 v3, v2, v3
	v_lshl_or_b32 v37, v1, 6, v0
	scratch_load_dword v0, off, s32 offset:300 ; 4-byte Folded Reload
	v_add_u32_e32 v2, v2, v3
	v_accvgpr_write_b32 a20, v2
	scratch_load_dwordx2 v[2:3], off, s32 offset:304 ; 8-byte Folded Reload
	v_accvgpr_write_b32 a18, v4
	s_waitcnt vmcnt(1)
	v_and_b32_e32 v26, 60, v0
	v_lshl_add_u64 v[0:1], v[28:29], 2, v[26:27]
	s_waitcnt vmcnt(0)
	v_lshl_add_u64 v[10:11], v[2:3], 0, v[0:1]
	scratch_load_dword v2, off, s32 offset:312 ; 4-byte Folded Reload
	s_branch .LBB314_303
.LBB314_301:                            ;   in Loop: Header=BB314_303 Depth=1
	s_or_b64 exec, exec, s[0:1]
	v_and_b32_e32 v7, 0xffff0000, v41
	v_and_b32_e32 v6, 0xffff0000, v5
	;; [unrolled: 1-line block ×4, first 2 shown]
	v_pk_add_f32 v[4:5], v[4:5], v[6:7]
	v_and_b32_e32 v7, 0xffff0000, v31
	v_and_b32_e32 v6, 0xffff0000, v22
	;; [unrolled: 1-line block ×4, first 2 shown]
	v_pk_add_f32 v[6:7], v[30:31], v[6:7]
	v_add_f32_e32 v4, v4, v5
	v_add_f32_e32 v4, v4, v6
	v_add_f32_e32 v16, v4, v7
	v_and_b32_e32 v5, 0xffff0000, v52
	v_and_b32_e32 v4, 0xffff0000, v28
	;; [unrolled: 1-line block ×4, first 2 shown]
	v_pk_add_f32 v[4:5], v[6:7], v[4:5]
	v_and_b32_e32 v7, 0xffff0000, v55
	v_and_b32_e32 v6, 0xffff0000, v56
	;; [unrolled: 1-line block ×4, first 2 shown]
	v_pk_add_f32 v[6:7], v[22:23], v[6:7]
	v_add_f32_e32 v4, v4, v5
	v_add_f32_e32 v4, v4, v6
	;; [unrolled: 1-line block ×3, first 2 shown]
	v_and_b32_e32 v6, 0xffff0000, v0
	v_and_b32_e32 v1, 0xffff0000, v1
	v_and_b32_e32 v0, 0xffff0000, v58
	v_and_b32_e32 v23, 0xffff0000, v29
	v_and_b32_e32 v22, 0xffff0000, v49
	v_add_f32_e32 v15, v15, v4
	v_and_b32_e32 v5, 0xffff0000, v46
	v_and_b32_e32 v4, 0xffff0000, v35
	;; [unrolled: 1-line block ×3, first 2 shown]
	v_pk_add_f32 v[0:1], v[22:23], v[0:1]
	v_pk_add_f32 v[4:5], v[6:7], v[4:5]
	v_add_f32_e32 v0, v0, v1
	v_and_b32_e32 v7, 0xffff0000, v8
	v_accvgpr_read_b32 v8, a54
	v_add_f32_e32 v0, v0, v4
	v_and_b32_e32 v4, 0xffff0000, v9
	v_accvgpr_read_b32 v6, a53
	v_and_b32_e32 v9, 0xffff0000, v8
	v_accvgpr_read_b32 v8, a52
	v_add_f32_e32 v0, v0, v5
	v_and_b32_e32 v6, 0xffff0000, v6
	v_and_b32_e32 v8, 0xffff0000, v8
	v_add_f32_e32 v14, v14, v0
	v_and_b32_e32 v1, 0xffff0000, v48
	v_and_b32_e32 v0, 0xffff0000, v26
	v_and_b32_e32 v5, 0xffff0000, v39
	v_pk_add_f32 v[6:7], v[8:9], v[6:7]
	v_pk_add_f32 v[0:1], v[4:5], v[0:1]
	v_add_f32_e32 v4, v6, v7
	v_add_f32_e32 v0, v4, v0
	v_add_f32_e32 v0, v0, v1
	v_accvgpr_read_b32 v6, a47
	v_accvgpr_read_b32 v8, a46
	v_add_f32_e32 v21, v21, v0
	v_accvgpr_read_b32 v0, a51
	v_accvgpr_read_b32 v4, a50
	v_and_b32_e32 v7, 0xffff0000, v6
	v_accvgpr_read_b32 v6, a45
	v_and_b32_e32 v9, 0xffff0000, v8
	v_accvgpr_read_b32 v8, a44
	v_and_b32_e32 v1, 0xffff0000, v0
	v_accvgpr_read_b32 v0, a49
	v_and_b32_e32 v5, 0xffff0000, v4
	v_accvgpr_read_b32 v4, a48
	v_and_b32_e32 v6, 0xffff0000, v6
	v_and_b32_e32 v8, 0xffff0000, v8
	v_and_b32_e32 v0, 0xffff0000, v0
	v_and_b32_e32 v4, 0xffff0000, v4
	v_pk_add_f32 v[6:7], v[8:9], v[6:7]
	v_pk_add_f32 v[0:1], v[4:5], v[0:1]
	v_add_f32_e32 v4, v6, v7
	v_add_f32_e32 v0, v4, v0
	v_add_f32_e32 v0, v0, v1
	v_accvgpr_read_b32 v6, a39
	v_accvgpr_read_b32 v8, a38
	v_add_f32_e32 v20, v20, v0
	v_accvgpr_read_b32 v0, a43
	v_accvgpr_read_b32 v4, a42
	v_and_b32_e32 v7, 0xffff0000, v6
	v_accvgpr_read_b32 v6, a37
	v_and_b32_e32 v9, 0xffff0000, v8
	v_accvgpr_read_b32 v8, a36
	v_and_b32_e32 v1, 0xffff0000, v0
	v_accvgpr_read_b32 v0, a41
	v_and_b32_e32 v5, 0xffff0000, v4
	v_accvgpr_read_b32 v4, a40
	v_and_b32_e32 v6, 0xffff0000, v6
	;; [unrolled: 22-line block ×3, first 2 shown]
	v_and_b32_e32 v8, 0xffff0000, v8
	v_and_b32_e32 v0, 0xffff0000, v0
	;; [unrolled: 1-line block ×3, first 2 shown]
	v_pk_add_f32 v[6:7], v[8:9], v[6:7]
	v_pk_add_f32 v[0:1], v[4:5], v[0:1]
	v_add_f32_e32 v4, v6, v7
	v_add_f32_e32 v0, v4, v0
	;; [unrolled: 1-line block ×3, first 2 shown]
	v_and_b32_e32 v7, 0xffff0000, v50
	v_and_b32_e32 v6, 0xffff0000, v3
	;; [unrolled: 1-line block ×4, first 2 shown]
	v_add_f32_e32 v24, v24, v0
	v_and_b32_e32 v1, 0xffff0000, v17
	v_and_b32_e32 v0, 0xffff0000, v43
	;; [unrolled: 1-line block ×4, first 2 shown]
	v_pk_add_f32 v[2:3], v[2:3], v[6:7]
	v_pk_add_f32 v[0:1], v[4:5], v[0:1]
	v_add_f32_e32 v2, v2, v3
	v_add_f32_e32 v0, v2, v0
	;; [unrolled: 1-line block ×5, first 2 shown]
.LBB314_302:                            ;   in Loop: Header=BB314_303 Depth=1
	s_or_b64 exec, exec, s[8:9]
	scratch_load_dword v0, off, s32 offset:196 ; 4-byte Folded Reload
	v_accvgpr_read_b32 v1, a12
	v_add_u32_e32 v1, 2, v1
	v_mov_b32_e32 v2, v19
	v_add_u32_e32 v2, 32, v2
	v_add_u32_e32 v37, 0x80, v37
	v_accvgpr_write_b32 a12, v1
	v_lshl_add_u64 v[10:11], v[10:11], 0, 8
	s_waitcnt vmcnt(0)
	v_cmp_ge_i32_e32 vcc, v1, v0
	s_or_b64 s[6:7], vcc, s[6:7]
	s_andn2_b64 exec, exec, s[6:7]
	s_cbranch_execz .LBB314_864
.LBB314_303:                            ; =>This Inner Loop Header: Depth=1
	scratch_load_dword v0, off, s32 offset:216 ; 4-byte Folded Reload
	scratch_load_dword v3, off, s32 offset:200 ; 4-byte Folded Reload
	s_waitcnt vmcnt(2)
	v_mov_b32_e32 v19, v2
	v_accvgpr_read_b32 v4, a20
	s_waitcnt vmcnt(1)
	v_mul_hi_u32 v0, v2, v0
	s_waitcnt vmcnt(0)
	v_mul_lo_u32 v1, v0, v3
	v_sub_u32_e32 v1, v2, v1
	v_add_u32_e32 v2, 1, v0
	v_cmp_ge_u32_e32 vcc, v1, v3
	s_nop 1
	v_cndmask_b32_e32 v0, v0, v2, vcc
	v_sub_u32_e32 v2, v1, v3
	v_cndmask_b32_e32 v1, v1, v2, vcc
	v_cmp_ge_u32_e32 vcc, v1, v3
	scratch_load_dword v1, off, s32 offset:204 ; 4-byte Folded Reload
	v_add_u32_e32 v2, 1, v0
	v_cndmask_b32_e32 v0, v0, v2, vcc
	scratch_load_dwordx2 v[2:3], off, s32 offset:208 ; 8-byte Folded Reload
	s_waitcnt vmcnt(1)
	v_xor_b32_e32 v0, v0, v1
	v_sub_u32_e32 v0, v0, v1
	s_waitcnt vmcnt(0)
	v_add_u32_e32 v1, v0, v2
	v_sub_u32_e32 v3, 0, v1
	v_ashrrev_i32_e32 v2, 31, v1
	v_max_i32_e32 v1, v1, v3
	v_mul_hi_u32 v3, v1, v4
	v_mul_lo_u32 v3, v3, v34
	v_sub_u32_e32 v1, v1, v3
	v_sub_u32_e32 v3, v1, v34
	v_cmp_ge_u32_e32 vcc, v1, v34
	s_nop 1
	v_cndmask_b32_e32 v1, v1, v3, vcc
	v_sub_u32_e32 v3, v1, v34
	v_cmp_ge_u32_e32 vcc, v1, v34
	s_nop 1
	v_cndmask_b32_e32 v1, v1, v3, vcc
	v_xor_b32_e32 v1, v1, v2
	v_sub_u32_e32 v1, v1, v2
	v_cmp_eq_u32_e32 vcc, 0, v1
	scratch_load_dword v1, off, s32 offset:220 ; 4-byte Folded Reload
	s_waitcnt vmcnt(0)
	v_cmp_gt_i32_e64 s[0:1], v0, v1
	s_or_b64 s[0:1], vcc, s[0:1]
	s_and_saveexec_b64 s[8:9], s[0:1]
	s_cbranch_execz .LBB314_302
; %bb.304:                              ;   in Loop: Header=BB314_303 Depth=1
	flat_load_dword v26, v[10:11]
	s_load_dword s0, s[4:5], 0x0
                                        ; implicit-def: $vgpr23
	s_waitcnt lgkmcnt(0)
	v_add_u32_e32 v0, s0, v37
	ds_read2_b64 v[6:9], v0 offset1:1
	ds_read2_b64 v[2:5], v0 offset0:2 offset1:3
	s_waitcnt lgkmcnt(0)
	v_and_b32_e32 v0, 0x7f800000, v6
	v_cmp_ne_u32_e32 vcc, s17, v0
	s_and_saveexec_b64 s[0:1], vcc
	s_xor_b64 s[0:1], exec, s[0:1]
; %bb.305:                              ;   in Loop: Header=BB314_303 Depth=1
	v_bfe_u32 v0, v6, 16, 1
	v_add3_u32 v23, v6, v0, s20
; %bb.306:                              ;   in Loop: Header=BB314_303 Depth=1
	s_andn2_saveexec_b64 s[0:1], s[0:1]
; %bb.307:                              ;   in Loop: Header=BB314_303 Depth=1
	v_or_b32_e32 v0, 0x10000, v6
	v_cmp_eq_u32_sdwa vcc, v6, v27 src0_sel:WORD_0 src1_sel:DWORD
	s_nop 1
	v_cndmask_b32_e32 v23, v0, v6, vcc
; %bb.308:                              ;   in Loop: Header=BB314_303 Depth=1
	s_or_b64 exec, exec, s[0:1]
	v_and_b32_e32 v0, 0x7f800000, v7
	v_cmp_ne_u32_e32 vcc, s17, v0
                                        ; implicit-def: $vgpr22
	s_and_saveexec_b64 s[0:1], vcc
	s_xor_b64 s[0:1], exec, s[0:1]
; %bb.309:                              ;   in Loop: Header=BB314_303 Depth=1
	v_bfe_u32 v0, v7, 16, 1
	v_add3_u32 v22, v7, v0, s20
; %bb.310:                              ;   in Loop: Header=BB314_303 Depth=1
	s_andn2_saveexec_b64 s[0:1], s[0:1]
; %bb.311:                              ;   in Loop: Header=BB314_303 Depth=1
	v_or_b32_e32 v0, 0x10000, v7
	v_cmp_eq_u32_sdwa vcc, v7, v27 src0_sel:WORD_0 src1_sel:DWORD
	s_nop 1
	v_cndmask_b32_e32 v22, v0, v7, vcc
; %bb.312:                              ;   in Loop: Header=BB314_303 Depth=1
	s_or_b64 exec, exec, s[0:1]
	v_and_b32_e32 v0, 0x7f800000, v8
	v_cmp_ne_u32_e32 vcc, s17, v0
                                        ; implicit-def: $vgpr18
	s_and_saveexec_b64 s[0:1], vcc
	s_xor_b64 s[0:1], exec, s[0:1]
; %bb.313:                              ;   in Loop: Header=BB314_303 Depth=1
	v_bfe_u32 v0, v8, 16, 1
	v_add3_u32 v18, v8, v0, s20
; %bb.314:                              ;   in Loop: Header=BB314_303 Depth=1
	s_andn2_saveexec_b64 s[0:1], s[0:1]
; %bb.315:                              ;   in Loop: Header=BB314_303 Depth=1
	v_or_b32_e32 v0, 0x10000, v8
	v_cmp_eq_u32_sdwa vcc, v8, v27 src0_sel:WORD_0 src1_sel:DWORD
	s_nop 1
	v_cndmask_b32_e32 v18, v0, v8, vcc
; %bb.316:                              ;   in Loop: Header=BB314_303 Depth=1
	s_or_b64 exec, exec, s[0:1]
	v_and_b32_e32 v0, 0x7f800000, v9
	v_cmp_ne_u32_e32 vcc, s17, v0
                                        ; implicit-def: $vgpr17
	s_and_saveexec_b64 s[0:1], vcc
	s_xor_b64 s[0:1], exec, s[0:1]
; %bb.317:                              ;   in Loop: Header=BB314_303 Depth=1
	v_bfe_u32 v0, v9, 16, 1
	v_add3_u32 v17, v9, v0, s20
                                        ; implicit-def: $vgpr6_vgpr7_vgpr8_vgpr9
; %bb.318:                              ;   in Loop: Header=BB314_303 Depth=1
	s_andn2_saveexec_b64 s[0:1], s[0:1]
; %bb.319:                              ;   in Loop: Header=BB314_303 Depth=1
	v_or_b32_e32 v0, 0x10000, v9
	v_cmp_eq_u32_sdwa vcc, v9, v27 src0_sel:WORD_0 src1_sel:DWORD
	s_nop 1
	v_cndmask_b32_e32 v17, v0, v9, vcc
; %bb.320:                              ;   in Loop: Header=BB314_303 Depth=1
	s_or_b64 exec, exec, s[0:1]
	v_and_b32_e32 v0, 0x7f800000, v2
	v_cmp_ne_u32_e32 vcc, s17, v0
                                        ; implicit-def: $vgpr7
	s_and_saveexec_b64 s[0:1], vcc
	s_xor_b64 s[0:1], exec, s[0:1]
; %bb.321:                              ;   in Loop: Header=BB314_303 Depth=1
	v_bfe_u32 v0, v2, 16, 1
	v_add3_u32 v7, v2, v0, s20
; %bb.322:                              ;   in Loop: Header=BB314_303 Depth=1
	s_andn2_saveexec_b64 s[0:1], s[0:1]
; %bb.323:                              ;   in Loop: Header=BB314_303 Depth=1
	v_or_b32_e32 v0, 0x10000, v2
	v_cmp_eq_u32_sdwa vcc, v2, v27 src0_sel:WORD_0 src1_sel:DWORD
	s_nop 1
	v_cndmask_b32_e32 v7, v0, v2, vcc
; %bb.324:                              ;   in Loop: Header=BB314_303 Depth=1
	s_or_b64 exec, exec, s[0:1]
	v_and_b32_e32 v0, 0x7f800000, v3
	v_cmp_ne_u32_e32 vcc, s17, v0
                                        ; implicit-def: $vgpr6
	s_and_saveexec_b64 s[0:1], vcc
	s_xor_b64 s[0:1], exec, s[0:1]
; %bb.325:                              ;   in Loop: Header=BB314_303 Depth=1
	v_bfe_u32 v0, v3, 16, 1
	v_add3_u32 v6, v3, v0, s20
; %bb.326:                              ;   in Loop: Header=BB314_303 Depth=1
	s_andn2_saveexec_b64 s[0:1], s[0:1]
; %bb.327:                              ;   in Loop: Header=BB314_303 Depth=1
	v_or_b32_e32 v0, 0x10000, v3
	v_cmp_eq_u32_sdwa vcc, v3, v27 src0_sel:WORD_0 src1_sel:DWORD
	s_nop 1
	v_cndmask_b32_e32 v6, v0, v3, vcc
; %bb.328:                              ;   in Loop: Header=BB314_303 Depth=1
	s_or_b64 exec, exec, s[0:1]
	v_and_b32_e32 v0, 0x7f800000, v4
	v_cmp_ne_u32_e32 vcc, s17, v0
                                        ; implicit-def: $vgpr1
	s_and_saveexec_b64 s[0:1], vcc
	s_xor_b64 s[0:1], exec, s[0:1]
; %bb.329:                              ;   in Loop: Header=BB314_303 Depth=1
	v_bfe_u32 v0, v4, 16, 1
	v_add3_u32 v1, v4, v0, s20
; %bb.330:                              ;   in Loop: Header=BB314_303 Depth=1
	s_andn2_saveexec_b64 s[0:1], s[0:1]
; %bb.331:                              ;   in Loop: Header=BB314_303 Depth=1
	v_or_b32_e32 v0, 0x10000, v4
	v_cmp_eq_u32_sdwa vcc, v4, v27 src0_sel:WORD_0 src1_sel:DWORD
	s_nop 1
	v_cndmask_b32_e32 v1, v0, v4, vcc
; %bb.332:                              ;   in Loop: Header=BB314_303 Depth=1
	s_or_b64 exec, exec, s[0:1]
	v_and_b32_e32 v0, 0x7f800000, v5
	v_cmp_ne_u32_e32 vcc, s17, v0
                                        ; implicit-def: $vgpr0
	s_and_saveexec_b64 s[0:1], vcc
	s_xor_b64 s[0:1], exec, s[0:1]
; %bb.333:                              ;   in Loop: Header=BB314_303 Depth=1
	v_bfe_u32 v0, v5, 16, 1
	v_add3_u32 v0, v5, v0, s20
                                        ; implicit-def: $vgpr2_vgpr3_vgpr4_vgpr5
; %bb.334:                              ;   in Loop: Header=BB314_303 Depth=1
	s_andn2_saveexec_b64 s[0:1], s[0:1]
; %bb.335:                              ;   in Loop: Header=BB314_303 Depth=1
	v_or_b32_e32 v0, 0x10000, v5
	v_cmp_eq_u32_sdwa vcc, v5, v27 src0_sel:WORD_0 src1_sel:DWORD
	s_nop 1
	v_cndmask_b32_e32 v0, v0, v5, vcc
; %bb.336:                              ;   in Loop: Header=BB314_303 Depth=1
	s_or_b64 exec, exec, s[0:1]
	scratch_load_dwordx2 v[2:3], off, s32 offset:224 ; 8-byte Folded Reload
	v_accvgpr_read_b32 v4, a22
	v_accvgpr_read_b32 v5, a23
	s_waitcnt vmcnt(0)
	v_mad_i64_i32 v[2:3], s[0:1], v26, v2, v[4:5]
	flat_load_dwordx2 v[4:5], v[2:3]
	scratch_load_dwordx2 v[8:9], off, s32 offset:252 ; 8-byte Folded Reload
	s_waitcnt vmcnt(0)
	flat_load_dword v38, v[8:9]
	s_waitcnt lgkmcnt(0)
	v_and_b32_e32 v8, 0xff, v4
	v_cvt_f32_fp8_sdwa v8, v8 src0_sel:BYTE_0
	s_waitcnt vmcnt(0)
	v_mul_f32_e32 v9, v38, v8
	v_and_b32_e32 v8, 0x7f800000, v9
	v_cmp_ne_u32_e32 vcc, s17, v8
                                        ; implicit-def: $vgpr8
	s_and_saveexec_b64 s[0:1], vcc
	s_xor_b64 s[0:1], exec, s[0:1]
; %bb.337:                              ;   in Loop: Header=BB314_303 Depth=1
	v_bfe_u32 v8, v9, 16, 1
	v_add3_u32 v8, v9, v8, s20
                                        ; implicit-def: $vgpr9
; %bb.338:                              ;   in Loop: Header=BB314_303 Depth=1
	s_andn2_saveexec_b64 s[0:1], s[0:1]
; %bb.339:                              ;   in Loop: Header=BB314_303 Depth=1
	v_or_b32_e32 v8, 0x10000, v9
	v_cmp_eq_u32_sdwa vcc, v9, v27 src0_sel:WORD_0 src1_sel:DWORD
	s_nop 1
	v_cndmask_b32_e32 v8, v8, v9, vcc
; %bb.340:                              ;   in Loop: Header=BB314_303 Depth=1
	s_or_b64 exec, exec, s[0:1]
	v_bfe_u32 v9, v4, 8, 8
	v_cvt_f32_fp8_sdwa v9, v9 src0_sel:BYTE_0
	s_nop 0
	v_mul_f32_e32 v26, v38, v9
	v_and_b32_e32 v9, 0x7f800000, v26
	v_cmp_ne_u32_e32 vcc, s17, v9
                                        ; implicit-def: $vgpr9
	s_and_saveexec_b64 s[0:1], vcc
	s_xor_b64 s[0:1], exec, s[0:1]
; %bb.341:                              ;   in Loop: Header=BB314_303 Depth=1
	v_bfe_u32 v9, v26, 16, 1
	v_add3_u32 v9, v26, v9, s20
                                        ; implicit-def: $vgpr26
; %bb.342:                              ;   in Loop: Header=BB314_303 Depth=1
	s_andn2_saveexec_b64 s[0:1], s[0:1]
; %bb.343:                              ;   in Loop: Header=BB314_303 Depth=1
	v_or_b32_e32 v9, 0x10000, v26
	v_cmp_eq_u32_sdwa vcc, v26, v27 src0_sel:WORD_0 src1_sel:DWORD
	s_nop 1
	v_cndmask_b32_e32 v9, v9, v26, vcc
; %bb.344:                              ;   in Loop: Header=BB314_303 Depth=1
	s_or_b64 exec, exec, s[0:1]
	v_bfe_u32 v16, v4, 16, 8
	v_cvt_f32_fp8_sdwa v16, v16 src0_sel:BYTE_0
                                        ; implicit-def: $vgpr28
	s_nop 0
	v_mul_f32_e32 v26, v38, v16
	v_and_b32_e32 v16, 0x7f800000, v26
	v_cmp_ne_u32_e32 vcc, s17, v16
	s_and_saveexec_b64 s[0:1], vcc
	s_xor_b64 s[0:1], exec, s[0:1]
; %bb.345:                              ;   in Loop: Header=BB314_303 Depth=1
	v_bfe_u32 v16, v26, 16, 1
	v_add3_u32 v28, v26, v16, s20
                                        ; implicit-def: $vgpr26
; %bb.346:                              ;   in Loop: Header=BB314_303 Depth=1
	s_andn2_saveexec_b64 s[0:1], s[0:1]
; %bb.347:                              ;   in Loop: Header=BB314_303 Depth=1
	v_or_b32_e32 v16, 0x10000, v26
	v_cmp_eq_u32_sdwa vcc, v26, v27 src0_sel:WORD_0 src1_sel:DWORD
	s_nop 1
	v_cndmask_b32_e32 v28, v16, v26, vcc
; %bb.348:                              ;   in Loop: Header=BB314_303 Depth=1
	s_or_b64 exec, exec, s[0:1]
	v_lshrrev_b32_e32 v4, 24, v4
	v_cvt_f32_fp8_sdwa v4, v4 src0_sel:BYTE_0
	s_nop 0
	v_mul_f32_e32 v26, v38, v4
	v_and_b32_e32 v4, 0x7f800000, v26
	v_cmp_ne_u32_e32 vcc, s17, v4
                                        ; implicit-def: $vgpr4
	s_and_saveexec_b64 s[0:1], vcc
	s_xor_b64 s[0:1], exec, s[0:1]
; %bb.349:                              ;   in Loop: Header=BB314_303 Depth=1
	v_bfe_u32 v4, v26, 16, 1
	v_add3_u32 v4, v26, v4, s20
                                        ; implicit-def: $vgpr26
; %bb.350:                              ;   in Loop: Header=BB314_303 Depth=1
	s_andn2_saveexec_b64 s[0:1], s[0:1]
; %bb.351:                              ;   in Loop: Header=BB314_303 Depth=1
	v_or_b32_e32 v4, 0x10000, v26
	v_cmp_eq_u32_sdwa vcc, v26, v27 src0_sel:WORD_0 src1_sel:DWORD
	s_nop 1
	v_cndmask_b32_e32 v4, v4, v26, vcc
; %bb.352:                              ;   in Loop: Header=BB314_303 Depth=1
	s_or_b64 exec, exec, s[0:1]
	v_and_b32_e32 v16, 0xff, v5
	v_cvt_f32_fp8_sdwa v16, v16 src0_sel:BYTE_0
                                        ; implicit-def: $vgpr29
	s_nop 0
	v_mul_f32_e32 v26, v38, v16
	v_and_b32_e32 v16, 0x7f800000, v26
	v_cmp_ne_u32_e32 vcc, s17, v16
	s_and_saveexec_b64 s[0:1], vcc
	s_xor_b64 s[0:1], exec, s[0:1]
; %bb.353:                              ;   in Loop: Header=BB314_303 Depth=1
	v_bfe_u32 v16, v26, 16, 1
	v_add3_u32 v29, v26, v16, s20
                                        ; implicit-def: $vgpr26
; %bb.354:                              ;   in Loop: Header=BB314_303 Depth=1
	s_andn2_saveexec_b64 s[0:1], s[0:1]
; %bb.355:                              ;   in Loop: Header=BB314_303 Depth=1
	v_or_b32_e32 v16, 0x10000, v26
	v_cmp_eq_u32_sdwa vcc, v26, v27 src0_sel:WORD_0 src1_sel:DWORD
	s_nop 1
	v_cndmask_b32_e32 v29, v16, v26, vcc
; %bb.356:                              ;   in Loop: Header=BB314_303 Depth=1
	s_or_b64 exec, exec, s[0:1]
	v_bfe_u32 v16, v5, 8, 8
	v_cvt_f32_fp8_sdwa v16, v16 src0_sel:BYTE_0
                                        ; implicit-def: $vgpr26
	s_nop 0
	v_mul_f32_e32 v30, v38, v16
	v_and_b32_e32 v16, 0x7f800000, v30
	v_cmp_ne_u32_e32 vcc, s17, v16
	s_and_saveexec_b64 s[0:1], vcc
	s_xor_b64 s[0:1], exec, s[0:1]
; %bb.357:                              ;   in Loop: Header=BB314_303 Depth=1
	v_bfe_u32 v16, v30, 16, 1
	v_add3_u32 v26, v30, v16, s20
                                        ; implicit-def: $vgpr30
; %bb.358:                              ;   in Loop: Header=BB314_303 Depth=1
	s_andn2_saveexec_b64 s[0:1], s[0:1]
; %bb.359:                              ;   in Loop: Header=BB314_303 Depth=1
	v_or_b32_e32 v16, 0x10000, v30
	v_cmp_eq_u32_sdwa vcc, v30, v27 src0_sel:WORD_0 src1_sel:DWORD
	s_nop 1
	v_cndmask_b32_e32 v26, v16, v30, vcc
; %bb.360:                              ;   in Loop: Header=BB314_303 Depth=1
	s_or_b64 exec, exec, s[0:1]
	v_bfe_u32 v16, v5, 16, 8
	v_cvt_f32_fp8_sdwa v16, v16 src0_sel:BYTE_0
                                        ; implicit-def: $vgpr31
	s_nop 0
	v_mul_f32_e32 v30, v38, v16
	v_and_b32_e32 v16, 0x7f800000, v30
	v_cmp_ne_u32_e32 vcc, s17, v16
	s_and_saveexec_b64 s[0:1], vcc
	s_xor_b64 s[0:1], exec, s[0:1]
; %bb.361:                              ;   in Loop: Header=BB314_303 Depth=1
	v_bfe_u32 v16, v30, 16, 1
	v_add3_u32 v31, v30, v16, s20
                                        ; implicit-def: $vgpr30
; %bb.362:                              ;   in Loop: Header=BB314_303 Depth=1
	s_andn2_saveexec_b64 s[0:1], s[0:1]
; %bb.363:                              ;   in Loop: Header=BB314_303 Depth=1
	v_or_b32_e32 v16, 0x10000, v30
	v_cmp_eq_u32_sdwa vcc, v30, v27 src0_sel:WORD_0 src1_sel:DWORD
	s_nop 1
	v_cndmask_b32_e32 v31, v16, v30, vcc
; %bb.364:                              ;   in Loop: Header=BB314_303 Depth=1
	s_or_b64 exec, exec, s[0:1]
	v_lshrrev_b32_e32 v5, 24, v5
	v_cvt_f32_fp8_sdwa v5, v5 src0_sel:BYTE_0
                                        ; implicit-def: $vgpr32
	s_nop 0
	v_mul_f32_e32 v5, v38, v5
	v_and_b32_e32 v16, 0x7f800000, v5
	v_cmp_ne_u32_e32 vcc, s17, v16
	s_and_saveexec_b64 s[0:1], vcc
	s_xor_b64 s[0:1], exec, s[0:1]
; %bb.365:                              ;   in Loop: Header=BB314_303 Depth=1
	v_bfe_u32 v16, v5, 16, 1
	v_add3_u32 v32, v5, v16, s20
                                        ; implicit-def: $vgpr5
; %bb.366:                              ;   in Loop: Header=BB314_303 Depth=1
	s_andn2_saveexec_b64 s[0:1], s[0:1]
; %bb.367:                              ;   in Loop: Header=BB314_303 Depth=1
	v_or_b32_e32 v16, 0x10000, v5
	v_cmp_eq_u32_sdwa vcc, v5, v27 src0_sel:WORD_0 src1_sel:DWORD
	s_nop 1
	v_cndmask_b32_e32 v32, v16, v5, vcc
; %bb.368:                              ;   in Loop: Header=BB314_303 Depth=1
	s_or_b64 exec, exec, s[0:1]
	v_accvgpr_read_b32 v5, a12
	v_accvgpr_read_b32 v16, a17
	v_cmp_eq_u32_e32 vcc, v16, v5
	v_mov_b32_e32 v5, v19
	v_accvgpr_read_b32 v16, a18
	v_add_u32_e32 v50, v16, v5
	v_add_u32_e32 v16, 1, v50
	v_accvgpr_write_b32 a35, v16
	v_add_u32_e32 v16, 2, v50
	v_accvgpr_write_b32 a34, v16
	;; [unrolled: 2-line block ×6, first 2 shown]
	v_add_u32_e32 v16, 7, v50
	v_lshrrev_b32_e32 v26, 16, v26
	v_lshrrev_b32_e32 v29, 16, v29
	;; [unrolled: 1-line block ×8, first 2 shown]
	v_accvgpr_write_b32 a29, v16
	s_and_saveexec_b64 s[12:13], vcc
	s_cbranch_execz .LBB314_370
; %bb.369:                              ;   in Loop: Header=BB314_303 Depth=1
	scratch_load_dword v16, off, s32 offset:192 ; 4-byte Folded Reload
	v_accvgpr_read_b32 v31, a35
	s_waitcnt vmcnt(0)
	v_cmp_lt_i32_e64 s[0:1], v50, v16
	s_nop 1
	v_cndmask_b32_e64 v8, 0, v8, s[0:1]
	v_cmp_lt_i32_e64 s[0:1], v31, v16
	v_accvgpr_read_b32 v31, a34
	s_nop 0
	v_cndmask_b32_e64 v9, 0, v9, s[0:1]
	v_cmp_lt_i32_e64 s[0:1], v31, v16
	v_accvgpr_read_b32 v31, a33
	s_nop 0
	v_cndmask_b32_e64 v28, 0, v28, s[0:1]
	v_cmp_lt_i32_e64 s[0:1], v31, v16
	v_accvgpr_read_b32 v31, a32
	s_nop 0
	v_cndmask_b32_e64 v30, 0, v30, s[0:1]
	v_cmp_lt_i32_e64 s[0:1], v31, v16
	v_accvgpr_read_b32 v31, a31
	s_nop 0
	v_cndmask_b32_e64 v29, 0, v29, s[0:1]
	v_cmp_lt_i32_e64 s[0:1], v31, v16
	v_accvgpr_read_b32 v31, a30
	s_nop 0
	v_cndmask_b32_e64 v26, 0, v26, s[0:1]
	v_cmp_lt_i32_e64 s[0:1], v31, v16
	v_accvgpr_read_b32 v31, a29
	s_nop 0
	v_cndmask_b32_e64 v5, 0, v5, s[0:1]
	v_cmp_lt_i32_e64 s[0:1], v31, v16
	s_nop 1
	v_cndmask_b32_e64 v4, 0, v4, s[0:1]
.LBB314_370:                            ;   in Loop: Header=BB314_303 Depth=1
	s_or_b64 exec, exec, s[12:13]
	v_and_b32_e32 v42, 0xffff0000, v23
	v_lshlrev_b32_e32 v8, 16, v8
	v_mul_f32_e32 v8, v42, v8
	v_and_b32_e32 v16, 0x7f800000, v8
	v_cmp_ne_u32_e64 s[0:1], s17, v16
                                        ; implicit-def: $agpr14
	s_and_saveexec_b64 s[12:13], s[0:1]
	s_xor_b64 s[0:1], exec, s[12:13]
; %bb.371:                              ;   in Loop: Header=BB314_303 Depth=1
	v_bfe_u32 v16, v8, 16, 1
	v_add3_u32 v8, v8, v16, s20
	v_accvgpr_write_b32 a14, v8
                                        ; implicit-def: $vgpr8
; %bb.372:                              ;   in Loop: Header=BB314_303 Depth=1
	s_andn2_saveexec_b64 s[12:13], s[0:1]
; %bb.373:                              ;   in Loop: Header=BB314_303 Depth=1
	v_or_b32_e32 v16, 0x10000, v8
	v_cmp_eq_u32_sdwa s[0:1], v8, v27 src0_sel:WORD_0 src1_sel:DWORD
	s_nop 1
	v_cndmask_b32_e64 v8, v16, v8, s[0:1]
	v_accvgpr_write_b32 a14, v8
; %bb.374:                              ;   in Loop: Header=BB314_303 Depth=1
	s_or_b64 exec, exec, s[12:13]
	v_and_b32_e32 v43, 0xffff0000, v22
	v_lshlrev_b32_e32 v8, 16, v9
	v_mul_f32_e32 v8, v43, v8
	v_and_b32_e32 v9, 0x7f800000, v8
	v_cmp_ne_u32_e64 s[0:1], s17, v9
                                        ; implicit-def: $agpr19
	s_and_saveexec_b64 s[12:13], s[0:1]
	s_xor_b64 s[0:1], exec, s[12:13]
; %bb.375:                              ;   in Loop: Header=BB314_303 Depth=1
	v_bfe_u32 v9, v8, 16, 1
	v_add3_u32 v8, v8, v9, s20
	v_accvgpr_write_b32 a19, v8
                                        ; implicit-def: $vgpr8
; %bb.376:                              ;   in Loop: Header=BB314_303 Depth=1
	s_andn2_saveexec_b64 s[12:13], s[0:1]
; %bb.377:                              ;   in Loop: Header=BB314_303 Depth=1
	v_or_b32_e32 v9, 0x10000, v8
	v_cmp_eq_u32_sdwa s[0:1], v8, v27 src0_sel:WORD_0 src1_sel:DWORD
	s_nop 1
	v_cndmask_b32_e64 v8, v9, v8, s[0:1]
	v_accvgpr_write_b32 a19, v8
; %bb.378:                              ;   in Loop: Header=BB314_303 Depth=1
	s_or_b64 exec, exec, s[12:13]
	v_and_b32_e32 v44, 0xffff0000, v18
	v_lshlrev_b32_e32 v8, 16, v28
	v_mul_f32_e32 v8, v44, v8
	v_and_b32_e32 v9, 0x7f800000, v8
	v_cmp_ne_u32_e64 s[0:1], s17, v9
                                        ; implicit-def: $agpr21
	s_and_saveexec_b64 s[12:13], s[0:1]
	s_xor_b64 s[0:1], exec, s[12:13]
; %bb.379:                              ;   in Loop: Header=BB314_303 Depth=1
	v_bfe_u32 v9, v8, 16, 1
	v_add3_u32 v8, v8, v9, s20
	v_accvgpr_write_b32 a21, v8
                                        ; implicit-def: $vgpr8
; %bb.380:                              ;   in Loop: Header=BB314_303 Depth=1
	s_andn2_saveexec_b64 s[12:13], s[0:1]
; %bb.381:                              ;   in Loop: Header=BB314_303 Depth=1
	v_or_b32_e32 v9, 0x10000, v8
	v_cmp_eq_u32_sdwa s[0:1], v8, v27 src0_sel:WORD_0 src1_sel:DWORD
	s_nop 1
	v_cndmask_b32_e64 v8, v9, v8, s[0:1]
	v_accvgpr_write_b32 a21, v8
; %bb.382:                              ;   in Loop: Header=BB314_303 Depth=1
	s_or_b64 exec, exec, s[12:13]
	v_and_b32_e32 v45, 0xffff0000, v17
	v_lshlrev_b32_e32 v8, 16, v30
	v_mul_f32_e32 v8, v45, v8
	v_and_b32_e32 v9, 0x7f800000, v8
	v_cmp_ne_u32_e64 s[0:1], s17, v9
                                        ; implicit-def: $agpr24
	s_and_saveexec_b64 s[12:13], s[0:1]
	s_xor_b64 s[0:1], exec, s[12:13]
; %bb.383:                              ;   in Loop: Header=BB314_303 Depth=1
	v_bfe_u32 v9, v8, 16, 1
	v_add3_u32 v8, v8, v9, s20
	v_accvgpr_write_b32 a24, v8
                                        ; implicit-def: $vgpr8
; %bb.384:                              ;   in Loop: Header=BB314_303 Depth=1
	s_andn2_saveexec_b64 s[12:13], s[0:1]
; %bb.385:                              ;   in Loop: Header=BB314_303 Depth=1
	v_or_b32_e32 v9, 0x10000, v8
	v_cmp_eq_u32_sdwa s[0:1], v8, v27 src0_sel:WORD_0 src1_sel:DWORD
	s_nop 1
	v_cndmask_b32_e64 v8, v9, v8, s[0:1]
	v_accvgpr_write_b32 a24, v8
; %bb.386:                              ;   in Loop: Header=BB314_303 Depth=1
	s_or_b64 exec, exec, s[12:13]
	v_and_b32_e32 v61, 0xffff0000, v7
	v_lshlrev_b32_e32 v7, 16, v29
	v_mul_f32_e32 v7, v61, v7
	v_and_b32_e32 v8, 0x7f800000, v7
	v_cmp_ne_u32_e64 s[0:1], s17, v8
                                        ; implicit-def: $agpr25
	s_and_saveexec_b64 s[12:13], s[0:1]
	s_xor_b64 s[0:1], exec, s[12:13]
; %bb.387:                              ;   in Loop: Header=BB314_303 Depth=1
	v_bfe_u32 v8, v7, 16, 1
	v_add3_u32 v7, v7, v8, s20
	v_accvgpr_write_b32 a25, v7
                                        ; implicit-def: $vgpr7
; %bb.388:                              ;   in Loop: Header=BB314_303 Depth=1
	s_andn2_saveexec_b64 s[12:13], s[0:1]
; %bb.389:                              ;   in Loop: Header=BB314_303 Depth=1
	v_or_b32_e32 v8, 0x10000, v7
	v_cmp_eq_u32_sdwa s[0:1], v7, v27 src0_sel:WORD_0 src1_sel:DWORD
	s_nop 1
	v_cndmask_b32_e64 v7, v8, v7, s[0:1]
	v_accvgpr_write_b32 a25, v7
; %bb.390:                              ;   in Loop: Header=BB314_303 Depth=1
	s_or_b64 exec, exec, s[12:13]
	v_and_b32_e32 v62, 0xffff0000, v6
	v_lshlrev_b32_e32 v6, 16, v26
	v_mul_f32_e32 v6, v62, v6
	v_and_b32_e32 v7, 0x7f800000, v6
	v_cmp_ne_u32_e64 s[0:1], s17, v7
                                        ; implicit-def: $agpr26
	s_and_saveexec_b64 s[12:13], s[0:1]
	s_xor_b64 s[0:1], exec, s[12:13]
; %bb.391:                              ;   in Loop: Header=BB314_303 Depth=1
	v_bfe_u32 v7, v6, 16, 1
	v_add3_u32 v6, v6, v7, s20
	v_accvgpr_write_b32 a26, v6
                                        ; implicit-def: $vgpr6
; %bb.392:                              ;   in Loop: Header=BB314_303 Depth=1
	s_andn2_saveexec_b64 s[12:13], s[0:1]
; %bb.393:                              ;   in Loop: Header=BB314_303 Depth=1
	v_or_b32_e32 v7, 0x10000, v6
	v_cmp_eq_u32_sdwa s[0:1], v6, v27 src0_sel:WORD_0 src1_sel:DWORD
	s_nop 1
	v_cndmask_b32_e64 v6, v7, v6, s[0:1]
	v_accvgpr_write_b32 a26, v6
; %bb.394:                              ;   in Loop: Header=BB314_303 Depth=1
	s_or_b64 exec, exec, s[12:13]
	v_and_b32_e32 v63, 0xffff0000, v1
	v_lshlrev_b32_e32 v1, 16, v5
	v_mul_f32_e32 v1, v63, v1
	v_and_b32_e32 v5, 0x7f800000, v1
	v_cmp_ne_u32_e64 s[0:1], s17, v5
                                        ; implicit-def: $agpr27
	s_and_saveexec_b64 s[12:13], s[0:1]
	s_xor_b64 s[0:1], exec, s[12:13]
; %bb.395:                              ;   in Loop: Header=BB314_303 Depth=1
	v_bfe_u32 v5, v1, 16, 1
	v_add3_u32 v1, v1, v5, s20
	v_accvgpr_write_b32 a27, v1
                                        ; implicit-def: $vgpr1
; %bb.396:                              ;   in Loop: Header=BB314_303 Depth=1
	s_andn2_saveexec_b64 s[12:13], s[0:1]
; %bb.397:                              ;   in Loop: Header=BB314_303 Depth=1
	v_or_b32_e32 v5, 0x10000, v1
	v_cmp_eq_u32_sdwa s[0:1], v1, v27 src0_sel:WORD_0 src1_sel:DWORD
	s_nop 1
	v_cndmask_b32_e64 v1, v5, v1, s[0:1]
	v_accvgpr_write_b32 a27, v1
; %bb.398:                              ;   in Loop: Header=BB314_303 Depth=1
	s_or_b64 exec, exec, s[12:13]
	v_and_b32_e32 v33, 0xffff0000, v0
	v_lshlrev_b32_e32 v0, 16, v4
	v_mul_f32_e32 v0, v33, v0
	v_and_b32_e32 v1, 0x7f800000, v0
	v_cmp_ne_u32_e64 s[0:1], s17, v1
                                        ; implicit-def: $agpr28
	s_and_saveexec_b64 s[12:13], s[0:1]
	s_xor_b64 s[0:1], exec, s[12:13]
; %bb.399:                              ;   in Loop: Header=BB314_303 Depth=1
	v_bfe_u32 v1, v0, 16, 1
	v_add3_u32 v0, v0, v1, s20
	v_accvgpr_write_b32 a28, v0
                                        ; implicit-def: $vgpr0
; %bb.400:                              ;   in Loop: Header=BB314_303 Depth=1
	s_andn2_saveexec_b64 s[12:13], s[0:1]
; %bb.401:                              ;   in Loop: Header=BB314_303 Depth=1
	v_or_b32_e32 v1, 0x10000, v0
	v_cmp_eq_u32_sdwa s[0:1], v0, v27 src0_sel:WORD_0 src1_sel:DWORD
	s_nop 1
	v_cndmask_b32_e64 v0, v1, v0, s[0:1]
	v_accvgpr_write_b32 a28, v0
; %bb.402:                              ;   in Loop: Header=BB314_303 Depth=1
	s_or_b64 exec, exec, s[12:13]
	flat_load_dwordx2 v[4:5], v[2:3] offset:512
	s_waitcnt vmcnt(0) lgkmcnt(0)
	v_and_b32_e32 v0, 0xff, v4
	v_cvt_f32_fp8_sdwa v0, v0 src0_sel:BYTE_0
	s_nop 0
	v_mul_f32_e32 v1, v38, v0
	v_and_b32_e32 v0, 0x7f800000, v1
	v_cmp_ne_u32_e64 s[0:1], s17, v0
                                        ; implicit-def: $vgpr0
	s_and_saveexec_b64 s[12:13], s[0:1]
	s_xor_b64 s[0:1], exec, s[12:13]
; %bb.403:                              ;   in Loop: Header=BB314_303 Depth=1
	v_bfe_u32 v0, v1, 16, 1
	v_add3_u32 v0, v1, v0, s20
                                        ; implicit-def: $vgpr1
; %bb.404:                              ;   in Loop: Header=BB314_303 Depth=1
	s_andn2_saveexec_b64 s[12:13], s[0:1]
; %bb.405:                              ;   in Loop: Header=BB314_303 Depth=1
	v_or_b32_e32 v0, 0x10000, v1
	v_cmp_eq_u32_sdwa s[0:1], v1, v27 src0_sel:WORD_0 src1_sel:DWORD
	s_nop 1
	v_cndmask_b32_e64 v0, v0, v1, s[0:1]
; %bb.406:                              ;   in Loop: Header=BB314_303 Depth=1
	s_or_b64 exec, exec, s[12:13]
	v_bfe_u32 v1, v4, 8, 8
	v_cvt_f32_fp8_sdwa v1, v1 src0_sel:BYTE_0
	s_nop 0
	v_mul_f32_e32 v6, v38, v1
	v_and_b32_e32 v1, 0x7f800000, v6
	v_cmp_ne_u32_e64 s[0:1], s17, v1
                                        ; implicit-def: $vgpr1
	s_and_saveexec_b64 s[12:13], s[0:1]
	s_xor_b64 s[0:1], exec, s[12:13]
; %bb.407:                              ;   in Loop: Header=BB314_303 Depth=1
	v_bfe_u32 v1, v6, 16, 1
	v_add3_u32 v1, v6, v1, s20
                                        ; implicit-def: $vgpr6
; %bb.408:                              ;   in Loop: Header=BB314_303 Depth=1
	s_andn2_saveexec_b64 s[12:13], s[0:1]
; %bb.409:                              ;   in Loop: Header=BB314_303 Depth=1
	v_or_b32_e32 v1, 0x10000, v6
	v_cmp_eq_u32_sdwa s[0:1], v6, v27 src0_sel:WORD_0 src1_sel:DWORD
	s_nop 1
	v_cndmask_b32_e64 v1, v1, v6, s[0:1]
; %bb.410:                              ;   in Loop: Header=BB314_303 Depth=1
	s_or_b64 exec, exec, s[12:13]
	v_bfe_u32 v6, v4, 16, 8
	v_cvt_f32_fp8_sdwa v6, v6 src0_sel:BYTE_0
	s_nop 0
	v_mul_f32_e32 v7, v38, v6
	v_and_b32_e32 v6, 0x7f800000, v7
	v_cmp_ne_u32_e64 s[0:1], s17, v6
                                        ; implicit-def: $vgpr6
	s_and_saveexec_b64 s[12:13], s[0:1]
	s_xor_b64 s[0:1], exec, s[12:13]
; %bb.411:                              ;   in Loop: Header=BB314_303 Depth=1
	v_bfe_u32 v6, v7, 16, 1
	v_add3_u32 v6, v7, v6, s20
                                        ; implicit-def: $vgpr7
; %bb.412:                              ;   in Loop: Header=BB314_303 Depth=1
	s_andn2_saveexec_b64 s[12:13], s[0:1]
; %bb.413:                              ;   in Loop: Header=BB314_303 Depth=1
	v_or_b32_e32 v6, 0x10000, v7
	v_cmp_eq_u32_sdwa s[0:1], v7, v27 src0_sel:WORD_0 src1_sel:DWORD
	s_nop 1
	v_cndmask_b32_e64 v6, v6, v7, s[0:1]
; %bb.414:                              ;   in Loop: Header=BB314_303 Depth=1
	s_or_b64 exec, exec, s[12:13]
	v_lshrrev_b32_e32 v4, 24, v4
	v_cvt_f32_fp8_sdwa v4, v4 src0_sel:BYTE_0
	s_nop 0
	v_mul_f32_e32 v4, v38, v4
	v_and_b32_e32 v7, 0x7f800000, v4
	v_cmp_ne_u32_e64 s[0:1], s17, v7
                                        ; implicit-def: $vgpr7
	s_and_saveexec_b64 s[12:13], s[0:1]
	s_xor_b64 s[0:1], exec, s[12:13]
; %bb.415:                              ;   in Loop: Header=BB314_303 Depth=1
	v_bfe_u32 v7, v4, 16, 1
	v_add3_u32 v7, v4, v7, s20
                                        ; implicit-def: $vgpr4
; %bb.416:                              ;   in Loop: Header=BB314_303 Depth=1
	s_andn2_saveexec_b64 s[12:13], s[0:1]
; %bb.417:                              ;   in Loop: Header=BB314_303 Depth=1
	v_or_b32_e32 v7, 0x10000, v4
	v_cmp_eq_u32_sdwa s[0:1], v4, v27 src0_sel:WORD_0 src1_sel:DWORD
	s_nop 1
	v_cndmask_b32_e64 v7, v7, v4, s[0:1]
; %bb.418:                              ;   in Loop: Header=BB314_303 Depth=1
	s_or_b64 exec, exec, s[12:13]
	v_and_b32_e32 v4, 0xff, v5
	v_cvt_f32_fp8_sdwa v4, v4 src0_sel:BYTE_0
	s_nop 0
	v_mul_f32_e32 v4, v38, v4
	v_and_b32_e32 v8, 0x7f800000, v4
	v_cmp_ne_u32_e64 s[0:1], s17, v8
                                        ; implicit-def: $vgpr8
	s_and_saveexec_b64 s[12:13], s[0:1]
	s_xor_b64 s[0:1], exec, s[12:13]
; %bb.419:                              ;   in Loop: Header=BB314_303 Depth=1
	v_bfe_u32 v8, v4, 16, 1
	v_add3_u32 v8, v4, v8, s20
                                        ; implicit-def: $vgpr4
; %bb.420:                              ;   in Loop: Header=BB314_303 Depth=1
	s_andn2_saveexec_b64 s[12:13], s[0:1]
; %bb.421:                              ;   in Loop: Header=BB314_303 Depth=1
	v_or_b32_e32 v8, 0x10000, v4
	v_cmp_eq_u32_sdwa s[0:1], v4, v27 src0_sel:WORD_0 src1_sel:DWORD
	s_nop 1
	v_cndmask_b32_e64 v8, v8, v4, s[0:1]
; %bb.422:                              ;   in Loop: Header=BB314_303 Depth=1
	s_or_b64 exec, exec, s[12:13]
	v_bfe_u32 v4, v5, 8, 8
	v_cvt_f32_fp8_sdwa v4, v4 src0_sel:BYTE_0
	s_nop 0
	v_mul_f32_e32 v9, v38, v4
	v_and_b32_e32 v4, 0x7f800000, v9
	v_cmp_ne_u32_e64 s[0:1], s17, v4
                                        ; implicit-def: $vgpr4
	s_and_saveexec_b64 s[12:13], s[0:1]
	s_xor_b64 s[0:1], exec, s[12:13]
; %bb.423:                              ;   in Loop: Header=BB314_303 Depth=1
	v_bfe_u32 v4, v9, 16, 1
	v_add3_u32 v4, v9, v4, s20
                                        ; implicit-def: $vgpr9
; %bb.424:                              ;   in Loop: Header=BB314_303 Depth=1
	s_andn2_saveexec_b64 s[12:13], s[0:1]
; %bb.425:                              ;   in Loop: Header=BB314_303 Depth=1
	v_or_b32_e32 v4, 0x10000, v9
	v_cmp_eq_u32_sdwa s[0:1], v9, v27 src0_sel:WORD_0 src1_sel:DWORD
	s_nop 1
	v_cndmask_b32_e64 v4, v4, v9, s[0:1]
; %bb.426:                              ;   in Loop: Header=BB314_303 Depth=1
	s_or_b64 exec, exec, s[12:13]
	v_bfe_u32 v9, v5, 16, 8
	v_cvt_f32_fp8_sdwa v9, v9 src0_sel:BYTE_0
	s_nop 0
	v_mul_f32_e32 v17, v38, v9
	v_and_b32_e32 v9, 0x7f800000, v17
	v_cmp_ne_u32_e64 s[0:1], s17, v9
                                        ; implicit-def: $vgpr9
	s_and_saveexec_b64 s[12:13], s[0:1]
	s_xor_b64 s[0:1], exec, s[12:13]
; %bb.427:                              ;   in Loop: Header=BB314_303 Depth=1
	v_bfe_u32 v9, v17, 16, 1
	v_add3_u32 v9, v17, v9, s20
                                        ; implicit-def: $vgpr17
; %bb.428:                              ;   in Loop: Header=BB314_303 Depth=1
	s_andn2_saveexec_b64 s[12:13], s[0:1]
; %bb.429:                              ;   in Loop: Header=BB314_303 Depth=1
	v_or_b32_e32 v9, 0x10000, v17
	v_cmp_eq_u32_sdwa s[0:1], v17, v27 src0_sel:WORD_0 src1_sel:DWORD
	s_nop 1
	v_cndmask_b32_e64 v9, v9, v17, s[0:1]
; %bb.430:                              ;   in Loop: Header=BB314_303 Depth=1
	s_or_b64 exec, exec, s[12:13]
	v_lshrrev_b32_e32 v5, 24, v5
	v_cvt_f32_fp8_sdwa v5, v5 src0_sel:BYTE_0
                                        ; implicit-def: $vgpr18
	s_nop 0
	v_mul_f32_e32 v5, v38, v5
	v_and_b32_e32 v16, 0x7f800000, v5
	v_cmp_ne_u32_e64 s[0:1], s17, v16
	s_and_saveexec_b64 s[12:13], s[0:1]
	s_xor_b64 s[0:1], exec, s[12:13]
; %bb.431:                              ;   in Loop: Header=BB314_303 Depth=1
	v_bfe_u32 v16, v5, 16, 1
	v_add3_u32 v18, v5, v16, s20
                                        ; implicit-def: $vgpr5
; %bb.432:                              ;   in Loop: Header=BB314_303 Depth=1
	s_andn2_saveexec_b64 s[12:13], s[0:1]
; %bb.433:                              ;   in Loop: Header=BB314_303 Depth=1
	v_or_b32_e32 v16, 0x10000, v5
	v_cmp_eq_u32_sdwa s[0:1], v5, v27 src0_sel:WORD_0 src1_sel:DWORD
	s_nop 1
	v_cndmask_b32_e64 v18, v16, v5, s[0:1]
; %bb.434:                              ;   in Loop: Header=BB314_303 Depth=1
	s_or_b64 exec, exec, s[12:13]
	v_lshrrev_b32_e32 v4, 16, v4
	v_lshrrev_b32_e32 v5, 16, v8
	;; [unrolled: 1-line block ×8, first 2 shown]
	s_and_saveexec_b64 s[12:13], vcc
	s_cbranch_execz .LBB314_436
; %bb.435:                              ;   in Loop: Header=BB314_303 Depth=1
	scratch_load_dword v9, off, s32 offset:192 ; 4-byte Folded Reload
	v_accvgpr_read_b32 v16, a35
	s_waitcnt vmcnt(0)
	v_cmp_lt_i32_e64 s[0:1], v50, v9
	s_nop 1
	v_cndmask_b32_e64 v17, 0, v17, s[0:1]
	v_cmp_lt_i32_e64 s[0:1], v16, v9
	v_accvgpr_read_b32 v16, a34
	s_nop 0
	v_cndmask_b32_e64 v8, 0, v8, s[0:1]
	v_cmp_lt_i32_e64 s[0:1], v16, v9
	v_accvgpr_read_b32 v16, a33
	;; [unrolled: 4-line block ×6, first 2 shown]
	s_nop 0
	v_cndmask_b32_e64 v1, 0, v1, s[0:1]
	v_cmp_lt_i32_e64 s[0:1], v16, v9
	s_nop 1
	v_cndmask_b32_e64 v0, 0, v0, s[0:1]
.LBB314_436:                            ;   in Loop: Header=BB314_303 Depth=1
	s_or_b64 exec, exec, s[12:13]
	v_lshlrev_b32_e32 v9, 16, v17
	v_mul_f32_e32 v9, v42, v9
	v_and_b32_e32 v16, 0x7f800000, v9
	v_cmp_ne_u32_e64 s[0:1], s17, v16
                                        ; implicit-def: $agpr36
	s_and_saveexec_b64 s[12:13], s[0:1]
	s_xor_b64 s[0:1], exec, s[12:13]
; %bb.437:                              ;   in Loop: Header=BB314_303 Depth=1
	v_bfe_u32 v16, v9, 16, 1
	v_add3_u32 v9, v9, v16, s20
	v_accvgpr_write_b32 a36, v9
                                        ; implicit-def: $vgpr9
; %bb.438:                              ;   in Loop: Header=BB314_303 Depth=1
	s_andn2_saveexec_b64 s[12:13], s[0:1]
; %bb.439:                              ;   in Loop: Header=BB314_303 Depth=1
	v_or_b32_e32 v16, 0x10000, v9
	v_cmp_eq_u32_sdwa s[0:1], v9, v27 src0_sel:WORD_0 src1_sel:DWORD
	s_nop 1
	v_cndmask_b32_e64 v9, v16, v9, s[0:1]
	v_accvgpr_write_b32 a36, v9
; %bb.440:                              ;   in Loop: Header=BB314_303 Depth=1
	s_or_b64 exec, exec, s[12:13]
	v_lshlrev_b32_e32 v8, 16, v8
	v_mul_f32_e32 v8, v43, v8
	v_and_b32_e32 v9, 0x7f800000, v8
	v_cmp_ne_u32_e64 s[0:1], s17, v9
                                        ; implicit-def: $agpr37
	s_and_saveexec_b64 s[12:13], s[0:1]
	s_xor_b64 s[0:1], exec, s[12:13]
; %bb.441:                              ;   in Loop: Header=BB314_303 Depth=1
	v_bfe_u32 v9, v8, 16, 1
	v_add3_u32 v8, v8, v9, s20
	v_accvgpr_write_b32 a37, v8
                                        ; implicit-def: $vgpr8
; %bb.442:                              ;   in Loop: Header=BB314_303 Depth=1
	s_andn2_saveexec_b64 s[12:13], s[0:1]
; %bb.443:                              ;   in Loop: Header=BB314_303 Depth=1
	v_or_b32_e32 v9, 0x10000, v8
	v_cmp_eq_u32_sdwa s[0:1], v8, v27 src0_sel:WORD_0 src1_sel:DWORD
	s_nop 1
	v_cndmask_b32_e64 v8, v9, v8, s[0:1]
	v_accvgpr_write_b32 a37, v8
; %bb.444:                              ;   in Loop: Header=BB314_303 Depth=1
	s_or_b64 exec, exec, s[12:13]
	v_lshlrev_b32_e32 v6, 16, v6
	v_mul_f32_e32 v6, v44, v6
	v_and_b32_e32 v8, 0x7f800000, v6
	v_cmp_ne_u32_e64 s[0:1], s17, v8
                                        ; implicit-def: $agpr38
	s_and_saveexec_b64 s[12:13], s[0:1]
	s_xor_b64 s[0:1], exec, s[12:13]
; %bb.445:                              ;   in Loop: Header=BB314_303 Depth=1
	v_bfe_u32 v8, v6, 16, 1
	v_add3_u32 v6, v6, v8, s20
	v_accvgpr_write_b32 a38, v6
                                        ; implicit-def: $vgpr6
; %bb.446:                              ;   in Loop: Header=BB314_303 Depth=1
	s_andn2_saveexec_b64 s[12:13], s[0:1]
; %bb.447:                              ;   in Loop: Header=BB314_303 Depth=1
	v_or_b32_e32 v8, 0x10000, v6
	v_cmp_eq_u32_sdwa s[0:1], v6, v27 src0_sel:WORD_0 src1_sel:DWORD
	s_nop 1
	v_cndmask_b32_e64 v6, v8, v6, s[0:1]
	v_accvgpr_write_b32 a38, v6
; %bb.448:                              ;   in Loop: Header=BB314_303 Depth=1
	s_or_b64 exec, exec, s[12:13]
	v_lshlrev_b32_e32 v6, 16, v7
	v_mul_f32_e32 v6, v45, v6
	v_and_b32_e32 v7, 0x7f800000, v6
	v_cmp_ne_u32_e64 s[0:1], s17, v7
                                        ; implicit-def: $agpr39
	s_and_saveexec_b64 s[12:13], s[0:1]
	s_xor_b64 s[0:1], exec, s[12:13]
; %bb.449:                              ;   in Loop: Header=BB314_303 Depth=1
	v_bfe_u32 v7, v6, 16, 1
	v_add3_u32 v6, v6, v7, s20
	v_accvgpr_write_b32 a39, v6
                                        ; implicit-def: $vgpr6
; %bb.450:                              ;   in Loop: Header=BB314_303 Depth=1
	s_andn2_saveexec_b64 s[12:13], s[0:1]
; %bb.451:                              ;   in Loop: Header=BB314_303 Depth=1
	v_or_b32_e32 v7, 0x10000, v6
	v_cmp_eq_u32_sdwa s[0:1], v6, v27 src0_sel:WORD_0 src1_sel:DWORD
	s_nop 1
	v_cndmask_b32_e64 v6, v7, v6, s[0:1]
	v_accvgpr_write_b32 a39, v6
; %bb.452:                              ;   in Loop: Header=BB314_303 Depth=1
	s_or_b64 exec, exec, s[12:13]
	v_lshlrev_b32_e32 v5, 16, v5
	v_mul_f32_e32 v5, v61, v5
	v_and_b32_e32 v6, 0x7f800000, v5
	v_cmp_ne_u32_e64 s[0:1], s17, v6
                                        ; implicit-def: $agpr40
	s_and_saveexec_b64 s[12:13], s[0:1]
	s_xor_b64 s[0:1], exec, s[12:13]
; %bb.453:                              ;   in Loop: Header=BB314_303 Depth=1
	v_bfe_u32 v6, v5, 16, 1
	v_add3_u32 v5, v5, v6, s20
	v_accvgpr_write_b32 a40, v5
                                        ; implicit-def: $vgpr5
; %bb.454:                              ;   in Loop: Header=BB314_303 Depth=1
	s_andn2_saveexec_b64 s[12:13], s[0:1]
; %bb.455:                              ;   in Loop: Header=BB314_303 Depth=1
	v_or_b32_e32 v6, 0x10000, v5
	v_cmp_eq_u32_sdwa s[0:1], v5, v27 src0_sel:WORD_0 src1_sel:DWORD
	s_nop 1
	v_cndmask_b32_e64 v5, v6, v5, s[0:1]
	v_accvgpr_write_b32 a40, v5
; %bb.456:                              ;   in Loop: Header=BB314_303 Depth=1
	s_or_b64 exec, exec, s[12:13]
	v_lshlrev_b32_e32 v4, 16, v4
	v_mul_f32_e32 v4, v62, v4
	v_and_b32_e32 v5, 0x7f800000, v4
	v_cmp_ne_u32_e64 s[0:1], s17, v5
                                        ; implicit-def: $agpr41
	s_and_saveexec_b64 s[12:13], s[0:1]
	s_xor_b64 s[0:1], exec, s[12:13]
; %bb.457:                              ;   in Loop: Header=BB314_303 Depth=1
	v_bfe_u32 v5, v4, 16, 1
	v_add3_u32 v4, v4, v5, s20
	v_accvgpr_write_b32 a41, v4
                                        ; implicit-def: $vgpr4
; %bb.458:                              ;   in Loop: Header=BB314_303 Depth=1
	s_andn2_saveexec_b64 s[12:13], s[0:1]
; %bb.459:                              ;   in Loop: Header=BB314_303 Depth=1
	v_or_b32_e32 v5, 0x10000, v4
	v_cmp_eq_u32_sdwa s[0:1], v4, v27 src0_sel:WORD_0 src1_sel:DWORD
	s_nop 1
	v_cndmask_b32_e64 v4, v5, v4, s[0:1]
	v_accvgpr_write_b32 a41, v4
; %bb.460:                              ;   in Loop: Header=BB314_303 Depth=1
	s_or_b64 exec, exec, s[12:13]
	v_lshlrev_b32_e32 v1, 16, v1
	v_mul_f32_e32 v1, v63, v1
	v_and_b32_e32 v4, 0x7f800000, v1
	v_cmp_ne_u32_e64 s[0:1], s17, v4
                                        ; implicit-def: $agpr42
	s_and_saveexec_b64 s[12:13], s[0:1]
	s_xor_b64 s[0:1], exec, s[12:13]
; %bb.461:                              ;   in Loop: Header=BB314_303 Depth=1
	v_bfe_u32 v4, v1, 16, 1
	v_add3_u32 v1, v1, v4, s20
	v_accvgpr_write_b32 a42, v1
                                        ; implicit-def: $vgpr1
; %bb.462:                              ;   in Loop: Header=BB314_303 Depth=1
	s_andn2_saveexec_b64 s[12:13], s[0:1]
; %bb.463:                              ;   in Loop: Header=BB314_303 Depth=1
	v_or_b32_e32 v4, 0x10000, v1
	v_cmp_eq_u32_sdwa s[0:1], v1, v27 src0_sel:WORD_0 src1_sel:DWORD
	s_nop 1
	v_cndmask_b32_e64 v1, v4, v1, s[0:1]
	v_accvgpr_write_b32 a42, v1
; %bb.464:                              ;   in Loop: Header=BB314_303 Depth=1
	s_or_b64 exec, exec, s[12:13]
	v_lshlrev_b32_e32 v0, 16, v0
	v_mul_f32_e32 v0, v33, v0
	v_and_b32_e32 v1, 0x7f800000, v0
	v_cmp_ne_u32_e64 s[0:1], s17, v1
                                        ; implicit-def: $agpr43
	s_and_saveexec_b64 s[12:13], s[0:1]
	s_xor_b64 s[0:1], exec, s[12:13]
; %bb.465:                              ;   in Loop: Header=BB314_303 Depth=1
	v_bfe_u32 v1, v0, 16, 1
	v_add3_u32 v0, v0, v1, s20
	v_accvgpr_write_b32 a43, v0
                                        ; implicit-def: $vgpr0
; %bb.466:                              ;   in Loop: Header=BB314_303 Depth=1
	s_andn2_saveexec_b64 s[12:13], s[0:1]
; %bb.467:                              ;   in Loop: Header=BB314_303 Depth=1
	v_or_b32_e32 v1, 0x10000, v0
	v_cmp_eq_u32_sdwa s[0:1], v0, v27 src0_sel:WORD_0 src1_sel:DWORD
	s_nop 1
	v_cndmask_b32_e64 v0, v1, v0, s[0:1]
	v_accvgpr_write_b32 a43, v0
; %bb.468:                              ;   in Loop: Header=BB314_303 Depth=1
	s_or_b64 exec, exec, s[12:13]
	flat_load_dwordx2 v[4:5], v[2:3] offset:1024
	s_waitcnt vmcnt(0) lgkmcnt(0)
	v_and_b32_e32 v0, 0xff, v4
	v_cvt_f32_fp8_sdwa v0, v0 src0_sel:BYTE_0
	s_nop 0
	v_mul_f32_e32 v1, v38, v0
	v_and_b32_e32 v0, 0x7f800000, v1
	v_cmp_ne_u32_e64 s[0:1], s17, v0
                                        ; implicit-def: $vgpr0
	s_and_saveexec_b64 s[12:13], s[0:1]
	s_xor_b64 s[0:1], exec, s[12:13]
; %bb.469:                              ;   in Loop: Header=BB314_303 Depth=1
	v_bfe_u32 v0, v1, 16, 1
	v_add3_u32 v0, v1, v0, s20
                                        ; implicit-def: $vgpr1
; %bb.470:                              ;   in Loop: Header=BB314_303 Depth=1
	s_andn2_saveexec_b64 s[12:13], s[0:1]
; %bb.471:                              ;   in Loop: Header=BB314_303 Depth=1
	v_or_b32_e32 v0, 0x10000, v1
	v_cmp_eq_u32_sdwa s[0:1], v1, v27 src0_sel:WORD_0 src1_sel:DWORD
	s_nop 1
	v_cndmask_b32_e64 v0, v0, v1, s[0:1]
; %bb.472:                              ;   in Loop: Header=BB314_303 Depth=1
	s_or_b64 exec, exec, s[12:13]
	v_bfe_u32 v1, v4, 8, 8
	v_cvt_f32_fp8_sdwa v1, v1 src0_sel:BYTE_0
	s_nop 0
	v_mul_f32_e32 v6, v38, v1
	v_and_b32_e32 v1, 0x7f800000, v6
	v_cmp_ne_u32_e64 s[0:1], s17, v1
                                        ; implicit-def: $vgpr1
	s_and_saveexec_b64 s[12:13], s[0:1]
	s_xor_b64 s[0:1], exec, s[12:13]
; %bb.473:                              ;   in Loop: Header=BB314_303 Depth=1
	v_bfe_u32 v1, v6, 16, 1
	v_add3_u32 v1, v6, v1, s20
                                        ; implicit-def: $vgpr6
; %bb.474:                              ;   in Loop: Header=BB314_303 Depth=1
	s_andn2_saveexec_b64 s[12:13], s[0:1]
; %bb.475:                              ;   in Loop: Header=BB314_303 Depth=1
	v_or_b32_e32 v1, 0x10000, v6
	v_cmp_eq_u32_sdwa s[0:1], v6, v27 src0_sel:WORD_0 src1_sel:DWORD
	s_nop 1
	v_cndmask_b32_e64 v1, v1, v6, s[0:1]
; %bb.476:                              ;   in Loop: Header=BB314_303 Depth=1
	s_or_b64 exec, exec, s[12:13]
	v_bfe_u32 v6, v4, 16, 8
	v_cvt_f32_fp8_sdwa v6, v6 src0_sel:BYTE_0
	s_nop 0
	v_mul_f32_e32 v7, v38, v6
	v_and_b32_e32 v6, 0x7f800000, v7
	v_cmp_ne_u32_e64 s[0:1], s17, v6
                                        ; implicit-def: $vgpr6
	s_and_saveexec_b64 s[12:13], s[0:1]
	s_xor_b64 s[0:1], exec, s[12:13]
; %bb.477:                              ;   in Loop: Header=BB314_303 Depth=1
	v_bfe_u32 v6, v7, 16, 1
	v_add3_u32 v6, v7, v6, s20
                                        ; implicit-def: $vgpr7
; %bb.478:                              ;   in Loop: Header=BB314_303 Depth=1
	s_andn2_saveexec_b64 s[12:13], s[0:1]
; %bb.479:                              ;   in Loop: Header=BB314_303 Depth=1
	v_or_b32_e32 v6, 0x10000, v7
	v_cmp_eq_u32_sdwa s[0:1], v7, v27 src0_sel:WORD_0 src1_sel:DWORD
	s_nop 1
	v_cndmask_b32_e64 v6, v6, v7, s[0:1]
; %bb.480:                              ;   in Loop: Header=BB314_303 Depth=1
	s_or_b64 exec, exec, s[12:13]
	v_lshrrev_b32_e32 v4, 24, v4
	v_cvt_f32_fp8_sdwa v4, v4 src0_sel:BYTE_0
	s_nop 0
	v_mul_f32_e32 v4, v38, v4
	v_and_b32_e32 v7, 0x7f800000, v4
	v_cmp_ne_u32_e64 s[0:1], s17, v7
                                        ; implicit-def: $vgpr7
	s_and_saveexec_b64 s[12:13], s[0:1]
	s_xor_b64 s[0:1], exec, s[12:13]
; %bb.481:                              ;   in Loop: Header=BB314_303 Depth=1
	v_bfe_u32 v7, v4, 16, 1
	v_add3_u32 v7, v4, v7, s20
                                        ; implicit-def: $vgpr4
; %bb.482:                              ;   in Loop: Header=BB314_303 Depth=1
	s_andn2_saveexec_b64 s[12:13], s[0:1]
; %bb.483:                              ;   in Loop: Header=BB314_303 Depth=1
	v_or_b32_e32 v7, 0x10000, v4
	v_cmp_eq_u32_sdwa s[0:1], v4, v27 src0_sel:WORD_0 src1_sel:DWORD
	s_nop 1
	v_cndmask_b32_e64 v7, v7, v4, s[0:1]
; %bb.484:                              ;   in Loop: Header=BB314_303 Depth=1
	s_or_b64 exec, exec, s[12:13]
	v_and_b32_e32 v4, 0xff, v5
	v_cvt_f32_fp8_sdwa v4, v4 src0_sel:BYTE_0
	s_nop 0
	v_mul_f32_e32 v4, v38, v4
	v_and_b32_e32 v8, 0x7f800000, v4
	v_cmp_ne_u32_e64 s[0:1], s17, v8
                                        ; implicit-def: $vgpr8
	s_and_saveexec_b64 s[12:13], s[0:1]
	s_xor_b64 s[0:1], exec, s[12:13]
; %bb.485:                              ;   in Loop: Header=BB314_303 Depth=1
	v_bfe_u32 v8, v4, 16, 1
	v_add3_u32 v8, v4, v8, s20
                                        ; implicit-def: $vgpr4
; %bb.486:                              ;   in Loop: Header=BB314_303 Depth=1
	s_andn2_saveexec_b64 s[12:13], s[0:1]
; %bb.487:                              ;   in Loop: Header=BB314_303 Depth=1
	v_or_b32_e32 v8, 0x10000, v4
	v_cmp_eq_u32_sdwa s[0:1], v4, v27 src0_sel:WORD_0 src1_sel:DWORD
	s_nop 1
	v_cndmask_b32_e64 v8, v8, v4, s[0:1]
; %bb.488:                              ;   in Loop: Header=BB314_303 Depth=1
	s_or_b64 exec, exec, s[12:13]
	v_bfe_u32 v4, v5, 8, 8
	v_cvt_f32_fp8_sdwa v4, v4 src0_sel:BYTE_0
	s_nop 0
	v_mul_f32_e32 v9, v38, v4
	v_and_b32_e32 v4, 0x7f800000, v9
	v_cmp_ne_u32_e64 s[0:1], s17, v4
                                        ; implicit-def: $vgpr4
	s_and_saveexec_b64 s[12:13], s[0:1]
	s_xor_b64 s[0:1], exec, s[12:13]
; %bb.489:                              ;   in Loop: Header=BB314_303 Depth=1
	v_bfe_u32 v4, v9, 16, 1
	v_add3_u32 v4, v9, v4, s20
                                        ; implicit-def: $vgpr9
; %bb.490:                              ;   in Loop: Header=BB314_303 Depth=1
	s_andn2_saveexec_b64 s[12:13], s[0:1]
; %bb.491:                              ;   in Loop: Header=BB314_303 Depth=1
	v_or_b32_e32 v4, 0x10000, v9
	v_cmp_eq_u32_sdwa s[0:1], v9, v27 src0_sel:WORD_0 src1_sel:DWORD
	s_nop 1
	v_cndmask_b32_e64 v4, v4, v9, s[0:1]
; %bb.492:                              ;   in Loop: Header=BB314_303 Depth=1
	s_or_b64 exec, exec, s[12:13]
	v_bfe_u32 v9, v5, 16, 8
	v_cvt_f32_fp8_sdwa v9, v9 src0_sel:BYTE_0
	s_nop 0
	v_mul_f32_e32 v17, v38, v9
	v_and_b32_e32 v9, 0x7f800000, v17
	v_cmp_ne_u32_e64 s[0:1], s17, v9
                                        ; implicit-def: $vgpr9
	s_and_saveexec_b64 s[12:13], s[0:1]
	s_xor_b64 s[0:1], exec, s[12:13]
; %bb.493:                              ;   in Loop: Header=BB314_303 Depth=1
	v_bfe_u32 v9, v17, 16, 1
	v_add3_u32 v9, v17, v9, s20
                                        ; implicit-def: $vgpr17
; %bb.494:                              ;   in Loop: Header=BB314_303 Depth=1
	s_andn2_saveexec_b64 s[12:13], s[0:1]
; %bb.495:                              ;   in Loop: Header=BB314_303 Depth=1
	v_or_b32_e32 v9, 0x10000, v17
	v_cmp_eq_u32_sdwa s[0:1], v17, v27 src0_sel:WORD_0 src1_sel:DWORD
	s_nop 1
	v_cndmask_b32_e64 v9, v9, v17, s[0:1]
; %bb.496:                              ;   in Loop: Header=BB314_303 Depth=1
	s_or_b64 exec, exec, s[12:13]
	v_lshrrev_b32_e32 v5, 24, v5
	v_cvt_f32_fp8_sdwa v5, v5 src0_sel:BYTE_0
                                        ; implicit-def: $vgpr18
	s_nop 0
	v_mul_f32_e32 v5, v38, v5
	v_and_b32_e32 v16, 0x7f800000, v5
	v_cmp_ne_u32_e64 s[0:1], s17, v16
	s_and_saveexec_b64 s[12:13], s[0:1]
	s_xor_b64 s[0:1], exec, s[12:13]
; %bb.497:                              ;   in Loop: Header=BB314_303 Depth=1
	v_bfe_u32 v16, v5, 16, 1
	v_add3_u32 v18, v5, v16, s20
                                        ; implicit-def: $vgpr5
; %bb.498:                              ;   in Loop: Header=BB314_303 Depth=1
	s_andn2_saveexec_b64 s[12:13], s[0:1]
; %bb.499:                              ;   in Loop: Header=BB314_303 Depth=1
	v_or_b32_e32 v16, 0x10000, v5
	v_cmp_eq_u32_sdwa s[0:1], v5, v27 src0_sel:WORD_0 src1_sel:DWORD
	s_nop 1
	v_cndmask_b32_e64 v18, v16, v5, s[0:1]
; %bb.500:                              ;   in Loop: Header=BB314_303 Depth=1
	s_or_b64 exec, exec, s[12:13]
	v_lshrrev_b32_e32 v4, 16, v4
	v_lshrrev_b32_e32 v5, 16, v8
	;; [unrolled: 1-line block ×8, first 2 shown]
	s_and_saveexec_b64 s[12:13], vcc
	s_cbranch_execz .LBB314_502
; %bb.501:                              ;   in Loop: Header=BB314_303 Depth=1
	scratch_load_dword v9, off, s32 offset:192 ; 4-byte Folded Reload
	v_accvgpr_read_b32 v16, a35
	s_waitcnt vmcnt(0)
	v_cmp_lt_i32_e64 s[0:1], v50, v9
	s_nop 1
	v_cndmask_b32_e64 v17, 0, v17, s[0:1]
	v_cmp_lt_i32_e64 s[0:1], v16, v9
	v_accvgpr_read_b32 v16, a34
	s_nop 0
	v_cndmask_b32_e64 v8, 0, v8, s[0:1]
	v_cmp_lt_i32_e64 s[0:1], v16, v9
	v_accvgpr_read_b32 v16, a33
	;; [unrolled: 4-line block ×6, first 2 shown]
	s_nop 0
	v_cndmask_b32_e64 v1, 0, v1, s[0:1]
	v_cmp_lt_i32_e64 s[0:1], v16, v9
	s_nop 1
	v_cndmask_b32_e64 v0, 0, v0, s[0:1]
.LBB314_502:                            ;   in Loop: Header=BB314_303 Depth=1
	s_or_b64 exec, exec, s[12:13]
	v_lshlrev_b32_e32 v9, 16, v17
	v_mul_f32_e32 v9, v42, v9
	v_and_b32_e32 v16, 0x7f800000, v9
	v_cmp_ne_u32_e64 s[0:1], s17, v16
                                        ; implicit-def: $agpr44
	s_and_saveexec_b64 s[12:13], s[0:1]
	s_xor_b64 s[0:1], exec, s[12:13]
; %bb.503:                              ;   in Loop: Header=BB314_303 Depth=1
	v_bfe_u32 v16, v9, 16, 1
	v_add3_u32 v9, v9, v16, s20
	v_accvgpr_write_b32 a44, v9
                                        ; implicit-def: $vgpr9
; %bb.504:                              ;   in Loop: Header=BB314_303 Depth=1
	s_andn2_saveexec_b64 s[12:13], s[0:1]
; %bb.505:                              ;   in Loop: Header=BB314_303 Depth=1
	v_or_b32_e32 v16, 0x10000, v9
	v_cmp_eq_u32_sdwa s[0:1], v9, v27 src0_sel:WORD_0 src1_sel:DWORD
	s_nop 1
	v_cndmask_b32_e64 v9, v16, v9, s[0:1]
	v_accvgpr_write_b32 a44, v9
; %bb.506:                              ;   in Loop: Header=BB314_303 Depth=1
	s_or_b64 exec, exec, s[12:13]
	v_lshlrev_b32_e32 v8, 16, v8
	v_mul_f32_e32 v8, v43, v8
	v_and_b32_e32 v9, 0x7f800000, v8
	v_cmp_ne_u32_e64 s[0:1], s17, v9
                                        ; implicit-def: $agpr45
	s_and_saveexec_b64 s[12:13], s[0:1]
	s_xor_b64 s[0:1], exec, s[12:13]
; %bb.507:                              ;   in Loop: Header=BB314_303 Depth=1
	v_bfe_u32 v9, v8, 16, 1
	v_add3_u32 v8, v8, v9, s20
	v_accvgpr_write_b32 a45, v8
                                        ; implicit-def: $vgpr8
; %bb.508:                              ;   in Loop: Header=BB314_303 Depth=1
	s_andn2_saveexec_b64 s[12:13], s[0:1]
; %bb.509:                              ;   in Loop: Header=BB314_303 Depth=1
	v_or_b32_e32 v9, 0x10000, v8
	v_cmp_eq_u32_sdwa s[0:1], v8, v27 src0_sel:WORD_0 src1_sel:DWORD
	s_nop 1
	v_cndmask_b32_e64 v8, v9, v8, s[0:1]
	v_accvgpr_write_b32 a45, v8
; %bb.510:                              ;   in Loop: Header=BB314_303 Depth=1
	s_or_b64 exec, exec, s[12:13]
	v_lshlrev_b32_e32 v6, 16, v6
	v_mul_f32_e32 v6, v44, v6
	v_and_b32_e32 v8, 0x7f800000, v6
	v_cmp_ne_u32_e64 s[0:1], s17, v8
                                        ; implicit-def: $agpr46
	s_and_saveexec_b64 s[12:13], s[0:1]
	s_xor_b64 s[0:1], exec, s[12:13]
; %bb.511:                              ;   in Loop: Header=BB314_303 Depth=1
	v_bfe_u32 v8, v6, 16, 1
	v_add3_u32 v6, v6, v8, s20
	v_accvgpr_write_b32 a46, v6
                                        ; implicit-def: $vgpr6
; %bb.512:                              ;   in Loop: Header=BB314_303 Depth=1
	s_andn2_saveexec_b64 s[12:13], s[0:1]
; %bb.513:                              ;   in Loop: Header=BB314_303 Depth=1
	v_or_b32_e32 v8, 0x10000, v6
	v_cmp_eq_u32_sdwa s[0:1], v6, v27 src0_sel:WORD_0 src1_sel:DWORD
	s_nop 1
	v_cndmask_b32_e64 v6, v8, v6, s[0:1]
	v_accvgpr_write_b32 a46, v6
; %bb.514:                              ;   in Loop: Header=BB314_303 Depth=1
	s_or_b64 exec, exec, s[12:13]
	v_lshlrev_b32_e32 v6, 16, v7
	v_mul_f32_e32 v6, v45, v6
	v_and_b32_e32 v7, 0x7f800000, v6
	v_cmp_ne_u32_e64 s[0:1], s17, v7
                                        ; implicit-def: $agpr47
	s_and_saveexec_b64 s[12:13], s[0:1]
	s_xor_b64 s[0:1], exec, s[12:13]
; %bb.515:                              ;   in Loop: Header=BB314_303 Depth=1
	v_bfe_u32 v7, v6, 16, 1
	v_add3_u32 v6, v6, v7, s20
	v_accvgpr_write_b32 a47, v6
                                        ; implicit-def: $vgpr6
; %bb.516:                              ;   in Loop: Header=BB314_303 Depth=1
	s_andn2_saveexec_b64 s[12:13], s[0:1]
; %bb.517:                              ;   in Loop: Header=BB314_303 Depth=1
	v_or_b32_e32 v7, 0x10000, v6
	v_cmp_eq_u32_sdwa s[0:1], v6, v27 src0_sel:WORD_0 src1_sel:DWORD
	s_nop 1
	v_cndmask_b32_e64 v6, v7, v6, s[0:1]
	v_accvgpr_write_b32 a47, v6
; %bb.518:                              ;   in Loop: Header=BB314_303 Depth=1
	s_or_b64 exec, exec, s[12:13]
	v_lshlrev_b32_e32 v5, 16, v5
	v_mul_f32_e32 v5, v61, v5
	v_and_b32_e32 v6, 0x7f800000, v5
	v_cmp_ne_u32_e64 s[0:1], s17, v6
                                        ; implicit-def: $agpr48
	s_and_saveexec_b64 s[12:13], s[0:1]
	s_xor_b64 s[0:1], exec, s[12:13]
; %bb.519:                              ;   in Loop: Header=BB314_303 Depth=1
	v_bfe_u32 v6, v5, 16, 1
	v_add3_u32 v5, v5, v6, s20
	v_accvgpr_write_b32 a48, v5
                                        ; implicit-def: $vgpr5
; %bb.520:                              ;   in Loop: Header=BB314_303 Depth=1
	s_andn2_saveexec_b64 s[12:13], s[0:1]
; %bb.521:                              ;   in Loop: Header=BB314_303 Depth=1
	v_or_b32_e32 v6, 0x10000, v5
	v_cmp_eq_u32_sdwa s[0:1], v5, v27 src0_sel:WORD_0 src1_sel:DWORD
	s_nop 1
	v_cndmask_b32_e64 v5, v6, v5, s[0:1]
	v_accvgpr_write_b32 a48, v5
; %bb.522:                              ;   in Loop: Header=BB314_303 Depth=1
	s_or_b64 exec, exec, s[12:13]
	v_lshlrev_b32_e32 v4, 16, v4
	v_mul_f32_e32 v4, v62, v4
	v_and_b32_e32 v5, 0x7f800000, v4
	v_cmp_ne_u32_e64 s[0:1], s17, v5
                                        ; implicit-def: $agpr49
	s_and_saveexec_b64 s[12:13], s[0:1]
	s_xor_b64 s[0:1], exec, s[12:13]
; %bb.523:                              ;   in Loop: Header=BB314_303 Depth=1
	v_bfe_u32 v5, v4, 16, 1
	v_add3_u32 v4, v4, v5, s20
	v_accvgpr_write_b32 a49, v4
                                        ; implicit-def: $vgpr4
; %bb.524:                              ;   in Loop: Header=BB314_303 Depth=1
	s_andn2_saveexec_b64 s[12:13], s[0:1]
; %bb.525:                              ;   in Loop: Header=BB314_303 Depth=1
	v_or_b32_e32 v5, 0x10000, v4
	v_cmp_eq_u32_sdwa s[0:1], v4, v27 src0_sel:WORD_0 src1_sel:DWORD
	s_nop 1
	v_cndmask_b32_e64 v4, v5, v4, s[0:1]
	v_accvgpr_write_b32 a49, v4
; %bb.526:                              ;   in Loop: Header=BB314_303 Depth=1
	s_or_b64 exec, exec, s[12:13]
	v_lshlrev_b32_e32 v1, 16, v1
	v_mul_f32_e32 v1, v63, v1
	v_and_b32_e32 v4, 0x7f800000, v1
	v_cmp_ne_u32_e64 s[0:1], s17, v4
                                        ; implicit-def: $agpr50
	s_and_saveexec_b64 s[12:13], s[0:1]
	s_xor_b64 s[0:1], exec, s[12:13]
; %bb.527:                              ;   in Loop: Header=BB314_303 Depth=1
	v_bfe_u32 v4, v1, 16, 1
	v_add3_u32 v1, v1, v4, s20
	v_accvgpr_write_b32 a50, v1
                                        ; implicit-def: $vgpr1
; %bb.528:                              ;   in Loop: Header=BB314_303 Depth=1
	s_andn2_saveexec_b64 s[12:13], s[0:1]
; %bb.529:                              ;   in Loop: Header=BB314_303 Depth=1
	v_or_b32_e32 v4, 0x10000, v1
	v_cmp_eq_u32_sdwa s[0:1], v1, v27 src0_sel:WORD_0 src1_sel:DWORD
	s_nop 1
	v_cndmask_b32_e64 v1, v4, v1, s[0:1]
	v_accvgpr_write_b32 a50, v1
; %bb.530:                              ;   in Loop: Header=BB314_303 Depth=1
	s_or_b64 exec, exec, s[12:13]
	v_lshlrev_b32_e32 v0, 16, v0
	v_mul_f32_e32 v0, v33, v0
	v_and_b32_e32 v1, 0x7f800000, v0
	v_cmp_ne_u32_e64 s[0:1], s17, v1
                                        ; implicit-def: $agpr51
	s_and_saveexec_b64 s[12:13], s[0:1]
	s_xor_b64 s[0:1], exec, s[12:13]
; %bb.531:                              ;   in Loop: Header=BB314_303 Depth=1
	v_bfe_u32 v1, v0, 16, 1
	v_add3_u32 v0, v0, v1, s20
	v_accvgpr_write_b32 a51, v0
                                        ; implicit-def: $vgpr0
; %bb.532:                              ;   in Loop: Header=BB314_303 Depth=1
	s_andn2_saveexec_b64 s[12:13], s[0:1]
; %bb.533:                              ;   in Loop: Header=BB314_303 Depth=1
	v_or_b32_e32 v1, 0x10000, v0
	v_cmp_eq_u32_sdwa s[0:1], v0, v27 src0_sel:WORD_0 src1_sel:DWORD
	s_nop 1
	v_cndmask_b32_e64 v0, v1, v0, s[0:1]
	v_accvgpr_write_b32 a51, v0
; %bb.534:                              ;   in Loop: Header=BB314_303 Depth=1
	s_or_b64 exec, exec, s[12:13]
	flat_load_dwordx2 v[4:5], v[2:3] offset:1536
	s_waitcnt vmcnt(0) lgkmcnt(0)
	v_and_b32_e32 v0, 0xff, v4
	v_cvt_f32_fp8_sdwa v0, v0 src0_sel:BYTE_0
	s_nop 0
	v_mul_f32_e32 v1, v38, v0
	v_and_b32_e32 v0, 0x7f800000, v1
	v_cmp_ne_u32_e64 s[0:1], s17, v0
                                        ; implicit-def: $vgpr0
	s_and_saveexec_b64 s[12:13], s[0:1]
	s_xor_b64 s[0:1], exec, s[12:13]
; %bb.535:                              ;   in Loop: Header=BB314_303 Depth=1
	v_bfe_u32 v0, v1, 16, 1
	v_add3_u32 v0, v1, v0, s20
                                        ; implicit-def: $vgpr1
; %bb.536:                              ;   in Loop: Header=BB314_303 Depth=1
	s_andn2_saveexec_b64 s[12:13], s[0:1]
; %bb.537:                              ;   in Loop: Header=BB314_303 Depth=1
	v_or_b32_e32 v0, 0x10000, v1
	v_cmp_eq_u32_sdwa s[0:1], v1, v27 src0_sel:WORD_0 src1_sel:DWORD
	s_nop 1
	v_cndmask_b32_e64 v0, v0, v1, s[0:1]
; %bb.538:                              ;   in Loop: Header=BB314_303 Depth=1
	s_or_b64 exec, exec, s[12:13]
	v_bfe_u32 v1, v4, 8, 8
	v_cvt_f32_fp8_sdwa v1, v1 src0_sel:BYTE_0
	s_nop 0
	v_mul_f32_e32 v6, v38, v1
	v_and_b32_e32 v1, 0x7f800000, v6
	v_cmp_ne_u32_e64 s[0:1], s17, v1
                                        ; implicit-def: $vgpr1
	s_and_saveexec_b64 s[12:13], s[0:1]
	s_xor_b64 s[0:1], exec, s[12:13]
; %bb.539:                              ;   in Loop: Header=BB314_303 Depth=1
	v_bfe_u32 v1, v6, 16, 1
	v_add3_u32 v1, v6, v1, s20
                                        ; implicit-def: $vgpr6
; %bb.540:                              ;   in Loop: Header=BB314_303 Depth=1
	s_andn2_saveexec_b64 s[12:13], s[0:1]
; %bb.541:                              ;   in Loop: Header=BB314_303 Depth=1
	v_or_b32_e32 v1, 0x10000, v6
	v_cmp_eq_u32_sdwa s[0:1], v6, v27 src0_sel:WORD_0 src1_sel:DWORD
	s_nop 1
	v_cndmask_b32_e64 v1, v1, v6, s[0:1]
; %bb.542:                              ;   in Loop: Header=BB314_303 Depth=1
	s_or_b64 exec, exec, s[12:13]
	v_bfe_u32 v6, v4, 16, 8
	v_cvt_f32_fp8_sdwa v6, v6 src0_sel:BYTE_0
	s_nop 0
	v_mul_f32_e32 v7, v38, v6
	v_and_b32_e32 v6, 0x7f800000, v7
	v_cmp_ne_u32_e64 s[0:1], s17, v6
                                        ; implicit-def: $vgpr6
	s_and_saveexec_b64 s[12:13], s[0:1]
	s_xor_b64 s[0:1], exec, s[12:13]
; %bb.543:                              ;   in Loop: Header=BB314_303 Depth=1
	v_bfe_u32 v6, v7, 16, 1
	v_add3_u32 v6, v7, v6, s20
                                        ; implicit-def: $vgpr7
; %bb.544:                              ;   in Loop: Header=BB314_303 Depth=1
	s_andn2_saveexec_b64 s[12:13], s[0:1]
; %bb.545:                              ;   in Loop: Header=BB314_303 Depth=1
	v_or_b32_e32 v6, 0x10000, v7
	v_cmp_eq_u32_sdwa s[0:1], v7, v27 src0_sel:WORD_0 src1_sel:DWORD
	s_nop 1
	v_cndmask_b32_e64 v6, v6, v7, s[0:1]
; %bb.546:                              ;   in Loop: Header=BB314_303 Depth=1
	s_or_b64 exec, exec, s[12:13]
	v_lshrrev_b32_e32 v4, 24, v4
	v_cvt_f32_fp8_sdwa v4, v4 src0_sel:BYTE_0
	s_nop 0
	v_mul_f32_e32 v4, v38, v4
	v_and_b32_e32 v7, 0x7f800000, v4
	v_cmp_ne_u32_e64 s[0:1], s17, v7
                                        ; implicit-def: $vgpr7
	s_and_saveexec_b64 s[12:13], s[0:1]
	s_xor_b64 s[0:1], exec, s[12:13]
; %bb.547:                              ;   in Loop: Header=BB314_303 Depth=1
	v_bfe_u32 v7, v4, 16, 1
	v_add3_u32 v7, v4, v7, s20
                                        ; implicit-def: $vgpr4
; %bb.548:                              ;   in Loop: Header=BB314_303 Depth=1
	s_andn2_saveexec_b64 s[12:13], s[0:1]
; %bb.549:                              ;   in Loop: Header=BB314_303 Depth=1
	v_or_b32_e32 v7, 0x10000, v4
	v_cmp_eq_u32_sdwa s[0:1], v4, v27 src0_sel:WORD_0 src1_sel:DWORD
	s_nop 1
	v_cndmask_b32_e64 v7, v7, v4, s[0:1]
; %bb.550:                              ;   in Loop: Header=BB314_303 Depth=1
	s_or_b64 exec, exec, s[12:13]
	v_and_b32_e32 v4, 0xff, v5
	v_cvt_f32_fp8_sdwa v4, v4 src0_sel:BYTE_0
	s_nop 0
	v_mul_f32_e32 v4, v38, v4
	v_and_b32_e32 v8, 0x7f800000, v4
	v_cmp_ne_u32_e64 s[0:1], s17, v8
                                        ; implicit-def: $vgpr8
	s_and_saveexec_b64 s[12:13], s[0:1]
	s_xor_b64 s[0:1], exec, s[12:13]
; %bb.551:                              ;   in Loop: Header=BB314_303 Depth=1
	v_bfe_u32 v8, v4, 16, 1
	v_add3_u32 v8, v4, v8, s20
                                        ; implicit-def: $vgpr4
; %bb.552:                              ;   in Loop: Header=BB314_303 Depth=1
	s_andn2_saveexec_b64 s[12:13], s[0:1]
; %bb.553:                              ;   in Loop: Header=BB314_303 Depth=1
	v_or_b32_e32 v8, 0x10000, v4
	v_cmp_eq_u32_sdwa s[0:1], v4, v27 src0_sel:WORD_0 src1_sel:DWORD
	s_nop 1
	v_cndmask_b32_e64 v8, v8, v4, s[0:1]
; %bb.554:                              ;   in Loop: Header=BB314_303 Depth=1
	s_or_b64 exec, exec, s[12:13]
	v_bfe_u32 v4, v5, 8, 8
	v_cvt_f32_fp8_sdwa v4, v4 src0_sel:BYTE_0
	s_nop 0
	v_mul_f32_e32 v9, v38, v4
	v_and_b32_e32 v4, 0x7f800000, v9
	v_cmp_ne_u32_e64 s[0:1], s17, v4
                                        ; implicit-def: $vgpr4
	s_and_saveexec_b64 s[12:13], s[0:1]
	s_xor_b64 s[0:1], exec, s[12:13]
; %bb.555:                              ;   in Loop: Header=BB314_303 Depth=1
	v_bfe_u32 v4, v9, 16, 1
	v_add3_u32 v4, v9, v4, s20
                                        ; implicit-def: $vgpr9
; %bb.556:                              ;   in Loop: Header=BB314_303 Depth=1
	s_andn2_saveexec_b64 s[12:13], s[0:1]
; %bb.557:                              ;   in Loop: Header=BB314_303 Depth=1
	v_or_b32_e32 v4, 0x10000, v9
	v_cmp_eq_u32_sdwa s[0:1], v9, v27 src0_sel:WORD_0 src1_sel:DWORD
	s_nop 1
	v_cndmask_b32_e64 v4, v4, v9, s[0:1]
; %bb.558:                              ;   in Loop: Header=BB314_303 Depth=1
	s_or_b64 exec, exec, s[12:13]
	v_bfe_u32 v9, v5, 16, 8
	v_cvt_f32_fp8_sdwa v9, v9 src0_sel:BYTE_0
	s_nop 0
	v_mul_f32_e32 v17, v38, v9
	v_and_b32_e32 v9, 0x7f800000, v17
	v_cmp_ne_u32_e64 s[0:1], s17, v9
                                        ; implicit-def: $vgpr9
	s_and_saveexec_b64 s[12:13], s[0:1]
	s_xor_b64 s[0:1], exec, s[12:13]
; %bb.559:                              ;   in Loop: Header=BB314_303 Depth=1
	v_bfe_u32 v9, v17, 16, 1
	v_add3_u32 v9, v17, v9, s20
                                        ; implicit-def: $vgpr17
; %bb.560:                              ;   in Loop: Header=BB314_303 Depth=1
	s_andn2_saveexec_b64 s[12:13], s[0:1]
; %bb.561:                              ;   in Loop: Header=BB314_303 Depth=1
	v_or_b32_e32 v9, 0x10000, v17
	v_cmp_eq_u32_sdwa s[0:1], v17, v27 src0_sel:WORD_0 src1_sel:DWORD
	s_nop 1
	v_cndmask_b32_e64 v9, v9, v17, s[0:1]
; %bb.562:                              ;   in Loop: Header=BB314_303 Depth=1
	s_or_b64 exec, exec, s[12:13]
	v_lshrrev_b32_e32 v5, 24, v5
	v_cvt_f32_fp8_sdwa v5, v5 src0_sel:BYTE_0
                                        ; implicit-def: $vgpr18
	s_nop 0
	v_mul_f32_e32 v5, v38, v5
	v_and_b32_e32 v16, 0x7f800000, v5
	v_cmp_ne_u32_e64 s[0:1], s17, v16
	s_and_saveexec_b64 s[12:13], s[0:1]
	s_xor_b64 s[0:1], exec, s[12:13]
; %bb.563:                              ;   in Loop: Header=BB314_303 Depth=1
	v_bfe_u32 v16, v5, 16, 1
	v_add3_u32 v18, v5, v16, s20
                                        ; implicit-def: $vgpr5
; %bb.564:                              ;   in Loop: Header=BB314_303 Depth=1
	s_andn2_saveexec_b64 s[12:13], s[0:1]
; %bb.565:                              ;   in Loop: Header=BB314_303 Depth=1
	v_or_b32_e32 v16, 0x10000, v5
	v_cmp_eq_u32_sdwa s[0:1], v5, v27 src0_sel:WORD_0 src1_sel:DWORD
	s_nop 1
	v_cndmask_b32_e64 v18, v16, v5, s[0:1]
; %bb.566:                              ;   in Loop: Header=BB314_303 Depth=1
	s_or_b64 exec, exec, s[12:13]
	v_lshrrev_b32_e32 v4, 16, v4
	v_lshrrev_b32_e32 v5, 16, v8
	;; [unrolled: 1-line block ×8, first 2 shown]
	s_and_saveexec_b64 s[12:13], vcc
	s_cbranch_execz .LBB314_568
; %bb.567:                              ;   in Loop: Header=BB314_303 Depth=1
	scratch_load_dword v9, off, s32 offset:192 ; 4-byte Folded Reload
	v_accvgpr_read_b32 v16, a35
	s_waitcnt vmcnt(0)
	v_cmp_lt_i32_e64 s[0:1], v50, v9
	s_nop 1
	v_cndmask_b32_e64 v17, 0, v17, s[0:1]
	v_cmp_lt_i32_e64 s[0:1], v16, v9
	v_accvgpr_read_b32 v16, a34
	s_nop 0
	v_cndmask_b32_e64 v7, 0, v7, s[0:1]
	v_cmp_lt_i32_e64 s[0:1], v16, v9
	v_accvgpr_read_b32 v16, a33
	;; [unrolled: 4-line block ×6, first 2 shown]
	s_nop 0
	v_cndmask_b32_e64 v1, 0, v1, s[0:1]
	v_cmp_lt_i32_e64 s[0:1], v16, v9
	s_nop 1
	v_cndmask_b32_e64 v0, 0, v0, s[0:1]
.LBB314_568:                            ;   in Loop: Header=BB314_303 Depth=1
	s_or_b64 exec, exec, s[12:13]
	v_lshlrev_b32_e32 v9, 16, v17
	v_mul_f32_e32 v9, v42, v9
	v_and_b32_e32 v16, 0x7f800000, v9
	v_cmp_ne_u32_e64 s[0:1], s17, v16
                                        ; implicit-def: $agpr52
	s_and_saveexec_b64 s[12:13], s[0:1]
	s_xor_b64 s[0:1], exec, s[12:13]
; %bb.569:                              ;   in Loop: Header=BB314_303 Depth=1
	v_bfe_u32 v16, v9, 16, 1
	v_add3_u32 v9, v9, v16, s20
	v_accvgpr_write_b32 a52, v9
                                        ; implicit-def: $vgpr9
; %bb.570:                              ;   in Loop: Header=BB314_303 Depth=1
	s_andn2_saveexec_b64 s[12:13], s[0:1]
; %bb.571:                              ;   in Loop: Header=BB314_303 Depth=1
	v_or_b32_e32 v16, 0x10000, v9
	v_cmp_eq_u32_sdwa s[0:1], v9, v27 src0_sel:WORD_0 src1_sel:DWORD
	s_nop 1
	v_cndmask_b32_e64 v9, v16, v9, s[0:1]
	v_accvgpr_write_b32 a52, v9
; %bb.572:                              ;   in Loop: Header=BB314_303 Depth=1
	s_or_b64 exec, exec, s[12:13]
	v_lshlrev_b32_e32 v7, 16, v7
	v_mul_f32_e32 v7, v43, v7
	v_and_b32_e32 v9, 0x7f800000, v7
	v_cmp_ne_u32_e64 s[0:1], s17, v9
                                        ; implicit-def: $agpr53
	s_and_saveexec_b64 s[12:13], s[0:1]
	s_xor_b64 s[0:1], exec, s[12:13]
; %bb.573:                              ;   in Loop: Header=BB314_303 Depth=1
	v_bfe_u32 v9, v7, 16, 1
	v_add3_u32 v7, v7, v9, s20
	v_accvgpr_write_b32 a53, v7
                                        ; implicit-def: $vgpr7
; %bb.574:                              ;   in Loop: Header=BB314_303 Depth=1
	s_andn2_saveexec_b64 s[12:13], s[0:1]
; %bb.575:                              ;   in Loop: Header=BB314_303 Depth=1
	v_or_b32_e32 v9, 0x10000, v7
	v_cmp_eq_u32_sdwa s[0:1], v7, v27 src0_sel:WORD_0 src1_sel:DWORD
	s_nop 1
	v_cndmask_b32_e64 v7, v9, v7, s[0:1]
	v_accvgpr_write_b32 a53, v7
; %bb.576:                              ;   in Loop: Header=BB314_303 Depth=1
	s_or_b64 exec, exec, s[12:13]
	v_lshlrev_b32_e32 v6, 16, v6
	v_mul_f32_e32 v6, v44, v6
	v_and_b32_e32 v7, 0x7f800000, v6
	v_cmp_ne_u32_e64 s[0:1], s17, v7
                                        ; implicit-def: $agpr54
	s_and_saveexec_b64 s[12:13], s[0:1]
	s_xor_b64 s[0:1], exec, s[12:13]
; %bb.577:                              ;   in Loop: Header=BB314_303 Depth=1
	v_bfe_u32 v7, v6, 16, 1
	v_add3_u32 v6, v6, v7, s20
	v_accvgpr_write_b32 a54, v6
                                        ; implicit-def: $vgpr6
; %bb.578:                              ;   in Loop: Header=BB314_303 Depth=1
	s_andn2_saveexec_b64 s[12:13], s[0:1]
; %bb.579:                              ;   in Loop: Header=BB314_303 Depth=1
	v_or_b32_e32 v7, 0x10000, v6
	v_cmp_eq_u32_sdwa s[0:1], v6, v27 src0_sel:WORD_0 src1_sel:DWORD
	s_nop 1
	v_cndmask_b32_e64 v6, v7, v6, s[0:1]
	v_accvgpr_write_b32 a54, v6
; %bb.580:                              ;   in Loop: Header=BB314_303 Depth=1
	s_or_b64 exec, exec, s[12:13]
	v_lshlrev_b32_e32 v6, 16, v8
	v_mul_f32_e32 v6, v45, v6
	v_and_b32_e32 v7, 0x7f800000, v6
	v_cmp_ne_u32_e64 s[0:1], s17, v7
                                        ; implicit-def: $vgpr8
	s_and_saveexec_b64 s[12:13], s[0:1]
	s_xor_b64 s[0:1], exec, s[12:13]
; %bb.581:                              ;   in Loop: Header=BB314_303 Depth=1
	v_bfe_u32 v7, v6, 16, 1
	v_add3_u32 v8, v6, v7, s20
                                        ; implicit-def: $vgpr6
; %bb.582:                              ;   in Loop: Header=BB314_303 Depth=1
	s_andn2_saveexec_b64 s[12:13], s[0:1]
; %bb.583:                              ;   in Loop: Header=BB314_303 Depth=1
	v_or_b32_e32 v7, 0x10000, v6
	v_cmp_eq_u32_sdwa s[0:1], v6, v27 src0_sel:WORD_0 src1_sel:DWORD
	s_nop 1
	v_cndmask_b32_e64 v8, v7, v6, s[0:1]
; %bb.584:                              ;   in Loop: Header=BB314_303 Depth=1
	s_or_b64 exec, exec, s[12:13]
	v_lshlrev_b32_e32 v5, 16, v5
	v_mul_f32_e32 v5, v61, v5
	v_and_b32_e32 v6, 0x7f800000, v5
	v_cmp_ne_u32_e64 s[0:1], s17, v6
                                        ; implicit-def: $vgpr9
	s_and_saveexec_b64 s[12:13], s[0:1]
	s_xor_b64 s[0:1], exec, s[12:13]
; %bb.585:                              ;   in Loop: Header=BB314_303 Depth=1
	v_bfe_u32 v6, v5, 16, 1
	v_add3_u32 v9, v5, v6, s20
                                        ; implicit-def: $vgpr5
; %bb.586:                              ;   in Loop: Header=BB314_303 Depth=1
	s_andn2_saveexec_b64 s[12:13], s[0:1]
; %bb.587:                              ;   in Loop: Header=BB314_303 Depth=1
	v_or_b32_e32 v6, 0x10000, v5
	v_cmp_eq_u32_sdwa s[0:1], v5, v27 src0_sel:WORD_0 src1_sel:DWORD
	s_nop 1
	v_cndmask_b32_e64 v9, v6, v5, s[0:1]
; %bb.588:                              ;   in Loop: Header=BB314_303 Depth=1
	s_or_b64 exec, exec, s[12:13]
	v_lshlrev_b32_e32 v4, 16, v4
	v_mul_f32_e32 v4, v62, v4
	v_and_b32_e32 v5, 0x7f800000, v4
	v_cmp_ne_u32_e64 s[0:1], s17, v5
                                        ; implicit-def: $vgpr26
	s_and_saveexec_b64 s[12:13], s[0:1]
	s_xor_b64 s[0:1], exec, s[12:13]
; %bb.589:                              ;   in Loop: Header=BB314_303 Depth=1
	v_bfe_u32 v5, v4, 16, 1
	v_add3_u32 v26, v4, v5, s20
                                        ; implicit-def: $vgpr4
; %bb.590:                              ;   in Loop: Header=BB314_303 Depth=1
	s_andn2_saveexec_b64 s[12:13], s[0:1]
; %bb.591:                              ;   in Loop: Header=BB314_303 Depth=1
	v_or_b32_e32 v5, 0x10000, v4
	v_cmp_eq_u32_sdwa s[0:1], v4, v27 src0_sel:WORD_0 src1_sel:DWORD
	s_nop 1
	v_cndmask_b32_e64 v26, v5, v4, s[0:1]
; %bb.592:                              ;   in Loop: Header=BB314_303 Depth=1
	s_or_b64 exec, exec, s[12:13]
	v_lshlrev_b32_e32 v1, 16, v1
	v_mul_f32_e32 v1, v63, v1
	v_and_b32_e32 v4, 0x7f800000, v1
	v_cmp_ne_u32_e64 s[0:1], s17, v4
                                        ; implicit-def: $vgpr39
	s_and_saveexec_b64 s[12:13], s[0:1]
	s_xor_b64 s[0:1], exec, s[12:13]
; %bb.593:                              ;   in Loop: Header=BB314_303 Depth=1
	v_bfe_u32 v4, v1, 16, 1
	v_add3_u32 v39, v1, v4, s20
                                        ; implicit-def: $vgpr1
; %bb.594:                              ;   in Loop: Header=BB314_303 Depth=1
	s_andn2_saveexec_b64 s[12:13], s[0:1]
; %bb.595:                              ;   in Loop: Header=BB314_303 Depth=1
	v_or_b32_e32 v4, 0x10000, v1
	v_cmp_eq_u32_sdwa s[0:1], v1, v27 src0_sel:WORD_0 src1_sel:DWORD
	s_nop 1
	v_cndmask_b32_e64 v39, v4, v1, s[0:1]
; %bb.596:                              ;   in Loop: Header=BB314_303 Depth=1
	s_or_b64 exec, exec, s[12:13]
	v_lshlrev_b32_e32 v0, 16, v0
	v_mul_f32_e32 v0, v33, v0
	v_and_b32_e32 v1, 0x7f800000, v0
	v_cmp_ne_u32_e64 s[0:1], s17, v1
                                        ; implicit-def: $vgpr48
	s_and_saveexec_b64 s[12:13], s[0:1]
	s_xor_b64 s[0:1], exec, s[12:13]
; %bb.597:                              ;   in Loop: Header=BB314_303 Depth=1
	v_bfe_u32 v1, v0, 16, 1
	v_add3_u32 v48, v0, v1, s20
                                        ; implicit-def: $vgpr0
; %bb.598:                              ;   in Loop: Header=BB314_303 Depth=1
	s_andn2_saveexec_b64 s[12:13], s[0:1]
; %bb.599:                              ;   in Loop: Header=BB314_303 Depth=1
	v_or_b32_e32 v1, 0x10000, v0
	v_cmp_eq_u32_sdwa s[0:1], v0, v27 src0_sel:WORD_0 src1_sel:DWORD
	s_nop 1
	v_cndmask_b32_e64 v48, v1, v0, s[0:1]
; %bb.600:                              ;   in Loop: Header=BB314_303 Depth=1
	s_or_b64 exec, exec, s[12:13]
	flat_load_dwordx2 v[4:5], v[2:3] offset:2048
	s_waitcnt vmcnt(0) lgkmcnt(0)
	v_and_b32_e32 v0, 0xff, v4
	v_cvt_f32_fp8_sdwa v0, v0 src0_sel:BYTE_0
	s_nop 0
	v_mul_f32_e32 v1, v38, v0
	v_and_b32_e32 v0, 0x7f800000, v1
	v_cmp_ne_u32_e64 s[0:1], s17, v0
                                        ; implicit-def: $vgpr0
	s_and_saveexec_b64 s[12:13], s[0:1]
	s_xor_b64 s[0:1], exec, s[12:13]
; %bb.601:                              ;   in Loop: Header=BB314_303 Depth=1
	v_bfe_u32 v0, v1, 16, 1
	v_add3_u32 v0, v1, v0, s20
                                        ; implicit-def: $vgpr1
; %bb.602:                              ;   in Loop: Header=BB314_303 Depth=1
	s_andn2_saveexec_b64 s[12:13], s[0:1]
; %bb.603:                              ;   in Loop: Header=BB314_303 Depth=1
	v_or_b32_e32 v0, 0x10000, v1
	v_cmp_eq_u32_sdwa s[0:1], v1, v27 src0_sel:WORD_0 src1_sel:DWORD
	s_nop 1
	v_cndmask_b32_e64 v0, v0, v1, s[0:1]
; %bb.604:                              ;   in Loop: Header=BB314_303 Depth=1
	s_or_b64 exec, exec, s[12:13]
	v_bfe_u32 v1, v4, 8, 8
	v_cvt_f32_fp8_sdwa v1, v1 src0_sel:BYTE_0
	s_nop 0
	v_mul_f32_e32 v6, v38, v1
	v_and_b32_e32 v1, 0x7f800000, v6
	v_cmp_ne_u32_e64 s[0:1], s17, v1
                                        ; implicit-def: $vgpr1
	s_and_saveexec_b64 s[12:13], s[0:1]
	s_xor_b64 s[0:1], exec, s[12:13]
; %bb.605:                              ;   in Loop: Header=BB314_303 Depth=1
	v_bfe_u32 v1, v6, 16, 1
	v_add3_u32 v1, v6, v1, s20
                                        ; implicit-def: $vgpr6
; %bb.606:                              ;   in Loop: Header=BB314_303 Depth=1
	s_andn2_saveexec_b64 s[12:13], s[0:1]
; %bb.607:                              ;   in Loop: Header=BB314_303 Depth=1
	v_or_b32_e32 v1, 0x10000, v6
	v_cmp_eq_u32_sdwa s[0:1], v6, v27 src0_sel:WORD_0 src1_sel:DWORD
	s_nop 1
	v_cndmask_b32_e64 v1, v1, v6, s[0:1]
; %bb.608:                              ;   in Loop: Header=BB314_303 Depth=1
	s_or_b64 exec, exec, s[12:13]
	v_bfe_u32 v6, v4, 16, 8
	v_cvt_f32_fp8_sdwa v6, v6 src0_sel:BYTE_0
                                        ; implicit-def: $vgpr18
	s_nop 0
	v_mul_f32_e32 v6, v38, v6
	v_and_b32_e32 v7, 0x7f800000, v6
	v_cmp_ne_u32_e64 s[0:1], s17, v7
	s_and_saveexec_b64 s[12:13], s[0:1]
	s_xor_b64 s[0:1], exec, s[12:13]
; %bb.609:                              ;   in Loop: Header=BB314_303 Depth=1
	v_bfe_u32 v7, v6, 16, 1
	v_add3_u32 v18, v6, v7, s20
                                        ; implicit-def: $vgpr6
; %bb.610:                              ;   in Loop: Header=BB314_303 Depth=1
	s_andn2_saveexec_b64 s[12:13], s[0:1]
; %bb.611:                              ;   in Loop: Header=BB314_303 Depth=1
	v_or_b32_e32 v7, 0x10000, v6
	v_cmp_eq_u32_sdwa s[0:1], v6, v27 src0_sel:WORD_0 src1_sel:DWORD
	s_nop 1
	v_cndmask_b32_e64 v18, v7, v6, s[0:1]
; %bb.612:                              ;   in Loop: Header=BB314_303 Depth=1
	s_or_b64 exec, exec, s[12:13]
	v_lshrrev_b32_e32 v4, 24, v4
	v_cvt_f32_fp8_sdwa v4, v4 src0_sel:BYTE_0
	s_nop 0
	v_mul_f32_e32 v6, v38, v4
	v_and_b32_e32 v4, 0x7f800000, v6
	v_cmp_ne_u32_e64 s[0:1], s17, v4
                                        ; implicit-def: $vgpr4
	s_and_saveexec_b64 s[12:13], s[0:1]
	s_xor_b64 s[0:1], exec, s[12:13]
; %bb.613:                              ;   in Loop: Header=BB314_303 Depth=1
	v_bfe_u32 v4, v6, 16, 1
	v_add3_u32 v4, v6, v4, s20
                                        ; implicit-def: $vgpr6
; %bb.614:                              ;   in Loop: Header=BB314_303 Depth=1
	s_andn2_saveexec_b64 s[12:13], s[0:1]
; %bb.615:                              ;   in Loop: Header=BB314_303 Depth=1
	v_or_b32_e32 v4, 0x10000, v6
	v_cmp_eq_u32_sdwa s[0:1], v6, v27 src0_sel:WORD_0 src1_sel:DWORD
	s_nop 1
	v_cndmask_b32_e64 v4, v4, v6, s[0:1]
; %bb.616:                              ;   in Loop: Header=BB314_303 Depth=1
	s_or_b64 exec, exec, s[12:13]
	v_and_b32_e32 v6, 0xff, v5
	v_cvt_f32_fp8_sdwa v6, v6 src0_sel:BYTE_0
	s_nop 0
	v_mul_f32_e32 v7, v38, v6
	v_and_b32_e32 v6, 0x7f800000, v7
	v_cmp_ne_u32_e64 s[0:1], s17, v6
                                        ; implicit-def: $vgpr6
	s_and_saveexec_b64 s[12:13], s[0:1]
	s_xor_b64 s[0:1], exec, s[12:13]
; %bb.617:                              ;   in Loop: Header=BB314_303 Depth=1
	v_bfe_u32 v6, v7, 16, 1
	v_add3_u32 v6, v7, v6, s20
                                        ; implicit-def: $vgpr7
; %bb.618:                              ;   in Loop: Header=BB314_303 Depth=1
	s_andn2_saveexec_b64 s[12:13], s[0:1]
; %bb.619:                              ;   in Loop: Header=BB314_303 Depth=1
	v_or_b32_e32 v6, 0x10000, v7
	v_cmp_eq_u32_sdwa s[0:1], v7, v27 src0_sel:WORD_0 src1_sel:DWORD
	s_nop 1
	v_cndmask_b32_e64 v6, v6, v7, s[0:1]
; %bb.620:                              ;   in Loop: Header=BB314_303 Depth=1
	s_or_b64 exec, exec, s[12:13]
	v_bfe_u32 v7, v5, 8, 8
	v_cvt_f32_fp8_sdwa v7, v7 src0_sel:BYTE_0
                                        ; implicit-def: $vgpr17
	s_nop 0
	v_mul_f32_e32 v7, v38, v7
	v_and_b32_e32 v16, 0x7f800000, v7
	v_cmp_ne_u32_e64 s[0:1], s17, v16
	s_and_saveexec_b64 s[12:13], s[0:1]
	s_xor_b64 s[0:1], exec, s[12:13]
; %bb.621:                              ;   in Loop: Header=BB314_303 Depth=1
	v_bfe_u32 v16, v7, 16, 1
	v_add3_u32 v17, v7, v16, s20
                                        ; implicit-def: $vgpr7
; %bb.622:                              ;   in Loop: Header=BB314_303 Depth=1
	s_andn2_saveexec_b64 s[12:13], s[0:1]
; %bb.623:                              ;   in Loop: Header=BB314_303 Depth=1
	v_or_b32_e32 v16, 0x10000, v7
	v_cmp_eq_u32_sdwa s[0:1], v7, v27 src0_sel:WORD_0 src1_sel:DWORD
	s_nop 1
	v_cndmask_b32_e64 v17, v16, v7, s[0:1]
; %bb.624:                              ;   in Loop: Header=BB314_303 Depth=1
	s_or_b64 exec, exec, s[12:13]
	v_bfe_u32 v7, v5, 16, 8
	v_cvt_f32_fp8_sdwa v7, v7 src0_sel:BYTE_0
                                        ; implicit-def: $vgpr28
	s_nop 0
	v_mul_f32_e32 v7, v38, v7
	v_and_b32_e32 v16, 0x7f800000, v7
	v_cmp_ne_u32_e64 s[0:1], s17, v16
	s_and_saveexec_b64 s[12:13], s[0:1]
	s_xor_b64 s[0:1], exec, s[12:13]
; %bb.625:                              ;   in Loop: Header=BB314_303 Depth=1
	v_bfe_u32 v16, v7, 16, 1
	v_add3_u32 v28, v7, v16, s20
                                        ; implicit-def: $vgpr7
; %bb.626:                              ;   in Loop: Header=BB314_303 Depth=1
	s_andn2_saveexec_b64 s[12:13], s[0:1]
; %bb.627:                              ;   in Loop: Header=BB314_303 Depth=1
	v_or_b32_e32 v16, 0x10000, v7
	v_cmp_eq_u32_sdwa s[0:1], v7, v27 src0_sel:WORD_0 src1_sel:DWORD
	s_nop 1
	v_cndmask_b32_e64 v28, v16, v7, s[0:1]
; %bb.628:                              ;   in Loop: Header=BB314_303 Depth=1
	s_or_b64 exec, exec, s[12:13]
	v_lshrrev_b32_e32 v5, 24, v5
	v_cvt_f32_fp8_sdwa v5, v5 src0_sel:BYTE_0
	s_nop 0
	v_mul_f32_e32 v5, v38, v5
	v_and_b32_e32 v7, 0x7f800000, v5
	v_cmp_ne_u32_e64 s[0:1], s17, v7
                                        ; implicit-def: $vgpr7
	s_and_saveexec_b64 s[12:13], s[0:1]
	s_xor_b64 s[0:1], exec, s[12:13]
; %bb.629:                              ;   in Loop: Header=BB314_303 Depth=1
	v_bfe_u32 v7, v5, 16, 1
	v_add3_u32 v7, v5, v7, s20
                                        ; implicit-def: $vgpr5
; %bb.630:                              ;   in Loop: Header=BB314_303 Depth=1
	s_andn2_saveexec_b64 s[12:13], s[0:1]
; %bb.631:                              ;   in Loop: Header=BB314_303 Depth=1
	v_or_b32_e32 v7, 0x10000, v5
	v_cmp_eq_u32_sdwa s[0:1], v5, v27 src0_sel:WORD_0 src1_sel:DWORD
	s_nop 1
	v_cndmask_b32_e64 v7, v7, v5, s[0:1]
; %bb.632:                              ;   in Loop: Header=BB314_303 Depth=1
	s_or_b64 exec, exec, s[12:13]
	v_lshrrev_b32_e32 v22, 16, v17
	v_lshrrev_b32_e32 v17, 16, v6
	v_lshrrev_b32_e32 v23, 16, v4
	v_lshrrev_b32_e32 v6, 16, v18
	v_lshrrev_b32_e32 v1, 16, v1
	v_lshrrev_b32_e32 v0, 16, v0
	v_lshrrev_b32_e32 v5, 16, v28
	v_lshrrev_b32_e32 v4, 16, v7
	s_and_saveexec_b64 s[12:13], vcc
	s_cbranch_execz .LBB314_634
; %bb.633:                              ;   in Loop: Header=BB314_303 Depth=1
	scratch_load_dword v7, off, s32 offset:192 ; 4-byte Folded Reload
	v_accvgpr_read_b32 v16, a35
	s_waitcnt vmcnt(0)
	v_cmp_lt_i32_e64 s[0:1], v50, v7
	s_nop 1
	v_cndmask_b32_e64 v0, 0, v0, s[0:1]
	v_cmp_lt_i32_e64 s[0:1], v16, v7
	v_accvgpr_read_b32 v16, a34
	s_nop 0
	v_cndmask_b32_e64 v1, 0, v1, s[0:1]
	v_cmp_lt_i32_e64 s[0:1], v16, v7
	v_accvgpr_read_b32 v16, a33
	;; [unrolled: 4-line block ×6, first 2 shown]
	s_nop 0
	v_cndmask_b32_e64 v5, 0, v5, s[0:1]
	v_cmp_lt_i32_e64 s[0:1], v16, v7
	s_nop 1
	v_cndmask_b32_e64 v4, 0, v4, s[0:1]
.LBB314_634:                            ;   in Loop: Header=BB314_303 Depth=1
	s_or_b64 exec, exec, s[12:13]
	v_lshlrev_b32_e32 v0, 16, v0
	v_mul_f32_e32 v0, v42, v0
	v_and_b32_e32 v7, 0x7f800000, v0
	v_cmp_ne_u32_e64 s[0:1], s17, v7
                                        ; implicit-def: $vgpr49
	s_and_saveexec_b64 s[12:13], s[0:1]
	s_xor_b64 s[0:1], exec, s[12:13]
; %bb.635:                              ;   in Loop: Header=BB314_303 Depth=1
	v_bfe_u32 v7, v0, 16, 1
	v_add3_u32 v49, v0, v7, s20
                                        ; implicit-def: $vgpr0
; %bb.636:                              ;   in Loop: Header=BB314_303 Depth=1
	s_andn2_saveexec_b64 s[12:13], s[0:1]
; %bb.637:                              ;   in Loop: Header=BB314_303 Depth=1
	v_or_b32_e32 v7, 0x10000, v0
	v_cmp_eq_u32_sdwa s[0:1], v0, v27 src0_sel:WORD_0 src1_sel:DWORD
	s_nop 1
	v_cndmask_b32_e64 v49, v7, v0, s[0:1]
; %bb.638:                              ;   in Loop: Header=BB314_303 Depth=1
	s_or_b64 exec, exec, s[12:13]
	v_lshlrev_b32_e32 v0, 16, v1
	v_mul_f32_e32 v0, v43, v0
	v_and_b32_e32 v1, 0x7f800000, v0
	v_cmp_ne_u32_e64 s[0:1], s17, v1
                                        ; implicit-def: $vgpr58
	s_and_saveexec_b64 s[12:13], s[0:1]
	s_xor_b64 s[0:1], exec, s[12:13]
; %bb.639:                              ;   in Loop: Header=BB314_303 Depth=1
	v_bfe_u32 v1, v0, 16, 1
	v_add3_u32 v58, v0, v1, s20
                                        ; implicit-def: $vgpr0
; %bb.640:                              ;   in Loop: Header=BB314_303 Depth=1
	s_andn2_saveexec_b64 s[12:13], s[0:1]
; %bb.641:                              ;   in Loop: Header=BB314_303 Depth=1
	v_or_b32_e32 v1, 0x10000, v0
	v_cmp_eq_u32_sdwa s[0:1], v0, v27 src0_sel:WORD_0 src1_sel:DWORD
	s_nop 1
	v_cndmask_b32_e64 v58, v1, v0, s[0:1]
; %bb.642:                              ;   in Loop: Header=BB314_303 Depth=1
	s_or_b64 exec, exec, s[12:13]
	v_lshlrev_b32_e32 v0, 16, v6
	v_mul_f32_e32 v0, v44, v0
	v_and_b32_e32 v1, 0x7f800000, v0
	v_cmp_ne_u32_e64 s[0:1], s17, v1
                                        ; implicit-def: $vgpr29
	s_and_saveexec_b64 s[12:13], s[0:1]
	s_xor_b64 s[0:1], exec, s[12:13]
; %bb.643:                              ;   in Loop: Header=BB314_303 Depth=1
	v_bfe_u32 v1, v0, 16, 1
	v_add3_u32 v29, v0, v1, s20
                                        ; implicit-def: $vgpr0
; %bb.644:                              ;   in Loop: Header=BB314_303 Depth=1
	s_andn2_saveexec_b64 s[12:13], s[0:1]
; %bb.645:                              ;   in Loop: Header=BB314_303 Depth=1
	v_or_b32_e32 v1, 0x10000, v0
	v_cmp_eq_u32_sdwa s[0:1], v0, v27 src0_sel:WORD_0 src1_sel:DWORD
	s_nop 1
	v_cndmask_b32_e64 v29, v1, v0, s[0:1]
; %bb.646:                              ;   in Loop: Header=BB314_303 Depth=1
	s_or_b64 exec, exec, s[12:13]
	v_lshlrev_b32_e32 v0, 16, v23
	v_mul_f32_e32 v0, v45, v0
	v_and_b32_e32 v1, 0x7f800000, v0
	v_cmp_ne_u32_e64 s[0:1], s17, v1
                                        ; implicit-def: $vgpr1
	s_and_saveexec_b64 s[12:13], s[0:1]
	s_xor_b64 s[0:1], exec, s[12:13]
; %bb.647:                              ;   in Loop: Header=BB314_303 Depth=1
	v_bfe_u32 v1, v0, 16, 1
	v_add3_u32 v1, v0, v1, s20
                                        ; implicit-def: $vgpr0
; %bb.648:                              ;   in Loop: Header=BB314_303 Depth=1
	s_andn2_saveexec_b64 s[12:13], s[0:1]
; %bb.649:                              ;   in Loop: Header=BB314_303 Depth=1
	v_or_b32_e32 v1, 0x10000, v0
	v_cmp_eq_u32_sdwa s[0:1], v0, v27 src0_sel:WORD_0 src1_sel:DWORD
	s_nop 1
	v_cndmask_b32_e64 v1, v1, v0, s[0:1]
; %bb.650:                              ;   in Loop: Header=BB314_303 Depth=1
	s_or_b64 exec, exec, s[12:13]
	v_lshlrev_b32_e32 v0, 16, v17
	v_mul_f32_e32 v6, v61, v0
	v_and_b32_e32 v0, 0x7f800000, v6
	v_cmp_ne_u32_e64 s[0:1], s17, v0
                                        ; implicit-def: $vgpr0
	s_and_saveexec_b64 s[12:13], s[0:1]
	s_xor_b64 s[0:1], exec, s[12:13]
; %bb.651:                              ;   in Loop: Header=BB314_303 Depth=1
	v_bfe_u32 v0, v6, 16, 1
	v_add3_u32 v0, v6, v0, s20
                                        ; implicit-def: $vgpr6
; %bb.652:                              ;   in Loop: Header=BB314_303 Depth=1
	s_andn2_saveexec_b64 s[12:13], s[0:1]
; %bb.653:                              ;   in Loop: Header=BB314_303 Depth=1
	v_or_b32_e32 v0, 0x10000, v6
	v_cmp_eq_u32_sdwa s[0:1], v6, v27 src0_sel:WORD_0 src1_sel:DWORD
	s_nop 1
	v_cndmask_b32_e64 v0, v0, v6, s[0:1]
; %bb.654:                              ;   in Loop: Header=BB314_303 Depth=1
	s_or_b64 exec, exec, s[12:13]
	v_lshlrev_b32_e32 v6, 16, v22
	v_mul_f32_e32 v6, v62, v6
	v_and_b32_e32 v7, 0x7f800000, v6
	v_cmp_ne_u32_e64 s[0:1], s17, v7
                                        ; implicit-def: $vgpr35
	s_and_saveexec_b64 s[12:13], s[0:1]
	s_xor_b64 s[0:1], exec, s[12:13]
; %bb.655:                              ;   in Loop: Header=BB314_303 Depth=1
	v_bfe_u32 v7, v6, 16, 1
	v_add3_u32 v35, v6, v7, s20
                                        ; implicit-def: $vgpr6
; %bb.656:                              ;   in Loop: Header=BB314_303 Depth=1
	s_andn2_saveexec_b64 s[12:13], s[0:1]
; %bb.657:                              ;   in Loop: Header=BB314_303 Depth=1
	v_or_b32_e32 v7, 0x10000, v6
	v_cmp_eq_u32_sdwa s[0:1], v6, v27 src0_sel:WORD_0 src1_sel:DWORD
	s_nop 1
	v_cndmask_b32_e64 v35, v7, v6, s[0:1]
; %bb.658:                              ;   in Loop: Header=BB314_303 Depth=1
	s_or_b64 exec, exec, s[12:13]
	v_lshlrev_b32_e32 v5, 16, v5
	v_mul_f32_e32 v5, v63, v5
	v_and_b32_e32 v6, 0x7f800000, v5
	v_cmp_ne_u32_e64 s[0:1], s17, v6
                                        ; implicit-def: $vgpr36
	s_and_saveexec_b64 s[12:13], s[0:1]
	s_xor_b64 s[0:1], exec, s[12:13]
; %bb.659:                              ;   in Loop: Header=BB314_303 Depth=1
	v_bfe_u32 v6, v5, 16, 1
	v_add3_u32 v36, v5, v6, s20
                                        ; implicit-def: $vgpr5
; %bb.660:                              ;   in Loop: Header=BB314_303 Depth=1
	s_andn2_saveexec_b64 s[12:13], s[0:1]
; %bb.661:                              ;   in Loop: Header=BB314_303 Depth=1
	v_or_b32_e32 v6, 0x10000, v5
	v_cmp_eq_u32_sdwa s[0:1], v5, v27 src0_sel:WORD_0 src1_sel:DWORD
	s_nop 1
	v_cndmask_b32_e64 v36, v6, v5, s[0:1]
; %bb.662:                              ;   in Loop: Header=BB314_303 Depth=1
	s_or_b64 exec, exec, s[12:13]
	v_lshlrev_b32_e32 v4, 16, v4
	v_mul_f32_e32 v4, v33, v4
	v_and_b32_e32 v5, 0x7f800000, v4
	v_cmp_ne_u32_e64 s[0:1], s17, v5
                                        ; implicit-def: $vgpr46
	s_and_saveexec_b64 s[12:13], s[0:1]
	s_xor_b64 s[0:1], exec, s[12:13]
; %bb.663:                              ;   in Loop: Header=BB314_303 Depth=1
	v_bfe_u32 v5, v4, 16, 1
	v_add3_u32 v46, v4, v5, s20
                                        ; implicit-def: $vgpr4
; %bb.664:                              ;   in Loop: Header=BB314_303 Depth=1
	s_andn2_saveexec_b64 s[12:13], s[0:1]
; %bb.665:                              ;   in Loop: Header=BB314_303 Depth=1
	v_or_b32_e32 v5, 0x10000, v4
	v_cmp_eq_u32_sdwa s[0:1], v4, v27 src0_sel:WORD_0 src1_sel:DWORD
	s_nop 1
	v_cndmask_b32_e64 v46, v5, v4, s[0:1]
; %bb.666:                              ;   in Loop: Header=BB314_303 Depth=1
	s_or_b64 exec, exec, s[12:13]
	flat_load_dwordx2 v[4:5], v[2:3] offset:2560
                                        ; implicit-def: $vgpr22
	s_waitcnt vmcnt(0) lgkmcnt(0)
	v_and_b32_e32 v6, 0xff, v4
	v_cvt_f32_fp8_sdwa v6, v6 src0_sel:BYTE_0
	s_nop 0
	v_mul_f32_e32 v6, v38, v6
	v_and_b32_e32 v7, 0x7f800000, v6
	v_cmp_ne_u32_e64 s[0:1], s17, v7
	s_and_saveexec_b64 s[12:13], s[0:1]
	s_xor_b64 s[0:1], exec, s[12:13]
; %bb.667:                              ;   in Loop: Header=BB314_303 Depth=1
	v_bfe_u32 v7, v6, 16, 1
	v_add3_u32 v22, v6, v7, s20
                                        ; implicit-def: $vgpr6
; %bb.668:                              ;   in Loop: Header=BB314_303 Depth=1
	s_andn2_saveexec_b64 s[12:13], s[0:1]
; %bb.669:                              ;   in Loop: Header=BB314_303 Depth=1
	v_or_b32_e32 v7, 0x10000, v6
	v_cmp_eq_u32_sdwa s[0:1], v6, v27 src0_sel:WORD_0 src1_sel:DWORD
	s_nop 1
	v_cndmask_b32_e64 v22, v7, v6, s[0:1]
; %bb.670:                              ;   in Loop: Header=BB314_303 Depth=1
	s_or_b64 exec, exec, s[12:13]
	v_bfe_u32 v6, v4, 8, 8
	v_cvt_f32_fp8_sdwa v6, v6 src0_sel:BYTE_0
                                        ; implicit-def: $vgpr23
	s_nop 0
	v_mul_f32_e32 v6, v38, v6
	v_and_b32_e32 v7, 0x7f800000, v6
	v_cmp_ne_u32_e64 s[0:1], s17, v7
	s_and_saveexec_b64 s[12:13], s[0:1]
	s_xor_b64 s[0:1], exec, s[12:13]
; %bb.671:                              ;   in Loop: Header=BB314_303 Depth=1
	v_bfe_u32 v7, v6, 16, 1
	v_add3_u32 v23, v6, v7, s20
                                        ; implicit-def: $vgpr6
; %bb.672:                              ;   in Loop: Header=BB314_303 Depth=1
	s_andn2_saveexec_b64 s[12:13], s[0:1]
; %bb.673:                              ;   in Loop: Header=BB314_303 Depth=1
	v_or_b32_e32 v7, 0x10000, v6
	v_cmp_eq_u32_sdwa s[0:1], v6, v27 src0_sel:WORD_0 src1_sel:DWORD
	s_nop 1
	v_cndmask_b32_e64 v23, v7, v6, s[0:1]
; %bb.674:                              ;   in Loop: Header=BB314_303 Depth=1
	s_or_b64 exec, exec, s[12:13]
	v_bfe_u32 v6, v4, 16, 8
	v_cvt_f32_fp8_sdwa v6, v6 src0_sel:BYTE_0
                                        ; implicit-def: $vgpr18
	s_nop 0
	v_mul_f32_e32 v6, v38, v6
	v_and_b32_e32 v7, 0x7f800000, v6
	v_cmp_ne_u32_e64 s[0:1], s17, v7
	s_and_saveexec_b64 s[12:13], s[0:1]
	s_xor_b64 s[0:1], exec, s[12:13]
; %bb.675:                              ;   in Loop: Header=BB314_303 Depth=1
	v_bfe_u32 v7, v6, 16, 1
	v_add3_u32 v18, v6, v7, s20
                                        ; implicit-def: $vgpr6
; %bb.676:                              ;   in Loop: Header=BB314_303 Depth=1
	s_andn2_saveexec_b64 s[12:13], s[0:1]
; %bb.677:                              ;   in Loop: Header=BB314_303 Depth=1
	v_or_b32_e32 v7, 0x10000, v6
	v_cmp_eq_u32_sdwa s[0:1], v6, v27 src0_sel:WORD_0 src1_sel:DWORD
	s_nop 1
	v_cndmask_b32_e64 v18, v7, v6, s[0:1]
; %bb.678:                              ;   in Loop: Header=BB314_303 Depth=1
	s_or_b64 exec, exec, s[12:13]
	v_lshrrev_b32_e32 v4, 24, v4
	v_cvt_f32_fp8_sdwa v4, v4 src0_sel:BYTE_0
	s_nop 0
	v_mul_f32_e32 v6, v38, v4
	v_and_b32_e32 v4, 0x7f800000, v6
	v_cmp_ne_u32_e64 s[0:1], s17, v4
                                        ; implicit-def: $vgpr4
	s_and_saveexec_b64 s[12:13], s[0:1]
	s_xor_b64 s[0:1], exec, s[12:13]
; %bb.679:                              ;   in Loop: Header=BB314_303 Depth=1
	v_bfe_u32 v4, v6, 16, 1
	v_add3_u32 v4, v6, v4, s20
                                        ; implicit-def: $vgpr6
; %bb.680:                              ;   in Loop: Header=BB314_303 Depth=1
	s_andn2_saveexec_b64 s[12:13], s[0:1]
; %bb.681:                              ;   in Loop: Header=BB314_303 Depth=1
	v_or_b32_e32 v4, 0x10000, v6
	v_cmp_eq_u32_sdwa s[0:1], v6, v27 src0_sel:WORD_0 src1_sel:DWORD
	s_nop 1
	v_cndmask_b32_e64 v4, v4, v6, s[0:1]
; %bb.682:                              ;   in Loop: Header=BB314_303 Depth=1
	s_or_b64 exec, exec, s[12:13]
	v_and_b32_e32 v6, 0xff, v5
	v_cvt_f32_fp8_sdwa v6, v6 src0_sel:BYTE_0
	s_nop 0
	v_mul_f32_e32 v7, v38, v6
	v_and_b32_e32 v6, 0x7f800000, v7
	v_cmp_ne_u32_e64 s[0:1], s17, v6
                                        ; implicit-def: $vgpr6
	s_and_saveexec_b64 s[12:13], s[0:1]
	s_xor_b64 s[0:1], exec, s[12:13]
; %bb.683:                              ;   in Loop: Header=BB314_303 Depth=1
	v_bfe_u32 v6, v7, 16, 1
	v_add3_u32 v6, v7, v6, s20
                                        ; implicit-def: $vgpr7
; %bb.684:                              ;   in Loop: Header=BB314_303 Depth=1
	s_andn2_saveexec_b64 s[12:13], s[0:1]
; %bb.685:                              ;   in Loop: Header=BB314_303 Depth=1
	v_or_b32_e32 v6, 0x10000, v7
	v_cmp_eq_u32_sdwa s[0:1], v7, v27 src0_sel:WORD_0 src1_sel:DWORD
	s_nop 1
	v_cndmask_b32_e64 v6, v6, v7, s[0:1]
; %bb.686:                              ;   in Loop: Header=BB314_303 Depth=1
	s_or_b64 exec, exec, s[12:13]
	v_bfe_u32 v7, v5, 8, 8
	v_cvt_f32_fp8_sdwa v7, v7 src0_sel:BYTE_0
                                        ; implicit-def: $vgpr17
	s_nop 0
	v_mul_f32_e32 v7, v38, v7
	v_and_b32_e32 v16, 0x7f800000, v7
	v_cmp_ne_u32_e64 s[0:1], s17, v16
	s_and_saveexec_b64 s[12:13], s[0:1]
	s_xor_b64 s[0:1], exec, s[12:13]
; %bb.687:                              ;   in Loop: Header=BB314_303 Depth=1
	v_bfe_u32 v16, v7, 16, 1
	v_add3_u32 v17, v7, v16, s20
                                        ; implicit-def: $vgpr7
; %bb.688:                              ;   in Loop: Header=BB314_303 Depth=1
	s_andn2_saveexec_b64 s[12:13], s[0:1]
; %bb.689:                              ;   in Loop: Header=BB314_303 Depth=1
	v_or_b32_e32 v16, 0x10000, v7
	v_cmp_eq_u32_sdwa s[0:1], v7, v27 src0_sel:WORD_0 src1_sel:DWORD
	s_nop 1
	v_cndmask_b32_e64 v17, v16, v7, s[0:1]
; %bb.690:                              ;   in Loop: Header=BB314_303 Depth=1
	s_or_b64 exec, exec, s[12:13]
	v_bfe_u32 v7, v5, 16, 8
	v_cvt_f32_fp8_sdwa v7, v7 src0_sel:BYTE_0
                                        ; implicit-def: $vgpr28
	s_nop 0
	v_mul_f32_e32 v7, v38, v7
	v_and_b32_e32 v16, 0x7f800000, v7
	v_cmp_ne_u32_e64 s[0:1], s17, v16
	s_and_saveexec_b64 s[12:13], s[0:1]
	s_xor_b64 s[0:1], exec, s[12:13]
; %bb.691:                              ;   in Loop: Header=BB314_303 Depth=1
	v_bfe_u32 v16, v7, 16, 1
	v_add3_u32 v28, v7, v16, s20
                                        ; implicit-def: $vgpr7
; %bb.692:                              ;   in Loop: Header=BB314_303 Depth=1
	s_andn2_saveexec_b64 s[12:13], s[0:1]
; %bb.693:                              ;   in Loop: Header=BB314_303 Depth=1
	v_or_b32_e32 v16, 0x10000, v7
	v_cmp_eq_u32_sdwa s[0:1], v7, v27 src0_sel:WORD_0 src1_sel:DWORD
	s_nop 1
	v_cndmask_b32_e64 v28, v16, v7, s[0:1]
; %bb.694:                              ;   in Loop: Header=BB314_303 Depth=1
	s_or_b64 exec, exec, s[12:13]
	v_lshrrev_b32_e32 v5, 24, v5
	v_cvt_f32_fp8_sdwa v5, v5 src0_sel:BYTE_0
                                        ; implicit-def: $vgpr32
	s_nop 0
	v_mul_f32_e32 v5, v38, v5
	v_and_b32_e32 v7, 0x7f800000, v5
	v_cmp_ne_u32_e64 s[0:1], s17, v7
	s_and_saveexec_b64 s[12:13], s[0:1]
	s_xor_b64 s[0:1], exec, s[12:13]
; %bb.695:                              ;   in Loop: Header=BB314_303 Depth=1
	v_bfe_u32 v7, v5, 16, 1
	v_add3_u32 v32, v5, v7, s20
                                        ; implicit-def: $vgpr5
; %bb.696:                              ;   in Loop: Header=BB314_303 Depth=1
	s_andn2_saveexec_b64 s[12:13], s[0:1]
; %bb.697:                              ;   in Loop: Header=BB314_303 Depth=1
	v_or_b32_e32 v7, 0x10000, v5
	v_cmp_eq_u32_sdwa s[0:1], v5, v27 src0_sel:WORD_0 src1_sel:DWORD
	s_nop 1
	v_cndmask_b32_e64 v32, v7, v5, s[0:1]
; %bb.698:                              ;   in Loop: Header=BB314_303 Depth=1
	s_or_b64 exec, exec, s[12:13]
	v_lshrrev_b32_e32 v30, 16, v17
	v_lshrrev_b32_e32 v17, 16, v6
	;; [unrolled: 1-line block ×8, first 2 shown]
	s_and_saveexec_b64 s[12:13], vcc
	s_cbranch_execz .LBB314_700
; %bb.699:                              ;   in Loop: Header=BB314_303 Depth=1
	scratch_load_dword v16, off, s32 offset:192 ; 4-byte Folded Reload
	v_accvgpr_read_b32 v22, a35
	s_waitcnt vmcnt(0)
	v_cmp_lt_i32_e64 s[0:1], v50, v16
	s_nop 1
	v_cndmask_b32_e64 v7, 0, v7, s[0:1]
	v_cmp_lt_i32_e64 s[0:1], v22, v16
	v_accvgpr_read_b32 v22, a34
	s_nop 0
	v_cndmask_b32_e64 v18, 0, v18, s[0:1]
	v_cmp_lt_i32_e64 s[0:1], v22, v16
	v_accvgpr_read_b32 v22, a33
	;; [unrolled: 4-line block ×6, first 2 shown]
	s_nop 0
	v_cndmask_b32_e64 v5, 0, v5, s[0:1]
	v_cmp_lt_i32_e64 s[0:1], v22, v16
	s_nop 1
	v_cndmask_b32_e64 v4, 0, v4, s[0:1]
.LBB314_700:                            ;   in Loop: Header=BB314_303 Depth=1
	s_or_b64 exec, exec, s[12:13]
	v_lshlrev_b32_e32 v7, 16, v7
	v_mul_f32_e32 v7, v42, v7
	v_and_b32_e32 v16, 0x7f800000, v7
	v_cmp_ne_u32_e64 s[0:1], s17, v16
                                        ; implicit-def: $vgpr32
	s_and_saveexec_b64 s[12:13], s[0:1]
	s_xor_b64 s[0:1], exec, s[12:13]
; %bb.701:                              ;   in Loop: Header=BB314_303 Depth=1
	v_bfe_u32 v16, v7, 16, 1
	v_add3_u32 v32, v7, v16, s20
                                        ; implicit-def: $vgpr7
; %bb.702:                              ;   in Loop: Header=BB314_303 Depth=1
	s_andn2_saveexec_b64 s[12:13], s[0:1]
; %bb.703:                              ;   in Loop: Header=BB314_303 Depth=1
	v_or_b32_e32 v16, 0x10000, v7
	v_cmp_eq_u32_sdwa s[0:1], v7, v27 src0_sel:WORD_0 src1_sel:DWORD
	s_nop 1
	v_cndmask_b32_e64 v32, v16, v7, s[0:1]
; %bb.704:                              ;   in Loop: Header=BB314_303 Depth=1
	s_or_b64 exec, exec, s[12:13]
	v_lshlrev_b32_e32 v7, 16, v18
	v_mul_f32_e32 v7, v43, v7
	v_and_b32_e32 v16, 0x7f800000, v7
	v_cmp_ne_u32_e64 s[0:1], s17, v16
                                        ; implicit-def: $vgpr28
	s_and_saveexec_b64 s[12:13], s[0:1]
	s_xor_b64 s[0:1], exec, s[12:13]
; %bb.705:                              ;   in Loop: Header=BB314_303 Depth=1
	v_bfe_u32 v16, v7, 16, 1
	v_add3_u32 v28, v7, v16, s20
                                        ; implicit-def: $vgpr7
; %bb.706:                              ;   in Loop: Header=BB314_303 Depth=1
	s_andn2_saveexec_b64 s[12:13], s[0:1]
; %bb.707:                              ;   in Loop: Header=BB314_303 Depth=1
	v_or_b32_e32 v16, 0x10000, v7
	v_cmp_eq_u32_sdwa s[0:1], v7, v27 src0_sel:WORD_0 src1_sel:DWORD
	s_nop 1
	v_cndmask_b32_e64 v28, v16, v7, s[0:1]
; %bb.708:                              ;   in Loop: Header=BB314_303 Depth=1
	s_or_b64 exec, exec, s[12:13]
	v_lshlrev_b32_e32 v6, 16, v6
	v_mul_f32_e32 v6, v44, v6
	v_and_b32_e32 v7, 0x7f800000, v6
	v_cmp_ne_u32_e64 s[0:1], s17, v7
                                        ; implicit-def: $vgpr51
	s_and_saveexec_b64 s[12:13], s[0:1]
	s_xor_b64 s[0:1], exec, s[12:13]
; %bb.709:                              ;   in Loop: Header=BB314_303 Depth=1
	v_bfe_u32 v7, v6, 16, 1
	v_add3_u32 v51, v6, v7, s20
                                        ; implicit-def: $vgpr6
; %bb.710:                              ;   in Loop: Header=BB314_303 Depth=1
	s_andn2_saveexec_b64 s[12:13], s[0:1]
; %bb.711:                              ;   in Loop: Header=BB314_303 Depth=1
	v_or_b32_e32 v7, 0x10000, v6
	v_cmp_eq_u32_sdwa s[0:1], v6, v27 src0_sel:WORD_0 src1_sel:DWORD
	s_nop 1
	v_cndmask_b32_e64 v51, v7, v6, s[0:1]
; %bb.712:                              ;   in Loop: Header=BB314_303 Depth=1
	s_or_b64 exec, exec, s[12:13]
	v_lshlrev_b32_e32 v6, 16, v31
	v_mul_f32_e32 v6, v45, v6
	v_and_b32_e32 v7, 0x7f800000, v6
	v_cmp_ne_u32_e64 s[0:1], s17, v7
                                        ; implicit-def: $vgpr52
	s_and_saveexec_b64 s[12:13], s[0:1]
	s_xor_b64 s[0:1], exec, s[12:13]
; %bb.713:                              ;   in Loop: Header=BB314_303 Depth=1
	v_bfe_u32 v7, v6, 16, 1
	v_add3_u32 v52, v6, v7, s20
                                        ; implicit-def: $vgpr6
; %bb.714:                              ;   in Loop: Header=BB314_303 Depth=1
	s_andn2_saveexec_b64 s[12:13], s[0:1]
; %bb.715:                              ;   in Loop: Header=BB314_303 Depth=1
	v_or_b32_e32 v7, 0x10000, v6
	v_cmp_eq_u32_sdwa s[0:1], v6, v27 src0_sel:WORD_0 src1_sel:DWORD
	s_nop 1
	v_cndmask_b32_e64 v52, v7, v6, s[0:1]
; %bb.716:                              ;   in Loop: Header=BB314_303 Depth=1
	s_or_b64 exec, exec, s[12:13]
	v_lshlrev_b32_e32 v6, 16, v17
	v_mul_f32_e32 v6, v61, v6
	v_and_b32_e32 v7, 0x7f800000, v6
	v_cmp_ne_u32_e64 s[0:1], s17, v7
                                        ; implicit-def: $vgpr53
	s_and_saveexec_b64 s[12:13], s[0:1]
	s_xor_b64 s[0:1], exec, s[12:13]
; %bb.717:                              ;   in Loop: Header=BB314_303 Depth=1
	v_bfe_u32 v7, v6, 16, 1
	v_add3_u32 v53, v6, v7, s20
                                        ; implicit-def: $vgpr6
; %bb.718:                              ;   in Loop: Header=BB314_303 Depth=1
	s_andn2_saveexec_b64 s[12:13], s[0:1]
; %bb.719:                              ;   in Loop: Header=BB314_303 Depth=1
	v_or_b32_e32 v7, 0x10000, v6
	v_cmp_eq_u32_sdwa s[0:1], v6, v27 src0_sel:WORD_0 src1_sel:DWORD
	s_nop 1
	v_cndmask_b32_e64 v53, v7, v6, s[0:1]
; %bb.720:                              ;   in Loop: Header=BB314_303 Depth=1
	s_or_b64 exec, exec, s[12:13]
	v_lshlrev_b32_e32 v6, 16, v30
	v_mul_f32_e32 v6, v62, v6
	v_and_b32_e32 v7, 0x7f800000, v6
	v_cmp_ne_u32_e64 s[0:1], s17, v7
                                        ; implicit-def: $vgpr56
	s_and_saveexec_b64 s[12:13], s[0:1]
	s_xor_b64 s[0:1], exec, s[12:13]
; %bb.721:                              ;   in Loop: Header=BB314_303 Depth=1
	v_bfe_u32 v7, v6, 16, 1
	v_add3_u32 v56, v6, v7, s20
                                        ; implicit-def: $vgpr6
; %bb.722:                              ;   in Loop: Header=BB314_303 Depth=1
	s_andn2_saveexec_b64 s[12:13], s[0:1]
; %bb.723:                              ;   in Loop: Header=BB314_303 Depth=1
	v_or_b32_e32 v7, 0x10000, v6
	v_cmp_eq_u32_sdwa s[0:1], v6, v27 src0_sel:WORD_0 src1_sel:DWORD
	s_nop 1
	v_cndmask_b32_e64 v56, v7, v6, s[0:1]
; %bb.724:                              ;   in Loop: Header=BB314_303 Depth=1
	s_or_b64 exec, exec, s[12:13]
	v_lshlrev_b32_e32 v5, 16, v5
	v_mul_f32_e32 v5, v63, v5
	v_and_b32_e32 v6, 0x7f800000, v5
	v_cmp_ne_u32_e64 s[0:1], s17, v6
                                        ; implicit-def: $vgpr54
	s_and_saveexec_b64 s[12:13], s[0:1]
	s_xor_b64 s[0:1], exec, s[12:13]
; %bb.725:                              ;   in Loop: Header=BB314_303 Depth=1
	v_bfe_u32 v6, v5, 16, 1
	v_add3_u32 v54, v5, v6, s20
                                        ; implicit-def: $vgpr5
; %bb.726:                              ;   in Loop: Header=BB314_303 Depth=1
	s_andn2_saveexec_b64 s[12:13], s[0:1]
; %bb.727:                              ;   in Loop: Header=BB314_303 Depth=1
	v_or_b32_e32 v6, 0x10000, v5
	v_cmp_eq_u32_sdwa s[0:1], v5, v27 src0_sel:WORD_0 src1_sel:DWORD
	s_nop 1
	v_cndmask_b32_e64 v54, v6, v5, s[0:1]
; %bb.728:                              ;   in Loop: Header=BB314_303 Depth=1
	s_or_b64 exec, exec, s[12:13]
	v_lshlrev_b32_e32 v4, 16, v4
	v_mul_f32_e32 v4, v33, v4
	v_and_b32_e32 v5, 0x7f800000, v4
	v_cmp_ne_u32_e64 s[0:1], s17, v5
                                        ; implicit-def: $vgpr55
	s_and_saveexec_b64 s[12:13], s[0:1]
	s_xor_b64 s[0:1], exec, s[12:13]
; %bb.729:                              ;   in Loop: Header=BB314_303 Depth=1
	v_bfe_u32 v5, v4, 16, 1
	v_add3_u32 v55, v4, v5, s20
                                        ; implicit-def: $vgpr4
; %bb.730:                              ;   in Loop: Header=BB314_303 Depth=1
	s_andn2_saveexec_b64 s[12:13], s[0:1]
; %bb.731:                              ;   in Loop: Header=BB314_303 Depth=1
	v_or_b32_e32 v5, 0x10000, v4
	v_cmp_eq_u32_sdwa s[0:1], v4, v27 src0_sel:WORD_0 src1_sel:DWORD
	s_nop 1
	v_cndmask_b32_e64 v55, v5, v4, s[0:1]
; %bb.732:                              ;   in Loop: Header=BB314_303 Depth=1
	s_or_b64 exec, exec, s[12:13]
	flat_load_dwordx2 v[4:5], v[2:3] offset:3072
                                        ; implicit-def: $vgpr22
	s_waitcnt vmcnt(0) lgkmcnt(0)
	v_and_b32_e32 v6, 0xff, v4
	v_cvt_f32_fp8_sdwa v6, v6 src0_sel:BYTE_0
	s_nop 0
	v_mul_f32_e32 v6, v38, v6
	v_and_b32_e32 v7, 0x7f800000, v6
	v_cmp_ne_u32_e64 s[0:1], s17, v7
	s_and_saveexec_b64 s[12:13], s[0:1]
	s_xor_b64 s[0:1], exec, s[12:13]
; %bb.733:                              ;   in Loop: Header=BB314_303 Depth=1
	v_bfe_u32 v7, v6, 16, 1
	v_add3_u32 v22, v6, v7, s20
                                        ; implicit-def: $vgpr6
; %bb.734:                              ;   in Loop: Header=BB314_303 Depth=1
	s_andn2_saveexec_b64 s[12:13], s[0:1]
; %bb.735:                              ;   in Loop: Header=BB314_303 Depth=1
	v_or_b32_e32 v7, 0x10000, v6
	v_cmp_eq_u32_sdwa s[0:1], v6, v27 src0_sel:WORD_0 src1_sel:DWORD
	s_nop 1
	v_cndmask_b32_e64 v22, v7, v6, s[0:1]
; %bb.736:                              ;   in Loop: Header=BB314_303 Depth=1
	s_or_b64 exec, exec, s[12:13]
	v_bfe_u32 v6, v4, 8, 8
	v_cvt_f32_fp8_sdwa v6, v6 src0_sel:BYTE_0
                                        ; implicit-def: $vgpr23
	s_nop 0
	v_mul_f32_e32 v6, v38, v6
	v_and_b32_e32 v7, 0x7f800000, v6
	v_cmp_ne_u32_e64 s[0:1], s17, v7
	s_and_saveexec_b64 s[12:13], s[0:1]
	s_xor_b64 s[0:1], exec, s[12:13]
; %bb.737:                              ;   in Loop: Header=BB314_303 Depth=1
	v_bfe_u32 v7, v6, 16, 1
	v_add3_u32 v23, v6, v7, s20
                                        ; implicit-def: $vgpr6
; %bb.738:                              ;   in Loop: Header=BB314_303 Depth=1
	s_andn2_saveexec_b64 s[12:13], s[0:1]
; %bb.739:                              ;   in Loop: Header=BB314_303 Depth=1
	v_or_b32_e32 v7, 0x10000, v6
	v_cmp_eq_u32_sdwa s[0:1], v6, v27 src0_sel:WORD_0 src1_sel:DWORD
	s_nop 1
	v_cndmask_b32_e64 v23, v7, v6, s[0:1]
; %bb.740:                              ;   in Loop: Header=BB314_303 Depth=1
	s_or_b64 exec, exec, s[12:13]
	v_bfe_u32 v6, v4, 16, 8
	v_cvt_f32_fp8_sdwa v6, v6 src0_sel:BYTE_0
                                        ; implicit-def: $vgpr18
	s_nop 0
	v_mul_f32_e32 v6, v38, v6
	v_and_b32_e32 v7, 0x7f800000, v6
	v_cmp_ne_u32_e64 s[0:1], s17, v7
	s_and_saveexec_b64 s[12:13], s[0:1]
	s_xor_b64 s[0:1], exec, s[12:13]
; %bb.741:                              ;   in Loop: Header=BB314_303 Depth=1
	v_bfe_u32 v7, v6, 16, 1
	v_add3_u32 v18, v6, v7, s20
                                        ; implicit-def: $vgpr6
; %bb.742:                              ;   in Loop: Header=BB314_303 Depth=1
	s_andn2_saveexec_b64 s[12:13], s[0:1]
; %bb.743:                              ;   in Loop: Header=BB314_303 Depth=1
	v_or_b32_e32 v7, 0x10000, v6
	v_cmp_eq_u32_sdwa s[0:1], v6, v27 src0_sel:WORD_0 src1_sel:DWORD
	s_nop 1
	v_cndmask_b32_e64 v18, v7, v6, s[0:1]
; %bb.744:                              ;   in Loop: Header=BB314_303 Depth=1
	s_or_b64 exec, exec, s[12:13]
	v_lshrrev_b32_e32 v4, 24, v4
	v_cvt_f32_fp8_sdwa v4, v4 src0_sel:BYTE_0
	s_nop 0
	v_mul_f32_e32 v6, v38, v4
	v_and_b32_e32 v4, 0x7f800000, v6
	v_cmp_ne_u32_e64 s[0:1], s17, v4
                                        ; implicit-def: $vgpr4
	s_and_saveexec_b64 s[12:13], s[0:1]
	s_xor_b64 s[0:1], exec, s[12:13]
; %bb.745:                              ;   in Loop: Header=BB314_303 Depth=1
	v_bfe_u32 v4, v6, 16, 1
	v_add3_u32 v4, v6, v4, s20
                                        ; implicit-def: $vgpr6
; %bb.746:                              ;   in Loop: Header=BB314_303 Depth=1
	s_andn2_saveexec_b64 s[12:13], s[0:1]
; %bb.747:                              ;   in Loop: Header=BB314_303 Depth=1
	v_or_b32_e32 v4, 0x10000, v6
	v_cmp_eq_u32_sdwa s[0:1], v6, v27 src0_sel:WORD_0 src1_sel:DWORD
	s_nop 1
	v_cndmask_b32_e64 v4, v4, v6, s[0:1]
; %bb.748:                              ;   in Loop: Header=BB314_303 Depth=1
	s_or_b64 exec, exec, s[12:13]
	v_and_b32_e32 v6, 0xff, v5
	v_cvt_f32_fp8_sdwa v6, v6 src0_sel:BYTE_0
	s_nop 0
	v_mul_f32_e32 v7, v38, v6
	v_and_b32_e32 v6, 0x7f800000, v7
	v_cmp_ne_u32_e64 s[0:1], s17, v6
                                        ; implicit-def: $vgpr6
	s_and_saveexec_b64 s[12:13], s[0:1]
	s_xor_b64 s[0:1], exec, s[12:13]
; %bb.749:                              ;   in Loop: Header=BB314_303 Depth=1
	v_bfe_u32 v6, v7, 16, 1
	v_add3_u32 v6, v7, v6, s20
                                        ; implicit-def: $vgpr7
; %bb.750:                              ;   in Loop: Header=BB314_303 Depth=1
	s_andn2_saveexec_b64 s[12:13], s[0:1]
; %bb.751:                              ;   in Loop: Header=BB314_303 Depth=1
	v_or_b32_e32 v6, 0x10000, v7
	v_cmp_eq_u32_sdwa s[0:1], v7, v27 src0_sel:WORD_0 src1_sel:DWORD
	s_nop 1
	v_cndmask_b32_e64 v6, v6, v7, s[0:1]
; %bb.752:                              ;   in Loop: Header=BB314_303 Depth=1
	s_or_b64 exec, exec, s[12:13]
	v_bfe_u32 v7, v5, 8, 8
	v_cvt_f32_fp8_sdwa v7, v7 src0_sel:BYTE_0
                                        ; implicit-def: $vgpr17
	s_nop 0
	v_mul_f32_e32 v7, v38, v7
	v_and_b32_e32 v16, 0x7f800000, v7
	v_cmp_ne_u32_e64 s[0:1], s17, v16
	s_and_saveexec_b64 s[12:13], s[0:1]
	s_xor_b64 s[0:1], exec, s[12:13]
; %bb.753:                              ;   in Loop: Header=BB314_303 Depth=1
	v_bfe_u32 v16, v7, 16, 1
	v_add3_u32 v17, v7, v16, s20
                                        ; implicit-def: $vgpr7
; %bb.754:                              ;   in Loop: Header=BB314_303 Depth=1
	s_andn2_saveexec_b64 s[12:13], s[0:1]
; %bb.755:                              ;   in Loop: Header=BB314_303 Depth=1
	v_or_b32_e32 v16, 0x10000, v7
	v_cmp_eq_u32_sdwa s[0:1], v7, v27 src0_sel:WORD_0 src1_sel:DWORD
	s_nop 1
	v_cndmask_b32_e64 v17, v16, v7, s[0:1]
; %bb.756:                              ;   in Loop: Header=BB314_303 Depth=1
	s_or_b64 exec, exec, s[12:13]
	v_bfe_u32 v7, v5, 16, 8
	v_cvt_f32_fp8_sdwa v7, v7 src0_sel:BYTE_0
                                        ; implicit-def: $vgpr30
	s_nop 0
	v_mul_f32_e32 v7, v38, v7
	v_and_b32_e32 v16, 0x7f800000, v7
	v_cmp_ne_u32_e64 s[0:1], s17, v16
	s_and_saveexec_b64 s[12:13], s[0:1]
	s_xor_b64 s[0:1], exec, s[12:13]
; %bb.757:                              ;   in Loop: Header=BB314_303 Depth=1
	v_bfe_u32 v16, v7, 16, 1
	v_add3_u32 v30, v7, v16, s20
                                        ; implicit-def: $vgpr7
; %bb.758:                              ;   in Loop: Header=BB314_303 Depth=1
	s_andn2_saveexec_b64 s[12:13], s[0:1]
; %bb.759:                              ;   in Loop: Header=BB314_303 Depth=1
	v_or_b32_e32 v16, 0x10000, v7
	v_cmp_eq_u32_sdwa s[0:1], v7, v27 src0_sel:WORD_0 src1_sel:DWORD
	s_nop 1
	v_cndmask_b32_e64 v30, v16, v7, s[0:1]
; %bb.760:                              ;   in Loop: Header=BB314_303 Depth=1
	s_or_b64 exec, exec, s[12:13]
	v_lshrrev_b32_e32 v5, 24, v5
	v_cvt_f32_fp8_sdwa v5, v5 src0_sel:BYTE_0
	s_nop 0
	v_mul_f32_e32 v5, v38, v5
	v_and_b32_e32 v7, 0x7f800000, v5
	v_cmp_ne_u32_e64 s[0:1], s17, v7
                                        ; implicit-def: $vgpr7
	s_and_saveexec_b64 s[12:13], s[0:1]
	s_xor_b64 s[0:1], exec, s[12:13]
; %bb.761:                              ;   in Loop: Header=BB314_303 Depth=1
	v_bfe_u32 v7, v5, 16, 1
	v_add3_u32 v7, v5, v7, s20
                                        ; implicit-def: $vgpr5
; %bb.762:                              ;   in Loop: Header=BB314_303 Depth=1
	s_andn2_saveexec_b64 s[12:13], s[0:1]
; %bb.763:                              ;   in Loop: Header=BB314_303 Depth=1
	v_or_b32_e32 v7, 0x10000, v5
	v_cmp_eq_u32_sdwa s[0:1], v5, v27 src0_sel:WORD_0 src1_sel:DWORD
	s_nop 1
	v_cndmask_b32_e64 v7, v7, v5, s[0:1]
; %bb.764:                              ;   in Loop: Header=BB314_303 Depth=1
	s_or_b64 exec, exec, s[12:13]
	v_lshrrev_b32_e32 v57, 16, v17
	v_lshrrev_b32_e32 v17, 16, v6
	v_lshrrev_b32_e32 v41, 16, v4
	v_lshrrev_b32_e32 v6, 16, v18
	v_lshrrev_b32_e32 v5, 16, v23
	v_lshrrev_b32_e32 v4, 16, v22
	v_lshrrev_b32_e32 v30, 16, v30
	v_lshrrev_b32_e32 v31, 16, v7
	s_and_saveexec_b64 s[12:13], vcc
	s_cbranch_execz .LBB314_766
; %bb.765:                              ;   in Loop: Header=BB314_303 Depth=1
	scratch_load_dword v7, off, s32 offset:192 ; 4-byte Folded Reload
	v_accvgpr_read_b32 v16, a35
	s_waitcnt vmcnt(0)
	v_cmp_lt_i32_e64 s[0:1], v50, v7
	s_nop 1
	v_cndmask_b32_e64 v4, 0, v4, s[0:1]
	v_cmp_lt_i32_e64 s[0:1], v16, v7
	v_accvgpr_read_b32 v16, a34
	s_nop 0
	v_cndmask_b32_e64 v5, 0, v5, s[0:1]
	v_cmp_lt_i32_e64 s[0:1], v16, v7
	v_accvgpr_read_b32 v16, a33
	;; [unrolled: 4-line block ×6, first 2 shown]
	s_nop 0
	v_cndmask_b32_e64 v30, 0, v30, s[0:1]
	v_cmp_lt_i32_e64 s[0:1], v16, v7
	s_nop 1
	v_cndmask_b32_e64 v31, 0, v31, s[0:1]
.LBB314_766:                            ;   in Loop: Header=BB314_303 Depth=1
	s_or_b64 exec, exec, s[12:13]
	v_lshlrev_b32_e32 v4, 16, v4
	v_mul_f32_e32 v7, v42, v4
	v_and_b32_e32 v4, 0x7f800000, v7
	v_cmp_ne_u32_e64 s[0:1], s17, v4
                                        ; implicit-def: $vgpr4
	s_and_saveexec_b64 s[12:13], s[0:1]
	s_xor_b64 s[0:1], exec, s[12:13]
; %bb.767:                              ;   in Loop: Header=BB314_303 Depth=1
	v_bfe_u32 v4, v7, 16, 1
	v_add3_u32 v4, v7, v4, s20
                                        ; implicit-def: $vgpr7
; %bb.768:                              ;   in Loop: Header=BB314_303 Depth=1
	s_andn2_saveexec_b64 s[12:13], s[0:1]
; %bb.769:                              ;   in Loop: Header=BB314_303 Depth=1
	v_or_b32_e32 v4, 0x10000, v7
	v_cmp_eq_u32_sdwa s[0:1], v7, v27 src0_sel:WORD_0 src1_sel:DWORD
	s_nop 1
	v_cndmask_b32_e64 v4, v4, v7, s[0:1]
; %bb.770:                              ;   in Loop: Header=BB314_303 Depth=1
	s_or_b64 exec, exec, s[12:13]
	v_lshlrev_b32_e32 v5, 16, v5
	v_mul_f32_e32 v7, v43, v5
	v_and_b32_e32 v5, 0x7f800000, v7
	v_cmp_ne_u32_e64 s[0:1], s17, v5
                                        ; implicit-def: $vgpr5
	s_and_saveexec_b64 s[12:13], s[0:1]
	s_xor_b64 s[0:1], exec, s[12:13]
; %bb.771:                              ;   in Loop: Header=BB314_303 Depth=1
	v_bfe_u32 v5, v7, 16, 1
	v_add3_u32 v5, v7, v5, s20
                                        ; implicit-def: $vgpr7
; %bb.772:                              ;   in Loop: Header=BB314_303 Depth=1
	s_andn2_saveexec_b64 s[12:13], s[0:1]
; %bb.773:                              ;   in Loop: Header=BB314_303 Depth=1
	v_or_b32_e32 v5, 0x10000, v7
	v_cmp_eq_u32_sdwa s[0:1], v7, v27 src0_sel:WORD_0 src1_sel:DWORD
	s_nop 1
	v_cndmask_b32_e64 v5, v5, v7, s[0:1]
; %bb.774:                              ;   in Loop: Header=BB314_303 Depth=1
	s_or_b64 exec, exec, s[12:13]
	v_lshlrev_b32_e32 v6, 16, v6
	v_mul_f32_e32 v6, v44, v6
	v_and_b32_e32 v7, 0x7f800000, v6
	v_cmp_ne_u32_e64 s[0:1], s17, v7
                                        ; implicit-def: $vgpr40
	s_and_saveexec_b64 s[12:13], s[0:1]
	s_xor_b64 s[0:1], exec, s[12:13]
; %bb.775:                              ;   in Loop: Header=BB314_303 Depth=1
	v_bfe_u32 v7, v6, 16, 1
	v_add3_u32 v40, v6, v7, s20
                                        ; implicit-def: $vgpr6
; %bb.776:                              ;   in Loop: Header=BB314_303 Depth=1
	s_andn2_saveexec_b64 s[12:13], s[0:1]
; %bb.777:                              ;   in Loop: Header=BB314_303 Depth=1
	v_or_b32_e32 v7, 0x10000, v6
	v_cmp_eq_u32_sdwa s[0:1], v6, v27 src0_sel:WORD_0 src1_sel:DWORD
	s_nop 1
	v_cndmask_b32_e64 v40, v7, v6, s[0:1]
; %bb.778:                              ;   in Loop: Header=BB314_303 Depth=1
	s_or_b64 exec, exec, s[12:13]
	v_lshlrev_b32_e32 v6, 16, v41
	v_mul_f32_e32 v6, v45, v6
	v_and_b32_e32 v7, 0x7f800000, v6
	v_cmp_ne_u32_e64 s[0:1], s17, v7
                                        ; implicit-def: $vgpr41
	s_and_saveexec_b64 s[12:13], s[0:1]
	s_xor_b64 s[0:1], exec, s[12:13]
; %bb.779:                              ;   in Loop: Header=BB314_303 Depth=1
	v_bfe_u32 v7, v6, 16, 1
	v_add3_u32 v41, v6, v7, s20
                                        ; implicit-def: $vgpr6
; %bb.780:                              ;   in Loop: Header=BB314_303 Depth=1
	s_andn2_saveexec_b64 s[12:13], s[0:1]
; %bb.781:                              ;   in Loop: Header=BB314_303 Depth=1
	v_or_b32_e32 v7, 0x10000, v6
	v_cmp_eq_u32_sdwa s[0:1], v6, v27 src0_sel:WORD_0 src1_sel:DWORD
	s_nop 1
	v_cndmask_b32_e64 v41, v7, v6, s[0:1]
; %bb.782:                              ;   in Loop: Header=BB314_303 Depth=1
	s_or_b64 exec, exec, s[12:13]
	v_lshlrev_b32_e32 v6, 16, v17
	v_mul_f32_e32 v6, v61, v6
	v_and_b32_e32 v7, 0x7f800000, v6
	v_cmp_ne_u32_e64 s[0:1], s17, v7
                                        ; implicit-def: $vgpr23
	s_and_saveexec_b64 s[12:13], s[0:1]
	s_xor_b64 s[0:1], exec, s[12:13]
; %bb.783:                              ;   in Loop: Header=BB314_303 Depth=1
	v_bfe_u32 v7, v6, 16, 1
	v_add3_u32 v23, v6, v7, s20
                                        ; implicit-def: $vgpr6
; %bb.784:                              ;   in Loop: Header=BB314_303 Depth=1
	s_andn2_saveexec_b64 s[12:13], s[0:1]
; %bb.785:                              ;   in Loop: Header=BB314_303 Depth=1
	v_or_b32_e32 v7, 0x10000, v6
	v_cmp_eq_u32_sdwa s[0:1], v6, v27 src0_sel:WORD_0 src1_sel:DWORD
	s_nop 1
	v_cndmask_b32_e64 v23, v7, v6, s[0:1]
; %bb.786:                              ;   in Loop: Header=BB314_303 Depth=1
	s_or_b64 exec, exec, s[12:13]
	v_lshlrev_b32_e32 v6, 16, v57
	v_mul_f32_e32 v6, v62, v6
	v_and_b32_e32 v7, 0x7f800000, v6
	v_cmp_ne_u32_e64 s[0:1], s17, v7
                                        ; implicit-def: $vgpr22
	s_and_saveexec_b64 s[12:13], s[0:1]
	s_xor_b64 s[0:1], exec, s[12:13]
; %bb.787:                              ;   in Loop: Header=BB314_303 Depth=1
	v_bfe_u32 v7, v6, 16, 1
	v_add3_u32 v22, v6, v7, s20
                                        ; implicit-def: $vgpr6
; %bb.788:                              ;   in Loop: Header=BB314_303 Depth=1
	s_andn2_saveexec_b64 s[12:13], s[0:1]
; %bb.789:                              ;   in Loop: Header=BB314_303 Depth=1
	v_or_b32_e32 v7, 0x10000, v6
	v_cmp_eq_u32_sdwa s[0:1], v6, v27 src0_sel:WORD_0 src1_sel:DWORD
	s_nop 1
	v_cndmask_b32_e64 v22, v7, v6, s[0:1]
; %bb.790:                              ;   in Loop: Header=BB314_303 Depth=1
	s_or_b64 exec, exec, s[12:13]
	v_lshlrev_b32_e32 v6, 16, v30
	v_mul_f32_e32 v6, v63, v6
	v_and_b32_e32 v7, 0x7f800000, v6
	v_cmp_ne_u32_e64 s[0:1], s17, v7
                                        ; implicit-def: $vgpr30
	s_and_saveexec_b64 s[12:13], s[0:1]
	s_xor_b64 s[0:1], exec, s[12:13]
; %bb.791:                              ;   in Loop: Header=BB314_303 Depth=1
	v_bfe_u32 v7, v6, 16, 1
	v_add3_u32 v30, v6, v7, s20
                                        ; implicit-def: $vgpr6
; %bb.792:                              ;   in Loop: Header=BB314_303 Depth=1
	s_andn2_saveexec_b64 s[12:13], s[0:1]
; %bb.793:                              ;   in Loop: Header=BB314_303 Depth=1
	v_or_b32_e32 v7, 0x10000, v6
	v_cmp_eq_u32_sdwa s[0:1], v6, v27 src0_sel:WORD_0 src1_sel:DWORD
	s_nop 1
	v_cndmask_b32_e64 v30, v7, v6, s[0:1]
; %bb.794:                              ;   in Loop: Header=BB314_303 Depth=1
	s_or_b64 exec, exec, s[12:13]
	v_lshlrev_b32_e32 v6, 16, v31
	v_mul_f32_e32 v6, v33, v6
	v_and_b32_e32 v7, 0x7f800000, v6
	v_cmp_ne_u32_e64 s[0:1], s17, v7
                                        ; implicit-def: $vgpr31
	s_and_saveexec_b64 s[12:13], s[0:1]
	s_xor_b64 s[0:1], exec, s[12:13]
; %bb.795:                              ;   in Loop: Header=BB314_303 Depth=1
	v_bfe_u32 v7, v6, 16, 1
	v_add3_u32 v31, v6, v7, s20
                                        ; implicit-def: $vgpr6
; %bb.796:                              ;   in Loop: Header=BB314_303 Depth=1
	s_andn2_saveexec_b64 s[12:13], s[0:1]
; %bb.797:                              ;   in Loop: Header=BB314_303 Depth=1
	v_or_b32_e32 v7, 0x10000, v6
	v_cmp_eq_u32_sdwa s[0:1], v6, v27 src0_sel:WORD_0 src1_sel:DWORD
	s_nop 1
	v_cndmask_b32_e64 v31, v7, v6, s[0:1]
; %bb.798:                              ;   in Loop: Header=BB314_303 Depth=1
	s_or_b64 exec, exec, s[12:13]
	flat_load_dwordx2 v[2:3], v[2:3] offset:3584
                                        ; implicit-def: $vgpr60
	s_waitcnt vmcnt(0) lgkmcnt(0)
	v_and_b32_e32 v6, 0xff, v2
	v_cvt_f32_fp8_sdwa v6, v6 src0_sel:BYTE_0
	s_nop 0
	v_mul_f32_e32 v6, v38, v6
	v_and_b32_e32 v7, 0x7f800000, v6
	v_cmp_ne_u32_e64 s[0:1], s17, v7
	s_and_saveexec_b64 s[12:13], s[0:1]
	s_xor_b64 s[0:1], exec, s[12:13]
; %bb.799:                              ;   in Loop: Header=BB314_303 Depth=1
	v_bfe_u32 v7, v6, 16, 1
	v_add3_u32 v60, v6, v7, s20
                                        ; implicit-def: $vgpr6
; %bb.800:                              ;   in Loop: Header=BB314_303 Depth=1
	s_andn2_saveexec_b64 s[12:13], s[0:1]
; %bb.801:                              ;   in Loop: Header=BB314_303 Depth=1
	v_or_b32_e32 v7, 0x10000, v6
	v_cmp_eq_u32_sdwa s[0:1], v6, v27 src0_sel:WORD_0 src1_sel:DWORD
	s_nop 1
	v_cndmask_b32_e64 v60, v7, v6, s[0:1]
; %bb.802:                              ;   in Loop: Header=BB314_303 Depth=1
	s_or_b64 exec, exec, s[12:13]
	v_bfe_u32 v6, v2, 8, 8
	v_cvt_f32_fp8_sdwa v6, v6 src0_sel:BYTE_0
                                        ; implicit-def: $vgpr57
	s_nop 0
	v_mul_f32_e32 v6, v38, v6
	v_and_b32_e32 v7, 0x7f800000, v6
	v_cmp_ne_u32_e64 s[0:1], s17, v7
	s_and_saveexec_b64 s[12:13], s[0:1]
	s_xor_b64 s[0:1], exec, s[12:13]
; %bb.803:                              ;   in Loop: Header=BB314_303 Depth=1
	v_bfe_u32 v7, v6, 16, 1
	v_add3_u32 v57, v6, v7, s20
                                        ; implicit-def: $vgpr6
; %bb.804:                              ;   in Loop: Header=BB314_303 Depth=1
	s_andn2_saveexec_b64 s[12:13], s[0:1]
; %bb.805:                              ;   in Loop: Header=BB314_303 Depth=1
	v_or_b32_e32 v7, 0x10000, v6
	v_cmp_eq_u32_sdwa s[0:1], v6, v27 src0_sel:WORD_0 src1_sel:DWORD
	s_nop 1
	v_cndmask_b32_e64 v57, v7, v6, s[0:1]
; %bb.806:                              ;   in Loop: Header=BB314_303 Depth=1
	s_or_b64 exec, exec, s[12:13]
	v_bfe_u32 v6, v2, 16, 8
	v_cvt_f32_fp8_sdwa v6, v6 src0_sel:BYTE_0
                                        ; implicit-def: $vgpr17
	s_nop 0
	v_mul_f32_e32 v6, v38, v6
	v_and_b32_e32 v7, 0x7f800000, v6
	v_cmp_ne_u32_e64 s[0:1], s17, v7
	s_and_saveexec_b64 s[12:13], s[0:1]
	s_xor_b64 s[0:1], exec, s[12:13]
; %bb.807:                              ;   in Loop: Header=BB314_303 Depth=1
	v_bfe_u32 v7, v6, 16, 1
	v_add3_u32 v17, v6, v7, s20
                                        ; implicit-def: $vgpr6
; %bb.808:                              ;   in Loop: Header=BB314_303 Depth=1
	s_andn2_saveexec_b64 s[12:13], s[0:1]
; %bb.809:                              ;   in Loop: Header=BB314_303 Depth=1
	v_or_b32_e32 v7, 0x10000, v6
	v_cmp_eq_u32_sdwa s[0:1], v6, v27 src0_sel:WORD_0 src1_sel:DWORD
	s_nop 1
	v_cndmask_b32_e64 v17, v7, v6, s[0:1]
; %bb.810:                              ;   in Loop: Header=BB314_303 Depth=1
	s_or_b64 exec, exec, s[12:13]
	v_lshrrev_b32_e32 v2, 24, v2
	v_cvt_f32_fp8_sdwa v2, v2 src0_sel:BYTE_0
	s_nop 0
	v_mul_f32_e32 v6, v38, v2
	v_and_b32_e32 v2, 0x7f800000, v6
	v_cmp_ne_u32_e64 s[0:1], s17, v2
                                        ; implicit-def: $vgpr2
	s_and_saveexec_b64 s[12:13], s[0:1]
	s_xor_b64 s[0:1], exec, s[12:13]
; %bb.811:                              ;   in Loop: Header=BB314_303 Depth=1
	v_bfe_u32 v2, v6, 16, 1
	v_add3_u32 v2, v6, v2, s20
                                        ; implicit-def: $vgpr6
; %bb.812:                              ;   in Loop: Header=BB314_303 Depth=1
	s_andn2_saveexec_b64 s[12:13], s[0:1]
; %bb.813:                              ;   in Loop: Header=BB314_303 Depth=1
	v_or_b32_e32 v2, 0x10000, v6
	v_cmp_eq_u32_sdwa s[0:1], v6, v27 src0_sel:WORD_0 src1_sel:DWORD
	s_nop 1
	v_cndmask_b32_e64 v2, v2, v6, s[0:1]
; %bb.814:                              ;   in Loop: Header=BB314_303 Depth=1
	s_or_b64 exec, exec, s[12:13]
	v_and_b32_e32 v6, 0xff, v3
	v_cvt_f32_fp8_sdwa v6, v6 src0_sel:BYTE_0
	s_nop 0
	v_mul_f32_e32 v7, v38, v6
	v_and_b32_e32 v6, 0x7f800000, v7
	v_cmp_ne_u32_e64 s[0:1], s17, v6
                                        ; implicit-def: $vgpr6
	s_and_saveexec_b64 s[12:13], s[0:1]
	s_xor_b64 s[0:1], exec, s[12:13]
; %bb.815:                              ;   in Loop: Header=BB314_303 Depth=1
	v_bfe_u32 v6, v7, 16, 1
	v_add3_u32 v6, v7, v6, s20
                                        ; implicit-def: $vgpr7
; %bb.816:                              ;   in Loop: Header=BB314_303 Depth=1
	s_andn2_saveexec_b64 s[12:13], s[0:1]
; %bb.817:                              ;   in Loop: Header=BB314_303 Depth=1
	v_or_b32_e32 v6, 0x10000, v7
	v_cmp_eq_u32_sdwa s[0:1], v7, v27 src0_sel:WORD_0 src1_sel:DWORD
	s_nop 1
	v_cndmask_b32_e64 v6, v6, v7, s[0:1]
; %bb.818:                              ;   in Loop: Header=BB314_303 Depth=1
	s_or_b64 exec, exec, s[12:13]
	v_bfe_u32 v7, v3, 8, 8
	v_cvt_f32_fp8_sdwa v7, v7 src0_sel:BYTE_0
                                        ; implicit-def: $vgpr18
	s_nop 0
	v_mul_f32_e32 v7, v38, v7
	v_and_b32_e32 v16, 0x7f800000, v7
	v_cmp_ne_u32_e64 s[0:1], s17, v16
	s_and_saveexec_b64 s[12:13], s[0:1]
	s_xor_b64 s[0:1], exec, s[12:13]
; %bb.819:                              ;   in Loop: Header=BB314_303 Depth=1
	v_bfe_u32 v16, v7, 16, 1
	v_add3_u32 v18, v7, v16, s20
                                        ; implicit-def: $vgpr7
; %bb.820:                              ;   in Loop: Header=BB314_303 Depth=1
	s_andn2_saveexec_b64 s[12:13], s[0:1]
; %bb.821:                              ;   in Loop: Header=BB314_303 Depth=1
	v_or_b32_e32 v16, 0x10000, v7
	v_cmp_eq_u32_sdwa s[0:1], v7, v27 src0_sel:WORD_0 src1_sel:DWORD
	s_nop 1
	v_cndmask_b32_e64 v18, v16, v7, s[0:1]
; %bb.822:                              ;   in Loop: Header=BB314_303 Depth=1
	s_or_b64 exec, exec, s[12:13]
	v_bfe_u32 v7, v3, 16, 8
	v_cvt_f32_fp8_sdwa v7, v7 src0_sel:BYTE_0
	s_nop 0
	v_mul_f32_e32 v59, v38, v7
	v_and_b32_e32 v7, 0x7f800000, v59
	v_cmp_ne_u32_e64 s[0:1], s17, v7
                                        ; implicit-def: $vgpr7
	s_and_saveexec_b64 s[12:13], s[0:1]
	s_xor_b64 s[0:1], exec, s[12:13]
; %bb.823:                              ;   in Loop: Header=BB314_303 Depth=1
	v_bfe_u32 v7, v59, 16, 1
	v_add3_u32 v7, v59, v7, s20
                                        ; implicit-def: $vgpr59
; %bb.824:                              ;   in Loop: Header=BB314_303 Depth=1
	s_andn2_saveexec_b64 s[12:13], s[0:1]
; %bb.825:                              ;   in Loop: Header=BB314_303 Depth=1
	v_or_b32_e32 v7, 0x10000, v59
	v_cmp_eq_u32_sdwa s[0:1], v59, v27 src0_sel:WORD_0 src1_sel:DWORD
	s_nop 1
	v_cndmask_b32_e64 v7, v7, v59, s[0:1]
; %bb.826:                              ;   in Loop: Header=BB314_303 Depth=1
	s_or_b64 exec, exec, s[12:13]
	v_lshrrev_b32_e32 v3, 24, v3
	v_cvt_f32_fp8_sdwa v3, v3 src0_sel:BYTE_0
	s_nop 0
	v_mul_f32_e32 v3, v38, v3
	v_and_b32_e32 v16, 0x7f800000, v3
	v_cmp_ne_u32_e64 s[0:1], s17, v16
                                        ; implicit-def: $vgpr38
	s_and_saveexec_b64 s[12:13], s[0:1]
	s_xor_b64 s[0:1], exec, s[12:13]
; %bb.827:                              ;   in Loop: Header=BB314_303 Depth=1
	v_bfe_u32 v16, v3, 16, 1
	v_add3_u32 v38, v3, v16, s20
                                        ; implicit-def: $vgpr3
; %bb.828:                              ;   in Loop: Header=BB314_303 Depth=1
	s_andn2_saveexec_b64 s[12:13], s[0:1]
; %bb.829:                              ;   in Loop: Header=BB314_303 Depth=1
	v_or_b32_e32 v16, 0x10000, v3
	v_cmp_eq_u32_sdwa s[0:1], v3, v27 src0_sel:WORD_0 src1_sel:DWORD
	s_nop 1
	v_cndmask_b32_e64 v38, v16, v3, s[0:1]
; %bb.830:                              ;   in Loop: Header=BB314_303 Depth=1
	s_or_b64 exec, exec, s[12:13]
	v_lshrrev_b32_e32 v18, 16, v18
	v_lshrrev_b32_e32 v59, 16, v6
	;; [unrolled: 1-line block ×8, first 2 shown]
	s_and_saveexec_b64 s[0:1], vcc
	s_cbranch_execz .LBB314_832
; %bb.831:                              ;   in Loop: Header=BB314_303 Depth=1
	scratch_load_dword v7, off, s32 offset:192 ; 4-byte Folded Reload
	v_accvgpr_read_b32 v16, a35
	s_waitcnt vmcnt(0)
	v_cmp_lt_i32_e32 vcc, v50, v7
	s_nop 1
	v_cndmask_b32_e32 v2, 0, v2, vcc
	v_cmp_lt_i32_e32 vcc, v16, v7
	v_accvgpr_read_b32 v16, a34
	s_nop 0
	v_cndmask_b32_e32 v3, 0, v3, vcc
	v_cmp_lt_i32_e32 vcc, v16, v7
	v_accvgpr_read_b32 v16, a33
	;; [unrolled: 4-line block ×6, first 2 shown]
	s_nop 0
	v_cndmask_b32_e32 v57, 0, v57, vcc
	v_cmp_lt_i32_e32 vcc, v16, v7
	s_nop 1
	v_cndmask_b32_e32 v60, 0, v60, vcc
.LBB314_832:                            ;   in Loop: Header=BB314_303 Depth=1
	s_or_b64 exec, exec, s[0:1]
	v_lshlrev_b32_e32 v2, 16, v2
	v_mul_f32_e32 v7, v42, v2
	v_and_b32_e32 v2, 0x7f800000, v7
	v_cmp_ne_u32_e32 vcc, s17, v2
                                        ; implicit-def: $vgpr2
	s_and_saveexec_b64 s[0:1], vcc
	s_xor_b64 s[0:1], exec, s[0:1]
; %bb.833:                              ;   in Loop: Header=BB314_303 Depth=1
	v_bfe_u32 v2, v7, 16, 1
	v_add3_u32 v2, v7, v2, s20
                                        ; implicit-def: $vgpr7
; %bb.834:                              ;   in Loop: Header=BB314_303 Depth=1
	s_andn2_saveexec_b64 s[0:1], s[0:1]
; %bb.835:                              ;   in Loop: Header=BB314_303 Depth=1
	v_or_b32_e32 v2, 0x10000, v7
	v_cmp_eq_u32_sdwa vcc, v7, v27 src0_sel:WORD_0 src1_sel:DWORD
	s_nop 1
	v_cndmask_b32_e32 v2, v2, v7, vcc
; %bb.836:                              ;   in Loop: Header=BB314_303 Depth=1
	s_or_b64 exec, exec, s[0:1]
	v_lshlrev_b32_e32 v3, 16, v3
	v_mul_f32_e32 v7, v43, v3
	v_and_b32_e32 v3, 0x7f800000, v7
	v_cmp_ne_u32_e32 vcc, s17, v3
                                        ; implicit-def: $vgpr3
	s_and_saveexec_b64 s[0:1], vcc
	s_xor_b64 s[0:1], exec, s[0:1]
; %bb.837:                              ;   in Loop: Header=BB314_303 Depth=1
	v_bfe_u32 v3, v7, 16, 1
	v_add3_u32 v3, v7, v3, s20
                                        ; implicit-def: $vgpr7
; %bb.838:                              ;   in Loop: Header=BB314_303 Depth=1
	s_andn2_saveexec_b64 s[0:1], s[0:1]
; %bb.839:                              ;   in Loop: Header=BB314_303 Depth=1
	v_or_b32_e32 v3, 0x10000, v7
	v_cmp_eq_u32_sdwa vcc, v7, v27 src0_sel:WORD_0 src1_sel:DWORD
	s_nop 1
	v_cndmask_b32_e32 v3, v3, v7, vcc
; %bb.840:                              ;   in Loop: Header=BB314_303 Depth=1
	s_or_b64 exec, exec, s[0:1]
	v_lshlrev_b32_e32 v7, 16, v17
	v_mul_f32_e32 v7, v44, v7
	v_and_b32_e32 v16, 0x7f800000, v7
	v_cmp_ne_u32_e32 vcc, s17, v16
                                        ; implicit-def: $vgpr38
	s_and_saveexec_b64 s[0:1], vcc
	s_xor_b64 s[0:1], exec, s[0:1]
; %bb.841:                              ;   in Loop: Header=BB314_303 Depth=1
	v_bfe_u32 v16, v7, 16, 1
	v_add3_u32 v38, v7, v16, s20
                                        ; implicit-def: $vgpr7
; %bb.842:                              ;   in Loop: Header=BB314_303 Depth=1
	s_andn2_saveexec_b64 s[0:1], s[0:1]
; %bb.843:                              ;   in Loop: Header=BB314_303 Depth=1
	v_or_b32_e32 v16, 0x10000, v7
	v_cmp_eq_u32_sdwa vcc, v7, v27 src0_sel:WORD_0 src1_sel:DWORD
	s_nop 1
	v_cndmask_b32_e32 v38, v16, v7, vcc
; %bb.844:                              ;   in Loop: Header=BB314_303 Depth=1
	s_or_b64 exec, exec, s[0:1]
	v_lshlrev_b32_e32 v6, 16, v6
	v_mul_f32_e32 v6, v45, v6
	v_and_b32_e32 v7, 0x7f800000, v6
	v_cmp_ne_u32_e32 vcc, s17, v7
                                        ; implicit-def: $vgpr50
	s_and_saveexec_b64 s[0:1], vcc
	s_xor_b64 s[0:1], exec, s[0:1]
; %bb.845:                              ;   in Loop: Header=BB314_303 Depth=1
	v_bfe_u32 v7, v6, 16, 1
	v_add3_u32 v50, v6, v7, s20
                                        ; implicit-def: $vgpr6
; %bb.846:                              ;   in Loop: Header=BB314_303 Depth=1
	s_andn2_saveexec_b64 s[0:1], s[0:1]
; %bb.847:                              ;   in Loop: Header=BB314_303 Depth=1
	v_or_b32_e32 v7, 0x10000, v6
	v_cmp_eq_u32_sdwa vcc, v6, v27 src0_sel:WORD_0 src1_sel:DWORD
	s_nop 1
	v_cndmask_b32_e32 v50, v7, v6, vcc
; %bb.848:                              ;   in Loop: Header=BB314_303 Depth=1
	s_or_b64 exec, exec, s[0:1]
	v_lshlrev_b32_e32 v6, 16, v59
	v_mul_f32_e32 v6, v61, v6
	v_and_b32_e32 v7, 0x7f800000, v6
	v_cmp_ne_u32_e32 vcc, s17, v7
                                        ; implicit-def: $vgpr42
	s_and_saveexec_b64 s[0:1], vcc
	s_xor_b64 s[0:1], exec, s[0:1]
; %bb.849:                              ;   in Loop: Header=BB314_303 Depth=1
	v_bfe_u32 v7, v6, 16, 1
	v_add3_u32 v42, v6, v7, s20
                                        ; implicit-def: $vgpr6
; %bb.850:                              ;   in Loop: Header=BB314_303 Depth=1
	s_andn2_saveexec_b64 s[0:1], s[0:1]
; %bb.851:                              ;   in Loop: Header=BB314_303 Depth=1
	v_or_b32_e32 v7, 0x10000, v6
	v_cmp_eq_u32_sdwa vcc, v6, v27 src0_sel:WORD_0 src1_sel:DWORD
	s_nop 1
	v_cndmask_b32_e32 v42, v7, v6, vcc
; %bb.852:                              ;   in Loop: Header=BB314_303 Depth=1
	s_or_b64 exec, exec, s[0:1]
	v_lshlrev_b32_e32 v6, 16, v18
	v_mul_f32_e32 v6, v62, v6
	v_and_b32_e32 v7, 0x7f800000, v6
	v_cmp_ne_u32_e32 vcc, s17, v7
                                        ; implicit-def: $vgpr43
	s_and_saveexec_b64 s[0:1], vcc
	s_xor_b64 s[0:1], exec, s[0:1]
; %bb.853:                              ;   in Loop: Header=BB314_303 Depth=1
	v_bfe_u32 v7, v6, 16, 1
	v_add3_u32 v43, v6, v7, s20
                                        ; implicit-def: $vgpr6
; %bb.854:                              ;   in Loop: Header=BB314_303 Depth=1
	s_andn2_saveexec_b64 s[0:1], s[0:1]
; %bb.855:                              ;   in Loop: Header=BB314_303 Depth=1
	v_or_b32_e32 v7, 0x10000, v6
	v_cmp_eq_u32_sdwa vcc, v6, v27 src0_sel:WORD_0 src1_sel:DWORD
	s_nop 1
	v_cndmask_b32_e32 v43, v7, v6, vcc
; %bb.856:                              ;   in Loop: Header=BB314_303 Depth=1
	s_or_b64 exec, exec, s[0:1]
	v_lshlrev_b32_e32 v6, 16, v57
	v_mul_f32_e32 v6, v63, v6
	v_and_b32_e32 v7, 0x7f800000, v6
	v_cmp_ne_u32_e32 vcc, s17, v7
                                        ; implicit-def: $vgpr18
	s_and_saveexec_b64 s[0:1], vcc
	s_xor_b64 s[0:1], exec, s[0:1]
; %bb.857:                              ;   in Loop: Header=BB314_303 Depth=1
	v_bfe_u32 v7, v6, 16, 1
	v_add3_u32 v18, v6, v7, s20
                                        ; implicit-def: $vgpr6
; %bb.858:                              ;   in Loop: Header=BB314_303 Depth=1
	s_andn2_saveexec_b64 s[0:1], s[0:1]
; %bb.859:                              ;   in Loop: Header=BB314_303 Depth=1
	v_or_b32_e32 v7, 0x10000, v6
	v_cmp_eq_u32_sdwa vcc, v6, v27 src0_sel:WORD_0 src1_sel:DWORD
	s_nop 1
	v_cndmask_b32_e32 v18, v7, v6, vcc
; %bb.860:                              ;   in Loop: Header=BB314_303 Depth=1
	s_or_b64 exec, exec, s[0:1]
	v_lshlrev_b32_e32 v6, 16, v60
	v_mul_f32_e32 v6, v33, v6
	v_and_b32_e32 v7, 0x7f800000, v6
	v_cmp_ne_u32_e32 vcc, s17, v7
                                        ; implicit-def: $vgpr17
	s_and_saveexec_b64 s[0:1], vcc
	s_xor_b64 s[0:1], exec, s[0:1]
; %bb.861:                              ;   in Loop: Header=BB314_303 Depth=1
	v_bfe_u32 v7, v6, 16, 1
	v_add3_u32 v17, v6, v7, s20
                                        ; implicit-def: $vgpr6
; %bb.862:                              ;   in Loop: Header=BB314_303 Depth=1
	s_andn2_saveexec_b64 s[0:1], s[0:1]
	s_cbranch_execz .LBB314_301
; %bb.863:                              ;   in Loop: Header=BB314_303 Depth=1
	v_or_b32_e32 v7, 0x10000, v6
	v_cmp_eq_u32_sdwa vcc, v6, v27 src0_sel:WORD_0 src1_sel:DWORD
	s_nop 1
	v_cndmask_b32_e32 v17, v7, v6, vcc
	s_branch .LBB314_301
.LBB314_864:
	s_or_b64 exec, exec, s[6:7]
	v_accvgpr_read_b32 v17, a15
	v_accvgpr_read_b32 v16, a16
.LBB314_865:
	s_or_b64 exec, exec, s[2:3]
	ds_bpermute_b32 v2, v17, v20
	ds_bpermute_b32 v3, v17, v21
	;; [unrolled: 1-line block ×6, first 2 shown]
	s_waitcnt lgkmcnt(4)
	v_pk_add_f32 v[4:5], v[20:21], v[2:3]
	s_waitcnt lgkmcnt(0)
	v_pk_add_f32 v[2:3], v[14:15], v[6:7]
	s_barrier
	v_pk_add_f32 v[6:7], v[12:13], v[10:11]
	scratch_load_dword v12, off, s32 offset:288 ; 4-byte Folded Reload
	ds_bpermute_b32 v0, v17, v24
	ds_bpermute_b32 v1, v17, v25
	s_waitcnt lgkmcnt(0)
	v_pk_add_f32 v[8:9], v[24:25], v[0:1]
	s_waitcnt vmcnt(0)
	v_and_b32_e32 v0, 0x3c1, v12
	v_cmp_eq_u32_e32 vcc, 64, v0
	s_and_saveexec_b64 s[0:1], vcc
	s_cbranch_execz .LBB314_867
; %bb.866:
	s_ashr_i32 s17, s16, 31
	s_lshl_b64 s[2:3], s[16:17], 2
	s_getpc_b64 s[4:5]
	s_add_u32 s4, s4, llvm.amdgcn.dynlds.offset.table@rel32@lo+4
	s_addc_u32 s5, s5, llvm.amdgcn.dynlds.offset.table@rel32@hi+12
	s_add_u32 s2, s2, s4
	s_addc_u32 s3, s3, s5
	s_load_dword s2, s[2:3], 0x0
	s_waitcnt lgkmcnt(0)
	v_lshl_add_u32 v0, v47, 1, s2
	ds_write2_b32 v0, v8, v9 offset1:32
	ds_write2_b32 v0, v4, v5 offset0:64 offset1:96
	ds_write2_b32 v0, v2, v3 offset0:128 offset1:160
	;; [unrolled: 1-line block ×3, first 2 shown]
.LBB314_867:
	s_or_b64 exec, exec, s[0:1]
	v_cmp_gt_u32_e32 vcc, 64, v12
	s_waitcnt lgkmcnt(0)
	s_barrier
	s_and_saveexec_b64 s[2:3], vcc
	s_cbranch_execz .LBB314_878
; %bb.868:
	v_cmp_eq_u32_e64 s[0:1], 0, v16
	v_lshrrev_b32_e32 v0, 1, v12
	s_and_saveexec_b64 s[4:5], s[0:1]
	s_cbranch_execnz .LBB314_914
; %bb.869:
	s_or_b64 exec, exec, s[4:5]
	s_and_saveexec_b64 s[4:5], s[0:1]
	s_cbranch_execnz .LBB314_915
.LBB314_870:
	s_or_b64 exec, exec, s[4:5]
	s_and_saveexec_b64 s[4:5], s[0:1]
	s_cbranch_execnz .LBB314_916
.LBB314_871:
	s_or_b64 exec, exec, s[4:5]
	s_and_saveexec_b64 s[4:5], s[0:1]
	s_cbranch_execnz .LBB314_917
.LBB314_872:
	s_or_b64 exec, exec, s[4:5]
	s_and_saveexec_b64 s[4:5], s[0:1]
	s_cbranch_execnz .LBB314_918
.LBB314_873:
	s_or_b64 exec, exec, s[4:5]
	s_and_saveexec_b64 s[4:5], s[0:1]
	s_cbranch_execnz .LBB314_919
.LBB314_874:
	s_or_b64 exec, exec, s[4:5]
	s_and_saveexec_b64 s[4:5], s[0:1]
	s_cbranch_execnz .LBB314_920
.LBB314_875:
	s_or_b64 exec, exec, s[4:5]
	s_and_saveexec_b64 s[4:5], s[0:1]
	s_cbranch_execz .LBB314_877
.LBB314_876:
	s_ashr_i32 s17, s16, 31
	s_lshl_b64 s[0:1], s[16:17], 2
	s_getpc_b64 s[6:7]
	s_add_u32 s6, s6, llvm.amdgcn.dynlds.offset.table@rel32@lo+4
	s_addc_u32 s7, s7, llvm.amdgcn.dynlds.offset.table@rel32@hi+12
	s_add_u32 s0, s0, s6
	s_addc_u32 s1, s1, s7
	s_load_dword s0, s[0:1], 0x0
	s_waitcnt lgkmcnt(0)
	v_lshl_add_u32 v0, v0, 2, s0
	ds_read_b32 v0, v0 offset:896
	s_waitcnt lgkmcnt(0)
	v_add_f32_e32 v7, v7, v0
.LBB314_877:
	s_or_b64 exec, exec, s[4:5]
.LBB314_878:
	s_or_b64 exec, exec, s[2:3]
	s_barrier
	s_and_saveexec_b64 s[0:1], vcc
	s_cbranch_execz .LBB314_913
; %bb.879:
	v_cmp_eq_u32_e32 vcc, 0, v16
	s_and_b64 exec, exec, vcc
	s_cbranch_execz .LBB314_913
; %bb.880:
	s_mov_b32 s2, 0x7f800000
	v_and_b32_e32 v0, 0x7f800000, v8
	v_cmp_ne_u32_e32 vcc, s2, v0
                                        ; implicit-def: $vgpr0
	s_and_saveexec_b64 s[2:3], vcc
	s_xor_b64 s[2:3], exec, s[2:3]
; %bb.881:
	v_bfe_u32 v0, v8, 16, 1
	s_movk_i32 s4, 0x7fff
	v_add3_u32 v0, v8, v0, s4
; %bb.882:
	s_andn2_saveexec_b64 s[2:3], s[2:3]
; %bb.883:
	v_mov_b32_e32 v0, 0
	v_or_b32_e32 v1, 0x10000, v8
	v_cmp_eq_u32_sdwa vcc, v8, v0 src0_sel:WORD_0 src1_sel:DWORD
	s_nop 1
	v_cndmask_b32_e32 v0, v1, v8, vcc
; %bb.884:
	s_or_b64 exec, exec, s[2:3]
	scratch_load_dwordx2 v[10:11], off, s32 offset:316 ; 8-byte Folded Reload
	v_cmp_ne_u16_e64 s[2:3], s19, 0
	s_cmp_lg_u64 s[2:3], 0
	s_addc_u32 s4, s15, 0
	s_mul_i32 s2, s10, s4
	s_mul_i32 s2, s2, s11
	s_lshl_b32 s2, s2, 8
	s_mul_i32 s4, s18, s4
	s_lshl_b32 s6, s14, 8
	s_ashr_i32 s3, s2, 31
	s_ashr_i32 s5, s4, 31
	;; [unrolled: 1-line block ×3, first 2 shown]
	s_lshl_b64 s[2:3], s[2:3], 1
	s_lshl_b64 s[4:5], s[4:5], 1
	;; [unrolled: 1-line block ×3, first 2 shown]
	s_add_u32 s4, s6, s4
	s_addc_u32 s5, s7, s5
	s_add_u32 s2, s4, s2
	s_addc_u32 s3, s5, s3
	v_and_b32_e32 v12, 0x3fe, v12
	v_mov_b32_e32 v13, 0
	s_waitcnt vmcnt(0)
	v_lshl_add_u64 v[10:11], s[2:3], 0, v[10:11]
	v_lshl_add_u64 v[10:11], v[10:11], 0, v[12:13]
	flat_store_short_d16_hi v[10:11], v0
	s_mov_b32 s2, 0x7f800000
	v_and_b32_e32 v0, 0x7f800000, v9
	v_cmp_ne_u32_e32 vcc, s2, v0
                                        ; implicit-def: $vgpr0
	s_and_saveexec_b64 s[2:3], vcc
	s_xor_b64 s[2:3], exec, s[2:3]
; %bb.885:
	v_bfe_u32 v0, v9, 16, 1
	s_movk_i32 s4, 0x7fff
	v_add3_u32 v0, v9, v0, s4
; %bb.886:
	s_andn2_saveexec_b64 s[2:3], s[2:3]
; %bb.887:
	v_mov_b32_e32 v0, 0
	v_or_b32_e32 v1, 0x10000, v9
	v_cmp_eq_u32_sdwa vcc, v9, v0 src0_sel:WORD_0 src1_sel:DWORD
	s_nop 1
	v_cndmask_b32_e32 v0, v1, v9, vcc
; %bb.888:
	s_or_b64 exec, exec, s[2:3]
	flat_store_short_d16_hi v[10:11], v0 offset:64
	s_mov_b32 s2, 0x7f800000
	v_and_b32_e32 v0, 0x7f800000, v4
	v_cmp_ne_u32_e32 vcc, s2, v0
                                        ; implicit-def: $vgpr0
	s_and_saveexec_b64 s[2:3], vcc
	s_xor_b64 s[2:3], exec, s[2:3]
; %bb.889:
	v_bfe_u32 v0, v4, 16, 1
	s_movk_i32 s4, 0x7fff
	v_add3_u32 v0, v4, v0, s4
; %bb.890:
	s_andn2_saveexec_b64 s[2:3], s[2:3]
; %bb.891:
	v_mov_b32_e32 v0, 0
	v_or_b32_e32 v1, 0x10000, v4
	v_cmp_eq_u32_sdwa vcc, v4, v0 src0_sel:WORD_0 src1_sel:DWORD
	s_nop 1
	v_cndmask_b32_e32 v0, v1, v4, vcc
; %bb.892:
	s_or_b64 exec, exec, s[2:3]
	flat_store_short_d16_hi v[10:11], v0 offset:128
	s_mov_b32 s2, 0x7f800000
	v_and_b32_e32 v0, 0x7f800000, v5
	v_cmp_ne_u32_e32 vcc, s2, v0
                                        ; implicit-def: $vgpr0
	s_and_saveexec_b64 s[2:3], vcc
	s_xor_b64 s[2:3], exec, s[2:3]
; %bb.893:
	v_bfe_u32 v0, v5, 16, 1
	s_movk_i32 s4, 0x7fff
	v_add3_u32 v0, v5, v0, s4
; %bb.894:
	s_andn2_saveexec_b64 s[2:3], s[2:3]
; %bb.895:
	v_mov_b32_e32 v0, 0
	v_or_b32_e32 v1, 0x10000, v5
	v_cmp_eq_u32_sdwa vcc, v5, v0 src0_sel:WORD_0 src1_sel:DWORD
	s_nop 1
	v_cndmask_b32_e32 v0, v1, v5, vcc
; %bb.896:
	s_or_b64 exec, exec, s[2:3]
	flat_store_short_d16_hi v[10:11], v0 offset:192
	s_mov_b32 s2, 0x7f800000
	v_and_b32_e32 v0, 0x7f800000, v2
	v_cmp_ne_u32_e32 vcc, s2, v0
                                        ; implicit-def: $vgpr0
	s_and_saveexec_b64 s[2:3], vcc
	s_xor_b64 s[2:3], exec, s[2:3]
; %bb.897:
	v_bfe_u32 v0, v2, 16, 1
	s_movk_i32 s4, 0x7fff
	v_add3_u32 v0, v2, v0, s4
; %bb.898:
	s_andn2_saveexec_b64 s[2:3], s[2:3]
; %bb.899:
	v_mov_b32_e32 v0, 0
	v_or_b32_e32 v1, 0x10000, v2
	v_cmp_eq_u32_sdwa vcc, v2, v0 src0_sel:WORD_0 src1_sel:DWORD
	s_nop 1
	v_cndmask_b32_e32 v0, v1, v2, vcc
; %bb.900:
	s_or_b64 exec, exec, s[2:3]
	flat_store_short_d16_hi v[10:11], v0 offset:256
	s_mov_b32 s2, 0x7f800000
	v_and_b32_e32 v0, 0x7f800000, v3
	v_cmp_ne_u32_e32 vcc, s2, v0
                                        ; implicit-def: $vgpr0
	s_and_saveexec_b64 s[2:3], vcc
	s_xor_b64 s[2:3], exec, s[2:3]
; %bb.901:
	v_bfe_u32 v0, v3, 16, 1
	s_movk_i32 s4, 0x7fff
	v_add3_u32 v0, v3, v0, s4
; %bb.902:
	s_andn2_saveexec_b64 s[2:3], s[2:3]
; %bb.903:
	v_mov_b32_e32 v0, 0
	v_or_b32_e32 v1, 0x10000, v3
	v_cmp_eq_u32_sdwa vcc, v3, v0 src0_sel:WORD_0 src1_sel:DWORD
	s_nop 1
	v_cndmask_b32_e32 v0, v1, v3, vcc
; %bb.904:
	s_or_b64 exec, exec, s[2:3]
	flat_store_short_d16_hi v[10:11], v0 offset:320
	s_mov_b32 s2, 0x7f800000
	v_and_b32_e32 v0, 0x7f800000, v6
	v_cmp_ne_u32_e32 vcc, s2, v0
                                        ; implicit-def: $vgpr0
	s_and_saveexec_b64 s[2:3], vcc
	s_xor_b64 s[2:3], exec, s[2:3]
; %bb.905:
	v_bfe_u32 v0, v6, 16, 1
	s_movk_i32 s4, 0x7fff
	v_add3_u32 v0, v6, v0, s4
; %bb.906:
	s_andn2_saveexec_b64 s[2:3], s[2:3]
; %bb.907:
	v_mov_b32_e32 v0, 0
	v_or_b32_e32 v1, 0x10000, v6
	v_cmp_eq_u32_sdwa vcc, v6, v0 src0_sel:WORD_0 src1_sel:DWORD
	s_nop 1
	v_cndmask_b32_e32 v0, v1, v6, vcc
; %bb.908:
	s_or_b64 exec, exec, s[2:3]
	flat_store_short_d16_hi v[10:11], v0 offset:384
	s_mov_b32 s2, 0x7f800000
	v_and_b32_e32 v0, 0x7f800000, v7
	v_cmp_ne_u32_e32 vcc, s2, v0
                                        ; implicit-def: $vgpr8
	s_and_saveexec_b64 s[2:3], vcc
	s_xor_b64 s[2:3], exec, s[2:3]
; %bb.909:
	v_bfe_u32 v0, v7, 16, 1
	s_movk_i32 s4, 0x7fff
	v_add3_u32 v8, v7, v0, s4
                                        ; implicit-def: $vgpr0_vgpr1_vgpr2_vgpr3_vgpr4_vgpr5_vgpr6_vgpr7
; %bb.910:
	s_andn2_saveexec_b64 s[2:3], s[2:3]
; %bb.911:
	v_mov_b32_e32 v0, 0
	v_or_b32_e32 v1, 0x10000, v7
	v_cmp_eq_u32_sdwa vcc, v7, v0 src0_sel:WORD_0 src1_sel:DWORD
	s_nop 1
	v_cndmask_b32_e32 v8, v1, v7, vcc
; %bb.912:
	s_or_b64 exec, exec, s[2:3]
	flat_store_short_d16_hi v[10:11], v8 offset:448
.LBB314_913:
	s_or_b64 exec, exec, s[0:1]
	scratch_load_dword a63, off, s32        ; 4-byte Folded Reload
	scratch_load_dword a62, off, s32 offset:4 ; 4-byte Folded Reload
	scratch_load_dword a61, off, s32 offset:8 ; 4-byte Folded Reload
	;; [unrolled: 1-line block ×47, first 2 shown]
	s_waitcnt vmcnt(0) lgkmcnt(0)
	s_setpc_b64 s[30:31]
.LBB314_914:
	s_ashr_i32 s17, s16, 31
	s_lshl_b64 s[6:7], s[16:17], 2
	s_getpc_b64 s[8:9]
	s_add_u32 s8, s8, llvm.amdgcn.dynlds.offset.table@rel32@lo+4
	s_addc_u32 s9, s9, llvm.amdgcn.dynlds.offset.table@rel32@hi+12
	s_add_u32 s6, s6, s8
	s_addc_u32 s7, s7, s9
	s_load_dword s6, s[6:7], 0x0
	s_waitcnt lgkmcnt(0)
	v_lshl_add_u32 v1, v0, 2, s6
	ds_read_b32 v1, v1
	s_waitcnt lgkmcnt(0)
	v_add_f32_e32 v8, v8, v1
	s_or_b64 exec, exec, s[4:5]
	s_and_saveexec_b64 s[4:5], s[0:1]
	s_cbranch_execz .LBB314_870
.LBB314_915:
	s_ashr_i32 s17, s16, 31
	s_lshl_b64 s[6:7], s[16:17], 2
	s_getpc_b64 s[8:9]
	s_add_u32 s8, s8, llvm.amdgcn.dynlds.offset.table@rel32@lo+4
	s_addc_u32 s9, s9, llvm.amdgcn.dynlds.offset.table@rel32@hi+12
	s_add_u32 s6, s6, s8
	s_addc_u32 s7, s7, s9
	s_load_dword s6, s[6:7], 0x0
	s_waitcnt lgkmcnt(0)
	v_lshl_add_u32 v1, v0, 2, s6
	ds_read_b32 v1, v1 offset:128
	s_waitcnt lgkmcnt(0)
	v_add_f32_e32 v9, v9, v1
	s_or_b64 exec, exec, s[4:5]
	s_and_saveexec_b64 s[4:5], s[0:1]
	s_cbranch_execz .LBB314_871
.LBB314_916:
	s_ashr_i32 s17, s16, 31
	s_lshl_b64 s[6:7], s[16:17], 2
	s_getpc_b64 s[8:9]
	s_add_u32 s8, s8, llvm.amdgcn.dynlds.offset.table@rel32@lo+4
	s_addc_u32 s9, s9, llvm.amdgcn.dynlds.offset.table@rel32@hi+12
	s_add_u32 s6, s6, s8
	s_addc_u32 s7, s7, s9
	s_load_dword s6, s[6:7], 0x0
	s_waitcnt lgkmcnt(0)
	v_lshl_add_u32 v1, v0, 2, s6
	ds_read_b32 v1, v1 offset:256
	s_waitcnt lgkmcnt(0)
	v_add_f32_e32 v4, v4, v1
	s_or_b64 exec, exec, s[4:5]
	s_and_saveexec_b64 s[4:5], s[0:1]
	s_cbranch_execz .LBB314_872
.LBB314_917:
	s_ashr_i32 s17, s16, 31
	s_lshl_b64 s[6:7], s[16:17], 2
	s_getpc_b64 s[8:9]
	s_add_u32 s8, s8, llvm.amdgcn.dynlds.offset.table@rel32@lo+4
	s_addc_u32 s9, s9, llvm.amdgcn.dynlds.offset.table@rel32@hi+12
	s_add_u32 s6, s6, s8
	s_addc_u32 s7, s7, s9
	s_load_dword s6, s[6:7], 0x0
	s_waitcnt lgkmcnt(0)
	v_lshl_add_u32 v1, v0, 2, s6
	ds_read_b32 v1, v1 offset:384
	s_waitcnt lgkmcnt(0)
	v_add_f32_e32 v5, v5, v1
	s_or_b64 exec, exec, s[4:5]
	s_and_saveexec_b64 s[4:5], s[0:1]
	s_cbranch_execz .LBB314_873
.LBB314_918:
	s_ashr_i32 s17, s16, 31
	s_lshl_b64 s[6:7], s[16:17], 2
	s_getpc_b64 s[8:9]
	s_add_u32 s8, s8, llvm.amdgcn.dynlds.offset.table@rel32@lo+4
	s_addc_u32 s9, s9, llvm.amdgcn.dynlds.offset.table@rel32@hi+12
	s_add_u32 s6, s6, s8
	s_addc_u32 s7, s7, s9
	s_load_dword s6, s[6:7], 0x0
	s_waitcnt lgkmcnt(0)
	v_lshl_add_u32 v1, v0, 2, s6
	ds_read_b32 v1, v1 offset:512
	s_waitcnt lgkmcnt(0)
	v_add_f32_e32 v2, v2, v1
	s_or_b64 exec, exec, s[4:5]
	s_and_saveexec_b64 s[4:5], s[0:1]
	s_cbranch_execz .LBB314_874
.LBB314_919:
	s_ashr_i32 s17, s16, 31
	s_lshl_b64 s[6:7], s[16:17], 2
	s_getpc_b64 s[8:9]
	s_add_u32 s8, s8, llvm.amdgcn.dynlds.offset.table@rel32@lo+4
	s_addc_u32 s9, s9, llvm.amdgcn.dynlds.offset.table@rel32@hi+12
	s_add_u32 s6, s6, s8
	s_addc_u32 s7, s7, s9
	s_load_dword s6, s[6:7], 0x0
	s_waitcnt lgkmcnt(0)
	v_lshl_add_u32 v1, v0, 2, s6
	ds_read_b32 v1, v1 offset:640
	s_waitcnt lgkmcnt(0)
	v_add_f32_e32 v3, v3, v1
	s_or_b64 exec, exec, s[4:5]
	s_and_saveexec_b64 s[4:5], s[0:1]
	s_cbranch_execz .LBB314_875
.LBB314_920:
	s_ashr_i32 s17, s16, 31
	s_lshl_b64 s[6:7], s[16:17], 2
	s_getpc_b64 s[8:9]
	s_add_u32 s8, s8, llvm.amdgcn.dynlds.offset.table@rel32@lo+4
	s_addc_u32 s9, s9, llvm.amdgcn.dynlds.offset.table@rel32@hi+12
	s_add_u32 s6, s6, s8
	s_addc_u32 s7, s7, s9
	s_load_dword s6, s[6:7], 0x0
	s_waitcnt lgkmcnt(0)
	v_lshl_add_u32 v1, v0, 2, s6
	ds_read_b32 v1, v1 offset:768
	s_waitcnt lgkmcnt(0)
	v_add_f32_e32 v6, v6, v1
	s_or_b64 exec, exec, s[4:5]
	s_and_saveexec_b64 s[4:5], s[0:1]
	s_cbranch_execnz .LBB314_876
	s_branch .LBB314_877
.Lfunc_end314:
	.size	_ZN4vllm22paged_attention_kernelI14__hip_bfloat16hLi256ELi16ELi128ELNS_18Fp8KVCacheDataTypeE1ELb1ELi0EEEvPfS3_PT_PKS4_PKT0_SA_ifPKiSC_iPKfiiiSE_SE_iiiii, .Lfunc_end314-_ZN4vllm22paged_attention_kernelI14__hip_bfloat16hLi256ELi16ELi128ELNS_18Fp8KVCacheDataTypeE1ELb1ELi0EEEvPfS3_PT_PKS4_PKT0_SA_ifPKiSC_iPKfiiiSE_SE_iiiii
                                        ; -- End function
	.section	.AMDGPU.csdata,"",@progbits
; Function info:
; codeLenInByte = 32684
; NumSgprs: 39
; NumVgprs: 64
; NumAgprs: 64
; TotalNumVgprs: 128
; ScratchSize: 360
; MemoryBound: 0
	.section	.text._ZN4vllm25paged_attention_v1_kernelI14__hip_bfloat16hLi256ELi16ELi128ELNS_18Fp8KVCacheDataTypeE1ELb1EEEvPT_PKS3_PKT0_S9_ifPKiSB_iPKfiiiSD_SD_iiiii,"axG",@progbits,_ZN4vllm25paged_attention_v1_kernelI14__hip_bfloat16hLi256ELi16ELi128ELNS_18Fp8KVCacheDataTypeE1ELb1EEEvPT_PKS3_PKT0_S9_ifPKiSB_iPKfiiiSD_SD_iiiii,comdat
	.protected	_ZN4vllm25paged_attention_v1_kernelI14__hip_bfloat16hLi256ELi16ELi128ELNS_18Fp8KVCacheDataTypeE1ELb1EEEvPT_PKS3_PKT0_S9_ifPKiSB_iPKfiiiSD_SD_iiiii ; -- Begin function _ZN4vllm25paged_attention_v1_kernelI14__hip_bfloat16hLi256ELi16ELi128ELNS_18Fp8KVCacheDataTypeE1ELb1EEEvPT_PKS3_PKT0_S9_ifPKiSB_iPKfiiiSD_SD_iiiii
	.globl	_ZN4vllm25paged_attention_v1_kernelI14__hip_bfloat16hLi256ELi16ELi128ELNS_18Fp8KVCacheDataTypeE1ELb1EEEvPT_PKS3_PKT0_S9_ifPKiSB_iPKfiiiSD_SD_iiiii
	.p2align	8
	.type	_ZN4vllm25paged_attention_v1_kernelI14__hip_bfloat16hLi256ELi16ELi128ELNS_18Fp8KVCacheDataTypeE1ELb1EEEvPT_PKS3_PKT0_S9_ifPKiSB_iPKfiiiSD_SD_iiiii,@function
_ZN4vllm25paged_attention_v1_kernelI14__hip_bfloat16hLi256ELi16ELi128ELNS_18Fp8KVCacheDataTypeE1ELb1EEEvPT_PKS3_PKT0_S9_ifPKiSB_iPKfiiiSD_SD_iiiii: ; @_ZN4vllm25paged_attention_v1_kernelI14__hip_bfloat16hLi256ELi16ELi128ELNS_18Fp8KVCacheDataTypeE1ELb1EEEvPT_PKS3_PKT0_S9_ifPKiSB_iPKfiiiSD_SD_iiiii
; %bb.0:
	s_load_dwordx8 s[16:23], s[0:1], 0x0
	s_load_dwordx4 s[36:39], s[0:1], 0x20
	s_load_dwordx2 s[6:7], s[0:1], 0x30
	s_load_dword s5, s[0:1], 0x38
	s_load_dwordx2 s[10:11], s[0:1], 0x40
	s_load_dwordx8 s[24:31], s[0:1], 0x48
	s_waitcnt lgkmcnt(0)
	s_load_dword s27, s[0:1], 0x78
	s_load_dwordx4 s[40:43], s[0:1], 0x68
	s_add_u32 s8, s0, 0x80
	s_addc_u32 s9, s1, 0
	s_mov_b32 s12, s2
	s_mov_b32 s13, s3
	;; [unrolled: 1-line block ×4, first 2 shown]
	v_mov_b32_e32 v31, v0
	v_mov_b32_e32 v0, s16
	;; [unrolled: 1-line block ×25, first 2 shown]
	s_waitcnt lgkmcnt(0)
	v_mov_b32_e32 v24, s40
	v_mov_b32_e32 v25, s41
	;; [unrolled: 1-line block ×5, first 2 shown]
	s_mov_b32 s32, 0
	s_getpc_b64 s[0:1]
	s_add_u32 s0, s0, _ZN4vllm22paged_attention_kernelI14__hip_bfloat16hLi256ELi16ELi128ELNS_18Fp8KVCacheDataTypeE1ELb1ELi0EEEvPfS3_PT_PKS4_PKT0_SA_ifPKiSC_iPKfiiiSE_SE_iiiii@rel32@lo+4
	s_addc_u32 s1, s1, _ZN4vllm22paged_attention_kernelI14__hip_bfloat16hLi256ELi16ELi128ELNS_18Fp8KVCacheDataTypeE1ELb1ELi0EEEvPfS3_PT_PKS4_PKT0_SA_ifPKiSC_iPKfiiiSE_SE_iiiii@rel32@hi+12
	s_swappc_b64 s[30:31], s[0:1]
	s_endpgm
	.section	.rodata,"a",@progbits
	.p2align	6, 0x0
	.amdhsa_kernel _ZN4vllm25paged_attention_v1_kernelI14__hip_bfloat16hLi256ELi16ELi128ELNS_18Fp8KVCacheDataTypeE1ELb1EEEvPT_PKS3_PKT0_S9_ifPKiSB_iPKfiiiSD_SD_iiiii
		.amdhsa_group_segment_fixed_size 528
		.amdhsa_private_segment_fixed_size 360
		.amdhsa_kernarg_size 384
		.amdhsa_user_sgpr_count 2
		.amdhsa_user_sgpr_dispatch_ptr 0
		.amdhsa_user_sgpr_queue_ptr 0
		.amdhsa_user_sgpr_kernarg_segment_ptr 1
		.amdhsa_user_sgpr_dispatch_id 0
		.amdhsa_user_sgpr_kernarg_preload_length 0
		.amdhsa_user_sgpr_kernarg_preload_offset 0
		.amdhsa_user_sgpr_private_segment_size 0
		.amdhsa_uses_dynamic_stack 0
		.amdhsa_enable_private_segment 1
		.amdhsa_system_sgpr_workgroup_id_x 1
		.amdhsa_system_sgpr_workgroup_id_y 1
		.amdhsa_system_sgpr_workgroup_id_z 1
		.amdhsa_system_sgpr_workgroup_info 0
		.amdhsa_system_vgpr_workitem_id 0
		.amdhsa_next_free_vgpr 128
		.amdhsa_next_free_sgpr 44
		.amdhsa_accum_offset 64
		.amdhsa_reserve_vcc 1
		.amdhsa_float_round_mode_32 0
		.amdhsa_float_round_mode_16_64 0
		.amdhsa_float_denorm_mode_32 3
		.amdhsa_float_denorm_mode_16_64 3
		.amdhsa_dx10_clamp 1
		.amdhsa_ieee_mode 1
		.amdhsa_fp16_overflow 0
		.amdhsa_tg_split 0
		.amdhsa_exception_fp_ieee_invalid_op 0
		.amdhsa_exception_fp_denorm_src 0
		.amdhsa_exception_fp_ieee_div_zero 0
		.amdhsa_exception_fp_ieee_overflow 0
		.amdhsa_exception_fp_ieee_underflow 0
		.amdhsa_exception_fp_ieee_inexact 0
		.amdhsa_exception_int_div_zero 0
	.end_amdhsa_kernel
	.section	.text._ZN4vllm25paged_attention_v1_kernelI14__hip_bfloat16hLi256ELi16ELi128ELNS_18Fp8KVCacheDataTypeE1ELb1EEEvPT_PKS3_PKT0_S9_ifPKiSB_iPKfiiiSD_SD_iiiii,"axG",@progbits,_ZN4vllm25paged_attention_v1_kernelI14__hip_bfloat16hLi256ELi16ELi128ELNS_18Fp8KVCacheDataTypeE1ELb1EEEvPT_PKS3_PKT0_S9_ifPKiSB_iPKfiiiSD_SD_iiiii,comdat
.Lfunc_end315:
	.size	_ZN4vllm25paged_attention_v1_kernelI14__hip_bfloat16hLi256ELi16ELi128ELNS_18Fp8KVCacheDataTypeE1ELb1EEEvPT_PKS3_PKT0_S9_ifPKiSB_iPKfiiiSD_SD_iiiii, .Lfunc_end315-_ZN4vllm25paged_attention_v1_kernelI14__hip_bfloat16hLi256ELi16ELi128ELNS_18Fp8KVCacheDataTypeE1ELb1EEEvPT_PKS3_PKT0_S9_ifPKiSB_iPKfiiiSD_SD_iiiii
                                        ; -- End function
	.section	.AMDGPU.csdata,"",@progbits
; Kernel info:
; codeLenInByte = 252
; NumSgprs: 50
; NumVgprs: 64
; NumAgprs: 64
; TotalNumVgprs: 128
; ScratchSize: 360
; MemoryBound: 0
; FloatMode: 240
; IeeeMode: 1
; LDSByteSize: 528 bytes/workgroup (compile time only)
; SGPRBlocks: 6
; VGPRBlocks: 15
; NumSGPRsForWavesPerEU: 50
; NumVGPRsForWavesPerEU: 128
; AccumOffset: 64
; Occupancy: 4
; WaveLimiterHint : 1
; COMPUTE_PGM_RSRC2:SCRATCH_EN: 1
; COMPUTE_PGM_RSRC2:USER_SGPR: 2
; COMPUTE_PGM_RSRC2:TRAP_HANDLER: 0
; COMPUTE_PGM_RSRC2:TGID_X_EN: 1
; COMPUTE_PGM_RSRC2:TGID_Y_EN: 1
; COMPUTE_PGM_RSRC2:TGID_Z_EN: 1
; COMPUTE_PGM_RSRC2:TIDIG_COMP_CNT: 0
; COMPUTE_PGM_RSRC3_GFX90A:ACCUM_OFFSET: 15
; COMPUTE_PGM_RSRC3_GFX90A:TG_SPLIT: 0
	.section	.text._ZN4vllm25paged_attention_v1_kernelI14__hip_bfloat16hLi32ELi16ELi128ELNS_18Fp8KVCacheDataTypeE1ELb0EEEvPT_PKS3_PKT0_S9_ifPKiSB_iPKfiiiSD_SD_iiiii,"axG",@progbits,_ZN4vllm25paged_attention_v1_kernelI14__hip_bfloat16hLi32ELi16ELi128ELNS_18Fp8KVCacheDataTypeE1ELb0EEEvPT_PKS3_PKT0_S9_ifPKiSB_iPKfiiiSD_SD_iiiii,comdat
	.protected	_ZN4vllm25paged_attention_v1_kernelI14__hip_bfloat16hLi32ELi16ELi128ELNS_18Fp8KVCacheDataTypeE1ELb0EEEvPT_PKS3_PKT0_S9_ifPKiSB_iPKfiiiSD_SD_iiiii ; -- Begin function _ZN4vllm25paged_attention_v1_kernelI14__hip_bfloat16hLi32ELi16ELi128ELNS_18Fp8KVCacheDataTypeE1ELb0EEEvPT_PKS3_PKT0_S9_ifPKiSB_iPKfiiiSD_SD_iiiii
	.globl	_ZN4vllm25paged_attention_v1_kernelI14__hip_bfloat16hLi32ELi16ELi128ELNS_18Fp8KVCacheDataTypeE1ELb0EEEvPT_PKS3_PKT0_S9_ifPKiSB_iPKfiiiSD_SD_iiiii
	.p2align	8
	.type	_ZN4vllm25paged_attention_v1_kernelI14__hip_bfloat16hLi32ELi16ELi128ELNS_18Fp8KVCacheDataTypeE1ELb0EEEvPT_PKS3_PKT0_S9_ifPKiSB_iPKfiiiSD_SD_iiiii,@function
_ZN4vllm25paged_attention_v1_kernelI14__hip_bfloat16hLi32ELi16ELi128ELNS_18Fp8KVCacheDataTypeE1ELb0EEEvPT_PKS3_PKT0_S9_ifPKiSB_iPKfiiiSD_SD_iiiii: ; @_ZN4vllm25paged_attention_v1_kernelI14__hip_bfloat16hLi32ELi16ELi128ELNS_18Fp8KVCacheDataTypeE1ELb0EEEvPT_PKS3_PKT0_S9_ifPKiSB_iPKfiiiSD_SD_iiiii
; %bb.0:
	s_load_dword s5, s[0:1], 0x80
	s_load_dwordx2 s[6:7], s[0:1], 0x30
	s_load_dwordx2 s[28:29], s[0:1], 0x20
	s_mov_b32 s16, s3
	s_ashr_i32 s17, s3, 31
	s_lshl_b64 s[8:9], s[16:17], 2
	s_waitcnt lgkmcnt(0)
	s_add_u32 s6, s6, s8
	s_addc_u32 s7, s7, s9
	s_abs_i32 s3, s28
	v_cvt_f32_u32_e32 v1, s3
	s_sub_i32 s10, 0, s3
	s_abs_i32 s9, s5
	s_xor_b32 s8, s5, s28
	v_rcp_iflag_f32_e32 v1, v1
	s_ashr_i32 s8, s8, 31
	s_mov_b32 s28, 0
	v_mul_f32_e32 v1, 0x4f7ffffe, v1
	v_cvt_u32_f32_e32 v1, v1
	s_nop 0
	v_readfirstlane_b32 s11, v1
	s_mul_i32 s10, s10, s11
	s_mul_hi_u32 s10, s11, s10
	s_add_i32 s11, s11, s10
	s_mul_hi_u32 s10, s9, s11
	s_mul_i32 s11, s10, s3
	s_sub_i32 s9, s9, s11
	s_add_i32 s11, s10, 1
	s_sub_i32 s12, s9, s3
	s_cmp_ge_u32 s9, s3
	s_cselect_b32 s10, s11, s10
	s_cselect_b32 s9, s12, s9
	s_add_i32 s11, s10, 1
	s_cmp_ge_u32 s9, s3
	s_cselect_b32 s3, s11, s10
	s_xor_b32 s3, s3, s8
	s_sub_i32 s18, s3, s8
	s_abs_i32 s10, s18
	v_cvt_f32_u32_e32 v1, s10
	s_load_dwordx2 s[8:9], s[0:1], 0x40
	s_sub_i32 s3, 0, s10
	s_abs_i32 s11, s2
	v_rcp_iflag_f32_e32 v1, v1
	s_nop 0
	v_mul_f32_e32 v1, 0x4f7ffffe, v1
	v_cvt_u32_f32_e32 v1, v1
	s_nop 0
	v_readfirstlane_b32 s12, v1
	s_mul_i32 s3, s3, s12
	s_mul_hi_u32 s3, s12, s3
	s_add_i32 s12, s12, s3
	s_waitcnt lgkmcnt(0)
	s_cmp_eq_u64 s[8:9], 0
	s_mul_hi_u32 s20, s11, s12
	s_cbranch_scc1 .LBB316_2
; %bb.1:
	s_ashr_i32 s3, s2, 31
	s_lshl_b64 s[12:13], s[2:3], 2
	s_add_u32 s8, s8, s12
	s_addc_u32 s9, s9, s13
	s_load_dword s28, s[8:9], 0x0
.LBB316_2:
	s_load_dword s17, s[6:7], 0x0
	s_load_dwordx4 s[12:15], s[0:1], 0x48
	s_ashr_i32 s6, s2, 31
	s_ashr_i32 s7, s18, 31
	v_and_b32_e32 v6, 3, v0
	s_lshl_b32 s18, s2, 5
	v_cmp_gt_u32_e32 vcc, 16, v0
	s_and_saveexec_b64 s[2:3], vcc
	s_cbranch_execz .LBB316_4
; %bb.3:
	s_load_dwordx2 s[8:9], s[0:1], 0x8
	s_waitcnt lgkmcnt(0)
	s_mul_i32 s22, s16, s12
	s_ashr_i32 s23, s22, 31
	s_lshl_b64 s[22:23], s[22:23], 1
	v_lshlrev_b32_e32 v1, 2, v0
	s_add_u32 s12, s8, s22
	s_addc_u32 s15, s9, s23
	s_ashr_i32 s19, s18, 31
	s_lshl_b64 s[8:9], s[18:19], 1
	s_add_u32 s8, s12, s8
	s_addc_u32 s9, s15, s9
	global_load_dword v1, v1, s[8:9]
	v_and_b32_e32 v2, 0x3fc, v0
	v_lshl_add_u32 v2, v6, 4, v2
	s_waitcnt vmcnt(0)
	ds_write_b32 v2, v1
.LBB316_4:
	s_or_b64 exec, exec, s[2:3]
	s_waitcnt lgkmcnt(0)
	s_add_i32 s3, s17, 15
	s_ashr_i32 s8, s3, 31
	s_lshr_b32 s8, s8, 28
	s_add_i32 s3, s3, s8
	s_ashr_i32 s19, s3, 4
	s_xor_b32 s3, s6, s7
	s_mul_i32 s6, s20, s10
	s_sub_i32 s6, s11, s6
	s_add_i32 s7, s20, 1
	s_sub_i32 s8, s6, s10
	s_load_dwordx2 s[22:23], s[0:1], 0x28
	s_load_dword s2, s[0:1], 0x38
	s_cmp_ge_u32 s6, s10
	s_cselect_b32 s7, s7, s20
	s_cselect_b32 s6, s8, s6
	s_add_i32 s8, s7, 1
	s_cmp_ge_u32 s6, s10
	s_cselect_b32 s6, s8, s7
	v_lshrrev_b32_e32 v1, 6, v0
	s_xor_b32 s6, s6, s3
	s_waitcnt lgkmcnt(0)
	s_mul_i32 s24, s16, s2
	s_sub_i32 s33, s6, s3
	s_ashr_i32 s25, s24, 31
	v_cmp_gt_i32_e64 s[6:7], s19, v1
	v_cmp_le_i32_e32 vcc, s19, v1
	v_mbcnt_lo_u32_b32 v7, -1, 0
	s_barrier
	s_waitcnt lgkmcnt(0)
                                        ; implicit-def: $sgpr15
                                        ; implicit-def: $vgpr10
                                        ; implicit-def: $vgpr11
	s_and_saveexec_b64 s[2:3], vcc
	s_xor_b64 s[2:3], exec, s[2:3]
; %bb.5:
	v_mbcnt_hi_u32_b32 v10, -1, v7
	v_and_b32_e32 v2, 64, v10
	v_add_u32_e32 v11, 64, v2
	s_mov_b32 s15, 0xff7fffff
                                        ; implicit-def: $vgpr6
                                        ; implicit-def: $vgpr7
; %bb.6:
	s_or_saveexec_b64 s[30:31], s[2:3]
	s_load_dwordx2 s[20:21], s[0:1], 0x0
	s_load_dwordx2 s[26:27], s[0:1], 0x18
	s_load_dword s12, s[0:1], 0x88
	s_load_dwordx4 s[8:11], s[0:1], 0x58
	v_mov_b32_e32 v21, s15
	s_mul_i32 s33, s33, s14
	v_lshrrev_b32_e32 v14, 4, v0
	s_xor_b64 exec, exec, s[30:31]
	s_cbranch_execz .LBB316_44
; %bb.7:
	v_lshlrev_b32_e32 v2, 4, v6
	ds_read_b128 v[8:11], v2
	s_load_dwordx2 s[0:1], s[0:1], 0x10
	s_ashr_i32 s2, s33, 31
	v_bfe_u32 v21, v0, 2, 4
	v_lshlrev_b32_e32 v2, 4, v21
	s_waitcnt lgkmcnt(0)
	v_lshlrev_b32_e32 v17, 16, v10
	v_and_b32_e32 v18, 0xffff0000, v10
	v_mbcnt_hi_u32_b32 v10, -1, v7
	v_and_b32_e32 v7, 64, v10
	v_lshlrev_b32_e32 v19, 16, v11
	v_and_b32_e32 v20, 0xffff0000, v11
	v_add_u32_e32 v11, 64, v7
	v_xor_b32_e32 v7, 2, v10
	v_cmp_lt_i32_e32 vcc, v7, v11
	s_add_u32 s0, s0, s33
	s_addc_u32 s1, s1, s2
	v_cndmask_b32_e32 v7, v10, v7, vcc
	v_lshlrev_b32_e32 v22, 2, v7
	v_xor_b32_e32 v7, 1, v10
	v_mov_b32_e32 v3, 0
	v_cmp_lt_i32_e32 vcc, v7, v11
	s_load_dword s35, s[8:9], 0x0
	v_lshl_add_u64 v[4:5], s[0:1], 0, v[2:3]
	v_lshlrev_b32_e32 v2, 1, v6
	v_cndmask_b32_e32 v7, v10, v7, vcc
	v_cmp_eq_u32_e32 vcc, 0, v6
	s_sub_i32 s36, 1, s17
	v_lshlrev_b32_e32 v6, 2, v21
	s_lshl_b64 s[0:1], s[24:25], 2
	v_lshl_or_b32 v6, v1, 6, v6
	s_add_u32 s0, s22, s0
	v_lshlrev_b32_e32 v23, 2, v7
	v_add_u32_e32 v25, 0x50, v6
	v_and_b32_e32 v6, 60, v14
	v_mov_b32_e32 v7, v3
	s_addc_u32 s1, s23, s1
	s_mov_b32 s34, s13
	v_lshlrev_b32_e32 v12, 16, v8
	v_and_b32_e32 v13, 0xffff0000, v8
	v_lshlrev_b32_e32 v15, 16, v9
	v_and_b32_e32 v16, 0xffff0000, v9
	v_cmp_neq_f32_e64 s[2:3], s28, 0
	v_lshl_or_b32 v24, v1, 4, v21
	v_lshl_add_u64 v[6:7], s[0:1], 0, v[6:7]
	s_mov_b64 s[8:9], 0
	v_mov_b32_e32 v21, 0xff7fffff
	s_mov_b32 s37, 0xffff
	s_mov_b32 s38, 0x7f800000
	s_movk_i32 s39, 0x7fff
	v_mov_b32_e32 v26, v1
	s_branch .LBB316_9
.LBB316_8:                              ;   in Loop: Header=BB316_9 Depth=1
	s_or_b64 exec, exec, s[14:15]
	v_add_u32_e32 v26, 2, v26
	v_cmp_le_i32_e64 s[0:1], s19, v26
	v_add_u32_e32 v24, 32, v24
	v_add_u32_e32 v25, 0x80, v25
	s_or_b64 s[8:9], s[0:1], s[8:9]
	v_lshl_add_u64 v[6:7], v[6:7], 0, 8
	s_andn2_b64 exec, exec, s[8:9]
	s_cbranch_execz .LBB316_43
.LBB316_9:                              ; =>This Inner Loop Header: Depth=1
	global_load_dword v8, v[6:7], off
	s_waitcnt vmcnt(0) lgkmcnt(0)
	v_mad_i64_i32 v[8:9], s[0:1], v8, s34, v[4:5]
	v_lshl_add_u64 v[8:9], v[8:9], 0, v[2:3]
	global_load_ushort v28, v[8:9], off
	s_waitcnt vmcnt(0)
	v_and_b32_sdwa v27, s37, v28 dst_sel:DWORD dst_unused:UNUSED_PAD src0_sel:DWORD src1_sel:BYTE_0
	v_cvt_f32_fp8_sdwa v27, v27 src0_sel:BYTE_0
	s_waitcnt lgkmcnt(0)
	v_mul_f32_e32 v29, s35, v27
	v_and_b32_e32 v27, 0x7f800000, v29
	v_cmp_ne_u32_e64 s[0:1], s38, v27
                                        ; implicit-def: $vgpr27
	s_and_saveexec_b64 s[14:15], s[0:1]
	s_xor_b64 s[0:1], exec, s[14:15]
; %bb.10:                               ;   in Loop: Header=BB316_9 Depth=1
	v_bfe_u32 v27, v29, 16, 1
	v_add3_u32 v27, v29, v27, s39
                                        ; implicit-def: $vgpr29
; %bb.11:                               ;   in Loop: Header=BB316_9 Depth=1
	s_andn2_saveexec_b64 s[14:15], s[0:1]
; %bb.12:                               ;   in Loop: Header=BB316_9 Depth=1
	v_or_b32_e32 v27, 0x10000, v29
	v_cmp_eq_u32_sdwa s[0:1], v29, v3 src0_sel:WORD_0 src1_sel:DWORD
	s_nop 1
	v_cndmask_b32_e64 v27, v27, v29, s[0:1]
; %bb.13:                               ;   in Loop: Header=BB316_9 Depth=1
	s_or_b64 exec, exec, s[14:15]
	v_lshrrev_b16_e32 v28, 8, v28
	v_cvt_f32_fp8_sdwa v28, v28 src0_sel:BYTE_0
	s_nop 0
	v_mul_f32_e32 v29, s35, v28
	v_and_b32_e32 v28, 0x7f800000, v29
	v_cmp_ne_u32_e64 s[0:1], s38, v28
                                        ; implicit-def: $vgpr28
	s_and_saveexec_b64 s[14:15], s[0:1]
	s_xor_b64 s[0:1], exec, s[14:15]
; %bb.14:                               ;   in Loop: Header=BB316_9 Depth=1
	v_bfe_u32 v28, v29, 16, 1
	v_add3_u32 v28, v29, v28, s39
                                        ; implicit-def: $vgpr29
; %bb.15:                               ;   in Loop: Header=BB316_9 Depth=1
	s_andn2_saveexec_b64 s[14:15], s[0:1]
; %bb.16:                               ;   in Loop: Header=BB316_9 Depth=1
	v_or_b32_e32 v28, 0x10000, v29
	v_cmp_eq_u32_sdwa s[0:1], v29, v3 src0_sel:WORD_0 src1_sel:DWORD
	s_nop 1
	v_cndmask_b32_e64 v28, v28, v29, s[0:1]
; %bb.17:                               ;   in Loop: Header=BB316_9 Depth=1
	s_or_b64 exec, exec, s[14:15]
	global_load_ushort v30, v[8:9], off offset:8
	s_waitcnt vmcnt(0)
	v_and_b32_sdwa v29, s37, v30 dst_sel:DWORD dst_unused:UNUSED_PAD src0_sel:DWORD src1_sel:BYTE_0
	v_cvt_f32_fp8_sdwa v29, v29 src0_sel:BYTE_0
	s_nop 0
	v_mul_f32_e32 v31, s35, v29
	v_and_b32_e32 v29, 0x7f800000, v31
	v_cmp_ne_u32_e64 s[0:1], s38, v29
                                        ; implicit-def: $vgpr29
	s_and_saveexec_b64 s[14:15], s[0:1]
	s_xor_b64 s[0:1], exec, s[14:15]
; %bb.18:                               ;   in Loop: Header=BB316_9 Depth=1
	v_bfe_u32 v29, v31, 16, 1
	v_add3_u32 v29, v31, v29, s39
                                        ; implicit-def: $vgpr31
; %bb.19:                               ;   in Loop: Header=BB316_9 Depth=1
	s_andn2_saveexec_b64 s[14:15], s[0:1]
; %bb.20:                               ;   in Loop: Header=BB316_9 Depth=1
	v_or_b32_e32 v29, 0x10000, v31
	v_cmp_eq_u32_sdwa s[0:1], v31, v3 src0_sel:WORD_0 src1_sel:DWORD
	s_nop 1
	v_cndmask_b32_e64 v29, v29, v31, s[0:1]
; %bb.21:                               ;   in Loop: Header=BB316_9 Depth=1
	s_or_b64 exec, exec, s[14:15]
	v_lshrrev_b16_e32 v30, 8, v30
	v_cvt_f32_fp8_sdwa v30, v30 src0_sel:BYTE_0
	s_nop 0
	v_mul_f32_e32 v31, s35, v30
	v_and_b32_e32 v30, 0x7f800000, v31
	v_cmp_ne_u32_e64 s[0:1], s38, v30
                                        ; implicit-def: $vgpr30
	s_and_saveexec_b64 s[14:15], s[0:1]
	s_xor_b64 s[0:1], exec, s[14:15]
; %bb.22:                               ;   in Loop: Header=BB316_9 Depth=1
	v_bfe_u32 v30, v31, 16, 1
	v_add3_u32 v30, v31, v30, s39
                                        ; implicit-def: $vgpr31
; %bb.23:                               ;   in Loop: Header=BB316_9 Depth=1
	s_andn2_saveexec_b64 s[14:15], s[0:1]
; %bb.24:                               ;   in Loop: Header=BB316_9 Depth=1
	v_or_b32_e32 v30, 0x10000, v31
	v_cmp_eq_u32_sdwa s[0:1], v31, v3 src0_sel:WORD_0 src1_sel:DWORD
	s_nop 1
	v_cndmask_b32_e64 v30, v30, v31, s[0:1]
; %bb.25:                               ;   in Loop: Header=BB316_9 Depth=1
	s_or_b64 exec, exec, s[14:15]
	global_load_ushort v32, v[8:9], off offset:256
	s_waitcnt vmcnt(0)
	v_and_b32_sdwa v31, s37, v32 dst_sel:DWORD dst_unused:UNUSED_PAD src0_sel:DWORD src1_sel:BYTE_0
	v_cvt_f32_fp8_sdwa v31, v31 src0_sel:BYTE_0
	s_nop 0
	v_mul_f32_e32 v33, s35, v31
	v_and_b32_e32 v31, 0x7f800000, v33
	v_cmp_ne_u32_e64 s[0:1], s38, v31
                                        ; implicit-def: $vgpr31
	s_and_saveexec_b64 s[14:15], s[0:1]
	s_xor_b64 s[0:1], exec, s[14:15]
; %bb.26:                               ;   in Loop: Header=BB316_9 Depth=1
	v_bfe_u32 v31, v33, 16, 1
	v_add3_u32 v31, v33, v31, s39
                                        ; implicit-def: $vgpr33
; %bb.27:                               ;   in Loop: Header=BB316_9 Depth=1
	s_andn2_saveexec_b64 s[14:15], s[0:1]
; %bb.28:                               ;   in Loop: Header=BB316_9 Depth=1
	v_or_b32_e32 v31, 0x10000, v33
	v_cmp_eq_u32_sdwa s[0:1], v33, v3 src0_sel:WORD_0 src1_sel:DWORD
	s_nop 1
	v_cndmask_b32_e64 v31, v31, v33, s[0:1]
; %bb.29:                               ;   in Loop: Header=BB316_9 Depth=1
	s_or_b64 exec, exec, s[14:15]
	v_lshrrev_b16_e32 v32, 8, v32
	v_cvt_f32_fp8_sdwa v32, v32 src0_sel:BYTE_0
	s_nop 0
	v_mul_f32_e32 v33, s35, v32
	v_and_b32_e32 v32, 0x7f800000, v33
	v_cmp_ne_u32_e64 s[0:1], s38, v32
                                        ; implicit-def: $vgpr32
	s_and_saveexec_b64 s[14:15], s[0:1]
	s_xor_b64 s[0:1], exec, s[14:15]
; %bb.30:                               ;   in Loop: Header=BB316_9 Depth=1
	v_bfe_u32 v32, v33, 16, 1
	v_add3_u32 v32, v33, v32, s39
                                        ; implicit-def: $vgpr33
; %bb.31:                               ;   in Loop: Header=BB316_9 Depth=1
	s_andn2_saveexec_b64 s[14:15], s[0:1]
; %bb.32:                               ;   in Loop: Header=BB316_9 Depth=1
	v_or_b32_e32 v32, 0x10000, v33
	v_cmp_eq_u32_sdwa s[0:1], v33, v3 src0_sel:WORD_0 src1_sel:DWORD
	s_nop 1
	v_cndmask_b32_e64 v32, v32, v33, s[0:1]
; %bb.33:                               ;   in Loop: Header=BB316_9 Depth=1
	s_or_b64 exec, exec, s[14:15]
	global_load_ushort v9, v[8:9], off offset:264
	s_waitcnt vmcnt(0)
	v_and_b32_sdwa v8, s37, v9 dst_sel:DWORD dst_unused:UNUSED_PAD src0_sel:DWORD src1_sel:BYTE_0
	v_cvt_f32_fp8_sdwa v8, v8 src0_sel:BYTE_0
	s_nop 0
	v_mul_f32_e32 v33, s35, v8
	v_and_b32_e32 v8, 0x7f800000, v33
	v_cmp_ne_u32_e64 s[0:1], s38, v8
                                        ; implicit-def: $vgpr8
	s_and_saveexec_b64 s[14:15], s[0:1]
	s_xor_b64 s[0:1], exec, s[14:15]
; %bb.34:                               ;   in Loop: Header=BB316_9 Depth=1
	v_bfe_u32 v8, v33, 16, 1
	v_add3_u32 v8, v33, v8, s39
                                        ; implicit-def: $vgpr33
; %bb.35:                               ;   in Loop: Header=BB316_9 Depth=1
	s_andn2_saveexec_b64 s[14:15], s[0:1]
; %bb.36:                               ;   in Loop: Header=BB316_9 Depth=1
	v_or_b32_e32 v8, 0x10000, v33
	v_cmp_eq_u32_sdwa s[0:1], v33, v3 src0_sel:WORD_0 src1_sel:DWORD
	s_nop 1
	v_cndmask_b32_e64 v8, v8, v33, s[0:1]
; %bb.37:                               ;   in Loop: Header=BB316_9 Depth=1
	s_or_b64 exec, exec, s[14:15]
	v_lshrrev_b16_e32 v9, 8, v9
	v_cvt_f32_fp8_sdwa v9, v9 src0_sel:BYTE_0
	s_nop 0
	v_mul_f32_e32 v33, s35, v9
	v_and_b32_e32 v9, 0x7f800000, v33
	v_cmp_ne_u32_e64 s[0:1], s38, v9
                                        ; implicit-def: $vgpr9
	s_and_saveexec_b64 s[14:15], s[0:1]
	s_xor_b64 s[0:1], exec, s[14:15]
; %bb.38:                               ;   in Loop: Header=BB316_9 Depth=1
	v_bfe_u32 v9, v33, 16, 1
	v_add3_u32 v9, v33, v9, s39
                                        ; implicit-def: $vgpr33
; %bb.39:                               ;   in Loop: Header=BB316_9 Depth=1
	s_andn2_saveexec_b64 s[14:15], s[0:1]
; %bb.40:                               ;   in Loop: Header=BB316_9 Depth=1
	v_or_b32_e32 v9, 0x10000, v33
	v_cmp_eq_u32_sdwa s[0:1], v33, v3 src0_sel:WORD_0 src1_sel:DWORD
	s_nop 1
	v_cndmask_b32_e64 v9, v9, v33, s[0:1]
; %bb.41:                               ;   in Loop: Header=BB316_9 Depth=1
	s_or_b64 exec, exec, s[14:15]
	v_and_b32_e32 v29, 0xffff0000, v29
	v_and_b32_e32 v30, 0xffff0000, v30
	;; [unrolled: 1-line block ×3, first 2 shown]
	v_mul_f32_e32 v29, v15, v29
	v_and_b32_e32 v28, 0xffff0000, v28
	v_fmac_f32_e32 v29, v12, v27
	v_mul_f32_e32 v27, v16, v30
	v_and_b32_e32 v32, 0xffff0000, v32
	v_and_b32_e32 v31, 0xffff0000, v31
	v_fmac_f32_e32 v27, v13, v28
	v_and_b32_e32 v8, 0xffff0000, v8
	v_and_b32_e32 v9, 0xffff0000, v9
	v_fmac_f32_e32 v29, v17, v31
	v_fmac_f32_e32 v27, v18, v32
	;; [unrolled: 1-line block ×4, first 2 shown]
	v_add_f32_e32 v8, v29, v27
	ds_bpermute_b32 v9, v22, v8
	s_waitcnt lgkmcnt(0)
	v_add_f32_e32 v8, v8, v9
	ds_bpermute_b32 v9, v23, v8
	s_and_saveexec_b64 s[14:15], vcc
	s_cbranch_execz .LBB316_8
; %bb.42:                               ;   in Loop: Header=BB316_9 Depth=1
	v_add_u32_e32 v27, s36, v24
	v_cvt_f32_i32_e32 v27, v27
	s_waitcnt lgkmcnt(0)
	v_add_f32_e32 v8, v8, v9
	v_cmp_gt_i32_e64 s[0:1], s17, v24
	v_max_f32_e32 v9, v21, v21
	v_mul_f32_e32 v27, s28, v27
	v_cndmask_b32_e64 v27, 0, v27, s[2:3]
	v_fmac_f32_e32 v27, s29, v8
	v_cndmask_b32_e64 v8, 0, v27, s[0:1]
	ds_write_b32 v25, v8
	v_max_f32_e32 v8, v9, v27
	v_cndmask_b32_e64 v21, v21, v8, s[0:1]
	s_branch .LBB316_8
.LBB316_43:
	s_or_b64 exec, exec, s[8:9]
.LBB316_44:
	s_or_b64 exec, exec, s[30:31]
	v_xor_b32_e32 v2, 32, v10
	v_cmp_lt_i32_e32 vcc, v2, v11
	v_xor_b32_e32 v5, 16, v10
	v_max_f32_e32 v4, v21, v21
	v_cndmask_b32_e32 v2, v10, v2, vcc
	v_lshlrev_b32_e32 v2, 2, v2
	ds_bpermute_b32 v3, v2, v21
	v_cmp_lt_i32_e32 vcc, v5, v11
	v_xor_b32_e32 v6, 8, v10
	v_xor_b32_e32 v7, 4, v10
	v_and_b32_e32 v16, 63, v0
	s_waitcnt lgkmcnt(0)
	v_max_f32_e32 v3, v3, v3
	v_max_f32_e32 v4, v4, v3
	v_cndmask_b32_e32 v3, v10, v5, vcc
	v_lshlrev_b32_e32 v3, 2, v3
	ds_bpermute_b32 v5, v3, v4
	v_cmp_lt_i32_e32 vcc, v6, v11
	s_waitcnt lgkmcnt(0)
	v_max_f32_e32 v5, v5, v5
	v_max_f32_e32 v4, v4, v5
	v_cndmask_b32_e32 v5, v10, v6, vcc
	v_lshlrev_b32_e32 v6, 2, v5
	ds_bpermute_b32 v5, v6, v4
	v_cmp_lt_i32_e32 vcc, v7, v11
	s_waitcnt lgkmcnt(0)
	v_max_f32_e32 v5, v5, v5
	v_max_f32_e32 v5, v4, v5
	v_cndmask_b32_e32 v4, v10, v7, vcc
	v_lshlrev_b32_e32 v7, 2, v4
	ds_bpermute_b32 v8, v7, v5
	v_cmp_eq_u32_e32 vcc, 0, v16
	v_lshlrev_b32_e32 v4, 2, v1
	s_and_saveexec_b64 s[0:1], vcc
	s_cbranch_execz .LBB316_46
; %bb.45:
	s_waitcnt lgkmcnt(0)
	v_max_f32_e32 v8, v8, v8
	v_max_f32_e32 v5, v5, v5
	;; [unrolled: 1-line block ×3, first 2 shown]
	ds_write_b32 v4, v5 offset:64
.LBB316_46:
	s_or_b64 exec, exec, s[0:1]
	v_cmp_gt_u32_e64 s[0:1], 2, v16
	s_waitcnt lgkmcnt(0)
	v_mov_b32_e32 v8, 0xff7fffff
	v_lshlrev_b32_e32 v5, 2, v16
	s_barrier
	s_and_saveexec_b64 s[2:3], s[0:1]
	s_cbranch_execz .LBB316_48
; %bb.47:
	ds_read_b32 v8, v5 offset:64
.LBB316_48:
	s_or_b64 exec, exec, s[2:3]
	v_xor_b32_e32 v9, 1, v10
	v_cmp_lt_i32_e64 s[2:3], v9, v11
	v_lshlrev_b32_e32 v12, 2, v10
	s_nop 0
	v_cndmask_b32_e64 v9, v10, v9, s[2:3]
	v_lshlrev_b32_e32 v17, 2, v9
	s_waitcnt lgkmcnt(0)
	ds_bpermute_b32 v9, v17, v8
	v_max_f32_e32 v8, v8, v8
	s_lshl_b32 s2, s19, 4
	s_min_i32 s30, s2, s17
	v_cmp_gt_i32_e64 s[2:3], s30, v0
	s_waitcnt lgkmcnt(0)
	v_max_f32_e32 v9, v9, v9
	v_max_f32_e32 v9, v8, v9
	v_and_b32_e32 v8, 0xffffff00, v12
	ds_bpermute_b32 v12, v8, v9
	v_mov_b32_e32 v9, 0
	s_and_saveexec_b64 s[14:15], s[2:3]
	s_cbranch_execz .LBB316_52
; %bb.49:
	v_mov_b32_e32 v9, 0x50
	v_lshl_add_u32 v13, v0, 2, v9
	s_mov_b64 s[28:29], 0
	v_mov_b32_e32 v9, 0
	v_mov_b32_e32 v15, v0
.LBB316_50:                             ; =>This Inner Loop Header: Depth=1
	ds_read_b32 v18, v13
	v_add_u32_e32 v15, 0x80, v15
	v_cmp_le_i32_e64 s[8:9], s30, v15
	s_or_b64 s[28:29], s[8:9], s[28:29]
	s_waitcnt lgkmcnt(0)
	v_sub_f32_e32 v18, v18, v12
	v_mul_f32_e32 v18, 0x3fb8aa3b, v18
	v_exp_f32_e32 v18, v18
	ds_write_b32 v13, v18
	v_add_f32_e32 v9, v9, v18
	v_add_u32_e32 v13, 0x200, v13
	s_andn2_b64 exec, exec, s[28:29]
	s_cbranch_execnz .LBB316_50
; %bb.51:
	s_or_b64 exec, exec, s[28:29]
.LBB316_52:
	s_or_b64 exec, exec, s[14:15]
	ds_bpermute_b32 v2, v2, v9
	s_waitcnt lgkmcnt(0)
	v_add_f32_e32 v2, v9, v2
	ds_bpermute_b32 v3, v3, v2
	s_waitcnt lgkmcnt(0)
	v_add_f32_e32 v2, v2, v3
	ds_bpermute_b32 v3, v6, v2
	v_xor_b32_e32 v6, 2, v10
	v_cmp_lt_i32_e64 s[8:9], v6, v11
	s_waitcnt lgkmcnt(0)
	v_add_f32_e32 v2, v2, v3
	ds_bpermute_b32 v3, v7, v2
	v_cndmask_b32_e64 v6, v10, v6, s[8:9]
	s_waitcnt lgkmcnt(0)
	v_add_f32_e32 v2, v2, v3
	v_lshlrev_b32_e32 v3, 2, v6
	ds_bpermute_b32 v3, v3, v2
	s_waitcnt lgkmcnt(0)
	v_add_f32_e32 v2, v2, v3
	ds_bpermute_b32 v3, v17, v2
	s_waitcnt lgkmcnt(0)
	v_add_f32_e32 v2, v2, v3
	s_and_saveexec_b64 s[8:9], vcc
	s_cbranch_execz .LBB316_54
; %bb.53:
	ds_write_b32 v4, v2 offset:72
.LBB316_54:
	s_or_b64 exec, exec, s[8:9]
	s_waitcnt lgkmcnt(0)
	s_barrier
	s_and_saveexec_b64 s[8:9], s[0:1]
	s_cbranch_execz .LBB316_56
; %bb.55:
	ds_read_b32 v2, v5 offset:72
.LBB316_56:
	s_or_b64 exec, exec, s[8:9]
	s_waitcnt lgkmcnt(0)
	ds_bpermute_b32 v3, v17, v2
	s_waitcnt lgkmcnt(0)
	v_add_f32_e32 v2, v2, v3
	ds_bpermute_b32 v2, v8, v2
	s_and_saveexec_b64 s[0:1], s[2:3]
	s_cbranch_execz .LBB316_69
; %bb.57:
	s_waitcnt lgkmcnt(0)
	v_add_f32_e32 v2, 0x358637bd, v2
	v_div_scale_f32 v3, s[2:3], v2, v2, 1.0
	v_rcp_f32_e32 v4, v3
	v_div_scale_f32 v5, vcc, 1.0, v2, 1.0
	s_movk_i32 s2, 0x7f
	v_fma_f32 v6, -v3, v4, 1.0
	v_fmac_f32_e32 v4, v6, v4
	v_mul_f32_e32 v6, v5, v4
	v_fma_f32 v7, -v3, v6, v5
	v_fmac_f32_e32 v6, v7, v4
	v_fma_f32 v3, -v3, v6, v5
	v_div_fmas_f32 v3, v3, v4, v6
	v_xad_u32 v4, v0, -1, s30
	v_div_fixup_f32 v2, v3, v2, 1.0
	v_cmp_lt_u32_e32 vcc, s2, v4
	s_mov_b64 s[8:9], -1
	v_mov_b32_e32 v3, v0
	s_and_saveexec_b64 s[2:3], vcc
	s_cbranch_execz .LBB316_66
; %bb.58:
	v_lshrrev_b32_e32 v4, 7, v4
	v_add_u32_e32 v6, -1, v4
	v_lshrrev_b32_e32 v5, 1, v6
	v_mov_b32_e32 v3, v2
	v_add_u32_e32 v5, 1, v5
	v_cmp_lt_u32_e32 vcc, 13, v6
	v_mov_b32_e32 v8, 0
	s_and_saveexec_b64 s[8:9], vcc
	s_cbranch_execz .LBB316_62
; %bb.59:
	v_mov_b32_e32 v7, 0x50
	v_and_b32_e32 v6, -8, v5
	v_lshl_add_u32 v7, v0, 2, v7
	s_mov_b32 s28, 0
	s_mov_b64 s[14:15], 0
.LBB316_60:                             ; =>This Inner Loop Header: Depth=1
	ds_read2st64_b32 v[8:9], v7 offset1:2
	ds_read2st64_b32 v[10:11], v7 offset0:4 offset1:6
	ds_read2st64_b32 v[12:13], v7 offset0:8 offset1:10
	;; [unrolled: 1-line block ×3, first 2 shown]
	v_add_u32_e32 v6, -8, v6
	s_waitcnt lgkmcnt(3)
	v_pk_mul_f32 v[8:9], v[2:3], v[8:9]
	s_waitcnt lgkmcnt(2)
	v_pk_mul_f32 v[10:11], v[2:3], v[10:11]
	ds_write2st64_b32 v7, v8, v9 offset1:2
	ds_write2st64_b32 v7, v10, v11 offset0:4 offset1:6
	ds_read2st64_b32 v[10:11], v7 offset0:16 offset1:18
	s_waitcnt lgkmcnt(4)
	v_pk_mul_f32 v[8:9], v[2:3], v[12:13]
	ds_write2st64_b32 v7, v8, v9 offset0:8 offset1:10
	s_waitcnt lgkmcnt(4)
	v_pk_mul_f32 v[8:9], v[2:3], v[18:19]
	ds_write2st64_b32 v7, v8, v9 offset0:12 offset1:14
	ds_read2st64_b32 v[8:9], v7 offset0:20 offset1:22
	s_waitcnt lgkmcnt(3)
	v_pk_mul_f32 v[10:11], v[2:3], v[10:11]
	ds_read2st64_b32 v[12:13], v7 offset0:24 offset1:26
	ds_write2st64_b32 v7, v10, v11 offset0:16 offset1:18
	ds_read2st64_b32 v[10:11], v7 offset0:28 offset1:30
	s_waitcnt lgkmcnt(3)
	v_pk_mul_f32 v[8:9], v[2:3], v[8:9]
	ds_write2st64_b32 v7, v8, v9 offset0:20 offset1:22
	s_waitcnt lgkmcnt(3)
	v_pk_mul_f32 v[8:9], v[2:3], v[12:13]
	ds_write2st64_b32 v7, v8, v9 offset0:24 offset1:26
	s_waitcnt lgkmcnt(2)
	v_pk_mul_f32 v[8:9], v[2:3], v[10:11]
	s_add_i32 s28, s28, 16
	v_cmp_eq_u32_e32 vcc, 0, v6
	ds_write2st64_b32 v7, v8, v9 offset0:28 offset1:30
	v_add_u32_e32 v7, 0x2000, v7
	s_or_b64 s[14:15], vcc, s[14:15]
	v_mov_b32_e32 v8, s28
	s_andn2_b64 exec, exec, s[14:15]
	s_cbranch_execnz .LBB316_60
; %bb.61:
	s_or_b64 exec, exec, s[14:15]
.LBB316_62:
	s_or_b64 exec, exec, s[8:9]
	v_and_b32_e32 v5, 7, v5
	v_cmp_ne_u32_e32 vcc, 0, v5
	s_and_saveexec_b64 s[8:9], vcc
	s_cbranch_execz .LBB316_65
; %bb.63:
	v_lshlrev_b32_e32 v6, 9, v8
	v_lshlrev_b32_e32 v7, 2, v0
	s_movk_i32 s14, 0x50
	v_add3_u32 v6, v6, v7, s14
	s_mov_b64 s[14:15], 0
.LBB316_64:                             ; =>This Inner Loop Header: Depth=1
	ds_read2st64_b32 v[8:9], v6 offset1:2
	v_add_u32_e32 v5, -1, v5
	v_cmp_eq_u32_e32 vcc, 0, v5
	s_or_b64 s[14:15], vcc, s[14:15]
	s_waitcnt lgkmcnt(0)
	v_pk_mul_f32 v[8:9], v[2:3], v[8:9]
	ds_write2st64_b32 v6, v8, v9 offset1:2
	v_add_u32_e32 v6, 0x400, v6
	s_andn2_b64 exec, exec, s[14:15]
	s_cbranch_execnz .LBB316_64
.LBB316_65:
	s_or_b64 exec, exec, s[8:9]
	v_add_u32_e32 v4, 1, v4
	v_and_b32_e32 v5, 0x3fffffe, v4
	v_cmp_ne_u32_e32 vcc, v4, v5
	v_lshl_add_u32 v3, v5, 7, v0
	s_orn2_b64 s[8:9], vcc, exec
.LBB316_66:
	s_or_b64 exec, exec, s[2:3]
	s_and_b64 exec, exec, s[8:9]
	s_cbranch_execz .LBB316_69
; %bb.67:
	v_mov_b32_e32 v4, 0x50
	v_lshl_add_u32 v4, v3, 2, v4
	s_mov_b64 s[2:3], 0
.LBB316_68:                             ; =>This Inner Loop Header: Depth=1
	ds_read_b32 v5, v4
	v_add_u32_e32 v3, 0x80, v3
	v_cmp_le_i32_e32 vcc, s30, v3
	s_or_b64 s[2:3], vcc, s[2:3]
	s_waitcnt lgkmcnt(0)
	v_mul_f32_e32 v5, v2, v5
	ds_write_b32 v4, v5
	v_add_u32_e32 v4, 0x200, v4
	s_andn2_b64 exec, exec, s[2:3]
	s_cbranch_execnz .LBB316_68
.LBB316_69:
	s_or_b64 exec, exec, s[0:1]
	v_mov_b32_e32 v10, 0
	s_waitcnt lgkmcnt(0)
	s_barrier
	s_and_saveexec_b64 s[0:1], s[6:7]
	s_cbranch_execz .LBB316_171
; %bb.70:
	s_ashr_i32 s3, s33, 31
	v_lshlrev_b32_e32 v2, 3, v0
	s_add_u32 s2, s26, s33
	v_and_b32_e32 v3, 8, v2
	s_addc_u32 s3, s27, s3
	v_and_b32_e32 v10, 0x1f8, v2
	v_mov_b32_e32 v11, 0
	s_load_dword s9, s[10:11], 0x0
	v_lshlrev_b32_e32 v2, 4, v1
	v_lshl_add_u64 v[12:13], s[2:3], 0, v[10:11]
	s_add_i32 s10, s19, -1
	v_or3_b32 v18, v2, v3, 7
	v_and_b32_e32 v2, 1, v0
	s_lshl_b64 s[2:3], s[24:25], 2
	v_lshlrev_b32_e32 v2, 5, v2
	s_add_u32 s2, s22, s2
	v_lshl_or_b32 v2, v1, 6, v2
	v_and_b32_e32 v10, 60, v14
	s_addc_u32 s3, s23, s3
	s_mov_b32 s8, s13
	v_add_u32_e32 v19, 0x50, v2
	v_lshl_add_u64 v[14:15], s[2:3], 0, v[10:11]
	s_mov_b64 s[2:3], 0
	s_mov_b32 s11, 0x7f800000
	s_movk_i32 s13, 0x7fff
	v_mov_b32_e32 v10, 0
	s_branch .LBB316_72
.LBB316_71:                             ;   in Loop: Header=BB316_72 Depth=1
	s_or_b64 exec, exec, s[6:7]
	v_and_b32_e32 v7, 0xffff0000, v6
	v_and_b32_e32 v6, 0xffff0000, v8
	;; [unrolled: 1-line block ×8, first 2 shown]
	v_pk_add_f32 v[2:3], v[4:5], v[8:9]
	v_add_u32_e32 v1, 2, v1
	v_mov_b32_e32 v4, v3
	v_pk_add_f32 v[2:3], v[2:3], v[4:5]
	v_pk_add_f32 v[4:5], v[22:23], v[6:7]
	v_cmp_le_i32_e32 vcc, s19, v1
	v_pk_add_f32 v[2:3], v[2:3], v[4:5]
	v_mov_b32_e32 v4, v5
	v_pk_add_f32 v[2:3], v[2:3], v[4:5]
	v_add_u32_e32 v18, 32, v18
	v_add_f32_e32 v10, v10, v2
	v_add_u32_e32 v19, 0x80, v19
	s_or_b64 s[2:3], vcc, s[2:3]
	v_lshl_add_u64 v[14:15], v[14:15], 0, 8
	s_andn2_b64 exec, exec, s[2:3]
	s_cbranch_execz .LBB316_170
.LBB316_72:                             ; =>This Inner Loop Header: Depth=1
	global_load_dword v24, v[14:15], off
	ds_read2_b64 v[6:9], v19 offset1:1
	ds_read2_b64 v[2:5], v19 offset0:2 offset1:3
                                        ; implicit-def: $vgpr23
	s_waitcnt lgkmcnt(0)
	v_and_b32_e32 v20, 0x7f800000, v6
	v_cmp_ne_u32_e32 vcc, s11, v20
	s_and_saveexec_b64 s[6:7], vcc
	s_xor_b64 s[6:7], exec, s[6:7]
; %bb.73:                               ;   in Loop: Header=BB316_72 Depth=1
	v_bfe_u32 v20, v6, 16, 1
	v_add3_u32 v23, v6, v20, s13
; %bb.74:                               ;   in Loop: Header=BB316_72 Depth=1
	s_andn2_saveexec_b64 s[6:7], s[6:7]
; %bb.75:                               ;   in Loop: Header=BB316_72 Depth=1
	v_or_b32_e32 v20, 0x10000, v6
	v_cmp_eq_u32_sdwa vcc, v6, v11 src0_sel:WORD_0 src1_sel:DWORD
	s_nop 1
	v_cndmask_b32_e32 v23, v20, v6, vcc
; %bb.76:                               ;   in Loop: Header=BB316_72 Depth=1
	s_or_b64 exec, exec, s[6:7]
	v_and_b32_e32 v6, 0x7f800000, v7
	v_cmp_ne_u32_e32 vcc, s11, v6
                                        ; implicit-def: $vgpr22
	s_and_saveexec_b64 s[6:7], vcc
	s_xor_b64 s[6:7], exec, s[6:7]
; %bb.77:                               ;   in Loop: Header=BB316_72 Depth=1
	v_bfe_u32 v6, v7, 16, 1
	v_add3_u32 v22, v7, v6, s13
; %bb.78:                               ;   in Loop: Header=BB316_72 Depth=1
	s_andn2_saveexec_b64 s[6:7], s[6:7]
; %bb.79:                               ;   in Loop: Header=BB316_72 Depth=1
	v_or_b32_e32 v6, 0x10000, v7
	v_cmp_eq_u32_sdwa vcc, v7, v11 src0_sel:WORD_0 src1_sel:DWORD
	s_nop 1
	v_cndmask_b32_e32 v22, v6, v7, vcc
; %bb.80:                               ;   in Loop: Header=BB316_72 Depth=1
	s_or_b64 exec, exec, s[6:7]
	v_and_b32_e32 v6, 0x7f800000, v8
	v_cmp_ne_u32_e32 vcc, s11, v6
                                        ; implicit-def: $vgpr21
	s_and_saveexec_b64 s[6:7], vcc
	s_xor_b64 s[6:7], exec, s[6:7]
; %bb.81:                               ;   in Loop: Header=BB316_72 Depth=1
	v_bfe_u32 v6, v8, 16, 1
	v_add3_u32 v21, v8, v6, s13
; %bb.82:                               ;   in Loop: Header=BB316_72 Depth=1
	s_andn2_saveexec_b64 s[6:7], s[6:7]
; %bb.83:                               ;   in Loop: Header=BB316_72 Depth=1
	v_or_b32_e32 v6, 0x10000, v8
	v_cmp_eq_u32_sdwa vcc, v8, v11 src0_sel:WORD_0 src1_sel:DWORD
	s_nop 1
	v_cndmask_b32_e32 v21, v6, v8, vcc
; %bb.84:                               ;   in Loop: Header=BB316_72 Depth=1
	s_or_b64 exec, exec, s[6:7]
	v_and_b32_e32 v6, 0x7f800000, v9
	v_cmp_ne_u32_e32 vcc, s11, v6
                                        ; implicit-def: $vgpr20
	s_and_saveexec_b64 s[6:7], vcc
	s_xor_b64 s[6:7], exec, s[6:7]
; %bb.85:                               ;   in Loop: Header=BB316_72 Depth=1
	v_bfe_u32 v6, v9, 16, 1
	v_add3_u32 v20, v9, v6, s13
                                        ; implicit-def: $vgpr6_vgpr7_vgpr8_vgpr9
; %bb.86:                               ;   in Loop: Header=BB316_72 Depth=1
	s_andn2_saveexec_b64 s[6:7], s[6:7]
; %bb.87:                               ;   in Loop: Header=BB316_72 Depth=1
	v_or_b32_e32 v6, 0x10000, v9
	v_cmp_eq_u32_sdwa vcc, v9, v11 src0_sel:WORD_0 src1_sel:DWORD
	s_nop 1
	v_cndmask_b32_e32 v20, v6, v9, vcc
; %bb.88:                               ;   in Loop: Header=BB316_72 Depth=1
	s_or_b64 exec, exec, s[6:7]
	v_and_b32_e32 v6, 0x7f800000, v2
	v_cmp_ne_u32_e32 vcc, s11, v6
                                        ; implicit-def: $vgpr9
	s_and_saveexec_b64 s[6:7], vcc
	s_xor_b64 s[6:7], exec, s[6:7]
; %bb.89:                               ;   in Loop: Header=BB316_72 Depth=1
	v_bfe_u32 v6, v2, 16, 1
	v_add3_u32 v9, v2, v6, s13
; %bb.90:                               ;   in Loop: Header=BB316_72 Depth=1
	s_andn2_saveexec_b64 s[6:7], s[6:7]
; %bb.91:                               ;   in Loop: Header=BB316_72 Depth=1
	v_or_b32_e32 v6, 0x10000, v2
	v_cmp_eq_u32_sdwa vcc, v2, v11 src0_sel:WORD_0 src1_sel:DWORD
	s_nop 1
	v_cndmask_b32_e32 v9, v6, v2, vcc
; %bb.92:                               ;   in Loop: Header=BB316_72 Depth=1
	s_or_b64 exec, exec, s[6:7]
	v_and_b32_e32 v2, 0x7f800000, v3
	v_cmp_ne_u32_e32 vcc, s11, v2
                                        ; implicit-def: $vgpr8
	s_and_saveexec_b64 s[6:7], vcc
	s_xor_b64 s[6:7], exec, s[6:7]
; %bb.93:                               ;   in Loop: Header=BB316_72 Depth=1
	v_bfe_u32 v2, v3, 16, 1
	v_add3_u32 v8, v3, v2, s13
; %bb.94:                               ;   in Loop: Header=BB316_72 Depth=1
	s_andn2_saveexec_b64 s[6:7], s[6:7]
; %bb.95:                               ;   in Loop: Header=BB316_72 Depth=1
	v_or_b32_e32 v2, 0x10000, v3
	v_cmp_eq_u32_sdwa vcc, v3, v11 src0_sel:WORD_0 src1_sel:DWORD
	s_nop 1
	v_cndmask_b32_e32 v8, v2, v3, vcc
; %bb.96:                               ;   in Loop: Header=BB316_72 Depth=1
	s_or_b64 exec, exec, s[6:7]
	v_and_b32_e32 v2, 0x7f800000, v4
	v_cmp_ne_u32_e32 vcc, s11, v2
                                        ; implicit-def: $vgpr7
	s_and_saveexec_b64 s[6:7], vcc
	s_xor_b64 s[6:7], exec, s[6:7]
; %bb.97:                               ;   in Loop: Header=BB316_72 Depth=1
	v_bfe_u32 v2, v4, 16, 1
	v_add3_u32 v7, v4, v2, s13
; %bb.98:                               ;   in Loop: Header=BB316_72 Depth=1
	s_andn2_saveexec_b64 s[6:7], s[6:7]
; %bb.99:                               ;   in Loop: Header=BB316_72 Depth=1
	v_or_b32_e32 v2, 0x10000, v4
	v_cmp_eq_u32_sdwa vcc, v4, v11 src0_sel:WORD_0 src1_sel:DWORD
	s_nop 1
	v_cndmask_b32_e32 v7, v2, v4, vcc
; %bb.100:                              ;   in Loop: Header=BB316_72 Depth=1
	s_or_b64 exec, exec, s[6:7]
	v_and_b32_e32 v2, 0x7f800000, v5
	v_cmp_ne_u32_e32 vcc, s11, v2
                                        ; implicit-def: $vgpr6
	s_and_saveexec_b64 s[6:7], vcc
	s_xor_b64 s[6:7], exec, s[6:7]
; %bb.101:                              ;   in Loop: Header=BB316_72 Depth=1
	v_bfe_u32 v2, v5, 16, 1
	v_add3_u32 v6, v5, v2, s13
                                        ; implicit-def: $vgpr2_vgpr3_vgpr4_vgpr5
; %bb.102:                              ;   in Loop: Header=BB316_72 Depth=1
	s_andn2_saveexec_b64 s[6:7], s[6:7]
; %bb.103:                              ;   in Loop: Header=BB316_72 Depth=1
	v_or_b32_e32 v2, 0x10000, v5
	v_cmp_eq_u32_sdwa vcc, v5, v11 src0_sel:WORD_0 src1_sel:DWORD
	s_nop 1
	v_cndmask_b32_e32 v6, v2, v5, vcc
; %bb.104:                              ;   in Loop: Header=BB316_72 Depth=1
	s_or_b64 exec, exec, s[6:7]
	s_waitcnt vmcnt(0)
	v_mad_i64_i32 v[2:3], s[6:7], v24, s8, v[12:13]
	global_load_dwordx2 v[2:3], v[2:3], off
	s_waitcnt vmcnt(0)
	v_and_b32_e32 v4, 0xff, v2
	v_cvt_f32_fp8_sdwa v4, v4 src0_sel:BYTE_0
	s_nop 0
	v_mul_f32_e32 v5, s9, v4
	v_and_b32_e32 v4, 0x7f800000, v5
	v_cmp_ne_u32_e32 vcc, s11, v4
                                        ; implicit-def: $vgpr4
	s_and_saveexec_b64 s[6:7], vcc
	s_xor_b64 s[6:7], exec, s[6:7]
; %bb.105:                              ;   in Loop: Header=BB316_72 Depth=1
	v_bfe_u32 v4, v5, 16, 1
	v_add3_u32 v4, v5, v4, s13
                                        ; implicit-def: $vgpr5
; %bb.106:                              ;   in Loop: Header=BB316_72 Depth=1
	s_andn2_saveexec_b64 s[6:7], s[6:7]
; %bb.107:                              ;   in Loop: Header=BB316_72 Depth=1
	v_or_b32_e32 v4, 0x10000, v5
	v_cmp_eq_u32_sdwa vcc, v5, v11 src0_sel:WORD_0 src1_sel:DWORD
	s_nop 1
	v_cndmask_b32_e32 v4, v4, v5, vcc
; %bb.108:                              ;   in Loop: Header=BB316_72 Depth=1
	s_or_b64 exec, exec, s[6:7]
	v_bfe_u32 v5, v2, 8, 8
	v_cvt_f32_fp8_sdwa v5, v5 src0_sel:BYTE_0
	s_nop 0
	v_mul_f32_e32 v24, s9, v5
	v_and_b32_e32 v5, 0x7f800000, v24
	v_cmp_ne_u32_e32 vcc, s11, v5
                                        ; implicit-def: $vgpr5
	s_and_saveexec_b64 s[6:7], vcc
	s_xor_b64 s[6:7], exec, s[6:7]
; %bb.109:                              ;   in Loop: Header=BB316_72 Depth=1
	v_bfe_u32 v5, v24, 16, 1
	v_add3_u32 v5, v24, v5, s13
                                        ; implicit-def: $vgpr24
; %bb.110:                              ;   in Loop: Header=BB316_72 Depth=1
	s_andn2_saveexec_b64 s[6:7], s[6:7]
; %bb.111:                              ;   in Loop: Header=BB316_72 Depth=1
	v_or_b32_e32 v5, 0x10000, v24
	v_cmp_eq_u32_sdwa vcc, v24, v11 src0_sel:WORD_0 src1_sel:DWORD
	s_nop 1
	v_cndmask_b32_e32 v5, v5, v24, vcc
; %bb.112:                              ;   in Loop: Header=BB316_72 Depth=1
	s_or_b64 exec, exec, s[6:7]
	v_bfe_u32 v24, v2, 16, 8
	v_cvt_f32_fp8_sdwa v24, v24 src0_sel:BYTE_0
                                        ; implicit-def: $vgpr26
	s_nop 0
	v_mul_f32_e32 v24, s9, v24
	v_and_b32_e32 v25, 0x7f800000, v24
	v_cmp_ne_u32_e32 vcc, s11, v25
	s_and_saveexec_b64 s[6:7], vcc
	s_xor_b64 s[6:7], exec, s[6:7]
; %bb.113:                              ;   in Loop: Header=BB316_72 Depth=1
	v_bfe_u32 v25, v24, 16, 1
	v_add3_u32 v26, v24, v25, s13
                                        ; implicit-def: $vgpr24
; %bb.114:                              ;   in Loop: Header=BB316_72 Depth=1
	s_andn2_saveexec_b64 s[6:7], s[6:7]
; %bb.115:                              ;   in Loop: Header=BB316_72 Depth=1
	v_or_b32_e32 v25, 0x10000, v24
	v_cmp_eq_u32_sdwa vcc, v24, v11 src0_sel:WORD_0 src1_sel:DWORD
	s_nop 1
	v_cndmask_b32_e32 v26, v25, v24, vcc
; %bb.116:                              ;   in Loop: Header=BB316_72 Depth=1
	s_or_b64 exec, exec, s[6:7]
	v_lshrrev_b32_e32 v2, 24, v2
	v_cvt_f32_fp8_sdwa v2, v2 src0_sel:BYTE_0
	s_nop 0
	v_mul_f32_e32 v24, s9, v2
	v_and_b32_e32 v2, 0x7f800000, v24
	v_cmp_ne_u32_e32 vcc, s11, v2
                                        ; implicit-def: $vgpr2
	s_and_saveexec_b64 s[6:7], vcc
	s_xor_b64 s[6:7], exec, s[6:7]
; %bb.117:                              ;   in Loop: Header=BB316_72 Depth=1
	v_bfe_u32 v2, v24, 16, 1
	v_add3_u32 v2, v24, v2, s13
                                        ; implicit-def: $vgpr24
; %bb.118:                              ;   in Loop: Header=BB316_72 Depth=1
	s_andn2_saveexec_b64 s[6:7], s[6:7]
; %bb.119:                              ;   in Loop: Header=BB316_72 Depth=1
	v_or_b32_e32 v2, 0x10000, v24
	v_cmp_eq_u32_sdwa vcc, v24, v11 src0_sel:WORD_0 src1_sel:DWORD
	s_nop 1
	v_cndmask_b32_e32 v2, v2, v24, vcc
; %bb.120:                              ;   in Loop: Header=BB316_72 Depth=1
	s_or_b64 exec, exec, s[6:7]
	v_and_b32_e32 v24, 0xff, v3
	v_cvt_f32_fp8_sdwa v24, v24 src0_sel:BYTE_0
	s_nop 0
	v_mul_f32_e32 v24, s9, v24
	v_and_b32_e32 v25, 0x7f800000, v24
	v_cmp_ne_u32_e32 vcc, s11, v25
                                        ; implicit-def: $vgpr25
	s_and_saveexec_b64 s[6:7], vcc
	s_xor_b64 s[6:7], exec, s[6:7]
; %bb.121:                              ;   in Loop: Header=BB316_72 Depth=1
	v_bfe_u32 v25, v24, 16, 1
	v_add3_u32 v25, v24, v25, s13
                                        ; implicit-def: $vgpr24
; %bb.122:                              ;   in Loop: Header=BB316_72 Depth=1
	s_andn2_saveexec_b64 s[6:7], s[6:7]
; %bb.123:                              ;   in Loop: Header=BB316_72 Depth=1
	v_or_b32_e32 v25, 0x10000, v24
	v_cmp_eq_u32_sdwa vcc, v24, v11 src0_sel:WORD_0 src1_sel:DWORD
	s_nop 1
	v_cndmask_b32_e32 v25, v25, v24, vcc
; %bb.124:                              ;   in Loop: Header=BB316_72 Depth=1
	s_or_b64 exec, exec, s[6:7]
	v_bfe_u32 v24, v3, 8, 8
	v_cvt_f32_fp8_sdwa v24, v24 src0_sel:BYTE_0
	s_nop 0
	v_mul_f32_e32 v27, s9, v24
	v_and_b32_e32 v24, 0x7f800000, v27
	v_cmp_ne_u32_e32 vcc, s11, v24
                                        ; implicit-def: $vgpr24
	s_and_saveexec_b64 s[6:7], vcc
	s_xor_b64 s[6:7], exec, s[6:7]
; %bb.125:                              ;   in Loop: Header=BB316_72 Depth=1
	v_bfe_u32 v24, v27, 16, 1
	v_add3_u32 v24, v27, v24, s13
                                        ; implicit-def: $vgpr27
; %bb.126:                              ;   in Loop: Header=BB316_72 Depth=1
	s_andn2_saveexec_b64 s[6:7], s[6:7]
; %bb.127:                              ;   in Loop: Header=BB316_72 Depth=1
	v_or_b32_e32 v24, 0x10000, v27
	v_cmp_eq_u32_sdwa vcc, v27, v11 src0_sel:WORD_0 src1_sel:DWORD
	s_nop 1
	v_cndmask_b32_e32 v24, v24, v27, vcc
; %bb.128:                              ;   in Loop: Header=BB316_72 Depth=1
	s_or_b64 exec, exec, s[6:7]
	v_bfe_u32 v27, v3, 16, 8
	v_cvt_f32_fp8_sdwa v27, v27 src0_sel:BYTE_0
	s_nop 0
	v_mul_f32_e32 v27, s9, v27
	v_and_b32_e32 v28, 0x7f800000, v27
	v_cmp_ne_u32_e32 vcc, s11, v28
                                        ; implicit-def: $vgpr28
	s_and_saveexec_b64 s[6:7], vcc
	s_xor_b64 s[6:7], exec, s[6:7]
; %bb.129:                              ;   in Loop: Header=BB316_72 Depth=1
	v_bfe_u32 v28, v27, 16, 1
	v_add3_u32 v28, v27, v28, s13
                                        ; implicit-def: $vgpr27
; %bb.130:                              ;   in Loop: Header=BB316_72 Depth=1
	s_andn2_saveexec_b64 s[6:7], s[6:7]
; %bb.131:                              ;   in Loop: Header=BB316_72 Depth=1
	v_or_b32_e32 v28, 0x10000, v27
	v_cmp_eq_u32_sdwa vcc, v27, v11 src0_sel:WORD_0 src1_sel:DWORD
	s_nop 1
	v_cndmask_b32_e32 v28, v28, v27, vcc
; %bb.132:                              ;   in Loop: Header=BB316_72 Depth=1
	s_or_b64 exec, exec, s[6:7]
	v_lshrrev_b32_e32 v3, 24, v3
	v_cvt_f32_fp8_sdwa v3, v3 src0_sel:BYTE_0
                                        ; implicit-def: $vgpr29
	s_nop 0
	v_mul_f32_e32 v3, s9, v3
	v_and_b32_e32 v27, 0x7f800000, v3
	v_cmp_ne_u32_e32 vcc, s11, v27
	s_and_saveexec_b64 s[6:7], vcc
	s_xor_b64 s[6:7], exec, s[6:7]
; %bb.133:                              ;   in Loop: Header=BB316_72 Depth=1
	v_bfe_u32 v27, v3, 16, 1
	v_add3_u32 v29, v3, v27, s13
                                        ; implicit-def: $vgpr3
; %bb.134:                              ;   in Loop: Header=BB316_72 Depth=1
	s_andn2_saveexec_b64 s[6:7], s[6:7]
; %bb.135:                              ;   in Loop: Header=BB316_72 Depth=1
	v_or_b32_e32 v27, 0x10000, v3
	v_cmp_eq_u32_sdwa vcc, v3, v11 src0_sel:WORD_0 src1_sel:DWORD
	s_nop 1
	v_cndmask_b32_e32 v29, v27, v3, vcc
; %bb.136:                              ;   in Loop: Header=BB316_72 Depth=1
	s_or_b64 exec, exec, s[6:7]
	v_lshrrev_b32_e32 v24, 16, v24
	v_lshrrev_b32_e32 v25, 16, v25
	;; [unrolled: 1-line block ×8, first 2 shown]
	v_cmp_eq_u32_e32 vcc, s10, v1
	s_and_saveexec_b64 s[6:7], vcc
	s_cbranch_execz .LBB316_138
; %bb.137:                              ;   in Loop: Header=BB316_72 Depth=1
	v_add_u32_e32 v28, -7, v18
	v_cmp_gt_i32_e32 vcc, s17, v28
	v_add_u32_e32 v28, -6, v18
	s_nop 0
	v_cndmask_b32_e32 v3, 0, v3, vcc
	v_cmp_gt_i32_e32 vcc, s17, v28
	v_add_u32_e32 v28, -5, v18
	s_nop 0
	v_cndmask_b32_e32 v5, 0, v5, vcc
	;; [unrolled: 4-line block ×6, first 2 shown]
	v_cmp_gt_i32_e32 vcc, s17, v28
	s_nop 1
	v_cndmask_b32_e32 v4, 0, v4, vcc
	v_cmp_gt_i32_e32 vcc, s17, v18
	s_nop 1
	v_cndmask_b32_e32 v2, 0, v2, vcc
.LBB316_138:                            ;   in Loop: Header=BB316_72 Depth=1
	s_or_b64 exec, exec, s[6:7]
	v_and_b32_e32 v23, 0xffff0000, v23
	v_lshlrev_b32_e32 v3, 16, v3
	v_mul_f32_e32 v23, v23, v3
	v_and_b32_e32 v3, 0x7f800000, v23
	v_cmp_ne_u32_e32 vcc, s11, v3
                                        ; implicit-def: $vgpr3
	s_and_saveexec_b64 s[6:7], vcc
	s_xor_b64 s[6:7], exec, s[6:7]
; %bb.139:                              ;   in Loop: Header=BB316_72 Depth=1
	v_bfe_u32 v3, v23, 16, 1
	v_add3_u32 v3, v23, v3, s13
                                        ; implicit-def: $vgpr23
; %bb.140:                              ;   in Loop: Header=BB316_72 Depth=1
	s_andn2_saveexec_b64 s[6:7], s[6:7]
; %bb.141:                              ;   in Loop: Header=BB316_72 Depth=1
	v_or_b32_e32 v3, 0x10000, v23
	v_cmp_eq_u32_sdwa vcc, v23, v11 src0_sel:WORD_0 src1_sel:DWORD
	s_nop 1
	v_cndmask_b32_e32 v3, v3, v23, vcc
; %bb.142:                              ;   in Loop: Header=BB316_72 Depth=1
	s_or_b64 exec, exec, s[6:7]
	v_and_b32_e32 v22, 0xffff0000, v22
	v_lshlrev_b32_e32 v5, 16, v5
	v_mul_f32_e32 v22, v22, v5
	v_and_b32_e32 v5, 0x7f800000, v22
	v_cmp_ne_u32_e32 vcc, s11, v5
                                        ; implicit-def: $vgpr5
	s_and_saveexec_b64 s[6:7], vcc
	s_xor_b64 s[6:7], exec, s[6:7]
; %bb.143:                              ;   in Loop: Header=BB316_72 Depth=1
	v_bfe_u32 v5, v22, 16, 1
	v_add3_u32 v5, v22, v5, s13
                                        ; implicit-def: $vgpr22
; %bb.144:                              ;   in Loop: Header=BB316_72 Depth=1
	s_andn2_saveexec_b64 s[6:7], s[6:7]
; %bb.145:                              ;   in Loop: Header=BB316_72 Depth=1
	v_or_b32_e32 v5, 0x10000, v22
	v_cmp_eq_u32_sdwa vcc, v22, v11 src0_sel:WORD_0 src1_sel:DWORD
	s_nop 1
	v_cndmask_b32_e32 v5, v5, v22, vcc
; %bb.146:                              ;   in Loop: Header=BB316_72 Depth=1
	s_or_b64 exec, exec, s[6:7]
	v_and_b32_e32 v21, 0xffff0000, v21
	v_lshlrev_b32_e32 v22, 16, v26
	v_mul_f32_e32 v22, v21, v22
	v_and_b32_e32 v21, 0x7f800000, v22
	v_cmp_ne_u32_e32 vcc, s11, v21
                                        ; implicit-def: $vgpr21
	s_and_saveexec_b64 s[6:7], vcc
	s_xor_b64 s[6:7], exec, s[6:7]
; %bb.147:                              ;   in Loop: Header=BB316_72 Depth=1
	v_bfe_u32 v21, v22, 16, 1
	v_add3_u32 v21, v22, v21, s13
                                        ; implicit-def: $vgpr22
; %bb.148:                              ;   in Loop: Header=BB316_72 Depth=1
	s_andn2_saveexec_b64 s[6:7], s[6:7]
; %bb.149:                              ;   in Loop: Header=BB316_72 Depth=1
	v_or_b32_e32 v21, 0x10000, v22
	v_cmp_eq_u32_sdwa vcc, v22, v11 src0_sel:WORD_0 src1_sel:DWORD
	s_nop 1
	v_cndmask_b32_e32 v21, v21, v22, vcc
; %bb.150:                              ;   in Loop: Header=BB316_72 Depth=1
	s_or_b64 exec, exec, s[6:7]
	v_and_b32_e32 v20, 0xffff0000, v20
	v_lshlrev_b32_e32 v22, 16, v27
	v_mul_f32_e32 v22, v20, v22
	v_and_b32_e32 v20, 0x7f800000, v22
	v_cmp_ne_u32_e32 vcc, s11, v20
                                        ; implicit-def: $vgpr20
	s_and_saveexec_b64 s[6:7], vcc
	s_xor_b64 s[6:7], exec, s[6:7]
; %bb.151:                              ;   in Loop: Header=BB316_72 Depth=1
	v_bfe_u32 v20, v22, 16, 1
	v_add3_u32 v20, v22, v20, s13
                                        ; implicit-def: $vgpr22
; %bb.152:                              ;   in Loop: Header=BB316_72 Depth=1
	s_andn2_saveexec_b64 s[6:7], s[6:7]
; %bb.153:                              ;   in Loop: Header=BB316_72 Depth=1
	v_or_b32_e32 v20, 0x10000, v22
	v_cmp_eq_u32_sdwa vcc, v22, v11 src0_sel:WORD_0 src1_sel:DWORD
	s_nop 1
	v_cndmask_b32_e32 v20, v20, v22, vcc
; %bb.154:                              ;   in Loop: Header=BB316_72 Depth=1
	s_or_b64 exec, exec, s[6:7]
	v_and_b32_e32 v9, 0xffff0000, v9
	v_lshlrev_b32_e32 v22, 16, v25
	v_mul_f32_e32 v22, v9, v22
	v_and_b32_e32 v9, 0x7f800000, v22
	v_cmp_ne_u32_e32 vcc, s11, v9
                                        ; implicit-def: $vgpr9
	s_and_saveexec_b64 s[6:7], vcc
	s_xor_b64 s[6:7], exec, s[6:7]
; %bb.155:                              ;   in Loop: Header=BB316_72 Depth=1
	v_bfe_u32 v9, v22, 16, 1
	v_add3_u32 v9, v22, v9, s13
                                        ; implicit-def: $vgpr22
; %bb.156:                              ;   in Loop: Header=BB316_72 Depth=1
	s_andn2_saveexec_b64 s[6:7], s[6:7]
; %bb.157:                              ;   in Loop: Header=BB316_72 Depth=1
	v_or_b32_e32 v9, 0x10000, v22
	v_cmp_eq_u32_sdwa vcc, v22, v11 src0_sel:WORD_0 src1_sel:DWORD
	s_nop 1
	v_cndmask_b32_e32 v9, v9, v22, vcc
; %bb.158:                              ;   in Loop: Header=BB316_72 Depth=1
	s_or_b64 exec, exec, s[6:7]
	v_and_b32_e32 v8, 0xffff0000, v8
	v_lshlrev_b32_e32 v22, 16, v24
	v_mul_f32_e32 v22, v8, v22
	v_and_b32_e32 v8, 0x7f800000, v22
	v_cmp_ne_u32_e32 vcc, s11, v8
                                        ; implicit-def: $vgpr8
	s_and_saveexec_b64 s[6:7], vcc
	s_xor_b64 s[6:7], exec, s[6:7]
; %bb.159:                              ;   in Loop: Header=BB316_72 Depth=1
	v_bfe_u32 v8, v22, 16, 1
	v_add3_u32 v8, v22, v8, s13
                                        ; implicit-def: $vgpr22
; %bb.160:                              ;   in Loop: Header=BB316_72 Depth=1
	s_andn2_saveexec_b64 s[6:7], s[6:7]
; %bb.161:                              ;   in Loop: Header=BB316_72 Depth=1
	v_or_b32_e32 v8, 0x10000, v22
	v_cmp_eq_u32_sdwa vcc, v22, v11 src0_sel:WORD_0 src1_sel:DWORD
	s_nop 1
	v_cndmask_b32_e32 v8, v8, v22, vcc
; %bb.162:                              ;   in Loop: Header=BB316_72 Depth=1
	s_or_b64 exec, exec, s[6:7]
	v_and_b32_e32 v7, 0xffff0000, v7
	v_lshlrev_b32_e32 v4, 16, v4
	v_mul_f32_e32 v7, v7, v4
	v_and_b32_e32 v4, 0x7f800000, v7
	v_cmp_ne_u32_e32 vcc, s11, v4
                                        ; implicit-def: $vgpr4
	s_and_saveexec_b64 s[6:7], vcc
	s_xor_b64 s[6:7], exec, s[6:7]
; %bb.163:                              ;   in Loop: Header=BB316_72 Depth=1
	v_bfe_u32 v4, v7, 16, 1
	v_add3_u32 v4, v7, v4, s13
                                        ; implicit-def: $vgpr7
; %bb.164:                              ;   in Loop: Header=BB316_72 Depth=1
	s_andn2_saveexec_b64 s[6:7], s[6:7]
; %bb.165:                              ;   in Loop: Header=BB316_72 Depth=1
	v_or_b32_e32 v4, 0x10000, v7
	v_cmp_eq_u32_sdwa vcc, v7, v11 src0_sel:WORD_0 src1_sel:DWORD
	s_nop 1
	v_cndmask_b32_e32 v4, v4, v7, vcc
; %bb.166:                              ;   in Loop: Header=BB316_72 Depth=1
	s_or_b64 exec, exec, s[6:7]
	v_and_b32_e32 v6, 0xffff0000, v6
	v_lshlrev_b32_e32 v2, 16, v2
	v_mul_f32_e32 v2, v6, v2
	v_and_b32_e32 v6, 0x7f800000, v2
	v_cmp_ne_u32_e32 vcc, s11, v6
                                        ; implicit-def: $vgpr6
	s_and_saveexec_b64 s[6:7], vcc
	s_xor_b64 s[6:7], exec, s[6:7]
; %bb.167:                              ;   in Loop: Header=BB316_72 Depth=1
	v_bfe_u32 v6, v2, 16, 1
	v_add3_u32 v6, v2, v6, s13
                                        ; implicit-def: $vgpr2
; %bb.168:                              ;   in Loop: Header=BB316_72 Depth=1
	s_andn2_saveexec_b64 s[6:7], s[6:7]
	s_cbranch_execz .LBB316_71
; %bb.169:                              ;   in Loop: Header=BB316_72 Depth=1
	v_or_b32_e32 v6, 0x10000, v2
	v_cmp_eq_u32_sdwa vcc, v2, v11 src0_sel:WORD_0 src1_sel:DWORD
	s_nop 1
	v_cndmask_b32_e32 v6, v6, v2, vcc
	s_branch .LBB316_71
.LBB316_170:
	s_or_b64 exec, exec, s[2:3]
.LBB316_171:
	s_or_b64 exec, exec, s[0:1]
	ds_bpermute_b32 v1, v17, v10
	v_and_b32_e32 v2, 0x3c1, v0
	v_cmp_eq_u32_e32 vcc, 64, v2
	s_waitcnt lgkmcnt(0)
	s_barrier
	v_add_f32_e32 v1, v10, v1
	s_and_saveexec_b64 s[0:1], vcc
	s_cbranch_execz .LBB316_173
; %bb.172:
	v_mov_b32_e32 v3, 0x50
	v_lshl_add_u32 v3, v16, 1, v3
	ds_write_b32 v3, v1
.LBB316_173:
	s_or_b64 exec, exec, s[0:1]
	v_cmp_eq_u32_e32 vcc, 0, v2
	s_waitcnt lgkmcnt(0)
	s_barrier
	s_and_saveexec_b64 s[0:1], vcc
	s_cbranch_execz .LBB316_175
; %bb.174:
	v_mov_b32_e32 v2, 0x50
	v_lshl_add_u32 v2, v0, 1, v2
	ds_read_b32 v2, v2
	s_waitcnt lgkmcnt(0)
	v_add_f32_e32 v1, v1, v2
.LBB316_175:
	s_or_b64 exec, exec, s[0:1]
	s_barrier
	s_and_saveexec_b64 s[0:1], vcc
	s_cbranch_execz .LBB316_181
; %bb.176:
	s_mov_b32 s0, 0x7f800000
	v_and_b32_e32 v2, 0x7f800000, v1
	v_cmp_ne_u32_e32 vcc, s0, v2
                                        ; implicit-def: $vgpr2
	s_and_saveexec_b64 s[0:1], vcc
	s_xor_b64 s[0:1], exec, s[0:1]
; %bb.177:
	v_bfe_u32 v2, v1, 16, 1
	s_movk_i32 s2, 0x7fff
	v_add3_u32 v2, v1, v2, s2
                                        ; implicit-def: $vgpr1
; %bb.178:
	s_andn2_saveexec_b64 s[0:1], s[0:1]
; %bb.179:
	v_mov_b32_e32 v2, 0
	v_or_b32_e32 v3, 0x10000, v1
	v_cmp_eq_u32_sdwa vcc, v1, v2 src0_sel:WORD_0 src1_sel:DWORD
	s_nop 1
	v_cndmask_b32_e32 v2, v3, v1, vcc
; %bb.180:
	s_or_b64 exec, exec, s[0:1]
	s_mul_i32 s0, s16, s12
	s_mul_i32 s0, s0, s5
	s_lshl_b32 s0, s0, 5
	s_ashr_i32 s1, s0, 31
	s_lshl_b64 s[0:1], s[0:1], 1
	s_add_u32 s2, s20, s0
	s_mul_i32 s0, s12, s18
	s_addc_u32 s3, s21, s1
	s_ashr_i32 s1, s0, 31
	s_lshl_b64 s[0:1], s[0:1], 1
	s_add_u32 s2, s2, s0
	s_addc_u32 s3, s3, s1
	s_lshl_b32 s0, s4, 5
	s_ashr_i32 s1, s0, 31
	s_lshl_b64 s[0:1], s[0:1], 1
	s_add_u32 s0, s2, s0
	s_addc_u32 s1, s3, s1
	global_store_short_d16_hi v0, v2, s[0:1]
.LBB316_181:
	s_endpgm
	.section	.rodata,"a",@progbits
	.p2align	6, 0x0
	.amdhsa_kernel _ZN4vllm25paged_attention_v1_kernelI14__hip_bfloat16hLi32ELi16ELi128ELNS_18Fp8KVCacheDataTypeE1ELb0EEEvPT_PKS3_PKT0_S9_ifPKiSB_iPKfiiiSD_SD_iiiii
		.amdhsa_group_segment_fixed_size 80
		.amdhsa_private_segment_fixed_size 0
		.amdhsa_kernarg_size 384
		.amdhsa_user_sgpr_count 2
		.amdhsa_user_sgpr_dispatch_ptr 0
		.amdhsa_user_sgpr_queue_ptr 0
		.amdhsa_user_sgpr_kernarg_segment_ptr 1
		.amdhsa_user_sgpr_dispatch_id 0
		.amdhsa_user_sgpr_kernarg_preload_length 0
		.amdhsa_user_sgpr_kernarg_preload_offset 0
		.amdhsa_user_sgpr_private_segment_size 0
		.amdhsa_uses_dynamic_stack 0
		.amdhsa_enable_private_segment 0
		.amdhsa_system_sgpr_workgroup_id_x 1
		.amdhsa_system_sgpr_workgroup_id_y 1
		.amdhsa_system_sgpr_workgroup_id_z 1
		.amdhsa_system_sgpr_workgroup_info 0
		.amdhsa_system_vgpr_workitem_id 0
		.amdhsa_next_free_vgpr 34
		.amdhsa_next_free_sgpr 40
		.amdhsa_accum_offset 36
		.amdhsa_reserve_vcc 1
		.amdhsa_float_round_mode_32 0
		.amdhsa_float_round_mode_16_64 0
		.amdhsa_float_denorm_mode_32 3
		.amdhsa_float_denorm_mode_16_64 3
		.amdhsa_dx10_clamp 1
		.amdhsa_ieee_mode 1
		.amdhsa_fp16_overflow 0
		.amdhsa_tg_split 0
		.amdhsa_exception_fp_ieee_invalid_op 0
		.amdhsa_exception_fp_denorm_src 0
		.amdhsa_exception_fp_ieee_div_zero 0
		.amdhsa_exception_fp_ieee_overflow 0
		.amdhsa_exception_fp_ieee_underflow 0
		.amdhsa_exception_fp_ieee_inexact 0
		.amdhsa_exception_int_div_zero 0
	.end_amdhsa_kernel
	.section	.text._ZN4vllm25paged_attention_v1_kernelI14__hip_bfloat16hLi32ELi16ELi128ELNS_18Fp8KVCacheDataTypeE1ELb0EEEvPT_PKS3_PKT0_S9_ifPKiSB_iPKfiiiSD_SD_iiiii,"axG",@progbits,_ZN4vllm25paged_attention_v1_kernelI14__hip_bfloat16hLi32ELi16ELi128ELNS_18Fp8KVCacheDataTypeE1ELb0EEEvPT_PKS3_PKT0_S9_ifPKiSB_iPKfiiiSD_SD_iiiii,comdat
.Lfunc_end316:
	.size	_ZN4vllm25paged_attention_v1_kernelI14__hip_bfloat16hLi32ELi16ELi128ELNS_18Fp8KVCacheDataTypeE1ELb0EEEvPT_PKS3_PKT0_S9_ifPKiSB_iPKfiiiSD_SD_iiiii, .Lfunc_end316-_ZN4vllm25paged_attention_v1_kernelI14__hip_bfloat16hLi32ELi16ELi128ELNS_18Fp8KVCacheDataTypeE1ELb0EEEvPT_PKS3_PKT0_S9_ifPKiSB_iPKfiiiSD_SD_iiiii
                                        ; -- End function
	.section	.AMDGPU.csdata,"",@progbits
; Kernel info:
; codeLenInByte = 6156
; NumSgprs: 46
; NumVgprs: 34
; NumAgprs: 0
; TotalNumVgprs: 34
; ScratchSize: 0
; MemoryBound: 0
; FloatMode: 240
; IeeeMode: 1
; LDSByteSize: 80 bytes/workgroup (compile time only)
; SGPRBlocks: 5
; VGPRBlocks: 4
; NumSGPRsForWavesPerEU: 46
; NumVGPRsForWavesPerEU: 34
; AccumOffset: 36
; Occupancy: 8
; WaveLimiterHint : 1
; COMPUTE_PGM_RSRC2:SCRATCH_EN: 0
; COMPUTE_PGM_RSRC2:USER_SGPR: 2
; COMPUTE_PGM_RSRC2:TRAP_HANDLER: 0
; COMPUTE_PGM_RSRC2:TGID_X_EN: 1
; COMPUTE_PGM_RSRC2:TGID_Y_EN: 1
; COMPUTE_PGM_RSRC2:TGID_Z_EN: 1
; COMPUTE_PGM_RSRC2:TIDIG_COMP_CNT: 0
; COMPUTE_PGM_RSRC3_GFX90A:ACCUM_OFFSET: 8
; COMPUTE_PGM_RSRC3_GFX90A:TG_SPLIT: 0
	.section	.text._ZN4vllm25paged_attention_v1_kernelI14__hip_bfloat16hLi64ELi16ELi128ELNS_18Fp8KVCacheDataTypeE1ELb0EEEvPT_PKS3_PKT0_S9_ifPKiSB_iPKfiiiSD_SD_iiiii,"axG",@progbits,_ZN4vllm25paged_attention_v1_kernelI14__hip_bfloat16hLi64ELi16ELi128ELNS_18Fp8KVCacheDataTypeE1ELb0EEEvPT_PKS3_PKT0_S9_ifPKiSB_iPKfiiiSD_SD_iiiii,comdat
	.protected	_ZN4vllm25paged_attention_v1_kernelI14__hip_bfloat16hLi64ELi16ELi128ELNS_18Fp8KVCacheDataTypeE1ELb0EEEvPT_PKS3_PKT0_S9_ifPKiSB_iPKfiiiSD_SD_iiiii ; -- Begin function _ZN4vllm25paged_attention_v1_kernelI14__hip_bfloat16hLi64ELi16ELi128ELNS_18Fp8KVCacheDataTypeE1ELb0EEEvPT_PKS3_PKT0_S9_ifPKiSB_iPKfiiiSD_SD_iiiii
	.globl	_ZN4vllm25paged_attention_v1_kernelI14__hip_bfloat16hLi64ELi16ELi128ELNS_18Fp8KVCacheDataTypeE1ELb0EEEvPT_PKS3_PKT0_S9_ifPKiSB_iPKfiiiSD_SD_iiiii
	.p2align	8
	.type	_ZN4vllm25paged_attention_v1_kernelI14__hip_bfloat16hLi64ELi16ELi128ELNS_18Fp8KVCacheDataTypeE1ELb0EEEvPT_PKS3_PKT0_S9_ifPKiSB_iPKfiiiSD_SD_iiiii,@function
_ZN4vllm25paged_attention_v1_kernelI14__hip_bfloat16hLi64ELi16ELi128ELNS_18Fp8KVCacheDataTypeE1ELb0EEEvPT_PKS3_PKT0_S9_ifPKiSB_iPKfiiiSD_SD_iiiii: ; @_ZN4vllm25paged_attention_v1_kernelI14__hip_bfloat16hLi64ELi16ELi128ELNS_18Fp8KVCacheDataTypeE1ELb0EEEvPT_PKS3_PKT0_S9_ifPKiSB_iPKfiiiSD_SD_iiiii
; %bb.0:
	s_load_dword s5, s[0:1], 0x80
	s_load_dwordx2 s[6:7], s[0:1], 0x30
	s_load_dwordx2 s[28:29], s[0:1], 0x20
	s_mov_b32 s16, s3
	s_ashr_i32 s17, s3, 31
	s_lshl_b64 s[8:9], s[16:17], 2
	s_waitcnt lgkmcnt(0)
	s_add_u32 s6, s6, s8
	s_addc_u32 s7, s7, s9
	s_abs_i32 s3, s28
	v_cvt_f32_u32_e32 v1, s3
	s_sub_i32 s10, 0, s3
	s_abs_i32 s9, s5
	s_xor_b32 s8, s5, s28
	v_rcp_iflag_f32_e32 v1, v1
	s_ashr_i32 s8, s8, 31
	s_mov_b32 s28, 0
	v_mul_f32_e32 v1, 0x4f7ffffe, v1
	v_cvt_u32_f32_e32 v1, v1
	s_nop 0
	v_readfirstlane_b32 s11, v1
	s_mul_i32 s10, s10, s11
	s_mul_hi_u32 s10, s11, s10
	s_add_i32 s11, s11, s10
	s_mul_hi_u32 s10, s9, s11
	s_mul_i32 s11, s10, s3
	s_sub_i32 s9, s9, s11
	s_add_i32 s11, s10, 1
	s_sub_i32 s12, s9, s3
	s_cmp_ge_u32 s9, s3
	s_cselect_b32 s10, s11, s10
	s_cselect_b32 s9, s12, s9
	s_add_i32 s11, s10, 1
	s_cmp_ge_u32 s9, s3
	s_cselect_b32 s3, s11, s10
	s_xor_b32 s3, s3, s8
	s_sub_i32 s18, s3, s8
	s_abs_i32 s10, s18
	v_cvt_f32_u32_e32 v1, s10
	s_load_dwordx2 s[8:9], s[0:1], 0x40
	s_sub_i32 s3, 0, s10
	s_abs_i32 s11, s2
	v_rcp_iflag_f32_e32 v1, v1
	s_nop 0
	v_mul_f32_e32 v1, 0x4f7ffffe, v1
	v_cvt_u32_f32_e32 v1, v1
	s_nop 0
	v_readfirstlane_b32 s12, v1
	s_mul_i32 s3, s3, s12
	s_mul_hi_u32 s3, s12, s3
	s_add_i32 s12, s12, s3
	s_waitcnt lgkmcnt(0)
	s_cmp_eq_u64 s[8:9], 0
	s_mul_hi_u32 s20, s11, s12
	s_cbranch_scc1 .LBB317_2
; %bb.1:
	s_ashr_i32 s3, s2, 31
	s_lshl_b64 s[12:13], s[2:3], 2
	s_add_u32 s8, s8, s12
	s_addc_u32 s9, s9, s13
	s_load_dword s28, s[8:9], 0x0
.LBB317_2:
	s_load_dword s17, s[6:7], 0x0
	s_load_dwordx4 s[12:15], s[0:1], 0x48
	s_ashr_i32 s6, s2, 31
	s_ashr_i32 s7, s18, 31
	v_and_b32_e32 v6, 3, v0
	s_lshl_b32 s18, s2, 6
	v_cmp_gt_u32_e32 vcc, 32, v0
	s_and_saveexec_b64 s[2:3], vcc
	s_cbranch_execz .LBB317_4
; %bb.3:
	s_load_dwordx2 s[8:9], s[0:1], 0x8
	s_waitcnt lgkmcnt(0)
	s_mul_i32 s22, s16, s12
	s_ashr_i32 s23, s22, 31
	s_lshl_b64 s[22:23], s[22:23], 1
	v_lshlrev_b32_e32 v1, 2, v0
	s_add_u32 s12, s8, s22
	s_addc_u32 s15, s9, s23
	s_ashr_i32 s19, s18, 31
	s_lshl_b64 s[8:9], s[18:19], 1
	s_add_u32 s8, s12, s8
	s_addc_u32 s9, s15, s9
	global_load_dword v1, v1, s[8:9]
	v_and_b32_e32 v2, 0x3fc, v0
	v_lshl_add_u32 v2, v6, 5, v2
	s_waitcnt vmcnt(0)
	ds_write_b32 v2, v1
.LBB317_4:
	s_or_b64 exec, exec, s[2:3]
	s_waitcnt lgkmcnt(0)
	s_add_i32 s3, s17, 15
	s_ashr_i32 s8, s3, 31
	s_lshr_b32 s8, s8, 28
	s_add_i32 s3, s3, s8
	s_ashr_i32 s19, s3, 4
	s_xor_b32 s3, s6, s7
	s_mul_i32 s6, s20, s10
	s_sub_i32 s6, s11, s6
	s_add_i32 s7, s20, 1
	s_sub_i32 s8, s6, s10
	s_load_dwordx2 s[22:23], s[0:1], 0x28
	s_load_dword s2, s[0:1], 0x38
	s_cmp_ge_u32 s6, s10
	s_cselect_b32 s7, s7, s20
	s_cselect_b32 s6, s8, s6
	s_add_i32 s8, s7, 1
	s_cmp_ge_u32 s6, s10
	s_cselect_b32 s6, s8, s7
	v_lshrrev_b32_e32 v1, 6, v0
	s_xor_b32 s6, s6, s3
	s_waitcnt lgkmcnt(0)
	s_mul_i32 s24, s16, s2
	s_sub_i32 s33, s6, s3
	s_ashr_i32 s25, s24, 31
	v_cmp_gt_i32_e64 s[6:7], s19, v1
	v_cmp_le_i32_e32 vcc, s19, v1
	v_mbcnt_lo_u32_b32 v7, -1, 0
	s_barrier
	s_waitcnt lgkmcnt(0)
                                        ; implicit-def: $sgpr15
                                        ; implicit-def: $vgpr10
                                        ; implicit-def: $vgpr11
	s_and_saveexec_b64 s[2:3], vcc
	s_xor_b64 s[2:3], exec, s[2:3]
; %bb.5:
	v_mbcnt_hi_u32_b32 v10, -1, v7
	v_and_b32_e32 v2, 64, v10
	v_add_u32_e32 v11, 64, v2
	s_mov_b32 s15, 0xff7fffff
                                        ; implicit-def: $vgpr6
                                        ; implicit-def: $vgpr7
; %bb.6:
	s_or_saveexec_b64 s[30:31], s[2:3]
	s_load_dwordx2 s[20:21], s[0:1], 0x0
	s_load_dwordx2 s[26:27], s[0:1], 0x18
	s_load_dword s12, s[0:1], 0x88
	s_load_dwordx4 s[8:11], s[0:1], 0x58
	v_mov_b32_e32 v29, s15
	s_mul_i32 s33, s33, s14
	v_lshrrev_b32_e32 v16, 4, v0
	s_xor_b64 exec, exec, s[30:31]
	s_cbranch_execz .LBB317_76
; %bb.7:
	v_lshlrev_b32_e32 v12, 5, v6
	ds_read_b128 v[8:11], v12
	ds_read_b128 v[26:29], v12 offset:16
	s_load_dwordx2 s[0:1], s[0:1], 0x10
	s_ashr_i32 s2, s33, 31
	v_bfe_u32 v33, v0, 2, 4
	s_waitcnt lgkmcnt(0)
	v_lshlrev_b32_e32 v17, 16, v10
	v_and_b32_e32 v18, 0xffff0000, v10
	v_mbcnt_hi_u32_b32 v10, -1, v7
	v_and_b32_e32 v7, 64, v10
	v_lshlrev_b32_e32 v19, 16, v11
	v_and_b32_e32 v20, 0xffff0000, v11
	v_add_u32_e32 v11, 64, v7
	v_xor_b32_e32 v7, 2, v10
	v_cmp_lt_i32_e32 vcc, v7, v11
	s_add_u32 s0, s0, s33
	v_lshlrev_b32_e32 v2, 4, v33
	v_cndmask_b32_e32 v7, v10, v7, vcc
	v_lshlrev_b32_e32 v30, 2, v7
	v_xor_b32_e32 v7, 1, v10
	s_addc_u32 s1, s1, s2
	v_mov_b32_e32 v3, 0
	v_cmp_lt_i32_e32 vcc, v7, v11
	s_load_dword s35, s[8:9], 0x0
	v_lshl_add_u64 v[4:5], s[0:1], 0, v[2:3]
	v_lshlrev_b32_e32 v2, 1, v6
	v_cndmask_b32_e32 v7, v10, v7, vcc
	v_cmp_eq_u32_e32 vcc, 0, v6
	s_sub_i32 s36, 1, s17
	v_lshlrev_b32_e32 v6, 2, v33
	s_lshl_b64 s[0:1], s[24:25], 2
	v_lshl_or_b32 v6, v1, 6, v6
	s_add_u32 s0, s22, s0
	v_lshlrev_b32_e32 v31, 2, v7
	v_lshl_or_b32 v32, v1, 4, v33
	v_add_u32_e32 v33, 0x90, v6
	v_and_b32_e32 v6, 60, v16
	v_mov_b32_e32 v7, v3
	s_addc_u32 s1, s23, s1
	s_mov_b32 s34, s13
	v_lshlrev_b32_e32 v12, 16, v8
	v_and_b32_e32 v13, 0xffff0000, v8
	v_lshlrev_b32_e32 v14, 16, v9
	v_and_b32_e32 v15, 0xffff0000, v9
	;; [unrolled: 2-line block ×6, first 2 shown]
	v_cmp_neq_f32_e64 s[2:3], s28, 0
	v_lshl_add_u64 v[6:7], s[0:1], 0, v[6:7]
	s_mov_b64 s[8:9], 0
	v_mov_b32_e32 v29, 0xff7fffff
	s_mov_b32 s37, 0xffff
	s_mov_b32 s38, 0x7f800000
	s_movk_i32 s39, 0x7fff
	v_mov_b32_e32 v34, v1
	s_branch .LBB317_9
.LBB317_8:                              ;   in Loop: Header=BB317_9 Depth=1
	s_or_b64 exec, exec, s[14:15]
	v_add_u32_e32 v34, 2, v34
	v_cmp_le_i32_e64 s[0:1], s19, v34
	v_add_u32_e32 v32, 32, v32
	v_add_u32_e32 v33, 0x80, v33
	s_or_b64 s[8:9], s[0:1], s[8:9]
	v_lshl_add_u64 v[6:7], v[6:7], 0, 8
	s_andn2_b64 exec, exec, s[8:9]
	s_cbranch_execz .LBB317_75
.LBB317_9:                              ; =>This Inner Loop Header: Depth=1
	global_load_dword v8, v[6:7], off
	s_waitcnt vmcnt(0) lgkmcnt(0)
	v_mad_i64_i32 v[8:9], s[0:1], v8, s34, v[4:5]
	v_lshl_add_u64 v[8:9], v[8:9], 0, v[2:3]
	global_load_ushort v36, v[8:9], off
	s_waitcnt vmcnt(0)
	v_and_b32_sdwa v35, s37, v36 dst_sel:DWORD dst_unused:UNUSED_PAD src0_sel:DWORD src1_sel:BYTE_0
	v_cvt_f32_fp8_sdwa v35, v35 src0_sel:BYTE_0
	s_waitcnt lgkmcnt(0)
	v_mul_f32_e32 v37, s35, v35
	v_and_b32_e32 v35, 0x7f800000, v37
	v_cmp_ne_u32_e64 s[0:1], s38, v35
                                        ; implicit-def: $vgpr35
	s_and_saveexec_b64 s[14:15], s[0:1]
	s_xor_b64 s[0:1], exec, s[14:15]
; %bb.10:                               ;   in Loop: Header=BB317_9 Depth=1
	v_bfe_u32 v35, v37, 16, 1
	v_add3_u32 v35, v37, v35, s39
                                        ; implicit-def: $vgpr37
; %bb.11:                               ;   in Loop: Header=BB317_9 Depth=1
	s_andn2_saveexec_b64 s[14:15], s[0:1]
; %bb.12:                               ;   in Loop: Header=BB317_9 Depth=1
	v_or_b32_e32 v35, 0x10000, v37
	v_cmp_eq_u32_sdwa s[0:1], v37, v3 src0_sel:WORD_0 src1_sel:DWORD
	s_nop 1
	v_cndmask_b32_e64 v35, v35, v37, s[0:1]
; %bb.13:                               ;   in Loop: Header=BB317_9 Depth=1
	s_or_b64 exec, exec, s[14:15]
	v_lshrrev_b16_e32 v36, 8, v36
	v_cvt_f32_fp8_sdwa v36, v36 src0_sel:BYTE_0
	s_nop 0
	v_mul_f32_e32 v37, s35, v36
	v_and_b32_e32 v36, 0x7f800000, v37
	v_cmp_ne_u32_e64 s[0:1], s38, v36
                                        ; implicit-def: $vgpr36
	s_and_saveexec_b64 s[14:15], s[0:1]
	s_xor_b64 s[0:1], exec, s[14:15]
; %bb.14:                               ;   in Loop: Header=BB317_9 Depth=1
	v_bfe_u32 v36, v37, 16, 1
	v_add3_u32 v36, v37, v36, s39
                                        ; implicit-def: $vgpr37
; %bb.15:                               ;   in Loop: Header=BB317_9 Depth=1
	s_andn2_saveexec_b64 s[14:15], s[0:1]
; %bb.16:                               ;   in Loop: Header=BB317_9 Depth=1
	v_or_b32_e32 v36, 0x10000, v37
	v_cmp_eq_u32_sdwa s[0:1], v37, v3 src0_sel:WORD_0 src1_sel:DWORD
	s_nop 1
	v_cndmask_b32_e64 v36, v36, v37, s[0:1]
; %bb.17:                               ;   in Loop: Header=BB317_9 Depth=1
	s_or_b64 exec, exec, s[14:15]
	global_load_ushort v38, v[8:9], off offset:8
	s_waitcnt vmcnt(0)
	v_and_b32_sdwa v37, s37, v38 dst_sel:DWORD dst_unused:UNUSED_PAD src0_sel:DWORD src1_sel:BYTE_0
	v_cvt_f32_fp8_sdwa v37, v37 src0_sel:BYTE_0
	s_nop 0
	v_mul_f32_e32 v39, s35, v37
	v_and_b32_e32 v37, 0x7f800000, v39
	v_cmp_ne_u32_e64 s[0:1], s38, v37
                                        ; implicit-def: $vgpr37
	s_and_saveexec_b64 s[14:15], s[0:1]
	s_xor_b64 s[0:1], exec, s[14:15]
; %bb.18:                               ;   in Loop: Header=BB317_9 Depth=1
	v_bfe_u32 v37, v39, 16, 1
	v_add3_u32 v37, v39, v37, s39
                                        ; implicit-def: $vgpr39
; %bb.19:                               ;   in Loop: Header=BB317_9 Depth=1
	s_andn2_saveexec_b64 s[14:15], s[0:1]
; %bb.20:                               ;   in Loop: Header=BB317_9 Depth=1
	v_or_b32_e32 v37, 0x10000, v39
	v_cmp_eq_u32_sdwa s[0:1], v39, v3 src0_sel:WORD_0 src1_sel:DWORD
	s_nop 1
	v_cndmask_b32_e64 v37, v37, v39, s[0:1]
; %bb.21:                               ;   in Loop: Header=BB317_9 Depth=1
	s_or_b64 exec, exec, s[14:15]
	v_lshrrev_b16_e32 v38, 8, v38
	v_cvt_f32_fp8_sdwa v38, v38 src0_sel:BYTE_0
	s_nop 0
	v_mul_f32_e32 v39, s35, v38
	v_and_b32_e32 v38, 0x7f800000, v39
	v_cmp_ne_u32_e64 s[0:1], s38, v38
                                        ; implicit-def: $vgpr38
	s_and_saveexec_b64 s[14:15], s[0:1]
	s_xor_b64 s[0:1], exec, s[14:15]
; %bb.22:                               ;   in Loop: Header=BB317_9 Depth=1
	v_bfe_u32 v38, v39, 16, 1
	v_add3_u32 v38, v39, v38, s39
                                        ; implicit-def: $vgpr39
; %bb.23:                               ;   in Loop: Header=BB317_9 Depth=1
	s_andn2_saveexec_b64 s[14:15], s[0:1]
; %bb.24:                               ;   in Loop: Header=BB317_9 Depth=1
	v_or_b32_e32 v38, 0x10000, v39
	v_cmp_eq_u32_sdwa s[0:1], v39, v3 src0_sel:WORD_0 src1_sel:DWORD
	s_nop 1
	v_cndmask_b32_e64 v38, v38, v39, s[0:1]
; %bb.25:                               ;   in Loop: Header=BB317_9 Depth=1
	s_or_b64 exec, exec, s[14:15]
	global_load_ushort v40, v[8:9], off offset:256
	s_waitcnt vmcnt(0)
	v_and_b32_sdwa v39, s37, v40 dst_sel:DWORD dst_unused:UNUSED_PAD src0_sel:DWORD src1_sel:BYTE_0
	v_cvt_f32_fp8_sdwa v39, v39 src0_sel:BYTE_0
	s_nop 0
	v_mul_f32_e32 v41, s35, v39
	v_and_b32_e32 v39, 0x7f800000, v41
	v_cmp_ne_u32_e64 s[0:1], s38, v39
                                        ; implicit-def: $vgpr39
	s_and_saveexec_b64 s[14:15], s[0:1]
	s_xor_b64 s[0:1], exec, s[14:15]
; %bb.26:                               ;   in Loop: Header=BB317_9 Depth=1
	v_bfe_u32 v39, v41, 16, 1
	v_add3_u32 v39, v41, v39, s39
                                        ; implicit-def: $vgpr41
; %bb.27:                               ;   in Loop: Header=BB317_9 Depth=1
	s_andn2_saveexec_b64 s[14:15], s[0:1]
; %bb.28:                               ;   in Loop: Header=BB317_9 Depth=1
	v_or_b32_e32 v39, 0x10000, v41
	v_cmp_eq_u32_sdwa s[0:1], v41, v3 src0_sel:WORD_0 src1_sel:DWORD
	s_nop 1
	v_cndmask_b32_e64 v39, v39, v41, s[0:1]
; %bb.29:                               ;   in Loop: Header=BB317_9 Depth=1
	s_or_b64 exec, exec, s[14:15]
	v_lshrrev_b16_e32 v40, 8, v40
	v_cvt_f32_fp8_sdwa v40, v40 src0_sel:BYTE_0
	s_nop 0
	v_mul_f32_e32 v41, s35, v40
	v_and_b32_e32 v40, 0x7f800000, v41
	v_cmp_ne_u32_e64 s[0:1], s38, v40
                                        ; implicit-def: $vgpr40
	s_and_saveexec_b64 s[14:15], s[0:1]
	s_xor_b64 s[0:1], exec, s[14:15]
; %bb.30:                               ;   in Loop: Header=BB317_9 Depth=1
	v_bfe_u32 v40, v41, 16, 1
	v_add3_u32 v40, v41, v40, s39
                                        ; implicit-def: $vgpr41
; %bb.31:                               ;   in Loop: Header=BB317_9 Depth=1
	s_andn2_saveexec_b64 s[14:15], s[0:1]
; %bb.32:                               ;   in Loop: Header=BB317_9 Depth=1
	v_or_b32_e32 v40, 0x10000, v41
	v_cmp_eq_u32_sdwa s[0:1], v41, v3 src0_sel:WORD_0 src1_sel:DWORD
	s_nop 1
	v_cndmask_b32_e64 v40, v40, v41, s[0:1]
; %bb.33:                               ;   in Loop: Header=BB317_9 Depth=1
	s_or_b64 exec, exec, s[14:15]
	global_load_ushort v42, v[8:9], off offset:264
	s_waitcnt vmcnt(0)
	v_and_b32_sdwa v41, s37, v42 dst_sel:DWORD dst_unused:UNUSED_PAD src0_sel:DWORD src1_sel:BYTE_0
	v_cvt_f32_fp8_sdwa v41, v41 src0_sel:BYTE_0
	s_nop 0
	v_mul_f32_e32 v43, s35, v41
	v_and_b32_e32 v41, 0x7f800000, v43
	v_cmp_ne_u32_e64 s[0:1], s38, v41
                                        ; implicit-def: $vgpr41
	s_and_saveexec_b64 s[14:15], s[0:1]
	s_xor_b64 s[0:1], exec, s[14:15]
; %bb.34:                               ;   in Loop: Header=BB317_9 Depth=1
	v_bfe_u32 v41, v43, 16, 1
	v_add3_u32 v41, v43, v41, s39
                                        ; implicit-def: $vgpr43
; %bb.35:                               ;   in Loop: Header=BB317_9 Depth=1
	s_andn2_saveexec_b64 s[14:15], s[0:1]
; %bb.36:                               ;   in Loop: Header=BB317_9 Depth=1
	v_or_b32_e32 v41, 0x10000, v43
	v_cmp_eq_u32_sdwa s[0:1], v43, v3 src0_sel:WORD_0 src1_sel:DWORD
	s_nop 1
	v_cndmask_b32_e64 v41, v41, v43, s[0:1]
; %bb.37:                               ;   in Loop: Header=BB317_9 Depth=1
	s_or_b64 exec, exec, s[14:15]
	v_lshrrev_b16_e32 v42, 8, v42
	v_cvt_f32_fp8_sdwa v42, v42 src0_sel:BYTE_0
	s_nop 0
	v_mul_f32_e32 v43, s35, v42
	v_and_b32_e32 v42, 0x7f800000, v43
	v_cmp_ne_u32_e64 s[0:1], s38, v42
                                        ; implicit-def: $vgpr42
	s_and_saveexec_b64 s[14:15], s[0:1]
	s_xor_b64 s[0:1], exec, s[14:15]
; %bb.38:                               ;   in Loop: Header=BB317_9 Depth=1
	v_bfe_u32 v42, v43, 16, 1
	v_add3_u32 v42, v43, v42, s39
                                        ; implicit-def: $vgpr43
; %bb.39:                               ;   in Loop: Header=BB317_9 Depth=1
	s_andn2_saveexec_b64 s[14:15], s[0:1]
; %bb.40:                               ;   in Loop: Header=BB317_9 Depth=1
	v_or_b32_e32 v42, 0x10000, v43
	v_cmp_eq_u32_sdwa s[0:1], v43, v3 src0_sel:WORD_0 src1_sel:DWORD
	s_nop 1
	v_cndmask_b32_e64 v42, v42, v43, s[0:1]
; %bb.41:                               ;   in Loop: Header=BB317_9 Depth=1
	s_or_b64 exec, exec, s[14:15]
	global_load_ushort v44, v[8:9], off offset:512
	s_waitcnt vmcnt(0)
	v_and_b32_sdwa v43, s37, v44 dst_sel:DWORD dst_unused:UNUSED_PAD src0_sel:DWORD src1_sel:BYTE_0
	v_cvt_f32_fp8_sdwa v43, v43 src0_sel:BYTE_0
	s_nop 0
	v_mul_f32_e32 v45, s35, v43
	v_and_b32_e32 v43, 0x7f800000, v45
	v_cmp_ne_u32_e64 s[0:1], s38, v43
                                        ; implicit-def: $vgpr43
	s_and_saveexec_b64 s[14:15], s[0:1]
	s_xor_b64 s[0:1], exec, s[14:15]
; %bb.42:                               ;   in Loop: Header=BB317_9 Depth=1
	v_bfe_u32 v43, v45, 16, 1
	v_add3_u32 v43, v45, v43, s39
                                        ; implicit-def: $vgpr45
; %bb.43:                               ;   in Loop: Header=BB317_9 Depth=1
	s_andn2_saveexec_b64 s[14:15], s[0:1]
; %bb.44:                               ;   in Loop: Header=BB317_9 Depth=1
	v_or_b32_e32 v43, 0x10000, v45
	v_cmp_eq_u32_sdwa s[0:1], v45, v3 src0_sel:WORD_0 src1_sel:DWORD
	s_nop 1
	v_cndmask_b32_e64 v43, v43, v45, s[0:1]
; %bb.45:                               ;   in Loop: Header=BB317_9 Depth=1
	s_or_b64 exec, exec, s[14:15]
	v_lshrrev_b16_e32 v44, 8, v44
	v_cvt_f32_fp8_sdwa v44, v44 src0_sel:BYTE_0
	s_nop 0
	v_mul_f32_e32 v45, s35, v44
	v_and_b32_e32 v44, 0x7f800000, v45
	v_cmp_ne_u32_e64 s[0:1], s38, v44
                                        ; implicit-def: $vgpr44
	s_and_saveexec_b64 s[14:15], s[0:1]
	s_xor_b64 s[0:1], exec, s[14:15]
; %bb.46:                               ;   in Loop: Header=BB317_9 Depth=1
	v_bfe_u32 v44, v45, 16, 1
	v_add3_u32 v44, v45, v44, s39
                                        ; implicit-def: $vgpr45
; %bb.47:                               ;   in Loop: Header=BB317_9 Depth=1
	s_andn2_saveexec_b64 s[14:15], s[0:1]
; %bb.48:                               ;   in Loop: Header=BB317_9 Depth=1
	v_or_b32_e32 v44, 0x10000, v45
	v_cmp_eq_u32_sdwa s[0:1], v45, v3 src0_sel:WORD_0 src1_sel:DWORD
	s_nop 1
	v_cndmask_b32_e64 v44, v44, v45, s[0:1]
; %bb.49:                               ;   in Loop: Header=BB317_9 Depth=1
	s_or_b64 exec, exec, s[14:15]
	global_load_ushort v46, v[8:9], off offset:520
	s_waitcnt vmcnt(0)
	v_and_b32_sdwa v45, s37, v46 dst_sel:DWORD dst_unused:UNUSED_PAD src0_sel:DWORD src1_sel:BYTE_0
	v_cvt_f32_fp8_sdwa v45, v45 src0_sel:BYTE_0
	s_nop 0
	v_mul_f32_e32 v47, s35, v45
	v_and_b32_e32 v45, 0x7f800000, v47
	v_cmp_ne_u32_e64 s[0:1], s38, v45
                                        ; implicit-def: $vgpr45
	s_and_saveexec_b64 s[14:15], s[0:1]
	s_xor_b64 s[0:1], exec, s[14:15]
; %bb.50:                               ;   in Loop: Header=BB317_9 Depth=1
	v_bfe_u32 v45, v47, 16, 1
	v_add3_u32 v45, v47, v45, s39
                                        ; implicit-def: $vgpr47
; %bb.51:                               ;   in Loop: Header=BB317_9 Depth=1
	s_andn2_saveexec_b64 s[14:15], s[0:1]
; %bb.52:                               ;   in Loop: Header=BB317_9 Depth=1
	v_or_b32_e32 v45, 0x10000, v47
	v_cmp_eq_u32_sdwa s[0:1], v47, v3 src0_sel:WORD_0 src1_sel:DWORD
	s_nop 1
	v_cndmask_b32_e64 v45, v45, v47, s[0:1]
; %bb.53:                               ;   in Loop: Header=BB317_9 Depth=1
	s_or_b64 exec, exec, s[14:15]
	v_lshrrev_b16_e32 v46, 8, v46
	v_cvt_f32_fp8_sdwa v46, v46 src0_sel:BYTE_0
	s_nop 0
	v_mul_f32_e32 v47, s35, v46
	v_and_b32_e32 v46, 0x7f800000, v47
	v_cmp_ne_u32_e64 s[0:1], s38, v46
                                        ; implicit-def: $vgpr46
	s_and_saveexec_b64 s[14:15], s[0:1]
	s_xor_b64 s[0:1], exec, s[14:15]
; %bb.54:                               ;   in Loop: Header=BB317_9 Depth=1
	v_bfe_u32 v46, v47, 16, 1
	v_add3_u32 v46, v47, v46, s39
                                        ; implicit-def: $vgpr47
; %bb.55:                               ;   in Loop: Header=BB317_9 Depth=1
	s_andn2_saveexec_b64 s[14:15], s[0:1]
; %bb.56:                               ;   in Loop: Header=BB317_9 Depth=1
	v_or_b32_e32 v46, 0x10000, v47
	v_cmp_eq_u32_sdwa s[0:1], v47, v3 src0_sel:WORD_0 src1_sel:DWORD
	s_nop 1
	v_cndmask_b32_e64 v46, v46, v47, s[0:1]
; %bb.57:                               ;   in Loop: Header=BB317_9 Depth=1
	s_or_b64 exec, exec, s[14:15]
	global_load_ushort v48, v[8:9], off offset:768
	s_waitcnt vmcnt(0)
	v_and_b32_sdwa v47, s37, v48 dst_sel:DWORD dst_unused:UNUSED_PAD src0_sel:DWORD src1_sel:BYTE_0
	v_cvt_f32_fp8_sdwa v47, v47 src0_sel:BYTE_0
	s_nop 0
	v_mul_f32_e32 v49, s35, v47
	v_and_b32_e32 v47, 0x7f800000, v49
	v_cmp_ne_u32_e64 s[0:1], s38, v47
                                        ; implicit-def: $vgpr47
	s_and_saveexec_b64 s[14:15], s[0:1]
	s_xor_b64 s[0:1], exec, s[14:15]
; %bb.58:                               ;   in Loop: Header=BB317_9 Depth=1
	v_bfe_u32 v47, v49, 16, 1
	v_add3_u32 v47, v49, v47, s39
                                        ; implicit-def: $vgpr49
; %bb.59:                               ;   in Loop: Header=BB317_9 Depth=1
	s_andn2_saveexec_b64 s[14:15], s[0:1]
; %bb.60:                               ;   in Loop: Header=BB317_9 Depth=1
	v_or_b32_e32 v47, 0x10000, v49
	v_cmp_eq_u32_sdwa s[0:1], v49, v3 src0_sel:WORD_0 src1_sel:DWORD
	s_nop 1
	v_cndmask_b32_e64 v47, v47, v49, s[0:1]
; %bb.61:                               ;   in Loop: Header=BB317_9 Depth=1
	s_or_b64 exec, exec, s[14:15]
	v_lshrrev_b16_e32 v48, 8, v48
	v_cvt_f32_fp8_sdwa v48, v48 src0_sel:BYTE_0
	s_nop 0
	v_mul_f32_e32 v49, s35, v48
	v_and_b32_e32 v48, 0x7f800000, v49
	v_cmp_ne_u32_e64 s[0:1], s38, v48
                                        ; implicit-def: $vgpr48
	s_and_saveexec_b64 s[14:15], s[0:1]
	s_xor_b64 s[0:1], exec, s[14:15]
; %bb.62:                               ;   in Loop: Header=BB317_9 Depth=1
	v_bfe_u32 v48, v49, 16, 1
	v_add3_u32 v48, v49, v48, s39
                                        ; implicit-def: $vgpr49
; %bb.63:                               ;   in Loop: Header=BB317_9 Depth=1
	s_andn2_saveexec_b64 s[14:15], s[0:1]
; %bb.64:                               ;   in Loop: Header=BB317_9 Depth=1
	v_or_b32_e32 v48, 0x10000, v49
	v_cmp_eq_u32_sdwa s[0:1], v49, v3 src0_sel:WORD_0 src1_sel:DWORD
	s_nop 1
	v_cndmask_b32_e64 v48, v48, v49, s[0:1]
; %bb.65:                               ;   in Loop: Header=BB317_9 Depth=1
	s_or_b64 exec, exec, s[14:15]
	global_load_ushort v9, v[8:9], off offset:776
	s_waitcnt vmcnt(0)
	v_and_b32_sdwa v8, s37, v9 dst_sel:DWORD dst_unused:UNUSED_PAD src0_sel:DWORD src1_sel:BYTE_0
	v_cvt_f32_fp8_sdwa v8, v8 src0_sel:BYTE_0
	s_nop 0
	v_mul_f32_e32 v49, s35, v8
	v_and_b32_e32 v8, 0x7f800000, v49
	v_cmp_ne_u32_e64 s[0:1], s38, v8
                                        ; implicit-def: $vgpr8
	s_and_saveexec_b64 s[14:15], s[0:1]
	s_xor_b64 s[0:1], exec, s[14:15]
; %bb.66:                               ;   in Loop: Header=BB317_9 Depth=1
	v_bfe_u32 v8, v49, 16, 1
	v_add3_u32 v8, v49, v8, s39
                                        ; implicit-def: $vgpr49
; %bb.67:                               ;   in Loop: Header=BB317_9 Depth=1
	s_andn2_saveexec_b64 s[14:15], s[0:1]
; %bb.68:                               ;   in Loop: Header=BB317_9 Depth=1
	v_or_b32_e32 v8, 0x10000, v49
	v_cmp_eq_u32_sdwa s[0:1], v49, v3 src0_sel:WORD_0 src1_sel:DWORD
	s_nop 1
	v_cndmask_b32_e64 v8, v8, v49, s[0:1]
; %bb.69:                               ;   in Loop: Header=BB317_9 Depth=1
	s_or_b64 exec, exec, s[14:15]
	v_lshrrev_b16_e32 v9, 8, v9
	v_cvt_f32_fp8_sdwa v9, v9 src0_sel:BYTE_0
	s_nop 0
	v_mul_f32_e32 v49, s35, v9
	v_and_b32_e32 v9, 0x7f800000, v49
	v_cmp_ne_u32_e64 s[0:1], s38, v9
                                        ; implicit-def: $vgpr9
	s_and_saveexec_b64 s[14:15], s[0:1]
	s_xor_b64 s[0:1], exec, s[14:15]
; %bb.70:                               ;   in Loop: Header=BB317_9 Depth=1
	v_bfe_u32 v9, v49, 16, 1
	v_add3_u32 v9, v49, v9, s39
                                        ; implicit-def: $vgpr49
; %bb.71:                               ;   in Loop: Header=BB317_9 Depth=1
	s_andn2_saveexec_b64 s[14:15], s[0:1]
; %bb.72:                               ;   in Loop: Header=BB317_9 Depth=1
	v_or_b32_e32 v9, 0x10000, v49
	v_cmp_eq_u32_sdwa s[0:1], v49, v3 src0_sel:WORD_0 src1_sel:DWORD
	s_nop 1
	v_cndmask_b32_e64 v9, v9, v49, s[0:1]
; %bb.73:                               ;   in Loop: Header=BB317_9 Depth=1
	s_or_b64 exec, exec, s[14:15]
	v_and_b32_e32 v37, 0xffff0000, v37
	v_and_b32_e32 v38, 0xffff0000, v38
	;; [unrolled: 1-line block ×3, first 2 shown]
	v_mul_f32_e32 v37, v14, v37
	v_and_b32_e32 v36, 0xffff0000, v36
	v_fmac_f32_e32 v37, v12, v35
	v_mul_f32_e32 v35, v15, v38
	v_and_b32_e32 v40, 0xffff0000, v40
	v_and_b32_e32 v39, 0xffff0000, v39
	v_fmac_f32_e32 v35, v13, v36
	v_and_b32_e32 v42, 0xffff0000, v42
	v_and_b32_e32 v41, 0xffff0000, v41
	v_fmac_f32_e32 v37, v17, v39
	v_fmac_f32_e32 v35, v18, v40
	v_and_b32_e32 v44, 0xffff0000, v44
	v_and_b32_e32 v43, 0xffff0000, v43
	v_fmac_f32_e32 v37, v19, v41
	;; [unrolled: 4-line block ×5, first 2 shown]
	v_fmac_f32_e32 v35, v26, v48
	v_fmac_f32_e32 v37, v27, v8
	v_fmac_f32_e32 v35, v28, v9
	v_add_f32_e32 v8, v37, v35
	ds_bpermute_b32 v9, v30, v8
	s_waitcnt lgkmcnt(0)
	v_add_f32_e32 v8, v8, v9
	ds_bpermute_b32 v9, v31, v8
	s_and_saveexec_b64 s[14:15], vcc
	s_cbranch_execz .LBB317_8
; %bb.74:                               ;   in Loop: Header=BB317_9 Depth=1
	v_add_u32_e32 v35, s36, v32
	v_cvt_f32_i32_e32 v35, v35
	s_waitcnt lgkmcnt(0)
	v_add_f32_e32 v8, v8, v9
	v_cmp_gt_i32_e64 s[0:1], s17, v32
	v_max_f32_e32 v9, v29, v29
	v_mul_f32_e32 v35, s28, v35
	v_cndmask_b32_e64 v35, 0, v35, s[2:3]
	v_fmac_f32_e32 v35, s29, v8
	v_cndmask_b32_e64 v8, 0, v35, s[0:1]
	ds_write_b32 v33, v8
	v_max_f32_e32 v8, v9, v35
	v_cndmask_b32_e64 v29, v29, v8, s[0:1]
	s_branch .LBB317_8
.LBB317_75:
	s_or_b64 exec, exec, s[8:9]
.LBB317_76:
	s_or_b64 exec, exec, s[30:31]
	v_xor_b32_e32 v2, 32, v10
	v_cmp_lt_i32_e32 vcc, v2, v11
	v_xor_b32_e32 v5, 16, v10
	v_max_f32_e32 v4, v29, v29
	v_cndmask_b32_e32 v2, v10, v2, vcc
	v_lshlrev_b32_e32 v2, 2, v2
	ds_bpermute_b32 v3, v2, v29
	v_cmp_lt_i32_e32 vcc, v5, v11
	v_xor_b32_e32 v6, 8, v10
	v_xor_b32_e32 v7, 4, v10
	v_and_b32_e32 v18, 63, v0
	s_waitcnt lgkmcnt(0)
	v_max_f32_e32 v3, v3, v3
	v_max_f32_e32 v4, v4, v3
	v_cndmask_b32_e32 v3, v10, v5, vcc
	v_lshlrev_b32_e32 v3, 2, v3
	ds_bpermute_b32 v5, v3, v4
	v_cmp_lt_i32_e32 vcc, v6, v11
	s_waitcnt lgkmcnt(0)
	v_max_f32_e32 v5, v5, v5
	v_max_f32_e32 v4, v4, v5
	v_cndmask_b32_e32 v5, v10, v6, vcc
	v_lshlrev_b32_e32 v6, 2, v5
	ds_bpermute_b32 v5, v6, v4
	v_cmp_lt_i32_e32 vcc, v7, v11
	s_waitcnt lgkmcnt(0)
	v_max_f32_e32 v5, v5, v5
	v_max_f32_e32 v5, v4, v5
	v_cndmask_b32_e32 v4, v10, v7, vcc
	v_lshlrev_b32_e32 v7, 2, v4
	ds_bpermute_b32 v8, v7, v5
	v_cmp_eq_u32_e32 vcc, 0, v18
	v_lshlrev_b32_e32 v4, 2, v1
	s_and_saveexec_b64 s[0:1], vcc
	s_cbranch_execz .LBB317_78
; %bb.77:
	s_waitcnt lgkmcnt(0)
	v_max_f32_e32 v8, v8, v8
	v_max_f32_e32 v5, v5, v5
	;; [unrolled: 1-line block ×3, first 2 shown]
	ds_write_b32 v4, v5 offset:128
.LBB317_78:
	s_or_b64 exec, exec, s[0:1]
	v_cmp_gt_u32_e64 s[0:1], 2, v18
	s_waitcnt lgkmcnt(0)
	v_mov_b32_e32 v8, 0xff7fffff
	v_lshlrev_b32_e32 v5, 2, v18
	s_barrier
	s_and_saveexec_b64 s[2:3], s[0:1]
	s_cbranch_execz .LBB317_80
; %bb.79:
	ds_read_b32 v8, v5 offset:128
.LBB317_80:
	s_or_b64 exec, exec, s[2:3]
	v_xor_b32_e32 v9, 1, v10
	v_cmp_lt_i32_e64 s[2:3], v9, v11
	v_lshlrev_b32_e32 v12, 2, v10
	s_nop 0
	v_cndmask_b32_e64 v9, v10, v9, s[2:3]
	v_lshlrev_b32_e32 v19, 2, v9
	s_waitcnt lgkmcnt(0)
	ds_bpermute_b32 v9, v19, v8
	v_max_f32_e32 v8, v8, v8
	s_lshl_b32 s2, s19, 4
	s_min_i32 s30, s2, s17
	v_cmp_gt_i32_e64 s[2:3], s30, v0
	s_waitcnt lgkmcnt(0)
	v_max_f32_e32 v9, v9, v9
	v_max_f32_e32 v9, v8, v9
	v_and_b32_e32 v8, 0xffffff00, v12
	ds_bpermute_b32 v12, v8, v9
	v_mov_b32_e32 v9, 0
	s_and_saveexec_b64 s[14:15], s[2:3]
	s_cbranch_execz .LBB317_84
; %bb.81:
	v_mov_b32_e32 v9, 0x90
	v_lshl_add_u32 v13, v0, 2, v9
	s_mov_b64 s[28:29], 0
	v_mov_b32_e32 v9, 0
	v_mov_b32_e32 v14, v0
.LBB317_82:                             ; =>This Inner Loop Header: Depth=1
	ds_read_b32 v15, v13
	v_add_u32_e32 v14, 0x80, v14
	v_cmp_le_i32_e64 s[8:9], s30, v14
	s_or_b64 s[28:29], s[8:9], s[28:29]
	s_waitcnt lgkmcnt(0)
	v_sub_f32_e32 v15, v15, v12
	v_mul_f32_e32 v15, 0x3fb8aa3b, v15
	v_exp_f32_e32 v15, v15
	ds_write_b32 v13, v15
	v_add_f32_e32 v9, v9, v15
	v_add_u32_e32 v13, 0x200, v13
	s_andn2_b64 exec, exec, s[28:29]
	s_cbranch_execnz .LBB317_82
; %bb.83:
	s_or_b64 exec, exec, s[28:29]
.LBB317_84:
	s_or_b64 exec, exec, s[14:15]
	ds_bpermute_b32 v2, v2, v9
	s_waitcnt lgkmcnt(0)
	v_add_f32_e32 v2, v9, v2
	ds_bpermute_b32 v3, v3, v2
	s_waitcnt lgkmcnt(0)
	v_add_f32_e32 v2, v2, v3
	ds_bpermute_b32 v3, v6, v2
	v_xor_b32_e32 v6, 2, v10
	v_cmp_lt_i32_e64 s[8:9], v6, v11
	s_waitcnt lgkmcnt(0)
	v_add_f32_e32 v2, v2, v3
	ds_bpermute_b32 v3, v7, v2
	v_cndmask_b32_e64 v6, v10, v6, s[8:9]
	s_waitcnt lgkmcnt(0)
	v_add_f32_e32 v2, v2, v3
	v_lshlrev_b32_e32 v3, 2, v6
	ds_bpermute_b32 v3, v3, v2
	s_waitcnt lgkmcnt(0)
	v_add_f32_e32 v2, v2, v3
	ds_bpermute_b32 v3, v19, v2
	s_waitcnt lgkmcnt(0)
	v_add_f32_e32 v2, v2, v3
	s_and_saveexec_b64 s[8:9], vcc
	s_cbranch_execz .LBB317_86
; %bb.85:
	ds_write_b32 v4, v2 offset:136
.LBB317_86:
	s_or_b64 exec, exec, s[8:9]
	s_waitcnt lgkmcnt(0)
	s_barrier
	s_and_saveexec_b64 s[8:9], s[0:1]
	s_cbranch_execz .LBB317_88
; %bb.87:
	ds_read_b32 v2, v5 offset:136
.LBB317_88:
	s_or_b64 exec, exec, s[8:9]
	s_waitcnt lgkmcnt(0)
	ds_bpermute_b32 v3, v19, v2
	s_waitcnt lgkmcnt(0)
	v_add_f32_e32 v2, v2, v3
	ds_bpermute_b32 v2, v8, v2
	s_and_saveexec_b64 s[0:1], s[2:3]
	s_cbranch_execz .LBB317_101
; %bb.89:
	s_waitcnt lgkmcnt(0)
	v_add_f32_e32 v2, 0x358637bd, v2
	v_div_scale_f32 v3, s[2:3], v2, v2, 1.0
	v_rcp_f32_e32 v4, v3
	v_div_scale_f32 v5, vcc, 1.0, v2, 1.0
	s_movk_i32 s2, 0x7f
	v_fma_f32 v6, -v3, v4, 1.0
	v_fmac_f32_e32 v4, v6, v4
	v_mul_f32_e32 v6, v5, v4
	v_fma_f32 v7, -v3, v6, v5
	v_fmac_f32_e32 v6, v7, v4
	v_fma_f32 v3, -v3, v6, v5
	v_div_fmas_f32 v3, v3, v4, v6
	v_xad_u32 v4, v0, -1, s30
	v_div_fixup_f32 v2, v3, v2, 1.0
	v_cmp_lt_u32_e32 vcc, s2, v4
	s_mov_b64 s[8:9], -1
	v_mov_b32_e32 v3, v0
	s_and_saveexec_b64 s[2:3], vcc
	s_cbranch_execz .LBB317_98
; %bb.90:
	v_lshrrev_b32_e32 v4, 7, v4
	v_add_u32_e32 v6, -1, v4
	v_lshrrev_b32_e32 v5, 1, v6
	v_mov_b32_e32 v3, v2
	v_add_u32_e32 v5, 1, v5
	v_cmp_lt_u32_e32 vcc, 13, v6
	v_mov_b32_e32 v8, 0
	s_and_saveexec_b64 s[8:9], vcc
	s_cbranch_execz .LBB317_94
; %bb.91:
	v_mov_b32_e32 v7, 0x90
	v_and_b32_e32 v6, -8, v5
	v_lshl_add_u32 v7, v0, 2, v7
	s_mov_b32 s28, 0
	s_mov_b64 s[14:15], 0
.LBB317_92:                             ; =>This Inner Loop Header: Depth=1
	ds_read2st64_b32 v[8:9], v7 offset1:2
	ds_read2st64_b32 v[10:11], v7 offset0:4 offset1:6
	ds_read2st64_b32 v[12:13], v7 offset0:8 offset1:10
	ds_read2st64_b32 v[14:15], v7 offset0:12 offset1:14
	v_add_u32_e32 v6, -8, v6
	s_waitcnt lgkmcnt(3)
	v_pk_mul_f32 v[8:9], v[2:3], v[8:9]
	s_waitcnt lgkmcnt(2)
	v_pk_mul_f32 v[10:11], v[2:3], v[10:11]
	ds_write2st64_b32 v7, v8, v9 offset1:2
	ds_write2st64_b32 v7, v10, v11 offset0:4 offset1:6
	ds_read2st64_b32 v[10:11], v7 offset0:16 offset1:18
	s_waitcnt lgkmcnt(4)
	v_pk_mul_f32 v[8:9], v[2:3], v[12:13]
	ds_write2st64_b32 v7, v8, v9 offset0:8 offset1:10
	s_waitcnt lgkmcnt(4)
	v_pk_mul_f32 v[8:9], v[2:3], v[14:15]
	ds_write2st64_b32 v7, v8, v9 offset0:12 offset1:14
	ds_read2st64_b32 v[8:9], v7 offset0:20 offset1:22
	s_waitcnt lgkmcnt(3)
	v_pk_mul_f32 v[10:11], v[2:3], v[10:11]
	ds_read2st64_b32 v[12:13], v7 offset0:24 offset1:26
	ds_write2st64_b32 v7, v10, v11 offset0:16 offset1:18
	ds_read2st64_b32 v[10:11], v7 offset0:28 offset1:30
	s_waitcnt lgkmcnt(3)
	v_pk_mul_f32 v[8:9], v[2:3], v[8:9]
	ds_write2st64_b32 v7, v8, v9 offset0:20 offset1:22
	s_waitcnt lgkmcnt(3)
	v_pk_mul_f32 v[8:9], v[2:3], v[12:13]
	ds_write2st64_b32 v7, v8, v9 offset0:24 offset1:26
	s_waitcnt lgkmcnt(2)
	v_pk_mul_f32 v[8:9], v[2:3], v[10:11]
	s_add_i32 s28, s28, 16
	v_cmp_eq_u32_e32 vcc, 0, v6
	ds_write2st64_b32 v7, v8, v9 offset0:28 offset1:30
	v_add_u32_e32 v7, 0x2000, v7
	s_or_b64 s[14:15], vcc, s[14:15]
	v_mov_b32_e32 v8, s28
	s_andn2_b64 exec, exec, s[14:15]
	s_cbranch_execnz .LBB317_92
; %bb.93:
	s_or_b64 exec, exec, s[14:15]
.LBB317_94:
	s_or_b64 exec, exec, s[8:9]
	v_and_b32_e32 v5, 7, v5
	v_cmp_ne_u32_e32 vcc, 0, v5
	s_and_saveexec_b64 s[8:9], vcc
	s_cbranch_execz .LBB317_97
; %bb.95:
	v_lshlrev_b32_e32 v6, 9, v8
	v_lshlrev_b32_e32 v7, 2, v0
	s_movk_i32 s14, 0x90
	v_add3_u32 v6, v6, v7, s14
	s_mov_b64 s[14:15], 0
.LBB317_96:                             ; =>This Inner Loop Header: Depth=1
	ds_read2st64_b32 v[8:9], v6 offset1:2
	v_add_u32_e32 v5, -1, v5
	v_cmp_eq_u32_e32 vcc, 0, v5
	s_or_b64 s[14:15], vcc, s[14:15]
	s_waitcnt lgkmcnt(0)
	v_pk_mul_f32 v[8:9], v[2:3], v[8:9]
	ds_write2st64_b32 v6, v8, v9 offset1:2
	v_add_u32_e32 v6, 0x400, v6
	s_andn2_b64 exec, exec, s[14:15]
	s_cbranch_execnz .LBB317_96
.LBB317_97:
	s_or_b64 exec, exec, s[8:9]
	v_add_u32_e32 v4, 1, v4
	v_and_b32_e32 v5, 0x3fffffe, v4
	v_cmp_ne_u32_e32 vcc, v4, v5
	v_lshl_add_u32 v3, v5, 7, v0
	s_orn2_b64 s[8:9], vcc, exec
.LBB317_98:
	s_or_b64 exec, exec, s[2:3]
	s_and_b64 exec, exec, s[8:9]
	s_cbranch_execz .LBB317_101
; %bb.99:
	v_mov_b32_e32 v4, 0x90
	v_lshl_add_u32 v4, v3, 2, v4
	s_mov_b64 s[2:3], 0
.LBB317_100:                            ; =>This Inner Loop Header: Depth=1
	ds_read_b32 v5, v4
	v_add_u32_e32 v3, 0x80, v3
	v_cmp_le_i32_e32 vcc, s30, v3
	s_or_b64 s[2:3], vcc, s[2:3]
	s_waitcnt lgkmcnt(0)
	v_mul_f32_e32 v5, v2, v5
	ds_write_b32 v4, v5
	v_add_u32_e32 v4, 0x200, v4
	s_andn2_b64 exec, exec, s[2:3]
	s_cbranch_execnz .LBB317_100
.LBB317_101:
	s_or_b64 exec, exec, s[0:1]
	v_mov_b32_e32 v11, 0
	v_and_b32_e32 v20, 1, v0
	v_mov_b32_e32 v10, v11
	s_waitcnt lgkmcnt(0)
	s_barrier
	s_and_saveexec_b64 s[2:3], s[6:7]
	s_cbranch_execz .LBB317_269
; %bb.102:
	s_ashr_i32 s1, s33, 31
	v_lshlrev_b32_e32 v2, 3, v0
	s_add_u32 s0, s26, s33
	s_addc_u32 s1, s27, s1
	s_load_dword s10, s[10:11], 0x0
	v_and_b32_e32 v12, 0x1f8, v2
	v_mov_b32_e32 v13, 0
	v_and_b32_e32 v3, 8, v2
	s_add_i32 s11, s19, -1
	v_lshl_add_u64 v[14:15], s[0:1], 0, v[12:13]
	v_lshlrev_b32_e32 v2, 4, v1
	s_lshl_b64 s[0:1], s[24:25], 2
	v_or3_b32 v21, v2, v3, 7
	v_lshlrev_b32_e32 v2, 5, v20
	s_add_u32 s0, s22, s0
	v_lshl_or_b32 v2, v1, 6, v2
	v_and_b32_e32 v12, 60, v16
	s_addc_u32 s1, s23, s1
	v_add_u32_e32 v22, 0x90, v2
	v_lshl_add_u64 v[16:17], s[0:1], 0, v[12:13]
	s_mov_b64 s[6:7], 0
	s_mov_b32 s14, 0x7f800000
	s_movk_i32 s15, 0x7fff
	v_mov_b32_e32 v10, 0
	v_mov_b32_e32 v11, v13
	s_branch .LBB317_104
.LBB317_103:                            ;   in Loop: Header=BB317_104 Depth=1
	s_or_b64 exec, exec, s[0:1]
	v_and_b32_e32 v33, 0xffff0000, v7
	v_and_b32_e32 v32, 0xffff0000, v5
	v_and_b32_e32 v5, 0xffff0000, v6
	v_and_b32_e32 v4, 0xffff0000, v4
	v_pk_add_f32 v[4:5], v[4:5], v[32:33]
	v_and_b32_e32 v31, 0xffff0000, v30
	v_and_b32_e32 v30, 0xffff0000, v9
	v_and_b32_e32 v9, 0xffff0000, v12
	v_and_b32_e32 v8, 0xffff0000, v8
	v_mov_b32_e32 v6, v5
	v_pk_add_f32 v[4:5], v[4:5], v[6:7]
	v_pk_add_f32 v[6:7], v[8:9], v[30:31]
	v_and_b32_e32 v8, 0xffff0000, v26
	v_pk_add_f32 v[4:5], v[4:5], v[6:7]
	v_mov_b32_e32 v6, v7
	v_pk_add_f32 v[4:5], v[4:5], v[6:7]
	v_and_b32_e32 v7, 0xffff0000, v3
	v_and_b32_e32 v6, 0xffff0000, v27
	;; [unrolled: 1-line block ×6, first 2 shown]
	v_pk_add_f32 v[2:3], v[2:3], v[26:27]
	v_and_b32_e32 v9, 0xffff0000, v28
	v_mov_b32_e32 v12, v3
	v_pk_add_f32 v[2:3], v[2:3], v[12:13]
	v_pk_add_f32 v[6:7], v[8:9], v[6:7]
	v_add_u32_e32 v1, 2, v1
	v_pk_add_f32 v[2:3], v[2:3], v[6:7]
	v_mov_b32_e32 v6, v7
	v_pk_add_f32 v[2:3], v[2:3], v[6:7]
	v_pk_add_f32 v[4:5], v[10:11], v[4:5]
	v_mov_b32_e32 v3, v2
	v_pk_add_f32 v[10:11], v[10:11], v[2:3]
	v_cmp_le_i32_e32 vcc, s19, v1
	v_mov_b32_e32 v10, v4
	v_add_u32_e32 v21, 32, v21
	v_add_u32_e32 v22, 0x80, v22
	s_or_b64 s[6:7], vcc, s[6:7]
	v_lshl_add_u64 v[16:17], v[16:17], 0, 8
	s_andn2_b64 exec, exec, s[6:7]
	s_cbranch_execz .LBB317_268
.LBB317_104:                            ; =>This Inner Loop Header: Depth=1
	global_load_dword v23, v[16:17], off
	ds_read2_b64 v[6:9], v22 offset1:1
	ds_read2_b64 v[2:5], v22 offset0:2 offset1:3
                                        ; implicit-def: $vgpr31
	s_waitcnt lgkmcnt(0)
	v_and_b32_e32 v12, 0x7f800000, v6
	v_cmp_ne_u32_e32 vcc, s14, v12
	s_and_saveexec_b64 s[0:1], vcc
	s_xor_b64 s[0:1], exec, s[0:1]
; %bb.105:                              ;   in Loop: Header=BB317_104 Depth=1
	v_bfe_u32 v12, v6, 16, 1
	v_add3_u32 v31, v6, v12, s15
; %bb.106:                              ;   in Loop: Header=BB317_104 Depth=1
	s_andn2_saveexec_b64 s[0:1], s[0:1]
; %bb.107:                              ;   in Loop: Header=BB317_104 Depth=1
	v_or_b32_e32 v12, 0x10000, v6
	v_cmp_eq_u32_sdwa vcc, v6, v13 src0_sel:WORD_0 src1_sel:DWORD
	s_nop 1
	v_cndmask_b32_e32 v31, v12, v6, vcc
; %bb.108:                              ;   in Loop: Header=BB317_104 Depth=1
	s_or_b64 exec, exec, s[0:1]
	v_and_b32_e32 v6, 0x7f800000, v7
	v_cmp_ne_u32_e32 vcc, s14, v6
                                        ; implicit-def: $vgpr32
	s_and_saveexec_b64 s[0:1], vcc
	s_xor_b64 s[0:1], exec, s[0:1]
; %bb.109:                              ;   in Loop: Header=BB317_104 Depth=1
	v_bfe_u32 v6, v7, 16, 1
	v_add3_u32 v32, v7, v6, s15
; %bb.110:                              ;   in Loop: Header=BB317_104 Depth=1
	s_andn2_saveexec_b64 s[0:1], s[0:1]
; %bb.111:                              ;   in Loop: Header=BB317_104 Depth=1
	v_or_b32_e32 v6, 0x10000, v7
	v_cmp_eq_u32_sdwa vcc, v7, v13 src0_sel:WORD_0 src1_sel:DWORD
	s_nop 1
	v_cndmask_b32_e32 v32, v6, v7, vcc
; %bb.112:                              ;   in Loop: Header=BB317_104 Depth=1
	s_or_b64 exec, exec, s[0:1]
	v_and_b32_e32 v6, 0x7f800000, v8
	v_cmp_ne_u32_e32 vcc, s14, v6
                                        ; implicit-def: $vgpr33
	s_and_saveexec_b64 s[0:1], vcc
	s_xor_b64 s[0:1], exec, s[0:1]
; %bb.113:                              ;   in Loop: Header=BB317_104 Depth=1
	v_bfe_u32 v6, v8, 16, 1
	v_add3_u32 v33, v8, v6, s15
; %bb.114:                              ;   in Loop: Header=BB317_104 Depth=1
	s_andn2_saveexec_b64 s[0:1], s[0:1]
; %bb.115:                              ;   in Loop: Header=BB317_104 Depth=1
	v_or_b32_e32 v6, 0x10000, v8
	v_cmp_eq_u32_sdwa vcc, v8, v13 src0_sel:WORD_0 src1_sel:DWORD
	s_nop 1
	v_cndmask_b32_e32 v33, v6, v8, vcc
; %bb.116:                              ;   in Loop: Header=BB317_104 Depth=1
	s_or_b64 exec, exec, s[0:1]
	v_and_b32_e32 v6, 0x7f800000, v9
	v_cmp_ne_u32_e32 vcc, s14, v6
                                        ; implicit-def: $vgpr34
	s_and_saveexec_b64 s[0:1], vcc
	s_xor_b64 s[0:1], exec, s[0:1]
; %bb.117:                              ;   in Loop: Header=BB317_104 Depth=1
	v_bfe_u32 v6, v9, 16, 1
	v_add3_u32 v34, v9, v6, s15
                                        ; implicit-def: $vgpr6_vgpr7_vgpr8_vgpr9
; %bb.118:                              ;   in Loop: Header=BB317_104 Depth=1
	s_andn2_saveexec_b64 s[0:1], s[0:1]
; %bb.119:                              ;   in Loop: Header=BB317_104 Depth=1
	v_or_b32_e32 v6, 0x10000, v9
	v_cmp_eq_u32_sdwa vcc, v9, v13 src0_sel:WORD_0 src1_sel:DWORD
	s_nop 1
	v_cndmask_b32_e32 v34, v6, v9, vcc
; %bb.120:                              ;   in Loop: Header=BB317_104 Depth=1
	s_or_b64 exec, exec, s[0:1]
	v_and_b32_e32 v6, 0x7f800000, v2
	v_cmp_ne_u32_e32 vcc, s14, v6
                                        ; implicit-def: $vgpr8
	s_and_saveexec_b64 s[0:1], vcc
	s_xor_b64 s[0:1], exec, s[0:1]
; %bb.121:                              ;   in Loop: Header=BB317_104 Depth=1
	v_bfe_u32 v6, v2, 16, 1
	v_add3_u32 v8, v2, v6, s15
; %bb.122:                              ;   in Loop: Header=BB317_104 Depth=1
	s_andn2_saveexec_b64 s[0:1], s[0:1]
; %bb.123:                              ;   in Loop: Header=BB317_104 Depth=1
	v_or_b32_e32 v6, 0x10000, v2
	v_cmp_eq_u32_sdwa vcc, v2, v13 src0_sel:WORD_0 src1_sel:DWORD
	s_nop 1
	v_cndmask_b32_e32 v8, v6, v2, vcc
; %bb.124:                              ;   in Loop: Header=BB317_104 Depth=1
	s_or_b64 exec, exec, s[0:1]
	v_and_b32_e32 v2, 0x7f800000, v3
	v_cmp_ne_u32_e32 vcc, s14, v2
                                        ; implicit-def: $vgpr9
	s_and_saveexec_b64 s[0:1], vcc
	s_xor_b64 s[0:1], exec, s[0:1]
; %bb.125:                              ;   in Loop: Header=BB317_104 Depth=1
	v_bfe_u32 v2, v3, 16, 1
	v_add3_u32 v9, v3, v2, s15
; %bb.126:                              ;   in Loop: Header=BB317_104 Depth=1
	s_andn2_saveexec_b64 s[0:1], s[0:1]
; %bb.127:                              ;   in Loop: Header=BB317_104 Depth=1
	v_or_b32_e32 v2, 0x10000, v3
	v_cmp_eq_u32_sdwa vcc, v3, v13 src0_sel:WORD_0 src1_sel:DWORD
	s_nop 1
	v_cndmask_b32_e32 v9, v2, v3, vcc
; %bb.128:                              ;   in Loop: Header=BB317_104 Depth=1
	s_or_b64 exec, exec, s[0:1]
	v_and_b32_e32 v2, 0x7f800000, v4
	v_cmp_ne_u32_e32 vcc, s14, v2
                                        ; implicit-def: $vgpr12
	s_and_saveexec_b64 s[0:1], vcc
	s_xor_b64 s[0:1], exec, s[0:1]
; %bb.129:                              ;   in Loop: Header=BB317_104 Depth=1
	v_bfe_u32 v2, v4, 16, 1
	v_add3_u32 v12, v4, v2, s15
; %bb.130:                              ;   in Loop: Header=BB317_104 Depth=1
	s_andn2_saveexec_b64 s[0:1], s[0:1]
; %bb.131:                              ;   in Loop: Header=BB317_104 Depth=1
	v_or_b32_e32 v2, 0x10000, v4
	v_cmp_eq_u32_sdwa vcc, v4, v13 src0_sel:WORD_0 src1_sel:DWORD
	s_nop 1
	v_cndmask_b32_e32 v12, v2, v4, vcc
; %bb.132:                              ;   in Loop: Header=BB317_104 Depth=1
	s_or_b64 exec, exec, s[0:1]
	v_and_b32_e32 v2, 0x7f800000, v5
	v_cmp_ne_u32_e32 vcc, s14, v2
                                        ; implicit-def: $vgpr30
	s_and_saveexec_b64 s[0:1], vcc
	s_xor_b64 s[0:1], exec, s[0:1]
; %bb.133:                              ;   in Loop: Header=BB317_104 Depth=1
	v_bfe_u32 v2, v5, 16, 1
	v_add3_u32 v30, v5, v2, s15
                                        ; implicit-def: $vgpr2_vgpr3_vgpr4_vgpr5
; %bb.134:                              ;   in Loop: Header=BB317_104 Depth=1
	s_andn2_saveexec_b64 s[0:1], s[0:1]
; %bb.135:                              ;   in Loop: Header=BB317_104 Depth=1
	v_or_b32_e32 v2, 0x10000, v5
	v_cmp_eq_u32_sdwa vcc, v5, v13 src0_sel:WORD_0 src1_sel:DWORD
	s_nop 1
	v_cndmask_b32_e32 v30, v2, v5, vcc
; %bb.136:                              ;   in Loop: Header=BB317_104 Depth=1
	s_or_b64 exec, exec, s[0:1]
	s_waitcnt vmcnt(0)
	v_mad_i64_i32 v[2:3], s[0:1], v23, s13, v[14:15]
	global_load_dwordx2 v[4:5], v[2:3], off
	s_waitcnt vmcnt(0)
	v_and_b32_e32 v6, 0xff, v4
	v_cvt_f32_fp8_sdwa v6, v6 src0_sel:BYTE_0
	s_nop 0
	v_mul_f32_e32 v7, s10, v6
	v_and_b32_e32 v6, 0x7f800000, v7
	v_cmp_ne_u32_e32 vcc, s14, v6
                                        ; implicit-def: $vgpr6
	s_and_saveexec_b64 s[0:1], vcc
	s_xor_b64 s[0:1], exec, s[0:1]
; %bb.137:                              ;   in Loop: Header=BB317_104 Depth=1
	v_bfe_u32 v6, v7, 16, 1
	v_add3_u32 v6, v7, v6, s15
                                        ; implicit-def: $vgpr7
; %bb.138:                              ;   in Loop: Header=BB317_104 Depth=1
	s_andn2_saveexec_b64 s[0:1], s[0:1]
; %bb.139:                              ;   in Loop: Header=BB317_104 Depth=1
	v_or_b32_e32 v6, 0x10000, v7
	v_cmp_eq_u32_sdwa vcc, v7, v13 src0_sel:WORD_0 src1_sel:DWORD
	s_nop 1
	v_cndmask_b32_e32 v6, v6, v7, vcc
; %bb.140:                              ;   in Loop: Header=BB317_104 Depth=1
	s_or_b64 exec, exec, s[0:1]
	v_bfe_u32 v7, v4, 8, 8
	v_cvt_f32_fp8_sdwa v7, v7 src0_sel:BYTE_0
	s_nop 0
	v_mul_f32_e32 v23, s10, v7
	v_and_b32_e32 v7, 0x7f800000, v23
	v_cmp_ne_u32_e32 vcc, s14, v7
                                        ; implicit-def: $vgpr7
	s_and_saveexec_b64 s[0:1], vcc
	s_xor_b64 s[0:1], exec, s[0:1]
; %bb.141:                              ;   in Loop: Header=BB317_104 Depth=1
	v_bfe_u32 v7, v23, 16, 1
	v_add3_u32 v7, v23, v7, s15
                                        ; implicit-def: $vgpr23
; %bb.142:                              ;   in Loop: Header=BB317_104 Depth=1
	s_andn2_saveexec_b64 s[0:1], s[0:1]
; %bb.143:                              ;   in Loop: Header=BB317_104 Depth=1
	v_or_b32_e32 v7, 0x10000, v23
	v_cmp_eq_u32_sdwa vcc, v23, v13 src0_sel:WORD_0 src1_sel:DWORD
	s_nop 1
	v_cndmask_b32_e32 v7, v7, v23, vcc
; %bb.144:                              ;   in Loop: Header=BB317_104 Depth=1
	s_or_b64 exec, exec, s[0:1]
	v_bfe_u32 v23, v4, 16, 8
	v_cvt_f32_fp8_sdwa v23, v23 src0_sel:BYTE_0
	s_nop 0
	v_mul_f32_e32 v23, s10, v23
	v_and_b32_e32 v24, 0x7f800000, v23
	v_cmp_ne_u32_e32 vcc, s14, v24
                                        ; implicit-def: $vgpr24
	s_and_saveexec_b64 s[0:1], vcc
	s_xor_b64 s[0:1], exec, s[0:1]
; %bb.145:                              ;   in Loop: Header=BB317_104 Depth=1
	v_bfe_u32 v24, v23, 16, 1
	v_add3_u32 v24, v23, v24, s15
                                        ; implicit-def: $vgpr23
; %bb.146:                              ;   in Loop: Header=BB317_104 Depth=1
	s_andn2_saveexec_b64 s[0:1], s[0:1]
; %bb.147:                              ;   in Loop: Header=BB317_104 Depth=1
	v_or_b32_e32 v24, 0x10000, v23
	v_cmp_eq_u32_sdwa vcc, v23, v13 src0_sel:WORD_0 src1_sel:DWORD
	s_nop 1
	v_cndmask_b32_e32 v24, v24, v23, vcc
; %bb.148:                              ;   in Loop: Header=BB317_104 Depth=1
	s_or_b64 exec, exec, s[0:1]
	v_lshrrev_b32_e32 v4, 24, v4
	v_cvt_f32_fp8_sdwa v4, v4 src0_sel:BYTE_0
	s_nop 0
	v_mul_f32_e32 v23, s10, v4
	v_and_b32_e32 v4, 0x7f800000, v23
	v_cmp_ne_u32_e32 vcc, s14, v4
                                        ; implicit-def: $vgpr4
	s_and_saveexec_b64 s[0:1], vcc
	s_xor_b64 s[0:1], exec, s[0:1]
; %bb.149:                              ;   in Loop: Header=BB317_104 Depth=1
	v_bfe_u32 v4, v23, 16, 1
	v_add3_u32 v4, v23, v4, s15
                                        ; implicit-def: $vgpr23
; %bb.150:                              ;   in Loop: Header=BB317_104 Depth=1
	s_andn2_saveexec_b64 s[0:1], s[0:1]
; %bb.151:                              ;   in Loop: Header=BB317_104 Depth=1
	v_or_b32_e32 v4, 0x10000, v23
	v_cmp_eq_u32_sdwa vcc, v23, v13 src0_sel:WORD_0 src1_sel:DWORD
	s_nop 1
	v_cndmask_b32_e32 v4, v4, v23, vcc
; %bb.152:                              ;   in Loop: Header=BB317_104 Depth=1
	s_or_b64 exec, exec, s[0:1]
	v_and_b32_e32 v23, 0xff, v5
	v_cvt_f32_fp8_sdwa v23, v23 src0_sel:BYTE_0
	s_nop 0
	v_mul_f32_e32 v23, s10, v23
	v_and_b32_e32 v25, 0x7f800000, v23
	v_cmp_ne_u32_e32 vcc, s14, v25
                                        ; implicit-def: $vgpr25
	s_and_saveexec_b64 s[0:1], vcc
	s_xor_b64 s[0:1], exec, s[0:1]
; %bb.153:                              ;   in Loop: Header=BB317_104 Depth=1
	v_bfe_u32 v25, v23, 16, 1
	v_add3_u32 v25, v23, v25, s15
                                        ; implicit-def: $vgpr23
; %bb.154:                              ;   in Loop: Header=BB317_104 Depth=1
	s_andn2_saveexec_b64 s[0:1], s[0:1]
; %bb.155:                              ;   in Loop: Header=BB317_104 Depth=1
	v_or_b32_e32 v25, 0x10000, v23
	v_cmp_eq_u32_sdwa vcc, v23, v13 src0_sel:WORD_0 src1_sel:DWORD
	s_nop 1
	v_cndmask_b32_e32 v25, v25, v23, vcc
; %bb.156:                              ;   in Loop: Header=BB317_104 Depth=1
	s_or_b64 exec, exec, s[0:1]
	v_bfe_u32 v23, v5, 8, 8
	v_cvt_f32_fp8_sdwa v23, v23 src0_sel:BYTE_0
	s_nop 0
	v_mul_f32_e32 v23, s10, v23
	v_and_b32_e32 v26, 0x7f800000, v23
	v_cmp_ne_u32_e32 vcc, s14, v26
                                        ; implicit-def: $vgpr26
	s_and_saveexec_b64 s[0:1], vcc
	s_xor_b64 s[0:1], exec, s[0:1]
; %bb.157:                              ;   in Loop: Header=BB317_104 Depth=1
	v_bfe_u32 v26, v23, 16, 1
	v_add3_u32 v26, v23, v26, s15
                                        ; implicit-def: $vgpr23
; %bb.158:                              ;   in Loop: Header=BB317_104 Depth=1
	s_andn2_saveexec_b64 s[0:1], s[0:1]
; %bb.159:                              ;   in Loop: Header=BB317_104 Depth=1
	v_or_b32_e32 v26, 0x10000, v23
	v_cmp_eq_u32_sdwa vcc, v23, v13 src0_sel:WORD_0 src1_sel:DWORD
	s_nop 1
	v_cndmask_b32_e32 v26, v26, v23, vcc
; %bb.160:                              ;   in Loop: Header=BB317_104 Depth=1
	s_or_b64 exec, exec, s[0:1]
	v_bfe_u32 v23, v5, 16, 8
	v_cvt_f32_fp8_sdwa v23, v23 src0_sel:BYTE_0
	s_nop 0
	v_mul_f32_e32 v23, s10, v23
	v_and_b32_e32 v27, 0x7f800000, v23
	v_cmp_ne_u32_e32 vcc, s14, v27
                                        ; implicit-def: $vgpr27
	s_and_saveexec_b64 s[0:1], vcc
	s_xor_b64 s[0:1], exec, s[0:1]
; %bb.161:                              ;   in Loop: Header=BB317_104 Depth=1
	v_bfe_u32 v27, v23, 16, 1
	v_add3_u32 v27, v23, v27, s15
                                        ; implicit-def: $vgpr23
; %bb.162:                              ;   in Loop: Header=BB317_104 Depth=1
	s_andn2_saveexec_b64 s[0:1], s[0:1]
; %bb.163:                              ;   in Loop: Header=BB317_104 Depth=1
	v_or_b32_e32 v27, 0x10000, v23
	v_cmp_eq_u32_sdwa vcc, v23, v13 src0_sel:WORD_0 src1_sel:DWORD
	s_nop 1
	v_cndmask_b32_e32 v27, v27, v23, vcc
; %bb.164:                              ;   in Loop: Header=BB317_104 Depth=1
	s_or_b64 exec, exec, s[0:1]
	v_lshrrev_b32_e32 v5, 24, v5
	v_cvt_f32_fp8_sdwa v5, v5 src0_sel:BYTE_0
                                        ; implicit-def: $vgpr28
	s_nop 0
	v_mul_f32_e32 v5, s10, v5
	v_and_b32_e32 v23, 0x7f800000, v5
	v_cmp_ne_u32_e32 vcc, s14, v23
	s_and_saveexec_b64 s[0:1], vcc
	s_xor_b64 s[0:1], exec, s[0:1]
; %bb.165:                              ;   in Loop: Header=BB317_104 Depth=1
	v_bfe_u32 v23, v5, 16, 1
	v_add3_u32 v28, v5, v23, s15
                                        ; implicit-def: $vgpr5
; %bb.166:                              ;   in Loop: Header=BB317_104 Depth=1
	s_andn2_saveexec_b64 s[0:1], s[0:1]
; %bb.167:                              ;   in Loop: Header=BB317_104 Depth=1
	v_or_b32_e32 v23, 0x10000, v5
	v_cmp_eq_u32_sdwa vcc, v5, v13 src0_sel:WORD_0 src1_sel:DWORD
	s_nop 1
	v_cndmask_b32_e32 v28, v23, v5, vcc
; %bb.168:                              ;   in Loop: Header=BB317_104 Depth=1
	s_or_b64 exec, exec, s[0:1]
	v_cmp_eq_u32_e32 vcc, s11, v1
	v_add_u32_e32 v23, -7, v21
	v_lshrrev_b32_e32 v37, 16, v26
	v_lshrrev_b32_e32 v36, 16, v25
	;; [unrolled: 1-line block ×8, first 2 shown]
	v_add_u32_e32 v29, -6, v21
	v_add_u32_e32 v28, -5, v21
	v_add_u32_e32 v27, -4, v21
	v_add_u32_e32 v26, -3, v21
	v_add_u32_e32 v25, -2, v21
	v_add_u32_e32 v24, -1, v21
	s_and_saveexec_b64 s[8:9], vcc
	s_cbranch_execz .LBB317_170
; %bb.169:                              ;   in Loop: Header=BB317_104 Depth=1
	v_cmp_gt_i32_e64 s[0:1], s17, v23
	s_nop 1
	v_cndmask_b32_e64 v4, 0, v4, s[0:1]
	v_cmp_gt_i32_e64 s[0:1], s17, v29
	s_nop 1
	v_cndmask_b32_e64 v5, 0, v5, s[0:1]
	;; [unrolled: 3-line block ×8, first 2 shown]
.LBB317_170:                            ;   in Loop: Header=BB317_104 Depth=1
	s_or_b64 exec, exec, s[8:9]
	v_and_b32_e32 v31, 0xffff0000, v31
	v_lshlrev_b32_e32 v4, 16, v4
	v_mul_f32_e32 v6, v31, v4
	v_and_b32_e32 v4, 0x7f800000, v6
	v_cmp_ne_u32_e64 s[0:1], s14, v4
                                        ; implicit-def: $vgpr4
	s_and_saveexec_b64 s[8:9], s[0:1]
	s_xor_b64 s[0:1], exec, s[8:9]
; %bb.171:                              ;   in Loop: Header=BB317_104 Depth=1
	v_bfe_u32 v4, v6, 16, 1
	v_add3_u32 v4, v6, v4, s15
                                        ; implicit-def: $vgpr6
; %bb.172:                              ;   in Loop: Header=BB317_104 Depth=1
	s_andn2_saveexec_b64 s[8:9], s[0:1]
; %bb.173:                              ;   in Loop: Header=BB317_104 Depth=1
	v_or_b32_e32 v4, 0x10000, v6
	v_cmp_eq_u32_sdwa s[0:1], v6, v13 src0_sel:WORD_0 src1_sel:DWORD
	s_nop 1
	v_cndmask_b32_e64 v4, v4, v6, s[0:1]
; %bb.174:                              ;   in Loop: Header=BB317_104 Depth=1
	s_or_b64 exec, exec, s[8:9]
	v_and_b32_e32 v32, 0xffff0000, v32
	v_lshlrev_b32_e32 v5, 16, v5
	v_mul_f32_e32 v6, v32, v5
	v_and_b32_e32 v5, 0x7f800000, v6
	v_cmp_ne_u32_e64 s[0:1], s14, v5
                                        ; implicit-def: $vgpr5
	s_and_saveexec_b64 s[8:9], s[0:1]
	s_xor_b64 s[0:1], exec, s[8:9]
; %bb.175:                              ;   in Loop: Header=BB317_104 Depth=1
	v_bfe_u32 v5, v6, 16, 1
	v_add3_u32 v5, v6, v5, s15
                                        ; implicit-def: $vgpr6
; %bb.176:                              ;   in Loop: Header=BB317_104 Depth=1
	s_andn2_saveexec_b64 s[8:9], s[0:1]
; %bb.177:                              ;   in Loop: Header=BB317_104 Depth=1
	v_or_b32_e32 v5, 0x10000, v6
	v_cmp_eq_u32_sdwa s[0:1], v6, v13 src0_sel:WORD_0 src1_sel:DWORD
	s_nop 1
	v_cndmask_b32_e64 v5, v5, v6, s[0:1]
; %bb.178:                              ;   in Loop: Header=BB317_104 Depth=1
	s_or_b64 exec, exec, s[8:9]
	v_and_b32_e32 v33, 0xffff0000, v33
	v_lshlrev_b32_e32 v6, 16, v40
	v_mul_f32_e32 v7, v33, v6
	v_and_b32_e32 v6, 0x7f800000, v7
	v_cmp_ne_u32_e64 s[0:1], s14, v6
                                        ; implicit-def: $vgpr6
	s_and_saveexec_b64 s[8:9], s[0:1]
	s_xor_b64 s[0:1], exec, s[8:9]
; %bb.179:                              ;   in Loop: Header=BB317_104 Depth=1
	v_bfe_u32 v6, v7, 16, 1
	v_add3_u32 v6, v7, v6, s15
                                        ; implicit-def: $vgpr7
; %bb.180:                              ;   in Loop: Header=BB317_104 Depth=1
	s_andn2_saveexec_b64 s[8:9], s[0:1]
; %bb.181:                              ;   in Loop: Header=BB317_104 Depth=1
	v_or_b32_e32 v6, 0x10000, v7
	v_cmp_eq_u32_sdwa s[0:1], v7, v13 src0_sel:WORD_0 src1_sel:DWORD
	s_nop 1
	v_cndmask_b32_e64 v6, v6, v7, s[0:1]
; %bb.182:                              ;   in Loop: Header=BB317_104 Depth=1
	s_or_b64 exec, exec, s[8:9]
	v_and_b32_e32 v34, 0xffff0000, v34
	v_lshlrev_b32_e32 v7, 16, v35
	v_mul_f32_e32 v35, v34, v7
	v_and_b32_e32 v7, 0x7f800000, v35
	v_cmp_ne_u32_e64 s[0:1], s14, v7
                                        ; implicit-def: $vgpr7
	s_and_saveexec_b64 s[8:9], s[0:1]
	s_xor_b64 s[0:1], exec, s[8:9]
; %bb.183:                              ;   in Loop: Header=BB317_104 Depth=1
	v_bfe_u32 v7, v35, 16, 1
	v_add3_u32 v7, v35, v7, s15
                                        ; implicit-def: $vgpr35
; %bb.184:                              ;   in Loop: Header=BB317_104 Depth=1
	s_andn2_saveexec_b64 s[8:9], s[0:1]
; %bb.185:                              ;   in Loop: Header=BB317_104 Depth=1
	v_or_b32_e32 v7, 0x10000, v35
	v_cmp_eq_u32_sdwa s[0:1], v35, v13 src0_sel:WORD_0 src1_sel:DWORD
	s_nop 1
	v_cndmask_b32_e64 v7, v7, v35, s[0:1]
; %bb.186:                              ;   in Loop: Header=BB317_104 Depth=1
	s_or_b64 exec, exec, s[8:9]
	v_and_b32_e32 v35, 0xffff0000, v8
	v_lshlrev_b32_e32 v8, 16, v36
	v_mul_f32_e32 v36, v35, v8
	v_and_b32_e32 v8, 0x7f800000, v36
	v_cmp_ne_u32_e64 s[0:1], s14, v8
                                        ; implicit-def: $vgpr8
	s_and_saveexec_b64 s[8:9], s[0:1]
	s_xor_b64 s[0:1], exec, s[8:9]
; %bb.187:                              ;   in Loop: Header=BB317_104 Depth=1
	v_bfe_u32 v8, v36, 16, 1
	v_add3_u32 v8, v36, v8, s15
                                        ; implicit-def: $vgpr36
; %bb.188:                              ;   in Loop: Header=BB317_104 Depth=1
	s_andn2_saveexec_b64 s[8:9], s[0:1]
; %bb.189:                              ;   in Loop: Header=BB317_104 Depth=1
	v_or_b32_e32 v8, 0x10000, v36
	v_cmp_eq_u32_sdwa s[0:1], v36, v13 src0_sel:WORD_0 src1_sel:DWORD
	s_nop 1
	v_cndmask_b32_e64 v8, v8, v36, s[0:1]
; %bb.190:                              ;   in Loop: Header=BB317_104 Depth=1
	s_or_b64 exec, exec, s[8:9]
	v_and_b32_e32 v36, 0xffff0000, v9
	v_lshlrev_b32_e32 v9, 16, v37
	v_mul_f32_e32 v37, v36, v9
	v_and_b32_e32 v9, 0x7f800000, v37
	v_cmp_ne_u32_e64 s[0:1], s14, v9
                                        ; implicit-def: $vgpr9
	s_and_saveexec_b64 s[8:9], s[0:1]
	s_xor_b64 s[0:1], exec, s[8:9]
; %bb.191:                              ;   in Loop: Header=BB317_104 Depth=1
	v_bfe_u32 v9, v37, 16, 1
	v_add3_u32 v9, v37, v9, s15
                                        ; implicit-def: $vgpr37
; %bb.192:                              ;   in Loop: Header=BB317_104 Depth=1
	s_andn2_saveexec_b64 s[8:9], s[0:1]
; %bb.193:                              ;   in Loop: Header=BB317_104 Depth=1
	v_or_b32_e32 v9, 0x10000, v37
	v_cmp_eq_u32_sdwa s[0:1], v37, v13 src0_sel:WORD_0 src1_sel:DWORD
	s_nop 1
	v_cndmask_b32_e64 v9, v9, v37, s[0:1]
; %bb.194:                              ;   in Loop: Header=BB317_104 Depth=1
	s_or_b64 exec, exec, s[8:9]
	v_and_b32_e32 v37, 0xffff0000, v12
	v_lshlrev_b32_e32 v12, 16, v38
	v_mul_f32_e32 v38, v37, v12
	v_and_b32_e32 v12, 0x7f800000, v38
	v_cmp_ne_u32_e64 s[0:1], s14, v12
                                        ; implicit-def: $vgpr12
	s_and_saveexec_b64 s[8:9], s[0:1]
	s_xor_b64 s[0:1], exec, s[8:9]
; %bb.195:                              ;   in Loop: Header=BB317_104 Depth=1
	v_bfe_u32 v12, v38, 16, 1
	v_add3_u32 v12, v38, v12, s15
                                        ; implicit-def: $vgpr38
; %bb.196:                              ;   in Loop: Header=BB317_104 Depth=1
	s_andn2_saveexec_b64 s[8:9], s[0:1]
; %bb.197:                              ;   in Loop: Header=BB317_104 Depth=1
	v_or_b32_e32 v12, 0x10000, v38
	v_cmp_eq_u32_sdwa s[0:1], v38, v13 src0_sel:WORD_0 src1_sel:DWORD
	s_nop 1
	v_cndmask_b32_e64 v12, v12, v38, s[0:1]
; %bb.198:                              ;   in Loop: Header=BB317_104 Depth=1
	s_or_b64 exec, exec, s[8:9]
	v_and_b32_e32 v38, 0xffff0000, v30
	v_lshlrev_b32_e32 v30, 16, v39
	v_mul_f32_e32 v39, v38, v30
	v_and_b32_e32 v30, 0x7f800000, v39
	v_cmp_ne_u32_e64 s[0:1], s14, v30
                                        ; implicit-def: $vgpr30
	s_and_saveexec_b64 s[8:9], s[0:1]
	s_xor_b64 s[0:1], exec, s[8:9]
; %bb.199:                              ;   in Loop: Header=BB317_104 Depth=1
	v_bfe_u32 v30, v39, 16, 1
	v_add3_u32 v30, v39, v30, s15
                                        ; implicit-def: $vgpr39
; %bb.200:                              ;   in Loop: Header=BB317_104 Depth=1
	s_andn2_saveexec_b64 s[8:9], s[0:1]
; %bb.201:                              ;   in Loop: Header=BB317_104 Depth=1
	v_or_b32_e32 v30, 0x10000, v39
	v_cmp_eq_u32_sdwa s[0:1], v39, v13 src0_sel:WORD_0 src1_sel:DWORD
	s_nop 1
	v_cndmask_b32_e64 v30, v30, v39, s[0:1]
; %bb.202:                              ;   in Loop: Header=BB317_104 Depth=1
	s_or_b64 exec, exec, s[8:9]
	global_load_dwordx2 v[2:3], v[2:3], off offset:512
	s_waitcnt vmcnt(0)
	v_and_b32_e32 v39, 0xff, v2
	v_cvt_f32_fp8_sdwa v39, v39 src0_sel:BYTE_0
	s_nop 0
	v_mul_f32_e32 v40, s10, v39
	v_and_b32_e32 v39, 0x7f800000, v40
	v_cmp_ne_u32_e64 s[0:1], s14, v39
                                        ; implicit-def: $vgpr39
	s_and_saveexec_b64 s[8:9], s[0:1]
	s_xor_b64 s[0:1], exec, s[8:9]
; %bb.203:                              ;   in Loop: Header=BB317_104 Depth=1
	v_bfe_u32 v39, v40, 16, 1
	v_add3_u32 v39, v40, v39, s15
                                        ; implicit-def: $vgpr40
; %bb.204:                              ;   in Loop: Header=BB317_104 Depth=1
	s_andn2_saveexec_b64 s[8:9], s[0:1]
; %bb.205:                              ;   in Loop: Header=BB317_104 Depth=1
	v_or_b32_e32 v39, 0x10000, v40
	v_cmp_eq_u32_sdwa s[0:1], v40, v13 src0_sel:WORD_0 src1_sel:DWORD
	s_nop 1
	v_cndmask_b32_e64 v39, v39, v40, s[0:1]
; %bb.206:                              ;   in Loop: Header=BB317_104 Depth=1
	s_or_b64 exec, exec, s[8:9]
	v_bfe_u32 v40, v2, 8, 8
	v_cvt_f32_fp8_sdwa v40, v40 src0_sel:BYTE_0
	s_nop 0
	v_mul_f32_e32 v41, s10, v40
	v_and_b32_e32 v40, 0x7f800000, v41
	v_cmp_ne_u32_e64 s[0:1], s14, v40
                                        ; implicit-def: $vgpr40
	s_and_saveexec_b64 s[8:9], s[0:1]
	s_xor_b64 s[0:1], exec, s[8:9]
; %bb.207:                              ;   in Loop: Header=BB317_104 Depth=1
	v_bfe_u32 v40, v41, 16, 1
	v_add3_u32 v40, v41, v40, s15
                                        ; implicit-def: $vgpr41
; %bb.208:                              ;   in Loop: Header=BB317_104 Depth=1
	s_andn2_saveexec_b64 s[8:9], s[0:1]
; %bb.209:                              ;   in Loop: Header=BB317_104 Depth=1
	v_or_b32_e32 v40, 0x10000, v41
	v_cmp_eq_u32_sdwa s[0:1], v41, v13 src0_sel:WORD_0 src1_sel:DWORD
	s_nop 1
	v_cndmask_b32_e64 v40, v40, v41, s[0:1]
; %bb.210:                              ;   in Loop: Header=BB317_104 Depth=1
	s_or_b64 exec, exec, s[8:9]
	v_bfe_u32 v41, v2, 16, 8
	v_cvt_f32_fp8_sdwa v41, v41 src0_sel:BYTE_0
	s_nop 0
	v_mul_f32_e32 v41, s10, v41
	v_and_b32_e32 v42, 0x7f800000, v41
	v_cmp_ne_u32_e64 s[0:1], s14, v42
                                        ; implicit-def: $vgpr42
	s_and_saveexec_b64 s[8:9], s[0:1]
	s_xor_b64 s[0:1], exec, s[8:9]
; %bb.211:                              ;   in Loop: Header=BB317_104 Depth=1
	v_bfe_u32 v42, v41, 16, 1
	v_add3_u32 v42, v41, v42, s15
                                        ; implicit-def: $vgpr41
; %bb.212:                              ;   in Loop: Header=BB317_104 Depth=1
	s_andn2_saveexec_b64 s[8:9], s[0:1]
; %bb.213:                              ;   in Loop: Header=BB317_104 Depth=1
	v_or_b32_e32 v42, 0x10000, v41
	v_cmp_eq_u32_sdwa s[0:1], v41, v13 src0_sel:WORD_0 src1_sel:DWORD
	s_nop 1
	v_cndmask_b32_e64 v42, v42, v41, s[0:1]
; %bb.214:                              ;   in Loop: Header=BB317_104 Depth=1
	s_or_b64 exec, exec, s[8:9]
	v_lshrrev_b32_e32 v2, 24, v2
	v_cvt_f32_fp8_sdwa v2, v2 src0_sel:BYTE_0
	s_nop 0
	v_mul_f32_e32 v41, s10, v2
	v_and_b32_e32 v2, 0x7f800000, v41
	v_cmp_ne_u32_e64 s[0:1], s14, v2
                                        ; implicit-def: $vgpr2
	s_and_saveexec_b64 s[8:9], s[0:1]
	s_xor_b64 s[0:1], exec, s[8:9]
; %bb.215:                              ;   in Loop: Header=BB317_104 Depth=1
	v_bfe_u32 v2, v41, 16, 1
	v_add3_u32 v2, v41, v2, s15
                                        ; implicit-def: $vgpr41
; %bb.216:                              ;   in Loop: Header=BB317_104 Depth=1
	s_andn2_saveexec_b64 s[8:9], s[0:1]
; %bb.217:                              ;   in Loop: Header=BB317_104 Depth=1
	v_or_b32_e32 v2, 0x10000, v41
	v_cmp_eq_u32_sdwa s[0:1], v41, v13 src0_sel:WORD_0 src1_sel:DWORD
	s_nop 1
	v_cndmask_b32_e64 v2, v2, v41, s[0:1]
; %bb.218:                              ;   in Loop: Header=BB317_104 Depth=1
	s_or_b64 exec, exec, s[8:9]
	v_and_b32_e32 v41, 0xff, v3
	v_cvt_f32_fp8_sdwa v41, v41 src0_sel:BYTE_0
	s_nop 0
	v_mul_f32_e32 v41, s10, v41
	v_and_b32_e32 v43, 0x7f800000, v41
	v_cmp_ne_u32_e64 s[0:1], s14, v43
                                        ; implicit-def: $vgpr43
	s_and_saveexec_b64 s[8:9], s[0:1]
	s_xor_b64 s[0:1], exec, s[8:9]
; %bb.219:                              ;   in Loop: Header=BB317_104 Depth=1
	v_bfe_u32 v43, v41, 16, 1
	v_add3_u32 v43, v41, v43, s15
                                        ; implicit-def: $vgpr41
; %bb.220:                              ;   in Loop: Header=BB317_104 Depth=1
	s_andn2_saveexec_b64 s[8:9], s[0:1]
; %bb.221:                              ;   in Loop: Header=BB317_104 Depth=1
	v_or_b32_e32 v43, 0x10000, v41
	v_cmp_eq_u32_sdwa s[0:1], v41, v13 src0_sel:WORD_0 src1_sel:DWORD
	s_nop 1
	v_cndmask_b32_e64 v43, v43, v41, s[0:1]
; %bb.222:                              ;   in Loop: Header=BB317_104 Depth=1
	s_or_b64 exec, exec, s[8:9]
	v_bfe_u32 v41, v3, 8, 8
	v_cvt_f32_fp8_sdwa v41, v41 src0_sel:BYTE_0
	s_nop 0
	v_mul_f32_e32 v44, s10, v41
	v_and_b32_e32 v41, 0x7f800000, v44
	v_cmp_ne_u32_e64 s[0:1], s14, v41
                                        ; implicit-def: $vgpr41
	s_and_saveexec_b64 s[8:9], s[0:1]
	s_xor_b64 s[0:1], exec, s[8:9]
; %bb.223:                              ;   in Loop: Header=BB317_104 Depth=1
	v_bfe_u32 v41, v44, 16, 1
	v_add3_u32 v41, v44, v41, s15
                                        ; implicit-def: $vgpr44
; %bb.224:                              ;   in Loop: Header=BB317_104 Depth=1
	s_andn2_saveexec_b64 s[8:9], s[0:1]
; %bb.225:                              ;   in Loop: Header=BB317_104 Depth=1
	v_or_b32_e32 v41, 0x10000, v44
	v_cmp_eq_u32_sdwa s[0:1], v44, v13 src0_sel:WORD_0 src1_sel:DWORD
	s_nop 1
	v_cndmask_b32_e64 v41, v41, v44, s[0:1]
; %bb.226:                              ;   in Loop: Header=BB317_104 Depth=1
	s_or_b64 exec, exec, s[8:9]
	v_bfe_u32 v44, v3, 16, 8
	v_cvt_f32_fp8_sdwa v44, v44 src0_sel:BYTE_0
	s_nop 0
	v_mul_f32_e32 v44, s10, v44
	v_and_b32_e32 v45, 0x7f800000, v44
	v_cmp_ne_u32_e64 s[0:1], s14, v45
                                        ; implicit-def: $vgpr45
	s_and_saveexec_b64 s[8:9], s[0:1]
	s_xor_b64 s[0:1], exec, s[8:9]
; %bb.227:                              ;   in Loop: Header=BB317_104 Depth=1
	v_bfe_u32 v45, v44, 16, 1
	v_add3_u32 v45, v44, v45, s15
                                        ; implicit-def: $vgpr44
; %bb.228:                              ;   in Loop: Header=BB317_104 Depth=1
	s_andn2_saveexec_b64 s[8:9], s[0:1]
; %bb.229:                              ;   in Loop: Header=BB317_104 Depth=1
	v_or_b32_e32 v45, 0x10000, v44
	v_cmp_eq_u32_sdwa s[0:1], v44, v13 src0_sel:WORD_0 src1_sel:DWORD
	s_nop 1
	v_cndmask_b32_e64 v45, v45, v44, s[0:1]
; %bb.230:                              ;   in Loop: Header=BB317_104 Depth=1
	s_or_b64 exec, exec, s[8:9]
	v_lshrrev_b32_e32 v3, 24, v3
	v_cvt_f32_fp8_sdwa v3, v3 src0_sel:BYTE_0
	s_nop 0
	v_mul_f32_e32 v44, s10, v3
	v_and_b32_e32 v3, 0x7f800000, v44
	v_cmp_ne_u32_e64 s[0:1], s14, v3
                                        ; implicit-def: $vgpr3
	s_and_saveexec_b64 s[8:9], s[0:1]
	s_xor_b64 s[0:1], exec, s[8:9]
; %bb.231:                              ;   in Loop: Header=BB317_104 Depth=1
	v_bfe_u32 v3, v44, 16, 1
	v_add3_u32 v3, v44, v3, s15
                                        ; implicit-def: $vgpr44
; %bb.232:                              ;   in Loop: Header=BB317_104 Depth=1
	s_andn2_saveexec_b64 s[8:9], s[0:1]
; %bb.233:                              ;   in Loop: Header=BB317_104 Depth=1
	v_or_b32_e32 v3, 0x10000, v44
	v_cmp_eq_u32_sdwa s[0:1], v44, v13 src0_sel:WORD_0 src1_sel:DWORD
	s_nop 1
	v_cndmask_b32_e64 v3, v3, v44, s[0:1]
; %bb.234:                              ;   in Loop: Header=BB317_104 Depth=1
	s_or_b64 exec, exec, s[8:9]
	v_lshrrev_b32_e32 v41, 16, v41
	v_lshrrev_b32_e32 v43, 16, v43
	;; [unrolled: 1-line block ×8, first 2 shown]
	s_and_saveexec_b64 s[0:1], vcc
	s_cbranch_execz .LBB317_236
; %bb.235:                              ;   in Loop: Header=BB317_104 Depth=1
	v_cmp_gt_i32_e32 vcc, s17, v23
	s_nop 1
	v_cndmask_b32_e32 v2, 0, v2, vcc
	v_cmp_gt_i32_e32 vcc, s17, v29
	s_nop 1
	v_cndmask_b32_e32 v40, 0, v40, vcc
	;; [unrolled: 3-line block ×8, first 2 shown]
.LBB317_236:                            ;   in Loop: Header=BB317_104 Depth=1
	s_or_b64 exec, exec, s[0:1]
	v_lshlrev_b32_e32 v2, 16, v2
	v_mul_f32_e32 v23, v31, v2
	v_and_b32_e32 v2, 0x7f800000, v23
	v_cmp_ne_u32_e32 vcc, s14, v2
                                        ; implicit-def: $vgpr2
	s_and_saveexec_b64 s[0:1], vcc
	s_xor_b64 s[0:1], exec, s[0:1]
; %bb.237:                              ;   in Loop: Header=BB317_104 Depth=1
	v_bfe_u32 v2, v23, 16, 1
	v_add3_u32 v2, v23, v2, s15
                                        ; implicit-def: $vgpr23
; %bb.238:                              ;   in Loop: Header=BB317_104 Depth=1
	s_andn2_saveexec_b64 s[0:1], s[0:1]
; %bb.239:                              ;   in Loop: Header=BB317_104 Depth=1
	v_or_b32_e32 v2, 0x10000, v23
	v_cmp_eq_u32_sdwa vcc, v23, v13 src0_sel:WORD_0 src1_sel:DWORD
	s_nop 1
	v_cndmask_b32_e32 v2, v2, v23, vcc
; %bb.240:                              ;   in Loop: Header=BB317_104 Depth=1
	s_or_b64 exec, exec, s[0:1]
	v_lshlrev_b32_e32 v23, 16, v40
	v_mul_f32_e32 v24, v32, v23
	v_and_b32_e32 v23, 0x7f800000, v24
	v_cmp_ne_u32_e32 vcc, s14, v23
                                        ; implicit-def: $vgpr23
	s_and_saveexec_b64 s[0:1], vcc
	s_xor_b64 s[0:1], exec, s[0:1]
; %bb.241:                              ;   in Loop: Header=BB317_104 Depth=1
	v_bfe_u32 v23, v24, 16, 1
	v_add3_u32 v23, v24, v23, s15
                                        ; implicit-def: $vgpr24
; %bb.242:                              ;   in Loop: Header=BB317_104 Depth=1
	s_andn2_saveexec_b64 s[0:1], s[0:1]
; %bb.243:                              ;   in Loop: Header=BB317_104 Depth=1
	v_or_b32_e32 v23, 0x10000, v24
	v_cmp_eq_u32_sdwa vcc, v24, v13 src0_sel:WORD_0 src1_sel:DWORD
	s_nop 1
	v_cndmask_b32_e32 v23, v23, v24, vcc
; %bb.244:                              ;   in Loop: Header=BB317_104 Depth=1
	s_or_b64 exec, exec, s[0:1]
	v_lshlrev_b32_e32 v24, 16, v42
	v_mul_f32_e32 v25, v33, v24
	v_and_b32_e32 v24, 0x7f800000, v25
	v_cmp_ne_u32_e32 vcc, s14, v24
                                        ; implicit-def: $vgpr24
	s_and_saveexec_b64 s[0:1], vcc
	s_xor_b64 s[0:1], exec, s[0:1]
; %bb.245:                              ;   in Loop: Header=BB317_104 Depth=1
	v_bfe_u32 v24, v25, 16, 1
	v_add3_u32 v24, v25, v24, s15
                                        ; implicit-def: $vgpr25
; %bb.246:                              ;   in Loop: Header=BB317_104 Depth=1
	s_andn2_saveexec_b64 s[0:1], s[0:1]
; %bb.247:                              ;   in Loop: Header=BB317_104 Depth=1
	v_or_b32_e32 v24, 0x10000, v25
	v_cmp_eq_u32_sdwa vcc, v25, v13 src0_sel:WORD_0 src1_sel:DWORD
	s_nop 1
	v_cndmask_b32_e32 v24, v24, v25, vcc
; %bb.248:                              ;   in Loop: Header=BB317_104 Depth=1
	s_or_b64 exec, exec, s[0:1]
	v_lshlrev_b32_e32 v25, 16, v44
	v_mul_f32_e32 v26, v34, v25
	v_and_b32_e32 v25, 0x7f800000, v26
	v_cmp_ne_u32_e32 vcc, s14, v25
                                        ; implicit-def: $vgpr25
	s_and_saveexec_b64 s[0:1], vcc
	s_xor_b64 s[0:1], exec, s[0:1]
; %bb.249:                              ;   in Loop: Header=BB317_104 Depth=1
	v_bfe_u32 v25, v26, 16, 1
	v_add3_u32 v25, v26, v25, s15
                                        ; implicit-def: $vgpr26
; %bb.250:                              ;   in Loop: Header=BB317_104 Depth=1
	s_andn2_saveexec_b64 s[0:1], s[0:1]
; %bb.251:                              ;   in Loop: Header=BB317_104 Depth=1
	v_or_b32_e32 v25, 0x10000, v26
	v_cmp_eq_u32_sdwa vcc, v26, v13 src0_sel:WORD_0 src1_sel:DWORD
	s_nop 1
	v_cndmask_b32_e32 v25, v25, v26, vcc
; %bb.252:                              ;   in Loop: Header=BB317_104 Depth=1
	s_or_b64 exec, exec, s[0:1]
	v_lshlrev_b32_e32 v26, 16, v43
	v_mul_f32_e32 v27, v35, v26
	v_and_b32_e32 v26, 0x7f800000, v27
	v_cmp_ne_u32_e32 vcc, s14, v26
                                        ; implicit-def: $vgpr26
	s_and_saveexec_b64 s[0:1], vcc
	s_xor_b64 s[0:1], exec, s[0:1]
; %bb.253:                              ;   in Loop: Header=BB317_104 Depth=1
	v_bfe_u32 v26, v27, 16, 1
	v_add3_u32 v26, v27, v26, s15
                                        ; implicit-def: $vgpr27
; %bb.254:                              ;   in Loop: Header=BB317_104 Depth=1
	s_andn2_saveexec_b64 s[0:1], s[0:1]
; %bb.255:                              ;   in Loop: Header=BB317_104 Depth=1
	v_or_b32_e32 v26, 0x10000, v27
	v_cmp_eq_u32_sdwa vcc, v27, v13 src0_sel:WORD_0 src1_sel:DWORD
	s_nop 1
	v_cndmask_b32_e32 v26, v26, v27, vcc
; %bb.256:                              ;   in Loop: Header=BB317_104 Depth=1
	s_or_b64 exec, exec, s[0:1]
	v_lshlrev_b32_e32 v27, 16, v41
	v_mul_f32_e32 v28, v36, v27
	v_and_b32_e32 v27, 0x7f800000, v28
	v_cmp_ne_u32_e32 vcc, s14, v27
                                        ; implicit-def: $vgpr27
	s_and_saveexec_b64 s[0:1], vcc
	s_xor_b64 s[0:1], exec, s[0:1]
; %bb.257:                              ;   in Loop: Header=BB317_104 Depth=1
	v_bfe_u32 v27, v28, 16, 1
	v_add3_u32 v27, v28, v27, s15
                                        ; implicit-def: $vgpr28
; %bb.258:                              ;   in Loop: Header=BB317_104 Depth=1
	s_andn2_saveexec_b64 s[0:1], s[0:1]
; %bb.259:                              ;   in Loop: Header=BB317_104 Depth=1
	v_or_b32_e32 v27, 0x10000, v28
	v_cmp_eq_u32_sdwa vcc, v28, v13 src0_sel:WORD_0 src1_sel:DWORD
	s_nop 1
	v_cndmask_b32_e32 v27, v27, v28, vcc
; %bb.260:                              ;   in Loop: Header=BB317_104 Depth=1
	s_or_b64 exec, exec, s[0:1]
	v_lshlrev_b32_e32 v28, 16, v39
	v_mul_f32_e32 v29, v37, v28
	v_and_b32_e32 v28, 0x7f800000, v29
	v_cmp_ne_u32_e32 vcc, s14, v28
                                        ; implicit-def: $vgpr28
	s_and_saveexec_b64 s[0:1], vcc
	s_xor_b64 s[0:1], exec, s[0:1]
; %bb.261:                              ;   in Loop: Header=BB317_104 Depth=1
	v_bfe_u32 v28, v29, 16, 1
	v_add3_u32 v28, v29, v28, s15
                                        ; implicit-def: $vgpr29
; %bb.262:                              ;   in Loop: Header=BB317_104 Depth=1
	s_andn2_saveexec_b64 s[0:1], s[0:1]
; %bb.263:                              ;   in Loop: Header=BB317_104 Depth=1
	v_or_b32_e32 v28, 0x10000, v29
	v_cmp_eq_u32_sdwa vcc, v29, v13 src0_sel:WORD_0 src1_sel:DWORD
	s_nop 1
	v_cndmask_b32_e32 v28, v28, v29, vcc
; %bb.264:                              ;   in Loop: Header=BB317_104 Depth=1
	s_or_b64 exec, exec, s[0:1]
	v_lshlrev_b32_e32 v3, 16, v3
	v_mul_f32_e32 v29, v38, v3
	v_and_b32_e32 v3, 0x7f800000, v29
	v_cmp_ne_u32_e32 vcc, s14, v3
                                        ; implicit-def: $vgpr3
	s_and_saveexec_b64 s[0:1], vcc
	s_xor_b64 s[0:1], exec, s[0:1]
; %bb.265:                              ;   in Loop: Header=BB317_104 Depth=1
	v_bfe_u32 v3, v29, 16, 1
	v_add3_u32 v3, v29, v3, s15
                                        ; implicit-def: $vgpr29
; %bb.266:                              ;   in Loop: Header=BB317_104 Depth=1
	s_andn2_saveexec_b64 s[0:1], s[0:1]
	s_cbranch_execz .LBB317_103
; %bb.267:                              ;   in Loop: Header=BB317_104 Depth=1
	v_or_b32_e32 v3, 0x10000, v29
	v_cmp_eq_u32_sdwa vcc, v29, v13 src0_sel:WORD_0 src1_sel:DWORD
	s_nop 1
	v_cndmask_b32_e32 v3, v3, v29, vcc
	s_branch .LBB317_103
.LBB317_268:
	s_or_b64 exec, exec, s[6:7]
.LBB317_269:
	s_or_b64 exec, exec, s[2:3]
	ds_bpermute_b32 v2, v19, v10
	ds_bpermute_b32 v3, v19, v11
	v_and_b32_e32 v1, 0x3c1, v0
	v_cmp_eq_u32_e32 vcc, 64, v1
	s_waitcnt lgkmcnt(0)
	s_barrier
	v_pk_add_f32 v[2:3], v[10:11], v[2:3]
	s_and_saveexec_b64 s[0:1], vcc
	s_cbranch_execz .LBB317_271
; %bb.270:
	v_mov_b32_e32 v1, 0x90
	v_lshl_add_u32 v1, v18, 1, v1
	ds_write2_b32 v1, v2, v3 offset1:32
.LBB317_271:
	s_or_b64 exec, exec, s[0:1]
	v_cmp_gt_u32_e32 vcc, 64, v0
	s_waitcnt lgkmcnt(0)
	s_barrier
	s_and_saveexec_b64 s[2:3], vcc
	s_cbranch_execz .LBB317_277
; %bb.272:
	v_cmp_eq_u32_e64 s[0:1], 0, v20
	v_lshrrev_b32_e32 v1, 1, v0
	s_and_saveexec_b64 s[6:7], s[0:1]
	s_cbranch_execz .LBB317_274
; %bb.273:
	v_mov_b32_e32 v4, 0x90
	v_lshl_add_u32 v4, v1, 2, v4
	ds_read_b32 v4, v4
	s_waitcnt lgkmcnt(0)
	v_add_f32_e32 v2, v2, v4
.LBB317_274:
	s_or_b64 exec, exec, s[6:7]
	s_and_saveexec_b64 s[6:7], s[0:1]
	s_cbranch_execz .LBB317_276
; %bb.275:
	v_mov_b32_e32 v4, 0x90
	v_lshl_add_u32 v1, v1, 2, v4
	ds_read_b32 v1, v1 offset:128
	s_waitcnt lgkmcnt(0)
	v_add_f32_e32 v3, v3, v1
.LBB317_276:
	s_or_b64 exec, exec, s[6:7]
.LBB317_277:
	s_or_b64 exec, exec, s[2:3]
	s_barrier
	s_and_saveexec_b64 s[0:1], vcc
	s_cbranch_execz .LBB317_288
; %bb.278:
	v_cmp_eq_u32_e32 vcc, 0, v20
	s_and_b64 exec, exec, vcc
	s_cbranch_execz .LBB317_288
; %bb.279:
	s_mov_b32 s0, 0x7f800000
	v_and_b32_e32 v1, 0x7f800000, v2
	v_cmp_ne_u32_e32 vcc, s0, v1
                                        ; implicit-def: $vgpr4
	s_and_saveexec_b64 s[0:1], vcc
	s_xor_b64 s[0:1], exec, s[0:1]
; %bb.280:
	v_bfe_u32 v1, v2, 16, 1
	s_movk_i32 s2, 0x7fff
	v_add3_u32 v4, v2, v1, s2
; %bb.281:
	s_andn2_saveexec_b64 s[0:1], s[0:1]
; %bb.282:
	v_mov_b32_e32 v1, 0
	v_or_b32_e32 v4, 0x10000, v2
	v_cmp_eq_u32_sdwa vcc, v2, v1 src0_sel:WORD_0 src1_sel:DWORD
	s_nop 1
	v_cndmask_b32_e32 v4, v4, v2, vcc
; %bb.283:
	s_or_b64 exec, exec, s[0:1]
	s_mul_i32 s0, s16, s12
	s_mul_i32 s0, s0, s5
	s_lshl_b32 s0, s0, 6
	s_ashr_i32 s1, s0, 31
	s_lshl_b64 s[0:1], s[0:1], 1
	s_add_u32 s2, s20, s0
	s_mul_i32 s0, s12, s18
	s_addc_u32 s3, s21, s1
	s_ashr_i32 s1, s0, 31
	s_lshl_b64 s[0:1], s[0:1], 1
	s_add_u32 s2, s2, s0
	s_addc_u32 s3, s3, s1
	s_lshl_b32 s0, s4, 6
	s_ashr_i32 s1, s0, 31
	s_lshl_b64 s[0:1], s[0:1], 1
	s_add_u32 s0, s2, s0
	s_mov_b32 s2, 0x7f800000
	v_and_b32_e32 v2, 0x7f800000, v3
	s_addc_u32 s1, s3, s1
	v_and_b32_e32 v0, 0x3fe, v0
	v_mov_b32_e32 v1, 0
	v_cmp_ne_u32_e32 vcc, s2, v2
	global_store_short_d16_hi v0, v4, s[0:1]
                                        ; implicit-def: $vgpr4
	s_and_saveexec_b64 s[2:3], vcc
	s_xor_b64 s[2:3], exec, s[2:3]
; %bb.284:
	v_bfe_u32 v2, v3, 16, 1
	s_movk_i32 s4, 0x7fff
	v_add3_u32 v4, v3, v2, s4
                                        ; implicit-def: $vgpr2_vgpr3
; %bb.285:
	s_or_saveexec_b64 s[2:3], s[2:3]
	v_lshl_add_u64 v[0:1], s[0:1], 0, v[0:1]
	s_xor_b64 exec, exec, s[2:3]
; %bb.286:
	v_mov_b32_e32 v2, 0
	v_or_b32_e32 v4, 0x10000, v3
	v_cmp_eq_u32_sdwa vcc, v3, v2 src0_sel:WORD_0 src1_sel:DWORD
	s_nop 1
	v_cndmask_b32_e32 v4, v4, v3, vcc
; %bb.287:
	s_or_b64 exec, exec, s[2:3]
	global_store_short_d16_hi v[0:1], v4, off offset:64
.LBB317_288:
	s_endpgm
	.section	.rodata,"a",@progbits
	.p2align	6, 0x0
	.amdhsa_kernel _ZN4vllm25paged_attention_v1_kernelI14__hip_bfloat16hLi64ELi16ELi128ELNS_18Fp8KVCacheDataTypeE1ELb0EEEvPT_PKS3_PKT0_S9_ifPKiSB_iPKfiiiSD_SD_iiiii
		.amdhsa_group_segment_fixed_size 144
		.amdhsa_private_segment_fixed_size 0
		.amdhsa_kernarg_size 384
		.amdhsa_user_sgpr_count 2
		.amdhsa_user_sgpr_dispatch_ptr 0
		.amdhsa_user_sgpr_queue_ptr 0
		.amdhsa_user_sgpr_kernarg_segment_ptr 1
		.amdhsa_user_sgpr_dispatch_id 0
		.amdhsa_user_sgpr_kernarg_preload_length 0
		.amdhsa_user_sgpr_kernarg_preload_offset 0
		.amdhsa_user_sgpr_private_segment_size 0
		.amdhsa_uses_dynamic_stack 0
		.amdhsa_enable_private_segment 0
		.amdhsa_system_sgpr_workgroup_id_x 1
		.amdhsa_system_sgpr_workgroup_id_y 1
		.amdhsa_system_sgpr_workgroup_id_z 1
		.amdhsa_system_sgpr_workgroup_info 0
		.amdhsa_system_vgpr_workitem_id 0
		.amdhsa_next_free_vgpr 50
		.amdhsa_next_free_sgpr 40
		.amdhsa_accum_offset 52
		.amdhsa_reserve_vcc 1
		.amdhsa_float_round_mode_32 0
		.amdhsa_float_round_mode_16_64 0
		.amdhsa_float_denorm_mode_32 3
		.amdhsa_float_denorm_mode_16_64 3
		.amdhsa_dx10_clamp 1
		.amdhsa_ieee_mode 1
		.amdhsa_fp16_overflow 0
		.amdhsa_tg_split 0
		.amdhsa_exception_fp_ieee_invalid_op 0
		.amdhsa_exception_fp_denorm_src 0
		.amdhsa_exception_fp_ieee_div_zero 0
		.amdhsa_exception_fp_ieee_overflow 0
		.amdhsa_exception_fp_ieee_underflow 0
		.amdhsa_exception_fp_ieee_inexact 0
		.amdhsa_exception_int_div_zero 0
	.end_amdhsa_kernel
	.section	.text._ZN4vllm25paged_attention_v1_kernelI14__hip_bfloat16hLi64ELi16ELi128ELNS_18Fp8KVCacheDataTypeE1ELb0EEEvPT_PKS3_PKT0_S9_ifPKiSB_iPKfiiiSD_SD_iiiii,"axG",@progbits,_ZN4vllm25paged_attention_v1_kernelI14__hip_bfloat16hLi64ELi16ELi128ELNS_18Fp8KVCacheDataTypeE1ELb0EEEvPT_PKS3_PKT0_S9_ifPKiSB_iPKfiiiSD_SD_iiiii,comdat
.Lfunc_end317:
	.size	_ZN4vllm25paged_attention_v1_kernelI14__hip_bfloat16hLi64ELi16ELi128ELNS_18Fp8KVCacheDataTypeE1ELb0EEEvPT_PKS3_PKT0_S9_ifPKiSB_iPKfiiiSD_SD_iiiii, .Lfunc_end317-_ZN4vllm25paged_attention_v1_kernelI14__hip_bfloat16hLi64ELi16ELi128ELNS_18Fp8KVCacheDataTypeE1ELb0EEEvPT_PKS3_PKT0_S9_ifPKiSB_iPKfiiiSD_SD_iiiii
                                        ; -- End function
	.section	.AMDGPU.csdata,"",@progbits
; Kernel info:
; codeLenInByte = 9164
; NumSgprs: 46
; NumVgprs: 50
; NumAgprs: 0
; TotalNumVgprs: 50
; ScratchSize: 0
; MemoryBound: 0
; FloatMode: 240
; IeeeMode: 1
; LDSByteSize: 144 bytes/workgroup (compile time only)
; SGPRBlocks: 5
; VGPRBlocks: 6
; NumSGPRsForWavesPerEU: 46
; NumVGPRsForWavesPerEU: 50
; AccumOffset: 52
; Occupancy: 8
; WaveLimiterHint : 1
; COMPUTE_PGM_RSRC2:SCRATCH_EN: 0
; COMPUTE_PGM_RSRC2:USER_SGPR: 2
; COMPUTE_PGM_RSRC2:TRAP_HANDLER: 0
; COMPUTE_PGM_RSRC2:TGID_X_EN: 1
; COMPUTE_PGM_RSRC2:TGID_Y_EN: 1
; COMPUTE_PGM_RSRC2:TGID_Z_EN: 1
; COMPUTE_PGM_RSRC2:TIDIG_COMP_CNT: 0
; COMPUTE_PGM_RSRC3_GFX90A:ACCUM_OFFSET: 12
; COMPUTE_PGM_RSRC3_GFX90A:TG_SPLIT: 0
	.section	.text._ZN4vllm25paged_attention_v1_kernelI14__hip_bfloat16hLi80ELi16ELi128ELNS_18Fp8KVCacheDataTypeE1ELb0EEEvPT_PKS3_PKT0_S9_ifPKiSB_iPKfiiiSD_SD_iiiii,"axG",@progbits,_ZN4vllm25paged_attention_v1_kernelI14__hip_bfloat16hLi80ELi16ELi128ELNS_18Fp8KVCacheDataTypeE1ELb0EEEvPT_PKS3_PKT0_S9_ifPKiSB_iPKfiiiSD_SD_iiiii,comdat
	.protected	_ZN4vllm25paged_attention_v1_kernelI14__hip_bfloat16hLi80ELi16ELi128ELNS_18Fp8KVCacheDataTypeE1ELb0EEEvPT_PKS3_PKT0_S9_ifPKiSB_iPKfiiiSD_SD_iiiii ; -- Begin function _ZN4vllm25paged_attention_v1_kernelI14__hip_bfloat16hLi80ELi16ELi128ELNS_18Fp8KVCacheDataTypeE1ELb0EEEvPT_PKS3_PKT0_S9_ifPKiSB_iPKfiiiSD_SD_iiiii
	.globl	_ZN4vllm25paged_attention_v1_kernelI14__hip_bfloat16hLi80ELi16ELi128ELNS_18Fp8KVCacheDataTypeE1ELb0EEEvPT_PKS3_PKT0_S9_ifPKiSB_iPKfiiiSD_SD_iiiii
	.p2align	8
	.type	_ZN4vllm25paged_attention_v1_kernelI14__hip_bfloat16hLi80ELi16ELi128ELNS_18Fp8KVCacheDataTypeE1ELb0EEEvPT_PKS3_PKT0_S9_ifPKiSB_iPKfiiiSD_SD_iiiii,@function
_ZN4vllm25paged_attention_v1_kernelI14__hip_bfloat16hLi80ELi16ELi128ELNS_18Fp8KVCacheDataTypeE1ELb0EEEvPT_PKS3_PKT0_S9_ifPKiSB_iPKfiiiSD_SD_iiiii: ; @_ZN4vllm25paged_attention_v1_kernelI14__hip_bfloat16hLi80ELi16ELi128ELNS_18Fp8KVCacheDataTypeE1ELb0EEEvPT_PKS3_PKT0_S9_ifPKiSB_iPKfiiiSD_SD_iiiii
; %bb.0:
	s_load_dword s5, s[0:1], 0x80
	s_load_dwordx2 s[6:7], s[0:1], 0x30
	s_load_dwordx2 s[28:29], s[0:1], 0x20
	s_mov_b32 s16, s3
	s_ashr_i32 s17, s3, 31
	s_lshl_b64 s[8:9], s[16:17], 2
	s_waitcnt lgkmcnt(0)
	s_add_u32 s6, s6, s8
	s_addc_u32 s7, s7, s9
	s_abs_i32 s3, s28
	v_cvt_f32_u32_e32 v1, s3
	s_sub_i32 s10, 0, s3
	s_abs_i32 s9, s5
	s_xor_b32 s8, s5, s28
	v_rcp_iflag_f32_e32 v1, v1
	s_ashr_i32 s8, s8, 31
	s_mov_b32 s28, 0
	v_mul_f32_e32 v1, 0x4f7ffffe, v1
	v_cvt_u32_f32_e32 v1, v1
	s_nop 0
	v_readfirstlane_b32 s11, v1
	s_mul_i32 s10, s10, s11
	s_mul_hi_u32 s10, s11, s10
	s_add_i32 s11, s11, s10
	s_mul_hi_u32 s10, s9, s11
	s_mul_i32 s11, s10, s3
	s_sub_i32 s9, s9, s11
	s_add_i32 s11, s10, 1
	s_sub_i32 s12, s9, s3
	s_cmp_ge_u32 s9, s3
	s_cselect_b32 s10, s11, s10
	s_cselect_b32 s9, s12, s9
	s_add_i32 s11, s10, 1
	s_cmp_ge_u32 s9, s3
	s_cselect_b32 s3, s11, s10
	s_xor_b32 s3, s3, s8
	s_sub_i32 s18, s3, s8
	s_abs_i32 s10, s18
	v_cvt_f32_u32_e32 v1, s10
	s_load_dwordx2 s[8:9], s[0:1], 0x40
	s_sub_i32 s3, 0, s10
	s_abs_i32 s11, s2
	v_rcp_iflag_f32_e32 v1, v1
	s_nop 0
	v_mul_f32_e32 v1, 0x4f7ffffe, v1
	v_cvt_u32_f32_e32 v1, v1
	s_nop 0
	v_readfirstlane_b32 s12, v1
	s_mul_i32 s3, s3, s12
	s_mul_hi_u32 s3, s12, s3
	s_add_i32 s12, s12, s3
	s_waitcnt lgkmcnt(0)
	s_cmp_eq_u64 s[8:9], 0
	s_mul_hi_u32 s17, s11, s12
	s_cbranch_scc1 .LBB318_2
; %bb.1:
	s_ashr_i32 s3, s2, 31
	s_lshl_b64 s[12:13], s[2:3], 2
	s_add_u32 s8, s8, s12
	s_addc_u32 s9, s9, s13
	s_load_dword s28, s[8:9], 0x0
.LBB318_2:
	s_load_dword s33, s[6:7], 0x0
	s_load_dwordx4 s[12:15], s[0:1], 0x48
	s_ashr_i32 s6, s2, 31
	s_ashr_i32 s7, s18, 31
	v_and_b32_e32 v6, 3, v0
	s_mul_i32 s18, s2, 0x50
	v_cmp_gt_u32_e32 vcc, 40, v0
	s_and_saveexec_b64 s[2:3], vcc
	s_cbranch_execz .LBB318_4
; %bb.3:
	s_load_dwordx2 s[8:9], s[0:1], 0x8
	s_waitcnt lgkmcnt(0)
	s_mul_i32 s20, s16, s12
	s_ashr_i32 s21, s20, 31
	s_lshl_b64 s[20:21], s[20:21], 1
	v_lshlrev_b32_e32 v1, 2, v0
	s_add_u32 s12, s8, s20
	s_addc_u32 s15, s9, s21
	s_ashr_i32 s19, s18, 31
	s_lshl_b64 s[8:9], s[18:19], 1
	s_add_u32 s8, s12, s8
	s_addc_u32 s9, s15, s9
	global_load_dword v1, v1, s[8:9]
	v_and_b32_e32 v2, 0x3fc, v0
	v_mad_u32_u24 v2, v6, 40, v2
	s_waitcnt vmcnt(0)
	ds_write_b32 v2, v1
.LBB318_4:
	s_or_b64 exec, exec, s[2:3]
	s_waitcnt lgkmcnt(0)
	s_add_i32 s3, s33, 15
	s_ashr_i32 s8, s3, 31
	s_lshr_b32 s8, s8, 28
	s_add_i32 s3, s3, s8
	s_ashr_i32 s19, s3, 4
	s_xor_b32 s3, s6, s7
	s_mul_i32 s6, s17, s10
	s_sub_i32 s6, s11, s6
	s_add_i32 s7, s17, 1
	s_sub_i32 s8, s6, s10
	s_load_dwordx2 s[22:23], s[0:1], 0x28
	s_load_dword s2, s[0:1], 0x38
	s_cmp_ge_u32 s6, s10
	s_cselect_b32 s7, s7, s17
	s_cselect_b32 s6, s8, s6
	s_add_i32 s8, s7, 1
	s_cmp_ge_u32 s6, s10
	s_cselect_b32 s6, s8, s7
	v_lshrrev_b32_e32 v1, 6, v0
	s_xor_b32 s6, s6, s3
	s_waitcnt lgkmcnt(0)
	s_mul_i32 s24, s16, s2
	s_sub_i32 s12, s6, s3
	s_ashr_i32 s25, s24, 31
	v_cmp_gt_i32_e64 s[6:7], s19, v1
	v_cmp_le_i32_e32 vcc, s19, v1
	v_mbcnt_lo_u32_b32 v7, -1, 0
	s_barrier
	s_waitcnt lgkmcnt(0)
                                        ; implicit-def: $sgpr15
                                        ; implicit-def: $vgpr10
                                        ; implicit-def: $vgpr12
	s_and_saveexec_b64 s[2:3], vcc
	s_xor_b64 s[2:3], exec, s[2:3]
; %bb.5:
	v_mbcnt_hi_u32_b32 v10, -1, v7
	v_and_b32_e32 v2, 64, v10
	v_add_u32_e32 v12, 64, v2
	s_mov_b32 s15, 0xff7fffff
                                        ; implicit-def: $vgpr6
                                        ; implicit-def: $vgpr7
; %bb.6:
	s_or_saveexec_b64 s[30:31], s[2:3]
	s_load_dwordx2 s[20:21], s[0:1], 0x0
	s_load_dwordx2 s[26:27], s[0:1], 0x18
	s_load_dword s17, s[0:1], 0x88
	s_load_dwordx4 s[8:11], s[0:1], 0x58
	v_mov_b32_e32 v33, s15
	s_mul_i32 s12, s12, s14
	v_lshrrev_b32_e32 v18, 4, v0
	s_xor_b64 exec, exec, s[30:31]
	s_cbranch_execz .LBB318_92
; %bb.7:
	s_load_dwordx2 s[0:1], s[0:1], 0x10
	v_mbcnt_hi_u32_b32 v10, -1, v7
	v_and_b32_e32 v7, 64, v10
	v_add_u32_e32 v12, 64, v7
	v_xor_b32_e32 v7, 2, v10
	v_cmp_lt_i32_e32 vcc, v7, v12
	s_ashr_i32 s2, s12, 31
	v_mul_u32_u24_e32 v8, 40, v6
	v_cndmask_b32_e32 v7, v10, v7, vcc
	v_bfe_u32 v33, v0, 2, 4
	s_waitcnt lgkmcnt(0)
	s_add_u32 s0, s0, s12
	ds_read2_b64 v[20:23], v8 offset1:1
	ds_read2_b64 v[26:29], v8 offset0:2 offset1:3
	ds_read_b64 v[8:9], v8 offset:32
	v_lshlrev_b32_e32 v34, 2, v7
	v_xor_b32_e32 v7, 1, v10
	v_lshlrev_b32_e32 v2, 4, v33
	s_addc_u32 s1, s1, s2
	v_mov_b32_e32 v3, 0
	v_cmp_lt_i32_e32 vcc, v7, v12
	s_load_dword s35, s[8:9], 0x0
	v_lshl_add_u64 v[4:5], s[0:1], 0, v[2:3]
	v_lshlrev_b32_e32 v2, 1, v6
	v_cndmask_b32_e32 v7, v10, v7, vcc
	v_cmp_eq_u32_e32 vcc, 0, v6
	s_sub_i32 s36, 1, s33
	v_lshlrev_b32_e32 v6, 2, v33
	s_lshl_b64 s[0:1], s[24:25], 2
	v_lshl_or_b32 v6, v1, 6, v6
	s_add_u32 s0, s22, s0
	v_lshlrev_b32_e32 v35, 2, v7
	v_add_u32_e32 v37, 0xb0, v6
	v_and_b32_e32 v6, 60, v18
	v_mov_b32_e32 v7, v3
	s_addc_u32 s1, s23, s1
	s_mov_b32 s34, s13
	s_waitcnt lgkmcnt(0)
	v_lshlrev_b32_e32 v11, 16, v20
	v_and_b32_e32 v13, 0xffff0000, v20
	v_lshlrev_b32_e32 v14, 16, v21
	v_and_b32_e32 v15, 0xffff0000, v21
	;; [unrolled: 2-line block ×10, first 2 shown]
	v_cmp_neq_f32_e64 s[2:3], s28, 0
	v_lshl_or_b32 v36, v1, 4, v33
	v_lshl_add_u64 v[6:7], s[0:1], 0, v[6:7]
	s_mov_b64 s[8:9], 0
	v_mov_b32_e32 v33, 0xff7fffff
	s_mov_b32 s37, 0xffff
	s_mov_b32 s38, 0x7f800000
	s_movk_i32 s39, 0x7fff
	v_mov_b32_e32 v38, v1
	s_branch .LBB318_9
.LBB318_8:                              ;   in Loop: Header=BB318_9 Depth=1
	s_or_b64 exec, exec, s[14:15]
	v_add_u32_e32 v38, 2, v38
	v_cmp_le_i32_e64 s[0:1], s19, v38
	v_add_u32_e32 v36, 32, v36
	v_add_u32_e32 v37, 0x80, v37
	s_or_b64 s[8:9], s[0:1], s[8:9]
	v_lshl_add_u64 v[6:7], v[6:7], 0, 8
	s_andn2_b64 exec, exec, s[8:9]
	s_cbranch_execz .LBB318_91
.LBB318_9:                              ; =>This Inner Loop Header: Depth=1
	global_load_dword v8, v[6:7], off
	s_waitcnt vmcnt(0) lgkmcnt(0)
	v_mad_i64_i32 v[8:9], s[0:1], v8, s34, v[4:5]
	v_lshl_add_u64 v[8:9], v[8:9], 0, v[2:3]
	global_load_ushort v40, v[8:9], off
	s_waitcnt vmcnt(0)
	v_and_b32_sdwa v39, s37, v40 dst_sel:DWORD dst_unused:UNUSED_PAD src0_sel:DWORD src1_sel:BYTE_0
	v_cvt_f32_fp8_sdwa v39, v39 src0_sel:BYTE_0
	s_nop 0
	v_mul_f32_e32 v41, s35, v39
	v_and_b32_e32 v39, 0x7f800000, v41
	v_cmp_ne_u32_e64 s[0:1], s38, v39
                                        ; implicit-def: $vgpr39
	s_and_saveexec_b64 s[14:15], s[0:1]
	s_xor_b64 s[0:1], exec, s[14:15]
; %bb.10:                               ;   in Loop: Header=BB318_9 Depth=1
	v_bfe_u32 v39, v41, 16, 1
	v_add3_u32 v39, v41, v39, s39
                                        ; implicit-def: $vgpr41
; %bb.11:                               ;   in Loop: Header=BB318_9 Depth=1
	s_andn2_saveexec_b64 s[14:15], s[0:1]
; %bb.12:                               ;   in Loop: Header=BB318_9 Depth=1
	v_or_b32_e32 v39, 0x10000, v41
	v_cmp_eq_u32_sdwa s[0:1], v41, v3 src0_sel:WORD_0 src1_sel:DWORD
	s_nop 1
	v_cndmask_b32_e64 v39, v39, v41, s[0:1]
; %bb.13:                               ;   in Loop: Header=BB318_9 Depth=1
	s_or_b64 exec, exec, s[14:15]
	v_lshrrev_b16_e32 v40, 8, v40
	v_cvt_f32_fp8_sdwa v40, v40 src0_sel:BYTE_0
	s_nop 0
	v_mul_f32_e32 v41, s35, v40
	v_and_b32_e32 v40, 0x7f800000, v41
	v_cmp_ne_u32_e64 s[0:1], s38, v40
                                        ; implicit-def: $vgpr40
	s_and_saveexec_b64 s[14:15], s[0:1]
	s_xor_b64 s[0:1], exec, s[14:15]
; %bb.14:                               ;   in Loop: Header=BB318_9 Depth=1
	v_bfe_u32 v40, v41, 16, 1
	v_add3_u32 v40, v41, v40, s39
                                        ; implicit-def: $vgpr41
; %bb.15:                               ;   in Loop: Header=BB318_9 Depth=1
	s_andn2_saveexec_b64 s[14:15], s[0:1]
; %bb.16:                               ;   in Loop: Header=BB318_9 Depth=1
	v_or_b32_e32 v40, 0x10000, v41
	v_cmp_eq_u32_sdwa s[0:1], v41, v3 src0_sel:WORD_0 src1_sel:DWORD
	s_nop 1
	v_cndmask_b32_e64 v40, v40, v41, s[0:1]
; %bb.17:                               ;   in Loop: Header=BB318_9 Depth=1
	s_or_b64 exec, exec, s[14:15]
	global_load_ushort v42, v[8:9], off offset:8
	s_waitcnt vmcnt(0)
	v_and_b32_sdwa v41, s37, v42 dst_sel:DWORD dst_unused:UNUSED_PAD src0_sel:DWORD src1_sel:BYTE_0
	v_cvt_f32_fp8_sdwa v41, v41 src0_sel:BYTE_0
	s_nop 0
	v_mul_f32_e32 v43, s35, v41
	v_and_b32_e32 v41, 0x7f800000, v43
	v_cmp_ne_u32_e64 s[0:1], s38, v41
                                        ; implicit-def: $vgpr41
	s_and_saveexec_b64 s[14:15], s[0:1]
	s_xor_b64 s[0:1], exec, s[14:15]
; %bb.18:                               ;   in Loop: Header=BB318_9 Depth=1
	v_bfe_u32 v41, v43, 16, 1
	v_add3_u32 v41, v43, v41, s39
                                        ; implicit-def: $vgpr43
; %bb.19:                               ;   in Loop: Header=BB318_9 Depth=1
	s_andn2_saveexec_b64 s[14:15], s[0:1]
; %bb.20:                               ;   in Loop: Header=BB318_9 Depth=1
	v_or_b32_e32 v41, 0x10000, v43
	v_cmp_eq_u32_sdwa s[0:1], v43, v3 src0_sel:WORD_0 src1_sel:DWORD
	s_nop 1
	v_cndmask_b32_e64 v41, v41, v43, s[0:1]
; %bb.21:                               ;   in Loop: Header=BB318_9 Depth=1
	s_or_b64 exec, exec, s[14:15]
	v_lshrrev_b16_e32 v42, 8, v42
	v_cvt_f32_fp8_sdwa v42, v42 src0_sel:BYTE_0
	s_nop 0
	v_mul_f32_e32 v43, s35, v42
	v_and_b32_e32 v42, 0x7f800000, v43
	v_cmp_ne_u32_e64 s[0:1], s38, v42
                                        ; implicit-def: $vgpr42
	s_and_saveexec_b64 s[14:15], s[0:1]
	s_xor_b64 s[0:1], exec, s[14:15]
; %bb.22:                               ;   in Loop: Header=BB318_9 Depth=1
	v_bfe_u32 v42, v43, 16, 1
	v_add3_u32 v42, v43, v42, s39
                                        ; implicit-def: $vgpr43
; %bb.23:                               ;   in Loop: Header=BB318_9 Depth=1
	s_andn2_saveexec_b64 s[14:15], s[0:1]
; %bb.24:                               ;   in Loop: Header=BB318_9 Depth=1
	v_or_b32_e32 v42, 0x10000, v43
	v_cmp_eq_u32_sdwa s[0:1], v43, v3 src0_sel:WORD_0 src1_sel:DWORD
	s_nop 1
	v_cndmask_b32_e64 v42, v42, v43, s[0:1]
; %bb.25:                               ;   in Loop: Header=BB318_9 Depth=1
	s_or_b64 exec, exec, s[14:15]
	global_load_ushort v44, v[8:9], off offset:256
	s_waitcnt vmcnt(0)
	v_and_b32_sdwa v43, s37, v44 dst_sel:DWORD dst_unused:UNUSED_PAD src0_sel:DWORD src1_sel:BYTE_0
	v_cvt_f32_fp8_sdwa v43, v43 src0_sel:BYTE_0
	s_nop 0
	v_mul_f32_e32 v45, s35, v43
	v_and_b32_e32 v43, 0x7f800000, v45
	v_cmp_ne_u32_e64 s[0:1], s38, v43
                                        ; implicit-def: $vgpr43
	s_and_saveexec_b64 s[14:15], s[0:1]
	s_xor_b64 s[0:1], exec, s[14:15]
; %bb.26:                               ;   in Loop: Header=BB318_9 Depth=1
	v_bfe_u32 v43, v45, 16, 1
	v_add3_u32 v43, v45, v43, s39
                                        ; implicit-def: $vgpr45
; %bb.27:                               ;   in Loop: Header=BB318_9 Depth=1
	s_andn2_saveexec_b64 s[14:15], s[0:1]
; %bb.28:                               ;   in Loop: Header=BB318_9 Depth=1
	v_or_b32_e32 v43, 0x10000, v45
	v_cmp_eq_u32_sdwa s[0:1], v45, v3 src0_sel:WORD_0 src1_sel:DWORD
	s_nop 1
	v_cndmask_b32_e64 v43, v43, v45, s[0:1]
; %bb.29:                               ;   in Loop: Header=BB318_9 Depth=1
	s_or_b64 exec, exec, s[14:15]
	v_lshrrev_b16_e32 v44, 8, v44
	v_cvt_f32_fp8_sdwa v44, v44 src0_sel:BYTE_0
	s_nop 0
	v_mul_f32_e32 v45, s35, v44
	v_and_b32_e32 v44, 0x7f800000, v45
	v_cmp_ne_u32_e64 s[0:1], s38, v44
                                        ; implicit-def: $vgpr44
	s_and_saveexec_b64 s[14:15], s[0:1]
	s_xor_b64 s[0:1], exec, s[14:15]
; %bb.30:                               ;   in Loop: Header=BB318_9 Depth=1
	v_bfe_u32 v44, v45, 16, 1
	v_add3_u32 v44, v45, v44, s39
                                        ; implicit-def: $vgpr45
; %bb.31:                               ;   in Loop: Header=BB318_9 Depth=1
	s_andn2_saveexec_b64 s[14:15], s[0:1]
; %bb.32:                               ;   in Loop: Header=BB318_9 Depth=1
	v_or_b32_e32 v44, 0x10000, v45
	v_cmp_eq_u32_sdwa s[0:1], v45, v3 src0_sel:WORD_0 src1_sel:DWORD
	s_nop 1
	v_cndmask_b32_e64 v44, v44, v45, s[0:1]
; %bb.33:                               ;   in Loop: Header=BB318_9 Depth=1
	s_or_b64 exec, exec, s[14:15]
	global_load_ushort v46, v[8:9], off offset:264
	s_waitcnt vmcnt(0)
	v_and_b32_sdwa v45, s37, v46 dst_sel:DWORD dst_unused:UNUSED_PAD src0_sel:DWORD src1_sel:BYTE_0
	v_cvt_f32_fp8_sdwa v45, v45 src0_sel:BYTE_0
	s_nop 0
	v_mul_f32_e32 v47, s35, v45
	v_and_b32_e32 v45, 0x7f800000, v47
	v_cmp_ne_u32_e64 s[0:1], s38, v45
                                        ; implicit-def: $vgpr45
	s_and_saveexec_b64 s[14:15], s[0:1]
	s_xor_b64 s[0:1], exec, s[14:15]
; %bb.34:                               ;   in Loop: Header=BB318_9 Depth=1
	v_bfe_u32 v45, v47, 16, 1
	v_add3_u32 v45, v47, v45, s39
                                        ; implicit-def: $vgpr47
; %bb.35:                               ;   in Loop: Header=BB318_9 Depth=1
	s_andn2_saveexec_b64 s[14:15], s[0:1]
; %bb.36:                               ;   in Loop: Header=BB318_9 Depth=1
	v_or_b32_e32 v45, 0x10000, v47
	v_cmp_eq_u32_sdwa s[0:1], v47, v3 src0_sel:WORD_0 src1_sel:DWORD
	s_nop 1
	v_cndmask_b32_e64 v45, v45, v47, s[0:1]
; %bb.37:                               ;   in Loop: Header=BB318_9 Depth=1
	s_or_b64 exec, exec, s[14:15]
	v_lshrrev_b16_e32 v46, 8, v46
	v_cvt_f32_fp8_sdwa v46, v46 src0_sel:BYTE_0
	s_nop 0
	v_mul_f32_e32 v47, s35, v46
	v_and_b32_e32 v46, 0x7f800000, v47
	v_cmp_ne_u32_e64 s[0:1], s38, v46
                                        ; implicit-def: $vgpr46
	s_and_saveexec_b64 s[14:15], s[0:1]
	s_xor_b64 s[0:1], exec, s[14:15]
; %bb.38:                               ;   in Loop: Header=BB318_9 Depth=1
	v_bfe_u32 v46, v47, 16, 1
	v_add3_u32 v46, v47, v46, s39
                                        ; implicit-def: $vgpr47
; %bb.39:                               ;   in Loop: Header=BB318_9 Depth=1
	s_andn2_saveexec_b64 s[14:15], s[0:1]
; %bb.40:                               ;   in Loop: Header=BB318_9 Depth=1
	v_or_b32_e32 v46, 0x10000, v47
	v_cmp_eq_u32_sdwa s[0:1], v47, v3 src0_sel:WORD_0 src1_sel:DWORD
	s_nop 1
	v_cndmask_b32_e64 v46, v46, v47, s[0:1]
; %bb.41:                               ;   in Loop: Header=BB318_9 Depth=1
	s_or_b64 exec, exec, s[14:15]
	global_load_ushort v48, v[8:9], off offset:512
	s_waitcnt vmcnt(0)
	v_and_b32_sdwa v47, s37, v48 dst_sel:DWORD dst_unused:UNUSED_PAD src0_sel:DWORD src1_sel:BYTE_0
	v_cvt_f32_fp8_sdwa v47, v47 src0_sel:BYTE_0
	s_nop 0
	v_mul_f32_e32 v49, s35, v47
	v_and_b32_e32 v47, 0x7f800000, v49
	v_cmp_ne_u32_e64 s[0:1], s38, v47
                                        ; implicit-def: $vgpr47
	s_and_saveexec_b64 s[14:15], s[0:1]
	s_xor_b64 s[0:1], exec, s[14:15]
; %bb.42:                               ;   in Loop: Header=BB318_9 Depth=1
	v_bfe_u32 v47, v49, 16, 1
	v_add3_u32 v47, v49, v47, s39
                                        ; implicit-def: $vgpr49
; %bb.43:                               ;   in Loop: Header=BB318_9 Depth=1
	s_andn2_saveexec_b64 s[14:15], s[0:1]
; %bb.44:                               ;   in Loop: Header=BB318_9 Depth=1
	v_or_b32_e32 v47, 0x10000, v49
	v_cmp_eq_u32_sdwa s[0:1], v49, v3 src0_sel:WORD_0 src1_sel:DWORD
	s_nop 1
	v_cndmask_b32_e64 v47, v47, v49, s[0:1]
; %bb.45:                               ;   in Loop: Header=BB318_9 Depth=1
	s_or_b64 exec, exec, s[14:15]
	v_lshrrev_b16_e32 v48, 8, v48
	v_cvt_f32_fp8_sdwa v48, v48 src0_sel:BYTE_0
	s_nop 0
	v_mul_f32_e32 v49, s35, v48
	v_and_b32_e32 v48, 0x7f800000, v49
	v_cmp_ne_u32_e64 s[0:1], s38, v48
                                        ; implicit-def: $vgpr48
	s_and_saveexec_b64 s[14:15], s[0:1]
	s_xor_b64 s[0:1], exec, s[14:15]
; %bb.46:                               ;   in Loop: Header=BB318_9 Depth=1
	v_bfe_u32 v48, v49, 16, 1
	v_add3_u32 v48, v49, v48, s39
                                        ; implicit-def: $vgpr49
; %bb.47:                               ;   in Loop: Header=BB318_9 Depth=1
	s_andn2_saveexec_b64 s[14:15], s[0:1]
; %bb.48:                               ;   in Loop: Header=BB318_9 Depth=1
	v_or_b32_e32 v48, 0x10000, v49
	v_cmp_eq_u32_sdwa s[0:1], v49, v3 src0_sel:WORD_0 src1_sel:DWORD
	s_nop 1
	v_cndmask_b32_e64 v48, v48, v49, s[0:1]
; %bb.49:                               ;   in Loop: Header=BB318_9 Depth=1
	s_or_b64 exec, exec, s[14:15]
	global_load_ushort v50, v[8:9], off offset:520
	s_waitcnt vmcnt(0)
	v_and_b32_sdwa v49, s37, v50 dst_sel:DWORD dst_unused:UNUSED_PAD src0_sel:DWORD src1_sel:BYTE_0
	v_cvt_f32_fp8_sdwa v49, v49 src0_sel:BYTE_0
	s_nop 0
	v_mul_f32_e32 v51, s35, v49
	v_and_b32_e32 v49, 0x7f800000, v51
	v_cmp_ne_u32_e64 s[0:1], s38, v49
                                        ; implicit-def: $vgpr49
	s_and_saveexec_b64 s[14:15], s[0:1]
	s_xor_b64 s[0:1], exec, s[14:15]
; %bb.50:                               ;   in Loop: Header=BB318_9 Depth=1
	v_bfe_u32 v49, v51, 16, 1
	v_add3_u32 v49, v51, v49, s39
                                        ; implicit-def: $vgpr51
; %bb.51:                               ;   in Loop: Header=BB318_9 Depth=1
	s_andn2_saveexec_b64 s[14:15], s[0:1]
; %bb.52:                               ;   in Loop: Header=BB318_9 Depth=1
	v_or_b32_e32 v49, 0x10000, v51
	v_cmp_eq_u32_sdwa s[0:1], v51, v3 src0_sel:WORD_0 src1_sel:DWORD
	s_nop 1
	v_cndmask_b32_e64 v49, v49, v51, s[0:1]
; %bb.53:                               ;   in Loop: Header=BB318_9 Depth=1
	s_or_b64 exec, exec, s[14:15]
	v_lshrrev_b16_e32 v50, 8, v50
	v_cvt_f32_fp8_sdwa v50, v50 src0_sel:BYTE_0
	s_nop 0
	v_mul_f32_e32 v51, s35, v50
	v_and_b32_e32 v50, 0x7f800000, v51
	v_cmp_ne_u32_e64 s[0:1], s38, v50
                                        ; implicit-def: $vgpr50
	s_and_saveexec_b64 s[14:15], s[0:1]
	s_xor_b64 s[0:1], exec, s[14:15]
; %bb.54:                               ;   in Loop: Header=BB318_9 Depth=1
	v_bfe_u32 v50, v51, 16, 1
	v_add3_u32 v50, v51, v50, s39
                                        ; implicit-def: $vgpr51
; %bb.55:                               ;   in Loop: Header=BB318_9 Depth=1
	s_andn2_saveexec_b64 s[14:15], s[0:1]
; %bb.56:                               ;   in Loop: Header=BB318_9 Depth=1
	v_or_b32_e32 v50, 0x10000, v51
	v_cmp_eq_u32_sdwa s[0:1], v51, v3 src0_sel:WORD_0 src1_sel:DWORD
	s_nop 1
	v_cndmask_b32_e64 v50, v50, v51, s[0:1]
; %bb.57:                               ;   in Loop: Header=BB318_9 Depth=1
	s_or_b64 exec, exec, s[14:15]
	global_load_ushort v52, v[8:9], off offset:768
	s_waitcnt vmcnt(0)
	v_and_b32_sdwa v51, s37, v52 dst_sel:DWORD dst_unused:UNUSED_PAD src0_sel:DWORD src1_sel:BYTE_0
	v_cvt_f32_fp8_sdwa v51, v51 src0_sel:BYTE_0
	s_nop 0
	v_mul_f32_e32 v53, s35, v51
	v_and_b32_e32 v51, 0x7f800000, v53
	v_cmp_ne_u32_e64 s[0:1], s38, v51
                                        ; implicit-def: $vgpr51
	s_and_saveexec_b64 s[14:15], s[0:1]
	s_xor_b64 s[0:1], exec, s[14:15]
; %bb.58:                               ;   in Loop: Header=BB318_9 Depth=1
	v_bfe_u32 v51, v53, 16, 1
	v_add3_u32 v51, v53, v51, s39
                                        ; implicit-def: $vgpr53
; %bb.59:                               ;   in Loop: Header=BB318_9 Depth=1
	s_andn2_saveexec_b64 s[14:15], s[0:1]
; %bb.60:                               ;   in Loop: Header=BB318_9 Depth=1
	v_or_b32_e32 v51, 0x10000, v53
	v_cmp_eq_u32_sdwa s[0:1], v53, v3 src0_sel:WORD_0 src1_sel:DWORD
	s_nop 1
	v_cndmask_b32_e64 v51, v51, v53, s[0:1]
; %bb.61:                               ;   in Loop: Header=BB318_9 Depth=1
	s_or_b64 exec, exec, s[14:15]
	v_lshrrev_b16_e32 v52, 8, v52
	v_cvt_f32_fp8_sdwa v52, v52 src0_sel:BYTE_0
	s_nop 0
	v_mul_f32_e32 v53, s35, v52
	v_and_b32_e32 v52, 0x7f800000, v53
	v_cmp_ne_u32_e64 s[0:1], s38, v52
                                        ; implicit-def: $vgpr52
	s_and_saveexec_b64 s[14:15], s[0:1]
	s_xor_b64 s[0:1], exec, s[14:15]
; %bb.62:                               ;   in Loop: Header=BB318_9 Depth=1
	v_bfe_u32 v52, v53, 16, 1
	v_add3_u32 v52, v53, v52, s39
                                        ; implicit-def: $vgpr53
; %bb.63:                               ;   in Loop: Header=BB318_9 Depth=1
	s_andn2_saveexec_b64 s[14:15], s[0:1]
; %bb.64:                               ;   in Loop: Header=BB318_9 Depth=1
	v_or_b32_e32 v52, 0x10000, v53
	v_cmp_eq_u32_sdwa s[0:1], v53, v3 src0_sel:WORD_0 src1_sel:DWORD
	s_nop 1
	v_cndmask_b32_e64 v52, v52, v53, s[0:1]
; %bb.65:                               ;   in Loop: Header=BB318_9 Depth=1
	s_or_b64 exec, exec, s[14:15]
	global_load_ushort v54, v[8:9], off offset:776
	s_waitcnt vmcnt(0)
	v_and_b32_sdwa v53, s37, v54 dst_sel:DWORD dst_unused:UNUSED_PAD src0_sel:DWORD src1_sel:BYTE_0
	v_cvt_f32_fp8_sdwa v53, v53 src0_sel:BYTE_0
	s_nop 0
	v_mul_f32_e32 v55, s35, v53
	v_and_b32_e32 v53, 0x7f800000, v55
	v_cmp_ne_u32_e64 s[0:1], s38, v53
                                        ; implicit-def: $vgpr53
	s_and_saveexec_b64 s[14:15], s[0:1]
	s_xor_b64 s[0:1], exec, s[14:15]
; %bb.66:                               ;   in Loop: Header=BB318_9 Depth=1
	v_bfe_u32 v53, v55, 16, 1
	v_add3_u32 v53, v55, v53, s39
                                        ; implicit-def: $vgpr55
; %bb.67:                               ;   in Loop: Header=BB318_9 Depth=1
	s_andn2_saveexec_b64 s[14:15], s[0:1]
; %bb.68:                               ;   in Loop: Header=BB318_9 Depth=1
	v_or_b32_e32 v53, 0x10000, v55
	v_cmp_eq_u32_sdwa s[0:1], v55, v3 src0_sel:WORD_0 src1_sel:DWORD
	s_nop 1
	v_cndmask_b32_e64 v53, v53, v55, s[0:1]
; %bb.69:                               ;   in Loop: Header=BB318_9 Depth=1
	s_or_b64 exec, exec, s[14:15]
	v_lshrrev_b16_e32 v54, 8, v54
	v_cvt_f32_fp8_sdwa v54, v54 src0_sel:BYTE_0
	s_nop 0
	v_mul_f32_e32 v55, s35, v54
	v_and_b32_e32 v54, 0x7f800000, v55
	v_cmp_ne_u32_e64 s[0:1], s38, v54
                                        ; implicit-def: $vgpr54
	s_and_saveexec_b64 s[14:15], s[0:1]
	s_xor_b64 s[0:1], exec, s[14:15]
; %bb.70:                               ;   in Loop: Header=BB318_9 Depth=1
	v_bfe_u32 v54, v55, 16, 1
	v_add3_u32 v54, v55, v54, s39
                                        ; implicit-def: $vgpr55
; %bb.71:                               ;   in Loop: Header=BB318_9 Depth=1
	s_andn2_saveexec_b64 s[14:15], s[0:1]
; %bb.72:                               ;   in Loop: Header=BB318_9 Depth=1
	v_or_b32_e32 v54, 0x10000, v55
	v_cmp_eq_u32_sdwa s[0:1], v55, v3 src0_sel:WORD_0 src1_sel:DWORD
	s_nop 1
	v_cndmask_b32_e64 v54, v54, v55, s[0:1]
; %bb.73:                               ;   in Loop: Header=BB318_9 Depth=1
	s_or_b64 exec, exec, s[14:15]
	global_load_ushort v56, v[8:9], off offset:1024
	s_waitcnt vmcnt(0)
	v_and_b32_sdwa v55, s37, v56 dst_sel:DWORD dst_unused:UNUSED_PAD src0_sel:DWORD src1_sel:BYTE_0
	v_cvt_f32_fp8_sdwa v55, v55 src0_sel:BYTE_0
	s_nop 0
	v_mul_f32_e32 v57, s35, v55
	v_and_b32_e32 v55, 0x7f800000, v57
	v_cmp_ne_u32_e64 s[0:1], s38, v55
                                        ; implicit-def: $vgpr55
	s_and_saveexec_b64 s[14:15], s[0:1]
	s_xor_b64 s[0:1], exec, s[14:15]
; %bb.74:                               ;   in Loop: Header=BB318_9 Depth=1
	v_bfe_u32 v55, v57, 16, 1
	v_add3_u32 v55, v57, v55, s39
                                        ; implicit-def: $vgpr57
; %bb.75:                               ;   in Loop: Header=BB318_9 Depth=1
	s_andn2_saveexec_b64 s[14:15], s[0:1]
; %bb.76:                               ;   in Loop: Header=BB318_9 Depth=1
	v_or_b32_e32 v55, 0x10000, v57
	v_cmp_eq_u32_sdwa s[0:1], v57, v3 src0_sel:WORD_0 src1_sel:DWORD
	s_nop 1
	v_cndmask_b32_e64 v55, v55, v57, s[0:1]
; %bb.77:                               ;   in Loop: Header=BB318_9 Depth=1
	s_or_b64 exec, exec, s[14:15]
	v_lshrrev_b16_e32 v56, 8, v56
	v_cvt_f32_fp8_sdwa v56, v56 src0_sel:BYTE_0
	s_nop 0
	v_mul_f32_e32 v57, s35, v56
	v_and_b32_e32 v56, 0x7f800000, v57
	v_cmp_ne_u32_e64 s[0:1], s38, v56
                                        ; implicit-def: $vgpr56
	s_and_saveexec_b64 s[14:15], s[0:1]
	s_xor_b64 s[0:1], exec, s[14:15]
; %bb.78:                               ;   in Loop: Header=BB318_9 Depth=1
	v_bfe_u32 v56, v57, 16, 1
	v_add3_u32 v56, v57, v56, s39
                                        ; implicit-def: $vgpr57
; %bb.79:                               ;   in Loop: Header=BB318_9 Depth=1
	s_andn2_saveexec_b64 s[14:15], s[0:1]
; %bb.80:                               ;   in Loop: Header=BB318_9 Depth=1
	v_or_b32_e32 v56, 0x10000, v57
	v_cmp_eq_u32_sdwa s[0:1], v57, v3 src0_sel:WORD_0 src1_sel:DWORD
	s_nop 1
	v_cndmask_b32_e64 v56, v56, v57, s[0:1]
; %bb.81:                               ;   in Loop: Header=BB318_9 Depth=1
	s_or_b64 exec, exec, s[14:15]
	global_load_ushort v9, v[8:9], off offset:1032
	s_waitcnt vmcnt(0)
	v_and_b32_sdwa v8, s37, v9 dst_sel:DWORD dst_unused:UNUSED_PAD src0_sel:DWORD src1_sel:BYTE_0
	v_cvt_f32_fp8_sdwa v8, v8 src0_sel:BYTE_0
	s_nop 0
	v_mul_f32_e32 v57, s35, v8
	v_and_b32_e32 v8, 0x7f800000, v57
	v_cmp_ne_u32_e64 s[0:1], s38, v8
                                        ; implicit-def: $vgpr8
	s_and_saveexec_b64 s[14:15], s[0:1]
	s_xor_b64 s[0:1], exec, s[14:15]
; %bb.82:                               ;   in Loop: Header=BB318_9 Depth=1
	v_bfe_u32 v8, v57, 16, 1
	v_add3_u32 v8, v57, v8, s39
                                        ; implicit-def: $vgpr57
; %bb.83:                               ;   in Loop: Header=BB318_9 Depth=1
	s_andn2_saveexec_b64 s[14:15], s[0:1]
; %bb.84:                               ;   in Loop: Header=BB318_9 Depth=1
	v_or_b32_e32 v8, 0x10000, v57
	v_cmp_eq_u32_sdwa s[0:1], v57, v3 src0_sel:WORD_0 src1_sel:DWORD
	s_nop 1
	v_cndmask_b32_e64 v8, v8, v57, s[0:1]
; %bb.85:                               ;   in Loop: Header=BB318_9 Depth=1
	s_or_b64 exec, exec, s[14:15]
	v_lshrrev_b16_e32 v9, 8, v9
	v_cvt_f32_fp8_sdwa v9, v9 src0_sel:BYTE_0
	s_nop 0
	v_mul_f32_e32 v57, s35, v9
	v_and_b32_e32 v9, 0x7f800000, v57
	v_cmp_ne_u32_e64 s[0:1], s38, v9
                                        ; implicit-def: $vgpr9
	s_and_saveexec_b64 s[14:15], s[0:1]
	s_xor_b64 s[0:1], exec, s[14:15]
; %bb.86:                               ;   in Loop: Header=BB318_9 Depth=1
	v_bfe_u32 v9, v57, 16, 1
	v_add3_u32 v9, v57, v9, s39
                                        ; implicit-def: $vgpr57
; %bb.87:                               ;   in Loop: Header=BB318_9 Depth=1
	s_andn2_saveexec_b64 s[14:15], s[0:1]
; %bb.88:                               ;   in Loop: Header=BB318_9 Depth=1
	v_or_b32_e32 v9, 0x10000, v57
	v_cmp_eq_u32_sdwa s[0:1], v57, v3 src0_sel:WORD_0 src1_sel:DWORD
	s_nop 1
	v_cndmask_b32_e64 v9, v9, v57, s[0:1]
; %bb.89:                               ;   in Loop: Header=BB318_9 Depth=1
	s_or_b64 exec, exec, s[14:15]
	v_and_b32_e32 v41, 0xffff0000, v41
	v_and_b32_e32 v42, 0xffff0000, v42
	;; [unrolled: 1-line block ×3, first 2 shown]
	v_mul_f32_e32 v41, v14, v41
	v_and_b32_e32 v40, 0xffff0000, v40
	v_fmac_f32_e32 v41, v11, v39
	v_mul_f32_e32 v39, v15, v42
	v_and_b32_e32 v44, 0xffff0000, v44
	v_and_b32_e32 v43, 0xffff0000, v43
	v_fmac_f32_e32 v39, v13, v40
	v_and_b32_e32 v46, 0xffff0000, v46
	v_and_b32_e32 v45, 0xffff0000, v45
	v_fmac_f32_e32 v41, v16, v43
	v_fmac_f32_e32 v39, v17, v44
	v_and_b32_e32 v48, 0xffff0000, v48
	v_and_b32_e32 v47, 0xffff0000, v47
	v_fmac_f32_e32 v41, v19, v45
	v_fmac_f32_e32 v39, v20, v46
	v_and_b32_e32 v50, 0xffff0000, v50
	v_and_b32_e32 v49, 0xffff0000, v49
	v_fmac_f32_e32 v41, v21, v47
	v_fmac_f32_e32 v39, v22, v48
	v_and_b32_e32 v52, 0xffff0000, v52
	v_and_b32_e32 v51, 0xffff0000, v51
	v_fmac_f32_e32 v41, v23, v49
	v_fmac_f32_e32 v39, v24, v50
	v_and_b32_e32 v54, 0xffff0000, v54
	v_and_b32_e32 v53, 0xffff0000, v53
	v_fmac_f32_e32 v41, v25, v51
	v_fmac_f32_e32 v39, v26, v52
	v_and_b32_e32 v56, 0xffff0000, v56
	v_and_b32_e32 v55, 0xffff0000, v55
	v_fmac_f32_e32 v41, v27, v53
	v_fmac_f32_e32 v39, v28, v54
	v_and_b32_e32 v8, 0xffff0000, v8
	v_and_b32_e32 v9, 0xffff0000, v9
	v_fmac_f32_e32 v41, v29, v55
	v_fmac_f32_e32 v39, v30, v56
	v_fmac_f32_e32 v41, v31, v8
	;; [unrolled: 1-line block ×3, first 2 shown]
	v_add_f32_e32 v8, v41, v39
	ds_bpermute_b32 v9, v34, v8
	s_waitcnt lgkmcnt(0)
	v_add_f32_e32 v8, v8, v9
	ds_bpermute_b32 v9, v35, v8
	s_and_saveexec_b64 s[14:15], vcc
	s_cbranch_execz .LBB318_8
; %bb.90:                               ;   in Loop: Header=BB318_9 Depth=1
	v_add_u32_e32 v39, s36, v36
	v_cvt_f32_i32_e32 v39, v39
	s_waitcnt lgkmcnt(0)
	v_add_f32_e32 v8, v8, v9
	v_cmp_gt_i32_e64 s[0:1], s33, v36
	v_max_f32_e32 v9, v33, v33
	v_mul_f32_e32 v39, s28, v39
	v_cndmask_b32_e64 v39, 0, v39, s[2:3]
	v_fmac_f32_e32 v39, s29, v8
	v_cndmask_b32_e64 v8, 0, v39, s[0:1]
	ds_write_b32 v37, v8
	v_max_f32_e32 v8, v9, v39
	v_cndmask_b32_e64 v33, v33, v8, s[0:1]
	s_branch .LBB318_8
.LBB318_91:
	s_or_b64 exec, exec, s[8:9]
.LBB318_92:
	s_or_b64 exec, exec, s[30:31]
	v_xor_b32_e32 v2, 32, v10
	v_cmp_lt_i32_e32 vcc, v2, v12
	v_xor_b32_e32 v5, 16, v10
	v_max_f32_e32 v4, v33, v33
	v_cndmask_b32_e32 v2, v10, v2, vcc
	v_lshlrev_b32_e32 v2, 2, v2
	ds_bpermute_b32 v3, v2, v33
	v_cmp_lt_i32_e32 vcc, v5, v12
	v_xor_b32_e32 v6, 8, v10
	v_xor_b32_e32 v8, 4, v10
	s_waitcnt lgkmcnt(0)
	v_max_f32_e32 v3, v3, v3
	v_max_f32_e32 v4, v4, v3
	v_cndmask_b32_e32 v3, v10, v5, vcc
	v_lshlrev_b32_e32 v3, 2, v3
	ds_bpermute_b32 v5, v3, v4
	v_cmp_lt_i32_e32 vcc, v6, v12
	s_waitcnt lgkmcnt(0)
	v_max_f32_e32 v5, v5, v5
	v_max_f32_e32 v4, v4, v5
	v_cndmask_b32_e32 v5, v10, v6, vcc
	v_lshlrev_b32_e32 v7, 2, v5
	ds_bpermute_b32 v5, v7, v4
	v_cmp_lt_i32_e32 vcc, v8, v12
	s_waitcnt lgkmcnt(0)
	v_max_f32_e32 v5, v5, v5
	v_max_f32_e32 v6, v4, v5
	v_cndmask_b32_e32 v4, v10, v8, vcc
	v_lshlrev_b32_e32 v8, 2, v4
	ds_bpermute_b32 v9, v8, v6
	v_and_b32_e32 v4, 63, v0
	v_cmp_eq_u32_e32 vcc, 0, v4
	v_lshlrev_b32_e32 v5, 2, v1
	s_and_saveexec_b64 s[0:1], vcc
	s_cbranch_execz .LBB318_94
; %bb.93:
	s_waitcnt lgkmcnt(0)
	v_max_f32_e32 v9, v9, v9
	v_max_f32_e32 v6, v6, v6
	;; [unrolled: 1-line block ×3, first 2 shown]
	ds_write_b32 v5, v6 offset:160
.LBB318_94:
	s_or_b64 exec, exec, s[0:1]
	v_cmp_gt_u32_e64 s[0:1], 2, v4
	s_waitcnt lgkmcnt(0)
	v_mov_b32_e32 v9, 0xff7fffff
	v_lshlrev_b32_e32 v6, 2, v4
	s_barrier
	s_and_saveexec_b64 s[2:3], s[0:1]
	s_cbranch_execz .LBB318_96
; %bb.95:
	ds_read_b32 v9, v6 offset:160
.LBB318_96:
	s_or_b64 exec, exec, s[2:3]
	v_xor_b32_e32 v11, 1, v10
	v_cmp_lt_i32_e64 s[2:3], v11, v12
	v_lshlrev_b32_e32 v14, 2, v10
	s_nop 0
	v_cndmask_b32_e64 v11, v10, v11, s[2:3]
	v_lshlrev_b32_e32 v11, 2, v11
	s_waitcnt lgkmcnt(0)
	ds_bpermute_b32 v13, v11, v9
	v_max_f32_e32 v9, v9, v9
	s_lshl_b32 s2, s19, 4
	s_min_i32 s30, s2, s33
	v_cmp_gt_i32_e64 s[2:3], s30, v0
	s_waitcnt lgkmcnt(0)
	v_max_f32_e32 v13, v13, v13
	v_max_f32_e32 v13, v9, v13
	v_and_b32_e32 v9, 0xffffff00, v14
	ds_bpermute_b32 v14, v9, v13
	v_mov_b32_e32 v13, 0
	s_and_saveexec_b64 s[14:15], s[2:3]
	s_cbranch_execz .LBB318_100
; %bb.97:
	v_mov_b32_e32 v13, 0xb0
	v_lshl_add_u32 v15, v0, 2, v13
	s_mov_b64 s[28:29], 0
	v_mov_b32_e32 v13, 0
	v_mov_b32_e32 v16, v0
.LBB318_98:                             ; =>This Inner Loop Header: Depth=1
	ds_read_b32 v17, v15
	v_add_u32_e32 v16, 0x80, v16
	v_cmp_le_i32_e64 s[8:9], s30, v16
	s_or_b64 s[28:29], s[8:9], s[28:29]
	s_waitcnt lgkmcnt(0)
	v_sub_f32_e32 v17, v17, v14
	v_mul_f32_e32 v17, 0x3fb8aa3b, v17
	v_exp_f32_e32 v17, v17
	ds_write_b32 v15, v17
	v_add_f32_e32 v13, v13, v17
	v_add_u32_e32 v15, 0x200, v15
	s_andn2_b64 exec, exec, s[28:29]
	s_cbranch_execnz .LBB318_98
; %bb.99:
	s_or_b64 exec, exec, s[28:29]
.LBB318_100:
	s_or_b64 exec, exec, s[14:15]
	ds_bpermute_b32 v2, v2, v13
	s_waitcnt lgkmcnt(0)
	v_add_f32_e32 v2, v13, v2
	ds_bpermute_b32 v3, v3, v2
	s_waitcnt lgkmcnt(0)
	v_add_f32_e32 v2, v2, v3
	ds_bpermute_b32 v3, v7, v2
	v_xor_b32_e32 v7, 2, v10
	v_cmp_lt_i32_e64 s[8:9], v7, v12
	s_waitcnt lgkmcnt(0)
	v_add_f32_e32 v2, v2, v3
	ds_bpermute_b32 v3, v8, v2
	v_cndmask_b32_e64 v7, v10, v7, s[8:9]
	s_waitcnt lgkmcnt(0)
	v_add_f32_e32 v2, v2, v3
	v_lshlrev_b32_e32 v3, 2, v7
	ds_bpermute_b32 v3, v3, v2
	s_waitcnt lgkmcnt(0)
	v_add_f32_e32 v2, v2, v3
	ds_bpermute_b32 v3, v11, v2
	s_waitcnt lgkmcnt(0)
	v_add_f32_e32 v2, v2, v3
	s_and_saveexec_b64 s[8:9], vcc
	s_cbranch_execz .LBB318_102
; %bb.101:
	ds_write_b32 v5, v2 offset:168
.LBB318_102:
	s_or_b64 exec, exec, s[8:9]
	s_waitcnt lgkmcnt(0)
	s_barrier
	s_and_saveexec_b64 s[8:9], s[0:1]
	s_cbranch_execz .LBB318_104
; %bb.103:
	ds_read_b32 v2, v6 offset:168
.LBB318_104:
	s_or_b64 exec, exec, s[8:9]
	s_waitcnt lgkmcnt(0)
	ds_bpermute_b32 v3, v11, v2
	s_waitcnt lgkmcnt(0)
	v_add_f32_e32 v2, v2, v3
	ds_bpermute_b32 v2, v9, v2
	s_and_saveexec_b64 s[0:1], s[2:3]
	s_cbranch_execz .LBB318_117
; %bb.105:
	s_waitcnt lgkmcnt(0)
	v_add_f32_e32 v2, 0x358637bd, v2
	v_div_scale_f32 v3, s[2:3], v2, v2, 1.0
	v_rcp_f32_e32 v5, v3
	v_div_scale_f32 v6, vcc, 1.0, v2, 1.0
	s_movk_i32 s2, 0x7f
	v_fma_f32 v7, -v3, v5, 1.0
	v_fmac_f32_e32 v5, v7, v5
	v_mul_f32_e32 v7, v6, v5
	v_fma_f32 v8, -v3, v7, v6
	v_fmac_f32_e32 v7, v8, v5
	v_fma_f32 v3, -v3, v7, v6
	v_div_fmas_f32 v3, v3, v5, v7
	v_xad_u32 v5, v0, -1, s30
	v_div_fixup_f32 v2, v3, v2, 1.0
	v_cmp_lt_u32_e32 vcc, s2, v5
	s_mov_b64 s[8:9], -1
	v_mov_b32_e32 v3, v0
	s_and_saveexec_b64 s[2:3], vcc
	s_cbranch_execz .LBB318_114
; %bb.106:
	v_lshrrev_b32_e32 v5, 7, v5
	v_add_u32_e32 v7, -1, v5
	v_lshrrev_b32_e32 v6, 1, v7
	v_mov_b32_e32 v3, v2
	v_add_u32_e32 v6, 1, v6
	v_cmp_lt_u32_e32 vcc, 13, v7
	v_mov_b32_e32 v9, 0
	s_and_saveexec_b64 s[8:9], vcc
	s_cbranch_execz .LBB318_110
; %bb.107:
	v_mov_b32_e32 v8, 0xb0
	v_and_b32_e32 v7, -8, v6
	v_lshl_add_u32 v8, v0, 2, v8
	s_mov_b32 s28, 0
	s_mov_b64 s[14:15], 0
.LBB318_108:                            ; =>This Inner Loop Header: Depth=1
	ds_read2st64_b32 v[12:13], v8 offset1:2
	ds_read2st64_b32 v[14:15], v8 offset0:4 offset1:6
	ds_read2st64_b32 v[16:17], v8 offset0:8 offset1:10
	ds_read2st64_b32 v[20:21], v8 offset0:12 offset1:14
	v_add_u32_e32 v7, -8, v7
	s_waitcnt lgkmcnt(3)
	v_pk_mul_f32 v[12:13], v[2:3], v[12:13]
	s_waitcnt lgkmcnt(2)
	v_pk_mul_f32 v[14:15], v[2:3], v[14:15]
	ds_write2st64_b32 v8, v12, v13 offset1:2
	ds_write2st64_b32 v8, v14, v15 offset0:4 offset1:6
	ds_read2st64_b32 v[14:15], v8 offset0:16 offset1:18
	s_waitcnt lgkmcnt(4)
	v_pk_mul_f32 v[12:13], v[2:3], v[16:17]
	ds_write2st64_b32 v8, v12, v13 offset0:8 offset1:10
	s_waitcnt lgkmcnt(4)
	v_pk_mul_f32 v[12:13], v[2:3], v[20:21]
	ds_write2st64_b32 v8, v12, v13 offset0:12 offset1:14
	ds_read2st64_b32 v[12:13], v8 offset0:20 offset1:22
	s_waitcnt lgkmcnt(3)
	v_pk_mul_f32 v[14:15], v[2:3], v[14:15]
	ds_read2st64_b32 v[16:17], v8 offset0:24 offset1:26
	ds_write2st64_b32 v8, v14, v15 offset0:16 offset1:18
	ds_read2st64_b32 v[14:15], v8 offset0:28 offset1:30
	s_waitcnt lgkmcnt(3)
	v_pk_mul_f32 v[12:13], v[2:3], v[12:13]
	ds_write2st64_b32 v8, v12, v13 offset0:20 offset1:22
	s_waitcnt lgkmcnt(3)
	v_pk_mul_f32 v[12:13], v[2:3], v[16:17]
	ds_write2st64_b32 v8, v12, v13 offset0:24 offset1:26
	s_waitcnt lgkmcnt(2)
	v_pk_mul_f32 v[12:13], v[2:3], v[14:15]
	s_add_i32 s28, s28, 16
	v_cmp_eq_u32_e32 vcc, 0, v7
	ds_write2st64_b32 v8, v12, v13 offset0:28 offset1:30
	v_add_u32_e32 v8, 0x2000, v8
	s_or_b64 s[14:15], vcc, s[14:15]
	v_mov_b32_e32 v9, s28
	s_andn2_b64 exec, exec, s[14:15]
	s_cbranch_execnz .LBB318_108
; %bb.109:
	s_or_b64 exec, exec, s[14:15]
.LBB318_110:
	s_or_b64 exec, exec, s[8:9]
	v_and_b32_e32 v6, 7, v6
	v_cmp_ne_u32_e32 vcc, 0, v6
	s_and_saveexec_b64 s[8:9], vcc
	s_cbranch_execz .LBB318_113
; %bb.111:
	v_lshlrev_b32_e32 v7, 9, v9
	v_lshlrev_b32_e32 v8, 2, v0
	s_movk_i32 s14, 0xb0
	v_add3_u32 v7, v7, v8, s14
	s_mov_b64 s[14:15], 0
.LBB318_112:                            ; =>This Inner Loop Header: Depth=1
	ds_read2st64_b32 v[8:9], v7 offset1:2
	v_add_u32_e32 v6, -1, v6
	v_cmp_eq_u32_e32 vcc, 0, v6
	s_or_b64 s[14:15], vcc, s[14:15]
	s_waitcnt lgkmcnt(0)
	v_pk_mul_f32 v[8:9], v[2:3], v[8:9]
	ds_write2st64_b32 v7, v8, v9 offset1:2
	v_add_u32_e32 v7, 0x400, v7
	s_andn2_b64 exec, exec, s[14:15]
	s_cbranch_execnz .LBB318_112
.LBB318_113:
	s_or_b64 exec, exec, s[8:9]
	v_add_u32_e32 v5, 1, v5
	v_and_b32_e32 v6, 0x3fffffe, v5
	v_cmp_ne_u32_e32 vcc, v5, v6
	v_lshl_add_u32 v3, v6, 7, v0
	s_orn2_b64 s[8:9], vcc, exec
.LBB318_114:
	s_or_b64 exec, exec, s[2:3]
	s_and_b64 exec, exec, s[8:9]
	s_cbranch_execz .LBB318_117
; %bb.115:
	v_mov_b32_e32 v5, 0xb0
	v_lshl_add_u32 v5, v3, 2, v5
	s_mov_b64 s[2:3], 0
.LBB318_116:                            ; =>This Inner Loop Header: Depth=1
	ds_read_b32 v6, v5
	v_add_u32_e32 v3, 0x80, v3
	v_cmp_le_i32_e32 vcc, s30, v3
	s_or_b64 s[2:3], vcc, s[2:3]
	s_waitcnt lgkmcnt(0)
	v_mul_f32_e32 v6, v2, v6
	ds_write_b32 v5, v6
	v_add_u32_e32 v5, 0x200, v5
	s_andn2_b64 exec, exec, s[2:3]
	s_cbranch_execnz .LBB318_116
.LBB318_117:
	s_or_b64 exec, exec, s[0:1]
	v_mov_b32_e32 v10, 0
	v_lshrrev_b32_e32 v21, 1, v4
	v_and_b32_e32 v20, 1, v0
	v_mov_b32_e32 v15, v10
	v_mov_b32_e32 v14, v10
	s_waitcnt lgkmcnt(0)
	s_barrier
	s_and_saveexec_b64 s[8:9], s[6:7]
	s_cbranch_execz .LBB318_353
; %bb.118:
	s_ashr_i32 s0, s12, 31
	v_lshlrev_b32_e32 v2, 3, v0
	s_add_u32 s6, s26, s12
	v_and_b32_e32 v2, 8, v2
	s_addc_u32 s7, s27, s0
	v_or_b32_e32 v3, 64, v21
	s_movk_i32 s0, 0x50
	s_load_dword s27, s[10:11], 0x0
	v_cmp_gt_u32_e32 vcc, s0, v3
	v_lshl_or_b32 v16, v3, 4, v2
	v_lshlrev_b32_e32 v3, 4, v1
	s_add_i32 s26, s19, -1
	v_lshl_or_b32 v12, v21, 4, v2
	v_or3_b32 v22, v3, v2, 7
	v_lshlrev_b32_e32 v2, 5, v20
	s_lshl_b64 s[0:1], s[24:25], 2
	v_mov_b32_e32 v13, 0
	v_lshl_or_b32 v2, v1, 6, v2
	s_add_u32 s0, s22, s0
	v_add_u32_e32 v23, 0xb0, v2
	v_and_b32_e32 v2, 60, v18
	v_mov_b32_e32 v3, v13
	s_addc_u32 s1, s23, s1
	s_mov_b32 s28, s13
	v_mov_b32_e32 v17, v13
	v_lshl_add_u64 v[18:19], s[0:1], 0, v[2:3]
	s_mov_b64 s[10:11], 0
	s_mov_b32 s22, 0x7f800000
	s_movk_i32 s23, 0x7fff
	v_mov_b32_e32 v14, v13
	v_mov_b32_e32 v15, v13
	;; [unrolled: 1-line block ×3, first 2 shown]
	s_branch .LBB318_121
.LBB318_119:                            ;   in Loop: Header=BB318_121 Depth=1
	s_or_b64 exec, exec, s[2:3]
	v_and_b32_e32 v25, 0xffff0000, v24
	v_and_b32_e32 v24, 0xffff0000, v9
	;; [unrolled: 1-line block ×8, first 2 shown]
	v_pk_add_f32 v[2:3], v[4:5], v[26:27]
	v_pk_add_f32 v[4:5], v[8:9], v[24:25]
	v_add_f32_e32 v2, v2, v3
	v_add_f32_e32 v2, v2, v4
	;; [unrolled: 1-line block ×4, first 2 shown]
.LBB318_120:                            ;   in Loop: Header=BB318_121 Depth=1
	s_or_b64 exec, exec, s[12:13]
	v_add_u32_e32 v1, 2, v1
	v_cmp_le_i32_e64 s[0:1], s19, v1
	v_add_u32_e32 v22, 32, v22
	v_add_u32_e32 v23, 0x80, v23
	s_or_b64 s[10:11], s[0:1], s[10:11]
	v_lshl_add_u64 v[18:19], v[18:19], 0, 8
	s_andn2_b64 exec, exec, s[10:11]
	s_cbranch_execz .LBB318_352
.LBB318_121:                            ; =>This Inner Loop Header: Depth=1
	global_load_dword v32, v[18:19], off
	ds_read2_b64 v[6:9], v23 offset1:1
	ds_read2_b64 v[2:5], v23 offset0:2 offset1:3
                                        ; implicit-def: $vgpr29
	s_waitcnt lgkmcnt(0)
	v_and_b32_e32 v24, 0x7f800000, v6
	v_cmp_ne_u32_e64 s[0:1], s22, v24
	s_and_saveexec_b64 s[2:3], s[0:1]
	s_xor_b64 s[0:1], exec, s[2:3]
; %bb.122:                              ;   in Loop: Header=BB318_121 Depth=1
	v_bfe_u32 v24, v6, 16, 1
	v_add3_u32 v29, v6, v24, s23
; %bb.123:                              ;   in Loop: Header=BB318_121 Depth=1
	s_andn2_saveexec_b64 s[2:3], s[0:1]
; %bb.124:                              ;   in Loop: Header=BB318_121 Depth=1
	v_or_b32_e32 v24, 0x10000, v6
	v_cmp_eq_u32_sdwa s[0:1], v6, v13 src0_sel:WORD_0 src1_sel:DWORD
	s_nop 1
	v_cndmask_b32_e64 v29, v24, v6, s[0:1]
; %bb.125:                              ;   in Loop: Header=BB318_121 Depth=1
	s_or_b64 exec, exec, s[2:3]
	v_and_b32_e32 v6, 0x7f800000, v7
	v_cmp_ne_u32_e64 s[0:1], s22, v6
                                        ; implicit-def: $vgpr30
	s_and_saveexec_b64 s[2:3], s[0:1]
	s_xor_b64 s[0:1], exec, s[2:3]
; %bb.126:                              ;   in Loop: Header=BB318_121 Depth=1
	v_bfe_u32 v6, v7, 16, 1
	v_add3_u32 v30, v7, v6, s23
; %bb.127:                              ;   in Loop: Header=BB318_121 Depth=1
	s_andn2_saveexec_b64 s[2:3], s[0:1]
; %bb.128:                              ;   in Loop: Header=BB318_121 Depth=1
	v_or_b32_e32 v6, 0x10000, v7
	v_cmp_eq_u32_sdwa s[0:1], v7, v13 src0_sel:WORD_0 src1_sel:DWORD
	s_nop 1
	v_cndmask_b32_e64 v30, v6, v7, s[0:1]
; %bb.129:                              ;   in Loop: Header=BB318_121 Depth=1
	s_or_b64 exec, exec, s[2:3]
	v_and_b32_e32 v6, 0x7f800000, v8
	v_cmp_ne_u32_e64 s[0:1], s22, v6
                                        ; implicit-def: $vgpr31
	s_and_saveexec_b64 s[2:3], s[0:1]
	s_xor_b64 s[0:1], exec, s[2:3]
; %bb.130:                              ;   in Loop: Header=BB318_121 Depth=1
	v_bfe_u32 v6, v8, 16, 1
	v_add3_u32 v31, v8, v6, s23
; %bb.131:                              ;   in Loop: Header=BB318_121 Depth=1
	s_andn2_saveexec_b64 s[2:3], s[0:1]
; %bb.132:                              ;   in Loop: Header=BB318_121 Depth=1
	v_or_b32_e32 v6, 0x10000, v8
	v_cmp_eq_u32_sdwa s[0:1], v8, v13 src0_sel:WORD_0 src1_sel:DWORD
	s_nop 1
	v_cndmask_b32_e64 v31, v6, v8, s[0:1]
; %bb.133:                              ;   in Loop: Header=BB318_121 Depth=1
	s_or_b64 exec, exec, s[2:3]
	v_and_b32_e32 v6, 0x7f800000, v9
	v_cmp_ne_u32_e64 s[0:1], s22, v6
                                        ; implicit-def: $vgpr24
	s_and_saveexec_b64 s[2:3], s[0:1]
	s_xor_b64 s[0:1], exec, s[2:3]
; %bb.134:                              ;   in Loop: Header=BB318_121 Depth=1
	v_bfe_u32 v6, v9, 16, 1
	v_add3_u32 v24, v9, v6, s23
                                        ; implicit-def: $vgpr6_vgpr7_vgpr8_vgpr9
; %bb.135:                              ;   in Loop: Header=BB318_121 Depth=1
	s_andn2_saveexec_b64 s[2:3], s[0:1]
; %bb.136:                              ;   in Loop: Header=BB318_121 Depth=1
	v_or_b32_e32 v6, 0x10000, v9
	v_cmp_eq_u32_sdwa s[0:1], v9, v13 src0_sel:WORD_0 src1_sel:DWORD
	s_nop 1
	v_cndmask_b32_e64 v24, v6, v9, s[0:1]
; %bb.137:                              ;   in Loop: Header=BB318_121 Depth=1
	s_or_b64 exec, exec, s[2:3]
	v_and_b32_e32 v6, 0x7f800000, v2
	v_cmp_ne_u32_e64 s[0:1], s22, v6
                                        ; implicit-def: $vgpr25
	s_and_saveexec_b64 s[2:3], s[0:1]
	s_xor_b64 s[0:1], exec, s[2:3]
; %bb.138:                              ;   in Loop: Header=BB318_121 Depth=1
	v_bfe_u32 v6, v2, 16, 1
	v_add3_u32 v25, v2, v6, s23
; %bb.139:                              ;   in Loop: Header=BB318_121 Depth=1
	s_andn2_saveexec_b64 s[2:3], s[0:1]
; %bb.140:                              ;   in Loop: Header=BB318_121 Depth=1
	v_or_b32_e32 v6, 0x10000, v2
	v_cmp_eq_u32_sdwa s[0:1], v2, v13 src0_sel:WORD_0 src1_sel:DWORD
	s_nop 1
	v_cndmask_b32_e64 v25, v6, v2, s[0:1]
; %bb.141:                              ;   in Loop: Header=BB318_121 Depth=1
	s_or_b64 exec, exec, s[2:3]
	v_and_b32_e32 v2, 0x7f800000, v3
	v_cmp_ne_u32_e64 s[0:1], s22, v2
                                        ; implicit-def: $vgpr26
	s_and_saveexec_b64 s[2:3], s[0:1]
	s_xor_b64 s[0:1], exec, s[2:3]
; %bb.142:                              ;   in Loop: Header=BB318_121 Depth=1
	v_bfe_u32 v2, v3, 16, 1
	v_add3_u32 v26, v3, v2, s23
; %bb.143:                              ;   in Loop: Header=BB318_121 Depth=1
	s_andn2_saveexec_b64 s[2:3], s[0:1]
; %bb.144:                              ;   in Loop: Header=BB318_121 Depth=1
	v_or_b32_e32 v2, 0x10000, v3
	v_cmp_eq_u32_sdwa s[0:1], v3, v13 src0_sel:WORD_0 src1_sel:DWORD
	s_nop 1
	v_cndmask_b32_e64 v26, v2, v3, s[0:1]
; %bb.145:                              ;   in Loop: Header=BB318_121 Depth=1
	s_or_b64 exec, exec, s[2:3]
	v_and_b32_e32 v2, 0x7f800000, v4
	v_cmp_ne_u32_e64 s[0:1], s22, v2
                                        ; implicit-def: $vgpr27
	s_and_saveexec_b64 s[2:3], s[0:1]
	s_xor_b64 s[0:1], exec, s[2:3]
; %bb.146:                              ;   in Loop: Header=BB318_121 Depth=1
	v_bfe_u32 v2, v4, 16, 1
	v_add3_u32 v27, v4, v2, s23
; %bb.147:                              ;   in Loop: Header=BB318_121 Depth=1
	s_andn2_saveexec_b64 s[2:3], s[0:1]
; %bb.148:                              ;   in Loop: Header=BB318_121 Depth=1
	v_or_b32_e32 v2, 0x10000, v4
	v_cmp_eq_u32_sdwa s[0:1], v4, v13 src0_sel:WORD_0 src1_sel:DWORD
	s_nop 1
	v_cndmask_b32_e64 v27, v2, v4, s[0:1]
; %bb.149:                              ;   in Loop: Header=BB318_121 Depth=1
	s_or_b64 exec, exec, s[2:3]
	v_and_b32_e32 v2, 0x7f800000, v5
	v_cmp_ne_u32_e64 s[0:1], s22, v2
                                        ; implicit-def: $vgpr28
	s_and_saveexec_b64 s[2:3], s[0:1]
	s_xor_b64 s[0:1], exec, s[2:3]
; %bb.150:                              ;   in Loop: Header=BB318_121 Depth=1
	v_bfe_u32 v2, v5, 16, 1
	v_add3_u32 v28, v5, v2, s23
                                        ; implicit-def: $vgpr2_vgpr3_vgpr4_vgpr5
; %bb.151:                              ;   in Loop: Header=BB318_121 Depth=1
	s_andn2_saveexec_b64 s[2:3], s[0:1]
; %bb.152:                              ;   in Loop: Header=BB318_121 Depth=1
	v_or_b32_e32 v2, 0x10000, v5
	v_cmp_eq_u32_sdwa s[0:1], v5, v13 src0_sel:WORD_0 src1_sel:DWORD
	s_nop 1
	v_cndmask_b32_e64 v28, v2, v5, s[0:1]
; %bb.153:                              ;   in Loop: Header=BB318_121 Depth=1
	s_or_b64 exec, exec, s[2:3]
	v_mov_b64_e32 v[2:3], s[6:7]
	s_waitcnt vmcnt(0)
	v_mad_i64_i32 v[2:3], s[0:1], v32, s28, v[2:3]
	v_lshl_add_u64 v[4:5], v[2:3], 0, v[12:13]
	global_load_dwordx2 v[6:7], v[4:5], off
	s_waitcnt vmcnt(0)
	v_and_b32_e32 v8, 0xff, v6
	v_cvt_f32_fp8_sdwa v8, v8 src0_sel:BYTE_0
	s_nop 0
	v_mul_f32_e32 v9, s27, v8
	v_and_b32_e32 v8, 0x7f800000, v9
	v_cmp_ne_u32_e64 s[0:1], s22, v8
                                        ; implicit-def: $vgpr8
	s_and_saveexec_b64 s[2:3], s[0:1]
	s_xor_b64 s[0:1], exec, s[2:3]
; %bb.154:                              ;   in Loop: Header=BB318_121 Depth=1
	v_bfe_u32 v8, v9, 16, 1
	v_add3_u32 v8, v9, v8, s23
                                        ; implicit-def: $vgpr9
; %bb.155:                              ;   in Loop: Header=BB318_121 Depth=1
	s_andn2_saveexec_b64 s[2:3], s[0:1]
; %bb.156:                              ;   in Loop: Header=BB318_121 Depth=1
	v_or_b32_e32 v8, 0x10000, v9
	v_cmp_eq_u32_sdwa s[0:1], v9, v13 src0_sel:WORD_0 src1_sel:DWORD
	s_nop 1
	v_cndmask_b32_e64 v8, v8, v9, s[0:1]
; %bb.157:                              ;   in Loop: Header=BB318_121 Depth=1
	s_or_b64 exec, exec, s[2:3]
	v_bfe_u32 v9, v6, 8, 8
	v_cvt_f32_fp8_sdwa v9, v9 src0_sel:BYTE_0
	s_nop 0
	v_mul_f32_e32 v32, s27, v9
	v_and_b32_e32 v9, 0x7f800000, v32
	v_cmp_ne_u32_e64 s[0:1], s22, v9
                                        ; implicit-def: $vgpr9
	s_and_saveexec_b64 s[2:3], s[0:1]
	s_xor_b64 s[0:1], exec, s[2:3]
; %bb.158:                              ;   in Loop: Header=BB318_121 Depth=1
	v_bfe_u32 v9, v32, 16, 1
	v_add3_u32 v9, v32, v9, s23
                                        ; implicit-def: $vgpr32
; %bb.159:                              ;   in Loop: Header=BB318_121 Depth=1
	s_andn2_saveexec_b64 s[2:3], s[0:1]
; %bb.160:                              ;   in Loop: Header=BB318_121 Depth=1
	v_or_b32_e32 v9, 0x10000, v32
	v_cmp_eq_u32_sdwa s[0:1], v32, v13 src0_sel:WORD_0 src1_sel:DWORD
	s_nop 1
	v_cndmask_b32_e64 v9, v9, v32, s[0:1]
; %bb.161:                              ;   in Loop: Header=BB318_121 Depth=1
	s_or_b64 exec, exec, s[2:3]
	v_bfe_u32 v32, v6, 16, 8
	v_cvt_f32_fp8_sdwa v32, v32 src0_sel:BYTE_0
	s_nop 0
	v_mul_f32_e32 v33, s27, v32
	v_and_b32_e32 v32, 0x7f800000, v33
	v_cmp_ne_u32_e64 s[0:1], s22, v32
                                        ; implicit-def: $vgpr32
	s_and_saveexec_b64 s[2:3], s[0:1]
	s_xor_b64 s[0:1], exec, s[2:3]
; %bb.162:                              ;   in Loop: Header=BB318_121 Depth=1
	v_bfe_u32 v32, v33, 16, 1
	v_add3_u32 v32, v33, v32, s23
                                        ; implicit-def: $vgpr33
; %bb.163:                              ;   in Loop: Header=BB318_121 Depth=1
	s_andn2_saveexec_b64 s[2:3], s[0:1]
; %bb.164:                              ;   in Loop: Header=BB318_121 Depth=1
	v_or_b32_e32 v32, 0x10000, v33
	v_cmp_eq_u32_sdwa s[0:1], v33, v13 src0_sel:WORD_0 src1_sel:DWORD
	s_nop 1
	v_cndmask_b32_e64 v32, v32, v33, s[0:1]
; %bb.165:                              ;   in Loop: Header=BB318_121 Depth=1
	s_or_b64 exec, exec, s[2:3]
	v_lshrrev_b32_e32 v6, 24, v6
	v_cvt_f32_fp8_sdwa v6, v6 src0_sel:BYTE_0
                                        ; implicit-def: $vgpr35
	s_nop 0
	v_mul_f32_e32 v6, s27, v6
	v_and_b32_e32 v33, 0x7f800000, v6
	v_cmp_ne_u32_e64 s[0:1], s22, v33
	s_and_saveexec_b64 s[2:3], s[0:1]
	s_xor_b64 s[0:1], exec, s[2:3]
; %bb.166:                              ;   in Loop: Header=BB318_121 Depth=1
	v_bfe_u32 v33, v6, 16, 1
	v_add3_u32 v35, v6, v33, s23
                                        ; implicit-def: $vgpr6
; %bb.167:                              ;   in Loop: Header=BB318_121 Depth=1
	s_andn2_saveexec_b64 s[2:3], s[0:1]
; %bb.168:                              ;   in Loop: Header=BB318_121 Depth=1
	v_or_b32_e32 v33, 0x10000, v6
	v_cmp_eq_u32_sdwa s[0:1], v6, v13 src0_sel:WORD_0 src1_sel:DWORD
	s_nop 1
	v_cndmask_b32_e64 v35, v33, v6, s[0:1]
; %bb.169:                              ;   in Loop: Header=BB318_121 Depth=1
	s_or_b64 exec, exec, s[2:3]
	v_and_b32_e32 v6, 0xff, v7
	v_cvt_f32_fp8_sdwa v6, v6 src0_sel:BYTE_0
	s_nop 0
	v_mul_f32_e32 v6, s27, v6
	v_and_b32_e32 v33, 0x7f800000, v6
	v_cmp_ne_u32_e64 s[0:1], s22, v33
                                        ; implicit-def: $vgpr33
	s_and_saveexec_b64 s[2:3], s[0:1]
	s_xor_b64 s[0:1], exec, s[2:3]
; %bb.170:                              ;   in Loop: Header=BB318_121 Depth=1
	v_bfe_u32 v33, v6, 16, 1
	v_add3_u32 v33, v6, v33, s23
                                        ; implicit-def: $vgpr6
; %bb.171:                              ;   in Loop: Header=BB318_121 Depth=1
	s_andn2_saveexec_b64 s[2:3], s[0:1]
; %bb.172:                              ;   in Loop: Header=BB318_121 Depth=1
	v_or_b32_e32 v33, 0x10000, v6
	v_cmp_eq_u32_sdwa s[0:1], v6, v13 src0_sel:WORD_0 src1_sel:DWORD
	s_nop 1
	v_cndmask_b32_e64 v33, v33, v6, s[0:1]
; %bb.173:                              ;   in Loop: Header=BB318_121 Depth=1
	s_or_b64 exec, exec, s[2:3]
	v_bfe_u32 v6, v7, 8, 8
	v_cvt_f32_fp8_sdwa v6, v6 src0_sel:BYTE_0
	s_nop 0
	v_mul_f32_e32 v6, s27, v6
	v_and_b32_e32 v34, 0x7f800000, v6
	v_cmp_ne_u32_e64 s[0:1], s22, v34
                                        ; implicit-def: $vgpr34
	s_and_saveexec_b64 s[2:3], s[0:1]
	s_xor_b64 s[0:1], exec, s[2:3]
; %bb.174:                              ;   in Loop: Header=BB318_121 Depth=1
	v_bfe_u32 v34, v6, 16, 1
	v_add3_u32 v34, v6, v34, s23
                                        ; implicit-def: $vgpr6
; %bb.175:                              ;   in Loop: Header=BB318_121 Depth=1
	s_andn2_saveexec_b64 s[2:3], s[0:1]
; %bb.176:                              ;   in Loop: Header=BB318_121 Depth=1
	v_or_b32_e32 v34, 0x10000, v6
	v_cmp_eq_u32_sdwa s[0:1], v6, v13 src0_sel:WORD_0 src1_sel:DWORD
	s_nop 1
	v_cndmask_b32_e64 v34, v34, v6, s[0:1]
; %bb.177:                              ;   in Loop: Header=BB318_121 Depth=1
	s_or_b64 exec, exec, s[2:3]
	v_bfe_u32 v6, v7, 16, 8
	v_cvt_f32_fp8_sdwa v6, v6 src0_sel:BYTE_0
	s_nop 0
	v_mul_f32_e32 v6, s27, v6
	v_and_b32_e32 v36, 0x7f800000, v6
	v_cmp_ne_u32_e64 s[0:1], s22, v36
                                        ; implicit-def: $vgpr36
	s_and_saveexec_b64 s[2:3], s[0:1]
	s_xor_b64 s[0:1], exec, s[2:3]
; %bb.178:                              ;   in Loop: Header=BB318_121 Depth=1
	v_bfe_u32 v36, v6, 16, 1
	v_add3_u32 v36, v6, v36, s23
                                        ; implicit-def: $vgpr6
; %bb.179:                              ;   in Loop: Header=BB318_121 Depth=1
	s_andn2_saveexec_b64 s[2:3], s[0:1]
; %bb.180:                              ;   in Loop: Header=BB318_121 Depth=1
	v_or_b32_e32 v36, 0x10000, v6
	v_cmp_eq_u32_sdwa s[0:1], v6, v13 src0_sel:WORD_0 src1_sel:DWORD
	s_nop 1
	v_cndmask_b32_e64 v36, v36, v6, s[0:1]
; %bb.181:                              ;   in Loop: Header=BB318_121 Depth=1
	s_or_b64 exec, exec, s[2:3]
	v_lshrrev_b32_e32 v6, 24, v7
	v_cvt_f32_fp8_sdwa v6, v6 src0_sel:BYTE_0
	s_nop 0
	v_mul_f32_e32 v6, s27, v6
	v_and_b32_e32 v7, 0x7f800000, v6
	v_cmp_ne_u32_e64 s[0:1], s22, v7
                                        ; implicit-def: $vgpr7
	s_and_saveexec_b64 s[2:3], s[0:1]
	s_xor_b64 s[0:1], exec, s[2:3]
; %bb.182:                              ;   in Loop: Header=BB318_121 Depth=1
	v_bfe_u32 v7, v6, 16, 1
	v_add3_u32 v7, v6, v7, s23
                                        ; implicit-def: $vgpr6
; %bb.183:                              ;   in Loop: Header=BB318_121 Depth=1
	s_andn2_saveexec_b64 s[2:3], s[0:1]
; %bb.184:                              ;   in Loop: Header=BB318_121 Depth=1
	v_or_b32_e32 v7, 0x10000, v6
	v_cmp_eq_u32_sdwa s[0:1], v6, v13 src0_sel:WORD_0 src1_sel:DWORD
	s_nop 1
	v_cndmask_b32_e64 v7, v7, v6, s[0:1]
; %bb.185:                              ;   in Loop: Header=BB318_121 Depth=1
	s_or_b64 exec, exec, s[2:3]
	v_cmp_eq_u32_e64 s[0:1], s26, v1
	v_add_u32_e32 v6, -7, v22
	v_lshrrev_b32_e32 v34, 16, v34
	v_lshrrev_b32_e32 v33, 16, v33
	;; [unrolled: 1-line block ×8, first 2 shown]
	s_and_saveexec_b64 s[12:13], s[0:1]
	s_cbranch_execz .LBB318_187
; %bb.186:                              ;   in Loop: Header=BB318_121 Depth=1
	v_cmp_gt_i32_e64 s[2:3], s33, v6
	v_add_u32_e32 v7, -6, v22
	s_nop 0
	v_cndmask_b32_e64 v8, 0, v8, s[2:3]
	v_cmp_gt_i32_e64 s[2:3], s33, v7
	v_add_u32_e32 v7, -5, v22
	s_nop 0
	v_cndmask_b32_e64 v9, 0, v9, s[2:3]
	;; [unrolled: 4-line block ×6, first 2 shown]
	v_cmp_gt_i32_e64 s[2:3], s33, v7
	s_nop 1
	v_cndmask_b32_e64 v35, 0, v35, s[2:3]
	v_cmp_gt_i32_e64 s[2:3], s33, v22
	s_nop 1
	v_cndmask_b32_e64 v36, 0, v36, s[2:3]
.LBB318_187:                            ;   in Loop: Header=BB318_121 Depth=1
	s_or_b64 exec, exec, s[12:13]
	v_and_b32_e32 v7, 0xffff0000, v29
	v_lshlrev_b32_e32 v8, 16, v8
	v_mul_f32_e32 v8, v7, v8
	v_and_b32_e32 v29, 0x7f800000, v8
	v_cmp_ne_u32_e64 s[2:3], s22, v29
                                        ; implicit-def: $vgpr29
	s_and_saveexec_b64 s[12:13], s[2:3]
	s_xor_b64 s[2:3], exec, s[12:13]
; %bb.188:                              ;   in Loop: Header=BB318_121 Depth=1
	v_bfe_u32 v29, v8, 16, 1
	v_add3_u32 v29, v8, v29, s23
                                        ; implicit-def: $vgpr8
; %bb.189:                              ;   in Loop: Header=BB318_121 Depth=1
	s_andn2_saveexec_b64 s[12:13], s[2:3]
; %bb.190:                              ;   in Loop: Header=BB318_121 Depth=1
	v_or_b32_e32 v29, 0x10000, v8
	v_cmp_eq_u32_sdwa s[2:3], v8, v13 src0_sel:WORD_0 src1_sel:DWORD
	s_nop 1
	v_cndmask_b32_e64 v29, v29, v8, s[2:3]
; %bb.191:                              ;   in Loop: Header=BB318_121 Depth=1
	s_or_b64 exec, exec, s[12:13]
	v_and_b32_e32 v8, 0xffff0000, v30
	v_lshlrev_b32_e32 v9, 16, v9
	v_mul_f32_e32 v9, v8, v9
	v_and_b32_e32 v30, 0x7f800000, v9
	v_cmp_ne_u32_e64 s[2:3], s22, v30
                                        ; implicit-def: $vgpr30
	s_and_saveexec_b64 s[12:13], s[2:3]
	s_xor_b64 s[2:3], exec, s[12:13]
; %bb.192:                              ;   in Loop: Header=BB318_121 Depth=1
	v_bfe_u32 v30, v9, 16, 1
	v_add3_u32 v30, v9, v30, s23
                                        ; implicit-def: $vgpr9
; %bb.193:                              ;   in Loop: Header=BB318_121 Depth=1
	s_andn2_saveexec_b64 s[12:13], s[2:3]
; %bb.194:                              ;   in Loop: Header=BB318_121 Depth=1
	v_or_b32_e32 v30, 0x10000, v9
	v_cmp_eq_u32_sdwa s[2:3], v9, v13 src0_sel:WORD_0 src1_sel:DWORD
	s_nop 1
	v_cndmask_b32_e64 v30, v30, v9, s[2:3]
; %bb.195:                              ;   in Loop: Header=BB318_121 Depth=1
	s_or_b64 exec, exec, s[12:13]
	v_and_b32_e32 v9, 0xffff0000, v31
	v_lshlrev_b32_e32 v31, 16, v32
	v_mul_f32_e32 v32, v9, v31
	v_and_b32_e32 v31, 0x7f800000, v32
	v_cmp_ne_u32_e64 s[2:3], s22, v31
                                        ; implicit-def: $vgpr31
	s_and_saveexec_b64 s[12:13], s[2:3]
	s_xor_b64 s[2:3], exec, s[12:13]
; %bb.196:                              ;   in Loop: Header=BB318_121 Depth=1
	v_bfe_u32 v31, v32, 16, 1
	v_add3_u32 v31, v32, v31, s23
                                        ; implicit-def: $vgpr32
; %bb.197:                              ;   in Loop: Header=BB318_121 Depth=1
	s_andn2_saveexec_b64 s[12:13], s[2:3]
; %bb.198:                              ;   in Loop: Header=BB318_121 Depth=1
	v_or_b32_e32 v31, 0x10000, v32
	v_cmp_eq_u32_sdwa s[2:3], v32, v13 src0_sel:WORD_0 src1_sel:DWORD
	s_nop 1
	v_cndmask_b32_e64 v31, v31, v32, s[2:3]
; %bb.199:                              ;   in Loop: Header=BB318_121 Depth=1
	s_or_b64 exec, exec, s[12:13]
	v_and_b32_e32 v24, 0xffff0000, v24
	v_lshlrev_b32_e32 v32, 16, v37
	v_mul_f32_e32 v37, v24, v32
	v_and_b32_e32 v32, 0x7f800000, v37
	v_cmp_ne_u32_e64 s[2:3], s22, v32
                                        ; implicit-def: $vgpr32
	s_and_saveexec_b64 s[12:13], s[2:3]
	s_xor_b64 s[2:3], exec, s[12:13]
; %bb.200:                              ;   in Loop: Header=BB318_121 Depth=1
	v_bfe_u32 v32, v37, 16, 1
	v_add3_u32 v32, v37, v32, s23
                                        ; implicit-def: $vgpr37
; %bb.201:                              ;   in Loop: Header=BB318_121 Depth=1
	s_andn2_saveexec_b64 s[12:13], s[2:3]
; %bb.202:                              ;   in Loop: Header=BB318_121 Depth=1
	v_or_b32_e32 v32, 0x10000, v37
	v_cmp_eq_u32_sdwa s[2:3], v37, v13 src0_sel:WORD_0 src1_sel:DWORD
	s_nop 1
	v_cndmask_b32_e64 v32, v32, v37, s[2:3]
; %bb.203:                              ;   in Loop: Header=BB318_121 Depth=1
	s_or_b64 exec, exec, s[12:13]
	v_and_b32_e32 v25, 0xffff0000, v25
	v_lshlrev_b32_e32 v33, 16, v33
	v_mul_f32_e32 v37, v25, v33
	v_and_b32_e32 v33, 0x7f800000, v37
	v_cmp_ne_u32_e64 s[2:3], s22, v33
                                        ; implicit-def: $vgpr33
	s_and_saveexec_b64 s[12:13], s[2:3]
	s_xor_b64 s[2:3], exec, s[12:13]
; %bb.204:                              ;   in Loop: Header=BB318_121 Depth=1
	v_bfe_u32 v33, v37, 16, 1
	v_add3_u32 v33, v37, v33, s23
                                        ; implicit-def: $vgpr37
; %bb.205:                              ;   in Loop: Header=BB318_121 Depth=1
	s_andn2_saveexec_b64 s[12:13], s[2:3]
; %bb.206:                              ;   in Loop: Header=BB318_121 Depth=1
	v_or_b32_e32 v33, 0x10000, v37
	v_cmp_eq_u32_sdwa s[2:3], v37, v13 src0_sel:WORD_0 src1_sel:DWORD
	s_nop 1
	v_cndmask_b32_e64 v33, v33, v37, s[2:3]
; %bb.207:                              ;   in Loop: Header=BB318_121 Depth=1
	s_or_b64 exec, exec, s[12:13]
	v_and_b32_e32 v26, 0xffff0000, v26
	v_lshlrev_b32_e32 v34, 16, v34
	v_mul_f32_e32 v37, v26, v34
	v_and_b32_e32 v34, 0x7f800000, v37
	v_cmp_ne_u32_e64 s[2:3], s22, v34
                                        ; implicit-def: $vgpr34
	s_and_saveexec_b64 s[12:13], s[2:3]
	s_xor_b64 s[2:3], exec, s[12:13]
; %bb.208:                              ;   in Loop: Header=BB318_121 Depth=1
	v_bfe_u32 v34, v37, 16, 1
	v_add3_u32 v34, v37, v34, s23
                                        ; implicit-def: $vgpr37
; %bb.209:                              ;   in Loop: Header=BB318_121 Depth=1
	s_andn2_saveexec_b64 s[12:13], s[2:3]
; %bb.210:                              ;   in Loop: Header=BB318_121 Depth=1
	v_or_b32_e32 v34, 0x10000, v37
	v_cmp_eq_u32_sdwa s[2:3], v37, v13 src0_sel:WORD_0 src1_sel:DWORD
	s_nop 1
	v_cndmask_b32_e64 v34, v34, v37, s[2:3]
; %bb.211:                              ;   in Loop: Header=BB318_121 Depth=1
	s_or_b64 exec, exec, s[12:13]
	v_and_b32_e32 v27, 0xffff0000, v27
	v_lshlrev_b32_e32 v35, 16, v35
	v_mul_f32_e32 v37, v27, v35
	v_and_b32_e32 v35, 0x7f800000, v37
	v_cmp_ne_u32_e64 s[2:3], s22, v35
                                        ; implicit-def: $vgpr35
	s_and_saveexec_b64 s[12:13], s[2:3]
	s_xor_b64 s[2:3], exec, s[12:13]
; %bb.212:                              ;   in Loop: Header=BB318_121 Depth=1
	v_bfe_u32 v35, v37, 16, 1
	v_add3_u32 v35, v37, v35, s23
                                        ; implicit-def: $vgpr37
; %bb.213:                              ;   in Loop: Header=BB318_121 Depth=1
	s_andn2_saveexec_b64 s[12:13], s[2:3]
; %bb.214:                              ;   in Loop: Header=BB318_121 Depth=1
	v_or_b32_e32 v35, 0x10000, v37
	v_cmp_eq_u32_sdwa s[2:3], v37, v13 src0_sel:WORD_0 src1_sel:DWORD
	s_nop 1
	v_cndmask_b32_e64 v35, v35, v37, s[2:3]
; %bb.215:                              ;   in Loop: Header=BB318_121 Depth=1
	s_or_b64 exec, exec, s[12:13]
	v_and_b32_e32 v28, 0xffff0000, v28
	v_lshlrev_b32_e32 v36, 16, v36
	v_mul_f32_e32 v37, v28, v36
	v_and_b32_e32 v36, 0x7f800000, v37
	v_cmp_ne_u32_e64 s[2:3], s22, v36
                                        ; implicit-def: $vgpr36
	s_and_saveexec_b64 s[12:13], s[2:3]
	s_xor_b64 s[2:3], exec, s[12:13]
; %bb.216:                              ;   in Loop: Header=BB318_121 Depth=1
	v_bfe_u32 v36, v37, 16, 1
	v_add3_u32 v36, v37, v36, s23
                                        ; implicit-def: $vgpr37
; %bb.217:                              ;   in Loop: Header=BB318_121 Depth=1
	s_andn2_saveexec_b64 s[12:13], s[2:3]
; %bb.218:                              ;   in Loop: Header=BB318_121 Depth=1
	v_or_b32_e32 v36, 0x10000, v37
	v_cmp_eq_u32_sdwa s[2:3], v37, v13 src0_sel:WORD_0 src1_sel:DWORD
	s_nop 1
	v_cndmask_b32_e64 v36, v36, v37, s[2:3]
; %bb.219:                              ;   in Loop: Header=BB318_121 Depth=1
	s_or_b64 exec, exec, s[12:13]
	global_load_dwordx2 v[4:5], v[4:5], off offset:512
	s_waitcnt vmcnt(0)
	v_and_b32_e32 v37, 0xff, v4
	v_cvt_f32_fp8_sdwa v37, v37 src0_sel:BYTE_0
	s_nop 0
	v_mul_f32_e32 v38, s27, v37
	v_and_b32_e32 v37, 0x7f800000, v38
	v_cmp_ne_u32_e64 s[2:3], s22, v37
                                        ; implicit-def: $vgpr37
	s_and_saveexec_b64 s[12:13], s[2:3]
	s_xor_b64 s[2:3], exec, s[12:13]
; %bb.220:                              ;   in Loop: Header=BB318_121 Depth=1
	v_bfe_u32 v37, v38, 16, 1
	v_add3_u32 v37, v38, v37, s23
                                        ; implicit-def: $vgpr38
; %bb.221:                              ;   in Loop: Header=BB318_121 Depth=1
	s_andn2_saveexec_b64 s[12:13], s[2:3]
; %bb.222:                              ;   in Loop: Header=BB318_121 Depth=1
	v_or_b32_e32 v37, 0x10000, v38
	v_cmp_eq_u32_sdwa s[2:3], v38, v13 src0_sel:WORD_0 src1_sel:DWORD
	s_nop 1
	v_cndmask_b32_e64 v37, v37, v38, s[2:3]
; %bb.223:                              ;   in Loop: Header=BB318_121 Depth=1
	s_or_b64 exec, exec, s[12:13]
	v_bfe_u32 v38, v4, 8, 8
	v_cvt_f32_fp8_sdwa v38, v38 src0_sel:BYTE_0
	s_nop 0
	v_mul_f32_e32 v39, s27, v38
	v_and_b32_e32 v38, 0x7f800000, v39
	v_cmp_ne_u32_e64 s[2:3], s22, v38
                                        ; implicit-def: $vgpr38
	s_and_saveexec_b64 s[12:13], s[2:3]
	s_xor_b64 s[2:3], exec, s[12:13]
; %bb.224:                              ;   in Loop: Header=BB318_121 Depth=1
	v_bfe_u32 v38, v39, 16, 1
	v_add3_u32 v38, v39, v38, s23
                                        ; implicit-def: $vgpr39
; %bb.225:                              ;   in Loop: Header=BB318_121 Depth=1
	s_andn2_saveexec_b64 s[12:13], s[2:3]
; %bb.226:                              ;   in Loop: Header=BB318_121 Depth=1
	v_or_b32_e32 v38, 0x10000, v39
	v_cmp_eq_u32_sdwa s[2:3], v39, v13 src0_sel:WORD_0 src1_sel:DWORD
	s_nop 1
	v_cndmask_b32_e64 v38, v38, v39, s[2:3]
; %bb.227:                              ;   in Loop: Header=BB318_121 Depth=1
	s_or_b64 exec, exec, s[12:13]
	v_bfe_u32 v39, v4, 16, 8
	v_cvt_f32_fp8_sdwa v39, v39 src0_sel:BYTE_0
	s_nop 0
	v_mul_f32_e32 v39, s27, v39
	v_and_b32_e32 v40, 0x7f800000, v39
	v_cmp_ne_u32_e64 s[2:3], s22, v40
                                        ; implicit-def: $vgpr40
	s_and_saveexec_b64 s[12:13], s[2:3]
	s_xor_b64 s[2:3], exec, s[12:13]
; %bb.228:                              ;   in Loop: Header=BB318_121 Depth=1
	v_bfe_u32 v40, v39, 16, 1
	v_add3_u32 v40, v39, v40, s23
                                        ; implicit-def: $vgpr39
; %bb.229:                              ;   in Loop: Header=BB318_121 Depth=1
	s_andn2_saveexec_b64 s[12:13], s[2:3]
; %bb.230:                              ;   in Loop: Header=BB318_121 Depth=1
	v_or_b32_e32 v40, 0x10000, v39
	v_cmp_eq_u32_sdwa s[2:3], v39, v13 src0_sel:WORD_0 src1_sel:DWORD
	s_nop 1
	v_cndmask_b32_e64 v40, v40, v39, s[2:3]
; %bb.231:                              ;   in Loop: Header=BB318_121 Depth=1
	s_or_b64 exec, exec, s[12:13]
	v_lshrrev_b32_e32 v4, 24, v4
	v_cvt_f32_fp8_sdwa v4, v4 src0_sel:BYTE_0
	s_nop 0
	v_mul_f32_e32 v39, s27, v4
	v_and_b32_e32 v4, 0x7f800000, v39
	v_cmp_ne_u32_e64 s[2:3], s22, v4
                                        ; implicit-def: $vgpr4
	s_and_saveexec_b64 s[12:13], s[2:3]
	s_xor_b64 s[2:3], exec, s[12:13]
; %bb.232:                              ;   in Loop: Header=BB318_121 Depth=1
	v_bfe_u32 v4, v39, 16, 1
	v_add3_u32 v4, v39, v4, s23
                                        ; implicit-def: $vgpr39
; %bb.233:                              ;   in Loop: Header=BB318_121 Depth=1
	s_andn2_saveexec_b64 s[12:13], s[2:3]
; %bb.234:                              ;   in Loop: Header=BB318_121 Depth=1
	v_or_b32_e32 v4, 0x10000, v39
	v_cmp_eq_u32_sdwa s[2:3], v39, v13 src0_sel:WORD_0 src1_sel:DWORD
	s_nop 1
	v_cndmask_b32_e64 v4, v4, v39, s[2:3]
; %bb.235:                              ;   in Loop: Header=BB318_121 Depth=1
	s_or_b64 exec, exec, s[12:13]
	v_and_b32_e32 v39, 0xff, v5
	v_cvt_f32_fp8_sdwa v39, v39 src0_sel:BYTE_0
	s_nop 0
	v_mul_f32_e32 v39, s27, v39
	v_and_b32_e32 v41, 0x7f800000, v39
	v_cmp_ne_u32_e64 s[2:3], s22, v41
                                        ; implicit-def: $vgpr41
	s_and_saveexec_b64 s[12:13], s[2:3]
	s_xor_b64 s[2:3], exec, s[12:13]
; %bb.236:                              ;   in Loop: Header=BB318_121 Depth=1
	v_bfe_u32 v41, v39, 16, 1
	v_add3_u32 v41, v39, v41, s23
                                        ; implicit-def: $vgpr39
; %bb.237:                              ;   in Loop: Header=BB318_121 Depth=1
	s_andn2_saveexec_b64 s[12:13], s[2:3]
; %bb.238:                              ;   in Loop: Header=BB318_121 Depth=1
	v_or_b32_e32 v41, 0x10000, v39
	v_cmp_eq_u32_sdwa s[2:3], v39, v13 src0_sel:WORD_0 src1_sel:DWORD
	s_nop 1
	v_cndmask_b32_e64 v41, v41, v39, s[2:3]
; %bb.239:                              ;   in Loop: Header=BB318_121 Depth=1
	s_or_b64 exec, exec, s[12:13]
	v_bfe_u32 v39, v5, 8, 8
	v_cvt_f32_fp8_sdwa v39, v39 src0_sel:BYTE_0
	s_nop 0
	v_mul_f32_e32 v42, s27, v39
	v_and_b32_e32 v39, 0x7f800000, v42
	v_cmp_ne_u32_e64 s[2:3], s22, v39
                                        ; implicit-def: $vgpr39
	s_and_saveexec_b64 s[12:13], s[2:3]
	s_xor_b64 s[2:3], exec, s[12:13]
; %bb.240:                              ;   in Loop: Header=BB318_121 Depth=1
	v_bfe_u32 v39, v42, 16, 1
	v_add3_u32 v39, v42, v39, s23
                                        ; implicit-def: $vgpr42
; %bb.241:                              ;   in Loop: Header=BB318_121 Depth=1
	s_andn2_saveexec_b64 s[12:13], s[2:3]
; %bb.242:                              ;   in Loop: Header=BB318_121 Depth=1
	v_or_b32_e32 v39, 0x10000, v42
	v_cmp_eq_u32_sdwa s[2:3], v42, v13 src0_sel:WORD_0 src1_sel:DWORD
	s_nop 1
	v_cndmask_b32_e64 v39, v39, v42, s[2:3]
; %bb.243:                              ;   in Loop: Header=BB318_121 Depth=1
	s_or_b64 exec, exec, s[12:13]
	v_bfe_u32 v42, v5, 16, 8
	v_cvt_f32_fp8_sdwa v42, v42 src0_sel:BYTE_0
	s_nop 0
	v_mul_f32_e32 v42, s27, v42
	v_and_b32_e32 v43, 0x7f800000, v42
	v_cmp_ne_u32_e64 s[2:3], s22, v43
                                        ; implicit-def: $vgpr43
	s_and_saveexec_b64 s[12:13], s[2:3]
	s_xor_b64 s[2:3], exec, s[12:13]
; %bb.244:                              ;   in Loop: Header=BB318_121 Depth=1
	v_bfe_u32 v43, v42, 16, 1
	v_add3_u32 v43, v42, v43, s23
                                        ; implicit-def: $vgpr42
; %bb.245:                              ;   in Loop: Header=BB318_121 Depth=1
	s_andn2_saveexec_b64 s[12:13], s[2:3]
; %bb.246:                              ;   in Loop: Header=BB318_121 Depth=1
	v_or_b32_e32 v43, 0x10000, v42
	v_cmp_eq_u32_sdwa s[2:3], v42, v13 src0_sel:WORD_0 src1_sel:DWORD
	s_nop 1
	v_cndmask_b32_e64 v43, v43, v42, s[2:3]
; %bb.247:                              ;   in Loop: Header=BB318_121 Depth=1
	s_or_b64 exec, exec, s[12:13]
	v_lshrrev_b32_e32 v5, 24, v5
	v_cvt_f32_fp8_sdwa v5, v5 src0_sel:BYTE_0
                                        ; implicit-def: $vgpr44
	s_nop 0
	v_mul_f32_e32 v5, s27, v5
	v_and_b32_e32 v42, 0x7f800000, v5
	v_cmp_ne_u32_e64 s[2:3], s22, v42
	s_and_saveexec_b64 s[12:13], s[2:3]
	s_xor_b64 s[2:3], exec, s[12:13]
; %bb.248:                              ;   in Loop: Header=BB318_121 Depth=1
	v_bfe_u32 v42, v5, 16, 1
	v_add3_u32 v44, v5, v42, s23
                                        ; implicit-def: $vgpr5
; %bb.249:                              ;   in Loop: Header=BB318_121 Depth=1
	s_andn2_saveexec_b64 s[12:13], s[2:3]
; %bb.250:                              ;   in Loop: Header=BB318_121 Depth=1
	v_or_b32_e32 v42, 0x10000, v5
	v_cmp_eq_u32_sdwa s[2:3], v5, v13 src0_sel:WORD_0 src1_sel:DWORD
	s_nop 1
	v_cndmask_b32_e64 v44, v42, v5, s[2:3]
; %bb.251:                              ;   in Loop: Header=BB318_121 Depth=1
	s_or_b64 exec, exec, s[12:13]
	v_lshrrev_b32_e32 v39, 16, v39
	v_lshrrev_b32_e32 v41, 16, v41
	;; [unrolled: 1-line block ×8, first 2 shown]
	s_and_saveexec_b64 s[12:13], s[0:1]
	s_cbranch_execz .LBB318_253
; %bb.252:                              ;   in Loop: Header=BB318_121 Depth=1
	v_cmp_gt_i32_e64 s[2:3], s33, v6
	v_add_u32_e32 v43, -6, v22
	s_nop 0
	v_cndmask_b32_e64 v5, 0, v5, s[2:3]
	v_cmp_gt_i32_e64 s[2:3], s33, v43
	v_add_u32_e32 v43, -5, v22
	s_nop 0
	v_cndmask_b32_e64 v38, 0, v38, s[2:3]
	;; [unrolled: 4-line block ×6, first 2 shown]
	v_cmp_gt_i32_e64 s[2:3], s33, v43
	s_nop 1
	v_cndmask_b32_e64 v37, 0, v37, s[2:3]
	v_cmp_gt_i32_e64 s[2:3], s33, v22
	s_nop 1
	v_cndmask_b32_e64 v4, 0, v4, s[2:3]
.LBB318_253:                            ;   in Loop: Header=BB318_121 Depth=1
	s_or_b64 exec, exec, s[12:13]
	v_lshlrev_b32_e32 v5, 16, v5
	v_mul_f32_e32 v43, v7, v5
	v_and_b32_e32 v5, 0x7f800000, v43
	v_cmp_ne_u32_e64 s[2:3], s22, v5
                                        ; implicit-def: $vgpr5
	s_and_saveexec_b64 s[12:13], s[2:3]
	s_xor_b64 s[2:3], exec, s[12:13]
; %bb.254:                              ;   in Loop: Header=BB318_121 Depth=1
	v_bfe_u32 v5, v43, 16, 1
	v_add3_u32 v5, v43, v5, s23
                                        ; implicit-def: $vgpr43
; %bb.255:                              ;   in Loop: Header=BB318_121 Depth=1
	s_andn2_saveexec_b64 s[12:13], s[2:3]
; %bb.256:                              ;   in Loop: Header=BB318_121 Depth=1
	v_or_b32_e32 v5, 0x10000, v43
	v_cmp_eq_u32_sdwa s[2:3], v43, v13 src0_sel:WORD_0 src1_sel:DWORD
	s_nop 1
	v_cndmask_b32_e64 v5, v5, v43, s[2:3]
; %bb.257:                              ;   in Loop: Header=BB318_121 Depth=1
	s_or_b64 exec, exec, s[12:13]
	v_lshlrev_b32_e32 v38, 16, v38
	v_mul_f32_e32 v43, v8, v38
	v_and_b32_e32 v38, 0x7f800000, v43
	v_cmp_ne_u32_e64 s[2:3], s22, v38
                                        ; implicit-def: $vgpr38
	s_and_saveexec_b64 s[12:13], s[2:3]
	s_xor_b64 s[2:3], exec, s[12:13]
; %bb.258:                              ;   in Loop: Header=BB318_121 Depth=1
	v_bfe_u32 v38, v43, 16, 1
	v_add3_u32 v38, v43, v38, s23
                                        ; implicit-def: $vgpr43
; %bb.259:                              ;   in Loop: Header=BB318_121 Depth=1
	s_andn2_saveexec_b64 s[12:13], s[2:3]
; %bb.260:                              ;   in Loop: Header=BB318_121 Depth=1
	v_or_b32_e32 v38, 0x10000, v43
	v_cmp_eq_u32_sdwa s[2:3], v43, v13 src0_sel:WORD_0 src1_sel:DWORD
	s_nop 1
	v_cndmask_b32_e64 v38, v38, v43, s[2:3]
; %bb.261:                              ;   in Loop: Header=BB318_121 Depth=1
	s_or_b64 exec, exec, s[12:13]
	v_lshlrev_b32_e32 v40, 16, v40
	v_mul_f32_e32 v43, v9, v40
	v_and_b32_e32 v40, 0x7f800000, v43
	v_cmp_ne_u32_e64 s[2:3], s22, v40
                                        ; implicit-def: $vgpr40
	s_and_saveexec_b64 s[12:13], s[2:3]
	s_xor_b64 s[2:3], exec, s[12:13]
; %bb.262:                              ;   in Loop: Header=BB318_121 Depth=1
	v_bfe_u32 v40, v43, 16, 1
	v_add3_u32 v40, v43, v40, s23
                                        ; implicit-def: $vgpr43
; %bb.263:                              ;   in Loop: Header=BB318_121 Depth=1
	s_andn2_saveexec_b64 s[12:13], s[2:3]
; %bb.264:                              ;   in Loop: Header=BB318_121 Depth=1
	v_or_b32_e32 v40, 0x10000, v43
	v_cmp_eq_u32_sdwa s[2:3], v43, v13 src0_sel:WORD_0 src1_sel:DWORD
	s_nop 1
	v_cndmask_b32_e64 v40, v40, v43, s[2:3]
; %bb.265:                              ;   in Loop: Header=BB318_121 Depth=1
	s_or_b64 exec, exec, s[12:13]
	v_lshlrev_b32_e32 v42, 16, v42
	v_mul_f32_e32 v43, v24, v42
	v_and_b32_e32 v42, 0x7f800000, v43
	v_cmp_ne_u32_e64 s[2:3], s22, v42
                                        ; implicit-def: $vgpr42
	s_and_saveexec_b64 s[12:13], s[2:3]
	s_xor_b64 s[2:3], exec, s[12:13]
; %bb.266:                              ;   in Loop: Header=BB318_121 Depth=1
	v_bfe_u32 v42, v43, 16, 1
	v_add3_u32 v42, v43, v42, s23
                                        ; implicit-def: $vgpr43
; %bb.267:                              ;   in Loop: Header=BB318_121 Depth=1
	s_andn2_saveexec_b64 s[12:13], s[2:3]
; %bb.268:                              ;   in Loop: Header=BB318_121 Depth=1
	v_or_b32_e32 v42, 0x10000, v43
	v_cmp_eq_u32_sdwa s[2:3], v43, v13 src0_sel:WORD_0 src1_sel:DWORD
	s_nop 1
	v_cndmask_b32_e64 v42, v42, v43, s[2:3]
; %bb.269:                              ;   in Loop: Header=BB318_121 Depth=1
	s_or_b64 exec, exec, s[12:13]
	v_lshlrev_b32_e32 v41, 16, v41
	v_mul_f32_e32 v43, v25, v41
	v_and_b32_e32 v41, 0x7f800000, v43
	v_cmp_ne_u32_e64 s[2:3], s22, v41
                                        ; implicit-def: $vgpr41
	s_and_saveexec_b64 s[12:13], s[2:3]
	s_xor_b64 s[2:3], exec, s[12:13]
; %bb.270:                              ;   in Loop: Header=BB318_121 Depth=1
	v_bfe_u32 v41, v43, 16, 1
	v_add3_u32 v41, v43, v41, s23
                                        ; implicit-def: $vgpr43
; %bb.271:                              ;   in Loop: Header=BB318_121 Depth=1
	s_andn2_saveexec_b64 s[12:13], s[2:3]
; %bb.272:                              ;   in Loop: Header=BB318_121 Depth=1
	v_or_b32_e32 v41, 0x10000, v43
	v_cmp_eq_u32_sdwa s[2:3], v43, v13 src0_sel:WORD_0 src1_sel:DWORD
	s_nop 1
	v_cndmask_b32_e64 v41, v41, v43, s[2:3]
; %bb.273:                              ;   in Loop: Header=BB318_121 Depth=1
	s_or_b64 exec, exec, s[12:13]
	v_lshlrev_b32_e32 v39, 16, v39
	v_mul_f32_e32 v43, v26, v39
	v_and_b32_e32 v39, 0x7f800000, v43
	v_cmp_ne_u32_e64 s[2:3], s22, v39
                                        ; implicit-def: $vgpr39
	s_and_saveexec_b64 s[12:13], s[2:3]
	s_xor_b64 s[2:3], exec, s[12:13]
; %bb.274:                              ;   in Loop: Header=BB318_121 Depth=1
	v_bfe_u32 v39, v43, 16, 1
	v_add3_u32 v39, v43, v39, s23
                                        ; implicit-def: $vgpr43
; %bb.275:                              ;   in Loop: Header=BB318_121 Depth=1
	s_andn2_saveexec_b64 s[12:13], s[2:3]
; %bb.276:                              ;   in Loop: Header=BB318_121 Depth=1
	v_or_b32_e32 v39, 0x10000, v43
	v_cmp_eq_u32_sdwa s[2:3], v43, v13 src0_sel:WORD_0 src1_sel:DWORD
	s_nop 1
	v_cndmask_b32_e64 v39, v39, v43, s[2:3]
; %bb.277:                              ;   in Loop: Header=BB318_121 Depth=1
	s_or_b64 exec, exec, s[12:13]
	v_lshlrev_b32_e32 v37, 16, v37
	v_mul_f32_e32 v43, v27, v37
	v_and_b32_e32 v37, 0x7f800000, v43
	v_cmp_ne_u32_e64 s[2:3], s22, v37
                                        ; implicit-def: $vgpr37
	s_and_saveexec_b64 s[12:13], s[2:3]
	s_xor_b64 s[2:3], exec, s[12:13]
; %bb.278:                              ;   in Loop: Header=BB318_121 Depth=1
	v_bfe_u32 v37, v43, 16, 1
	v_add3_u32 v37, v43, v37, s23
                                        ; implicit-def: $vgpr43
; %bb.279:                              ;   in Loop: Header=BB318_121 Depth=1
	s_andn2_saveexec_b64 s[12:13], s[2:3]
; %bb.280:                              ;   in Loop: Header=BB318_121 Depth=1
	v_or_b32_e32 v37, 0x10000, v43
	v_cmp_eq_u32_sdwa s[2:3], v43, v13 src0_sel:WORD_0 src1_sel:DWORD
	s_nop 1
	v_cndmask_b32_e64 v37, v37, v43, s[2:3]
; %bb.281:                              ;   in Loop: Header=BB318_121 Depth=1
	s_or_b64 exec, exec, s[12:13]
	v_lshlrev_b32_e32 v4, 16, v4
	v_mul_f32_e32 v43, v28, v4
	v_and_b32_e32 v4, 0x7f800000, v43
	v_cmp_ne_u32_e64 s[2:3], s22, v4
                                        ; implicit-def: $vgpr4
	s_and_saveexec_b64 s[12:13], s[2:3]
	s_xor_b64 s[2:3], exec, s[12:13]
; %bb.282:                              ;   in Loop: Header=BB318_121 Depth=1
	v_bfe_u32 v4, v43, 16, 1
	v_add3_u32 v4, v43, v4, s23
                                        ; implicit-def: $vgpr43
; %bb.283:                              ;   in Loop: Header=BB318_121 Depth=1
	s_andn2_saveexec_b64 s[12:13], s[2:3]
; %bb.284:                              ;   in Loop: Header=BB318_121 Depth=1
	v_or_b32_e32 v4, 0x10000, v43
	v_cmp_eq_u32_sdwa s[2:3], v43, v13 src0_sel:WORD_0 src1_sel:DWORD
	s_nop 1
	v_cndmask_b32_e64 v4, v4, v43, s[2:3]
; %bb.285:                              ;   in Loop: Header=BB318_121 Depth=1
	s_or_b64 exec, exec, s[12:13]
	v_and_b32_e32 v44, 0xffff0000, v34
	v_and_b32_e32 v34, 0xffff0000, v33
	;; [unrolled: 1-line block ×8, first 2 shown]
	v_pk_add_f32 v[30:31], v[30:31], v[32:33]
	v_pk_add_f32 v[32:33], v[34:35], v[44:45]
	v_add_f32_e32 v29, v30, v31
	v_add_f32_e32 v29, v29, v32
	;; [unrolled: 1-line block ×3, first 2 shown]
	v_and_b32_e32 v33, 0xffff0000, v37
	v_and_b32_e32 v35, 0xffff0000, v42
	;; [unrolled: 1-line block ×8, first 2 shown]
	v_pk_add_f32 v[4:5], v[36:37], v[34:35]
	v_pk_add_f32 v[30:31], v[32:33], v[30:31]
	v_add_f32_e32 v4, v4, v5
	v_add_f32_e32 v4, v4, v30
	;; [unrolled: 1-line block ×5, first 2 shown]
	s_and_saveexec_b64 s[12:13], vcc
	s_cbranch_execz .LBB318_120
; %bb.286:                              ;   in Loop: Header=BB318_121 Depth=1
	v_lshl_add_u64 v[2:3], v[2:3], 0, v[16:17]
	global_load_dwordx2 v[2:3], v[2:3], off
	s_waitcnt vmcnt(0)
	v_and_b32_e32 v4, 0xff, v2
	v_cvt_f32_fp8_sdwa v4, v4 src0_sel:BYTE_0
	s_nop 0
	v_mul_f32_e32 v5, s27, v4
	v_and_b32_e32 v4, 0x7f800000, v5
	v_cmp_ne_u32_e64 s[2:3], s22, v4
                                        ; implicit-def: $vgpr4
	s_and_saveexec_b64 s[14:15], s[2:3]
	s_xor_b64 s[2:3], exec, s[14:15]
; %bb.287:                              ;   in Loop: Header=BB318_121 Depth=1
	v_bfe_u32 v4, v5, 16, 1
	v_add3_u32 v4, v5, v4, s23
                                        ; implicit-def: $vgpr5
; %bb.288:                              ;   in Loop: Header=BB318_121 Depth=1
	s_andn2_saveexec_b64 s[14:15], s[2:3]
; %bb.289:                              ;   in Loop: Header=BB318_121 Depth=1
	v_or_b32_e32 v4, 0x10000, v5
	v_cmp_eq_u32_sdwa s[2:3], v5, v13 src0_sel:WORD_0 src1_sel:DWORD
	s_nop 1
	v_cndmask_b32_e64 v4, v4, v5, s[2:3]
; %bb.290:                              ;   in Loop: Header=BB318_121 Depth=1
	s_or_b64 exec, exec, s[14:15]
	v_bfe_u32 v5, v2, 8, 8
	v_cvt_f32_fp8_sdwa v5, v5 src0_sel:BYTE_0
	s_nop 0
	v_mul_f32_e32 v29, s27, v5
	v_and_b32_e32 v5, 0x7f800000, v29
	v_cmp_ne_u32_e64 s[2:3], s22, v5
                                        ; implicit-def: $vgpr5
	s_and_saveexec_b64 s[14:15], s[2:3]
	s_xor_b64 s[2:3], exec, s[14:15]
; %bb.291:                              ;   in Loop: Header=BB318_121 Depth=1
	v_bfe_u32 v5, v29, 16, 1
	v_add3_u32 v5, v29, v5, s23
                                        ; implicit-def: $vgpr29
; %bb.292:                              ;   in Loop: Header=BB318_121 Depth=1
	s_andn2_saveexec_b64 s[14:15], s[2:3]
; %bb.293:                              ;   in Loop: Header=BB318_121 Depth=1
	v_or_b32_e32 v5, 0x10000, v29
	v_cmp_eq_u32_sdwa s[2:3], v29, v13 src0_sel:WORD_0 src1_sel:DWORD
	s_nop 1
	v_cndmask_b32_e64 v5, v5, v29, s[2:3]
; %bb.294:                              ;   in Loop: Header=BB318_121 Depth=1
	s_or_b64 exec, exec, s[14:15]
	v_bfe_u32 v29, v2, 16, 8
	v_cvt_f32_fp8_sdwa v29, v29 src0_sel:BYTE_0
	s_nop 0
	v_mul_f32_e32 v29, s27, v29
	v_and_b32_e32 v30, 0x7f800000, v29
	v_cmp_ne_u32_e64 s[2:3], s22, v30
                                        ; implicit-def: $vgpr30
	s_and_saveexec_b64 s[14:15], s[2:3]
	s_xor_b64 s[2:3], exec, s[14:15]
; %bb.295:                              ;   in Loop: Header=BB318_121 Depth=1
	v_bfe_u32 v30, v29, 16, 1
	v_add3_u32 v30, v29, v30, s23
                                        ; implicit-def: $vgpr29
; %bb.296:                              ;   in Loop: Header=BB318_121 Depth=1
	s_andn2_saveexec_b64 s[14:15], s[2:3]
; %bb.297:                              ;   in Loop: Header=BB318_121 Depth=1
	v_or_b32_e32 v30, 0x10000, v29
	v_cmp_eq_u32_sdwa s[2:3], v29, v13 src0_sel:WORD_0 src1_sel:DWORD
	s_nop 1
	v_cndmask_b32_e64 v30, v30, v29, s[2:3]
; %bb.298:                              ;   in Loop: Header=BB318_121 Depth=1
	s_or_b64 exec, exec, s[14:15]
	v_lshrrev_b32_e32 v2, 24, v2
	v_cvt_f32_fp8_sdwa v2, v2 src0_sel:BYTE_0
	s_nop 0
	v_mul_f32_e32 v29, s27, v2
	v_and_b32_e32 v2, 0x7f800000, v29
	v_cmp_ne_u32_e64 s[2:3], s22, v2
                                        ; implicit-def: $vgpr2
	s_and_saveexec_b64 s[14:15], s[2:3]
	s_xor_b64 s[2:3], exec, s[14:15]
; %bb.299:                              ;   in Loop: Header=BB318_121 Depth=1
	v_bfe_u32 v2, v29, 16, 1
	v_add3_u32 v2, v29, v2, s23
                                        ; implicit-def: $vgpr29
; %bb.300:                              ;   in Loop: Header=BB318_121 Depth=1
	s_andn2_saveexec_b64 s[14:15], s[2:3]
; %bb.301:                              ;   in Loop: Header=BB318_121 Depth=1
	v_or_b32_e32 v2, 0x10000, v29
	v_cmp_eq_u32_sdwa s[2:3], v29, v13 src0_sel:WORD_0 src1_sel:DWORD
	s_nop 1
	v_cndmask_b32_e64 v2, v2, v29, s[2:3]
; %bb.302:                              ;   in Loop: Header=BB318_121 Depth=1
	s_or_b64 exec, exec, s[14:15]
	v_and_b32_e32 v29, 0xff, v3
	v_cvt_f32_fp8_sdwa v29, v29 src0_sel:BYTE_0
	s_nop 0
	v_mul_f32_e32 v29, s27, v29
	v_and_b32_e32 v31, 0x7f800000, v29
	v_cmp_ne_u32_e64 s[2:3], s22, v31
                                        ; implicit-def: $vgpr31
	s_and_saveexec_b64 s[14:15], s[2:3]
	s_xor_b64 s[2:3], exec, s[14:15]
; %bb.303:                              ;   in Loop: Header=BB318_121 Depth=1
	v_bfe_u32 v31, v29, 16, 1
	v_add3_u32 v31, v29, v31, s23
                                        ; implicit-def: $vgpr29
; %bb.304:                              ;   in Loop: Header=BB318_121 Depth=1
	s_andn2_saveexec_b64 s[14:15], s[2:3]
; %bb.305:                              ;   in Loop: Header=BB318_121 Depth=1
	v_or_b32_e32 v31, 0x10000, v29
	v_cmp_eq_u32_sdwa s[2:3], v29, v13 src0_sel:WORD_0 src1_sel:DWORD
	s_nop 1
	v_cndmask_b32_e64 v31, v31, v29, s[2:3]
; %bb.306:                              ;   in Loop: Header=BB318_121 Depth=1
	s_or_b64 exec, exec, s[14:15]
	v_bfe_u32 v29, v3, 8, 8
	v_cvt_f32_fp8_sdwa v29, v29 src0_sel:BYTE_0
	s_nop 0
	v_mul_f32_e32 v32, s27, v29
	v_and_b32_e32 v29, 0x7f800000, v32
	v_cmp_ne_u32_e64 s[2:3], s22, v29
                                        ; implicit-def: $vgpr29
	s_and_saveexec_b64 s[14:15], s[2:3]
	s_xor_b64 s[2:3], exec, s[14:15]
; %bb.307:                              ;   in Loop: Header=BB318_121 Depth=1
	v_bfe_u32 v29, v32, 16, 1
	v_add3_u32 v29, v32, v29, s23
                                        ; implicit-def: $vgpr32
; %bb.308:                              ;   in Loop: Header=BB318_121 Depth=1
	s_andn2_saveexec_b64 s[14:15], s[2:3]
; %bb.309:                              ;   in Loop: Header=BB318_121 Depth=1
	v_or_b32_e32 v29, 0x10000, v32
	v_cmp_eq_u32_sdwa s[2:3], v32, v13 src0_sel:WORD_0 src1_sel:DWORD
	s_nop 1
	v_cndmask_b32_e64 v29, v29, v32, s[2:3]
; %bb.310:                              ;   in Loop: Header=BB318_121 Depth=1
	s_or_b64 exec, exec, s[14:15]
	v_bfe_u32 v32, v3, 16, 8
	v_cvt_f32_fp8_sdwa v32, v32 src0_sel:BYTE_0
	s_nop 0
	v_mul_f32_e32 v32, s27, v32
	v_and_b32_e32 v33, 0x7f800000, v32
	v_cmp_ne_u32_e64 s[2:3], s22, v33
                                        ; implicit-def: $vgpr33
	s_and_saveexec_b64 s[14:15], s[2:3]
	s_xor_b64 s[2:3], exec, s[14:15]
; %bb.311:                              ;   in Loop: Header=BB318_121 Depth=1
	v_bfe_u32 v33, v32, 16, 1
	v_add3_u32 v33, v32, v33, s23
                                        ; implicit-def: $vgpr32
; %bb.312:                              ;   in Loop: Header=BB318_121 Depth=1
	s_andn2_saveexec_b64 s[14:15], s[2:3]
; %bb.313:                              ;   in Loop: Header=BB318_121 Depth=1
	v_or_b32_e32 v33, 0x10000, v32
	v_cmp_eq_u32_sdwa s[2:3], v32, v13 src0_sel:WORD_0 src1_sel:DWORD
	s_nop 1
	v_cndmask_b32_e64 v33, v33, v32, s[2:3]
; %bb.314:                              ;   in Loop: Header=BB318_121 Depth=1
	s_or_b64 exec, exec, s[14:15]
	v_lshrrev_b32_e32 v3, 24, v3
	v_cvt_f32_fp8_sdwa v3, v3 src0_sel:BYTE_0
                                        ; implicit-def: $vgpr34
	s_nop 0
	v_mul_f32_e32 v3, s27, v3
	v_and_b32_e32 v32, 0x7f800000, v3
	v_cmp_ne_u32_e64 s[2:3], s22, v32
	s_and_saveexec_b64 s[14:15], s[2:3]
	s_xor_b64 s[2:3], exec, s[14:15]
; %bb.315:                              ;   in Loop: Header=BB318_121 Depth=1
	v_bfe_u32 v32, v3, 16, 1
	v_add3_u32 v34, v3, v32, s23
                                        ; implicit-def: $vgpr3
; %bb.316:                              ;   in Loop: Header=BB318_121 Depth=1
	s_andn2_saveexec_b64 s[14:15], s[2:3]
; %bb.317:                              ;   in Loop: Header=BB318_121 Depth=1
	v_or_b32_e32 v32, 0x10000, v3
	v_cmp_eq_u32_sdwa s[2:3], v3, v13 src0_sel:WORD_0 src1_sel:DWORD
	s_nop 1
	v_cndmask_b32_e64 v34, v32, v3, s[2:3]
; %bb.318:                              ;   in Loop: Header=BB318_121 Depth=1
	s_or_b64 exec, exec, s[14:15]
	v_lshrrev_b32_e32 v29, 16, v29
	v_lshrrev_b32_e32 v31, 16, v31
	;; [unrolled: 1-line block ×8, first 2 shown]
	s_and_saveexec_b64 s[2:3], s[0:1]
	s_cbranch_execz .LBB318_320
; %bb.319:                              ;   in Loop: Header=BB318_121 Depth=1
	v_cmp_gt_i32_e64 s[0:1], s33, v6
	v_add_u32_e32 v6, -6, v22
	s_nop 0
	v_cndmask_b32_e64 v3, 0, v3, s[0:1]
	v_cmp_gt_i32_e64 s[0:1], s33, v6
	v_add_u32_e32 v6, -5, v22
	s_nop 0
	v_cndmask_b32_e64 v5, 0, v5, s[0:1]
	;; [unrolled: 4-line block ×6, first 2 shown]
	v_cmp_gt_i32_e64 s[0:1], s33, v6
	s_nop 1
	v_cndmask_b32_e64 v4, 0, v4, s[0:1]
	v_cmp_gt_i32_e64 s[0:1], s33, v22
	s_nop 1
	v_cndmask_b32_e64 v2, 0, v2, s[0:1]
.LBB318_320:                            ;   in Loop: Header=BB318_121 Depth=1
	s_or_b64 exec, exec, s[2:3]
	v_lshlrev_b32_e32 v3, 16, v3
	v_mul_f32_e32 v6, v7, v3
	v_and_b32_e32 v3, 0x7f800000, v6
	v_cmp_ne_u32_e64 s[0:1], s22, v3
                                        ; implicit-def: $vgpr3
	s_and_saveexec_b64 s[2:3], s[0:1]
	s_xor_b64 s[0:1], exec, s[2:3]
; %bb.321:                              ;   in Loop: Header=BB318_121 Depth=1
	v_bfe_u32 v3, v6, 16, 1
	v_add3_u32 v3, v6, v3, s23
                                        ; implicit-def: $vgpr6
; %bb.322:                              ;   in Loop: Header=BB318_121 Depth=1
	s_andn2_saveexec_b64 s[2:3], s[0:1]
; %bb.323:                              ;   in Loop: Header=BB318_121 Depth=1
	v_or_b32_e32 v3, 0x10000, v6
	v_cmp_eq_u32_sdwa s[0:1], v6, v13 src0_sel:WORD_0 src1_sel:DWORD
	s_nop 1
	v_cndmask_b32_e64 v3, v3, v6, s[0:1]
; %bb.324:                              ;   in Loop: Header=BB318_121 Depth=1
	s_or_b64 exec, exec, s[2:3]
	v_lshlrev_b32_e32 v5, 16, v5
	v_mul_f32_e32 v6, v8, v5
	v_and_b32_e32 v5, 0x7f800000, v6
	v_cmp_ne_u32_e64 s[0:1], s22, v5
                                        ; implicit-def: $vgpr5
	s_and_saveexec_b64 s[2:3], s[0:1]
	s_xor_b64 s[0:1], exec, s[2:3]
; %bb.325:                              ;   in Loop: Header=BB318_121 Depth=1
	v_bfe_u32 v5, v6, 16, 1
	v_add3_u32 v5, v6, v5, s23
                                        ; implicit-def: $vgpr6
; %bb.326:                              ;   in Loop: Header=BB318_121 Depth=1
	s_andn2_saveexec_b64 s[2:3], s[0:1]
; %bb.327:                              ;   in Loop: Header=BB318_121 Depth=1
	v_or_b32_e32 v5, 0x10000, v6
	v_cmp_eq_u32_sdwa s[0:1], v6, v13 src0_sel:WORD_0 src1_sel:DWORD
	s_nop 1
	v_cndmask_b32_e64 v5, v5, v6, s[0:1]
; %bb.328:                              ;   in Loop: Header=BB318_121 Depth=1
	s_or_b64 exec, exec, s[2:3]
	v_lshlrev_b32_e32 v6, 16, v30
	v_mul_f32_e32 v7, v9, v6
	v_and_b32_e32 v6, 0x7f800000, v7
	v_cmp_ne_u32_e64 s[0:1], s22, v6
                                        ; implicit-def: $vgpr6
	s_and_saveexec_b64 s[2:3], s[0:1]
	s_xor_b64 s[0:1], exec, s[2:3]
; %bb.329:                              ;   in Loop: Header=BB318_121 Depth=1
	v_bfe_u32 v6, v7, 16, 1
	v_add3_u32 v6, v7, v6, s23
                                        ; implicit-def: $vgpr7
; %bb.330:                              ;   in Loop: Header=BB318_121 Depth=1
	s_andn2_saveexec_b64 s[2:3], s[0:1]
; %bb.331:                              ;   in Loop: Header=BB318_121 Depth=1
	v_or_b32_e32 v6, 0x10000, v7
	v_cmp_eq_u32_sdwa s[0:1], v7, v13 src0_sel:WORD_0 src1_sel:DWORD
	s_nop 1
	v_cndmask_b32_e64 v6, v6, v7, s[0:1]
; %bb.332:                              ;   in Loop: Header=BB318_121 Depth=1
	s_or_b64 exec, exec, s[2:3]
	v_lshlrev_b32_e32 v7, 16, v32
	v_mul_f32_e32 v8, v24, v7
	v_and_b32_e32 v7, 0x7f800000, v8
	v_cmp_ne_u32_e64 s[0:1], s22, v7
                                        ; implicit-def: $vgpr7
	s_and_saveexec_b64 s[2:3], s[0:1]
	s_xor_b64 s[0:1], exec, s[2:3]
; %bb.333:                              ;   in Loop: Header=BB318_121 Depth=1
	v_bfe_u32 v7, v8, 16, 1
	v_add3_u32 v7, v8, v7, s23
                                        ; implicit-def: $vgpr8
; %bb.334:                              ;   in Loop: Header=BB318_121 Depth=1
	s_andn2_saveexec_b64 s[2:3], s[0:1]
; %bb.335:                              ;   in Loop: Header=BB318_121 Depth=1
	v_or_b32_e32 v7, 0x10000, v8
	v_cmp_eq_u32_sdwa s[0:1], v8, v13 src0_sel:WORD_0 src1_sel:DWORD
	s_nop 1
	v_cndmask_b32_e64 v7, v7, v8, s[0:1]
; %bb.336:                              ;   in Loop: Header=BB318_121 Depth=1
	s_or_b64 exec, exec, s[2:3]
	v_lshlrev_b32_e32 v8, 16, v31
	v_mul_f32_e32 v9, v25, v8
	v_and_b32_e32 v8, 0x7f800000, v9
	v_cmp_ne_u32_e64 s[0:1], s22, v8
                                        ; implicit-def: $vgpr8
	s_and_saveexec_b64 s[2:3], s[0:1]
	s_xor_b64 s[0:1], exec, s[2:3]
; %bb.337:                              ;   in Loop: Header=BB318_121 Depth=1
	v_bfe_u32 v8, v9, 16, 1
	v_add3_u32 v8, v9, v8, s23
                                        ; implicit-def: $vgpr9
; %bb.338:                              ;   in Loop: Header=BB318_121 Depth=1
	s_andn2_saveexec_b64 s[2:3], s[0:1]
; %bb.339:                              ;   in Loop: Header=BB318_121 Depth=1
	v_or_b32_e32 v8, 0x10000, v9
	v_cmp_eq_u32_sdwa s[0:1], v9, v13 src0_sel:WORD_0 src1_sel:DWORD
	s_nop 1
	v_cndmask_b32_e64 v8, v8, v9, s[0:1]
; %bb.340:                              ;   in Loop: Header=BB318_121 Depth=1
	s_or_b64 exec, exec, s[2:3]
	v_lshlrev_b32_e32 v9, 16, v29
	v_mul_f32_e32 v24, v26, v9
	v_and_b32_e32 v9, 0x7f800000, v24
	v_cmp_ne_u32_e64 s[0:1], s22, v9
                                        ; implicit-def: $vgpr9
	s_and_saveexec_b64 s[2:3], s[0:1]
	s_xor_b64 s[0:1], exec, s[2:3]
; %bb.341:                              ;   in Loop: Header=BB318_121 Depth=1
	v_bfe_u32 v9, v24, 16, 1
	v_add3_u32 v9, v24, v9, s23
                                        ; implicit-def: $vgpr24
; %bb.342:                              ;   in Loop: Header=BB318_121 Depth=1
	s_andn2_saveexec_b64 s[2:3], s[0:1]
; %bb.343:                              ;   in Loop: Header=BB318_121 Depth=1
	v_or_b32_e32 v9, 0x10000, v24
	v_cmp_eq_u32_sdwa s[0:1], v24, v13 src0_sel:WORD_0 src1_sel:DWORD
	s_nop 1
	v_cndmask_b32_e64 v9, v9, v24, s[0:1]
; %bb.344:                              ;   in Loop: Header=BB318_121 Depth=1
	s_or_b64 exec, exec, s[2:3]
	v_lshlrev_b32_e32 v4, 16, v4
	v_mul_f32_e32 v24, v27, v4
	v_and_b32_e32 v4, 0x7f800000, v24
	v_cmp_ne_u32_e64 s[0:1], s22, v4
                                        ; implicit-def: $vgpr4
	s_and_saveexec_b64 s[2:3], s[0:1]
	s_xor_b64 s[0:1], exec, s[2:3]
; %bb.345:                              ;   in Loop: Header=BB318_121 Depth=1
	v_bfe_u32 v4, v24, 16, 1
	v_add3_u32 v4, v24, v4, s23
                                        ; implicit-def: $vgpr24
; %bb.346:                              ;   in Loop: Header=BB318_121 Depth=1
	s_andn2_saveexec_b64 s[2:3], s[0:1]
; %bb.347:                              ;   in Loop: Header=BB318_121 Depth=1
	v_or_b32_e32 v4, 0x10000, v24
	v_cmp_eq_u32_sdwa s[0:1], v24, v13 src0_sel:WORD_0 src1_sel:DWORD
	s_nop 1
	v_cndmask_b32_e64 v4, v4, v24, s[0:1]
; %bb.348:                              ;   in Loop: Header=BB318_121 Depth=1
	s_or_b64 exec, exec, s[2:3]
	v_lshlrev_b32_e32 v2, 16, v2
	v_mul_f32_e32 v2, v28, v2
	v_and_b32_e32 v24, 0x7f800000, v2
	v_cmp_ne_u32_e64 s[0:1], s22, v24
                                        ; implicit-def: $vgpr24
	s_and_saveexec_b64 s[2:3], s[0:1]
	s_xor_b64 s[0:1], exec, s[2:3]
; %bb.349:                              ;   in Loop: Header=BB318_121 Depth=1
	v_bfe_u32 v24, v2, 16, 1
	v_add3_u32 v24, v2, v24, s23
                                        ; implicit-def: $vgpr2
; %bb.350:                              ;   in Loop: Header=BB318_121 Depth=1
	s_andn2_saveexec_b64 s[2:3], s[0:1]
	s_cbranch_execz .LBB318_119
; %bb.351:                              ;   in Loop: Header=BB318_121 Depth=1
	v_or_b32_e32 v24, 0x10000, v2
	v_cmp_eq_u32_sdwa s[0:1], v2, v13 src0_sel:WORD_0 src1_sel:DWORD
	s_nop 1
	v_cndmask_b32_e64 v24, v24, v2, s[0:1]
	s_branch .LBB318_119
.LBB318_352:
	s_or_b64 exec, exec, s[10:11]
.LBB318_353:
	s_or_b64 exec, exec, s[8:9]
	ds_bpermute_b32 v2, v11, v14
	ds_bpermute_b32 v3, v11, v15
	;; [unrolled: 1-line block ×3, first 2 shown]
	s_waitcnt lgkmcnt(0)
	s_barrier
	v_pk_add_f32 v[4:5], v[14:15], v[2:3]
	v_add_f32_e32 v2, v10, v1
	v_and_b32_e32 v1, 0x3c0, v0
	v_cmp_eq_u32_e32 vcc, 64, v1
	s_and_saveexec_b64 s[2:3], vcc
	s_cbranch_execz .LBB318_358
; %bb.354:
	v_cmp_eq_u32_e32 vcc, 0, v20
	s_and_saveexec_b64 s[0:1], vcc
	s_cbranch_execz .LBB318_356
; %bb.355:
	v_mov_b32_e32 v1, 0xb0
	v_lshl_add_u32 v1, v21, 2, v1
	ds_write2_b32 v1, v4, v5 offset1:32
.LBB318_356:
	s_or_b64 exec, exec, s[0:1]
	v_or_b32_e32 v1, 64, v21
	s_movk_i32 s0, 0x50
	v_cmp_gt_u32_e64 s[0:1], s0, v1
	s_and_b64 s[0:1], vcc, s[0:1]
	s_and_b64 exec, exec, s[0:1]
	s_cbranch_execz .LBB318_358
; %bb.357:
	v_mov_b32_e32 v1, 0xb0
	v_lshl_add_u32 v1, v21, 2, v1
	ds_write_b32 v1, v2 offset:256
.LBB318_358:
	s_or_b64 exec, exec, s[2:3]
	v_cmp_gt_u32_e32 vcc, 64, v0
	v_cmp_lt_u32_e64 s[0:1], 63, v0
	s_waitcnt lgkmcnt(0)
	s_barrier
	s_and_saveexec_b64 s[2:3], s[0:1]
	s_xor_b64 s[0:1], exec, s[2:3]
	s_or_saveexec_b64 s[6:7], s[0:1]
	v_lshrrev_b32_e32 v3, 1, v0
	s_xor_b64 exec, exec, s[6:7]
	s_cbranch_execz .LBB318_366
; %bb.359:
	v_cmp_eq_u32_e64 s[0:1], 0, v20
	s_and_saveexec_b64 s[2:3], s[0:1]
	s_cbranch_execz .LBB318_361
; %bb.360:
	v_mov_b32_e32 v0, 0xb0
	v_lshl_add_u32 v0, v3, 2, v0
	ds_read_b32 v0, v0
	s_waitcnt lgkmcnt(0)
	v_add_f32_e32 v4, v4, v0
.LBB318_361:
	s_or_b64 exec, exec, s[2:3]
	s_and_saveexec_b64 s[2:3], s[0:1]
	s_cbranch_execz .LBB318_363
; %bb.362:
	v_mov_b32_e32 v0, 0xb0
	v_lshl_add_u32 v0, v3, 2, v0
	ds_read_b32 v0, v0 offset:128
	s_waitcnt lgkmcnt(0)
	v_add_f32_e32 v5, v5, v0
.LBB318_363:
	s_or_b64 exec, exec, s[2:3]
	v_or_b32_e32 v0, 64, v3
	s_movk_i32 s2, 0x50
	v_cmp_gt_u32_e64 s[2:3], s2, v0
	s_and_b64 s[2:3], s[0:1], s[2:3]
	s_and_saveexec_b64 s[0:1], s[2:3]
	s_cbranch_execz .LBB318_365
; %bb.364:
	v_mov_b32_e32 v0, 0xb0
	v_lshl_add_u32 v0, v3, 2, v0
	ds_read_b32 v0, v0 offset:256
	s_waitcnt lgkmcnt(0)
	v_add_f32_e32 v2, v2, v0
.LBB318_365:
	s_or_b64 exec, exec, s[0:1]
.LBB318_366:
	s_or_b64 exec, exec, s[6:7]
	s_barrier
	s_and_saveexec_b64 s[0:1], vcc
	s_cbranch_execz .LBB318_383
; %bb.367:
	s_mul_i32 s0, s16, s17
	s_mul_i32 s0, s0, s5
	s_mulk_i32 s0, 0x50
	s_ashr_i32 s1, s0, 31
	s_lshl_b64 s[0:1], s[0:1], 1
	s_add_u32 s2, s20, s0
	s_mul_i32 s0, s17, s18
	s_addc_u32 s3, s21, s1
	s_ashr_i32 s1, s0, 31
	s_lshl_b64 s[0:1], s[0:1], 1
	s_add_u32 s2, s2, s0
	s_mul_i32 s0, s4, 0x50
	s_addc_u32 s3, s3, s1
	s_ashr_i32 s1, s0, 31
	s_lshl_b64 s[0:1], s[0:1], 1
	s_add_u32 s2, s2, s0
	s_addc_u32 s3, s3, s1
	v_cmp_eq_u32_e32 vcc, 0, v20
	s_and_saveexec_b64 s[4:5], vcc
	s_cbranch_execz .LBB318_377
; %bb.368:
	s_mov_b32 s0, 0x7f800000
	v_and_b32_e32 v0, 0x7f800000, v4
	v_cmp_ne_u32_e64 s[0:1], s0, v0
                                        ; implicit-def: $vgpr6
	s_and_saveexec_b64 s[6:7], s[0:1]
	s_xor_b64 s[0:1], exec, s[6:7]
; %bb.369:
	v_bfe_u32 v0, v4, 16, 1
	s_movk_i32 s6, 0x7fff
	v_add3_u32 v6, v4, v0, s6
; %bb.370:
	s_andn2_saveexec_b64 s[6:7], s[0:1]
; %bb.371:
	v_mov_b32_e32 v0, 0
	v_or_b32_e32 v1, 0x10000, v4
	v_cmp_eq_u32_sdwa s[0:1], v4, v0 src0_sel:WORD_0 src1_sel:DWORD
	s_nop 1
	v_cndmask_b32_e64 v6, v1, v4, s[0:1]
; %bb.372:
	s_or_b64 exec, exec, s[6:7]
	s_mov_b32 s0, 0x7f800000
	v_and_b32_e32 v4, 0x7f800000, v5
	v_lshlrev_b32_e32 v0, 1, v3
	v_mov_b32_e32 v1, 0
	v_cmp_ne_u32_e64 s[0:1], s0, v4
	global_store_short_d16_hi v0, v6, s[2:3]
                                        ; implicit-def: $vgpr7
	s_and_saveexec_b64 s[6:7], s[0:1]
	s_xor_b64 s[0:1], exec, s[6:7]
; %bb.373:
	v_bfe_u32 v4, v5, 16, 1
	s_movk_i32 s6, 0x7fff
	v_add3_u32 v7, v5, v4, s6
                                        ; implicit-def: $vgpr4_vgpr5_vgpr6
; %bb.374:
	s_or_saveexec_b64 s[6:7], s[0:1]
	v_lshl_add_u64 v[0:1], s[2:3], 0, v[0:1]
	s_xor_b64 exec, exec, s[6:7]
; %bb.375:
	v_mov_b32_e32 v4, 0
	v_or_b32_e32 v6, 0x10000, v5
	v_cmp_eq_u32_sdwa s[0:1], v5, v4 src0_sel:WORD_0 src1_sel:DWORD
	s_nop 1
	v_cndmask_b32_e64 v7, v6, v5, s[0:1]
; %bb.376:
	s_or_b64 exec, exec, s[6:7]
	global_store_short_d16_hi v[0:1], v7, off offset:64
.LBB318_377:
	s_or_b64 exec, exec, s[4:5]
	v_or_b32_e32 v0, 64, v3
	s_movk_i32 s0, 0x50
	v_cmp_gt_u32_e64 s[0:1], s0, v0
	s_and_b64 s[0:1], vcc, s[0:1]
	s_and_b64 exec, exec, s[0:1]
	s_cbranch_execz .LBB318_383
; %bb.378:
	s_mov_b32 s0, 0x7f800000
	v_and_b32_e32 v0, 0x7f800000, v2
	v_cmp_ne_u32_e32 vcc, s0, v0
                                        ; implicit-def: $vgpr0
	s_and_saveexec_b64 s[0:1], vcc
	s_xor_b64 s[0:1], exec, s[0:1]
; %bb.379:
	v_bfe_u32 v0, v2, 16, 1
	s_movk_i32 s4, 0x7fff
	v_add3_u32 v0, v2, v0, s4
                                        ; implicit-def: $vgpr2
; %bb.380:
	s_andn2_saveexec_b64 s[0:1], s[0:1]
; %bb.381:
	v_mov_b32_e32 v0, 0
	v_or_b32_e32 v1, 0x10000, v2
	v_cmp_eq_u32_sdwa vcc, v2, v0 src0_sel:WORD_0 src1_sel:DWORD
	s_nop 1
	v_cndmask_b32_e32 v0, v1, v2, vcc
; %bb.382:
	s_or_b64 exec, exec, s[0:1]
	v_lshlrev_b32_e32 v1, 1, v3
	global_store_short_d16_hi v1, v0, s[2:3] offset:128
.LBB318_383:
	s_endpgm
	.section	.rodata,"a",@progbits
	.p2align	6, 0x0
	.amdhsa_kernel _ZN4vllm25paged_attention_v1_kernelI14__hip_bfloat16hLi80ELi16ELi128ELNS_18Fp8KVCacheDataTypeE1ELb0EEEvPT_PKS3_PKT0_S9_ifPKiSB_iPKfiiiSD_SD_iiiii
		.amdhsa_group_segment_fixed_size 176
		.amdhsa_private_segment_fixed_size 0
		.amdhsa_kernarg_size 384
		.amdhsa_user_sgpr_count 2
		.amdhsa_user_sgpr_dispatch_ptr 0
		.amdhsa_user_sgpr_queue_ptr 0
		.amdhsa_user_sgpr_kernarg_segment_ptr 1
		.amdhsa_user_sgpr_dispatch_id 0
		.amdhsa_user_sgpr_kernarg_preload_length 0
		.amdhsa_user_sgpr_kernarg_preload_offset 0
		.amdhsa_user_sgpr_private_segment_size 0
		.amdhsa_uses_dynamic_stack 0
		.amdhsa_enable_private_segment 0
		.amdhsa_system_sgpr_workgroup_id_x 1
		.amdhsa_system_sgpr_workgroup_id_y 1
		.amdhsa_system_sgpr_workgroup_id_z 1
		.amdhsa_system_sgpr_workgroup_info 0
		.amdhsa_system_vgpr_workitem_id 0
		.amdhsa_next_free_vgpr 58
		.amdhsa_next_free_sgpr 40
		.amdhsa_accum_offset 60
		.amdhsa_reserve_vcc 1
		.amdhsa_float_round_mode_32 0
		.amdhsa_float_round_mode_16_64 0
		.amdhsa_float_denorm_mode_32 3
		.amdhsa_float_denorm_mode_16_64 3
		.amdhsa_dx10_clamp 1
		.amdhsa_ieee_mode 1
		.amdhsa_fp16_overflow 0
		.amdhsa_tg_split 0
		.amdhsa_exception_fp_ieee_invalid_op 0
		.amdhsa_exception_fp_denorm_src 0
		.amdhsa_exception_fp_ieee_div_zero 0
		.amdhsa_exception_fp_ieee_overflow 0
		.amdhsa_exception_fp_ieee_underflow 0
		.amdhsa_exception_fp_ieee_inexact 0
		.amdhsa_exception_int_div_zero 0
	.end_amdhsa_kernel
	.section	.text._ZN4vllm25paged_attention_v1_kernelI14__hip_bfloat16hLi80ELi16ELi128ELNS_18Fp8KVCacheDataTypeE1ELb0EEEvPT_PKS3_PKT0_S9_ifPKiSB_iPKfiiiSD_SD_iiiii,"axG",@progbits,_ZN4vllm25paged_attention_v1_kernelI14__hip_bfloat16hLi80ELi16ELi128ELNS_18Fp8KVCacheDataTypeE1ELb0EEEvPT_PKS3_PKT0_S9_ifPKiSB_iPKfiiiSD_SD_iiiii,comdat
.Lfunc_end318:
	.size	_ZN4vllm25paged_attention_v1_kernelI14__hip_bfloat16hLi80ELi16ELi128ELNS_18Fp8KVCacheDataTypeE1ELb0EEEvPT_PKS3_PKT0_S9_ifPKiSB_iPKfiiiSD_SD_iiiii, .Lfunc_end318-_ZN4vllm25paged_attention_v1_kernelI14__hip_bfloat16hLi80ELi16ELi128ELNS_18Fp8KVCacheDataTypeE1ELb0EEEvPT_PKS3_PKT0_S9_ifPKiSB_iPKfiiiSD_SD_iiiii
                                        ; -- End function
	.section	.AMDGPU.csdata,"",@progbits
; Kernel info:
; codeLenInByte = 12076
; NumSgprs: 46
; NumVgprs: 58
; NumAgprs: 0
; TotalNumVgprs: 58
; ScratchSize: 0
; MemoryBound: 0
; FloatMode: 240
; IeeeMode: 1
; LDSByteSize: 176 bytes/workgroup (compile time only)
; SGPRBlocks: 5
; VGPRBlocks: 7
; NumSGPRsForWavesPerEU: 46
; NumVGPRsForWavesPerEU: 58
; AccumOffset: 60
; Occupancy: 8
; WaveLimiterHint : 1
; COMPUTE_PGM_RSRC2:SCRATCH_EN: 0
; COMPUTE_PGM_RSRC2:USER_SGPR: 2
; COMPUTE_PGM_RSRC2:TRAP_HANDLER: 0
; COMPUTE_PGM_RSRC2:TGID_X_EN: 1
; COMPUTE_PGM_RSRC2:TGID_Y_EN: 1
; COMPUTE_PGM_RSRC2:TGID_Z_EN: 1
; COMPUTE_PGM_RSRC2:TIDIG_COMP_CNT: 0
; COMPUTE_PGM_RSRC3_GFX90A:ACCUM_OFFSET: 14
; COMPUTE_PGM_RSRC3_GFX90A:TG_SPLIT: 0
	.section	.text._ZN4vllm25paged_attention_v1_kernelI14__hip_bfloat16hLi96ELi16ELi128ELNS_18Fp8KVCacheDataTypeE1ELb0EEEvPT_PKS3_PKT0_S9_ifPKiSB_iPKfiiiSD_SD_iiiii,"axG",@progbits,_ZN4vllm25paged_attention_v1_kernelI14__hip_bfloat16hLi96ELi16ELi128ELNS_18Fp8KVCacheDataTypeE1ELb0EEEvPT_PKS3_PKT0_S9_ifPKiSB_iPKfiiiSD_SD_iiiii,comdat
	.protected	_ZN4vllm25paged_attention_v1_kernelI14__hip_bfloat16hLi96ELi16ELi128ELNS_18Fp8KVCacheDataTypeE1ELb0EEEvPT_PKS3_PKT0_S9_ifPKiSB_iPKfiiiSD_SD_iiiii ; -- Begin function _ZN4vllm25paged_attention_v1_kernelI14__hip_bfloat16hLi96ELi16ELi128ELNS_18Fp8KVCacheDataTypeE1ELb0EEEvPT_PKS3_PKT0_S9_ifPKiSB_iPKfiiiSD_SD_iiiii
	.globl	_ZN4vllm25paged_attention_v1_kernelI14__hip_bfloat16hLi96ELi16ELi128ELNS_18Fp8KVCacheDataTypeE1ELb0EEEvPT_PKS3_PKT0_S9_ifPKiSB_iPKfiiiSD_SD_iiiii
	.p2align	8
	.type	_ZN4vllm25paged_attention_v1_kernelI14__hip_bfloat16hLi96ELi16ELi128ELNS_18Fp8KVCacheDataTypeE1ELb0EEEvPT_PKS3_PKT0_S9_ifPKiSB_iPKfiiiSD_SD_iiiii,@function
_ZN4vllm25paged_attention_v1_kernelI14__hip_bfloat16hLi96ELi16ELi128ELNS_18Fp8KVCacheDataTypeE1ELb0EEEvPT_PKS3_PKT0_S9_ifPKiSB_iPKfiiiSD_SD_iiiii: ; @_ZN4vllm25paged_attention_v1_kernelI14__hip_bfloat16hLi96ELi16ELi128ELNS_18Fp8KVCacheDataTypeE1ELb0EEEvPT_PKS3_PKT0_S9_ifPKiSB_iPKfiiiSD_SD_iiiii
; %bb.0:
	s_load_dword s5, s[0:1], 0x80
	s_load_dwordx2 s[6:7], s[0:1], 0x30
	s_load_dwordx2 s[28:29], s[0:1], 0x20
	s_mov_b32 s16, s3
	s_ashr_i32 s17, s3, 31
	s_lshl_b64 s[8:9], s[16:17], 2
	s_waitcnt lgkmcnt(0)
	s_add_u32 s6, s6, s8
	s_addc_u32 s7, s7, s9
	s_abs_i32 s3, s28
	v_cvt_f32_u32_e32 v1, s3
	s_sub_i32 s10, 0, s3
	s_abs_i32 s9, s5
	s_xor_b32 s8, s5, s28
	v_rcp_iflag_f32_e32 v1, v1
	s_ashr_i32 s8, s8, 31
	s_mov_b32 s28, 0
	v_mul_f32_e32 v1, 0x4f7ffffe, v1
	v_cvt_u32_f32_e32 v1, v1
	s_nop 0
	v_readfirstlane_b32 s11, v1
	s_mul_i32 s10, s10, s11
	s_mul_hi_u32 s10, s11, s10
	s_add_i32 s11, s11, s10
	s_mul_hi_u32 s10, s9, s11
	s_mul_i32 s11, s10, s3
	s_sub_i32 s9, s9, s11
	s_add_i32 s11, s10, 1
	s_sub_i32 s12, s9, s3
	s_cmp_ge_u32 s9, s3
	s_cselect_b32 s10, s11, s10
	s_cselect_b32 s9, s12, s9
	s_add_i32 s11, s10, 1
	s_cmp_ge_u32 s9, s3
	s_cselect_b32 s3, s11, s10
	s_xor_b32 s3, s3, s8
	s_sub_i32 s18, s3, s8
	s_abs_i32 s10, s18
	v_cvt_f32_u32_e32 v1, s10
	s_load_dwordx2 s[8:9], s[0:1], 0x40
	s_sub_i32 s3, 0, s10
	s_abs_i32 s11, s2
	v_rcp_iflag_f32_e32 v1, v1
	s_nop 0
	v_mul_f32_e32 v1, 0x4f7ffffe, v1
	v_cvt_u32_f32_e32 v1, v1
	s_nop 0
	v_readfirstlane_b32 s12, v1
	s_mul_i32 s3, s3, s12
	s_mul_hi_u32 s3, s12, s3
	s_add_i32 s12, s12, s3
	s_waitcnt lgkmcnt(0)
	s_cmp_eq_u64 s[8:9], 0
	s_mul_hi_u32 s20, s11, s12
	s_cbranch_scc1 .LBB319_2
; %bb.1:
	s_ashr_i32 s3, s2, 31
	s_lshl_b64 s[12:13], s[2:3], 2
	s_add_u32 s8, s8, s12
	s_addc_u32 s9, s9, s13
	s_load_dword s28, s[8:9], 0x0
.LBB319_2:
	s_load_dword s17, s[6:7], 0x0
	s_load_dwordx4 s[12:15], s[0:1], 0x48
	s_ashr_i32 s6, s2, 31
	s_ashr_i32 s7, s18, 31
	v_and_b32_e32 v6, 3, v0
	s_mul_i32 s18, s2, 0x60
	v_cmp_gt_u32_e32 vcc, 48, v0
	s_and_saveexec_b64 s[2:3], vcc
	s_cbranch_execz .LBB319_4
; %bb.3:
	s_load_dwordx2 s[8:9], s[0:1], 0x8
	s_waitcnt lgkmcnt(0)
	s_mul_i32 s22, s16, s12
	s_ashr_i32 s23, s22, 31
	s_lshl_b64 s[22:23], s[22:23], 1
	v_lshlrev_b32_e32 v1, 2, v0
	s_add_u32 s12, s8, s22
	s_addc_u32 s15, s9, s23
	s_ashr_i32 s19, s18, 31
	s_lshl_b64 s[8:9], s[18:19], 1
	s_add_u32 s8, s12, s8
	s_addc_u32 s9, s15, s9
	global_load_dword v1, v1, s[8:9]
	v_and_b32_e32 v2, 0x3fc, v0
	v_mad_u32_u24 v2, v6, 48, v2
	s_waitcnt vmcnt(0)
	ds_write_b32 v2, v1
.LBB319_4:
	s_or_b64 exec, exec, s[2:3]
	s_waitcnt lgkmcnt(0)
	s_add_i32 s3, s17, 15
	s_ashr_i32 s8, s3, 31
	s_lshr_b32 s8, s8, 28
	s_add_i32 s3, s3, s8
	s_ashr_i32 s19, s3, 4
	s_xor_b32 s3, s6, s7
	s_mul_i32 s6, s20, s10
	s_sub_i32 s6, s11, s6
	s_add_i32 s7, s20, 1
	s_sub_i32 s8, s6, s10
	s_load_dwordx2 s[22:23], s[0:1], 0x28
	s_load_dword s2, s[0:1], 0x38
	s_cmp_ge_u32 s6, s10
	s_cselect_b32 s7, s7, s20
	s_cselect_b32 s6, s8, s6
	s_add_i32 s8, s7, 1
	s_cmp_ge_u32 s6, s10
	s_cselect_b32 s6, s8, s7
	v_lshrrev_b32_e32 v1, 6, v0
	s_xor_b32 s6, s6, s3
	s_waitcnt lgkmcnt(0)
	s_mul_i32 s24, s16, s2
	s_sub_i32 s33, s6, s3
	s_ashr_i32 s25, s24, 31
	v_cmp_gt_i32_e64 s[6:7], s19, v1
	v_cmp_le_i32_e32 vcc, s19, v1
	v_mbcnt_lo_u32_b32 v7, -1, 0
	s_barrier
	s_waitcnt lgkmcnt(0)
                                        ; implicit-def: $sgpr15
                                        ; implicit-def: $vgpr10
                                        ; implicit-def: $vgpr11
	s_and_saveexec_b64 s[2:3], vcc
	s_xor_b64 s[2:3], exec, s[2:3]
; %bb.5:
	v_mbcnt_hi_u32_b32 v10, -1, v7
	v_and_b32_e32 v2, 64, v10
	v_add_u32_e32 v11, 64, v2
	s_mov_b32 s15, 0xff7fffff
                                        ; implicit-def: $vgpr6
                                        ; implicit-def: $vgpr7
; %bb.6:
	s_or_saveexec_b64 s[30:31], s[2:3]
	s_load_dwordx2 s[20:21], s[0:1], 0x0
	s_load_dwordx2 s[26:27], s[0:1], 0x18
	s_load_dword s12, s[0:1], 0x88
	s_load_dwordx4 s[8:11], s[0:1], 0x58
	v_mov_b32_e32 v37, s15
	s_mul_i32 s33, s33, s14
	v_lshrrev_b32_e32 v16, 4, v0
	s_xor_b64 exec, exec, s[30:31]
	s_cbranch_execz .LBB319_108
; %bb.7:
	v_mul_u32_u24_e32 v12, 48, v6
	ds_read_b128 v[8:11], v12
	s_load_dwordx2 s[0:1], s[0:1], 0x10
	s_ashr_i32 s2, s33, 31
	v_bfe_u32 v41, v0, 2, 4
	ds_read_b128 v[26:29], v12 offset:16
	ds_read_b128 v[34:37], v12 offset:32
	s_waitcnt lgkmcnt(0)
	v_lshlrev_b32_e32 v17, 16, v10
	v_and_b32_e32 v18, 0xffff0000, v10
	v_mbcnt_hi_u32_b32 v10, -1, v7
	v_and_b32_e32 v7, 64, v10
	v_lshlrev_b32_e32 v19, 16, v11
	v_and_b32_e32 v20, 0xffff0000, v11
	v_add_u32_e32 v11, 64, v7
	v_xor_b32_e32 v7, 2, v10
	v_cmp_lt_i32_e32 vcc, v7, v11
	s_add_u32 s0, s0, s33
	v_lshlrev_b32_e32 v2, 4, v41
	v_cndmask_b32_e32 v7, v10, v7, vcc
	v_lshlrev_b32_e32 v38, 2, v7
	v_xor_b32_e32 v7, 1, v10
	s_addc_u32 s1, s1, s2
	v_mov_b32_e32 v3, 0
	v_cmp_lt_i32_e32 vcc, v7, v11
	s_load_dword s35, s[8:9], 0x0
	v_lshl_add_u64 v[4:5], s[0:1], 0, v[2:3]
	v_lshlrev_b32_e32 v2, 1, v6
	v_cndmask_b32_e32 v7, v10, v7, vcc
	v_cmp_eq_u32_e32 vcc, 0, v6
	s_sub_i32 s36, 1, s17
	v_lshlrev_b32_e32 v6, 2, v41
	s_lshl_b64 s[0:1], s[24:25], 2
	v_lshl_or_b32 v6, v1, 6, v6
	s_add_u32 s0, s22, s0
	v_lshlrev_b32_e32 v39, 2, v7
	v_lshl_or_b32 v40, v1, 4, v41
	v_add_u32_e32 v41, 0xd0, v6
	v_and_b32_e32 v6, 60, v16
	v_mov_b32_e32 v7, v3
	s_addc_u32 s1, s23, s1
	s_mov_b32 s34, s13
	v_lshlrev_b32_e32 v12, 16, v8
	v_and_b32_e32 v13, 0xffff0000, v8
	v_lshlrev_b32_e32 v14, 16, v9
	v_and_b32_e32 v15, 0xffff0000, v9
	;; [unrolled: 2-line block ×10, first 2 shown]
	v_cmp_neq_f32_e64 s[2:3], s28, 0
	v_lshl_add_u64 v[6:7], s[0:1], 0, v[6:7]
	s_mov_b64 s[8:9], 0
	v_mov_b32_e32 v37, 0xff7fffff
	s_mov_b32 s37, 0xffff
	s_mov_b32 s38, 0x7f800000
	s_movk_i32 s39, 0x7fff
	v_mov_b32_e32 v42, v1
	s_branch .LBB319_9
.LBB319_8:                              ;   in Loop: Header=BB319_9 Depth=1
	s_or_b64 exec, exec, s[14:15]
	v_add_u32_e32 v42, 2, v42
	v_cmp_le_i32_e64 s[0:1], s19, v42
	v_add_u32_e32 v40, 32, v40
	v_add_u32_e32 v41, 0x80, v41
	s_or_b64 s[8:9], s[0:1], s[8:9]
	v_lshl_add_u64 v[6:7], v[6:7], 0, 8
	s_andn2_b64 exec, exec, s[8:9]
	s_cbranch_execz .LBB319_107
.LBB319_9:                              ; =>This Inner Loop Header: Depth=1
	global_load_dword v8, v[6:7], off
	s_waitcnt vmcnt(0) lgkmcnt(0)
	v_mad_i64_i32 v[8:9], s[0:1], v8, s34, v[4:5]
	v_lshl_add_u64 v[8:9], v[8:9], 0, v[2:3]
	global_load_ushort v44, v[8:9], off
	s_waitcnt vmcnt(0)
	v_and_b32_sdwa v43, s37, v44 dst_sel:DWORD dst_unused:UNUSED_PAD src0_sel:DWORD src1_sel:BYTE_0
	v_cvt_f32_fp8_sdwa v43, v43 src0_sel:BYTE_0
	s_waitcnt lgkmcnt(0)
	v_mul_f32_e32 v45, s35, v43
	v_and_b32_e32 v43, 0x7f800000, v45
	v_cmp_ne_u32_e64 s[0:1], s38, v43
                                        ; implicit-def: $vgpr43
	s_and_saveexec_b64 s[14:15], s[0:1]
	s_xor_b64 s[0:1], exec, s[14:15]
; %bb.10:                               ;   in Loop: Header=BB319_9 Depth=1
	v_bfe_u32 v43, v45, 16, 1
	v_add3_u32 v43, v45, v43, s39
                                        ; implicit-def: $vgpr45
; %bb.11:                               ;   in Loop: Header=BB319_9 Depth=1
	s_andn2_saveexec_b64 s[14:15], s[0:1]
; %bb.12:                               ;   in Loop: Header=BB319_9 Depth=1
	v_or_b32_e32 v43, 0x10000, v45
	v_cmp_eq_u32_sdwa s[0:1], v45, v3 src0_sel:WORD_0 src1_sel:DWORD
	s_nop 1
	v_cndmask_b32_e64 v43, v43, v45, s[0:1]
; %bb.13:                               ;   in Loop: Header=BB319_9 Depth=1
	s_or_b64 exec, exec, s[14:15]
	v_lshrrev_b16_e32 v44, 8, v44
	v_cvt_f32_fp8_sdwa v44, v44 src0_sel:BYTE_0
	s_nop 0
	v_mul_f32_e32 v45, s35, v44
	v_and_b32_e32 v44, 0x7f800000, v45
	v_cmp_ne_u32_e64 s[0:1], s38, v44
                                        ; implicit-def: $vgpr44
	s_and_saveexec_b64 s[14:15], s[0:1]
	s_xor_b64 s[0:1], exec, s[14:15]
; %bb.14:                               ;   in Loop: Header=BB319_9 Depth=1
	v_bfe_u32 v44, v45, 16, 1
	v_add3_u32 v44, v45, v44, s39
                                        ; implicit-def: $vgpr45
; %bb.15:                               ;   in Loop: Header=BB319_9 Depth=1
	s_andn2_saveexec_b64 s[14:15], s[0:1]
; %bb.16:                               ;   in Loop: Header=BB319_9 Depth=1
	v_or_b32_e32 v44, 0x10000, v45
	v_cmp_eq_u32_sdwa s[0:1], v45, v3 src0_sel:WORD_0 src1_sel:DWORD
	s_nop 1
	v_cndmask_b32_e64 v44, v44, v45, s[0:1]
; %bb.17:                               ;   in Loop: Header=BB319_9 Depth=1
	s_or_b64 exec, exec, s[14:15]
	global_load_ushort v46, v[8:9], off offset:8
	s_waitcnt vmcnt(0)
	v_and_b32_sdwa v45, s37, v46 dst_sel:DWORD dst_unused:UNUSED_PAD src0_sel:DWORD src1_sel:BYTE_0
	v_cvt_f32_fp8_sdwa v45, v45 src0_sel:BYTE_0
	s_nop 0
	v_mul_f32_e32 v47, s35, v45
	v_and_b32_e32 v45, 0x7f800000, v47
	v_cmp_ne_u32_e64 s[0:1], s38, v45
                                        ; implicit-def: $vgpr45
	s_and_saveexec_b64 s[14:15], s[0:1]
	s_xor_b64 s[0:1], exec, s[14:15]
; %bb.18:                               ;   in Loop: Header=BB319_9 Depth=1
	v_bfe_u32 v45, v47, 16, 1
	v_add3_u32 v45, v47, v45, s39
                                        ; implicit-def: $vgpr47
; %bb.19:                               ;   in Loop: Header=BB319_9 Depth=1
	s_andn2_saveexec_b64 s[14:15], s[0:1]
; %bb.20:                               ;   in Loop: Header=BB319_9 Depth=1
	v_or_b32_e32 v45, 0x10000, v47
	v_cmp_eq_u32_sdwa s[0:1], v47, v3 src0_sel:WORD_0 src1_sel:DWORD
	s_nop 1
	v_cndmask_b32_e64 v45, v45, v47, s[0:1]
; %bb.21:                               ;   in Loop: Header=BB319_9 Depth=1
	s_or_b64 exec, exec, s[14:15]
	v_lshrrev_b16_e32 v46, 8, v46
	v_cvt_f32_fp8_sdwa v46, v46 src0_sel:BYTE_0
	s_nop 0
	v_mul_f32_e32 v47, s35, v46
	v_and_b32_e32 v46, 0x7f800000, v47
	v_cmp_ne_u32_e64 s[0:1], s38, v46
                                        ; implicit-def: $vgpr46
	s_and_saveexec_b64 s[14:15], s[0:1]
	s_xor_b64 s[0:1], exec, s[14:15]
; %bb.22:                               ;   in Loop: Header=BB319_9 Depth=1
	v_bfe_u32 v46, v47, 16, 1
	v_add3_u32 v46, v47, v46, s39
                                        ; implicit-def: $vgpr47
; %bb.23:                               ;   in Loop: Header=BB319_9 Depth=1
	s_andn2_saveexec_b64 s[14:15], s[0:1]
; %bb.24:                               ;   in Loop: Header=BB319_9 Depth=1
	v_or_b32_e32 v46, 0x10000, v47
	v_cmp_eq_u32_sdwa s[0:1], v47, v3 src0_sel:WORD_0 src1_sel:DWORD
	s_nop 1
	v_cndmask_b32_e64 v46, v46, v47, s[0:1]
; %bb.25:                               ;   in Loop: Header=BB319_9 Depth=1
	s_or_b64 exec, exec, s[14:15]
	global_load_ushort v48, v[8:9], off offset:256
	s_waitcnt vmcnt(0)
	v_and_b32_sdwa v47, s37, v48 dst_sel:DWORD dst_unused:UNUSED_PAD src0_sel:DWORD src1_sel:BYTE_0
	v_cvt_f32_fp8_sdwa v47, v47 src0_sel:BYTE_0
	s_nop 0
	v_mul_f32_e32 v49, s35, v47
	v_and_b32_e32 v47, 0x7f800000, v49
	v_cmp_ne_u32_e64 s[0:1], s38, v47
                                        ; implicit-def: $vgpr47
	s_and_saveexec_b64 s[14:15], s[0:1]
	s_xor_b64 s[0:1], exec, s[14:15]
; %bb.26:                               ;   in Loop: Header=BB319_9 Depth=1
	v_bfe_u32 v47, v49, 16, 1
	v_add3_u32 v47, v49, v47, s39
                                        ; implicit-def: $vgpr49
; %bb.27:                               ;   in Loop: Header=BB319_9 Depth=1
	s_andn2_saveexec_b64 s[14:15], s[0:1]
; %bb.28:                               ;   in Loop: Header=BB319_9 Depth=1
	v_or_b32_e32 v47, 0x10000, v49
	v_cmp_eq_u32_sdwa s[0:1], v49, v3 src0_sel:WORD_0 src1_sel:DWORD
	s_nop 1
	v_cndmask_b32_e64 v47, v47, v49, s[0:1]
; %bb.29:                               ;   in Loop: Header=BB319_9 Depth=1
	s_or_b64 exec, exec, s[14:15]
	v_lshrrev_b16_e32 v48, 8, v48
	v_cvt_f32_fp8_sdwa v48, v48 src0_sel:BYTE_0
	s_nop 0
	v_mul_f32_e32 v49, s35, v48
	v_and_b32_e32 v48, 0x7f800000, v49
	v_cmp_ne_u32_e64 s[0:1], s38, v48
                                        ; implicit-def: $vgpr48
	s_and_saveexec_b64 s[14:15], s[0:1]
	s_xor_b64 s[0:1], exec, s[14:15]
; %bb.30:                               ;   in Loop: Header=BB319_9 Depth=1
	v_bfe_u32 v48, v49, 16, 1
	v_add3_u32 v48, v49, v48, s39
                                        ; implicit-def: $vgpr49
; %bb.31:                               ;   in Loop: Header=BB319_9 Depth=1
	s_andn2_saveexec_b64 s[14:15], s[0:1]
; %bb.32:                               ;   in Loop: Header=BB319_9 Depth=1
	v_or_b32_e32 v48, 0x10000, v49
	v_cmp_eq_u32_sdwa s[0:1], v49, v3 src0_sel:WORD_0 src1_sel:DWORD
	s_nop 1
	v_cndmask_b32_e64 v48, v48, v49, s[0:1]
; %bb.33:                               ;   in Loop: Header=BB319_9 Depth=1
	s_or_b64 exec, exec, s[14:15]
	global_load_ushort v50, v[8:9], off offset:264
	s_waitcnt vmcnt(0)
	v_and_b32_sdwa v49, s37, v50 dst_sel:DWORD dst_unused:UNUSED_PAD src0_sel:DWORD src1_sel:BYTE_0
	v_cvt_f32_fp8_sdwa v49, v49 src0_sel:BYTE_0
	s_nop 0
	v_mul_f32_e32 v51, s35, v49
	v_and_b32_e32 v49, 0x7f800000, v51
	v_cmp_ne_u32_e64 s[0:1], s38, v49
                                        ; implicit-def: $vgpr49
	s_and_saveexec_b64 s[14:15], s[0:1]
	s_xor_b64 s[0:1], exec, s[14:15]
; %bb.34:                               ;   in Loop: Header=BB319_9 Depth=1
	v_bfe_u32 v49, v51, 16, 1
	v_add3_u32 v49, v51, v49, s39
                                        ; implicit-def: $vgpr51
; %bb.35:                               ;   in Loop: Header=BB319_9 Depth=1
	s_andn2_saveexec_b64 s[14:15], s[0:1]
; %bb.36:                               ;   in Loop: Header=BB319_9 Depth=1
	v_or_b32_e32 v49, 0x10000, v51
	v_cmp_eq_u32_sdwa s[0:1], v51, v3 src0_sel:WORD_0 src1_sel:DWORD
	s_nop 1
	v_cndmask_b32_e64 v49, v49, v51, s[0:1]
; %bb.37:                               ;   in Loop: Header=BB319_9 Depth=1
	s_or_b64 exec, exec, s[14:15]
	v_lshrrev_b16_e32 v50, 8, v50
	v_cvt_f32_fp8_sdwa v50, v50 src0_sel:BYTE_0
	s_nop 0
	v_mul_f32_e32 v51, s35, v50
	v_and_b32_e32 v50, 0x7f800000, v51
	v_cmp_ne_u32_e64 s[0:1], s38, v50
                                        ; implicit-def: $vgpr50
	s_and_saveexec_b64 s[14:15], s[0:1]
	s_xor_b64 s[0:1], exec, s[14:15]
; %bb.38:                               ;   in Loop: Header=BB319_9 Depth=1
	v_bfe_u32 v50, v51, 16, 1
	v_add3_u32 v50, v51, v50, s39
                                        ; implicit-def: $vgpr51
; %bb.39:                               ;   in Loop: Header=BB319_9 Depth=1
	s_andn2_saveexec_b64 s[14:15], s[0:1]
; %bb.40:                               ;   in Loop: Header=BB319_9 Depth=1
	v_or_b32_e32 v50, 0x10000, v51
	v_cmp_eq_u32_sdwa s[0:1], v51, v3 src0_sel:WORD_0 src1_sel:DWORD
	s_nop 1
	v_cndmask_b32_e64 v50, v50, v51, s[0:1]
; %bb.41:                               ;   in Loop: Header=BB319_9 Depth=1
	s_or_b64 exec, exec, s[14:15]
	global_load_ushort v52, v[8:9], off offset:512
	s_waitcnt vmcnt(0)
	v_and_b32_sdwa v51, s37, v52 dst_sel:DWORD dst_unused:UNUSED_PAD src0_sel:DWORD src1_sel:BYTE_0
	v_cvt_f32_fp8_sdwa v51, v51 src0_sel:BYTE_0
	s_nop 0
	v_mul_f32_e32 v53, s35, v51
	v_and_b32_e32 v51, 0x7f800000, v53
	v_cmp_ne_u32_e64 s[0:1], s38, v51
                                        ; implicit-def: $vgpr51
	s_and_saveexec_b64 s[14:15], s[0:1]
	s_xor_b64 s[0:1], exec, s[14:15]
; %bb.42:                               ;   in Loop: Header=BB319_9 Depth=1
	v_bfe_u32 v51, v53, 16, 1
	v_add3_u32 v51, v53, v51, s39
                                        ; implicit-def: $vgpr53
; %bb.43:                               ;   in Loop: Header=BB319_9 Depth=1
	s_andn2_saveexec_b64 s[14:15], s[0:1]
; %bb.44:                               ;   in Loop: Header=BB319_9 Depth=1
	v_or_b32_e32 v51, 0x10000, v53
	v_cmp_eq_u32_sdwa s[0:1], v53, v3 src0_sel:WORD_0 src1_sel:DWORD
	s_nop 1
	v_cndmask_b32_e64 v51, v51, v53, s[0:1]
; %bb.45:                               ;   in Loop: Header=BB319_9 Depth=1
	s_or_b64 exec, exec, s[14:15]
	v_lshrrev_b16_e32 v52, 8, v52
	v_cvt_f32_fp8_sdwa v52, v52 src0_sel:BYTE_0
	s_nop 0
	v_mul_f32_e32 v53, s35, v52
	v_and_b32_e32 v52, 0x7f800000, v53
	v_cmp_ne_u32_e64 s[0:1], s38, v52
                                        ; implicit-def: $vgpr52
	s_and_saveexec_b64 s[14:15], s[0:1]
	s_xor_b64 s[0:1], exec, s[14:15]
; %bb.46:                               ;   in Loop: Header=BB319_9 Depth=1
	v_bfe_u32 v52, v53, 16, 1
	v_add3_u32 v52, v53, v52, s39
                                        ; implicit-def: $vgpr53
; %bb.47:                               ;   in Loop: Header=BB319_9 Depth=1
	s_andn2_saveexec_b64 s[14:15], s[0:1]
; %bb.48:                               ;   in Loop: Header=BB319_9 Depth=1
	v_or_b32_e32 v52, 0x10000, v53
	v_cmp_eq_u32_sdwa s[0:1], v53, v3 src0_sel:WORD_0 src1_sel:DWORD
	s_nop 1
	v_cndmask_b32_e64 v52, v52, v53, s[0:1]
; %bb.49:                               ;   in Loop: Header=BB319_9 Depth=1
	s_or_b64 exec, exec, s[14:15]
	global_load_ushort v54, v[8:9], off offset:520
	s_waitcnt vmcnt(0)
	v_and_b32_sdwa v53, s37, v54 dst_sel:DWORD dst_unused:UNUSED_PAD src0_sel:DWORD src1_sel:BYTE_0
	v_cvt_f32_fp8_sdwa v53, v53 src0_sel:BYTE_0
	s_nop 0
	v_mul_f32_e32 v55, s35, v53
	v_and_b32_e32 v53, 0x7f800000, v55
	v_cmp_ne_u32_e64 s[0:1], s38, v53
                                        ; implicit-def: $vgpr53
	s_and_saveexec_b64 s[14:15], s[0:1]
	s_xor_b64 s[0:1], exec, s[14:15]
; %bb.50:                               ;   in Loop: Header=BB319_9 Depth=1
	v_bfe_u32 v53, v55, 16, 1
	v_add3_u32 v53, v55, v53, s39
                                        ; implicit-def: $vgpr55
; %bb.51:                               ;   in Loop: Header=BB319_9 Depth=1
	s_andn2_saveexec_b64 s[14:15], s[0:1]
; %bb.52:                               ;   in Loop: Header=BB319_9 Depth=1
	v_or_b32_e32 v53, 0x10000, v55
	v_cmp_eq_u32_sdwa s[0:1], v55, v3 src0_sel:WORD_0 src1_sel:DWORD
	s_nop 1
	v_cndmask_b32_e64 v53, v53, v55, s[0:1]
; %bb.53:                               ;   in Loop: Header=BB319_9 Depth=1
	s_or_b64 exec, exec, s[14:15]
	v_lshrrev_b16_e32 v54, 8, v54
	v_cvt_f32_fp8_sdwa v54, v54 src0_sel:BYTE_0
	s_nop 0
	v_mul_f32_e32 v55, s35, v54
	v_and_b32_e32 v54, 0x7f800000, v55
	v_cmp_ne_u32_e64 s[0:1], s38, v54
                                        ; implicit-def: $vgpr54
	s_and_saveexec_b64 s[14:15], s[0:1]
	s_xor_b64 s[0:1], exec, s[14:15]
; %bb.54:                               ;   in Loop: Header=BB319_9 Depth=1
	v_bfe_u32 v54, v55, 16, 1
	v_add3_u32 v54, v55, v54, s39
                                        ; implicit-def: $vgpr55
; %bb.55:                               ;   in Loop: Header=BB319_9 Depth=1
	s_andn2_saveexec_b64 s[14:15], s[0:1]
; %bb.56:                               ;   in Loop: Header=BB319_9 Depth=1
	v_or_b32_e32 v54, 0x10000, v55
	v_cmp_eq_u32_sdwa s[0:1], v55, v3 src0_sel:WORD_0 src1_sel:DWORD
	s_nop 1
	v_cndmask_b32_e64 v54, v54, v55, s[0:1]
; %bb.57:                               ;   in Loop: Header=BB319_9 Depth=1
	s_or_b64 exec, exec, s[14:15]
	global_load_ushort v56, v[8:9], off offset:768
	s_waitcnt vmcnt(0)
	v_and_b32_sdwa v55, s37, v56 dst_sel:DWORD dst_unused:UNUSED_PAD src0_sel:DWORD src1_sel:BYTE_0
	v_cvt_f32_fp8_sdwa v55, v55 src0_sel:BYTE_0
	s_nop 0
	v_mul_f32_e32 v57, s35, v55
	v_and_b32_e32 v55, 0x7f800000, v57
	v_cmp_ne_u32_e64 s[0:1], s38, v55
                                        ; implicit-def: $vgpr55
	s_and_saveexec_b64 s[14:15], s[0:1]
	s_xor_b64 s[0:1], exec, s[14:15]
; %bb.58:                               ;   in Loop: Header=BB319_9 Depth=1
	v_bfe_u32 v55, v57, 16, 1
	v_add3_u32 v55, v57, v55, s39
                                        ; implicit-def: $vgpr57
; %bb.59:                               ;   in Loop: Header=BB319_9 Depth=1
	s_andn2_saveexec_b64 s[14:15], s[0:1]
; %bb.60:                               ;   in Loop: Header=BB319_9 Depth=1
	v_or_b32_e32 v55, 0x10000, v57
	v_cmp_eq_u32_sdwa s[0:1], v57, v3 src0_sel:WORD_0 src1_sel:DWORD
	s_nop 1
	v_cndmask_b32_e64 v55, v55, v57, s[0:1]
; %bb.61:                               ;   in Loop: Header=BB319_9 Depth=1
	s_or_b64 exec, exec, s[14:15]
	v_lshrrev_b16_e32 v56, 8, v56
	v_cvt_f32_fp8_sdwa v56, v56 src0_sel:BYTE_0
	s_nop 0
	v_mul_f32_e32 v57, s35, v56
	v_and_b32_e32 v56, 0x7f800000, v57
	v_cmp_ne_u32_e64 s[0:1], s38, v56
                                        ; implicit-def: $vgpr56
	s_and_saveexec_b64 s[14:15], s[0:1]
	s_xor_b64 s[0:1], exec, s[14:15]
; %bb.62:                               ;   in Loop: Header=BB319_9 Depth=1
	v_bfe_u32 v56, v57, 16, 1
	v_add3_u32 v56, v57, v56, s39
                                        ; implicit-def: $vgpr57
; %bb.63:                               ;   in Loop: Header=BB319_9 Depth=1
	s_andn2_saveexec_b64 s[14:15], s[0:1]
; %bb.64:                               ;   in Loop: Header=BB319_9 Depth=1
	v_or_b32_e32 v56, 0x10000, v57
	v_cmp_eq_u32_sdwa s[0:1], v57, v3 src0_sel:WORD_0 src1_sel:DWORD
	s_nop 1
	v_cndmask_b32_e64 v56, v56, v57, s[0:1]
; %bb.65:                               ;   in Loop: Header=BB319_9 Depth=1
	s_or_b64 exec, exec, s[14:15]
	global_load_ushort v58, v[8:9], off offset:776
	s_waitcnt vmcnt(0)
	v_and_b32_sdwa v57, s37, v58 dst_sel:DWORD dst_unused:UNUSED_PAD src0_sel:DWORD src1_sel:BYTE_0
	v_cvt_f32_fp8_sdwa v57, v57 src0_sel:BYTE_0
	s_nop 0
	v_mul_f32_e32 v59, s35, v57
	v_and_b32_e32 v57, 0x7f800000, v59
	v_cmp_ne_u32_e64 s[0:1], s38, v57
                                        ; implicit-def: $vgpr57
	s_and_saveexec_b64 s[14:15], s[0:1]
	s_xor_b64 s[0:1], exec, s[14:15]
; %bb.66:                               ;   in Loop: Header=BB319_9 Depth=1
	v_bfe_u32 v57, v59, 16, 1
	v_add3_u32 v57, v59, v57, s39
                                        ; implicit-def: $vgpr59
; %bb.67:                               ;   in Loop: Header=BB319_9 Depth=1
	s_andn2_saveexec_b64 s[14:15], s[0:1]
; %bb.68:                               ;   in Loop: Header=BB319_9 Depth=1
	v_or_b32_e32 v57, 0x10000, v59
	v_cmp_eq_u32_sdwa s[0:1], v59, v3 src0_sel:WORD_0 src1_sel:DWORD
	s_nop 1
	v_cndmask_b32_e64 v57, v57, v59, s[0:1]
; %bb.69:                               ;   in Loop: Header=BB319_9 Depth=1
	s_or_b64 exec, exec, s[14:15]
	v_lshrrev_b16_e32 v58, 8, v58
	v_cvt_f32_fp8_sdwa v58, v58 src0_sel:BYTE_0
	s_nop 0
	v_mul_f32_e32 v59, s35, v58
	v_and_b32_e32 v58, 0x7f800000, v59
	v_cmp_ne_u32_e64 s[0:1], s38, v58
                                        ; implicit-def: $vgpr58
	s_and_saveexec_b64 s[14:15], s[0:1]
	s_xor_b64 s[0:1], exec, s[14:15]
; %bb.70:                               ;   in Loop: Header=BB319_9 Depth=1
	v_bfe_u32 v58, v59, 16, 1
	v_add3_u32 v58, v59, v58, s39
                                        ; implicit-def: $vgpr59
; %bb.71:                               ;   in Loop: Header=BB319_9 Depth=1
	s_andn2_saveexec_b64 s[14:15], s[0:1]
; %bb.72:                               ;   in Loop: Header=BB319_9 Depth=1
	v_or_b32_e32 v58, 0x10000, v59
	v_cmp_eq_u32_sdwa s[0:1], v59, v3 src0_sel:WORD_0 src1_sel:DWORD
	s_nop 1
	v_cndmask_b32_e64 v58, v58, v59, s[0:1]
; %bb.73:                               ;   in Loop: Header=BB319_9 Depth=1
	s_or_b64 exec, exec, s[14:15]
	global_load_ushort v60, v[8:9], off offset:1024
	s_waitcnt vmcnt(0)
	v_and_b32_sdwa v59, s37, v60 dst_sel:DWORD dst_unused:UNUSED_PAD src0_sel:DWORD src1_sel:BYTE_0
	v_cvt_f32_fp8_sdwa v59, v59 src0_sel:BYTE_0
	s_nop 0
	v_mul_f32_e32 v61, s35, v59
	v_and_b32_e32 v59, 0x7f800000, v61
	v_cmp_ne_u32_e64 s[0:1], s38, v59
                                        ; implicit-def: $vgpr59
	s_and_saveexec_b64 s[14:15], s[0:1]
	s_xor_b64 s[0:1], exec, s[14:15]
; %bb.74:                               ;   in Loop: Header=BB319_9 Depth=1
	v_bfe_u32 v59, v61, 16, 1
	v_add3_u32 v59, v61, v59, s39
                                        ; implicit-def: $vgpr61
; %bb.75:                               ;   in Loop: Header=BB319_9 Depth=1
	s_andn2_saveexec_b64 s[14:15], s[0:1]
; %bb.76:                               ;   in Loop: Header=BB319_9 Depth=1
	v_or_b32_e32 v59, 0x10000, v61
	v_cmp_eq_u32_sdwa s[0:1], v61, v3 src0_sel:WORD_0 src1_sel:DWORD
	s_nop 1
	v_cndmask_b32_e64 v59, v59, v61, s[0:1]
; %bb.77:                               ;   in Loop: Header=BB319_9 Depth=1
	s_or_b64 exec, exec, s[14:15]
	v_lshrrev_b16_e32 v60, 8, v60
	v_cvt_f32_fp8_sdwa v60, v60 src0_sel:BYTE_0
	s_nop 0
	v_mul_f32_e32 v61, s35, v60
	v_and_b32_e32 v60, 0x7f800000, v61
	v_cmp_ne_u32_e64 s[0:1], s38, v60
                                        ; implicit-def: $vgpr60
	s_and_saveexec_b64 s[14:15], s[0:1]
	s_xor_b64 s[0:1], exec, s[14:15]
; %bb.78:                               ;   in Loop: Header=BB319_9 Depth=1
	v_bfe_u32 v60, v61, 16, 1
	v_add3_u32 v60, v61, v60, s39
                                        ; implicit-def: $vgpr61
; %bb.79:                               ;   in Loop: Header=BB319_9 Depth=1
	s_andn2_saveexec_b64 s[14:15], s[0:1]
; %bb.80:                               ;   in Loop: Header=BB319_9 Depth=1
	v_or_b32_e32 v60, 0x10000, v61
	v_cmp_eq_u32_sdwa s[0:1], v61, v3 src0_sel:WORD_0 src1_sel:DWORD
	s_nop 1
	v_cndmask_b32_e64 v60, v60, v61, s[0:1]
; %bb.81:                               ;   in Loop: Header=BB319_9 Depth=1
	s_or_b64 exec, exec, s[14:15]
	global_load_ushort v62, v[8:9], off offset:1032
	s_waitcnt vmcnt(0)
	v_and_b32_sdwa v61, s37, v62 dst_sel:DWORD dst_unused:UNUSED_PAD src0_sel:DWORD src1_sel:BYTE_0
	v_cvt_f32_fp8_sdwa v61, v61 src0_sel:BYTE_0
	s_nop 0
	v_mul_f32_e32 v63, s35, v61
	v_and_b32_e32 v61, 0x7f800000, v63
	v_cmp_ne_u32_e64 s[0:1], s38, v61
                                        ; implicit-def: $vgpr61
	s_and_saveexec_b64 s[14:15], s[0:1]
	s_xor_b64 s[0:1], exec, s[14:15]
; %bb.82:                               ;   in Loop: Header=BB319_9 Depth=1
	v_bfe_u32 v61, v63, 16, 1
	v_add3_u32 v61, v63, v61, s39
                                        ; implicit-def: $vgpr63
; %bb.83:                               ;   in Loop: Header=BB319_9 Depth=1
	s_andn2_saveexec_b64 s[14:15], s[0:1]
; %bb.84:                               ;   in Loop: Header=BB319_9 Depth=1
	v_or_b32_e32 v61, 0x10000, v63
	v_cmp_eq_u32_sdwa s[0:1], v63, v3 src0_sel:WORD_0 src1_sel:DWORD
	s_nop 1
	v_cndmask_b32_e64 v61, v61, v63, s[0:1]
; %bb.85:                               ;   in Loop: Header=BB319_9 Depth=1
	s_or_b64 exec, exec, s[14:15]
	v_lshrrev_b16_e32 v62, 8, v62
	v_cvt_f32_fp8_sdwa v62, v62 src0_sel:BYTE_0
	s_nop 0
	v_mul_f32_e32 v63, s35, v62
	v_and_b32_e32 v62, 0x7f800000, v63
	v_cmp_ne_u32_e64 s[0:1], s38, v62
                                        ; implicit-def: $vgpr62
	s_and_saveexec_b64 s[14:15], s[0:1]
	s_xor_b64 s[0:1], exec, s[14:15]
; %bb.86:                               ;   in Loop: Header=BB319_9 Depth=1
	v_bfe_u32 v62, v63, 16, 1
	v_add3_u32 v62, v63, v62, s39
                                        ; implicit-def: $vgpr63
; %bb.87:                               ;   in Loop: Header=BB319_9 Depth=1
	s_andn2_saveexec_b64 s[14:15], s[0:1]
; %bb.88:                               ;   in Loop: Header=BB319_9 Depth=1
	v_or_b32_e32 v62, 0x10000, v63
	v_cmp_eq_u32_sdwa s[0:1], v63, v3 src0_sel:WORD_0 src1_sel:DWORD
	s_nop 1
	v_cndmask_b32_e64 v62, v62, v63, s[0:1]
; %bb.89:                               ;   in Loop: Header=BB319_9 Depth=1
	s_or_b64 exec, exec, s[14:15]
	global_load_ushort v64, v[8:9], off offset:1280
	s_waitcnt vmcnt(0)
	v_and_b32_sdwa v63, s37, v64 dst_sel:DWORD dst_unused:UNUSED_PAD src0_sel:DWORD src1_sel:BYTE_0
	v_cvt_f32_fp8_sdwa v63, v63 src0_sel:BYTE_0
	s_nop 0
	v_mul_f32_e32 v65, s35, v63
	v_and_b32_e32 v63, 0x7f800000, v65
	v_cmp_ne_u32_e64 s[0:1], s38, v63
                                        ; implicit-def: $vgpr63
	s_and_saveexec_b64 s[14:15], s[0:1]
	s_xor_b64 s[0:1], exec, s[14:15]
; %bb.90:                               ;   in Loop: Header=BB319_9 Depth=1
	v_bfe_u32 v63, v65, 16, 1
	v_add3_u32 v63, v65, v63, s39
                                        ; implicit-def: $vgpr65
; %bb.91:                               ;   in Loop: Header=BB319_9 Depth=1
	s_andn2_saveexec_b64 s[14:15], s[0:1]
; %bb.92:                               ;   in Loop: Header=BB319_9 Depth=1
	v_or_b32_e32 v63, 0x10000, v65
	v_cmp_eq_u32_sdwa s[0:1], v65, v3 src0_sel:WORD_0 src1_sel:DWORD
	s_nop 1
	v_cndmask_b32_e64 v63, v63, v65, s[0:1]
; %bb.93:                               ;   in Loop: Header=BB319_9 Depth=1
	s_or_b64 exec, exec, s[14:15]
	v_lshrrev_b16_e32 v64, 8, v64
	v_cvt_f32_fp8_sdwa v64, v64 src0_sel:BYTE_0
	s_nop 0
	v_mul_f32_e32 v65, s35, v64
	v_and_b32_e32 v64, 0x7f800000, v65
	v_cmp_ne_u32_e64 s[0:1], s38, v64
                                        ; implicit-def: $vgpr64
	s_and_saveexec_b64 s[14:15], s[0:1]
	s_xor_b64 s[0:1], exec, s[14:15]
; %bb.94:                               ;   in Loop: Header=BB319_9 Depth=1
	v_bfe_u32 v64, v65, 16, 1
	v_add3_u32 v64, v65, v64, s39
                                        ; implicit-def: $vgpr65
; %bb.95:                               ;   in Loop: Header=BB319_9 Depth=1
	s_andn2_saveexec_b64 s[14:15], s[0:1]
; %bb.96:                               ;   in Loop: Header=BB319_9 Depth=1
	v_or_b32_e32 v64, 0x10000, v65
	v_cmp_eq_u32_sdwa s[0:1], v65, v3 src0_sel:WORD_0 src1_sel:DWORD
	s_nop 1
	v_cndmask_b32_e64 v64, v64, v65, s[0:1]
; %bb.97:                               ;   in Loop: Header=BB319_9 Depth=1
	s_or_b64 exec, exec, s[14:15]
	global_load_ushort v9, v[8:9], off offset:1288
	s_waitcnt vmcnt(0)
	v_and_b32_sdwa v8, s37, v9 dst_sel:DWORD dst_unused:UNUSED_PAD src0_sel:DWORD src1_sel:BYTE_0
	v_cvt_f32_fp8_sdwa v8, v8 src0_sel:BYTE_0
	s_nop 0
	v_mul_f32_e32 v65, s35, v8
	v_and_b32_e32 v8, 0x7f800000, v65
	v_cmp_ne_u32_e64 s[0:1], s38, v8
                                        ; implicit-def: $vgpr8
	s_and_saveexec_b64 s[14:15], s[0:1]
	s_xor_b64 s[0:1], exec, s[14:15]
; %bb.98:                               ;   in Loop: Header=BB319_9 Depth=1
	v_bfe_u32 v8, v65, 16, 1
	v_add3_u32 v8, v65, v8, s39
                                        ; implicit-def: $vgpr65
; %bb.99:                               ;   in Loop: Header=BB319_9 Depth=1
	s_andn2_saveexec_b64 s[14:15], s[0:1]
; %bb.100:                              ;   in Loop: Header=BB319_9 Depth=1
	v_or_b32_e32 v8, 0x10000, v65
	v_cmp_eq_u32_sdwa s[0:1], v65, v3 src0_sel:WORD_0 src1_sel:DWORD
	s_nop 1
	v_cndmask_b32_e64 v8, v8, v65, s[0:1]
; %bb.101:                              ;   in Loop: Header=BB319_9 Depth=1
	s_or_b64 exec, exec, s[14:15]
	v_lshrrev_b16_e32 v9, 8, v9
	v_cvt_f32_fp8_sdwa v9, v9 src0_sel:BYTE_0
	s_nop 0
	v_mul_f32_e32 v65, s35, v9
	v_and_b32_e32 v9, 0x7f800000, v65
	v_cmp_ne_u32_e64 s[0:1], s38, v9
                                        ; implicit-def: $vgpr9
	s_and_saveexec_b64 s[14:15], s[0:1]
	s_xor_b64 s[0:1], exec, s[14:15]
; %bb.102:                              ;   in Loop: Header=BB319_9 Depth=1
	v_bfe_u32 v9, v65, 16, 1
	v_add3_u32 v9, v65, v9, s39
                                        ; implicit-def: $vgpr65
; %bb.103:                              ;   in Loop: Header=BB319_9 Depth=1
	s_andn2_saveexec_b64 s[14:15], s[0:1]
; %bb.104:                              ;   in Loop: Header=BB319_9 Depth=1
	v_or_b32_e32 v9, 0x10000, v65
	v_cmp_eq_u32_sdwa s[0:1], v65, v3 src0_sel:WORD_0 src1_sel:DWORD
	s_nop 1
	v_cndmask_b32_e64 v9, v9, v65, s[0:1]
; %bb.105:                              ;   in Loop: Header=BB319_9 Depth=1
	s_or_b64 exec, exec, s[14:15]
	v_and_b32_e32 v45, 0xffff0000, v45
	v_and_b32_e32 v46, 0xffff0000, v46
	;; [unrolled: 1-line block ×3, first 2 shown]
	v_mul_f32_e32 v45, v14, v45
	v_and_b32_e32 v44, 0xffff0000, v44
	v_fmac_f32_e32 v45, v12, v43
	v_mul_f32_e32 v43, v15, v46
	v_and_b32_e32 v48, 0xffff0000, v48
	v_and_b32_e32 v47, 0xffff0000, v47
	v_fmac_f32_e32 v43, v13, v44
	v_and_b32_e32 v50, 0xffff0000, v50
	v_and_b32_e32 v49, 0xffff0000, v49
	v_fmac_f32_e32 v45, v17, v47
	v_fmac_f32_e32 v43, v18, v48
	v_and_b32_e32 v52, 0xffff0000, v52
	v_and_b32_e32 v51, 0xffff0000, v51
	v_fmac_f32_e32 v45, v19, v49
	;; [unrolled: 4-line block ×9, first 2 shown]
	v_fmac_f32_e32 v43, v34, v64
	v_fmac_f32_e32 v45, v35, v8
	;; [unrolled: 1-line block ×3, first 2 shown]
	v_add_f32_e32 v8, v45, v43
	ds_bpermute_b32 v9, v38, v8
	s_waitcnt lgkmcnt(0)
	v_add_f32_e32 v8, v8, v9
	ds_bpermute_b32 v9, v39, v8
	s_and_saveexec_b64 s[14:15], vcc
	s_cbranch_execz .LBB319_8
; %bb.106:                              ;   in Loop: Header=BB319_9 Depth=1
	v_add_u32_e32 v43, s36, v40
	v_cvt_f32_i32_e32 v43, v43
	s_waitcnt lgkmcnt(0)
	v_add_f32_e32 v8, v8, v9
	v_cmp_gt_i32_e64 s[0:1], s17, v40
	v_max_f32_e32 v9, v37, v37
	v_mul_f32_e32 v43, s28, v43
	v_cndmask_b32_e64 v43, 0, v43, s[2:3]
	v_fmac_f32_e32 v43, s29, v8
	v_cndmask_b32_e64 v8, 0, v43, s[0:1]
	ds_write_b32 v41, v8
	v_max_f32_e32 v8, v9, v43
	v_cndmask_b32_e64 v37, v37, v8, s[0:1]
	s_branch .LBB319_8
.LBB319_107:
	s_or_b64 exec, exec, s[8:9]
.LBB319_108:
	s_or_b64 exec, exec, s[30:31]
	v_xor_b32_e32 v2, 32, v10
	v_cmp_lt_i32_e32 vcc, v2, v11
	v_xor_b32_e32 v5, 16, v10
	v_max_f32_e32 v4, v37, v37
	v_cndmask_b32_e32 v2, v10, v2, vcc
	v_lshlrev_b32_e32 v2, 2, v2
	ds_bpermute_b32 v3, v2, v37
	v_cmp_lt_i32_e32 vcc, v5, v11
	v_xor_b32_e32 v6, 8, v10
	v_xor_b32_e32 v7, 4, v10
	v_and_b32_e32 v18, 63, v0
	s_waitcnt lgkmcnt(0)
	v_max_f32_e32 v3, v3, v3
	v_max_f32_e32 v4, v4, v3
	v_cndmask_b32_e32 v3, v10, v5, vcc
	v_lshlrev_b32_e32 v3, 2, v3
	ds_bpermute_b32 v5, v3, v4
	v_cmp_lt_i32_e32 vcc, v6, v11
	s_waitcnt lgkmcnt(0)
	v_max_f32_e32 v5, v5, v5
	v_max_f32_e32 v4, v4, v5
	v_cndmask_b32_e32 v5, v10, v6, vcc
	v_lshlrev_b32_e32 v6, 2, v5
	ds_bpermute_b32 v5, v6, v4
	v_cmp_lt_i32_e32 vcc, v7, v11
	s_waitcnt lgkmcnt(0)
	v_max_f32_e32 v5, v5, v5
	v_max_f32_e32 v5, v4, v5
	v_cndmask_b32_e32 v4, v10, v7, vcc
	v_lshlrev_b32_e32 v7, 2, v4
	ds_bpermute_b32 v8, v7, v5
	v_cmp_eq_u32_e32 vcc, 0, v18
	v_lshlrev_b32_e32 v4, 2, v1
	s_and_saveexec_b64 s[0:1], vcc
	s_cbranch_execz .LBB319_110
; %bb.109:
	s_waitcnt lgkmcnt(0)
	v_max_f32_e32 v8, v8, v8
	v_max_f32_e32 v5, v5, v5
	;; [unrolled: 1-line block ×3, first 2 shown]
	ds_write_b32 v4, v5 offset:192
.LBB319_110:
	s_or_b64 exec, exec, s[0:1]
	v_cmp_gt_u32_e64 s[0:1], 2, v18
	s_waitcnt lgkmcnt(0)
	v_mov_b32_e32 v8, 0xff7fffff
	v_lshlrev_b32_e32 v5, 2, v18
	s_barrier
	s_and_saveexec_b64 s[2:3], s[0:1]
	s_cbranch_execz .LBB319_112
; %bb.111:
	ds_read_b32 v8, v5 offset:192
.LBB319_112:
	s_or_b64 exec, exec, s[2:3]
	v_xor_b32_e32 v9, 1, v10
	v_cmp_lt_i32_e64 s[2:3], v9, v11
	v_lshlrev_b32_e32 v12, 2, v10
	s_nop 0
	v_cndmask_b32_e64 v9, v10, v9, s[2:3]
	v_lshlrev_b32_e32 v19, 2, v9
	s_waitcnt lgkmcnt(0)
	ds_bpermute_b32 v9, v19, v8
	v_max_f32_e32 v8, v8, v8
	s_lshl_b32 s2, s19, 4
	s_min_i32 s30, s2, s17
	v_cmp_gt_i32_e64 s[2:3], s30, v0
	s_waitcnt lgkmcnt(0)
	v_max_f32_e32 v9, v9, v9
	v_max_f32_e32 v9, v8, v9
	v_and_b32_e32 v8, 0xffffff00, v12
	ds_bpermute_b32 v12, v8, v9
	v_mov_b32_e32 v9, 0
	s_and_saveexec_b64 s[14:15], s[2:3]
	s_cbranch_execz .LBB319_116
; %bb.113:
	v_mov_b32_e32 v9, 0xd0
	v_lshl_add_u32 v13, v0, 2, v9
	s_mov_b64 s[28:29], 0
	v_mov_b32_e32 v9, 0
	v_mov_b32_e32 v14, v0
.LBB319_114:                            ; =>This Inner Loop Header: Depth=1
	ds_read_b32 v15, v13
	v_add_u32_e32 v14, 0x80, v14
	v_cmp_le_i32_e64 s[8:9], s30, v14
	s_or_b64 s[28:29], s[8:9], s[28:29]
	s_waitcnt lgkmcnt(0)
	v_sub_f32_e32 v15, v15, v12
	v_mul_f32_e32 v15, 0x3fb8aa3b, v15
	v_exp_f32_e32 v15, v15
	ds_write_b32 v13, v15
	v_add_f32_e32 v9, v9, v15
	v_add_u32_e32 v13, 0x200, v13
	s_andn2_b64 exec, exec, s[28:29]
	s_cbranch_execnz .LBB319_114
; %bb.115:
	s_or_b64 exec, exec, s[28:29]
.LBB319_116:
	s_or_b64 exec, exec, s[14:15]
	ds_bpermute_b32 v2, v2, v9
	s_waitcnt lgkmcnt(0)
	v_add_f32_e32 v2, v9, v2
	ds_bpermute_b32 v3, v3, v2
	s_waitcnt lgkmcnt(0)
	v_add_f32_e32 v2, v2, v3
	ds_bpermute_b32 v3, v6, v2
	v_xor_b32_e32 v6, 2, v10
	v_cmp_lt_i32_e64 s[8:9], v6, v11
	s_waitcnt lgkmcnt(0)
	v_add_f32_e32 v2, v2, v3
	ds_bpermute_b32 v3, v7, v2
	v_cndmask_b32_e64 v6, v10, v6, s[8:9]
	s_waitcnt lgkmcnt(0)
	v_add_f32_e32 v2, v2, v3
	v_lshlrev_b32_e32 v3, 2, v6
	ds_bpermute_b32 v3, v3, v2
	s_waitcnt lgkmcnt(0)
	v_add_f32_e32 v2, v2, v3
	ds_bpermute_b32 v3, v19, v2
	s_waitcnt lgkmcnt(0)
	v_add_f32_e32 v2, v2, v3
	s_and_saveexec_b64 s[8:9], vcc
	s_cbranch_execz .LBB319_118
; %bb.117:
	ds_write_b32 v4, v2 offset:200
.LBB319_118:
	s_or_b64 exec, exec, s[8:9]
	s_waitcnt lgkmcnt(0)
	s_barrier
	s_and_saveexec_b64 s[8:9], s[0:1]
	s_cbranch_execz .LBB319_120
; %bb.119:
	ds_read_b32 v2, v5 offset:200
.LBB319_120:
	s_or_b64 exec, exec, s[8:9]
	s_waitcnt lgkmcnt(0)
	ds_bpermute_b32 v3, v19, v2
	s_waitcnt lgkmcnt(0)
	v_add_f32_e32 v2, v2, v3
	ds_bpermute_b32 v2, v8, v2
	s_and_saveexec_b64 s[0:1], s[2:3]
	s_cbranch_execz .LBB319_133
; %bb.121:
	s_waitcnt lgkmcnt(0)
	v_add_f32_e32 v2, 0x358637bd, v2
	v_div_scale_f32 v3, s[2:3], v2, v2, 1.0
	v_rcp_f32_e32 v4, v3
	v_div_scale_f32 v5, vcc, 1.0, v2, 1.0
	s_movk_i32 s2, 0x7f
	v_fma_f32 v6, -v3, v4, 1.0
	v_fmac_f32_e32 v4, v6, v4
	v_mul_f32_e32 v6, v5, v4
	v_fma_f32 v7, -v3, v6, v5
	v_fmac_f32_e32 v6, v7, v4
	v_fma_f32 v3, -v3, v6, v5
	v_div_fmas_f32 v3, v3, v4, v6
	v_xad_u32 v4, v0, -1, s30
	v_div_fixup_f32 v2, v3, v2, 1.0
	v_cmp_lt_u32_e32 vcc, s2, v4
	s_mov_b64 s[8:9], -1
	v_mov_b32_e32 v3, v0
	s_and_saveexec_b64 s[2:3], vcc
	s_cbranch_execz .LBB319_130
; %bb.122:
	v_lshrrev_b32_e32 v4, 7, v4
	v_add_u32_e32 v6, -1, v4
	v_lshrrev_b32_e32 v5, 1, v6
	v_mov_b32_e32 v3, v2
	v_add_u32_e32 v5, 1, v5
	v_cmp_lt_u32_e32 vcc, 13, v6
	v_mov_b32_e32 v8, 0
	s_and_saveexec_b64 s[8:9], vcc
	s_cbranch_execz .LBB319_126
; %bb.123:
	v_mov_b32_e32 v7, 0xd0
	v_and_b32_e32 v6, -8, v5
	v_lshl_add_u32 v7, v0, 2, v7
	s_mov_b32 s28, 0
	s_mov_b64 s[14:15], 0
.LBB319_124:                            ; =>This Inner Loop Header: Depth=1
	ds_read2st64_b32 v[8:9], v7 offset1:2
	ds_read2st64_b32 v[10:11], v7 offset0:4 offset1:6
	ds_read2st64_b32 v[12:13], v7 offset0:8 offset1:10
	;; [unrolled: 1-line block ×3, first 2 shown]
	v_add_u32_e32 v6, -8, v6
	s_waitcnt lgkmcnt(3)
	v_pk_mul_f32 v[8:9], v[2:3], v[8:9]
	s_waitcnt lgkmcnt(2)
	v_pk_mul_f32 v[10:11], v[2:3], v[10:11]
	ds_write2st64_b32 v7, v8, v9 offset1:2
	ds_write2st64_b32 v7, v10, v11 offset0:4 offset1:6
	ds_read2st64_b32 v[10:11], v7 offset0:16 offset1:18
	s_waitcnt lgkmcnt(4)
	v_pk_mul_f32 v[8:9], v[2:3], v[12:13]
	ds_write2st64_b32 v7, v8, v9 offset0:8 offset1:10
	s_waitcnt lgkmcnt(4)
	v_pk_mul_f32 v[8:9], v[2:3], v[14:15]
	ds_write2st64_b32 v7, v8, v9 offset0:12 offset1:14
	ds_read2st64_b32 v[8:9], v7 offset0:20 offset1:22
	s_waitcnt lgkmcnt(3)
	v_pk_mul_f32 v[10:11], v[2:3], v[10:11]
	ds_read2st64_b32 v[12:13], v7 offset0:24 offset1:26
	ds_write2st64_b32 v7, v10, v11 offset0:16 offset1:18
	ds_read2st64_b32 v[10:11], v7 offset0:28 offset1:30
	s_waitcnt lgkmcnt(3)
	v_pk_mul_f32 v[8:9], v[2:3], v[8:9]
	ds_write2st64_b32 v7, v8, v9 offset0:20 offset1:22
	s_waitcnt lgkmcnt(3)
	v_pk_mul_f32 v[8:9], v[2:3], v[12:13]
	ds_write2st64_b32 v7, v8, v9 offset0:24 offset1:26
	s_waitcnt lgkmcnt(2)
	v_pk_mul_f32 v[8:9], v[2:3], v[10:11]
	s_add_i32 s28, s28, 16
	v_cmp_eq_u32_e32 vcc, 0, v6
	ds_write2st64_b32 v7, v8, v9 offset0:28 offset1:30
	v_add_u32_e32 v7, 0x2000, v7
	s_or_b64 s[14:15], vcc, s[14:15]
	v_mov_b32_e32 v8, s28
	s_andn2_b64 exec, exec, s[14:15]
	s_cbranch_execnz .LBB319_124
; %bb.125:
	s_or_b64 exec, exec, s[14:15]
.LBB319_126:
	s_or_b64 exec, exec, s[8:9]
	v_and_b32_e32 v5, 7, v5
	v_cmp_ne_u32_e32 vcc, 0, v5
	s_and_saveexec_b64 s[8:9], vcc
	s_cbranch_execz .LBB319_129
; %bb.127:
	v_lshlrev_b32_e32 v6, 9, v8
	v_lshlrev_b32_e32 v7, 2, v0
	s_movk_i32 s14, 0xd0
	v_add3_u32 v6, v6, v7, s14
	s_mov_b64 s[14:15], 0
.LBB319_128:                            ; =>This Inner Loop Header: Depth=1
	ds_read2st64_b32 v[8:9], v6 offset1:2
	v_add_u32_e32 v5, -1, v5
	v_cmp_eq_u32_e32 vcc, 0, v5
	s_or_b64 s[14:15], vcc, s[14:15]
	s_waitcnt lgkmcnt(0)
	v_pk_mul_f32 v[8:9], v[2:3], v[8:9]
	ds_write2st64_b32 v6, v8, v9 offset1:2
	v_add_u32_e32 v6, 0x400, v6
	s_andn2_b64 exec, exec, s[14:15]
	s_cbranch_execnz .LBB319_128
.LBB319_129:
	s_or_b64 exec, exec, s[8:9]
	v_add_u32_e32 v4, 1, v4
	v_and_b32_e32 v5, 0x3fffffe, v4
	v_cmp_ne_u32_e32 vcc, v4, v5
	v_lshl_add_u32 v3, v5, 7, v0
	s_orn2_b64 s[8:9], vcc, exec
.LBB319_130:
	s_or_b64 exec, exec, s[2:3]
	s_and_b64 exec, exec, s[8:9]
	s_cbranch_execz .LBB319_133
; %bb.131:
	v_mov_b32_e32 v4, 0xd0
	v_lshl_add_u32 v4, v3, 2, v4
	s_mov_b64 s[2:3], 0
.LBB319_132:                            ; =>This Inner Loop Header: Depth=1
	ds_read_b32 v5, v4
	v_add_u32_e32 v3, 0x80, v3
	v_cmp_le_i32_e32 vcc, s30, v3
	s_or_b64 s[2:3], vcc, s[2:3]
	s_waitcnt lgkmcnt(0)
	v_mul_f32_e32 v5, v2, v5
	ds_write_b32 v4, v5
	v_add_u32_e32 v4, 0x200, v4
	s_andn2_b64 exec, exec, s[2:3]
	s_cbranch_execnz .LBB319_132
.LBB319_133:
	s_or_b64 exec, exec, s[0:1]
	v_mov_b32_e32 v12, 0
	v_and_b32_e32 v20, 1, v0
	v_mov_b32_e32 v11, 0
	v_mov_b32_e32 v10, 0
	s_waitcnt lgkmcnt(0)
	s_barrier
	s_and_saveexec_b64 s[2:3], s[6:7]
	s_cbranch_execz .LBB319_367
; %bb.134:
	s_ashr_i32 s1, s33, 31
	v_lshlrev_b32_e32 v2, 3, v0
	s_add_u32 s0, s26, s33
	s_addc_u32 s1, s27, s1
	s_load_dword s10, s[10:11], 0x0
	v_and_b32_e32 v12, 0x1f8, v2
	v_mov_b32_e32 v13, 0
	v_and_b32_e32 v3, 8, v2
	s_add_i32 s11, s19, -1
	v_lshl_add_u64 v[14:15], s[0:1], 0, v[12:13]
	v_lshlrev_b32_e32 v2, 4, v1
	s_lshl_b64 s[0:1], s[24:25], 2
	v_or3_b32 v21, v2, v3, 7
	v_lshlrev_b32_e32 v2, 5, v20
	s_add_u32 s0, s22, s0
	v_lshl_or_b32 v2, v1, 6, v2
	v_and_b32_e32 v12, 60, v16
	s_addc_u32 s1, s23, s1
	v_add_u32_e32 v22, 0xd0, v2
	v_lshl_add_u64 v[16:17], s[0:1], 0, v[12:13]
	s_mov_b64 s[6:7], 0
	s_mov_b32 s14, 0x7f800000
	s_movk_i32 s15, 0x7fff
	v_mov_b32_e32 v10, 0
	v_mov_b32_e32 v11, 0
	;; [unrolled: 1-line block ×3, first 2 shown]
	s_branch .LBB319_136
.LBB319_135:                            ;   in Loop: Header=BB319_136 Depth=1
	s_or_b64 exec, exec, s[0:1]
	v_and_b32_e32 v35, 0xffff0000, v9
	v_and_b32_e32 v34, 0xffff0000, v7
	v_and_b32_e32 v7, 0xffff0000, v8
	v_and_b32_e32 v6, 0xffff0000, v6
	v_and_b32_e32 v33, 0xffff0000, v33
	v_and_b32_e32 v32, 0xffff0000, v24
	v_and_b32_e32 v25, 0xffff0000, v25
	v_and_b32_e32 v24, 0xffff0000, v23
	v_pk_add_f32 v[6:7], v[6:7], v[34:35]
	v_pk_add_f32 v[8:9], v[24:25], v[32:33]
	v_add_f32_e32 v6, v6, v7
	v_add_f32_e32 v6, v6, v8
	;; [unrolled: 1-line block ×3, first 2 shown]
	v_and_b32_e32 v25, 0xffff0000, v43
	v_and_b32_e32 v24, 0xffff0000, v5
	;; [unrolled: 1-line block ×4, first 2 shown]
	v_add_f32_e32 v10, v10, v6
	v_and_b32_e32 v7, 0xffff0000, v47
	v_and_b32_e32 v6, 0xffff0000, v45
	;; [unrolled: 1-line block ×4, first 2 shown]
	v_pk_add_f32 v[4:5], v[4:5], v[24:25]
	v_pk_add_f32 v[6:7], v[8:9], v[6:7]
	v_add_f32_e32 v4, v4, v5
	v_add_f32_e32 v4, v4, v6
	;; [unrolled: 1-line block ×3, first 2 shown]
	v_and_b32_e32 v5, 0xffff0000, v3
	v_and_b32_e32 v9, 0xffff0000, v28
	v_and_b32_e32 v8, 0xffff0000, v26
	v_and_b32_e32 v3, 0xffff0000, v27
	v_and_b32_e32 v2, 0xffff0000, v2
	v_add_f32_e32 v11, v11, v4
	v_and_b32_e32 v4, 0xffff0000, v30
	v_and_b32_e32 v7, 0xffff0000, v31
	;; [unrolled: 1-line block ×3, first 2 shown]
	v_pk_add_f32 v[2:3], v[2:3], v[8:9]
	v_pk_add_f32 v[4:5], v[6:7], v[4:5]
	v_add_f32_e32 v2, v2, v3
	v_add_f32_e32 v2, v2, v4
	v_add_u32_e32 v1, 2, v1
	v_add_f32_e32 v2, v2, v5
	v_cmp_le_i32_e32 vcc, s19, v1
	v_add_f32_e32 v12, v12, v2
	v_add_u32_e32 v21, 32, v21
	v_add_u32_e32 v22, 0x80, v22
	s_or_b64 s[6:7], vcc, s[6:7]
	v_lshl_add_u64 v[16:17], v[16:17], 0, 8
	s_andn2_b64 exec, exec, s[6:7]
	s_cbranch_execz .LBB319_366
.LBB319_136:                            ; =>This Inner Loop Header: Depth=1
	global_load_dword v26, v[16:17], off
	ds_read2_b64 v[6:9], v22 offset1:1
	ds_read2_b64 v[2:5], v22 offset0:2 offset1:3
                                        ; implicit-def: $vgpr34
	s_waitcnt lgkmcnt(0)
	v_and_b32_e32 v23, 0x7f800000, v6
	v_cmp_ne_u32_e32 vcc, s14, v23
	s_and_saveexec_b64 s[0:1], vcc
	s_xor_b64 s[0:1], exec, s[0:1]
; %bb.137:                              ;   in Loop: Header=BB319_136 Depth=1
	v_bfe_u32 v23, v6, 16, 1
	v_add3_u32 v34, v6, v23, s15
; %bb.138:                              ;   in Loop: Header=BB319_136 Depth=1
	s_andn2_saveexec_b64 s[0:1], s[0:1]
; %bb.139:                              ;   in Loop: Header=BB319_136 Depth=1
	v_or_b32_e32 v23, 0x10000, v6
	v_cmp_eq_u32_sdwa vcc, v6, v13 src0_sel:WORD_0 src1_sel:DWORD
	s_nop 1
	v_cndmask_b32_e32 v34, v23, v6, vcc
; %bb.140:                              ;   in Loop: Header=BB319_136 Depth=1
	s_or_b64 exec, exec, s[0:1]
	v_and_b32_e32 v6, 0x7f800000, v7
	v_cmp_ne_u32_e32 vcc, s14, v6
                                        ; implicit-def: $vgpr35
	s_and_saveexec_b64 s[0:1], vcc
	s_xor_b64 s[0:1], exec, s[0:1]
; %bb.141:                              ;   in Loop: Header=BB319_136 Depth=1
	v_bfe_u32 v6, v7, 16, 1
	v_add3_u32 v35, v7, v6, s15
; %bb.142:                              ;   in Loop: Header=BB319_136 Depth=1
	s_andn2_saveexec_b64 s[0:1], s[0:1]
; %bb.143:                              ;   in Loop: Header=BB319_136 Depth=1
	v_or_b32_e32 v6, 0x10000, v7
	v_cmp_eq_u32_sdwa vcc, v7, v13 src0_sel:WORD_0 src1_sel:DWORD
	s_nop 1
	v_cndmask_b32_e32 v35, v6, v7, vcc
; %bb.144:                              ;   in Loop: Header=BB319_136 Depth=1
	s_or_b64 exec, exec, s[0:1]
	v_and_b32_e32 v6, 0x7f800000, v8
	v_cmp_ne_u32_e32 vcc, s14, v6
                                        ; implicit-def: $vgpr36
	s_and_saveexec_b64 s[0:1], vcc
	s_xor_b64 s[0:1], exec, s[0:1]
; %bb.145:                              ;   in Loop: Header=BB319_136 Depth=1
	v_bfe_u32 v6, v8, 16, 1
	v_add3_u32 v36, v8, v6, s15
; %bb.146:                              ;   in Loop: Header=BB319_136 Depth=1
	s_andn2_saveexec_b64 s[0:1], s[0:1]
; %bb.147:                              ;   in Loop: Header=BB319_136 Depth=1
	v_or_b32_e32 v6, 0x10000, v8
	v_cmp_eq_u32_sdwa vcc, v8, v13 src0_sel:WORD_0 src1_sel:DWORD
	s_nop 1
	v_cndmask_b32_e32 v36, v6, v8, vcc
; %bb.148:                              ;   in Loop: Header=BB319_136 Depth=1
	s_or_b64 exec, exec, s[0:1]
	v_and_b32_e32 v6, 0x7f800000, v9
	v_cmp_ne_u32_e32 vcc, s14, v6
                                        ; implicit-def: $vgpr37
	s_and_saveexec_b64 s[0:1], vcc
	s_xor_b64 s[0:1], exec, s[0:1]
; %bb.149:                              ;   in Loop: Header=BB319_136 Depth=1
	v_bfe_u32 v6, v9, 16, 1
	v_add3_u32 v37, v9, v6, s15
                                        ; implicit-def: $vgpr6_vgpr7_vgpr8_vgpr9
; %bb.150:                              ;   in Loop: Header=BB319_136 Depth=1
	s_andn2_saveexec_b64 s[0:1], s[0:1]
; %bb.151:                              ;   in Loop: Header=BB319_136 Depth=1
	v_or_b32_e32 v6, 0x10000, v9
	v_cmp_eq_u32_sdwa vcc, v9, v13 src0_sel:WORD_0 src1_sel:DWORD
	s_nop 1
	v_cndmask_b32_e32 v37, v6, v9, vcc
; %bb.152:                              ;   in Loop: Header=BB319_136 Depth=1
	s_or_b64 exec, exec, s[0:1]
	v_and_b32_e32 v6, 0x7f800000, v2
	v_cmp_ne_u32_e32 vcc, s14, v6
                                        ; implicit-def: $vgpr23
	s_and_saveexec_b64 s[0:1], vcc
	s_xor_b64 s[0:1], exec, s[0:1]
; %bb.153:                              ;   in Loop: Header=BB319_136 Depth=1
	v_bfe_u32 v6, v2, 16, 1
	v_add3_u32 v23, v2, v6, s15
; %bb.154:                              ;   in Loop: Header=BB319_136 Depth=1
	s_andn2_saveexec_b64 s[0:1], s[0:1]
; %bb.155:                              ;   in Loop: Header=BB319_136 Depth=1
	v_or_b32_e32 v6, 0x10000, v2
	v_cmp_eq_u32_sdwa vcc, v2, v13 src0_sel:WORD_0 src1_sel:DWORD
	s_nop 1
	v_cndmask_b32_e32 v23, v6, v2, vcc
; %bb.156:                              ;   in Loop: Header=BB319_136 Depth=1
	s_or_b64 exec, exec, s[0:1]
	v_and_b32_e32 v2, 0x7f800000, v3
	v_cmp_ne_u32_e32 vcc, s14, v2
                                        ; implicit-def: $vgpr24
	s_and_saveexec_b64 s[0:1], vcc
	s_xor_b64 s[0:1], exec, s[0:1]
; %bb.157:                              ;   in Loop: Header=BB319_136 Depth=1
	v_bfe_u32 v2, v3, 16, 1
	v_add3_u32 v24, v3, v2, s15
; %bb.158:                              ;   in Loop: Header=BB319_136 Depth=1
	s_andn2_saveexec_b64 s[0:1], s[0:1]
; %bb.159:                              ;   in Loop: Header=BB319_136 Depth=1
	v_or_b32_e32 v2, 0x10000, v3
	v_cmp_eq_u32_sdwa vcc, v3, v13 src0_sel:WORD_0 src1_sel:DWORD
	s_nop 1
	v_cndmask_b32_e32 v24, v2, v3, vcc
; %bb.160:                              ;   in Loop: Header=BB319_136 Depth=1
	s_or_b64 exec, exec, s[0:1]
	v_and_b32_e32 v2, 0x7f800000, v4
	v_cmp_ne_u32_e32 vcc, s14, v2
                                        ; implicit-def: $vgpr25
	s_and_saveexec_b64 s[0:1], vcc
	s_xor_b64 s[0:1], exec, s[0:1]
; %bb.161:                              ;   in Loop: Header=BB319_136 Depth=1
	v_bfe_u32 v2, v4, 16, 1
	v_add3_u32 v25, v4, v2, s15
; %bb.162:                              ;   in Loop: Header=BB319_136 Depth=1
	s_andn2_saveexec_b64 s[0:1], s[0:1]
; %bb.163:                              ;   in Loop: Header=BB319_136 Depth=1
	v_or_b32_e32 v2, 0x10000, v4
	v_cmp_eq_u32_sdwa vcc, v4, v13 src0_sel:WORD_0 src1_sel:DWORD
	s_nop 1
	v_cndmask_b32_e32 v25, v2, v4, vcc
; %bb.164:                              ;   in Loop: Header=BB319_136 Depth=1
	s_or_b64 exec, exec, s[0:1]
	v_and_b32_e32 v2, 0x7f800000, v5
	v_cmp_ne_u32_e32 vcc, s14, v2
                                        ; implicit-def: $vgpr33
	s_and_saveexec_b64 s[0:1], vcc
	s_xor_b64 s[0:1], exec, s[0:1]
; %bb.165:                              ;   in Loop: Header=BB319_136 Depth=1
	v_bfe_u32 v2, v5, 16, 1
	v_add3_u32 v33, v5, v2, s15
                                        ; implicit-def: $vgpr2_vgpr3_vgpr4_vgpr5
; %bb.166:                              ;   in Loop: Header=BB319_136 Depth=1
	s_andn2_saveexec_b64 s[0:1], s[0:1]
; %bb.167:                              ;   in Loop: Header=BB319_136 Depth=1
	v_or_b32_e32 v2, 0x10000, v5
	v_cmp_eq_u32_sdwa vcc, v5, v13 src0_sel:WORD_0 src1_sel:DWORD
	s_nop 1
	v_cndmask_b32_e32 v33, v2, v5, vcc
; %bb.168:                              ;   in Loop: Header=BB319_136 Depth=1
	s_or_b64 exec, exec, s[0:1]
	s_waitcnt vmcnt(0)
	v_mad_i64_i32 v[2:3], s[0:1], v26, s13, v[14:15]
	global_load_dwordx2 v[4:5], v[2:3], off
	s_waitcnt vmcnt(0)
	v_and_b32_e32 v6, 0xff, v4
	v_cvt_f32_fp8_sdwa v6, v6 src0_sel:BYTE_0
	s_nop 0
	v_mul_f32_e32 v7, s10, v6
	v_and_b32_e32 v6, 0x7f800000, v7
	v_cmp_ne_u32_e32 vcc, s14, v6
                                        ; implicit-def: $vgpr6
	s_and_saveexec_b64 s[0:1], vcc
	s_xor_b64 s[0:1], exec, s[0:1]
; %bb.169:                              ;   in Loop: Header=BB319_136 Depth=1
	v_bfe_u32 v6, v7, 16, 1
	v_add3_u32 v6, v7, v6, s15
                                        ; implicit-def: $vgpr7
; %bb.170:                              ;   in Loop: Header=BB319_136 Depth=1
	s_andn2_saveexec_b64 s[0:1], s[0:1]
; %bb.171:                              ;   in Loop: Header=BB319_136 Depth=1
	v_or_b32_e32 v6, 0x10000, v7
	v_cmp_eq_u32_sdwa vcc, v7, v13 src0_sel:WORD_0 src1_sel:DWORD
	s_nop 1
	v_cndmask_b32_e32 v6, v6, v7, vcc
; %bb.172:                              ;   in Loop: Header=BB319_136 Depth=1
	s_or_b64 exec, exec, s[0:1]
	v_bfe_u32 v7, v4, 8, 8
	v_cvt_f32_fp8_sdwa v7, v7 src0_sel:BYTE_0
	s_nop 0
	v_mul_f32_e32 v8, s10, v7
	v_and_b32_e32 v7, 0x7f800000, v8
	v_cmp_ne_u32_e32 vcc, s14, v7
                                        ; implicit-def: $vgpr7
	s_and_saveexec_b64 s[0:1], vcc
	s_xor_b64 s[0:1], exec, s[0:1]
; %bb.173:                              ;   in Loop: Header=BB319_136 Depth=1
	v_bfe_u32 v7, v8, 16, 1
	v_add3_u32 v7, v8, v7, s15
                                        ; implicit-def: $vgpr8
; %bb.174:                              ;   in Loop: Header=BB319_136 Depth=1
	s_andn2_saveexec_b64 s[0:1], s[0:1]
; %bb.175:                              ;   in Loop: Header=BB319_136 Depth=1
	v_or_b32_e32 v7, 0x10000, v8
	v_cmp_eq_u32_sdwa vcc, v8, v13 src0_sel:WORD_0 src1_sel:DWORD
	s_nop 1
	v_cndmask_b32_e32 v7, v7, v8, vcc
; %bb.176:                              ;   in Loop: Header=BB319_136 Depth=1
	s_or_b64 exec, exec, s[0:1]
	v_bfe_u32 v8, v4, 16, 8
	v_cvt_f32_fp8_sdwa v8, v8 src0_sel:BYTE_0
	s_nop 0
	v_mul_f32_e32 v9, s10, v8
	v_and_b32_e32 v8, 0x7f800000, v9
	v_cmp_ne_u32_e32 vcc, s14, v8
                                        ; implicit-def: $vgpr8
	s_and_saveexec_b64 s[0:1], vcc
	s_xor_b64 s[0:1], exec, s[0:1]
; %bb.177:                              ;   in Loop: Header=BB319_136 Depth=1
	v_bfe_u32 v8, v9, 16, 1
	v_add3_u32 v8, v9, v8, s15
                                        ; implicit-def: $vgpr9
; %bb.178:                              ;   in Loop: Header=BB319_136 Depth=1
	s_andn2_saveexec_b64 s[0:1], s[0:1]
; %bb.179:                              ;   in Loop: Header=BB319_136 Depth=1
	v_or_b32_e32 v8, 0x10000, v9
	v_cmp_eq_u32_sdwa vcc, v9, v13 src0_sel:WORD_0 src1_sel:DWORD
	s_nop 1
	v_cndmask_b32_e32 v8, v8, v9, vcc
; %bb.180:                              ;   in Loop: Header=BB319_136 Depth=1
	s_or_b64 exec, exec, s[0:1]
	v_lshrrev_b32_e32 v4, 24, v4
	v_cvt_f32_fp8_sdwa v4, v4 src0_sel:BYTE_0
	s_nop 0
	v_mul_f32_e32 v9, s10, v4
	v_and_b32_e32 v4, 0x7f800000, v9
	v_cmp_ne_u32_e32 vcc, s14, v4
                                        ; implicit-def: $vgpr4
	s_and_saveexec_b64 s[0:1], vcc
	s_xor_b64 s[0:1], exec, s[0:1]
; %bb.181:                              ;   in Loop: Header=BB319_136 Depth=1
	v_bfe_u32 v4, v9, 16, 1
	v_add3_u32 v4, v9, v4, s15
                                        ; implicit-def: $vgpr9
; %bb.182:                              ;   in Loop: Header=BB319_136 Depth=1
	s_andn2_saveexec_b64 s[0:1], s[0:1]
; %bb.183:                              ;   in Loop: Header=BB319_136 Depth=1
	v_or_b32_e32 v4, 0x10000, v9
	v_cmp_eq_u32_sdwa vcc, v9, v13 src0_sel:WORD_0 src1_sel:DWORD
	s_nop 1
	v_cndmask_b32_e32 v4, v4, v9, vcc
; %bb.184:                              ;   in Loop: Header=BB319_136 Depth=1
	s_or_b64 exec, exec, s[0:1]
	v_and_b32_e32 v9, 0xff, v5
	v_cvt_f32_fp8_sdwa v9, v9 src0_sel:BYTE_0
	s_nop 0
	v_mul_f32_e32 v26, s10, v9
	v_and_b32_e32 v9, 0x7f800000, v26
	v_cmp_ne_u32_e32 vcc, s14, v9
                                        ; implicit-def: $vgpr9
	s_and_saveexec_b64 s[0:1], vcc
	s_xor_b64 s[0:1], exec, s[0:1]
; %bb.185:                              ;   in Loop: Header=BB319_136 Depth=1
	v_bfe_u32 v9, v26, 16, 1
	v_add3_u32 v9, v26, v9, s15
                                        ; implicit-def: $vgpr26
; %bb.186:                              ;   in Loop: Header=BB319_136 Depth=1
	s_andn2_saveexec_b64 s[0:1], s[0:1]
; %bb.187:                              ;   in Loop: Header=BB319_136 Depth=1
	v_or_b32_e32 v9, 0x10000, v26
	v_cmp_eq_u32_sdwa vcc, v26, v13 src0_sel:WORD_0 src1_sel:DWORD
	s_nop 1
	v_cndmask_b32_e32 v9, v9, v26, vcc
; %bb.188:                              ;   in Loop: Header=BB319_136 Depth=1
	s_or_b64 exec, exec, s[0:1]
	v_bfe_u32 v26, v5, 8, 8
	v_cvt_f32_fp8_sdwa v26, v26 src0_sel:BYTE_0
	s_nop 0
	v_mul_f32_e32 v26, s10, v26
	v_and_b32_e32 v27, 0x7f800000, v26
	v_cmp_ne_u32_e32 vcc, s14, v27
                                        ; implicit-def: $vgpr27
	s_and_saveexec_b64 s[0:1], vcc
	s_xor_b64 s[0:1], exec, s[0:1]
; %bb.189:                              ;   in Loop: Header=BB319_136 Depth=1
	v_bfe_u32 v27, v26, 16, 1
	v_add3_u32 v27, v26, v27, s15
                                        ; implicit-def: $vgpr26
; %bb.190:                              ;   in Loop: Header=BB319_136 Depth=1
	s_andn2_saveexec_b64 s[0:1], s[0:1]
; %bb.191:                              ;   in Loop: Header=BB319_136 Depth=1
	v_or_b32_e32 v27, 0x10000, v26
	v_cmp_eq_u32_sdwa vcc, v26, v13 src0_sel:WORD_0 src1_sel:DWORD
	s_nop 1
	v_cndmask_b32_e32 v27, v27, v26, vcc
; %bb.192:                              ;   in Loop: Header=BB319_136 Depth=1
	s_or_b64 exec, exec, s[0:1]
	v_bfe_u32 v26, v5, 16, 8
	v_cvt_f32_fp8_sdwa v26, v26 src0_sel:BYTE_0
	s_nop 0
	v_mul_f32_e32 v26, s10, v26
	v_and_b32_e32 v28, 0x7f800000, v26
	v_cmp_ne_u32_e32 vcc, s14, v28
                                        ; implicit-def: $vgpr28
	s_and_saveexec_b64 s[0:1], vcc
	s_xor_b64 s[0:1], exec, s[0:1]
; %bb.193:                              ;   in Loop: Header=BB319_136 Depth=1
	v_bfe_u32 v28, v26, 16, 1
	v_add3_u32 v28, v26, v28, s15
                                        ; implicit-def: $vgpr26
; %bb.194:                              ;   in Loop: Header=BB319_136 Depth=1
	s_andn2_saveexec_b64 s[0:1], s[0:1]
; %bb.195:                              ;   in Loop: Header=BB319_136 Depth=1
	v_or_b32_e32 v28, 0x10000, v26
	v_cmp_eq_u32_sdwa vcc, v26, v13 src0_sel:WORD_0 src1_sel:DWORD
	s_nop 1
	v_cndmask_b32_e32 v28, v28, v26, vcc
; %bb.196:                              ;   in Loop: Header=BB319_136 Depth=1
	s_or_b64 exec, exec, s[0:1]
	v_lshrrev_b32_e32 v5, 24, v5
	v_cvt_f32_fp8_sdwa v5, v5 src0_sel:BYTE_0
                                        ; implicit-def: $vgpr29
	s_nop 0
	v_mul_f32_e32 v5, s10, v5
	v_and_b32_e32 v26, 0x7f800000, v5
	v_cmp_ne_u32_e32 vcc, s14, v26
	s_and_saveexec_b64 s[0:1], vcc
	s_xor_b64 s[0:1], exec, s[0:1]
; %bb.197:                              ;   in Loop: Header=BB319_136 Depth=1
	v_bfe_u32 v26, v5, 16, 1
	v_add3_u32 v29, v5, v26, s15
                                        ; implicit-def: $vgpr5
; %bb.198:                              ;   in Loop: Header=BB319_136 Depth=1
	s_andn2_saveexec_b64 s[0:1], s[0:1]
; %bb.199:                              ;   in Loop: Header=BB319_136 Depth=1
	v_or_b32_e32 v26, 0x10000, v5
	v_cmp_eq_u32_sdwa vcc, v5, v13 src0_sel:WORD_0 src1_sel:DWORD
	s_nop 1
	v_cndmask_b32_e32 v29, v26, v5, vcc
; %bb.200:                              ;   in Loop: Header=BB319_136 Depth=1
	s_or_b64 exec, exec, s[0:1]
	v_cmp_eq_u32_e32 vcc, s11, v1
	v_add_u32_e32 v26, -7, v21
	v_lshrrev_b32_e32 v40, 16, v27
	v_lshrrev_b32_e32 v39, 16, v9
	v_lshrrev_b32_e32 v9, 16, v4
	v_lshrrev_b32_e32 v8, 16, v8
	v_lshrrev_b32_e32 v7, 16, v7
	v_lshrrev_b32_e32 v6, 16, v6
	v_lshrrev_b32_e32 v5, 16, v28
	v_lshrrev_b32_e32 v4, 16, v29
	v_add_u32_e32 v32, -6, v21
	v_add_u32_e32 v31, -5, v21
	;; [unrolled: 1-line block ×6, first 2 shown]
	s_and_saveexec_b64 s[8:9], vcc
	s_cbranch_execz .LBB319_202
; %bb.201:                              ;   in Loop: Header=BB319_136 Depth=1
	v_cmp_gt_i32_e64 s[0:1], s17, v26
	s_nop 1
	v_cndmask_b32_e64 v6, 0, v6, s[0:1]
	v_cmp_gt_i32_e64 s[0:1], s17, v32
	s_nop 1
	v_cndmask_b32_e64 v7, 0, v7, s[0:1]
	;; [unrolled: 3-line block ×8, first 2 shown]
.LBB319_202:                            ;   in Loop: Header=BB319_136 Depth=1
	s_or_b64 exec, exec, s[8:9]
	v_and_b32_e32 v34, 0xffff0000, v34
	v_lshlrev_b32_e32 v6, 16, v6
	v_mul_f32_e32 v38, v34, v6
	v_and_b32_e32 v6, 0x7f800000, v38
	v_cmp_ne_u32_e64 s[0:1], s14, v6
                                        ; implicit-def: $vgpr6
	s_and_saveexec_b64 s[8:9], s[0:1]
	s_xor_b64 s[0:1], exec, s[8:9]
; %bb.203:                              ;   in Loop: Header=BB319_136 Depth=1
	v_bfe_u32 v6, v38, 16, 1
	v_add3_u32 v6, v38, v6, s15
                                        ; implicit-def: $vgpr38
; %bb.204:                              ;   in Loop: Header=BB319_136 Depth=1
	s_andn2_saveexec_b64 s[8:9], s[0:1]
; %bb.205:                              ;   in Loop: Header=BB319_136 Depth=1
	v_or_b32_e32 v6, 0x10000, v38
	v_cmp_eq_u32_sdwa s[0:1], v38, v13 src0_sel:WORD_0 src1_sel:DWORD
	s_nop 1
	v_cndmask_b32_e64 v6, v6, v38, s[0:1]
; %bb.206:                              ;   in Loop: Header=BB319_136 Depth=1
	s_or_b64 exec, exec, s[8:9]
	v_and_b32_e32 v35, 0xffff0000, v35
	v_lshlrev_b32_e32 v7, 16, v7
	v_mul_f32_e32 v38, v35, v7
	v_and_b32_e32 v7, 0x7f800000, v38
	v_cmp_ne_u32_e64 s[0:1], s14, v7
                                        ; implicit-def: $vgpr7
	s_and_saveexec_b64 s[8:9], s[0:1]
	s_xor_b64 s[0:1], exec, s[8:9]
; %bb.207:                              ;   in Loop: Header=BB319_136 Depth=1
	v_bfe_u32 v7, v38, 16, 1
	v_add3_u32 v7, v38, v7, s15
                                        ; implicit-def: $vgpr38
; %bb.208:                              ;   in Loop: Header=BB319_136 Depth=1
	s_andn2_saveexec_b64 s[8:9], s[0:1]
; %bb.209:                              ;   in Loop: Header=BB319_136 Depth=1
	v_or_b32_e32 v7, 0x10000, v38
	v_cmp_eq_u32_sdwa s[0:1], v38, v13 src0_sel:WORD_0 src1_sel:DWORD
	s_nop 1
	v_cndmask_b32_e64 v7, v7, v38, s[0:1]
; %bb.210:                              ;   in Loop: Header=BB319_136 Depth=1
	s_or_b64 exec, exec, s[8:9]
	v_and_b32_e32 v36, 0xffff0000, v36
	v_lshlrev_b32_e32 v8, 16, v8
	v_mul_f32_e32 v38, v36, v8
	v_and_b32_e32 v8, 0x7f800000, v38
	v_cmp_ne_u32_e64 s[0:1], s14, v8
                                        ; implicit-def: $vgpr8
	s_and_saveexec_b64 s[8:9], s[0:1]
	s_xor_b64 s[0:1], exec, s[8:9]
; %bb.211:                              ;   in Loop: Header=BB319_136 Depth=1
	v_bfe_u32 v8, v38, 16, 1
	v_add3_u32 v8, v38, v8, s15
                                        ; implicit-def: $vgpr38
; %bb.212:                              ;   in Loop: Header=BB319_136 Depth=1
	s_andn2_saveexec_b64 s[8:9], s[0:1]
; %bb.213:                              ;   in Loop: Header=BB319_136 Depth=1
	v_or_b32_e32 v8, 0x10000, v38
	v_cmp_eq_u32_sdwa s[0:1], v38, v13 src0_sel:WORD_0 src1_sel:DWORD
	s_nop 1
	v_cndmask_b32_e64 v8, v8, v38, s[0:1]
; %bb.214:                              ;   in Loop: Header=BB319_136 Depth=1
	s_or_b64 exec, exec, s[8:9]
	v_and_b32_e32 v37, 0xffff0000, v37
	v_lshlrev_b32_e32 v9, 16, v9
	v_mul_f32_e32 v38, v37, v9
	v_and_b32_e32 v9, 0x7f800000, v38
	v_cmp_ne_u32_e64 s[0:1], s14, v9
                                        ; implicit-def: $vgpr9
	s_and_saveexec_b64 s[8:9], s[0:1]
	s_xor_b64 s[0:1], exec, s[8:9]
; %bb.215:                              ;   in Loop: Header=BB319_136 Depth=1
	v_bfe_u32 v9, v38, 16, 1
	v_add3_u32 v9, v38, v9, s15
                                        ; implicit-def: $vgpr38
; %bb.216:                              ;   in Loop: Header=BB319_136 Depth=1
	s_andn2_saveexec_b64 s[8:9], s[0:1]
; %bb.217:                              ;   in Loop: Header=BB319_136 Depth=1
	v_or_b32_e32 v9, 0x10000, v38
	v_cmp_eq_u32_sdwa s[0:1], v38, v13 src0_sel:WORD_0 src1_sel:DWORD
	s_nop 1
	v_cndmask_b32_e64 v9, v9, v38, s[0:1]
; %bb.218:                              ;   in Loop: Header=BB319_136 Depth=1
	s_or_b64 exec, exec, s[8:9]
	v_and_b32_e32 v38, 0xffff0000, v23
	v_lshlrev_b32_e32 v23, 16, v39
	v_mul_f32_e32 v39, v38, v23
	v_and_b32_e32 v23, 0x7f800000, v39
	v_cmp_ne_u32_e64 s[0:1], s14, v23
                                        ; implicit-def: $vgpr23
	s_and_saveexec_b64 s[8:9], s[0:1]
	s_xor_b64 s[0:1], exec, s[8:9]
; %bb.219:                              ;   in Loop: Header=BB319_136 Depth=1
	v_bfe_u32 v23, v39, 16, 1
	v_add3_u32 v23, v39, v23, s15
                                        ; implicit-def: $vgpr39
; %bb.220:                              ;   in Loop: Header=BB319_136 Depth=1
	s_andn2_saveexec_b64 s[8:9], s[0:1]
; %bb.221:                              ;   in Loop: Header=BB319_136 Depth=1
	v_or_b32_e32 v23, 0x10000, v39
	v_cmp_eq_u32_sdwa s[0:1], v39, v13 src0_sel:WORD_0 src1_sel:DWORD
	s_nop 1
	v_cndmask_b32_e64 v23, v23, v39, s[0:1]
; %bb.222:                              ;   in Loop: Header=BB319_136 Depth=1
	s_or_b64 exec, exec, s[8:9]
	v_and_b32_e32 v39, 0xffff0000, v24
	v_lshlrev_b32_e32 v24, 16, v40
	v_mul_f32_e32 v40, v39, v24
	v_and_b32_e32 v24, 0x7f800000, v40
	v_cmp_ne_u32_e64 s[0:1], s14, v24
                                        ; implicit-def: $vgpr24
	s_and_saveexec_b64 s[8:9], s[0:1]
	s_xor_b64 s[0:1], exec, s[8:9]
; %bb.223:                              ;   in Loop: Header=BB319_136 Depth=1
	v_bfe_u32 v24, v40, 16, 1
	v_add3_u32 v24, v40, v24, s15
                                        ; implicit-def: $vgpr40
; %bb.224:                              ;   in Loop: Header=BB319_136 Depth=1
	s_andn2_saveexec_b64 s[8:9], s[0:1]
; %bb.225:                              ;   in Loop: Header=BB319_136 Depth=1
	v_or_b32_e32 v24, 0x10000, v40
	v_cmp_eq_u32_sdwa s[0:1], v40, v13 src0_sel:WORD_0 src1_sel:DWORD
	s_nop 1
	v_cndmask_b32_e64 v24, v24, v40, s[0:1]
; %bb.226:                              ;   in Loop: Header=BB319_136 Depth=1
	s_or_b64 exec, exec, s[8:9]
	v_and_b32_e32 v40, 0xffff0000, v25
	v_lshlrev_b32_e32 v5, 16, v5
	v_mul_f32_e32 v5, v40, v5
	v_and_b32_e32 v25, 0x7f800000, v5
	v_cmp_ne_u32_e64 s[0:1], s14, v25
                                        ; implicit-def: $vgpr25
	s_and_saveexec_b64 s[8:9], s[0:1]
	s_xor_b64 s[0:1], exec, s[8:9]
; %bb.227:                              ;   in Loop: Header=BB319_136 Depth=1
	v_bfe_u32 v25, v5, 16, 1
	v_add3_u32 v25, v5, v25, s15
                                        ; implicit-def: $vgpr5
; %bb.228:                              ;   in Loop: Header=BB319_136 Depth=1
	s_andn2_saveexec_b64 s[8:9], s[0:1]
; %bb.229:                              ;   in Loop: Header=BB319_136 Depth=1
	v_or_b32_e32 v25, 0x10000, v5
	v_cmp_eq_u32_sdwa s[0:1], v5, v13 src0_sel:WORD_0 src1_sel:DWORD
	s_nop 1
	v_cndmask_b32_e64 v25, v25, v5, s[0:1]
; %bb.230:                              ;   in Loop: Header=BB319_136 Depth=1
	s_or_b64 exec, exec, s[8:9]
	v_and_b32_e32 v41, 0xffff0000, v33
	v_lshlrev_b32_e32 v4, 16, v4
	v_mul_f32_e32 v4, v41, v4
	v_and_b32_e32 v5, 0x7f800000, v4
	v_cmp_ne_u32_e64 s[0:1], s14, v5
                                        ; implicit-def: $vgpr33
	s_and_saveexec_b64 s[8:9], s[0:1]
	s_xor_b64 s[0:1], exec, s[8:9]
; %bb.231:                              ;   in Loop: Header=BB319_136 Depth=1
	v_bfe_u32 v5, v4, 16, 1
	v_add3_u32 v33, v4, v5, s15
                                        ; implicit-def: $vgpr4
; %bb.232:                              ;   in Loop: Header=BB319_136 Depth=1
	s_andn2_saveexec_b64 s[8:9], s[0:1]
; %bb.233:                              ;   in Loop: Header=BB319_136 Depth=1
	v_or_b32_e32 v5, 0x10000, v4
	v_cmp_eq_u32_sdwa s[0:1], v4, v13 src0_sel:WORD_0 src1_sel:DWORD
	s_nop 1
	v_cndmask_b32_e64 v33, v5, v4, s[0:1]
; %bb.234:                              ;   in Loop: Header=BB319_136 Depth=1
	s_or_b64 exec, exec, s[8:9]
	global_load_dwordx2 v[4:5], v[2:3], off offset:512
	s_waitcnt vmcnt(0)
	v_and_b32_e32 v42, 0xff, v4
	v_cvt_f32_fp8_sdwa v42, v42 src0_sel:BYTE_0
	s_nop 0
	v_mul_f32_e32 v43, s10, v42
	v_and_b32_e32 v42, 0x7f800000, v43
	v_cmp_ne_u32_e64 s[0:1], s14, v42
                                        ; implicit-def: $vgpr42
	s_and_saveexec_b64 s[8:9], s[0:1]
	s_xor_b64 s[0:1], exec, s[8:9]
; %bb.235:                              ;   in Loop: Header=BB319_136 Depth=1
	v_bfe_u32 v42, v43, 16, 1
	v_add3_u32 v42, v43, v42, s15
                                        ; implicit-def: $vgpr43
; %bb.236:                              ;   in Loop: Header=BB319_136 Depth=1
	s_andn2_saveexec_b64 s[8:9], s[0:1]
; %bb.237:                              ;   in Loop: Header=BB319_136 Depth=1
	v_or_b32_e32 v42, 0x10000, v43
	v_cmp_eq_u32_sdwa s[0:1], v43, v13 src0_sel:WORD_0 src1_sel:DWORD
	s_nop 1
	v_cndmask_b32_e64 v42, v42, v43, s[0:1]
; %bb.238:                              ;   in Loop: Header=BB319_136 Depth=1
	s_or_b64 exec, exec, s[8:9]
	v_bfe_u32 v43, v4, 8, 8
	v_cvt_f32_fp8_sdwa v43, v43 src0_sel:BYTE_0
	s_nop 0
	v_mul_f32_e32 v44, s10, v43
	v_and_b32_e32 v43, 0x7f800000, v44
	v_cmp_ne_u32_e64 s[0:1], s14, v43
                                        ; implicit-def: $vgpr43
	s_and_saveexec_b64 s[8:9], s[0:1]
	s_xor_b64 s[0:1], exec, s[8:9]
; %bb.239:                              ;   in Loop: Header=BB319_136 Depth=1
	v_bfe_u32 v43, v44, 16, 1
	v_add3_u32 v43, v44, v43, s15
                                        ; implicit-def: $vgpr44
; %bb.240:                              ;   in Loop: Header=BB319_136 Depth=1
	s_andn2_saveexec_b64 s[8:9], s[0:1]
; %bb.241:                              ;   in Loop: Header=BB319_136 Depth=1
	v_or_b32_e32 v43, 0x10000, v44
	v_cmp_eq_u32_sdwa s[0:1], v44, v13 src0_sel:WORD_0 src1_sel:DWORD
	s_nop 1
	v_cndmask_b32_e64 v43, v43, v44, s[0:1]
; %bb.242:                              ;   in Loop: Header=BB319_136 Depth=1
	s_or_b64 exec, exec, s[8:9]
	v_bfe_u32 v44, v4, 16, 8
	v_cvt_f32_fp8_sdwa v44, v44 src0_sel:BYTE_0
	s_nop 0
	v_mul_f32_e32 v45, s10, v44
	v_and_b32_e32 v44, 0x7f800000, v45
	v_cmp_ne_u32_e64 s[0:1], s14, v44
                                        ; implicit-def: $vgpr44
	s_and_saveexec_b64 s[8:9], s[0:1]
	s_xor_b64 s[0:1], exec, s[8:9]
; %bb.243:                              ;   in Loop: Header=BB319_136 Depth=1
	v_bfe_u32 v44, v45, 16, 1
	v_add3_u32 v44, v45, v44, s15
                                        ; implicit-def: $vgpr45
; %bb.244:                              ;   in Loop: Header=BB319_136 Depth=1
	s_andn2_saveexec_b64 s[8:9], s[0:1]
; %bb.245:                              ;   in Loop: Header=BB319_136 Depth=1
	v_or_b32_e32 v44, 0x10000, v45
	v_cmp_eq_u32_sdwa s[0:1], v45, v13 src0_sel:WORD_0 src1_sel:DWORD
	s_nop 1
	v_cndmask_b32_e64 v44, v44, v45, s[0:1]
; %bb.246:                              ;   in Loop: Header=BB319_136 Depth=1
	s_or_b64 exec, exec, s[8:9]
	v_lshrrev_b32_e32 v4, 24, v4
	v_cvt_f32_fp8_sdwa v4, v4 src0_sel:BYTE_0
	s_nop 0
	v_mul_f32_e32 v45, s10, v4
	v_and_b32_e32 v4, 0x7f800000, v45
	v_cmp_ne_u32_e64 s[0:1], s14, v4
                                        ; implicit-def: $vgpr4
	s_and_saveexec_b64 s[8:9], s[0:1]
	s_xor_b64 s[0:1], exec, s[8:9]
; %bb.247:                              ;   in Loop: Header=BB319_136 Depth=1
	v_bfe_u32 v4, v45, 16, 1
	v_add3_u32 v4, v45, v4, s15
                                        ; implicit-def: $vgpr45
; %bb.248:                              ;   in Loop: Header=BB319_136 Depth=1
	s_andn2_saveexec_b64 s[8:9], s[0:1]
; %bb.249:                              ;   in Loop: Header=BB319_136 Depth=1
	v_or_b32_e32 v4, 0x10000, v45
	v_cmp_eq_u32_sdwa s[0:1], v45, v13 src0_sel:WORD_0 src1_sel:DWORD
	s_nop 1
	v_cndmask_b32_e64 v4, v4, v45, s[0:1]
; %bb.250:                              ;   in Loop: Header=BB319_136 Depth=1
	s_or_b64 exec, exec, s[8:9]
	v_and_b32_e32 v45, 0xff, v5
	v_cvt_f32_fp8_sdwa v45, v45 src0_sel:BYTE_0
	s_nop 0
	v_mul_f32_e32 v45, s10, v45
	v_and_b32_e32 v46, 0x7f800000, v45
	v_cmp_ne_u32_e64 s[0:1], s14, v46
                                        ; implicit-def: $vgpr46
	s_and_saveexec_b64 s[8:9], s[0:1]
	s_xor_b64 s[0:1], exec, s[8:9]
; %bb.251:                              ;   in Loop: Header=BB319_136 Depth=1
	v_bfe_u32 v46, v45, 16, 1
	v_add3_u32 v46, v45, v46, s15
                                        ; implicit-def: $vgpr45
; %bb.252:                              ;   in Loop: Header=BB319_136 Depth=1
	s_andn2_saveexec_b64 s[8:9], s[0:1]
; %bb.253:                              ;   in Loop: Header=BB319_136 Depth=1
	v_or_b32_e32 v46, 0x10000, v45
	v_cmp_eq_u32_sdwa s[0:1], v45, v13 src0_sel:WORD_0 src1_sel:DWORD
	s_nop 1
	v_cndmask_b32_e64 v46, v46, v45, s[0:1]
; %bb.254:                              ;   in Loop: Header=BB319_136 Depth=1
	s_or_b64 exec, exec, s[8:9]
	v_bfe_u32 v45, v5, 8, 8
	v_cvt_f32_fp8_sdwa v45, v45 src0_sel:BYTE_0
	s_nop 0
	v_mul_f32_e32 v47, s10, v45
	v_and_b32_e32 v45, 0x7f800000, v47
	v_cmp_ne_u32_e64 s[0:1], s14, v45
                                        ; implicit-def: $vgpr45
	s_and_saveexec_b64 s[8:9], s[0:1]
	s_xor_b64 s[0:1], exec, s[8:9]
; %bb.255:                              ;   in Loop: Header=BB319_136 Depth=1
	v_bfe_u32 v45, v47, 16, 1
	v_add3_u32 v45, v47, v45, s15
                                        ; implicit-def: $vgpr47
; %bb.256:                              ;   in Loop: Header=BB319_136 Depth=1
	s_andn2_saveexec_b64 s[8:9], s[0:1]
; %bb.257:                              ;   in Loop: Header=BB319_136 Depth=1
	v_or_b32_e32 v45, 0x10000, v47
	v_cmp_eq_u32_sdwa s[0:1], v47, v13 src0_sel:WORD_0 src1_sel:DWORD
	s_nop 1
	v_cndmask_b32_e64 v45, v45, v47, s[0:1]
; %bb.258:                              ;   in Loop: Header=BB319_136 Depth=1
	s_or_b64 exec, exec, s[8:9]
	v_bfe_u32 v47, v5, 16, 8
	v_cvt_f32_fp8_sdwa v47, v47 src0_sel:BYTE_0
	s_nop 0
	v_mul_f32_e32 v48, s10, v47
	v_and_b32_e32 v47, 0x7f800000, v48
	v_cmp_ne_u32_e64 s[0:1], s14, v47
                                        ; implicit-def: $vgpr47
	s_and_saveexec_b64 s[8:9], s[0:1]
	s_xor_b64 s[0:1], exec, s[8:9]
; %bb.259:                              ;   in Loop: Header=BB319_136 Depth=1
	v_bfe_u32 v47, v48, 16, 1
	v_add3_u32 v47, v48, v47, s15
                                        ; implicit-def: $vgpr48
; %bb.260:                              ;   in Loop: Header=BB319_136 Depth=1
	s_andn2_saveexec_b64 s[8:9], s[0:1]
; %bb.261:                              ;   in Loop: Header=BB319_136 Depth=1
	v_or_b32_e32 v47, 0x10000, v48
	v_cmp_eq_u32_sdwa s[0:1], v48, v13 src0_sel:WORD_0 src1_sel:DWORD
	s_nop 1
	v_cndmask_b32_e64 v47, v47, v48, s[0:1]
; %bb.262:                              ;   in Loop: Header=BB319_136 Depth=1
	s_or_b64 exec, exec, s[8:9]
	v_lshrrev_b32_e32 v5, 24, v5
	v_cvt_f32_fp8_sdwa v5, v5 src0_sel:BYTE_0
                                        ; implicit-def: $vgpr50
	s_nop 0
	v_mul_f32_e32 v5, s10, v5
	v_and_b32_e32 v48, 0x7f800000, v5
	v_cmp_ne_u32_e64 s[0:1], s14, v48
	s_and_saveexec_b64 s[8:9], s[0:1]
	s_xor_b64 s[0:1], exec, s[8:9]
; %bb.263:                              ;   in Loop: Header=BB319_136 Depth=1
	v_bfe_u32 v48, v5, 16, 1
	v_add3_u32 v50, v5, v48, s15
                                        ; implicit-def: $vgpr5
; %bb.264:                              ;   in Loop: Header=BB319_136 Depth=1
	s_andn2_saveexec_b64 s[8:9], s[0:1]
; %bb.265:                              ;   in Loop: Header=BB319_136 Depth=1
	v_or_b32_e32 v48, 0x10000, v5
	v_cmp_eq_u32_sdwa s[0:1], v5, v13 src0_sel:WORD_0 src1_sel:DWORD
	s_nop 1
	v_cndmask_b32_e64 v50, v48, v5, s[0:1]
; %bb.266:                              ;   in Loop: Header=BB319_136 Depth=1
	s_or_b64 exec, exec, s[8:9]
	v_lshrrev_b32_e32 v45, 16, v45
	v_lshrrev_b32_e32 v48, 16, v46
	v_lshrrev_b32_e32 v49, 16, v4
	v_lshrrev_b32_e32 v44, 16, v44
	v_lshrrev_b32_e32 v5, 16, v43
	v_lshrrev_b32_e32 v4, 16, v42
	v_lshrrev_b32_e32 v46, 16, v47
	v_lshrrev_b32_e32 v47, 16, v50
	s_and_saveexec_b64 s[8:9], vcc
	s_cbranch_execz .LBB319_268
; %bb.267:                              ;   in Loop: Header=BB319_136 Depth=1
	v_cmp_gt_i32_e64 s[0:1], s17, v26
	s_nop 1
	v_cndmask_b32_e64 v4, 0, v4, s[0:1]
	v_cmp_gt_i32_e64 s[0:1], s17, v32
	s_nop 1
	v_cndmask_b32_e64 v5, 0, v5, s[0:1]
	v_cmp_gt_i32_e64 s[0:1], s17, v31
	s_nop 1
	v_cndmask_b32_e64 v44, 0, v44, s[0:1]
	v_cmp_gt_i32_e64 s[0:1], s17, v30
	s_nop 1
	v_cndmask_b32_e64 v49, 0, v49, s[0:1]
	v_cmp_gt_i32_e64 s[0:1], s17, v29
	s_nop 1
	v_cndmask_b32_e64 v48, 0, v48, s[0:1]
	v_cmp_gt_i32_e64 s[0:1], s17, v28
	s_nop 1
	v_cndmask_b32_e64 v45, 0, v45, s[0:1]
	v_cmp_gt_i32_e64 s[0:1], s17, v27
	s_nop 1
	v_cndmask_b32_e64 v46, 0, v46, s[0:1]
	v_cmp_gt_i32_e64 s[0:1], s17, v21
	s_nop 1
	v_cndmask_b32_e64 v47, 0, v47, s[0:1]
.LBB319_268:                            ;   in Loop: Header=BB319_136 Depth=1
	s_or_b64 exec, exec, s[8:9]
	v_lshlrev_b32_e32 v4, 16, v4
	v_mul_f32_e32 v42, v34, v4
	v_and_b32_e32 v4, 0x7f800000, v42
	v_cmp_ne_u32_e64 s[0:1], s14, v4
                                        ; implicit-def: $vgpr4
	s_and_saveexec_b64 s[8:9], s[0:1]
	s_xor_b64 s[0:1], exec, s[8:9]
; %bb.269:                              ;   in Loop: Header=BB319_136 Depth=1
	v_bfe_u32 v4, v42, 16, 1
	v_add3_u32 v4, v42, v4, s15
                                        ; implicit-def: $vgpr42
; %bb.270:                              ;   in Loop: Header=BB319_136 Depth=1
	s_andn2_saveexec_b64 s[8:9], s[0:1]
; %bb.271:                              ;   in Loop: Header=BB319_136 Depth=1
	v_or_b32_e32 v4, 0x10000, v42
	v_cmp_eq_u32_sdwa s[0:1], v42, v13 src0_sel:WORD_0 src1_sel:DWORD
	s_nop 1
	v_cndmask_b32_e64 v4, v4, v42, s[0:1]
; %bb.272:                              ;   in Loop: Header=BB319_136 Depth=1
	s_or_b64 exec, exec, s[8:9]
	v_lshlrev_b32_e32 v5, 16, v5
	v_mul_f32_e32 v42, v35, v5
	v_and_b32_e32 v5, 0x7f800000, v42
	v_cmp_ne_u32_e64 s[0:1], s14, v5
                                        ; implicit-def: $vgpr5
	s_and_saveexec_b64 s[8:9], s[0:1]
	s_xor_b64 s[0:1], exec, s[8:9]
; %bb.273:                              ;   in Loop: Header=BB319_136 Depth=1
	v_bfe_u32 v5, v42, 16, 1
	v_add3_u32 v5, v42, v5, s15
                                        ; implicit-def: $vgpr42
; %bb.274:                              ;   in Loop: Header=BB319_136 Depth=1
	s_andn2_saveexec_b64 s[8:9], s[0:1]
; %bb.275:                              ;   in Loop: Header=BB319_136 Depth=1
	v_or_b32_e32 v5, 0x10000, v42
	v_cmp_eq_u32_sdwa s[0:1], v42, v13 src0_sel:WORD_0 src1_sel:DWORD
	s_nop 1
	v_cndmask_b32_e64 v5, v5, v42, s[0:1]
; %bb.276:                              ;   in Loop: Header=BB319_136 Depth=1
	s_or_b64 exec, exec, s[8:9]
	v_lshlrev_b32_e32 v42, 16, v44
	v_mul_f32_e32 v43, v36, v42
	v_and_b32_e32 v42, 0x7f800000, v43
	v_cmp_ne_u32_e64 s[0:1], s14, v42
                                        ; implicit-def: $vgpr42
	s_and_saveexec_b64 s[8:9], s[0:1]
	s_xor_b64 s[0:1], exec, s[8:9]
; %bb.277:                              ;   in Loop: Header=BB319_136 Depth=1
	v_bfe_u32 v42, v43, 16, 1
	v_add3_u32 v42, v43, v42, s15
                                        ; implicit-def: $vgpr43
; %bb.278:                              ;   in Loop: Header=BB319_136 Depth=1
	s_andn2_saveexec_b64 s[8:9], s[0:1]
; %bb.279:                              ;   in Loop: Header=BB319_136 Depth=1
	v_or_b32_e32 v42, 0x10000, v43
	v_cmp_eq_u32_sdwa s[0:1], v43, v13 src0_sel:WORD_0 src1_sel:DWORD
	s_nop 1
	v_cndmask_b32_e64 v42, v42, v43, s[0:1]
; %bb.280:                              ;   in Loop: Header=BB319_136 Depth=1
	s_or_b64 exec, exec, s[8:9]
	v_lshlrev_b32_e32 v43, 16, v49
	v_mul_f32_e32 v44, v37, v43
	v_and_b32_e32 v43, 0x7f800000, v44
	v_cmp_ne_u32_e64 s[0:1], s14, v43
                                        ; implicit-def: $vgpr43
	s_and_saveexec_b64 s[8:9], s[0:1]
	s_xor_b64 s[0:1], exec, s[8:9]
; %bb.281:                              ;   in Loop: Header=BB319_136 Depth=1
	v_bfe_u32 v43, v44, 16, 1
	v_add3_u32 v43, v44, v43, s15
                                        ; implicit-def: $vgpr44
; %bb.282:                              ;   in Loop: Header=BB319_136 Depth=1
	s_andn2_saveexec_b64 s[8:9], s[0:1]
; %bb.283:                              ;   in Loop: Header=BB319_136 Depth=1
	v_or_b32_e32 v43, 0x10000, v44
	v_cmp_eq_u32_sdwa s[0:1], v44, v13 src0_sel:WORD_0 src1_sel:DWORD
	s_nop 1
	v_cndmask_b32_e64 v43, v43, v44, s[0:1]
; %bb.284:                              ;   in Loop: Header=BB319_136 Depth=1
	s_or_b64 exec, exec, s[8:9]
	v_lshlrev_b32_e32 v44, 16, v48
	v_mul_f32_e32 v48, v38, v44
	v_and_b32_e32 v44, 0x7f800000, v48
	v_cmp_ne_u32_e64 s[0:1], s14, v44
                                        ; implicit-def: $vgpr44
	s_and_saveexec_b64 s[8:9], s[0:1]
	s_xor_b64 s[0:1], exec, s[8:9]
; %bb.285:                              ;   in Loop: Header=BB319_136 Depth=1
	v_bfe_u32 v44, v48, 16, 1
	v_add3_u32 v44, v48, v44, s15
                                        ; implicit-def: $vgpr48
; %bb.286:                              ;   in Loop: Header=BB319_136 Depth=1
	s_andn2_saveexec_b64 s[8:9], s[0:1]
; %bb.287:                              ;   in Loop: Header=BB319_136 Depth=1
	v_or_b32_e32 v44, 0x10000, v48
	v_cmp_eq_u32_sdwa s[0:1], v48, v13 src0_sel:WORD_0 src1_sel:DWORD
	s_nop 1
	v_cndmask_b32_e64 v44, v44, v48, s[0:1]
; %bb.288:                              ;   in Loop: Header=BB319_136 Depth=1
	s_or_b64 exec, exec, s[8:9]
	v_lshlrev_b32_e32 v45, 16, v45
	v_mul_f32_e32 v48, v39, v45
	v_and_b32_e32 v45, 0x7f800000, v48
	v_cmp_ne_u32_e64 s[0:1], s14, v45
                                        ; implicit-def: $vgpr45
	s_and_saveexec_b64 s[8:9], s[0:1]
	s_xor_b64 s[0:1], exec, s[8:9]
; %bb.289:                              ;   in Loop: Header=BB319_136 Depth=1
	v_bfe_u32 v45, v48, 16, 1
	v_add3_u32 v45, v48, v45, s15
                                        ; implicit-def: $vgpr48
; %bb.290:                              ;   in Loop: Header=BB319_136 Depth=1
	s_andn2_saveexec_b64 s[8:9], s[0:1]
; %bb.291:                              ;   in Loop: Header=BB319_136 Depth=1
	v_or_b32_e32 v45, 0x10000, v48
	v_cmp_eq_u32_sdwa s[0:1], v48, v13 src0_sel:WORD_0 src1_sel:DWORD
	s_nop 1
	v_cndmask_b32_e64 v45, v45, v48, s[0:1]
; %bb.292:                              ;   in Loop: Header=BB319_136 Depth=1
	s_or_b64 exec, exec, s[8:9]
	v_lshlrev_b32_e32 v46, 16, v46
	v_mul_f32_e32 v48, v40, v46
	v_and_b32_e32 v46, 0x7f800000, v48
	v_cmp_ne_u32_e64 s[0:1], s14, v46
                                        ; implicit-def: $vgpr46
	s_and_saveexec_b64 s[8:9], s[0:1]
	s_xor_b64 s[0:1], exec, s[8:9]
; %bb.293:                              ;   in Loop: Header=BB319_136 Depth=1
	v_bfe_u32 v46, v48, 16, 1
	v_add3_u32 v46, v48, v46, s15
                                        ; implicit-def: $vgpr48
; %bb.294:                              ;   in Loop: Header=BB319_136 Depth=1
	s_andn2_saveexec_b64 s[8:9], s[0:1]
; %bb.295:                              ;   in Loop: Header=BB319_136 Depth=1
	v_or_b32_e32 v46, 0x10000, v48
	v_cmp_eq_u32_sdwa s[0:1], v48, v13 src0_sel:WORD_0 src1_sel:DWORD
	s_nop 1
	v_cndmask_b32_e64 v46, v46, v48, s[0:1]
; %bb.296:                              ;   in Loop: Header=BB319_136 Depth=1
	s_or_b64 exec, exec, s[8:9]
	v_lshlrev_b32_e32 v47, 16, v47
	v_mul_f32_e32 v48, v41, v47
	v_and_b32_e32 v47, 0x7f800000, v48
	v_cmp_ne_u32_e64 s[0:1], s14, v47
                                        ; implicit-def: $vgpr47
	s_and_saveexec_b64 s[8:9], s[0:1]
	s_xor_b64 s[0:1], exec, s[8:9]
; %bb.297:                              ;   in Loop: Header=BB319_136 Depth=1
	v_bfe_u32 v47, v48, 16, 1
	v_add3_u32 v47, v48, v47, s15
                                        ; implicit-def: $vgpr48
; %bb.298:                              ;   in Loop: Header=BB319_136 Depth=1
	s_andn2_saveexec_b64 s[8:9], s[0:1]
; %bb.299:                              ;   in Loop: Header=BB319_136 Depth=1
	v_or_b32_e32 v47, 0x10000, v48
	v_cmp_eq_u32_sdwa s[0:1], v48, v13 src0_sel:WORD_0 src1_sel:DWORD
	s_nop 1
	v_cndmask_b32_e64 v47, v47, v48, s[0:1]
; %bb.300:                              ;   in Loop: Header=BB319_136 Depth=1
	s_or_b64 exec, exec, s[8:9]
	global_load_dwordx2 v[2:3], v[2:3], off offset:1024
	s_waitcnt vmcnt(0)
	v_and_b32_e32 v48, 0xff, v2
	v_cvt_f32_fp8_sdwa v48, v48 src0_sel:BYTE_0
	s_nop 0
	v_mul_f32_e32 v49, s10, v48
	v_and_b32_e32 v48, 0x7f800000, v49
	v_cmp_ne_u32_e64 s[0:1], s14, v48
                                        ; implicit-def: $vgpr48
	s_and_saveexec_b64 s[8:9], s[0:1]
	s_xor_b64 s[0:1], exec, s[8:9]
; %bb.301:                              ;   in Loop: Header=BB319_136 Depth=1
	v_bfe_u32 v48, v49, 16, 1
	v_add3_u32 v48, v49, v48, s15
                                        ; implicit-def: $vgpr49
; %bb.302:                              ;   in Loop: Header=BB319_136 Depth=1
	s_andn2_saveexec_b64 s[8:9], s[0:1]
; %bb.303:                              ;   in Loop: Header=BB319_136 Depth=1
	v_or_b32_e32 v48, 0x10000, v49
	v_cmp_eq_u32_sdwa s[0:1], v49, v13 src0_sel:WORD_0 src1_sel:DWORD
	s_nop 1
	v_cndmask_b32_e64 v48, v48, v49, s[0:1]
; %bb.304:                              ;   in Loop: Header=BB319_136 Depth=1
	s_or_b64 exec, exec, s[8:9]
	v_bfe_u32 v49, v2, 8, 8
	v_cvt_f32_fp8_sdwa v49, v49 src0_sel:BYTE_0
	s_nop 0
	v_mul_f32_e32 v50, s10, v49
	v_and_b32_e32 v49, 0x7f800000, v50
	v_cmp_ne_u32_e64 s[0:1], s14, v49
                                        ; implicit-def: $vgpr49
	s_and_saveexec_b64 s[8:9], s[0:1]
	s_xor_b64 s[0:1], exec, s[8:9]
; %bb.305:                              ;   in Loop: Header=BB319_136 Depth=1
	v_bfe_u32 v49, v50, 16, 1
	v_add3_u32 v49, v50, v49, s15
                                        ; implicit-def: $vgpr50
; %bb.306:                              ;   in Loop: Header=BB319_136 Depth=1
	s_andn2_saveexec_b64 s[8:9], s[0:1]
; %bb.307:                              ;   in Loop: Header=BB319_136 Depth=1
	v_or_b32_e32 v49, 0x10000, v50
	v_cmp_eq_u32_sdwa s[0:1], v50, v13 src0_sel:WORD_0 src1_sel:DWORD
	s_nop 1
	v_cndmask_b32_e64 v49, v49, v50, s[0:1]
; %bb.308:                              ;   in Loop: Header=BB319_136 Depth=1
	s_or_b64 exec, exec, s[8:9]
	v_bfe_u32 v50, v2, 16, 8
	v_cvt_f32_fp8_sdwa v50, v50 src0_sel:BYTE_0
	s_nop 0
	v_mul_f32_e32 v50, s10, v50
	v_and_b32_e32 v51, 0x7f800000, v50
	v_cmp_ne_u32_e64 s[0:1], s14, v51
                                        ; implicit-def: $vgpr51
	s_and_saveexec_b64 s[8:9], s[0:1]
	s_xor_b64 s[0:1], exec, s[8:9]
; %bb.309:                              ;   in Loop: Header=BB319_136 Depth=1
	v_bfe_u32 v51, v50, 16, 1
	v_add3_u32 v51, v50, v51, s15
                                        ; implicit-def: $vgpr50
; %bb.310:                              ;   in Loop: Header=BB319_136 Depth=1
	s_andn2_saveexec_b64 s[8:9], s[0:1]
; %bb.311:                              ;   in Loop: Header=BB319_136 Depth=1
	v_or_b32_e32 v51, 0x10000, v50
	v_cmp_eq_u32_sdwa s[0:1], v50, v13 src0_sel:WORD_0 src1_sel:DWORD
	s_nop 1
	v_cndmask_b32_e64 v51, v51, v50, s[0:1]
; %bb.312:                              ;   in Loop: Header=BB319_136 Depth=1
	s_or_b64 exec, exec, s[8:9]
	v_lshrrev_b32_e32 v2, 24, v2
	v_cvt_f32_fp8_sdwa v2, v2 src0_sel:BYTE_0
	s_nop 0
	v_mul_f32_e32 v50, s10, v2
	v_and_b32_e32 v2, 0x7f800000, v50
	v_cmp_ne_u32_e64 s[0:1], s14, v2
                                        ; implicit-def: $vgpr2
	s_and_saveexec_b64 s[8:9], s[0:1]
	s_xor_b64 s[0:1], exec, s[8:9]
; %bb.313:                              ;   in Loop: Header=BB319_136 Depth=1
	v_bfe_u32 v2, v50, 16, 1
	v_add3_u32 v2, v50, v2, s15
                                        ; implicit-def: $vgpr50
; %bb.314:                              ;   in Loop: Header=BB319_136 Depth=1
	s_andn2_saveexec_b64 s[8:9], s[0:1]
; %bb.315:                              ;   in Loop: Header=BB319_136 Depth=1
	v_or_b32_e32 v2, 0x10000, v50
	v_cmp_eq_u32_sdwa s[0:1], v50, v13 src0_sel:WORD_0 src1_sel:DWORD
	s_nop 1
	v_cndmask_b32_e64 v2, v2, v50, s[0:1]
; %bb.316:                              ;   in Loop: Header=BB319_136 Depth=1
	s_or_b64 exec, exec, s[8:9]
	v_and_b32_e32 v50, 0xff, v3
	v_cvt_f32_fp8_sdwa v50, v50 src0_sel:BYTE_0
	s_nop 0
	v_mul_f32_e32 v50, s10, v50
	v_and_b32_e32 v52, 0x7f800000, v50
	v_cmp_ne_u32_e64 s[0:1], s14, v52
                                        ; implicit-def: $vgpr52
	s_and_saveexec_b64 s[8:9], s[0:1]
	s_xor_b64 s[0:1], exec, s[8:9]
; %bb.317:                              ;   in Loop: Header=BB319_136 Depth=1
	v_bfe_u32 v52, v50, 16, 1
	v_add3_u32 v52, v50, v52, s15
                                        ; implicit-def: $vgpr50
; %bb.318:                              ;   in Loop: Header=BB319_136 Depth=1
	s_andn2_saveexec_b64 s[8:9], s[0:1]
; %bb.319:                              ;   in Loop: Header=BB319_136 Depth=1
	v_or_b32_e32 v52, 0x10000, v50
	v_cmp_eq_u32_sdwa s[0:1], v50, v13 src0_sel:WORD_0 src1_sel:DWORD
	s_nop 1
	v_cndmask_b32_e64 v52, v52, v50, s[0:1]
; %bb.320:                              ;   in Loop: Header=BB319_136 Depth=1
	s_or_b64 exec, exec, s[8:9]
	v_bfe_u32 v50, v3, 8, 8
	v_cvt_f32_fp8_sdwa v50, v50 src0_sel:BYTE_0
	s_nop 0
	v_mul_f32_e32 v53, s10, v50
	v_and_b32_e32 v50, 0x7f800000, v53
	v_cmp_ne_u32_e64 s[0:1], s14, v50
                                        ; implicit-def: $vgpr50
	s_and_saveexec_b64 s[8:9], s[0:1]
	s_xor_b64 s[0:1], exec, s[8:9]
; %bb.321:                              ;   in Loop: Header=BB319_136 Depth=1
	v_bfe_u32 v50, v53, 16, 1
	v_add3_u32 v50, v53, v50, s15
                                        ; implicit-def: $vgpr53
; %bb.322:                              ;   in Loop: Header=BB319_136 Depth=1
	s_andn2_saveexec_b64 s[8:9], s[0:1]
; %bb.323:                              ;   in Loop: Header=BB319_136 Depth=1
	v_or_b32_e32 v50, 0x10000, v53
	v_cmp_eq_u32_sdwa s[0:1], v53, v13 src0_sel:WORD_0 src1_sel:DWORD
	s_nop 1
	v_cndmask_b32_e64 v50, v50, v53, s[0:1]
; %bb.324:                              ;   in Loop: Header=BB319_136 Depth=1
	s_or_b64 exec, exec, s[8:9]
	v_bfe_u32 v53, v3, 16, 8
	v_cvt_f32_fp8_sdwa v53, v53 src0_sel:BYTE_0
	s_nop 0
	v_mul_f32_e32 v53, s10, v53
	v_and_b32_e32 v54, 0x7f800000, v53
	v_cmp_ne_u32_e64 s[0:1], s14, v54
                                        ; implicit-def: $vgpr54
	s_and_saveexec_b64 s[8:9], s[0:1]
	s_xor_b64 s[0:1], exec, s[8:9]
; %bb.325:                              ;   in Loop: Header=BB319_136 Depth=1
	v_bfe_u32 v54, v53, 16, 1
	v_add3_u32 v54, v53, v54, s15
                                        ; implicit-def: $vgpr53
; %bb.326:                              ;   in Loop: Header=BB319_136 Depth=1
	s_andn2_saveexec_b64 s[8:9], s[0:1]
; %bb.327:                              ;   in Loop: Header=BB319_136 Depth=1
	v_or_b32_e32 v54, 0x10000, v53
	v_cmp_eq_u32_sdwa s[0:1], v53, v13 src0_sel:WORD_0 src1_sel:DWORD
	s_nop 1
	v_cndmask_b32_e64 v54, v54, v53, s[0:1]
; %bb.328:                              ;   in Loop: Header=BB319_136 Depth=1
	s_or_b64 exec, exec, s[8:9]
	v_lshrrev_b32_e32 v3, 24, v3
	v_cvt_f32_fp8_sdwa v3, v3 src0_sel:BYTE_0
	s_nop 0
	v_mul_f32_e32 v53, s10, v3
	v_and_b32_e32 v3, 0x7f800000, v53
	v_cmp_ne_u32_e64 s[0:1], s14, v3
                                        ; implicit-def: $vgpr3
	s_and_saveexec_b64 s[8:9], s[0:1]
	s_xor_b64 s[0:1], exec, s[8:9]
; %bb.329:                              ;   in Loop: Header=BB319_136 Depth=1
	v_bfe_u32 v3, v53, 16, 1
	v_add3_u32 v3, v53, v3, s15
                                        ; implicit-def: $vgpr53
; %bb.330:                              ;   in Loop: Header=BB319_136 Depth=1
	s_andn2_saveexec_b64 s[8:9], s[0:1]
; %bb.331:                              ;   in Loop: Header=BB319_136 Depth=1
	v_or_b32_e32 v3, 0x10000, v53
	v_cmp_eq_u32_sdwa s[0:1], v53, v13 src0_sel:WORD_0 src1_sel:DWORD
	s_nop 1
	v_cndmask_b32_e64 v3, v3, v53, s[0:1]
; %bb.332:                              ;   in Loop: Header=BB319_136 Depth=1
	s_or_b64 exec, exec, s[8:9]
	v_lshrrev_b32_e32 v50, 16, v50
	v_lshrrev_b32_e32 v52, 16, v52
	;; [unrolled: 1-line block ×8, first 2 shown]
	s_and_saveexec_b64 s[0:1], vcc
	s_cbranch_execz .LBB319_334
; %bb.333:                              ;   in Loop: Header=BB319_136 Depth=1
	v_cmp_gt_i32_e32 vcc, s17, v26
	s_nop 1
	v_cndmask_b32_e32 v2, 0, v2, vcc
	v_cmp_gt_i32_e32 vcc, s17, v32
	s_nop 1
	v_cndmask_b32_e32 v49, 0, v49, vcc
	;; [unrolled: 3-line block ×8, first 2 shown]
.LBB319_334:                            ;   in Loop: Header=BB319_136 Depth=1
	s_or_b64 exec, exec, s[0:1]
	v_lshlrev_b32_e32 v2, 16, v2
	v_mul_f32_e32 v26, v34, v2
	v_and_b32_e32 v2, 0x7f800000, v26
	v_cmp_ne_u32_e32 vcc, s14, v2
                                        ; implicit-def: $vgpr2
	s_and_saveexec_b64 s[0:1], vcc
	s_xor_b64 s[0:1], exec, s[0:1]
; %bb.335:                              ;   in Loop: Header=BB319_136 Depth=1
	v_bfe_u32 v2, v26, 16, 1
	v_add3_u32 v2, v26, v2, s15
                                        ; implicit-def: $vgpr26
; %bb.336:                              ;   in Loop: Header=BB319_136 Depth=1
	s_andn2_saveexec_b64 s[0:1], s[0:1]
; %bb.337:                              ;   in Loop: Header=BB319_136 Depth=1
	v_or_b32_e32 v2, 0x10000, v26
	v_cmp_eq_u32_sdwa vcc, v26, v13 src0_sel:WORD_0 src1_sel:DWORD
	s_nop 1
	v_cndmask_b32_e32 v2, v2, v26, vcc
; %bb.338:                              ;   in Loop: Header=BB319_136 Depth=1
	s_or_b64 exec, exec, s[0:1]
	v_lshlrev_b32_e32 v26, 16, v49
	v_mul_f32_e32 v27, v35, v26
	v_and_b32_e32 v26, 0x7f800000, v27
	v_cmp_ne_u32_e32 vcc, s14, v26
                                        ; implicit-def: $vgpr26
	s_and_saveexec_b64 s[0:1], vcc
	s_xor_b64 s[0:1], exec, s[0:1]
; %bb.339:                              ;   in Loop: Header=BB319_136 Depth=1
	v_bfe_u32 v26, v27, 16, 1
	v_add3_u32 v26, v27, v26, s15
                                        ; implicit-def: $vgpr27
; %bb.340:                              ;   in Loop: Header=BB319_136 Depth=1
	s_andn2_saveexec_b64 s[0:1], s[0:1]
; %bb.341:                              ;   in Loop: Header=BB319_136 Depth=1
	v_or_b32_e32 v26, 0x10000, v27
	v_cmp_eq_u32_sdwa vcc, v27, v13 src0_sel:WORD_0 src1_sel:DWORD
	s_nop 1
	v_cndmask_b32_e32 v26, v26, v27, vcc
; %bb.342:                              ;   in Loop: Header=BB319_136 Depth=1
	s_or_b64 exec, exec, s[0:1]
	v_lshlrev_b32_e32 v27, 16, v51
	v_mul_f32_e32 v28, v36, v27
	v_and_b32_e32 v27, 0x7f800000, v28
	v_cmp_ne_u32_e32 vcc, s14, v27
                                        ; implicit-def: $vgpr27
	s_and_saveexec_b64 s[0:1], vcc
	s_xor_b64 s[0:1], exec, s[0:1]
; %bb.343:                              ;   in Loop: Header=BB319_136 Depth=1
	v_bfe_u32 v27, v28, 16, 1
	v_add3_u32 v27, v28, v27, s15
                                        ; implicit-def: $vgpr28
; %bb.344:                              ;   in Loop: Header=BB319_136 Depth=1
	s_andn2_saveexec_b64 s[0:1], s[0:1]
; %bb.345:                              ;   in Loop: Header=BB319_136 Depth=1
	v_or_b32_e32 v27, 0x10000, v28
	v_cmp_eq_u32_sdwa vcc, v28, v13 src0_sel:WORD_0 src1_sel:DWORD
	s_nop 1
	v_cndmask_b32_e32 v27, v27, v28, vcc
; %bb.346:                              ;   in Loop: Header=BB319_136 Depth=1
	s_or_b64 exec, exec, s[0:1]
	v_lshlrev_b32_e32 v28, 16, v53
	v_mul_f32_e32 v29, v37, v28
	v_and_b32_e32 v28, 0x7f800000, v29
	v_cmp_ne_u32_e32 vcc, s14, v28
                                        ; implicit-def: $vgpr28
	s_and_saveexec_b64 s[0:1], vcc
	s_xor_b64 s[0:1], exec, s[0:1]
; %bb.347:                              ;   in Loop: Header=BB319_136 Depth=1
	v_bfe_u32 v28, v29, 16, 1
	v_add3_u32 v28, v29, v28, s15
                                        ; implicit-def: $vgpr29
; %bb.348:                              ;   in Loop: Header=BB319_136 Depth=1
	s_andn2_saveexec_b64 s[0:1], s[0:1]
; %bb.349:                              ;   in Loop: Header=BB319_136 Depth=1
	v_or_b32_e32 v28, 0x10000, v29
	v_cmp_eq_u32_sdwa vcc, v29, v13 src0_sel:WORD_0 src1_sel:DWORD
	s_nop 1
	v_cndmask_b32_e32 v28, v28, v29, vcc
; %bb.350:                              ;   in Loop: Header=BB319_136 Depth=1
	s_or_b64 exec, exec, s[0:1]
	v_lshlrev_b32_e32 v29, 16, v52
	v_mul_f32_e32 v30, v38, v29
	v_and_b32_e32 v29, 0x7f800000, v30
	v_cmp_ne_u32_e32 vcc, s14, v29
                                        ; implicit-def: $vgpr29
	s_and_saveexec_b64 s[0:1], vcc
	s_xor_b64 s[0:1], exec, s[0:1]
; %bb.351:                              ;   in Loop: Header=BB319_136 Depth=1
	v_bfe_u32 v29, v30, 16, 1
	v_add3_u32 v29, v30, v29, s15
                                        ; implicit-def: $vgpr30
; %bb.352:                              ;   in Loop: Header=BB319_136 Depth=1
	s_andn2_saveexec_b64 s[0:1], s[0:1]
; %bb.353:                              ;   in Loop: Header=BB319_136 Depth=1
	v_or_b32_e32 v29, 0x10000, v30
	v_cmp_eq_u32_sdwa vcc, v30, v13 src0_sel:WORD_0 src1_sel:DWORD
	s_nop 1
	v_cndmask_b32_e32 v29, v29, v30, vcc
; %bb.354:                              ;   in Loop: Header=BB319_136 Depth=1
	s_or_b64 exec, exec, s[0:1]
	v_lshlrev_b32_e32 v30, 16, v50
	v_mul_f32_e32 v31, v39, v30
	v_and_b32_e32 v30, 0x7f800000, v31
	v_cmp_ne_u32_e32 vcc, s14, v30
                                        ; implicit-def: $vgpr30
	s_and_saveexec_b64 s[0:1], vcc
	s_xor_b64 s[0:1], exec, s[0:1]
; %bb.355:                              ;   in Loop: Header=BB319_136 Depth=1
	v_bfe_u32 v30, v31, 16, 1
	v_add3_u32 v30, v31, v30, s15
                                        ; implicit-def: $vgpr31
; %bb.356:                              ;   in Loop: Header=BB319_136 Depth=1
	s_andn2_saveexec_b64 s[0:1], s[0:1]
; %bb.357:                              ;   in Loop: Header=BB319_136 Depth=1
	v_or_b32_e32 v30, 0x10000, v31
	v_cmp_eq_u32_sdwa vcc, v31, v13 src0_sel:WORD_0 src1_sel:DWORD
	s_nop 1
	v_cndmask_b32_e32 v30, v30, v31, vcc
; %bb.358:                              ;   in Loop: Header=BB319_136 Depth=1
	s_or_b64 exec, exec, s[0:1]
	v_lshlrev_b32_e32 v31, 16, v48
	v_mul_f32_e32 v32, v40, v31
	v_and_b32_e32 v31, 0x7f800000, v32
	v_cmp_ne_u32_e32 vcc, s14, v31
                                        ; implicit-def: $vgpr31
	s_and_saveexec_b64 s[0:1], vcc
	s_xor_b64 s[0:1], exec, s[0:1]
; %bb.359:                              ;   in Loop: Header=BB319_136 Depth=1
	v_bfe_u32 v31, v32, 16, 1
	v_add3_u32 v31, v32, v31, s15
                                        ; implicit-def: $vgpr32
; %bb.360:                              ;   in Loop: Header=BB319_136 Depth=1
	s_andn2_saveexec_b64 s[0:1], s[0:1]
; %bb.361:                              ;   in Loop: Header=BB319_136 Depth=1
	v_or_b32_e32 v31, 0x10000, v32
	v_cmp_eq_u32_sdwa vcc, v32, v13 src0_sel:WORD_0 src1_sel:DWORD
	s_nop 1
	v_cndmask_b32_e32 v31, v31, v32, vcc
; %bb.362:                              ;   in Loop: Header=BB319_136 Depth=1
	s_or_b64 exec, exec, s[0:1]
	v_lshlrev_b32_e32 v3, 16, v3
	v_mul_f32_e32 v32, v41, v3
	v_and_b32_e32 v3, 0x7f800000, v32
	v_cmp_ne_u32_e32 vcc, s14, v3
                                        ; implicit-def: $vgpr3
	s_and_saveexec_b64 s[0:1], vcc
	s_xor_b64 s[0:1], exec, s[0:1]
; %bb.363:                              ;   in Loop: Header=BB319_136 Depth=1
	v_bfe_u32 v3, v32, 16, 1
	v_add3_u32 v3, v32, v3, s15
                                        ; implicit-def: $vgpr32
; %bb.364:                              ;   in Loop: Header=BB319_136 Depth=1
	s_andn2_saveexec_b64 s[0:1], s[0:1]
	s_cbranch_execz .LBB319_135
; %bb.365:                              ;   in Loop: Header=BB319_136 Depth=1
	v_or_b32_e32 v3, 0x10000, v32
	v_cmp_eq_u32_sdwa vcc, v32, v13 src0_sel:WORD_0 src1_sel:DWORD
	s_nop 1
	v_cndmask_b32_e32 v3, v3, v32, vcc
	s_branch .LBB319_135
.LBB319_366:
	s_or_b64 exec, exec, s[6:7]
.LBB319_367:
	s_or_b64 exec, exec, s[2:3]
	ds_bpermute_b32 v2, v19, v10
	ds_bpermute_b32 v3, v19, v11
	;; [unrolled: 1-line block ×3, first 2 shown]
	s_waitcnt lgkmcnt(0)
	s_barrier
	v_pk_add_f32 v[4:5], v[10:11], v[2:3]
	v_add_f32_e32 v2, v12, v1
	v_and_b32_e32 v1, 0x3c1, v0
	v_cmp_eq_u32_e32 vcc, 64, v1
	s_and_saveexec_b64 s[0:1], vcc
	s_cbranch_execz .LBB319_369
; %bb.368:
	v_mov_b32_e32 v1, 0xd0
	v_lshl_add_u32 v1, v18, 1, v1
	ds_write2_b32 v1, v4, v5 offset1:32
	ds_write_b32 v1, v2 offset:256
.LBB319_369:
	s_or_b64 exec, exec, s[0:1]
	v_cmp_gt_u32_e32 vcc, 64, v0
	v_cmp_lt_u32_e64 s[0:1], 63, v0
	s_waitcnt lgkmcnt(0)
	s_barrier
	s_and_saveexec_b64 s[2:3], s[0:1]
	s_xor_b64 s[0:1], exec, s[2:3]
	s_andn2_saveexec_b64 s[2:3], s[0:1]
	s_cbranch_execz .LBB319_375
; %bb.370:
	v_cmp_eq_u32_e64 s[0:1], 0, v20
	v_lshrrev_b32_e32 v1, 1, v0
	s_and_saveexec_b64 s[6:7], s[0:1]
	s_cbranch_execnz .LBB319_391
; %bb.371:
	s_or_b64 exec, exec, s[6:7]
	s_and_saveexec_b64 s[6:7], s[0:1]
	s_cbranch_execnz .LBB319_392
.LBB319_372:
	s_or_b64 exec, exec, s[6:7]
	s_and_saveexec_b64 s[6:7], s[0:1]
	s_cbranch_execz .LBB319_374
.LBB319_373:
	v_mov_b32_e32 v3, 0xd0
	v_lshl_add_u32 v1, v1, 2, v3
	ds_read_b32 v1, v1 offset:256
	s_waitcnt lgkmcnt(0)
	v_add_f32_e32 v2, v2, v1
.LBB319_374:
	s_or_b64 exec, exec, s[6:7]
.LBB319_375:
	s_or_b64 exec, exec, s[2:3]
	s_barrier
	s_and_saveexec_b64 s[0:1], vcc
	s_cbranch_execz .LBB319_390
; %bb.376:
	v_cmp_eq_u32_e32 vcc, 0, v20
	s_and_b64 exec, exec, vcc
	s_cbranch_execz .LBB319_390
; %bb.377:
	s_mov_b32 s0, 0x7f800000
	v_and_b32_e32 v1, 0x7f800000, v4
	v_cmp_ne_u32_e32 vcc, s0, v1
                                        ; implicit-def: $vgpr3
	s_and_saveexec_b64 s[0:1], vcc
	s_xor_b64 s[0:1], exec, s[0:1]
; %bb.378:
	v_bfe_u32 v1, v4, 16, 1
	s_movk_i32 s2, 0x7fff
	v_add3_u32 v3, v4, v1, s2
; %bb.379:
	s_andn2_saveexec_b64 s[0:1], s[0:1]
; %bb.380:
	v_mov_b32_e32 v1, 0
	v_or_b32_e32 v3, 0x10000, v4
	v_cmp_eq_u32_sdwa vcc, v4, v1 src0_sel:WORD_0 src1_sel:DWORD
	s_nop 1
	v_cndmask_b32_e32 v3, v3, v4, vcc
; %bb.381:
	s_or_b64 exec, exec, s[0:1]
	s_mul_i32 s0, s16, s12
	s_mul_i32 s0, s0, s5
	s_mulk_i32 s0, 0x60
	s_ashr_i32 s1, s0, 31
	s_lshl_b64 s[0:1], s[0:1], 1
	s_add_u32 s2, s20, s0
	s_mul_i32 s0, s12, s18
	s_addc_u32 s3, s21, s1
	s_ashr_i32 s1, s0, 31
	s_lshl_b64 s[0:1], s[0:1], 1
	s_add_u32 s2, s2, s0
	s_mul_i32 s0, s4, 0x60
	s_addc_u32 s3, s3, s1
	s_ashr_i32 s1, s0, 31
	s_lshl_b64 s[0:1], s[0:1], 1
	s_add_u32 s0, s2, s0
	s_addc_u32 s1, s3, s1
	v_and_b32_e32 v0, 0x3fe, v0
	global_store_short_d16_hi v0, v3, s[0:1]
	s_mov_b32 s2, 0x7f800000
	v_and_b32_e32 v3, 0x7f800000, v5
	v_mov_b32_e32 v1, 0
	v_cmp_ne_u32_e32 vcc, s2, v3
                                        ; implicit-def: $vgpr3
	s_and_saveexec_b64 s[2:3], vcc
	s_xor_b64 s[2:3], exec, s[2:3]
; %bb.382:
	v_bfe_u32 v3, v5, 16, 1
	s_movk_i32 s4, 0x7fff
	v_add3_u32 v3, v5, v3, s4
                                        ; implicit-def: $vgpr4_vgpr5_vgpr6
; %bb.383:
	s_or_saveexec_b64 s[2:3], s[2:3]
	v_lshl_add_u64 v[0:1], s[0:1], 0, v[0:1]
	s_xor_b64 exec, exec, s[2:3]
; %bb.384:
	v_mov_b32_e32 v3, 0
	v_or_b32_e32 v4, 0x10000, v5
	v_cmp_eq_u32_sdwa vcc, v5, v3 src0_sel:WORD_0 src1_sel:DWORD
	s_nop 1
	v_cndmask_b32_e32 v3, v4, v5, vcc
; %bb.385:
	s_or_b64 exec, exec, s[2:3]
	global_store_short_d16_hi v[0:1], v3, off offset:64
	s_mov_b32 s0, 0x7f800000
	v_and_b32_e32 v3, 0x7f800000, v2
	v_cmp_ne_u32_e32 vcc, s0, v3
                                        ; implicit-def: $vgpr3
	s_and_saveexec_b64 s[0:1], vcc
	s_xor_b64 s[0:1], exec, s[0:1]
; %bb.386:
	v_bfe_u32 v3, v2, 16, 1
	s_movk_i32 s2, 0x7fff
	v_add3_u32 v3, v2, v3, s2
                                        ; implicit-def: $vgpr2
; %bb.387:
	s_andn2_saveexec_b64 s[0:1], s[0:1]
; %bb.388:
	v_mov_b32_e32 v3, 0
	v_or_b32_e32 v4, 0x10000, v2
	v_cmp_eq_u32_sdwa vcc, v2, v3 src0_sel:WORD_0 src1_sel:DWORD
	s_nop 1
	v_cndmask_b32_e32 v3, v4, v2, vcc
; %bb.389:
	s_or_b64 exec, exec, s[0:1]
	global_store_short_d16_hi v[0:1], v3, off offset:128
.LBB319_390:
	s_endpgm
.LBB319_391:
	v_mov_b32_e32 v3, 0xd0
	v_lshl_add_u32 v3, v1, 2, v3
	ds_read_b32 v3, v3
	s_waitcnt lgkmcnt(0)
	v_add_f32_e32 v4, v4, v3
	s_or_b64 exec, exec, s[6:7]
	s_and_saveexec_b64 s[6:7], s[0:1]
	s_cbranch_execz .LBB319_372
.LBB319_392:
	v_mov_b32_e32 v3, 0xd0
	v_lshl_add_u32 v3, v1, 2, v3
	ds_read_b32 v3, v3 offset:128
	s_waitcnt lgkmcnt(0)
	v_add_f32_e32 v5, v5, v3
	s_or_b64 exec, exec, s[6:7]
	s_and_saveexec_b64 s[6:7], s[0:1]
	s_cbranch_execnz .LBB319_373
	s_branch .LBB319_374
	.section	.rodata,"a",@progbits
	.p2align	6, 0x0
	.amdhsa_kernel _ZN4vllm25paged_attention_v1_kernelI14__hip_bfloat16hLi96ELi16ELi128ELNS_18Fp8KVCacheDataTypeE1ELb0EEEvPT_PKS3_PKT0_S9_ifPKiSB_iPKfiiiSD_SD_iiiii
		.amdhsa_group_segment_fixed_size 208
		.amdhsa_private_segment_fixed_size 0
		.amdhsa_kernarg_size 384
		.amdhsa_user_sgpr_count 2
		.amdhsa_user_sgpr_dispatch_ptr 0
		.amdhsa_user_sgpr_queue_ptr 0
		.amdhsa_user_sgpr_kernarg_segment_ptr 1
		.amdhsa_user_sgpr_dispatch_id 0
		.amdhsa_user_sgpr_kernarg_preload_length 0
		.amdhsa_user_sgpr_kernarg_preload_offset 0
		.amdhsa_user_sgpr_private_segment_size 0
		.amdhsa_uses_dynamic_stack 0
		.amdhsa_enable_private_segment 0
		.amdhsa_system_sgpr_workgroup_id_x 1
		.amdhsa_system_sgpr_workgroup_id_y 1
		.amdhsa_system_sgpr_workgroup_id_z 1
		.amdhsa_system_sgpr_workgroup_info 0
		.amdhsa_system_vgpr_workitem_id 0
		.amdhsa_next_free_vgpr 66
		.amdhsa_next_free_sgpr 40
		.amdhsa_accum_offset 68
		.amdhsa_reserve_vcc 1
		.amdhsa_float_round_mode_32 0
		.amdhsa_float_round_mode_16_64 0
		.amdhsa_float_denorm_mode_32 3
		.amdhsa_float_denorm_mode_16_64 3
		.amdhsa_dx10_clamp 1
		.amdhsa_ieee_mode 1
		.amdhsa_fp16_overflow 0
		.amdhsa_tg_split 0
		.amdhsa_exception_fp_ieee_invalid_op 0
		.amdhsa_exception_fp_denorm_src 0
		.amdhsa_exception_fp_ieee_div_zero 0
		.amdhsa_exception_fp_ieee_overflow 0
		.amdhsa_exception_fp_ieee_underflow 0
		.amdhsa_exception_fp_ieee_inexact 0
		.amdhsa_exception_int_div_zero 0
	.end_amdhsa_kernel
	.section	.text._ZN4vllm25paged_attention_v1_kernelI14__hip_bfloat16hLi96ELi16ELi128ELNS_18Fp8KVCacheDataTypeE1ELb0EEEvPT_PKS3_PKT0_S9_ifPKiSB_iPKfiiiSD_SD_iiiii,"axG",@progbits,_ZN4vllm25paged_attention_v1_kernelI14__hip_bfloat16hLi96ELi16ELi128ELNS_18Fp8KVCacheDataTypeE1ELb0EEEvPT_PKS3_PKT0_S9_ifPKiSB_iPKfiiiSD_SD_iiiii,comdat
.Lfunc_end319:
	.size	_ZN4vllm25paged_attention_v1_kernelI14__hip_bfloat16hLi96ELi16ELi128ELNS_18Fp8KVCacheDataTypeE1ELb0EEEvPT_PKS3_PKT0_S9_ifPKiSB_iPKfiiiSD_SD_iiiii, .Lfunc_end319-_ZN4vllm25paged_attention_v1_kernelI14__hip_bfloat16hLi96ELi16ELi128ELNS_18Fp8KVCacheDataTypeE1ELb0EEEvPT_PKS3_PKT0_S9_ifPKiSB_iPKfiiiSD_SD_iiiii
                                        ; -- End function
	.section	.AMDGPU.csdata,"",@progbits
; Kernel info:
; codeLenInByte = 12084
; NumSgprs: 46
; NumVgprs: 66
; NumAgprs: 0
; TotalNumVgprs: 66
; ScratchSize: 0
; MemoryBound: 0
; FloatMode: 240
; IeeeMode: 1
; LDSByteSize: 208 bytes/workgroup (compile time only)
; SGPRBlocks: 5
; VGPRBlocks: 8
; NumSGPRsForWavesPerEU: 46
; NumVGPRsForWavesPerEU: 66
; AccumOffset: 68
; Occupancy: 7
; WaveLimiterHint : 1
; COMPUTE_PGM_RSRC2:SCRATCH_EN: 0
; COMPUTE_PGM_RSRC2:USER_SGPR: 2
; COMPUTE_PGM_RSRC2:TRAP_HANDLER: 0
; COMPUTE_PGM_RSRC2:TGID_X_EN: 1
; COMPUTE_PGM_RSRC2:TGID_Y_EN: 1
; COMPUTE_PGM_RSRC2:TGID_Z_EN: 1
; COMPUTE_PGM_RSRC2:TIDIG_COMP_CNT: 0
; COMPUTE_PGM_RSRC3_GFX90A:ACCUM_OFFSET: 16
; COMPUTE_PGM_RSRC3_GFX90A:TG_SPLIT: 0
	.section	.text._ZN4vllm25paged_attention_v1_kernelI14__hip_bfloat16hLi112ELi16ELi128ELNS_18Fp8KVCacheDataTypeE1ELb0EEEvPT_PKS3_PKT0_S9_ifPKiSB_iPKfiiiSD_SD_iiiii,"axG",@progbits,_ZN4vllm25paged_attention_v1_kernelI14__hip_bfloat16hLi112ELi16ELi128ELNS_18Fp8KVCacheDataTypeE1ELb0EEEvPT_PKS3_PKT0_S9_ifPKiSB_iPKfiiiSD_SD_iiiii,comdat
	.protected	_ZN4vllm25paged_attention_v1_kernelI14__hip_bfloat16hLi112ELi16ELi128ELNS_18Fp8KVCacheDataTypeE1ELb0EEEvPT_PKS3_PKT0_S9_ifPKiSB_iPKfiiiSD_SD_iiiii ; -- Begin function _ZN4vllm25paged_attention_v1_kernelI14__hip_bfloat16hLi112ELi16ELi128ELNS_18Fp8KVCacheDataTypeE1ELb0EEEvPT_PKS3_PKT0_S9_ifPKiSB_iPKfiiiSD_SD_iiiii
	.globl	_ZN4vllm25paged_attention_v1_kernelI14__hip_bfloat16hLi112ELi16ELi128ELNS_18Fp8KVCacheDataTypeE1ELb0EEEvPT_PKS3_PKT0_S9_ifPKiSB_iPKfiiiSD_SD_iiiii
	.p2align	8
	.type	_ZN4vllm25paged_attention_v1_kernelI14__hip_bfloat16hLi112ELi16ELi128ELNS_18Fp8KVCacheDataTypeE1ELb0EEEvPT_PKS3_PKT0_S9_ifPKiSB_iPKfiiiSD_SD_iiiii,@function
_ZN4vllm25paged_attention_v1_kernelI14__hip_bfloat16hLi112ELi16ELi128ELNS_18Fp8KVCacheDataTypeE1ELb0EEEvPT_PKS3_PKT0_S9_ifPKiSB_iPKfiiiSD_SD_iiiii: ; @_ZN4vllm25paged_attention_v1_kernelI14__hip_bfloat16hLi112ELi16ELi128ELNS_18Fp8KVCacheDataTypeE1ELb0EEEvPT_PKS3_PKT0_S9_ifPKiSB_iPKfiiiSD_SD_iiiii
; %bb.0:
	s_load_dword s5, s[0:1], 0x80
	s_load_dwordx2 s[6:7], s[0:1], 0x30
	s_load_dwordx2 s[28:29], s[0:1], 0x20
	s_mov_b32 s16, s3
	s_ashr_i32 s17, s3, 31
	s_lshl_b64 s[8:9], s[16:17], 2
	s_waitcnt lgkmcnt(0)
	s_add_u32 s6, s6, s8
	s_addc_u32 s7, s7, s9
	s_abs_i32 s3, s28
	v_cvt_f32_u32_e32 v1, s3
	s_sub_i32 s10, 0, s3
	s_abs_i32 s9, s5
	s_xor_b32 s8, s5, s28
	v_rcp_iflag_f32_e32 v1, v1
	s_ashr_i32 s8, s8, 31
	s_mov_b32 s28, 0
	v_mul_f32_e32 v1, 0x4f7ffffe, v1
	v_cvt_u32_f32_e32 v1, v1
	s_nop 0
	v_readfirstlane_b32 s11, v1
	s_mul_i32 s10, s10, s11
	s_mul_hi_u32 s10, s11, s10
	s_add_i32 s11, s11, s10
	s_mul_hi_u32 s10, s9, s11
	s_mul_i32 s11, s10, s3
	s_sub_i32 s9, s9, s11
	s_add_i32 s11, s10, 1
	s_sub_i32 s12, s9, s3
	s_cmp_ge_u32 s9, s3
	s_cselect_b32 s10, s11, s10
	s_cselect_b32 s9, s12, s9
	s_add_i32 s11, s10, 1
	s_cmp_ge_u32 s9, s3
	s_cselect_b32 s3, s11, s10
	s_xor_b32 s3, s3, s8
	s_sub_i32 s18, s3, s8
	s_abs_i32 s10, s18
	v_cvt_f32_u32_e32 v1, s10
	s_load_dwordx2 s[8:9], s[0:1], 0x40
	s_sub_i32 s3, 0, s10
	s_abs_i32 s11, s2
	v_rcp_iflag_f32_e32 v1, v1
	s_nop 0
	v_mul_f32_e32 v1, 0x4f7ffffe, v1
	v_cvt_u32_f32_e32 v1, v1
	s_nop 0
	v_readfirstlane_b32 s12, v1
	s_mul_i32 s3, s3, s12
	s_mul_hi_u32 s3, s12, s3
	s_add_i32 s12, s12, s3
	s_waitcnt lgkmcnt(0)
	s_cmp_eq_u64 s[8:9], 0
	s_mul_hi_u32 s17, s11, s12
	s_cbranch_scc1 .LBB320_2
; %bb.1:
	s_ashr_i32 s3, s2, 31
	s_lshl_b64 s[12:13], s[2:3], 2
	s_add_u32 s8, s8, s12
	s_addc_u32 s9, s9, s13
	s_load_dword s28, s[8:9], 0x0
.LBB320_2:
	s_load_dword s33, s[6:7], 0x0
	s_load_dwordx4 s[12:15], s[0:1], 0x48
	s_ashr_i32 s6, s2, 31
	s_ashr_i32 s7, s18, 31
	v_and_b32_e32 v6, 3, v0
	s_mul_i32 s18, s2, 0x70
	v_cmp_gt_u32_e32 vcc, 56, v0
	s_and_saveexec_b64 s[2:3], vcc
	s_cbranch_execz .LBB320_4
; %bb.3:
	s_load_dwordx2 s[8:9], s[0:1], 0x8
	s_waitcnt lgkmcnt(0)
	s_mul_i32 s20, s16, s12
	s_ashr_i32 s21, s20, 31
	s_lshl_b64 s[20:21], s[20:21], 1
	v_lshlrev_b32_e32 v1, 2, v0
	s_add_u32 s12, s8, s20
	s_addc_u32 s15, s9, s21
	s_ashr_i32 s19, s18, 31
	s_lshl_b64 s[8:9], s[18:19], 1
	s_add_u32 s8, s12, s8
	s_addc_u32 s9, s15, s9
	global_load_dword v1, v1, s[8:9]
	v_and_b32_e32 v2, 0x3fc, v0
	v_mad_u32_u24 v2, v6, 56, v2
	s_waitcnt vmcnt(0)
	ds_write_b32 v2, v1
.LBB320_4:
	s_or_b64 exec, exec, s[2:3]
	s_waitcnt lgkmcnt(0)
	s_add_i32 s3, s33, 15
	s_ashr_i32 s8, s3, 31
	s_lshr_b32 s8, s8, 28
	s_add_i32 s3, s3, s8
	s_ashr_i32 s19, s3, 4
	s_xor_b32 s3, s6, s7
	s_mul_i32 s6, s17, s10
	s_sub_i32 s6, s11, s6
	s_add_i32 s7, s17, 1
	s_sub_i32 s8, s6, s10
	s_load_dwordx2 s[22:23], s[0:1], 0x28
	s_load_dword s2, s[0:1], 0x38
	s_cmp_ge_u32 s6, s10
	s_cselect_b32 s7, s7, s17
	s_cselect_b32 s6, s8, s6
	s_add_i32 s8, s7, 1
	s_cmp_ge_u32 s6, s10
	s_cselect_b32 s6, s8, s7
	v_lshrrev_b32_e32 v1, 6, v0
	s_xor_b32 s6, s6, s3
	s_waitcnt lgkmcnt(0)
	s_mul_i32 s24, s16, s2
	s_sub_i32 s12, s6, s3
	s_ashr_i32 s25, s24, 31
	v_cmp_gt_i32_e64 s[6:7], s19, v1
	v_cmp_le_i32_e32 vcc, s19, v1
	v_mbcnt_lo_u32_b32 v7, -1, 0
	s_barrier
	s_waitcnt lgkmcnt(0)
                                        ; implicit-def: $sgpr15
                                        ; implicit-def: $vgpr10
                                        ; implicit-def: $vgpr11
	s_and_saveexec_b64 s[2:3], vcc
	s_xor_b64 s[2:3], exec, s[2:3]
; %bb.5:
	v_mbcnt_hi_u32_b32 v10, -1, v7
	v_and_b32_e32 v2, 64, v10
	v_add_u32_e32 v11, 64, v2
	s_mov_b32 s15, 0xff7fffff
                                        ; implicit-def: $vgpr6
                                        ; implicit-def: $vgpr7
; %bb.6:
	s_or_saveexec_b64 s[30:31], s[2:3]
	s_load_dwordx2 s[20:21], s[0:1], 0x0
	s_load_dwordx2 s[26:27], s[0:1], 0x18
	s_load_dword s17, s[0:1], 0x88
	s_load_dwordx4 s[8:11], s[0:1], 0x58
	v_mov_b32_e32 v41, s15
	s_mul_i32 s12, s12, s14
	v_lshrrev_b32_e32 v18, 4, v0
	s_xor_b64 exec, exec, s[30:31]
	s_cbranch_execz .LBB320_124
; %bb.7:
	v_mul_u32_u24_e32 v30, 56, v6
	ds_read2_b64 v[8:11], v30 offset1:1
	ds_read2_b64 v[26:29], v30 offset0:2 offset1:3
	s_load_dwordx2 s[0:1], s[0:1], 0x10
	s_ashr_i32 s2, s12, 31
	v_bfe_u32 v45, v0, 2, 4
	s_waitcnt lgkmcnt(0)
	v_lshlrev_b32_e32 v12, 16, v8
	v_and_b32_e32 v13, 0xffff0000, v8
	v_lshlrev_b32_e32 v14, 16, v9
	v_and_b32_e32 v15, 0xffff0000, v9
	v_lshlrev_b32_e32 v16, 16, v10
	v_and_b32_e32 v17, 0xffff0000, v10
	v_lshlrev_b32_e32 v19, 16, v11
	v_and_b32_e32 v20, 0xffff0000, v11
	ds_read2_b64 v[8:11], v30 offset0:4 offset1:5
	ds_read_b64 v[40:41], v30 offset:48
	s_add_u32 s0, s0, s12
	v_lshlrev_b32_e32 v2, 4, v45
	s_addc_u32 s1, s1, s2
	s_waitcnt lgkmcnt(1)
	v_lshlrev_b32_e32 v33, 16, v10
	v_and_b32_e32 v34, 0xffff0000, v10
	v_mbcnt_hi_u32_b32 v10, -1, v7
	v_and_b32_e32 v7, 64, v10
	v_lshlrev_b32_e32 v35, 16, v11
	v_and_b32_e32 v36, 0xffff0000, v11
	v_add_u32_e32 v11, 64, v7
	v_xor_b32_e32 v7, 2, v10
	v_cmp_lt_i32_e32 vcc, v7, v11
	v_mov_b32_e32 v3, 0
	s_load_dword s35, s[8:9], 0x0
	v_cndmask_b32_e32 v7, v10, v7, vcc
	v_lshlrev_b32_e32 v42, 2, v7
	v_xor_b32_e32 v7, 1, v10
	v_cmp_lt_i32_e32 vcc, v7, v11
	v_lshl_add_u64 v[4:5], s[0:1], 0, v[2:3]
	v_lshlrev_b32_e32 v2, 1, v6
	v_cndmask_b32_e32 v7, v10, v7, vcc
	v_cmp_eq_u32_e32 vcc, 0, v6
	s_sub_i32 s36, 1, s33
	v_lshlrev_b32_e32 v6, 2, v45
	s_lshl_b64 s[0:1], s[24:25], 2
	v_lshl_or_b32 v6, v1, 6, v6
	s_add_u32 s0, s22, s0
	v_lshlrev_b32_e32 v43, 2, v7
	v_lshl_or_b32 v44, v1, 4, v45
	v_add_u32_e32 v45, 0xf0, v6
	v_and_b32_e32 v6, 60, v18
	v_mov_b32_e32 v7, v3
	s_addc_u32 s1, s23, s1
	s_mov_b32 s34, s13
	v_lshlrev_b32_e32 v21, 16, v26
	v_and_b32_e32 v22, 0xffff0000, v26
	v_lshlrev_b32_e32 v23, 16, v27
	v_and_b32_e32 v24, 0xffff0000, v27
	;; [unrolled: 2-line block ×6, first 2 shown]
	s_waitcnt lgkmcnt(0)
	v_lshlrev_b32_e32 v37, 16, v40
	v_and_b32_e32 v38, 0xffff0000, v40
	v_lshlrev_b32_e32 v39, 16, v41
	v_and_b32_e32 v40, 0xffff0000, v41
	v_cmp_neq_f32_e64 s[2:3], s28, 0
	v_lshl_add_u64 v[6:7], s[0:1], 0, v[6:7]
	s_mov_b64 s[8:9], 0
	v_mov_b32_e32 v41, 0xff7fffff
	s_mov_b32 s37, 0xffff
	s_mov_b32 s38, 0x7f800000
	s_movk_i32 s39, 0x7fff
	v_mov_b32_e32 v46, v1
	s_branch .LBB320_9
.LBB320_8:                              ;   in Loop: Header=BB320_9 Depth=1
	s_or_b64 exec, exec, s[14:15]
	v_add_u32_e32 v46, 2, v46
	v_cmp_le_i32_e64 s[0:1], s19, v46
	v_add_u32_e32 v44, 32, v44
	v_add_u32_e32 v45, 0x80, v45
	s_or_b64 s[8:9], s[0:1], s[8:9]
	v_lshl_add_u64 v[6:7], v[6:7], 0, 8
	s_andn2_b64 exec, exec, s[8:9]
	s_cbranch_execz .LBB320_123
.LBB320_9:                              ; =>This Inner Loop Header: Depth=1
	global_load_dword v8, v[6:7], off
	s_waitcnt vmcnt(0) lgkmcnt(0)
	v_mad_i64_i32 v[8:9], s[0:1], v8, s34, v[4:5]
	v_lshl_add_u64 v[8:9], v[8:9], 0, v[2:3]
	global_load_ushort v48, v[8:9], off
	s_waitcnt vmcnt(0)
	v_and_b32_sdwa v47, s37, v48 dst_sel:DWORD dst_unused:UNUSED_PAD src0_sel:DWORD src1_sel:BYTE_0
	v_cvt_f32_fp8_sdwa v47, v47 src0_sel:BYTE_0
	s_nop 0
	v_mul_f32_e32 v49, s35, v47
	v_and_b32_e32 v47, 0x7f800000, v49
	v_cmp_ne_u32_e64 s[0:1], s38, v47
                                        ; implicit-def: $vgpr47
	s_and_saveexec_b64 s[14:15], s[0:1]
	s_xor_b64 s[0:1], exec, s[14:15]
; %bb.10:                               ;   in Loop: Header=BB320_9 Depth=1
	v_bfe_u32 v47, v49, 16, 1
	v_add3_u32 v47, v49, v47, s39
                                        ; implicit-def: $vgpr49
; %bb.11:                               ;   in Loop: Header=BB320_9 Depth=1
	s_andn2_saveexec_b64 s[14:15], s[0:1]
; %bb.12:                               ;   in Loop: Header=BB320_9 Depth=1
	v_or_b32_e32 v47, 0x10000, v49
	v_cmp_eq_u32_sdwa s[0:1], v49, v3 src0_sel:WORD_0 src1_sel:DWORD
	s_nop 1
	v_cndmask_b32_e64 v47, v47, v49, s[0:1]
; %bb.13:                               ;   in Loop: Header=BB320_9 Depth=1
	s_or_b64 exec, exec, s[14:15]
	v_lshrrev_b16_e32 v48, 8, v48
	v_cvt_f32_fp8_sdwa v48, v48 src0_sel:BYTE_0
	s_nop 0
	v_mul_f32_e32 v49, s35, v48
	v_and_b32_e32 v48, 0x7f800000, v49
	v_cmp_ne_u32_e64 s[0:1], s38, v48
                                        ; implicit-def: $vgpr48
	s_and_saveexec_b64 s[14:15], s[0:1]
	s_xor_b64 s[0:1], exec, s[14:15]
; %bb.14:                               ;   in Loop: Header=BB320_9 Depth=1
	v_bfe_u32 v48, v49, 16, 1
	v_add3_u32 v48, v49, v48, s39
                                        ; implicit-def: $vgpr49
; %bb.15:                               ;   in Loop: Header=BB320_9 Depth=1
	s_andn2_saveexec_b64 s[14:15], s[0:1]
; %bb.16:                               ;   in Loop: Header=BB320_9 Depth=1
	v_or_b32_e32 v48, 0x10000, v49
	v_cmp_eq_u32_sdwa s[0:1], v49, v3 src0_sel:WORD_0 src1_sel:DWORD
	s_nop 1
	v_cndmask_b32_e64 v48, v48, v49, s[0:1]
; %bb.17:                               ;   in Loop: Header=BB320_9 Depth=1
	s_or_b64 exec, exec, s[14:15]
	global_load_ushort v50, v[8:9], off offset:8
	s_waitcnt vmcnt(0)
	v_and_b32_sdwa v49, s37, v50 dst_sel:DWORD dst_unused:UNUSED_PAD src0_sel:DWORD src1_sel:BYTE_0
	v_cvt_f32_fp8_sdwa v49, v49 src0_sel:BYTE_0
	s_nop 0
	v_mul_f32_e32 v51, s35, v49
	v_and_b32_e32 v49, 0x7f800000, v51
	v_cmp_ne_u32_e64 s[0:1], s38, v49
                                        ; implicit-def: $vgpr49
	s_and_saveexec_b64 s[14:15], s[0:1]
	s_xor_b64 s[0:1], exec, s[14:15]
; %bb.18:                               ;   in Loop: Header=BB320_9 Depth=1
	v_bfe_u32 v49, v51, 16, 1
	v_add3_u32 v49, v51, v49, s39
                                        ; implicit-def: $vgpr51
; %bb.19:                               ;   in Loop: Header=BB320_9 Depth=1
	s_andn2_saveexec_b64 s[14:15], s[0:1]
; %bb.20:                               ;   in Loop: Header=BB320_9 Depth=1
	v_or_b32_e32 v49, 0x10000, v51
	v_cmp_eq_u32_sdwa s[0:1], v51, v3 src0_sel:WORD_0 src1_sel:DWORD
	s_nop 1
	v_cndmask_b32_e64 v49, v49, v51, s[0:1]
; %bb.21:                               ;   in Loop: Header=BB320_9 Depth=1
	s_or_b64 exec, exec, s[14:15]
	v_lshrrev_b16_e32 v50, 8, v50
	v_cvt_f32_fp8_sdwa v50, v50 src0_sel:BYTE_0
	s_nop 0
	v_mul_f32_e32 v51, s35, v50
	v_and_b32_e32 v50, 0x7f800000, v51
	v_cmp_ne_u32_e64 s[0:1], s38, v50
                                        ; implicit-def: $vgpr50
	s_and_saveexec_b64 s[14:15], s[0:1]
	s_xor_b64 s[0:1], exec, s[14:15]
; %bb.22:                               ;   in Loop: Header=BB320_9 Depth=1
	v_bfe_u32 v50, v51, 16, 1
	v_add3_u32 v50, v51, v50, s39
                                        ; implicit-def: $vgpr51
; %bb.23:                               ;   in Loop: Header=BB320_9 Depth=1
	s_andn2_saveexec_b64 s[14:15], s[0:1]
; %bb.24:                               ;   in Loop: Header=BB320_9 Depth=1
	v_or_b32_e32 v50, 0x10000, v51
	v_cmp_eq_u32_sdwa s[0:1], v51, v3 src0_sel:WORD_0 src1_sel:DWORD
	s_nop 1
	v_cndmask_b32_e64 v50, v50, v51, s[0:1]
; %bb.25:                               ;   in Loop: Header=BB320_9 Depth=1
	s_or_b64 exec, exec, s[14:15]
	global_load_ushort v52, v[8:9], off offset:256
	s_waitcnt vmcnt(0)
	v_and_b32_sdwa v51, s37, v52 dst_sel:DWORD dst_unused:UNUSED_PAD src0_sel:DWORD src1_sel:BYTE_0
	v_cvt_f32_fp8_sdwa v51, v51 src0_sel:BYTE_0
	s_nop 0
	v_mul_f32_e32 v53, s35, v51
	v_and_b32_e32 v51, 0x7f800000, v53
	v_cmp_ne_u32_e64 s[0:1], s38, v51
                                        ; implicit-def: $vgpr51
	s_and_saveexec_b64 s[14:15], s[0:1]
	s_xor_b64 s[0:1], exec, s[14:15]
; %bb.26:                               ;   in Loop: Header=BB320_9 Depth=1
	v_bfe_u32 v51, v53, 16, 1
	v_add3_u32 v51, v53, v51, s39
                                        ; implicit-def: $vgpr53
; %bb.27:                               ;   in Loop: Header=BB320_9 Depth=1
	s_andn2_saveexec_b64 s[14:15], s[0:1]
; %bb.28:                               ;   in Loop: Header=BB320_9 Depth=1
	v_or_b32_e32 v51, 0x10000, v53
	v_cmp_eq_u32_sdwa s[0:1], v53, v3 src0_sel:WORD_0 src1_sel:DWORD
	s_nop 1
	v_cndmask_b32_e64 v51, v51, v53, s[0:1]
; %bb.29:                               ;   in Loop: Header=BB320_9 Depth=1
	s_or_b64 exec, exec, s[14:15]
	v_lshrrev_b16_e32 v52, 8, v52
	v_cvt_f32_fp8_sdwa v52, v52 src0_sel:BYTE_0
	s_nop 0
	v_mul_f32_e32 v53, s35, v52
	v_and_b32_e32 v52, 0x7f800000, v53
	v_cmp_ne_u32_e64 s[0:1], s38, v52
                                        ; implicit-def: $vgpr52
	s_and_saveexec_b64 s[14:15], s[0:1]
	s_xor_b64 s[0:1], exec, s[14:15]
; %bb.30:                               ;   in Loop: Header=BB320_9 Depth=1
	v_bfe_u32 v52, v53, 16, 1
	v_add3_u32 v52, v53, v52, s39
                                        ; implicit-def: $vgpr53
; %bb.31:                               ;   in Loop: Header=BB320_9 Depth=1
	s_andn2_saveexec_b64 s[14:15], s[0:1]
; %bb.32:                               ;   in Loop: Header=BB320_9 Depth=1
	v_or_b32_e32 v52, 0x10000, v53
	v_cmp_eq_u32_sdwa s[0:1], v53, v3 src0_sel:WORD_0 src1_sel:DWORD
	s_nop 1
	v_cndmask_b32_e64 v52, v52, v53, s[0:1]
; %bb.33:                               ;   in Loop: Header=BB320_9 Depth=1
	s_or_b64 exec, exec, s[14:15]
	global_load_ushort v54, v[8:9], off offset:264
	s_waitcnt vmcnt(0)
	v_and_b32_sdwa v53, s37, v54 dst_sel:DWORD dst_unused:UNUSED_PAD src0_sel:DWORD src1_sel:BYTE_0
	v_cvt_f32_fp8_sdwa v53, v53 src0_sel:BYTE_0
	s_nop 0
	v_mul_f32_e32 v55, s35, v53
	v_and_b32_e32 v53, 0x7f800000, v55
	v_cmp_ne_u32_e64 s[0:1], s38, v53
                                        ; implicit-def: $vgpr53
	s_and_saveexec_b64 s[14:15], s[0:1]
	s_xor_b64 s[0:1], exec, s[14:15]
; %bb.34:                               ;   in Loop: Header=BB320_9 Depth=1
	v_bfe_u32 v53, v55, 16, 1
	v_add3_u32 v53, v55, v53, s39
                                        ; implicit-def: $vgpr55
; %bb.35:                               ;   in Loop: Header=BB320_9 Depth=1
	s_andn2_saveexec_b64 s[14:15], s[0:1]
; %bb.36:                               ;   in Loop: Header=BB320_9 Depth=1
	v_or_b32_e32 v53, 0x10000, v55
	v_cmp_eq_u32_sdwa s[0:1], v55, v3 src0_sel:WORD_0 src1_sel:DWORD
	s_nop 1
	v_cndmask_b32_e64 v53, v53, v55, s[0:1]
; %bb.37:                               ;   in Loop: Header=BB320_9 Depth=1
	s_or_b64 exec, exec, s[14:15]
	v_lshrrev_b16_e32 v54, 8, v54
	v_cvt_f32_fp8_sdwa v54, v54 src0_sel:BYTE_0
	s_nop 0
	v_mul_f32_e32 v55, s35, v54
	v_and_b32_e32 v54, 0x7f800000, v55
	v_cmp_ne_u32_e64 s[0:1], s38, v54
                                        ; implicit-def: $vgpr54
	s_and_saveexec_b64 s[14:15], s[0:1]
	s_xor_b64 s[0:1], exec, s[14:15]
; %bb.38:                               ;   in Loop: Header=BB320_9 Depth=1
	v_bfe_u32 v54, v55, 16, 1
	v_add3_u32 v54, v55, v54, s39
                                        ; implicit-def: $vgpr55
; %bb.39:                               ;   in Loop: Header=BB320_9 Depth=1
	s_andn2_saveexec_b64 s[14:15], s[0:1]
; %bb.40:                               ;   in Loop: Header=BB320_9 Depth=1
	v_or_b32_e32 v54, 0x10000, v55
	v_cmp_eq_u32_sdwa s[0:1], v55, v3 src0_sel:WORD_0 src1_sel:DWORD
	s_nop 1
	v_cndmask_b32_e64 v54, v54, v55, s[0:1]
; %bb.41:                               ;   in Loop: Header=BB320_9 Depth=1
	s_or_b64 exec, exec, s[14:15]
	global_load_ushort v56, v[8:9], off offset:512
	s_waitcnt vmcnt(0)
	v_and_b32_sdwa v55, s37, v56 dst_sel:DWORD dst_unused:UNUSED_PAD src0_sel:DWORD src1_sel:BYTE_0
	v_cvt_f32_fp8_sdwa v55, v55 src0_sel:BYTE_0
	s_nop 0
	v_mul_f32_e32 v57, s35, v55
	v_and_b32_e32 v55, 0x7f800000, v57
	v_cmp_ne_u32_e64 s[0:1], s38, v55
                                        ; implicit-def: $vgpr55
	s_and_saveexec_b64 s[14:15], s[0:1]
	s_xor_b64 s[0:1], exec, s[14:15]
; %bb.42:                               ;   in Loop: Header=BB320_9 Depth=1
	v_bfe_u32 v55, v57, 16, 1
	v_add3_u32 v55, v57, v55, s39
                                        ; implicit-def: $vgpr57
; %bb.43:                               ;   in Loop: Header=BB320_9 Depth=1
	s_andn2_saveexec_b64 s[14:15], s[0:1]
; %bb.44:                               ;   in Loop: Header=BB320_9 Depth=1
	v_or_b32_e32 v55, 0x10000, v57
	v_cmp_eq_u32_sdwa s[0:1], v57, v3 src0_sel:WORD_0 src1_sel:DWORD
	s_nop 1
	v_cndmask_b32_e64 v55, v55, v57, s[0:1]
; %bb.45:                               ;   in Loop: Header=BB320_9 Depth=1
	s_or_b64 exec, exec, s[14:15]
	v_lshrrev_b16_e32 v56, 8, v56
	v_cvt_f32_fp8_sdwa v56, v56 src0_sel:BYTE_0
	s_nop 0
	v_mul_f32_e32 v57, s35, v56
	v_and_b32_e32 v56, 0x7f800000, v57
	v_cmp_ne_u32_e64 s[0:1], s38, v56
                                        ; implicit-def: $vgpr56
	s_and_saveexec_b64 s[14:15], s[0:1]
	s_xor_b64 s[0:1], exec, s[14:15]
; %bb.46:                               ;   in Loop: Header=BB320_9 Depth=1
	v_bfe_u32 v56, v57, 16, 1
	v_add3_u32 v56, v57, v56, s39
                                        ; implicit-def: $vgpr57
; %bb.47:                               ;   in Loop: Header=BB320_9 Depth=1
	s_andn2_saveexec_b64 s[14:15], s[0:1]
; %bb.48:                               ;   in Loop: Header=BB320_9 Depth=1
	v_or_b32_e32 v56, 0x10000, v57
	v_cmp_eq_u32_sdwa s[0:1], v57, v3 src0_sel:WORD_0 src1_sel:DWORD
	s_nop 1
	v_cndmask_b32_e64 v56, v56, v57, s[0:1]
; %bb.49:                               ;   in Loop: Header=BB320_9 Depth=1
	s_or_b64 exec, exec, s[14:15]
	global_load_ushort v58, v[8:9], off offset:520
	s_waitcnt vmcnt(0)
	v_and_b32_sdwa v57, s37, v58 dst_sel:DWORD dst_unused:UNUSED_PAD src0_sel:DWORD src1_sel:BYTE_0
	v_cvt_f32_fp8_sdwa v57, v57 src0_sel:BYTE_0
	s_nop 0
	v_mul_f32_e32 v59, s35, v57
	v_and_b32_e32 v57, 0x7f800000, v59
	v_cmp_ne_u32_e64 s[0:1], s38, v57
                                        ; implicit-def: $vgpr57
	s_and_saveexec_b64 s[14:15], s[0:1]
	s_xor_b64 s[0:1], exec, s[14:15]
; %bb.50:                               ;   in Loop: Header=BB320_9 Depth=1
	v_bfe_u32 v57, v59, 16, 1
	v_add3_u32 v57, v59, v57, s39
                                        ; implicit-def: $vgpr59
; %bb.51:                               ;   in Loop: Header=BB320_9 Depth=1
	s_andn2_saveexec_b64 s[14:15], s[0:1]
; %bb.52:                               ;   in Loop: Header=BB320_9 Depth=1
	v_or_b32_e32 v57, 0x10000, v59
	v_cmp_eq_u32_sdwa s[0:1], v59, v3 src0_sel:WORD_0 src1_sel:DWORD
	s_nop 1
	v_cndmask_b32_e64 v57, v57, v59, s[0:1]
; %bb.53:                               ;   in Loop: Header=BB320_9 Depth=1
	s_or_b64 exec, exec, s[14:15]
	v_lshrrev_b16_e32 v58, 8, v58
	v_cvt_f32_fp8_sdwa v58, v58 src0_sel:BYTE_0
	s_nop 0
	v_mul_f32_e32 v59, s35, v58
	v_and_b32_e32 v58, 0x7f800000, v59
	v_cmp_ne_u32_e64 s[0:1], s38, v58
                                        ; implicit-def: $vgpr58
	s_and_saveexec_b64 s[14:15], s[0:1]
	s_xor_b64 s[0:1], exec, s[14:15]
; %bb.54:                               ;   in Loop: Header=BB320_9 Depth=1
	v_bfe_u32 v58, v59, 16, 1
	v_add3_u32 v58, v59, v58, s39
                                        ; implicit-def: $vgpr59
; %bb.55:                               ;   in Loop: Header=BB320_9 Depth=1
	s_andn2_saveexec_b64 s[14:15], s[0:1]
; %bb.56:                               ;   in Loop: Header=BB320_9 Depth=1
	v_or_b32_e32 v58, 0x10000, v59
	v_cmp_eq_u32_sdwa s[0:1], v59, v3 src0_sel:WORD_0 src1_sel:DWORD
	s_nop 1
	v_cndmask_b32_e64 v58, v58, v59, s[0:1]
; %bb.57:                               ;   in Loop: Header=BB320_9 Depth=1
	s_or_b64 exec, exec, s[14:15]
	global_load_ushort v60, v[8:9], off offset:768
	s_waitcnt vmcnt(0)
	v_and_b32_sdwa v59, s37, v60 dst_sel:DWORD dst_unused:UNUSED_PAD src0_sel:DWORD src1_sel:BYTE_0
	v_cvt_f32_fp8_sdwa v59, v59 src0_sel:BYTE_0
	s_nop 0
	v_mul_f32_e32 v61, s35, v59
	v_and_b32_e32 v59, 0x7f800000, v61
	v_cmp_ne_u32_e64 s[0:1], s38, v59
                                        ; implicit-def: $vgpr59
	s_and_saveexec_b64 s[14:15], s[0:1]
	s_xor_b64 s[0:1], exec, s[14:15]
; %bb.58:                               ;   in Loop: Header=BB320_9 Depth=1
	v_bfe_u32 v59, v61, 16, 1
	v_add3_u32 v59, v61, v59, s39
                                        ; implicit-def: $vgpr61
; %bb.59:                               ;   in Loop: Header=BB320_9 Depth=1
	s_andn2_saveexec_b64 s[14:15], s[0:1]
; %bb.60:                               ;   in Loop: Header=BB320_9 Depth=1
	v_or_b32_e32 v59, 0x10000, v61
	v_cmp_eq_u32_sdwa s[0:1], v61, v3 src0_sel:WORD_0 src1_sel:DWORD
	s_nop 1
	v_cndmask_b32_e64 v59, v59, v61, s[0:1]
; %bb.61:                               ;   in Loop: Header=BB320_9 Depth=1
	s_or_b64 exec, exec, s[14:15]
	v_lshrrev_b16_e32 v60, 8, v60
	v_cvt_f32_fp8_sdwa v60, v60 src0_sel:BYTE_0
	s_nop 0
	v_mul_f32_e32 v61, s35, v60
	v_and_b32_e32 v60, 0x7f800000, v61
	v_cmp_ne_u32_e64 s[0:1], s38, v60
                                        ; implicit-def: $vgpr60
	s_and_saveexec_b64 s[14:15], s[0:1]
	s_xor_b64 s[0:1], exec, s[14:15]
; %bb.62:                               ;   in Loop: Header=BB320_9 Depth=1
	v_bfe_u32 v60, v61, 16, 1
	v_add3_u32 v60, v61, v60, s39
                                        ; implicit-def: $vgpr61
; %bb.63:                               ;   in Loop: Header=BB320_9 Depth=1
	s_andn2_saveexec_b64 s[14:15], s[0:1]
; %bb.64:                               ;   in Loop: Header=BB320_9 Depth=1
	v_or_b32_e32 v60, 0x10000, v61
	v_cmp_eq_u32_sdwa s[0:1], v61, v3 src0_sel:WORD_0 src1_sel:DWORD
	s_nop 1
	v_cndmask_b32_e64 v60, v60, v61, s[0:1]
; %bb.65:                               ;   in Loop: Header=BB320_9 Depth=1
	s_or_b64 exec, exec, s[14:15]
	global_load_ushort v62, v[8:9], off offset:776
	s_waitcnt vmcnt(0)
	v_and_b32_sdwa v61, s37, v62 dst_sel:DWORD dst_unused:UNUSED_PAD src0_sel:DWORD src1_sel:BYTE_0
	v_cvt_f32_fp8_sdwa v61, v61 src0_sel:BYTE_0
	s_nop 0
	v_mul_f32_e32 v63, s35, v61
	v_and_b32_e32 v61, 0x7f800000, v63
	v_cmp_ne_u32_e64 s[0:1], s38, v61
                                        ; implicit-def: $vgpr61
	s_and_saveexec_b64 s[14:15], s[0:1]
	s_xor_b64 s[0:1], exec, s[14:15]
; %bb.66:                               ;   in Loop: Header=BB320_9 Depth=1
	v_bfe_u32 v61, v63, 16, 1
	v_add3_u32 v61, v63, v61, s39
                                        ; implicit-def: $vgpr63
; %bb.67:                               ;   in Loop: Header=BB320_9 Depth=1
	s_andn2_saveexec_b64 s[14:15], s[0:1]
; %bb.68:                               ;   in Loop: Header=BB320_9 Depth=1
	v_or_b32_e32 v61, 0x10000, v63
	v_cmp_eq_u32_sdwa s[0:1], v63, v3 src0_sel:WORD_0 src1_sel:DWORD
	s_nop 1
	v_cndmask_b32_e64 v61, v61, v63, s[0:1]
; %bb.69:                               ;   in Loop: Header=BB320_9 Depth=1
	s_or_b64 exec, exec, s[14:15]
	v_lshrrev_b16_e32 v62, 8, v62
	v_cvt_f32_fp8_sdwa v62, v62 src0_sel:BYTE_0
	s_nop 0
	v_mul_f32_e32 v63, s35, v62
	v_and_b32_e32 v62, 0x7f800000, v63
	v_cmp_ne_u32_e64 s[0:1], s38, v62
                                        ; implicit-def: $vgpr62
	s_and_saveexec_b64 s[14:15], s[0:1]
	s_xor_b64 s[0:1], exec, s[14:15]
; %bb.70:                               ;   in Loop: Header=BB320_9 Depth=1
	v_bfe_u32 v62, v63, 16, 1
	v_add3_u32 v62, v63, v62, s39
                                        ; implicit-def: $vgpr63
; %bb.71:                               ;   in Loop: Header=BB320_9 Depth=1
	s_andn2_saveexec_b64 s[14:15], s[0:1]
; %bb.72:                               ;   in Loop: Header=BB320_9 Depth=1
	v_or_b32_e32 v62, 0x10000, v63
	v_cmp_eq_u32_sdwa s[0:1], v63, v3 src0_sel:WORD_0 src1_sel:DWORD
	s_nop 1
	v_cndmask_b32_e64 v62, v62, v63, s[0:1]
; %bb.73:                               ;   in Loop: Header=BB320_9 Depth=1
	s_or_b64 exec, exec, s[14:15]
	global_load_ushort v64, v[8:9], off offset:1024
	s_waitcnt vmcnt(0)
	v_and_b32_sdwa v63, s37, v64 dst_sel:DWORD dst_unused:UNUSED_PAD src0_sel:DWORD src1_sel:BYTE_0
	v_cvt_f32_fp8_sdwa v63, v63 src0_sel:BYTE_0
	s_nop 0
	v_mul_f32_e32 v65, s35, v63
	v_and_b32_e32 v63, 0x7f800000, v65
	v_cmp_ne_u32_e64 s[0:1], s38, v63
                                        ; implicit-def: $vgpr63
	s_and_saveexec_b64 s[14:15], s[0:1]
	s_xor_b64 s[0:1], exec, s[14:15]
; %bb.74:                               ;   in Loop: Header=BB320_9 Depth=1
	v_bfe_u32 v63, v65, 16, 1
	v_add3_u32 v63, v65, v63, s39
                                        ; implicit-def: $vgpr65
; %bb.75:                               ;   in Loop: Header=BB320_9 Depth=1
	s_andn2_saveexec_b64 s[14:15], s[0:1]
; %bb.76:                               ;   in Loop: Header=BB320_9 Depth=1
	v_or_b32_e32 v63, 0x10000, v65
	v_cmp_eq_u32_sdwa s[0:1], v65, v3 src0_sel:WORD_0 src1_sel:DWORD
	s_nop 1
	v_cndmask_b32_e64 v63, v63, v65, s[0:1]
; %bb.77:                               ;   in Loop: Header=BB320_9 Depth=1
	s_or_b64 exec, exec, s[14:15]
	v_lshrrev_b16_e32 v64, 8, v64
	v_cvt_f32_fp8_sdwa v64, v64 src0_sel:BYTE_0
	s_nop 0
	v_mul_f32_e32 v65, s35, v64
	v_and_b32_e32 v64, 0x7f800000, v65
	v_cmp_ne_u32_e64 s[0:1], s38, v64
                                        ; implicit-def: $vgpr64
	s_and_saveexec_b64 s[14:15], s[0:1]
	s_xor_b64 s[0:1], exec, s[14:15]
; %bb.78:                               ;   in Loop: Header=BB320_9 Depth=1
	v_bfe_u32 v64, v65, 16, 1
	v_add3_u32 v64, v65, v64, s39
                                        ; implicit-def: $vgpr65
; %bb.79:                               ;   in Loop: Header=BB320_9 Depth=1
	s_andn2_saveexec_b64 s[14:15], s[0:1]
; %bb.80:                               ;   in Loop: Header=BB320_9 Depth=1
	v_or_b32_e32 v64, 0x10000, v65
	v_cmp_eq_u32_sdwa s[0:1], v65, v3 src0_sel:WORD_0 src1_sel:DWORD
	s_nop 1
	v_cndmask_b32_e64 v64, v64, v65, s[0:1]
; %bb.81:                               ;   in Loop: Header=BB320_9 Depth=1
	s_or_b64 exec, exec, s[14:15]
	global_load_ushort v66, v[8:9], off offset:1032
	s_waitcnt vmcnt(0)
	v_and_b32_sdwa v65, s37, v66 dst_sel:DWORD dst_unused:UNUSED_PAD src0_sel:DWORD src1_sel:BYTE_0
	v_cvt_f32_fp8_sdwa v65, v65 src0_sel:BYTE_0
	s_nop 0
	v_mul_f32_e32 v67, s35, v65
	v_and_b32_e32 v65, 0x7f800000, v67
	v_cmp_ne_u32_e64 s[0:1], s38, v65
                                        ; implicit-def: $vgpr65
	s_and_saveexec_b64 s[14:15], s[0:1]
	s_xor_b64 s[0:1], exec, s[14:15]
; %bb.82:                               ;   in Loop: Header=BB320_9 Depth=1
	v_bfe_u32 v65, v67, 16, 1
	v_add3_u32 v65, v67, v65, s39
                                        ; implicit-def: $vgpr67
; %bb.83:                               ;   in Loop: Header=BB320_9 Depth=1
	s_andn2_saveexec_b64 s[14:15], s[0:1]
; %bb.84:                               ;   in Loop: Header=BB320_9 Depth=1
	v_or_b32_e32 v65, 0x10000, v67
	v_cmp_eq_u32_sdwa s[0:1], v67, v3 src0_sel:WORD_0 src1_sel:DWORD
	s_nop 1
	v_cndmask_b32_e64 v65, v65, v67, s[0:1]
; %bb.85:                               ;   in Loop: Header=BB320_9 Depth=1
	s_or_b64 exec, exec, s[14:15]
	v_lshrrev_b16_e32 v66, 8, v66
	v_cvt_f32_fp8_sdwa v66, v66 src0_sel:BYTE_0
	s_nop 0
	v_mul_f32_e32 v67, s35, v66
	v_and_b32_e32 v66, 0x7f800000, v67
	v_cmp_ne_u32_e64 s[0:1], s38, v66
                                        ; implicit-def: $vgpr66
	s_and_saveexec_b64 s[14:15], s[0:1]
	s_xor_b64 s[0:1], exec, s[14:15]
; %bb.86:                               ;   in Loop: Header=BB320_9 Depth=1
	v_bfe_u32 v66, v67, 16, 1
	v_add3_u32 v66, v67, v66, s39
                                        ; implicit-def: $vgpr67
; %bb.87:                               ;   in Loop: Header=BB320_9 Depth=1
	s_andn2_saveexec_b64 s[14:15], s[0:1]
; %bb.88:                               ;   in Loop: Header=BB320_9 Depth=1
	v_or_b32_e32 v66, 0x10000, v67
	v_cmp_eq_u32_sdwa s[0:1], v67, v3 src0_sel:WORD_0 src1_sel:DWORD
	s_nop 1
	v_cndmask_b32_e64 v66, v66, v67, s[0:1]
; %bb.89:                               ;   in Loop: Header=BB320_9 Depth=1
	s_or_b64 exec, exec, s[14:15]
	global_load_ushort v68, v[8:9], off offset:1280
	s_waitcnt vmcnt(0)
	v_and_b32_sdwa v67, s37, v68 dst_sel:DWORD dst_unused:UNUSED_PAD src0_sel:DWORD src1_sel:BYTE_0
	v_cvt_f32_fp8_sdwa v67, v67 src0_sel:BYTE_0
	s_nop 0
	v_mul_f32_e32 v69, s35, v67
	v_and_b32_e32 v67, 0x7f800000, v69
	v_cmp_ne_u32_e64 s[0:1], s38, v67
                                        ; implicit-def: $vgpr67
	s_and_saveexec_b64 s[14:15], s[0:1]
	s_xor_b64 s[0:1], exec, s[14:15]
; %bb.90:                               ;   in Loop: Header=BB320_9 Depth=1
	v_bfe_u32 v67, v69, 16, 1
	v_add3_u32 v67, v69, v67, s39
                                        ; implicit-def: $vgpr69
; %bb.91:                               ;   in Loop: Header=BB320_9 Depth=1
	s_andn2_saveexec_b64 s[14:15], s[0:1]
; %bb.92:                               ;   in Loop: Header=BB320_9 Depth=1
	v_or_b32_e32 v67, 0x10000, v69
	v_cmp_eq_u32_sdwa s[0:1], v69, v3 src0_sel:WORD_0 src1_sel:DWORD
	s_nop 1
	v_cndmask_b32_e64 v67, v67, v69, s[0:1]
; %bb.93:                               ;   in Loop: Header=BB320_9 Depth=1
	s_or_b64 exec, exec, s[14:15]
	v_lshrrev_b16_e32 v68, 8, v68
	v_cvt_f32_fp8_sdwa v68, v68 src0_sel:BYTE_0
	s_nop 0
	v_mul_f32_e32 v69, s35, v68
	v_and_b32_e32 v68, 0x7f800000, v69
	v_cmp_ne_u32_e64 s[0:1], s38, v68
                                        ; implicit-def: $vgpr68
	s_and_saveexec_b64 s[14:15], s[0:1]
	s_xor_b64 s[0:1], exec, s[14:15]
; %bb.94:                               ;   in Loop: Header=BB320_9 Depth=1
	v_bfe_u32 v68, v69, 16, 1
	v_add3_u32 v68, v69, v68, s39
                                        ; implicit-def: $vgpr69
; %bb.95:                               ;   in Loop: Header=BB320_9 Depth=1
	s_andn2_saveexec_b64 s[14:15], s[0:1]
; %bb.96:                               ;   in Loop: Header=BB320_9 Depth=1
	v_or_b32_e32 v68, 0x10000, v69
	v_cmp_eq_u32_sdwa s[0:1], v69, v3 src0_sel:WORD_0 src1_sel:DWORD
	s_nop 1
	v_cndmask_b32_e64 v68, v68, v69, s[0:1]
; %bb.97:                               ;   in Loop: Header=BB320_9 Depth=1
	s_or_b64 exec, exec, s[14:15]
	global_load_ushort v70, v[8:9], off offset:1288
	s_waitcnt vmcnt(0)
	v_and_b32_sdwa v69, s37, v70 dst_sel:DWORD dst_unused:UNUSED_PAD src0_sel:DWORD src1_sel:BYTE_0
	v_cvt_f32_fp8_sdwa v69, v69 src0_sel:BYTE_0
	s_nop 0
	v_mul_f32_e32 v71, s35, v69
	v_and_b32_e32 v69, 0x7f800000, v71
	v_cmp_ne_u32_e64 s[0:1], s38, v69
                                        ; implicit-def: $vgpr69
	s_and_saveexec_b64 s[14:15], s[0:1]
	s_xor_b64 s[0:1], exec, s[14:15]
; %bb.98:                               ;   in Loop: Header=BB320_9 Depth=1
	v_bfe_u32 v69, v71, 16, 1
	v_add3_u32 v69, v71, v69, s39
                                        ; implicit-def: $vgpr71
; %bb.99:                               ;   in Loop: Header=BB320_9 Depth=1
	s_andn2_saveexec_b64 s[14:15], s[0:1]
; %bb.100:                              ;   in Loop: Header=BB320_9 Depth=1
	v_or_b32_e32 v69, 0x10000, v71
	v_cmp_eq_u32_sdwa s[0:1], v71, v3 src0_sel:WORD_0 src1_sel:DWORD
	s_nop 1
	v_cndmask_b32_e64 v69, v69, v71, s[0:1]
; %bb.101:                              ;   in Loop: Header=BB320_9 Depth=1
	s_or_b64 exec, exec, s[14:15]
	v_lshrrev_b16_e32 v70, 8, v70
	v_cvt_f32_fp8_sdwa v70, v70 src0_sel:BYTE_0
	s_nop 0
	v_mul_f32_e32 v71, s35, v70
	v_and_b32_e32 v70, 0x7f800000, v71
	v_cmp_ne_u32_e64 s[0:1], s38, v70
                                        ; implicit-def: $vgpr70
	s_and_saveexec_b64 s[14:15], s[0:1]
	s_xor_b64 s[0:1], exec, s[14:15]
; %bb.102:                              ;   in Loop: Header=BB320_9 Depth=1
	v_bfe_u32 v70, v71, 16, 1
	v_add3_u32 v70, v71, v70, s39
                                        ; implicit-def: $vgpr71
; %bb.103:                              ;   in Loop: Header=BB320_9 Depth=1
	s_andn2_saveexec_b64 s[14:15], s[0:1]
; %bb.104:                              ;   in Loop: Header=BB320_9 Depth=1
	v_or_b32_e32 v70, 0x10000, v71
	v_cmp_eq_u32_sdwa s[0:1], v71, v3 src0_sel:WORD_0 src1_sel:DWORD
	s_nop 1
	v_cndmask_b32_e64 v70, v70, v71, s[0:1]
; %bb.105:                              ;   in Loop: Header=BB320_9 Depth=1
	s_or_b64 exec, exec, s[14:15]
	global_load_ushort v72, v[8:9], off offset:1536
	s_waitcnt vmcnt(0)
	v_and_b32_sdwa v71, s37, v72 dst_sel:DWORD dst_unused:UNUSED_PAD src0_sel:DWORD src1_sel:BYTE_0
	v_cvt_f32_fp8_sdwa v71, v71 src0_sel:BYTE_0
	s_nop 0
	v_mul_f32_e32 v73, s35, v71
	v_and_b32_e32 v71, 0x7f800000, v73
	v_cmp_ne_u32_e64 s[0:1], s38, v71
                                        ; implicit-def: $vgpr71
	s_and_saveexec_b64 s[14:15], s[0:1]
	s_xor_b64 s[0:1], exec, s[14:15]
; %bb.106:                              ;   in Loop: Header=BB320_9 Depth=1
	v_bfe_u32 v71, v73, 16, 1
	v_add3_u32 v71, v73, v71, s39
                                        ; implicit-def: $vgpr73
; %bb.107:                              ;   in Loop: Header=BB320_9 Depth=1
	s_andn2_saveexec_b64 s[14:15], s[0:1]
; %bb.108:                              ;   in Loop: Header=BB320_9 Depth=1
	v_or_b32_e32 v71, 0x10000, v73
	v_cmp_eq_u32_sdwa s[0:1], v73, v3 src0_sel:WORD_0 src1_sel:DWORD
	s_nop 1
	v_cndmask_b32_e64 v71, v71, v73, s[0:1]
; %bb.109:                              ;   in Loop: Header=BB320_9 Depth=1
	s_or_b64 exec, exec, s[14:15]
	v_lshrrev_b16_e32 v72, 8, v72
	v_cvt_f32_fp8_sdwa v72, v72 src0_sel:BYTE_0
	s_nop 0
	v_mul_f32_e32 v73, s35, v72
	v_and_b32_e32 v72, 0x7f800000, v73
	v_cmp_ne_u32_e64 s[0:1], s38, v72
                                        ; implicit-def: $vgpr72
	s_and_saveexec_b64 s[14:15], s[0:1]
	s_xor_b64 s[0:1], exec, s[14:15]
; %bb.110:                              ;   in Loop: Header=BB320_9 Depth=1
	v_bfe_u32 v72, v73, 16, 1
	v_add3_u32 v72, v73, v72, s39
                                        ; implicit-def: $vgpr73
; %bb.111:                              ;   in Loop: Header=BB320_9 Depth=1
	s_andn2_saveexec_b64 s[14:15], s[0:1]
; %bb.112:                              ;   in Loop: Header=BB320_9 Depth=1
	v_or_b32_e32 v72, 0x10000, v73
	v_cmp_eq_u32_sdwa s[0:1], v73, v3 src0_sel:WORD_0 src1_sel:DWORD
	s_nop 1
	v_cndmask_b32_e64 v72, v72, v73, s[0:1]
; %bb.113:                              ;   in Loop: Header=BB320_9 Depth=1
	s_or_b64 exec, exec, s[14:15]
	global_load_ushort v9, v[8:9], off offset:1544
	s_waitcnt vmcnt(0)
	v_and_b32_sdwa v8, s37, v9 dst_sel:DWORD dst_unused:UNUSED_PAD src0_sel:DWORD src1_sel:BYTE_0
	v_cvt_f32_fp8_sdwa v8, v8 src0_sel:BYTE_0
	s_nop 0
	v_mul_f32_e32 v73, s35, v8
	v_and_b32_e32 v8, 0x7f800000, v73
	v_cmp_ne_u32_e64 s[0:1], s38, v8
                                        ; implicit-def: $vgpr8
	s_and_saveexec_b64 s[14:15], s[0:1]
	s_xor_b64 s[0:1], exec, s[14:15]
; %bb.114:                              ;   in Loop: Header=BB320_9 Depth=1
	v_bfe_u32 v8, v73, 16, 1
	v_add3_u32 v8, v73, v8, s39
                                        ; implicit-def: $vgpr73
; %bb.115:                              ;   in Loop: Header=BB320_9 Depth=1
	s_andn2_saveexec_b64 s[14:15], s[0:1]
; %bb.116:                              ;   in Loop: Header=BB320_9 Depth=1
	v_or_b32_e32 v8, 0x10000, v73
	v_cmp_eq_u32_sdwa s[0:1], v73, v3 src0_sel:WORD_0 src1_sel:DWORD
	s_nop 1
	v_cndmask_b32_e64 v8, v8, v73, s[0:1]
; %bb.117:                              ;   in Loop: Header=BB320_9 Depth=1
	s_or_b64 exec, exec, s[14:15]
	v_lshrrev_b16_e32 v9, 8, v9
	v_cvt_f32_fp8_sdwa v9, v9 src0_sel:BYTE_0
	s_nop 0
	v_mul_f32_e32 v73, s35, v9
	v_and_b32_e32 v9, 0x7f800000, v73
	v_cmp_ne_u32_e64 s[0:1], s38, v9
                                        ; implicit-def: $vgpr9
	s_and_saveexec_b64 s[14:15], s[0:1]
	s_xor_b64 s[0:1], exec, s[14:15]
; %bb.118:                              ;   in Loop: Header=BB320_9 Depth=1
	v_bfe_u32 v9, v73, 16, 1
	v_add3_u32 v9, v73, v9, s39
                                        ; implicit-def: $vgpr73
; %bb.119:                              ;   in Loop: Header=BB320_9 Depth=1
	s_andn2_saveexec_b64 s[14:15], s[0:1]
; %bb.120:                              ;   in Loop: Header=BB320_9 Depth=1
	v_or_b32_e32 v9, 0x10000, v73
	v_cmp_eq_u32_sdwa s[0:1], v73, v3 src0_sel:WORD_0 src1_sel:DWORD
	s_nop 1
	v_cndmask_b32_e64 v9, v9, v73, s[0:1]
; %bb.121:                              ;   in Loop: Header=BB320_9 Depth=1
	s_or_b64 exec, exec, s[14:15]
	v_and_b32_e32 v49, 0xffff0000, v49
	v_and_b32_e32 v50, 0xffff0000, v50
	;; [unrolled: 1-line block ×3, first 2 shown]
	v_mul_f32_e32 v49, v14, v49
	v_and_b32_e32 v48, 0xffff0000, v48
	v_fmac_f32_e32 v49, v12, v47
	v_mul_f32_e32 v47, v15, v50
	v_and_b32_e32 v52, 0xffff0000, v52
	v_and_b32_e32 v51, 0xffff0000, v51
	v_fmac_f32_e32 v47, v13, v48
	v_and_b32_e32 v54, 0xffff0000, v54
	v_and_b32_e32 v53, 0xffff0000, v53
	v_fmac_f32_e32 v49, v16, v51
	v_fmac_f32_e32 v47, v17, v52
	v_and_b32_e32 v56, 0xffff0000, v56
	v_and_b32_e32 v55, 0xffff0000, v55
	v_fmac_f32_e32 v49, v19, v53
	;; [unrolled: 4-line block ×11, first 2 shown]
	v_fmac_f32_e32 v47, v38, v72
	v_fmac_f32_e32 v49, v39, v8
	;; [unrolled: 1-line block ×3, first 2 shown]
	v_add_f32_e32 v8, v49, v47
	ds_bpermute_b32 v9, v42, v8
	s_waitcnt lgkmcnt(0)
	v_add_f32_e32 v8, v8, v9
	ds_bpermute_b32 v9, v43, v8
	s_and_saveexec_b64 s[14:15], vcc
	s_cbranch_execz .LBB320_8
; %bb.122:                              ;   in Loop: Header=BB320_9 Depth=1
	v_add_u32_e32 v47, s36, v44
	v_cvt_f32_i32_e32 v47, v47
	s_waitcnt lgkmcnt(0)
	v_add_f32_e32 v8, v8, v9
	v_cmp_gt_i32_e64 s[0:1], s33, v44
	v_max_f32_e32 v9, v41, v41
	v_mul_f32_e32 v47, s28, v47
	v_cndmask_b32_e64 v47, 0, v47, s[2:3]
	v_fmac_f32_e32 v47, s29, v8
	v_cndmask_b32_e64 v8, 0, v47, s[0:1]
	ds_write_b32 v45, v8
	v_max_f32_e32 v8, v9, v47
	v_cndmask_b32_e64 v41, v41, v8, s[0:1]
	s_branch .LBB320_8
.LBB320_123:
	s_or_b64 exec, exec, s[8:9]
.LBB320_124:
	s_or_b64 exec, exec, s[30:31]
	v_xor_b32_e32 v2, 32, v10
	v_cmp_lt_i32_e32 vcc, v2, v11
	v_xor_b32_e32 v5, 16, v10
	v_max_f32_e32 v4, v41, v41
	v_cndmask_b32_e32 v2, v10, v2, vcc
	v_lshlrev_b32_e32 v2, 2, v2
	ds_bpermute_b32 v3, v2, v41
	v_cmp_lt_i32_e32 vcc, v5, v11
	v_xor_b32_e32 v6, 8, v10
	v_xor_b32_e32 v8, 4, v10
	s_waitcnt lgkmcnt(0)
	v_max_f32_e32 v3, v3, v3
	v_max_f32_e32 v4, v4, v3
	v_cndmask_b32_e32 v3, v10, v5, vcc
	v_lshlrev_b32_e32 v3, 2, v3
	ds_bpermute_b32 v5, v3, v4
	v_cmp_lt_i32_e32 vcc, v6, v11
	s_waitcnt lgkmcnt(0)
	v_max_f32_e32 v5, v5, v5
	v_max_f32_e32 v4, v4, v5
	v_cndmask_b32_e32 v5, v10, v6, vcc
	v_lshlrev_b32_e32 v7, 2, v5
	ds_bpermute_b32 v5, v7, v4
	v_cmp_lt_i32_e32 vcc, v8, v11
	s_waitcnt lgkmcnt(0)
	v_max_f32_e32 v5, v5, v5
	v_max_f32_e32 v6, v4, v5
	v_cndmask_b32_e32 v4, v10, v8, vcc
	v_lshlrev_b32_e32 v8, 2, v4
	ds_bpermute_b32 v9, v8, v6
	v_and_b32_e32 v4, 63, v0
	v_cmp_eq_u32_e32 vcc, 0, v4
	v_lshlrev_b32_e32 v5, 2, v1
	s_and_saveexec_b64 s[0:1], vcc
	s_cbranch_execz .LBB320_126
; %bb.125:
	s_waitcnt lgkmcnt(0)
	v_max_f32_e32 v9, v9, v9
	v_max_f32_e32 v6, v6, v6
	;; [unrolled: 1-line block ×3, first 2 shown]
	ds_write_b32 v5, v6 offset:224
.LBB320_126:
	s_or_b64 exec, exec, s[0:1]
	v_cmp_gt_u32_e64 s[0:1], 2, v4
	s_waitcnt lgkmcnt(0)
	v_mov_b32_e32 v9, 0xff7fffff
	v_lshlrev_b32_e32 v6, 2, v4
	s_barrier
	s_and_saveexec_b64 s[2:3], s[0:1]
	s_cbranch_execz .LBB320_128
; %bb.127:
	ds_read_b32 v9, v6 offset:224
.LBB320_128:
	s_or_b64 exec, exec, s[2:3]
	v_xor_b32_e32 v12, 1, v10
	v_cmp_lt_i32_e64 s[2:3], v12, v11
	v_lshlrev_b32_e32 v13, 2, v10
	s_nop 0
	v_cndmask_b32_e64 v12, v10, v12, s[2:3]
	v_lshlrev_b32_e32 v20, 2, v12
	s_waitcnt lgkmcnt(0)
	ds_bpermute_b32 v12, v20, v9
	v_max_f32_e32 v9, v9, v9
	s_lshl_b32 s2, s19, 4
	s_min_i32 s30, s2, s33
	v_cmp_gt_i32_e64 s[2:3], s30, v0
	s_waitcnt lgkmcnt(0)
	v_max_f32_e32 v12, v12, v12
	v_max_f32_e32 v12, v9, v12
	v_and_b32_e32 v9, 0xffffff00, v13
	ds_bpermute_b32 v13, v9, v12
	v_mov_b32_e32 v12, 0
	s_and_saveexec_b64 s[14:15], s[2:3]
	s_cbranch_execz .LBB320_132
; %bb.129:
	v_mov_b32_e32 v12, 0xf0
	v_lshl_add_u32 v14, v0, 2, v12
	s_mov_b64 s[28:29], 0
	v_mov_b32_e32 v12, 0
	v_mov_b32_e32 v15, v0
.LBB320_130:                            ; =>This Inner Loop Header: Depth=1
	ds_read_b32 v16, v14
	v_add_u32_e32 v15, 0x80, v15
	v_cmp_le_i32_e64 s[8:9], s30, v15
	s_or_b64 s[28:29], s[8:9], s[28:29]
	s_waitcnt lgkmcnt(0)
	v_sub_f32_e32 v16, v16, v13
	v_mul_f32_e32 v16, 0x3fb8aa3b, v16
	v_exp_f32_e32 v16, v16
	ds_write_b32 v14, v16
	v_add_f32_e32 v12, v12, v16
	v_add_u32_e32 v14, 0x200, v14
	s_andn2_b64 exec, exec, s[28:29]
	s_cbranch_execnz .LBB320_130
; %bb.131:
	s_or_b64 exec, exec, s[28:29]
.LBB320_132:
	s_or_b64 exec, exec, s[14:15]
	ds_bpermute_b32 v2, v2, v12
	s_waitcnt lgkmcnt(0)
	v_add_f32_e32 v2, v12, v2
	ds_bpermute_b32 v3, v3, v2
	s_waitcnt lgkmcnt(0)
	v_add_f32_e32 v2, v2, v3
	ds_bpermute_b32 v3, v7, v2
	v_xor_b32_e32 v7, 2, v10
	v_cmp_lt_i32_e64 s[8:9], v7, v11
	s_waitcnt lgkmcnt(0)
	v_add_f32_e32 v2, v2, v3
	ds_bpermute_b32 v3, v8, v2
	v_cndmask_b32_e64 v7, v10, v7, s[8:9]
	s_waitcnt lgkmcnt(0)
	v_add_f32_e32 v2, v2, v3
	v_lshlrev_b32_e32 v3, 2, v7
	ds_bpermute_b32 v3, v3, v2
	s_waitcnt lgkmcnt(0)
	v_add_f32_e32 v2, v2, v3
	ds_bpermute_b32 v3, v20, v2
	s_waitcnt lgkmcnt(0)
	v_add_f32_e32 v2, v2, v3
	s_and_saveexec_b64 s[8:9], vcc
	s_cbranch_execz .LBB320_134
; %bb.133:
	ds_write_b32 v5, v2 offset:232
.LBB320_134:
	s_or_b64 exec, exec, s[8:9]
	s_waitcnt lgkmcnt(0)
	s_barrier
	s_and_saveexec_b64 s[8:9], s[0:1]
	s_cbranch_execz .LBB320_136
; %bb.135:
	ds_read_b32 v2, v6 offset:232
.LBB320_136:
	s_or_b64 exec, exec, s[8:9]
	s_waitcnt lgkmcnt(0)
	ds_bpermute_b32 v3, v20, v2
	s_waitcnt lgkmcnt(0)
	v_add_f32_e32 v2, v2, v3
	ds_bpermute_b32 v2, v9, v2
	s_and_saveexec_b64 s[0:1], s[2:3]
	s_cbranch_execz .LBB320_149
; %bb.137:
	s_waitcnt lgkmcnt(0)
	v_add_f32_e32 v2, 0x358637bd, v2
	v_div_scale_f32 v3, s[2:3], v2, v2, 1.0
	v_rcp_f32_e32 v5, v3
	v_div_scale_f32 v6, vcc, 1.0, v2, 1.0
	s_movk_i32 s2, 0x7f
	v_fma_f32 v7, -v3, v5, 1.0
	v_fmac_f32_e32 v5, v7, v5
	v_mul_f32_e32 v7, v6, v5
	v_fma_f32 v8, -v3, v7, v6
	v_fmac_f32_e32 v7, v8, v5
	v_fma_f32 v3, -v3, v7, v6
	v_div_fmas_f32 v3, v3, v5, v7
	v_xad_u32 v5, v0, -1, s30
	v_div_fixup_f32 v2, v3, v2, 1.0
	v_cmp_lt_u32_e32 vcc, s2, v5
	s_mov_b64 s[8:9], -1
	v_mov_b32_e32 v3, v0
	s_and_saveexec_b64 s[2:3], vcc
	s_cbranch_execz .LBB320_146
; %bb.138:
	v_lshrrev_b32_e32 v5, 7, v5
	v_add_u32_e32 v7, -1, v5
	v_lshrrev_b32_e32 v6, 1, v7
	v_mov_b32_e32 v3, v2
	v_add_u32_e32 v6, 1, v6
	v_cmp_lt_u32_e32 vcc, 13, v7
	v_mov_b32_e32 v9, 0
	s_and_saveexec_b64 s[8:9], vcc
	s_cbranch_execz .LBB320_142
; %bb.139:
	v_mov_b32_e32 v8, 0xf0
	v_and_b32_e32 v7, -8, v6
	v_lshl_add_u32 v8, v0, 2, v8
	s_mov_b32 s28, 0
	s_mov_b64 s[14:15], 0
.LBB320_140:                            ; =>This Inner Loop Header: Depth=1
	ds_read2st64_b32 v[10:11], v8 offset1:2
	ds_read2st64_b32 v[12:13], v8 offset0:4 offset1:6
	ds_read2st64_b32 v[14:15], v8 offset0:8 offset1:10
	;; [unrolled: 1-line block ×3, first 2 shown]
	v_add_u32_e32 v7, -8, v7
	s_waitcnt lgkmcnt(3)
	v_pk_mul_f32 v[10:11], v[2:3], v[10:11]
	s_waitcnt lgkmcnt(2)
	v_pk_mul_f32 v[12:13], v[2:3], v[12:13]
	ds_write2st64_b32 v8, v10, v11 offset1:2
	ds_write2st64_b32 v8, v12, v13 offset0:4 offset1:6
	ds_read2st64_b32 v[12:13], v8 offset0:16 offset1:18
	s_waitcnt lgkmcnt(4)
	v_pk_mul_f32 v[10:11], v[2:3], v[14:15]
	ds_write2st64_b32 v8, v10, v11 offset0:8 offset1:10
	s_waitcnt lgkmcnt(4)
	v_pk_mul_f32 v[10:11], v[2:3], v[16:17]
	ds_write2st64_b32 v8, v10, v11 offset0:12 offset1:14
	ds_read2st64_b32 v[10:11], v8 offset0:20 offset1:22
	s_waitcnt lgkmcnt(3)
	v_pk_mul_f32 v[12:13], v[2:3], v[12:13]
	ds_read2st64_b32 v[14:15], v8 offset0:24 offset1:26
	ds_write2st64_b32 v8, v12, v13 offset0:16 offset1:18
	ds_read2st64_b32 v[12:13], v8 offset0:28 offset1:30
	s_waitcnt lgkmcnt(3)
	v_pk_mul_f32 v[10:11], v[2:3], v[10:11]
	ds_write2st64_b32 v8, v10, v11 offset0:20 offset1:22
	s_waitcnt lgkmcnt(3)
	v_pk_mul_f32 v[10:11], v[2:3], v[14:15]
	ds_write2st64_b32 v8, v10, v11 offset0:24 offset1:26
	s_waitcnt lgkmcnt(2)
	v_pk_mul_f32 v[10:11], v[2:3], v[12:13]
	s_add_i32 s28, s28, 16
	v_cmp_eq_u32_e32 vcc, 0, v7
	ds_write2st64_b32 v8, v10, v11 offset0:28 offset1:30
	v_add_u32_e32 v8, 0x2000, v8
	s_or_b64 s[14:15], vcc, s[14:15]
	v_mov_b32_e32 v9, s28
	s_andn2_b64 exec, exec, s[14:15]
	s_cbranch_execnz .LBB320_140
; %bb.141:
	s_or_b64 exec, exec, s[14:15]
.LBB320_142:
	s_or_b64 exec, exec, s[8:9]
	v_and_b32_e32 v6, 7, v6
	v_cmp_ne_u32_e32 vcc, 0, v6
	s_and_saveexec_b64 s[8:9], vcc
	s_cbranch_execz .LBB320_145
; %bb.143:
	v_lshlrev_b32_e32 v7, 9, v9
	v_lshlrev_b32_e32 v8, 2, v0
	s_movk_i32 s14, 0xf0
	v_add3_u32 v7, v7, v8, s14
	s_mov_b64 s[14:15], 0
.LBB320_144:                            ; =>This Inner Loop Header: Depth=1
	ds_read2st64_b32 v[8:9], v7 offset1:2
	v_add_u32_e32 v6, -1, v6
	v_cmp_eq_u32_e32 vcc, 0, v6
	s_or_b64 s[14:15], vcc, s[14:15]
	s_waitcnt lgkmcnt(0)
	v_pk_mul_f32 v[8:9], v[2:3], v[8:9]
	ds_write2st64_b32 v7, v8, v9 offset1:2
	v_add_u32_e32 v7, 0x400, v7
	s_andn2_b64 exec, exec, s[14:15]
	s_cbranch_execnz .LBB320_144
.LBB320_145:
	s_or_b64 exec, exec, s[8:9]
	v_add_u32_e32 v5, 1, v5
	v_and_b32_e32 v6, 0x3fffffe, v5
	v_cmp_ne_u32_e32 vcc, v5, v6
	v_lshl_add_u32 v3, v6, 7, v0
	s_orn2_b64 s[8:9], vcc, exec
.LBB320_146:
	s_or_b64 exec, exec, s[2:3]
	s_and_b64 exec, exec, s[8:9]
	s_cbranch_execz .LBB320_149
; %bb.147:
	v_mov_b32_e32 v5, 0xf0
	v_lshl_add_u32 v5, v3, 2, v5
	s_mov_b64 s[2:3], 0
.LBB320_148:                            ; =>This Inner Loop Header: Depth=1
	ds_read_b32 v6, v5
	v_add_u32_e32 v3, 0x80, v3
	v_cmp_le_i32_e32 vcc, s30, v3
	s_or_b64 s[2:3], vcc, s[2:3]
	s_waitcnt lgkmcnt(0)
	v_mul_f32_e32 v6, v2, v6
	ds_write_b32 v5, v6
	v_add_u32_e32 v5, 0x200, v5
	s_andn2_b64 exec, exec, s[2:3]
	s_cbranch_execnz .LBB320_148
.LBB320_149:
	s_or_b64 exec, exec, s[0:1]
	v_mov_b32_e32 v11, 0
	v_lshrrev_b32_e32 v22, 1, v4
	v_and_b32_e32 v21, 1, v0
	v_mov_b32_e32 v10, 0
	v_mov_b32_e32 v15, 0
	;; [unrolled: 1-line block ×3, first 2 shown]
	s_waitcnt lgkmcnt(0)
	s_barrier
	s_and_saveexec_b64 s[8:9], s[6:7]
	s_cbranch_execz .LBB320_451
; %bb.150:
	s_ashr_i32 s0, s12, 31
	v_lshlrev_b32_e32 v2, 3, v0
	s_add_u32 s6, s26, s12
	v_and_b32_e32 v2, 8, v2
	s_addc_u32 s7, s27, s0
	v_or_b32_e32 v3, 0x60, v22
	s_movk_i32 s0, 0x70
	s_load_dword s27, s[10:11], 0x0
	v_cmp_gt_u32_e32 vcc, s0, v3
	v_lshl_or_b32 v16, v3, 4, v2
	v_lshlrev_b32_e32 v3, 4, v1
	s_add_i32 s26, s19, -1
	v_lshl_or_b32 v12, v22, 4, v2
	v_or3_b32 v23, v3, v2, 7
	v_lshlrev_b32_e32 v2, 5, v21
	s_lshl_b64 s[0:1], s[24:25], 2
	v_mov_b32_e32 v13, 0
	v_lshl_or_b32 v2, v1, 6, v2
	s_add_u32 s0, s22, s0
	v_add_u32_e32 v24, 0xf0, v2
	v_and_b32_e32 v2, 60, v18
	v_mov_b32_e32 v3, v13
	s_addc_u32 s1, s23, s1
	s_mov_b32 s28, s13
	v_mov_b32_e32 v17, v13
	v_lshl_add_u64 v[18:19], s[0:1], 0, v[2:3]
	s_mov_b64 s[10:11], 0
	s_mov_b32 s22, 0x7f800000
	s_movk_i32 s23, 0x7fff
	v_mov_b32_e32 v14, v13
	v_mov_b32_e32 v15, v13
	;; [unrolled: 1-line block ×4, first 2 shown]
	s_branch .LBB320_153
.LBB320_151:                            ;   in Loop: Header=BB320_153 Depth=1
	s_or_b64 exec, exec, s[2:3]
	v_and_b32_e32 v39, 0xffff0000, v37
	v_and_b32_e32 v38, 0xffff0000, v35
	;; [unrolled: 1-line block ×8, first 2 shown]
	v_pk_add_f32 v[2:3], v[32:33], v[36:37]
	v_pk_add_f32 v[32:33], v[34:35], v[38:39]
	v_add_f32_e32 v2, v2, v3
	v_add_f32_e32 v2, v2, v32
	;; [unrolled: 1-line block ×4, first 2 shown]
.LBB320_152:                            ;   in Loop: Header=BB320_153 Depth=1
	s_or_b64 exec, exec, s[12:13]
	v_and_b32_e32 v2, 0xffff0000, v28
	v_and_b32_e32 v28, 0xffff0000, v27
	;; [unrolled: 1-line block ×8, first 2 shown]
	v_pk_add_f32 v[8:9], v[8:9], v[26:27]
	v_pk_add_f32 v[2:3], v[28:29], v[2:3]
	v_add_f32_e32 v8, v8, v9
	v_add_f32_e32 v2, v8, v2
	;; [unrolled: 1-line block ×3, first 2 shown]
	v_and_b32_e32 v27, 0xffff0000, v41
	v_and_b32_e32 v26, 0xffff0000, v7
	;; [unrolled: 1-line block ×4, first 2 shown]
	v_add_f32_e32 v14, v14, v2
	v_and_b32_e32 v3, 0xffff0000, v45
	v_and_b32_e32 v2, 0xffff0000, v43
	v_and_b32_e32 v9, 0xffff0000, v44
	v_and_b32_e32 v8, 0xffff0000, v42
	v_pk_add_f32 v[6:7], v[6:7], v[26:27]
	v_pk_add_f32 v[2:3], v[8:9], v[2:3]
	v_add_f32_e32 v6, v6, v7
	v_add_f32_e32 v2, v6, v2
	;; [unrolled: 1-line block ×3, first 2 shown]
	v_and_b32_e32 v9, 0xffff0000, v47
	v_and_b32_e32 v8, 0xffff0000, v5
	;; [unrolled: 1-line block ×4, first 2 shown]
	v_add_f32_e32 v15, v15, v2
	v_and_b32_e32 v3, 0xffff0000, v51
	v_and_b32_e32 v2, 0xffff0000, v49
	;; [unrolled: 1-line block ×4, first 2 shown]
	v_pk_add_f32 v[4:5], v[4:5], v[8:9]
	v_pk_add_f32 v[2:3], v[6:7], v[2:3]
	v_add_f32_e32 v4, v4, v5
	v_add_f32_e32 v2, v4, v2
	v_add_u32_e32 v1, 2, v1
	v_add_f32_e32 v2, v2, v3
	v_cmp_le_i32_e64 s[0:1], s19, v1
	v_add_f32_e32 v10, v10, v2
	v_add_u32_e32 v23, 32, v23
	v_add_u32_e32 v24, 0x80, v24
	s_or_b64 s[10:11], s[0:1], s[10:11]
	v_lshl_add_u64 v[18:19], v[18:19], 0, 8
	s_andn2_b64 exec, exec, s[10:11]
	s_cbranch_execz .LBB320_450
.LBB320_153:                            ; =>This Inner Loop Header: Depth=1
	global_load_dword v31, v[18:19], off
	ds_read2_b64 v[6:9], v24 offset1:1
	ds_read2_b64 v[2:5], v24 offset0:2 offset1:3
                                        ; implicit-def: $vgpr32
	s_waitcnt lgkmcnt(0)
	v_and_b32_e32 v25, 0x7f800000, v6
	v_cmp_ne_u32_e64 s[0:1], s22, v25
	s_and_saveexec_b64 s[2:3], s[0:1]
	s_xor_b64 s[0:1], exec, s[2:3]
; %bb.154:                              ;   in Loop: Header=BB320_153 Depth=1
	v_bfe_u32 v25, v6, 16, 1
	v_add3_u32 v32, v6, v25, s23
; %bb.155:                              ;   in Loop: Header=BB320_153 Depth=1
	s_andn2_saveexec_b64 s[2:3], s[0:1]
; %bb.156:                              ;   in Loop: Header=BB320_153 Depth=1
	v_or_b32_e32 v25, 0x10000, v6
	v_cmp_eq_u32_sdwa s[0:1], v6, v13 src0_sel:WORD_0 src1_sel:DWORD
	s_nop 1
	v_cndmask_b32_e64 v32, v25, v6, s[0:1]
; %bb.157:                              ;   in Loop: Header=BB320_153 Depth=1
	s_or_b64 exec, exec, s[2:3]
	v_and_b32_e32 v6, 0x7f800000, v7
	v_cmp_ne_u32_e64 s[0:1], s22, v6
                                        ; implicit-def: $vgpr33
	s_and_saveexec_b64 s[2:3], s[0:1]
	s_xor_b64 s[0:1], exec, s[2:3]
; %bb.158:                              ;   in Loop: Header=BB320_153 Depth=1
	v_bfe_u32 v6, v7, 16, 1
	v_add3_u32 v33, v7, v6, s23
; %bb.159:                              ;   in Loop: Header=BB320_153 Depth=1
	s_andn2_saveexec_b64 s[2:3], s[0:1]
; %bb.160:                              ;   in Loop: Header=BB320_153 Depth=1
	v_or_b32_e32 v6, 0x10000, v7
	v_cmp_eq_u32_sdwa s[0:1], v7, v13 src0_sel:WORD_0 src1_sel:DWORD
	s_nop 1
	v_cndmask_b32_e64 v33, v6, v7, s[0:1]
; %bb.161:                              ;   in Loop: Header=BB320_153 Depth=1
	s_or_b64 exec, exec, s[2:3]
	v_and_b32_e32 v6, 0x7f800000, v8
	v_cmp_ne_u32_e64 s[0:1], s22, v6
                                        ; implicit-def: $vgpr25
	s_and_saveexec_b64 s[2:3], s[0:1]
	s_xor_b64 s[0:1], exec, s[2:3]
; %bb.162:                              ;   in Loop: Header=BB320_153 Depth=1
	v_bfe_u32 v6, v8, 16, 1
	v_add3_u32 v25, v8, v6, s23
; %bb.163:                              ;   in Loop: Header=BB320_153 Depth=1
	s_andn2_saveexec_b64 s[2:3], s[0:1]
; %bb.164:                              ;   in Loop: Header=BB320_153 Depth=1
	v_or_b32_e32 v6, 0x10000, v8
	v_cmp_eq_u32_sdwa s[0:1], v8, v13 src0_sel:WORD_0 src1_sel:DWORD
	s_nop 1
	v_cndmask_b32_e64 v25, v6, v8, s[0:1]
; %bb.165:                              ;   in Loop: Header=BB320_153 Depth=1
	s_or_b64 exec, exec, s[2:3]
	v_and_b32_e32 v6, 0x7f800000, v9
	v_cmp_ne_u32_e64 s[0:1], s22, v6
                                        ; implicit-def: $vgpr26
	s_and_saveexec_b64 s[2:3], s[0:1]
	s_xor_b64 s[0:1], exec, s[2:3]
; %bb.166:                              ;   in Loop: Header=BB320_153 Depth=1
	v_bfe_u32 v6, v9, 16, 1
	v_add3_u32 v26, v9, v6, s23
                                        ; implicit-def: $vgpr6_vgpr7_vgpr8_vgpr9
; %bb.167:                              ;   in Loop: Header=BB320_153 Depth=1
	s_andn2_saveexec_b64 s[2:3], s[0:1]
; %bb.168:                              ;   in Loop: Header=BB320_153 Depth=1
	v_or_b32_e32 v6, 0x10000, v9
	v_cmp_eq_u32_sdwa s[0:1], v9, v13 src0_sel:WORD_0 src1_sel:DWORD
	s_nop 1
	v_cndmask_b32_e64 v26, v6, v9, s[0:1]
; %bb.169:                              ;   in Loop: Header=BB320_153 Depth=1
	s_or_b64 exec, exec, s[2:3]
	v_and_b32_e32 v6, 0x7f800000, v2
	v_cmp_ne_u32_e64 s[0:1], s22, v6
                                        ; implicit-def: $vgpr27
	s_and_saveexec_b64 s[2:3], s[0:1]
	s_xor_b64 s[0:1], exec, s[2:3]
; %bb.170:                              ;   in Loop: Header=BB320_153 Depth=1
	v_bfe_u32 v6, v2, 16, 1
	v_add3_u32 v27, v2, v6, s23
; %bb.171:                              ;   in Loop: Header=BB320_153 Depth=1
	s_andn2_saveexec_b64 s[2:3], s[0:1]
; %bb.172:                              ;   in Loop: Header=BB320_153 Depth=1
	v_or_b32_e32 v6, 0x10000, v2
	v_cmp_eq_u32_sdwa s[0:1], v2, v13 src0_sel:WORD_0 src1_sel:DWORD
	s_nop 1
	v_cndmask_b32_e64 v27, v6, v2, s[0:1]
; %bb.173:                              ;   in Loop: Header=BB320_153 Depth=1
	s_or_b64 exec, exec, s[2:3]
	v_and_b32_e32 v2, 0x7f800000, v3
	v_cmp_ne_u32_e64 s[0:1], s22, v2
                                        ; implicit-def: $vgpr28
	s_and_saveexec_b64 s[2:3], s[0:1]
	s_xor_b64 s[0:1], exec, s[2:3]
; %bb.174:                              ;   in Loop: Header=BB320_153 Depth=1
	v_bfe_u32 v2, v3, 16, 1
	v_add3_u32 v28, v3, v2, s23
; %bb.175:                              ;   in Loop: Header=BB320_153 Depth=1
	s_andn2_saveexec_b64 s[2:3], s[0:1]
; %bb.176:                              ;   in Loop: Header=BB320_153 Depth=1
	v_or_b32_e32 v2, 0x10000, v3
	v_cmp_eq_u32_sdwa s[0:1], v3, v13 src0_sel:WORD_0 src1_sel:DWORD
	s_nop 1
	v_cndmask_b32_e64 v28, v2, v3, s[0:1]
; %bb.177:                              ;   in Loop: Header=BB320_153 Depth=1
	s_or_b64 exec, exec, s[2:3]
	v_and_b32_e32 v2, 0x7f800000, v4
	v_cmp_ne_u32_e64 s[0:1], s22, v2
                                        ; implicit-def: $vgpr29
	s_and_saveexec_b64 s[2:3], s[0:1]
	s_xor_b64 s[0:1], exec, s[2:3]
; %bb.178:                              ;   in Loop: Header=BB320_153 Depth=1
	v_bfe_u32 v2, v4, 16, 1
	v_add3_u32 v29, v4, v2, s23
; %bb.179:                              ;   in Loop: Header=BB320_153 Depth=1
	s_andn2_saveexec_b64 s[2:3], s[0:1]
; %bb.180:                              ;   in Loop: Header=BB320_153 Depth=1
	v_or_b32_e32 v2, 0x10000, v4
	v_cmp_eq_u32_sdwa s[0:1], v4, v13 src0_sel:WORD_0 src1_sel:DWORD
	s_nop 1
	v_cndmask_b32_e64 v29, v2, v4, s[0:1]
; %bb.181:                              ;   in Loop: Header=BB320_153 Depth=1
	s_or_b64 exec, exec, s[2:3]
	v_and_b32_e32 v2, 0x7f800000, v5
	v_cmp_ne_u32_e64 s[0:1], s22, v2
                                        ; implicit-def: $vgpr30
	s_and_saveexec_b64 s[2:3], s[0:1]
	s_xor_b64 s[0:1], exec, s[2:3]
; %bb.182:                              ;   in Loop: Header=BB320_153 Depth=1
	v_bfe_u32 v2, v5, 16, 1
	v_add3_u32 v30, v5, v2, s23
                                        ; implicit-def: $vgpr2_vgpr3_vgpr4_vgpr5
; %bb.183:                              ;   in Loop: Header=BB320_153 Depth=1
	s_andn2_saveexec_b64 s[2:3], s[0:1]
; %bb.184:                              ;   in Loop: Header=BB320_153 Depth=1
	v_or_b32_e32 v2, 0x10000, v5
	v_cmp_eq_u32_sdwa s[0:1], v5, v13 src0_sel:WORD_0 src1_sel:DWORD
	s_nop 1
	v_cndmask_b32_e64 v30, v2, v5, s[0:1]
; %bb.185:                              ;   in Loop: Header=BB320_153 Depth=1
	s_or_b64 exec, exec, s[2:3]
	v_mov_b64_e32 v[2:3], s[6:7]
	s_waitcnt vmcnt(0)
	v_mad_i64_i32 v[2:3], s[0:1], v31, s28, v[2:3]
	v_lshl_add_u64 v[4:5], v[2:3], 0, v[12:13]
	global_load_dwordx2 v[6:7], v[4:5], off
	s_waitcnt vmcnt(0)
	v_and_b32_e32 v8, 0xff, v6
	v_cvt_f32_fp8_sdwa v8, v8 src0_sel:BYTE_0
	s_nop 0
	v_mul_f32_e32 v9, s27, v8
	v_and_b32_e32 v8, 0x7f800000, v9
	v_cmp_ne_u32_e64 s[0:1], s22, v8
                                        ; implicit-def: $vgpr8
	s_and_saveexec_b64 s[2:3], s[0:1]
	s_xor_b64 s[0:1], exec, s[2:3]
; %bb.186:                              ;   in Loop: Header=BB320_153 Depth=1
	v_bfe_u32 v8, v9, 16, 1
	v_add3_u32 v8, v9, v8, s23
                                        ; implicit-def: $vgpr9
; %bb.187:                              ;   in Loop: Header=BB320_153 Depth=1
	s_andn2_saveexec_b64 s[2:3], s[0:1]
; %bb.188:                              ;   in Loop: Header=BB320_153 Depth=1
	v_or_b32_e32 v8, 0x10000, v9
	v_cmp_eq_u32_sdwa s[0:1], v9, v13 src0_sel:WORD_0 src1_sel:DWORD
	s_nop 1
	v_cndmask_b32_e64 v8, v8, v9, s[0:1]
; %bb.189:                              ;   in Loop: Header=BB320_153 Depth=1
	s_or_b64 exec, exec, s[2:3]
	v_bfe_u32 v9, v6, 8, 8
	v_cvt_f32_fp8_sdwa v9, v9 src0_sel:BYTE_0
	s_nop 0
	v_mul_f32_e32 v31, s27, v9
	v_and_b32_e32 v9, 0x7f800000, v31
	v_cmp_ne_u32_e64 s[0:1], s22, v9
                                        ; implicit-def: $vgpr9
	s_and_saveexec_b64 s[2:3], s[0:1]
	s_xor_b64 s[0:1], exec, s[2:3]
; %bb.190:                              ;   in Loop: Header=BB320_153 Depth=1
	v_bfe_u32 v9, v31, 16, 1
	v_add3_u32 v9, v31, v9, s23
                                        ; implicit-def: $vgpr31
; %bb.191:                              ;   in Loop: Header=BB320_153 Depth=1
	s_andn2_saveexec_b64 s[2:3], s[0:1]
; %bb.192:                              ;   in Loop: Header=BB320_153 Depth=1
	v_or_b32_e32 v9, 0x10000, v31
	v_cmp_eq_u32_sdwa s[0:1], v31, v13 src0_sel:WORD_0 src1_sel:DWORD
	s_nop 1
	v_cndmask_b32_e64 v9, v9, v31, s[0:1]
; %bb.193:                              ;   in Loop: Header=BB320_153 Depth=1
	s_or_b64 exec, exec, s[2:3]
	v_bfe_u32 v31, v6, 16, 8
	v_cvt_f32_fp8_sdwa v31, v31 src0_sel:BYTE_0
	s_nop 0
	v_mul_f32_e32 v31, s27, v31
	v_and_b32_e32 v34, 0x7f800000, v31
	v_cmp_ne_u32_e64 s[0:1], s22, v34
                                        ; implicit-def: $vgpr34
	s_and_saveexec_b64 s[2:3], s[0:1]
	s_xor_b64 s[0:1], exec, s[2:3]
; %bb.194:                              ;   in Loop: Header=BB320_153 Depth=1
	v_bfe_u32 v34, v31, 16, 1
	v_add3_u32 v34, v31, v34, s23
                                        ; implicit-def: $vgpr31
; %bb.195:                              ;   in Loop: Header=BB320_153 Depth=1
	s_andn2_saveexec_b64 s[2:3], s[0:1]
; %bb.196:                              ;   in Loop: Header=BB320_153 Depth=1
	v_or_b32_e32 v34, 0x10000, v31
	v_cmp_eq_u32_sdwa s[0:1], v31, v13 src0_sel:WORD_0 src1_sel:DWORD
	s_nop 1
	v_cndmask_b32_e64 v34, v34, v31, s[0:1]
; %bb.197:                              ;   in Loop: Header=BB320_153 Depth=1
	s_or_b64 exec, exec, s[2:3]
	v_lshrrev_b32_e32 v6, 24, v6
	v_cvt_f32_fp8_sdwa v6, v6 src0_sel:BYTE_0
	s_nop 0
	v_mul_f32_e32 v31, s27, v6
	v_and_b32_e32 v6, 0x7f800000, v31
	v_cmp_ne_u32_e64 s[0:1], s22, v6
                                        ; implicit-def: $vgpr6
	s_and_saveexec_b64 s[2:3], s[0:1]
	s_xor_b64 s[0:1], exec, s[2:3]
; %bb.198:                              ;   in Loop: Header=BB320_153 Depth=1
	v_bfe_u32 v6, v31, 16, 1
	v_add3_u32 v6, v31, v6, s23
                                        ; implicit-def: $vgpr31
; %bb.199:                              ;   in Loop: Header=BB320_153 Depth=1
	s_andn2_saveexec_b64 s[2:3], s[0:1]
; %bb.200:                              ;   in Loop: Header=BB320_153 Depth=1
	v_or_b32_e32 v6, 0x10000, v31
	v_cmp_eq_u32_sdwa s[0:1], v31, v13 src0_sel:WORD_0 src1_sel:DWORD
	s_nop 1
	v_cndmask_b32_e64 v6, v6, v31, s[0:1]
; %bb.201:                              ;   in Loop: Header=BB320_153 Depth=1
	s_or_b64 exec, exec, s[2:3]
	v_and_b32_e32 v31, 0xff, v7
	v_cvt_f32_fp8_sdwa v31, v31 src0_sel:BYTE_0
	s_nop 0
	v_mul_f32_e32 v31, s27, v31
	v_and_b32_e32 v35, 0x7f800000, v31
	v_cmp_ne_u32_e64 s[0:1], s22, v35
                                        ; implicit-def: $vgpr35
	s_and_saveexec_b64 s[2:3], s[0:1]
	s_xor_b64 s[0:1], exec, s[2:3]
; %bb.202:                              ;   in Loop: Header=BB320_153 Depth=1
	v_bfe_u32 v35, v31, 16, 1
	v_add3_u32 v35, v31, v35, s23
                                        ; implicit-def: $vgpr31
; %bb.203:                              ;   in Loop: Header=BB320_153 Depth=1
	s_andn2_saveexec_b64 s[2:3], s[0:1]
; %bb.204:                              ;   in Loop: Header=BB320_153 Depth=1
	v_or_b32_e32 v35, 0x10000, v31
	v_cmp_eq_u32_sdwa s[0:1], v31, v13 src0_sel:WORD_0 src1_sel:DWORD
	s_nop 1
	v_cndmask_b32_e64 v35, v35, v31, s[0:1]
; %bb.205:                              ;   in Loop: Header=BB320_153 Depth=1
	s_or_b64 exec, exec, s[2:3]
	v_bfe_u32 v31, v7, 8, 8
	v_cvt_f32_fp8_sdwa v31, v31 src0_sel:BYTE_0
	s_nop 0
	v_mul_f32_e32 v31, s27, v31
	v_and_b32_e32 v36, 0x7f800000, v31
	v_cmp_ne_u32_e64 s[0:1], s22, v36
                                        ; implicit-def: $vgpr36
	s_and_saveexec_b64 s[2:3], s[0:1]
	s_xor_b64 s[0:1], exec, s[2:3]
; %bb.206:                              ;   in Loop: Header=BB320_153 Depth=1
	v_bfe_u32 v36, v31, 16, 1
	v_add3_u32 v36, v31, v36, s23
                                        ; implicit-def: $vgpr31
; %bb.207:                              ;   in Loop: Header=BB320_153 Depth=1
	s_andn2_saveexec_b64 s[2:3], s[0:1]
; %bb.208:                              ;   in Loop: Header=BB320_153 Depth=1
	v_or_b32_e32 v36, 0x10000, v31
	v_cmp_eq_u32_sdwa s[0:1], v31, v13 src0_sel:WORD_0 src1_sel:DWORD
	s_nop 1
	v_cndmask_b32_e64 v36, v36, v31, s[0:1]
; %bb.209:                              ;   in Loop: Header=BB320_153 Depth=1
	s_or_b64 exec, exec, s[2:3]
	v_bfe_u32 v31, v7, 16, 8
	v_cvt_f32_fp8_sdwa v31, v31 src0_sel:BYTE_0
                                        ; implicit-def: $vgpr39
	s_nop 0
	v_mul_f32_e32 v31, s27, v31
	v_and_b32_e32 v37, 0x7f800000, v31
	v_cmp_ne_u32_e64 s[0:1], s22, v37
	s_and_saveexec_b64 s[2:3], s[0:1]
	s_xor_b64 s[0:1], exec, s[2:3]
; %bb.210:                              ;   in Loop: Header=BB320_153 Depth=1
	v_bfe_u32 v37, v31, 16, 1
	v_add3_u32 v39, v31, v37, s23
                                        ; implicit-def: $vgpr31
; %bb.211:                              ;   in Loop: Header=BB320_153 Depth=1
	s_andn2_saveexec_b64 s[2:3], s[0:1]
; %bb.212:                              ;   in Loop: Header=BB320_153 Depth=1
	v_or_b32_e32 v37, 0x10000, v31
	v_cmp_eq_u32_sdwa s[0:1], v31, v13 src0_sel:WORD_0 src1_sel:DWORD
	s_nop 1
	v_cndmask_b32_e64 v39, v37, v31, s[0:1]
; %bb.213:                              ;   in Loop: Header=BB320_153 Depth=1
	s_or_b64 exec, exec, s[2:3]
	v_lshrrev_b32_e32 v7, 24, v7
	v_cvt_f32_fp8_sdwa v7, v7 src0_sel:BYTE_0
                                        ; implicit-def: $vgpr40
	s_nop 0
	v_mul_f32_e32 v7, s27, v7
	v_and_b32_e32 v31, 0x7f800000, v7
	v_cmp_ne_u32_e64 s[0:1], s22, v31
	s_and_saveexec_b64 s[2:3], s[0:1]
	s_xor_b64 s[0:1], exec, s[2:3]
; %bb.214:                              ;   in Loop: Header=BB320_153 Depth=1
	v_bfe_u32 v31, v7, 16, 1
	v_add3_u32 v40, v7, v31, s23
                                        ; implicit-def: $vgpr7
; %bb.215:                              ;   in Loop: Header=BB320_153 Depth=1
	s_andn2_saveexec_b64 s[2:3], s[0:1]
; %bb.216:                              ;   in Loop: Header=BB320_153 Depth=1
	v_or_b32_e32 v31, 0x10000, v7
	v_cmp_eq_u32_sdwa s[0:1], v7, v13 src0_sel:WORD_0 src1_sel:DWORD
	s_nop 1
	v_cndmask_b32_e64 v40, v31, v7, s[0:1]
; %bb.217:                              ;   in Loop: Header=BB320_153 Depth=1
	s_or_b64 exec, exec, s[2:3]
	v_cmp_eq_u32_e64 s[0:1], s26, v1
	v_add_u32_e32 v31, -7, v23
	v_lshrrev_b32_e32 v38, 16, v36
	v_lshrrev_b32_e32 v37, 16, v35
	;; [unrolled: 1-line block ×8, first 2 shown]
	s_and_saveexec_b64 s[12:13], s[0:1]
	s_cbranch_execz .LBB320_219
; %bb.218:                              ;   in Loop: Header=BB320_153 Depth=1
	v_cmp_gt_i32_e64 s[2:3], s33, v31
	v_add_u32_e32 v34, -6, v23
	s_nop 0
	v_cndmask_b32_e64 v8, 0, v8, s[2:3]
	v_cmp_gt_i32_e64 s[2:3], s33, v34
	v_add_u32_e32 v34, -5, v23
	s_nop 0
	v_cndmask_b32_e64 v9, 0, v9, s[2:3]
	;; [unrolled: 4-line block ×6, first 2 shown]
	v_cmp_gt_i32_e64 s[2:3], s33, v34
	s_nop 1
	v_cndmask_b32_e64 v7, 0, v7, s[2:3]
	v_cmp_gt_i32_e64 s[2:3], s33, v23
	s_nop 1
	v_cndmask_b32_e64 v6, 0, v6, s[2:3]
.LBB320_219:                            ;   in Loop: Header=BB320_153 Depth=1
	s_or_b64 exec, exec, s[12:13]
	v_and_b32_e32 v32, 0xffff0000, v32
	v_lshlrev_b32_e32 v8, 16, v8
	v_mul_f32_e32 v34, v32, v8
	v_and_b32_e32 v8, 0x7f800000, v34
	v_cmp_ne_u32_e64 s[2:3], s22, v8
                                        ; implicit-def: $vgpr8
	s_and_saveexec_b64 s[12:13], s[2:3]
	s_xor_b64 s[2:3], exec, s[12:13]
; %bb.220:                              ;   in Loop: Header=BB320_153 Depth=1
	v_bfe_u32 v8, v34, 16, 1
	v_add3_u32 v8, v34, v8, s23
                                        ; implicit-def: $vgpr34
; %bb.221:                              ;   in Loop: Header=BB320_153 Depth=1
	s_andn2_saveexec_b64 s[12:13], s[2:3]
; %bb.222:                              ;   in Loop: Header=BB320_153 Depth=1
	v_or_b32_e32 v8, 0x10000, v34
	v_cmp_eq_u32_sdwa s[2:3], v34, v13 src0_sel:WORD_0 src1_sel:DWORD
	s_nop 1
	v_cndmask_b32_e64 v8, v8, v34, s[2:3]
; %bb.223:                              ;   in Loop: Header=BB320_153 Depth=1
	s_or_b64 exec, exec, s[12:13]
	v_and_b32_e32 v33, 0xffff0000, v33
	v_lshlrev_b32_e32 v9, 16, v9
	v_mul_f32_e32 v34, v33, v9
	v_and_b32_e32 v9, 0x7f800000, v34
	v_cmp_ne_u32_e64 s[2:3], s22, v9
                                        ; implicit-def: $vgpr9
	s_and_saveexec_b64 s[12:13], s[2:3]
	s_xor_b64 s[2:3], exec, s[12:13]
; %bb.224:                              ;   in Loop: Header=BB320_153 Depth=1
	v_bfe_u32 v9, v34, 16, 1
	v_add3_u32 v9, v34, v9, s23
                                        ; implicit-def: $vgpr34
; %bb.225:                              ;   in Loop: Header=BB320_153 Depth=1
	s_andn2_saveexec_b64 s[12:13], s[2:3]
; %bb.226:                              ;   in Loop: Header=BB320_153 Depth=1
	v_or_b32_e32 v9, 0x10000, v34
	v_cmp_eq_u32_sdwa s[2:3], v34, v13 src0_sel:WORD_0 src1_sel:DWORD
	s_nop 1
	v_cndmask_b32_e64 v9, v9, v34, s[2:3]
; %bb.227:                              ;   in Loop: Header=BB320_153 Depth=1
	s_or_b64 exec, exec, s[12:13]
	v_and_b32_e32 v34, 0xffff0000, v25
	v_lshlrev_b32_e32 v25, 16, v35
	v_mul_f32_e32 v35, v34, v25
	v_and_b32_e32 v25, 0x7f800000, v35
	v_cmp_ne_u32_e64 s[2:3], s22, v25
                                        ; implicit-def: $vgpr25
	s_and_saveexec_b64 s[12:13], s[2:3]
	s_xor_b64 s[2:3], exec, s[12:13]
; %bb.228:                              ;   in Loop: Header=BB320_153 Depth=1
	v_bfe_u32 v25, v35, 16, 1
	v_add3_u32 v25, v35, v25, s23
                                        ; implicit-def: $vgpr35
; %bb.229:                              ;   in Loop: Header=BB320_153 Depth=1
	s_andn2_saveexec_b64 s[12:13], s[2:3]
; %bb.230:                              ;   in Loop: Header=BB320_153 Depth=1
	v_or_b32_e32 v25, 0x10000, v35
	v_cmp_eq_u32_sdwa s[2:3], v35, v13 src0_sel:WORD_0 src1_sel:DWORD
	s_nop 1
	v_cndmask_b32_e64 v25, v25, v35, s[2:3]
; %bb.231:                              ;   in Loop: Header=BB320_153 Depth=1
	s_or_b64 exec, exec, s[12:13]
	v_and_b32_e32 v35, 0xffff0000, v26
	v_lshlrev_b32_e32 v26, 16, v36
	v_mul_f32_e32 v36, v35, v26
	v_and_b32_e32 v26, 0x7f800000, v36
	v_cmp_ne_u32_e64 s[2:3], s22, v26
                                        ; implicit-def: $vgpr26
	s_and_saveexec_b64 s[12:13], s[2:3]
	s_xor_b64 s[2:3], exec, s[12:13]
; %bb.232:                              ;   in Loop: Header=BB320_153 Depth=1
	v_bfe_u32 v26, v36, 16, 1
	v_add3_u32 v26, v36, v26, s23
                                        ; implicit-def: $vgpr36
; %bb.233:                              ;   in Loop: Header=BB320_153 Depth=1
	s_andn2_saveexec_b64 s[12:13], s[2:3]
; %bb.234:                              ;   in Loop: Header=BB320_153 Depth=1
	v_or_b32_e32 v26, 0x10000, v36
	v_cmp_eq_u32_sdwa s[2:3], v36, v13 src0_sel:WORD_0 src1_sel:DWORD
	s_nop 1
	v_cndmask_b32_e64 v26, v26, v36, s[2:3]
; %bb.235:                              ;   in Loop: Header=BB320_153 Depth=1
	s_or_b64 exec, exec, s[12:13]
	v_and_b32_e32 v36, 0xffff0000, v27
	v_lshlrev_b32_e32 v27, 16, v37
	v_mul_f32_e32 v37, v36, v27
	v_and_b32_e32 v27, 0x7f800000, v37
	v_cmp_ne_u32_e64 s[2:3], s22, v27
                                        ; implicit-def: $vgpr27
	s_and_saveexec_b64 s[12:13], s[2:3]
	s_xor_b64 s[2:3], exec, s[12:13]
; %bb.236:                              ;   in Loop: Header=BB320_153 Depth=1
	v_bfe_u32 v27, v37, 16, 1
	v_add3_u32 v27, v37, v27, s23
                                        ; implicit-def: $vgpr37
; %bb.237:                              ;   in Loop: Header=BB320_153 Depth=1
	s_andn2_saveexec_b64 s[12:13], s[2:3]
; %bb.238:                              ;   in Loop: Header=BB320_153 Depth=1
	v_or_b32_e32 v27, 0x10000, v37
	v_cmp_eq_u32_sdwa s[2:3], v37, v13 src0_sel:WORD_0 src1_sel:DWORD
	s_nop 1
	v_cndmask_b32_e64 v27, v27, v37, s[2:3]
; %bb.239:                              ;   in Loop: Header=BB320_153 Depth=1
	s_or_b64 exec, exec, s[12:13]
	v_and_b32_e32 v37, 0xffff0000, v28
	v_lshlrev_b32_e32 v28, 16, v38
	v_mul_f32_e32 v38, v37, v28
	v_and_b32_e32 v28, 0x7f800000, v38
	v_cmp_ne_u32_e64 s[2:3], s22, v28
                                        ; implicit-def: $vgpr28
	s_and_saveexec_b64 s[12:13], s[2:3]
	s_xor_b64 s[2:3], exec, s[12:13]
; %bb.240:                              ;   in Loop: Header=BB320_153 Depth=1
	v_bfe_u32 v28, v38, 16, 1
	v_add3_u32 v28, v38, v28, s23
                                        ; implicit-def: $vgpr38
; %bb.241:                              ;   in Loop: Header=BB320_153 Depth=1
	s_andn2_saveexec_b64 s[12:13], s[2:3]
; %bb.242:                              ;   in Loop: Header=BB320_153 Depth=1
	v_or_b32_e32 v28, 0x10000, v38
	v_cmp_eq_u32_sdwa s[2:3], v38, v13 src0_sel:WORD_0 src1_sel:DWORD
	s_nop 1
	v_cndmask_b32_e64 v28, v28, v38, s[2:3]
; %bb.243:                              ;   in Loop: Header=BB320_153 Depth=1
	s_or_b64 exec, exec, s[12:13]
	v_and_b32_e32 v38, 0xffff0000, v29
	v_lshlrev_b32_e32 v7, 16, v7
	v_mul_f32_e32 v7, v38, v7
	v_and_b32_e32 v29, 0x7f800000, v7
	v_cmp_ne_u32_e64 s[2:3], s22, v29
                                        ; implicit-def: $vgpr29
	s_and_saveexec_b64 s[12:13], s[2:3]
	s_xor_b64 s[2:3], exec, s[12:13]
; %bb.244:                              ;   in Loop: Header=BB320_153 Depth=1
	v_bfe_u32 v29, v7, 16, 1
	v_add3_u32 v29, v7, v29, s23
                                        ; implicit-def: $vgpr7
; %bb.245:                              ;   in Loop: Header=BB320_153 Depth=1
	s_andn2_saveexec_b64 s[12:13], s[2:3]
; %bb.246:                              ;   in Loop: Header=BB320_153 Depth=1
	v_or_b32_e32 v29, 0x10000, v7
	v_cmp_eq_u32_sdwa s[2:3], v7, v13 src0_sel:WORD_0 src1_sel:DWORD
	s_nop 1
	v_cndmask_b32_e64 v29, v29, v7, s[2:3]
; %bb.247:                              ;   in Loop: Header=BB320_153 Depth=1
	s_or_b64 exec, exec, s[12:13]
	v_and_b32_e32 v39, 0xffff0000, v30
	v_lshlrev_b32_e32 v6, 16, v6
	v_mul_f32_e32 v6, v39, v6
	v_and_b32_e32 v7, 0x7f800000, v6
	v_cmp_ne_u32_e64 s[2:3], s22, v7
                                        ; implicit-def: $vgpr30
	s_and_saveexec_b64 s[12:13], s[2:3]
	s_xor_b64 s[2:3], exec, s[12:13]
; %bb.248:                              ;   in Loop: Header=BB320_153 Depth=1
	v_bfe_u32 v7, v6, 16, 1
	v_add3_u32 v30, v6, v7, s23
                                        ; implicit-def: $vgpr6
; %bb.249:                              ;   in Loop: Header=BB320_153 Depth=1
	s_andn2_saveexec_b64 s[12:13], s[2:3]
; %bb.250:                              ;   in Loop: Header=BB320_153 Depth=1
	v_or_b32_e32 v7, 0x10000, v6
	v_cmp_eq_u32_sdwa s[2:3], v6, v13 src0_sel:WORD_0 src1_sel:DWORD
	s_nop 1
	v_cndmask_b32_e64 v30, v7, v6, s[2:3]
; %bb.251:                              ;   in Loop: Header=BB320_153 Depth=1
	s_or_b64 exec, exec, s[12:13]
	global_load_dwordx2 v[6:7], v[4:5], off offset:512
	s_waitcnt vmcnt(0)
	v_and_b32_e32 v40, 0xff, v6
	v_cvt_f32_fp8_sdwa v40, v40 src0_sel:BYTE_0
	s_nop 0
	v_mul_f32_e32 v41, s27, v40
	v_and_b32_e32 v40, 0x7f800000, v41
	v_cmp_ne_u32_e64 s[2:3], s22, v40
                                        ; implicit-def: $vgpr40
	s_and_saveexec_b64 s[12:13], s[2:3]
	s_xor_b64 s[2:3], exec, s[12:13]
; %bb.252:                              ;   in Loop: Header=BB320_153 Depth=1
	v_bfe_u32 v40, v41, 16, 1
	v_add3_u32 v40, v41, v40, s23
                                        ; implicit-def: $vgpr41
; %bb.253:                              ;   in Loop: Header=BB320_153 Depth=1
	s_andn2_saveexec_b64 s[12:13], s[2:3]
; %bb.254:                              ;   in Loop: Header=BB320_153 Depth=1
	v_or_b32_e32 v40, 0x10000, v41
	v_cmp_eq_u32_sdwa s[2:3], v41, v13 src0_sel:WORD_0 src1_sel:DWORD
	s_nop 1
	v_cndmask_b32_e64 v40, v40, v41, s[2:3]
; %bb.255:                              ;   in Loop: Header=BB320_153 Depth=1
	s_or_b64 exec, exec, s[12:13]
	v_bfe_u32 v41, v6, 8, 8
	v_cvt_f32_fp8_sdwa v41, v41 src0_sel:BYTE_0
	s_nop 0
	v_mul_f32_e32 v42, s27, v41
	v_and_b32_e32 v41, 0x7f800000, v42
	v_cmp_ne_u32_e64 s[2:3], s22, v41
                                        ; implicit-def: $vgpr41
	s_and_saveexec_b64 s[12:13], s[2:3]
	s_xor_b64 s[2:3], exec, s[12:13]
; %bb.256:                              ;   in Loop: Header=BB320_153 Depth=1
	v_bfe_u32 v41, v42, 16, 1
	v_add3_u32 v41, v42, v41, s23
                                        ; implicit-def: $vgpr42
; %bb.257:                              ;   in Loop: Header=BB320_153 Depth=1
	s_andn2_saveexec_b64 s[12:13], s[2:3]
; %bb.258:                              ;   in Loop: Header=BB320_153 Depth=1
	v_or_b32_e32 v41, 0x10000, v42
	v_cmp_eq_u32_sdwa s[2:3], v42, v13 src0_sel:WORD_0 src1_sel:DWORD
	s_nop 1
	v_cndmask_b32_e64 v41, v41, v42, s[2:3]
; %bb.259:                              ;   in Loop: Header=BB320_153 Depth=1
	s_or_b64 exec, exec, s[12:13]
	v_bfe_u32 v42, v6, 16, 8
	v_cvt_f32_fp8_sdwa v42, v42 src0_sel:BYTE_0
	s_nop 0
	v_mul_f32_e32 v43, s27, v42
	v_and_b32_e32 v42, 0x7f800000, v43
	v_cmp_ne_u32_e64 s[2:3], s22, v42
                                        ; implicit-def: $vgpr42
	s_and_saveexec_b64 s[12:13], s[2:3]
	s_xor_b64 s[2:3], exec, s[12:13]
; %bb.260:                              ;   in Loop: Header=BB320_153 Depth=1
	v_bfe_u32 v42, v43, 16, 1
	v_add3_u32 v42, v43, v42, s23
                                        ; implicit-def: $vgpr43
; %bb.261:                              ;   in Loop: Header=BB320_153 Depth=1
	s_andn2_saveexec_b64 s[12:13], s[2:3]
; %bb.262:                              ;   in Loop: Header=BB320_153 Depth=1
	v_or_b32_e32 v42, 0x10000, v43
	v_cmp_eq_u32_sdwa s[2:3], v43, v13 src0_sel:WORD_0 src1_sel:DWORD
	s_nop 1
	v_cndmask_b32_e64 v42, v42, v43, s[2:3]
; %bb.263:                              ;   in Loop: Header=BB320_153 Depth=1
	s_or_b64 exec, exec, s[12:13]
	v_lshrrev_b32_e32 v6, 24, v6
	v_cvt_f32_fp8_sdwa v6, v6 src0_sel:BYTE_0
	s_nop 0
	v_mul_f32_e32 v43, s27, v6
	v_and_b32_e32 v6, 0x7f800000, v43
	v_cmp_ne_u32_e64 s[2:3], s22, v6
                                        ; implicit-def: $vgpr6
	s_and_saveexec_b64 s[12:13], s[2:3]
	s_xor_b64 s[2:3], exec, s[12:13]
; %bb.264:                              ;   in Loop: Header=BB320_153 Depth=1
	v_bfe_u32 v6, v43, 16, 1
	v_add3_u32 v6, v43, v6, s23
                                        ; implicit-def: $vgpr43
; %bb.265:                              ;   in Loop: Header=BB320_153 Depth=1
	s_andn2_saveexec_b64 s[12:13], s[2:3]
; %bb.266:                              ;   in Loop: Header=BB320_153 Depth=1
	v_or_b32_e32 v6, 0x10000, v43
	v_cmp_eq_u32_sdwa s[2:3], v43, v13 src0_sel:WORD_0 src1_sel:DWORD
	s_nop 1
	v_cndmask_b32_e64 v6, v6, v43, s[2:3]
; %bb.267:                              ;   in Loop: Header=BB320_153 Depth=1
	s_or_b64 exec, exec, s[12:13]
	v_and_b32_e32 v43, 0xff, v7
	v_cvt_f32_fp8_sdwa v43, v43 src0_sel:BYTE_0
	s_nop 0
	v_mul_f32_e32 v43, s27, v43
	v_and_b32_e32 v44, 0x7f800000, v43
	v_cmp_ne_u32_e64 s[2:3], s22, v44
                                        ; implicit-def: $vgpr44
	s_and_saveexec_b64 s[12:13], s[2:3]
	s_xor_b64 s[2:3], exec, s[12:13]
; %bb.268:                              ;   in Loop: Header=BB320_153 Depth=1
	v_bfe_u32 v44, v43, 16, 1
	v_add3_u32 v44, v43, v44, s23
                                        ; implicit-def: $vgpr43
; %bb.269:                              ;   in Loop: Header=BB320_153 Depth=1
	s_andn2_saveexec_b64 s[12:13], s[2:3]
; %bb.270:                              ;   in Loop: Header=BB320_153 Depth=1
	v_or_b32_e32 v44, 0x10000, v43
	v_cmp_eq_u32_sdwa s[2:3], v43, v13 src0_sel:WORD_0 src1_sel:DWORD
	s_nop 1
	v_cndmask_b32_e64 v44, v44, v43, s[2:3]
; %bb.271:                              ;   in Loop: Header=BB320_153 Depth=1
	s_or_b64 exec, exec, s[12:13]
	v_bfe_u32 v43, v7, 8, 8
	v_cvt_f32_fp8_sdwa v43, v43 src0_sel:BYTE_0
	s_nop 0
	v_mul_f32_e32 v45, s27, v43
	v_and_b32_e32 v43, 0x7f800000, v45
	v_cmp_ne_u32_e64 s[2:3], s22, v43
                                        ; implicit-def: $vgpr43
	s_and_saveexec_b64 s[12:13], s[2:3]
	s_xor_b64 s[2:3], exec, s[12:13]
; %bb.272:                              ;   in Loop: Header=BB320_153 Depth=1
	v_bfe_u32 v43, v45, 16, 1
	v_add3_u32 v43, v45, v43, s23
                                        ; implicit-def: $vgpr45
; %bb.273:                              ;   in Loop: Header=BB320_153 Depth=1
	s_andn2_saveexec_b64 s[12:13], s[2:3]
; %bb.274:                              ;   in Loop: Header=BB320_153 Depth=1
	v_or_b32_e32 v43, 0x10000, v45
	v_cmp_eq_u32_sdwa s[2:3], v45, v13 src0_sel:WORD_0 src1_sel:DWORD
	s_nop 1
	v_cndmask_b32_e64 v43, v43, v45, s[2:3]
; %bb.275:                              ;   in Loop: Header=BB320_153 Depth=1
	s_or_b64 exec, exec, s[12:13]
	v_bfe_u32 v45, v7, 16, 8
	v_cvt_f32_fp8_sdwa v45, v45 src0_sel:BYTE_0
	s_nop 0
	v_mul_f32_e32 v46, s27, v45
	v_and_b32_e32 v45, 0x7f800000, v46
	v_cmp_ne_u32_e64 s[2:3], s22, v45
                                        ; implicit-def: $vgpr45
	s_and_saveexec_b64 s[12:13], s[2:3]
	s_xor_b64 s[2:3], exec, s[12:13]
; %bb.276:                              ;   in Loop: Header=BB320_153 Depth=1
	v_bfe_u32 v45, v46, 16, 1
	v_add3_u32 v45, v46, v45, s23
                                        ; implicit-def: $vgpr46
; %bb.277:                              ;   in Loop: Header=BB320_153 Depth=1
	s_andn2_saveexec_b64 s[12:13], s[2:3]
; %bb.278:                              ;   in Loop: Header=BB320_153 Depth=1
	v_or_b32_e32 v45, 0x10000, v46
	v_cmp_eq_u32_sdwa s[2:3], v46, v13 src0_sel:WORD_0 src1_sel:DWORD
	s_nop 1
	v_cndmask_b32_e64 v45, v45, v46, s[2:3]
; %bb.279:                              ;   in Loop: Header=BB320_153 Depth=1
	s_or_b64 exec, exec, s[12:13]
	v_lshrrev_b32_e32 v7, 24, v7
	v_cvt_f32_fp8_sdwa v7, v7 src0_sel:BYTE_0
                                        ; implicit-def: $vgpr48
	s_nop 0
	v_mul_f32_e32 v7, s27, v7
	v_and_b32_e32 v46, 0x7f800000, v7
	v_cmp_ne_u32_e64 s[2:3], s22, v46
	s_and_saveexec_b64 s[12:13], s[2:3]
	s_xor_b64 s[2:3], exec, s[12:13]
; %bb.280:                              ;   in Loop: Header=BB320_153 Depth=1
	v_bfe_u32 v46, v7, 16, 1
	v_add3_u32 v48, v7, v46, s23
                                        ; implicit-def: $vgpr7
; %bb.281:                              ;   in Loop: Header=BB320_153 Depth=1
	s_andn2_saveexec_b64 s[12:13], s[2:3]
; %bb.282:                              ;   in Loop: Header=BB320_153 Depth=1
	v_or_b32_e32 v46, 0x10000, v7
	v_cmp_eq_u32_sdwa s[2:3], v7, v13 src0_sel:WORD_0 src1_sel:DWORD
	s_nop 1
	v_cndmask_b32_e64 v48, v46, v7, s[2:3]
; %bb.283:                              ;   in Loop: Header=BB320_153 Depth=1
	s_or_b64 exec, exec, s[12:13]
	v_lshrrev_b32_e32 v43, 16, v43
	v_lshrrev_b32_e32 v46, 16, v44
	v_lshrrev_b32_e32 v47, 16, v6
	v_lshrrev_b32_e32 v42, 16, v42
	v_lshrrev_b32_e32 v7, 16, v41
	v_lshrrev_b32_e32 v6, 16, v40
	v_lshrrev_b32_e32 v44, 16, v45
	v_lshrrev_b32_e32 v45, 16, v48
	s_and_saveexec_b64 s[12:13], s[0:1]
	s_cbranch_execz .LBB320_285
; %bb.284:                              ;   in Loop: Header=BB320_153 Depth=1
	v_cmp_gt_i32_e64 s[2:3], s33, v31
	v_add_u32_e32 v40, -6, v23
	s_nop 0
	v_cndmask_b32_e64 v6, 0, v6, s[2:3]
	v_cmp_gt_i32_e64 s[2:3], s33, v40
	v_add_u32_e32 v40, -5, v23
	s_nop 0
	v_cndmask_b32_e64 v7, 0, v7, s[2:3]
	;; [unrolled: 4-line block ×6, first 2 shown]
	v_cmp_gt_i32_e64 s[2:3], s33, v40
	s_nop 1
	v_cndmask_b32_e64 v44, 0, v44, s[2:3]
	v_cmp_gt_i32_e64 s[2:3], s33, v23
	s_nop 1
	v_cndmask_b32_e64 v45, 0, v45, s[2:3]
.LBB320_285:                            ;   in Loop: Header=BB320_153 Depth=1
	s_or_b64 exec, exec, s[12:13]
	v_lshlrev_b32_e32 v6, 16, v6
	v_mul_f32_e32 v40, v32, v6
	v_and_b32_e32 v6, 0x7f800000, v40
	v_cmp_ne_u32_e64 s[2:3], s22, v6
                                        ; implicit-def: $vgpr6
	s_and_saveexec_b64 s[12:13], s[2:3]
	s_xor_b64 s[2:3], exec, s[12:13]
; %bb.286:                              ;   in Loop: Header=BB320_153 Depth=1
	v_bfe_u32 v6, v40, 16, 1
	v_add3_u32 v6, v40, v6, s23
                                        ; implicit-def: $vgpr40
; %bb.287:                              ;   in Loop: Header=BB320_153 Depth=1
	s_andn2_saveexec_b64 s[12:13], s[2:3]
; %bb.288:                              ;   in Loop: Header=BB320_153 Depth=1
	v_or_b32_e32 v6, 0x10000, v40
	v_cmp_eq_u32_sdwa s[2:3], v40, v13 src0_sel:WORD_0 src1_sel:DWORD
	s_nop 1
	v_cndmask_b32_e64 v6, v6, v40, s[2:3]
; %bb.289:                              ;   in Loop: Header=BB320_153 Depth=1
	s_or_b64 exec, exec, s[12:13]
	v_lshlrev_b32_e32 v7, 16, v7
	v_mul_f32_e32 v40, v33, v7
	v_and_b32_e32 v7, 0x7f800000, v40
	v_cmp_ne_u32_e64 s[2:3], s22, v7
                                        ; implicit-def: $vgpr7
	s_and_saveexec_b64 s[12:13], s[2:3]
	s_xor_b64 s[2:3], exec, s[12:13]
; %bb.290:                              ;   in Loop: Header=BB320_153 Depth=1
	v_bfe_u32 v7, v40, 16, 1
	v_add3_u32 v7, v40, v7, s23
                                        ; implicit-def: $vgpr40
; %bb.291:                              ;   in Loop: Header=BB320_153 Depth=1
	s_andn2_saveexec_b64 s[12:13], s[2:3]
; %bb.292:                              ;   in Loop: Header=BB320_153 Depth=1
	v_or_b32_e32 v7, 0x10000, v40
	v_cmp_eq_u32_sdwa s[2:3], v40, v13 src0_sel:WORD_0 src1_sel:DWORD
	s_nop 1
	v_cndmask_b32_e64 v7, v7, v40, s[2:3]
; %bb.293:                              ;   in Loop: Header=BB320_153 Depth=1
	s_or_b64 exec, exec, s[12:13]
	v_lshlrev_b32_e32 v40, 16, v42
	v_mul_f32_e32 v41, v34, v40
	v_and_b32_e32 v40, 0x7f800000, v41
	v_cmp_ne_u32_e64 s[2:3], s22, v40
                                        ; implicit-def: $vgpr40
	s_and_saveexec_b64 s[12:13], s[2:3]
	s_xor_b64 s[2:3], exec, s[12:13]
; %bb.294:                              ;   in Loop: Header=BB320_153 Depth=1
	v_bfe_u32 v40, v41, 16, 1
	v_add3_u32 v40, v41, v40, s23
                                        ; implicit-def: $vgpr41
; %bb.295:                              ;   in Loop: Header=BB320_153 Depth=1
	s_andn2_saveexec_b64 s[12:13], s[2:3]
; %bb.296:                              ;   in Loop: Header=BB320_153 Depth=1
	v_or_b32_e32 v40, 0x10000, v41
	v_cmp_eq_u32_sdwa s[2:3], v41, v13 src0_sel:WORD_0 src1_sel:DWORD
	s_nop 1
	v_cndmask_b32_e64 v40, v40, v41, s[2:3]
; %bb.297:                              ;   in Loop: Header=BB320_153 Depth=1
	s_or_b64 exec, exec, s[12:13]
	v_lshlrev_b32_e32 v41, 16, v47
	v_mul_f32_e32 v42, v35, v41
	v_and_b32_e32 v41, 0x7f800000, v42
	v_cmp_ne_u32_e64 s[2:3], s22, v41
                                        ; implicit-def: $vgpr41
	s_and_saveexec_b64 s[12:13], s[2:3]
	s_xor_b64 s[2:3], exec, s[12:13]
; %bb.298:                              ;   in Loop: Header=BB320_153 Depth=1
	v_bfe_u32 v41, v42, 16, 1
	v_add3_u32 v41, v42, v41, s23
                                        ; implicit-def: $vgpr42
; %bb.299:                              ;   in Loop: Header=BB320_153 Depth=1
	s_andn2_saveexec_b64 s[12:13], s[2:3]
; %bb.300:                              ;   in Loop: Header=BB320_153 Depth=1
	v_or_b32_e32 v41, 0x10000, v42
	v_cmp_eq_u32_sdwa s[2:3], v42, v13 src0_sel:WORD_0 src1_sel:DWORD
	s_nop 1
	v_cndmask_b32_e64 v41, v41, v42, s[2:3]
; %bb.301:                              ;   in Loop: Header=BB320_153 Depth=1
	s_or_b64 exec, exec, s[12:13]
	v_lshlrev_b32_e32 v42, 16, v46
	v_mul_f32_e32 v46, v36, v42
	v_and_b32_e32 v42, 0x7f800000, v46
	v_cmp_ne_u32_e64 s[2:3], s22, v42
                                        ; implicit-def: $vgpr42
	s_and_saveexec_b64 s[12:13], s[2:3]
	s_xor_b64 s[2:3], exec, s[12:13]
; %bb.302:                              ;   in Loop: Header=BB320_153 Depth=1
	v_bfe_u32 v42, v46, 16, 1
	v_add3_u32 v42, v46, v42, s23
                                        ; implicit-def: $vgpr46
; %bb.303:                              ;   in Loop: Header=BB320_153 Depth=1
	s_andn2_saveexec_b64 s[12:13], s[2:3]
; %bb.304:                              ;   in Loop: Header=BB320_153 Depth=1
	v_or_b32_e32 v42, 0x10000, v46
	v_cmp_eq_u32_sdwa s[2:3], v46, v13 src0_sel:WORD_0 src1_sel:DWORD
	s_nop 1
	v_cndmask_b32_e64 v42, v42, v46, s[2:3]
; %bb.305:                              ;   in Loop: Header=BB320_153 Depth=1
	s_or_b64 exec, exec, s[12:13]
	v_lshlrev_b32_e32 v43, 16, v43
	v_mul_f32_e32 v46, v37, v43
	v_and_b32_e32 v43, 0x7f800000, v46
	v_cmp_ne_u32_e64 s[2:3], s22, v43
                                        ; implicit-def: $vgpr43
	s_and_saveexec_b64 s[12:13], s[2:3]
	s_xor_b64 s[2:3], exec, s[12:13]
; %bb.306:                              ;   in Loop: Header=BB320_153 Depth=1
	v_bfe_u32 v43, v46, 16, 1
	v_add3_u32 v43, v46, v43, s23
                                        ; implicit-def: $vgpr46
; %bb.307:                              ;   in Loop: Header=BB320_153 Depth=1
	s_andn2_saveexec_b64 s[12:13], s[2:3]
; %bb.308:                              ;   in Loop: Header=BB320_153 Depth=1
	v_or_b32_e32 v43, 0x10000, v46
	v_cmp_eq_u32_sdwa s[2:3], v46, v13 src0_sel:WORD_0 src1_sel:DWORD
	s_nop 1
	v_cndmask_b32_e64 v43, v43, v46, s[2:3]
; %bb.309:                              ;   in Loop: Header=BB320_153 Depth=1
	s_or_b64 exec, exec, s[12:13]
	v_lshlrev_b32_e32 v44, 16, v44
	v_mul_f32_e32 v46, v38, v44
	v_and_b32_e32 v44, 0x7f800000, v46
	v_cmp_ne_u32_e64 s[2:3], s22, v44
                                        ; implicit-def: $vgpr44
	s_and_saveexec_b64 s[12:13], s[2:3]
	s_xor_b64 s[2:3], exec, s[12:13]
; %bb.310:                              ;   in Loop: Header=BB320_153 Depth=1
	v_bfe_u32 v44, v46, 16, 1
	v_add3_u32 v44, v46, v44, s23
                                        ; implicit-def: $vgpr46
; %bb.311:                              ;   in Loop: Header=BB320_153 Depth=1
	s_andn2_saveexec_b64 s[12:13], s[2:3]
; %bb.312:                              ;   in Loop: Header=BB320_153 Depth=1
	v_or_b32_e32 v44, 0x10000, v46
	v_cmp_eq_u32_sdwa s[2:3], v46, v13 src0_sel:WORD_0 src1_sel:DWORD
	s_nop 1
	v_cndmask_b32_e64 v44, v44, v46, s[2:3]
; %bb.313:                              ;   in Loop: Header=BB320_153 Depth=1
	s_or_b64 exec, exec, s[12:13]
	v_lshlrev_b32_e32 v45, 16, v45
	v_mul_f32_e32 v46, v39, v45
	v_and_b32_e32 v45, 0x7f800000, v46
	v_cmp_ne_u32_e64 s[2:3], s22, v45
                                        ; implicit-def: $vgpr45
	s_and_saveexec_b64 s[12:13], s[2:3]
	s_xor_b64 s[2:3], exec, s[12:13]
; %bb.314:                              ;   in Loop: Header=BB320_153 Depth=1
	v_bfe_u32 v45, v46, 16, 1
	v_add3_u32 v45, v46, v45, s23
                                        ; implicit-def: $vgpr46
; %bb.315:                              ;   in Loop: Header=BB320_153 Depth=1
	s_andn2_saveexec_b64 s[12:13], s[2:3]
; %bb.316:                              ;   in Loop: Header=BB320_153 Depth=1
	v_or_b32_e32 v45, 0x10000, v46
	v_cmp_eq_u32_sdwa s[2:3], v46, v13 src0_sel:WORD_0 src1_sel:DWORD
	s_nop 1
	v_cndmask_b32_e64 v45, v45, v46, s[2:3]
; %bb.317:                              ;   in Loop: Header=BB320_153 Depth=1
	s_or_b64 exec, exec, s[12:13]
	global_load_dwordx2 v[4:5], v[4:5], off offset:1024
	s_waitcnt vmcnt(0)
	v_and_b32_e32 v46, 0xff, v4
	v_cvt_f32_fp8_sdwa v46, v46 src0_sel:BYTE_0
	s_nop 0
	v_mul_f32_e32 v47, s27, v46
	v_and_b32_e32 v46, 0x7f800000, v47
	v_cmp_ne_u32_e64 s[2:3], s22, v46
                                        ; implicit-def: $vgpr46
	s_and_saveexec_b64 s[12:13], s[2:3]
	s_xor_b64 s[2:3], exec, s[12:13]
; %bb.318:                              ;   in Loop: Header=BB320_153 Depth=1
	v_bfe_u32 v46, v47, 16, 1
	v_add3_u32 v46, v47, v46, s23
                                        ; implicit-def: $vgpr47
; %bb.319:                              ;   in Loop: Header=BB320_153 Depth=1
	s_andn2_saveexec_b64 s[12:13], s[2:3]
; %bb.320:                              ;   in Loop: Header=BB320_153 Depth=1
	v_or_b32_e32 v46, 0x10000, v47
	v_cmp_eq_u32_sdwa s[2:3], v47, v13 src0_sel:WORD_0 src1_sel:DWORD
	s_nop 1
	v_cndmask_b32_e64 v46, v46, v47, s[2:3]
; %bb.321:                              ;   in Loop: Header=BB320_153 Depth=1
	s_or_b64 exec, exec, s[12:13]
	v_bfe_u32 v47, v4, 8, 8
	v_cvt_f32_fp8_sdwa v47, v47 src0_sel:BYTE_0
	s_nop 0
	v_mul_f32_e32 v48, s27, v47
	v_and_b32_e32 v47, 0x7f800000, v48
	v_cmp_ne_u32_e64 s[2:3], s22, v47
                                        ; implicit-def: $vgpr47
	s_and_saveexec_b64 s[12:13], s[2:3]
	s_xor_b64 s[2:3], exec, s[12:13]
; %bb.322:                              ;   in Loop: Header=BB320_153 Depth=1
	v_bfe_u32 v47, v48, 16, 1
	v_add3_u32 v47, v48, v47, s23
                                        ; implicit-def: $vgpr48
; %bb.323:                              ;   in Loop: Header=BB320_153 Depth=1
	s_andn2_saveexec_b64 s[12:13], s[2:3]
; %bb.324:                              ;   in Loop: Header=BB320_153 Depth=1
	v_or_b32_e32 v47, 0x10000, v48
	v_cmp_eq_u32_sdwa s[2:3], v48, v13 src0_sel:WORD_0 src1_sel:DWORD
	s_nop 1
	v_cndmask_b32_e64 v47, v47, v48, s[2:3]
; %bb.325:                              ;   in Loop: Header=BB320_153 Depth=1
	s_or_b64 exec, exec, s[12:13]
	v_bfe_u32 v48, v4, 16, 8
	v_cvt_f32_fp8_sdwa v48, v48 src0_sel:BYTE_0
	s_nop 0
	v_mul_f32_e32 v49, s27, v48
	v_and_b32_e32 v48, 0x7f800000, v49
	v_cmp_ne_u32_e64 s[2:3], s22, v48
                                        ; implicit-def: $vgpr48
	s_and_saveexec_b64 s[12:13], s[2:3]
	s_xor_b64 s[2:3], exec, s[12:13]
; %bb.326:                              ;   in Loop: Header=BB320_153 Depth=1
	v_bfe_u32 v48, v49, 16, 1
	v_add3_u32 v48, v49, v48, s23
                                        ; implicit-def: $vgpr49
; %bb.327:                              ;   in Loop: Header=BB320_153 Depth=1
	s_andn2_saveexec_b64 s[12:13], s[2:3]
; %bb.328:                              ;   in Loop: Header=BB320_153 Depth=1
	v_or_b32_e32 v48, 0x10000, v49
	v_cmp_eq_u32_sdwa s[2:3], v49, v13 src0_sel:WORD_0 src1_sel:DWORD
	s_nop 1
	v_cndmask_b32_e64 v48, v48, v49, s[2:3]
; %bb.329:                              ;   in Loop: Header=BB320_153 Depth=1
	s_or_b64 exec, exec, s[12:13]
	v_lshrrev_b32_e32 v4, 24, v4
	v_cvt_f32_fp8_sdwa v4, v4 src0_sel:BYTE_0
	s_nop 0
	v_mul_f32_e32 v49, s27, v4
	v_and_b32_e32 v4, 0x7f800000, v49
	v_cmp_ne_u32_e64 s[2:3], s22, v4
                                        ; implicit-def: $vgpr4
	s_and_saveexec_b64 s[12:13], s[2:3]
	s_xor_b64 s[2:3], exec, s[12:13]
; %bb.330:                              ;   in Loop: Header=BB320_153 Depth=1
	v_bfe_u32 v4, v49, 16, 1
	v_add3_u32 v4, v49, v4, s23
                                        ; implicit-def: $vgpr49
; %bb.331:                              ;   in Loop: Header=BB320_153 Depth=1
	s_andn2_saveexec_b64 s[12:13], s[2:3]
; %bb.332:                              ;   in Loop: Header=BB320_153 Depth=1
	v_or_b32_e32 v4, 0x10000, v49
	v_cmp_eq_u32_sdwa s[2:3], v49, v13 src0_sel:WORD_0 src1_sel:DWORD
	s_nop 1
	v_cndmask_b32_e64 v4, v4, v49, s[2:3]
; %bb.333:                              ;   in Loop: Header=BB320_153 Depth=1
	s_or_b64 exec, exec, s[12:13]
	v_and_b32_e32 v49, 0xff, v5
	v_cvt_f32_fp8_sdwa v49, v49 src0_sel:BYTE_0
	s_nop 0
	v_mul_f32_e32 v49, s27, v49
	v_and_b32_e32 v50, 0x7f800000, v49
	v_cmp_ne_u32_e64 s[2:3], s22, v50
                                        ; implicit-def: $vgpr50
	s_and_saveexec_b64 s[12:13], s[2:3]
	s_xor_b64 s[2:3], exec, s[12:13]
; %bb.334:                              ;   in Loop: Header=BB320_153 Depth=1
	v_bfe_u32 v50, v49, 16, 1
	v_add3_u32 v50, v49, v50, s23
                                        ; implicit-def: $vgpr49
; %bb.335:                              ;   in Loop: Header=BB320_153 Depth=1
	s_andn2_saveexec_b64 s[12:13], s[2:3]
; %bb.336:                              ;   in Loop: Header=BB320_153 Depth=1
	v_or_b32_e32 v50, 0x10000, v49
	v_cmp_eq_u32_sdwa s[2:3], v49, v13 src0_sel:WORD_0 src1_sel:DWORD
	s_nop 1
	v_cndmask_b32_e64 v50, v50, v49, s[2:3]
; %bb.337:                              ;   in Loop: Header=BB320_153 Depth=1
	s_or_b64 exec, exec, s[12:13]
	v_bfe_u32 v49, v5, 8, 8
	v_cvt_f32_fp8_sdwa v49, v49 src0_sel:BYTE_0
	s_nop 0
	v_mul_f32_e32 v51, s27, v49
	v_and_b32_e32 v49, 0x7f800000, v51
	v_cmp_ne_u32_e64 s[2:3], s22, v49
                                        ; implicit-def: $vgpr49
	s_and_saveexec_b64 s[12:13], s[2:3]
	s_xor_b64 s[2:3], exec, s[12:13]
; %bb.338:                              ;   in Loop: Header=BB320_153 Depth=1
	v_bfe_u32 v49, v51, 16, 1
	v_add3_u32 v49, v51, v49, s23
                                        ; implicit-def: $vgpr51
; %bb.339:                              ;   in Loop: Header=BB320_153 Depth=1
	s_andn2_saveexec_b64 s[12:13], s[2:3]
; %bb.340:                              ;   in Loop: Header=BB320_153 Depth=1
	v_or_b32_e32 v49, 0x10000, v51
	v_cmp_eq_u32_sdwa s[2:3], v51, v13 src0_sel:WORD_0 src1_sel:DWORD
	s_nop 1
	v_cndmask_b32_e64 v49, v49, v51, s[2:3]
; %bb.341:                              ;   in Loop: Header=BB320_153 Depth=1
	s_or_b64 exec, exec, s[12:13]
	v_bfe_u32 v51, v5, 16, 8
	v_cvt_f32_fp8_sdwa v51, v51 src0_sel:BYTE_0
	s_nop 0
	v_mul_f32_e32 v52, s27, v51
	v_and_b32_e32 v51, 0x7f800000, v52
	v_cmp_ne_u32_e64 s[2:3], s22, v51
                                        ; implicit-def: $vgpr51
	s_and_saveexec_b64 s[12:13], s[2:3]
	s_xor_b64 s[2:3], exec, s[12:13]
; %bb.342:                              ;   in Loop: Header=BB320_153 Depth=1
	v_bfe_u32 v51, v52, 16, 1
	v_add3_u32 v51, v52, v51, s23
                                        ; implicit-def: $vgpr52
; %bb.343:                              ;   in Loop: Header=BB320_153 Depth=1
	s_andn2_saveexec_b64 s[12:13], s[2:3]
; %bb.344:                              ;   in Loop: Header=BB320_153 Depth=1
	v_or_b32_e32 v51, 0x10000, v52
	v_cmp_eq_u32_sdwa s[2:3], v52, v13 src0_sel:WORD_0 src1_sel:DWORD
	s_nop 1
	v_cndmask_b32_e64 v51, v51, v52, s[2:3]
; %bb.345:                              ;   in Loop: Header=BB320_153 Depth=1
	s_or_b64 exec, exec, s[12:13]
	v_lshrrev_b32_e32 v5, 24, v5
	v_cvt_f32_fp8_sdwa v5, v5 src0_sel:BYTE_0
                                        ; implicit-def: $vgpr54
	s_nop 0
	v_mul_f32_e32 v5, s27, v5
	v_and_b32_e32 v52, 0x7f800000, v5
	v_cmp_ne_u32_e64 s[2:3], s22, v52
	s_and_saveexec_b64 s[12:13], s[2:3]
	s_xor_b64 s[2:3], exec, s[12:13]
; %bb.346:                              ;   in Loop: Header=BB320_153 Depth=1
	v_bfe_u32 v52, v5, 16, 1
	v_add3_u32 v54, v5, v52, s23
                                        ; implicit-def: $vgpr5
; %bb.347:                              ;   in Loop: Header=BB320_153 Depth=1
	s_andn2_saveexec_b64 s[12:13], s[2:3]
; %bb.348:                              ;   in Loop: Header=BB320_153 Depth=1
	v_or_b32_e32 v52, 0x10000, v5
	v_cmp_eq_u32_sdwa s[2:3], v5, v13 src0_sel:WORD_0 src1_sel:DWORD
	s_nop 1
	v_cndmask_b32_e64 v54, v52, v5, s[2:3]
; %bb.349:                              ;   in Loop: Header=BB320_153 Depth=1
	s_or_b64 exec, exec, s[12:13]
	v_lshrrev_b32_e32 v49, 16, v49
	v_lshrrev_b32_e32 v52, 16, v50
	;; [unrolled: 1-line block ×8, first 2 shown]
	s_and_saveexec_b64 s[12:13], s[0:1]
	s_cbranch_execz .LBB320_351
; %bb.350:                              ;   in Loop: Header=BB320_153 Depth=1
	v_cmp_gt_i32_e64 s[2:3], s33, v31
	v_add_u32_e32 v46, -6, v23
	s_nop 0
	v_cndmask_b32_e64 v4, 0, v4, s[2:3]
	v_cmp_gt_i32_e64 s[2:3], s33, v46
	v_add_u32_e32 v46, -5, v23
	s_nop 0
	v_cndmask_b32_e64 v5, 0, v5, s[2:3]
	;; [unrolled: 4-line block ×6, first 2 shown]
	v_cmp_gt_i32_e64 s[2:3], s33, v46
	s_nop 1
	v_cndmask_b32_e64 v50, 0, v50, s[2:3]
	v_cmp_gt_i32_e64 s[2:3], s33, v23
	s_nop 1
	v_cndmask_b32_e64 v51, 0, v51, s[2:3]
.LBB320_351:                            ;   in Loop: Header=BB320_153 Depth=1
	s_or_b64 exec, exec, s[12:13]
	v_lshlrev_b32_e32 v4, 16, v4
	v_mul_f32_e32 v46, v32, v4
	v_and_b32_e32 v4, 0x7f800000, v46
	v_cmp_ne_u32_e64 s[2:3], s22, v4
                                        ; implicit-def: $vgpr4
	s_and_saveexec_b64 s[12:13], s[2:3]
	s_xor_b64 s[2:3], exec, s[12:13]
; %bb.352:                              ;   in Loop: Header=BB320_153 Depth=1
	v_bfe_u32 v4, v46, 16, 1
	v_add3_u32 v4, v46, v4, s23
                                        ; implicit-def: $vgpr46
; %bb.353:                              ;   in Loop: Header=BB320_153 Depth=1
	s_andn2_saveexec_b64 s[12:13], s[2:3]
; %bb.354:                              ;   in Loop: Header=BB320_153 Depth=1
	v_or_b32_e32 v4, 0x10000, v46
	v_cmp_eq_u32_sdwa s[2:3], v46, v13 src0_sel:WORD_0 src1_sel:DWORD
	s_nop 1
	v_cndmask_b32_e64 v4, v4, v46, s[2:3]
; %bb.355:                              ;   in Loop: Header=BB320_153 Depth=1
	s_or_b64 exec, exec, s[12:13]
	v_lshlrev_b32_e32 v5, 16, v5
	v_mul_f32_e32 v46, v33, v5
	v_and_b32_e32 v5, 0x7f800000, v46
	v_cmp_ne_u32_e64 s[2:3], s22, v5
                                        ; implicit-def: $vgpr5
	s_and_saveexec_b64 s[12:13], s[2:3]
	s_xor_b64 s[2:3], exec, s[12:13]
; %bb.356:                              ;   in Loop: Header=BB320_153 Depth=1
	v_bfe_u32 v5, v46, 16, 1
	v_add3_u32 v5, v46, v5, s23
                                        ; implicit-def: $vgpr46
; %bb.357:                              ;   in Loop: Header=BB320_153 Depth=1
	s_andn2_saveexec_b64 s[12:13], s[2:3]
; %bb.358:                              ;   in Loop: Header=BB320_153 Depth=1
	v_or_b32_e32 v5, 0x10000, v46
	v_cmp_eq_u32_sdwa s[2:3], v46, v13 src0_sel:WORD_0 src1_sel:DWORD
	s_nop 1
	v_cndmask_b32_e64 v5, v5, v46, s[2:3]
; %bb.359:                              ;   in Loop: Header=BB320_153 Depth=1
	s_or_b64 exec, exec, s[12:13]
	v_lshlrev_b32_e32 v46, 16, v48
	v_mul_f32_e32 v47, v34, v46
	v_and_b32_e32 v46, 0x7f800000, v47
	v_cmp_ne_u32_e64 s[2:3], s22, v46
                                        ; implicit-def: $vgpr46
	s_and_saveexec_b64 s[12:13], s[2:3]
	s_xor_b64 s[2:3], exec, s[12:13]
; %bb.360:                              ;   in Loop: Header=BB320_153 Depth=1
	v_bfe_u32 v46, v47, 16, 1
	v_add3_u32 v46, v47, v46, s23
                                        ; implicit-def: $vgpr47
; %bb.361:                              ;   in Loop: Header=BB320_153 Depth=1
	s_andn2_saveexec_b64 s[12:13], s[2:3]
; %bb.362:                              ;   in Loop: Header=BB320_153 Depth=1
	v_or_b32_e32 v46, 0x10000, v47
	v_cmp_eq_u32_sdwa s[2:3], v47, v13 src0_sel:WORD_0 src1_sel:DWORD
	s_nop 1
	v_cndmask_b32_e64 v46, v46, v47, s[2:3]
; %bb.363:                              ;   in Loop: Header=BB320_153 Depth=1
	s_or_b64 exec, exec, s[12:13]
	v_lshlrev_b32_e32 v47, 16, v53
	v_mul_f32_e32 v48, v35, v47
	v_and_b32_e32 v47, 0x7f800000, v48
	v_cmp_ne_u32_e64 s[2:3], s22, v47
                                        ; implicit-def: $vgpr47
	s_and_saveexec_b64 s[12:13], s[2:3]
	s_xor_b64 s[2:3], exec, s[12:13]
; %bb.364:                              ;   in Loop: Header=BB320_153 Depth=1
	v_bfe_u32 v47, v48, 16, 1
	v_add3_u32 v47, v48, v47, s23
                                        ; implicit-def: $vgpr48
; %bb.365:                              ;   in Loop: Header=BB320_153 Depth=1
	s_andn2_saveexec_b64 s[12:13], s[2:3]
; %bb.366:                              ;   in Loop: Header=BB320_153 Depth=1
	v_or_b32_e32 v47, 0x10000, v48
	v_cmp_eq_u32_sdwa s[2:3], v48, v13 src0_sel:WORD_0 src1_sel:DWORD
	s_nop 1
	v_cndmask_b32_e64 v47, v47, v48, s[2:3]
; %bb.367:                              ;   in Loop: Header=BB320_153 Depth=1
	s_or_b64 exec, exec, s[12:13]
	v_lshlrev_b32_e32 v48, 16, v52
	v_mul_f32_e32 v52, v36, v48
	v_and_b32_e32 v48, 0x7f800000, v52
	v_cmp_ne_u32_e64 s[2:3], s22, v48
                                        ; implicit-def: $vgpr48
	s_and_saveexec_b64 s[12:13], s[2:3]
	s_xor_b64 s[2:3], exec, s[12:13]
; %bb.368:                              ;   in Loop: Header=BB320_153 Depth=1
	v_bfe_u32 v48, v52, 16, 1
	v_add3_u32 v48, v52, v48, s23
                                        ; implicit-def: $vgpr52
; %bb.369:                              ;   in Loop: Header=BB320_153 Depth=1
	s_andn2_saveexec_b64 s[12:13], s[2:3]
; %bb.370:                              ;   in Loop: Header=BB320_153 Depth=1
	v_or_b32_e32 v48, 0x10000, v52
	v_cmp_eq_u32_sdwa s[2:3], v52, v13 src0_sel:WORD_0 src1_sel:DWORD
	s_nop 1
	v_cndmask_b32_e64 v48, v48, v52, s[2:3]
; %bb.371:                              ;   in Loop: Header=BB320_153 Depth=1
	s_or_b64 exec, exec, s[12:13]
	v_lshlrev_b32_e32 v49, 16, v49
	v_mul_f32_e32 v52, v37, v49
	v_and_b32_e32 v49, 0x7f800000, v52
	v_cmp_ne_u32_e64 s[2:3], s22, v49
                                        ; implicit-def: $vgpr49
	s_and_saveexec_b64 s[12:13], s[2:3]
	s_xor_b64 s[2:3], exec, s[12:13]
; %bb.372:                              ;   in Loop: Header=BB320_153 Depth=1
	v_bfe_u32 v49, v52, 16, 1
	v_add3_u32 v49, v52, v49, s23
                                        ; implicit-def: $vgpr52
; %bb.373:                              ;   in Loop: Header=BB320_153 Depth=1
	s_andn2_saveexec_b64 s[12:13], s[2:3]
; %bb.374:                              ;   in Loop: Header=BB320_153 Depth=1
	v_or_b32_e32 v49, 0x10000, v52
	v_cmp_eq_u32_sdwa s[2:3], v52, v13 src0_sel:WORD_0 src1_sel:DWORD
	s_nop 1
	v_cndmask_b32_e64 v49, v49, v52, s[2:3]
; %bb.375:                              ;   in Loop: Header=BB320_153 Depth=1
	s_or_b64 exec, exec, s[12:13]
	v_lshlrev_b32_e32 v50, 16, v50
	v_mul_f32_e32 v52, v38, v50
	v_and_b32_e32 v50, 0x7f800000, v52
	v_cmp_ne_u32_e64 s[2:3], s22, v50
                                        ; implicit-def: $vgpr50
	s_and_saveexec_b64 s[12:13], s[2:3]
	s_xor_b64 s[2:3], exec, s[12:13]
; %bb.376:                              ;   in Loop: Header=BB320_153 Depth=1
	v_bfe_u32 v50, v52, 16, 1
	v_add3_u32 v50, v52, v50, s23
                                        ; implicit-def: $vgpr52
; %bb.377:                              ;   in Loop: Header=BB320_153 Depth=1
	s_andn2_saveexec_b64 s[12:13], s[2:3]
; %bb.378:                              ;   in Loop: Header=BB320_153 Depth=1
	v_or_b32_e32 v50, 0x10000, v52
	v_cmp_eq_u32_sdwa s[2:3], v52, v13 src0_sel:WORD_0 src1_sel:DWORD
	s_nop 1
	v_cndmask_b32_e64 v50, v50, v52, s[2:3]
; %bb.379:                              ;   in Loop: Header=BB320_153 Depth=1
	s_or_b64 exec, exec, s[12:13]
	v_lshlrev_b32_e32 v51, 16, v51
	v_mul_f32_e32 v52, v39, v51
	v_and_b32_e32 v51, 0x7f800000, v52
	v_cmp_ne_u32_e64 s[2:3], s22, v51
                                        ; implicit-def: $vgpr51
	s_and_saveexec_b64 s[12:13], s[2:3]
	s_xor_b64 s[2:3], exec, s[12:13]
	s_cbranch_execnz .LBB320_382
; %bb.380:                              ;   in Loop: Header=BB320_153 Depth=1
	s_andn2_saveexec_b64 s[12:13], s[2:3]
	s_cbranch_execnz .LBB320_383
.LBB320_381:                            ;   in Loop: Header=BB320_153 Depth=1
	s_or_b64 exec, exec, s[12:13]
	s_and_saveexec_b64 s[12:13], vcc
	s_cbranch_execz .LBB320_152
	s_branch .LBB320_384
.LBB320_382:                            ;   in Loop: Header=BB320_153 Depth=1
	v_bfe_u32 v51, v52, 16, 1
	v_add3_u32 v51, v52, v51, s23
                                        ; implicit-def: $vgpr52
	s_andn2_saveexec_b64 s[12:13], s[2:3]
	s_cbranch_execz .LBB320_381
.LBB320_383:                            ;   in Loop: Header=BB320_153 Depth=1
	v_or_b32_e32 v51, 0x10000, v52
	v_cmp_eq_u32_sdwa s[2:3], v52, v13 src0_sel:WORD_0 src1_sel:DWORD
	s_nop 1
	v_cndmask_b32_e64 v51, v51, v52, s[2:3]
	s_or_b64 exec, exec, s[12:13]
	s_and_saveexec_b64 s[12:13], vcc
	s_cbranch_execz .LBB320_152
.LBB320_384:                            ;   in Loop: Header=BB320_153 Depth=1
	v_lshl_add_u64 v[2:3], v[2:3], 0, v[16:17]
	global_load_dwordx2 v[2:3], v[2:3], off
	s_waitcnt vmcnt(0)
	v_and_b32_e32 v52, 0xff, v2
	v_cvt_f32_fp8_sdwa v52, v52 src0_sel:BYTE_0
	s_nop 0
	v_mul_f32_e32 v53, s27, v52
	v_and_b32_e32 v52, 0x7f800000, v53
	v_cmp_ne_u32_e64 s[2:3], s22, v52
                                        ; implicit-def: $vgpr52
	s_and_saveexec_b64 s[14:15], s[2:3]
	s_xor_b64 s[2:3], exec, s[14:15]
; %bb.385:                              ;   in Loop: Header=BB320_153 Depth=1
	v_bfe_u32 v52, v53, 16, 1
	v_add3_u32 v52, v53, v52, s23
                                        ; implicit-def: $vgpr53
; %bb.386:                              ;   in Loop: Header=BB320_153 Depth=1
	s_andn2_saveexec_b64 s[14:15], s[2:3]
; %bb.387:                              ;   in Loop: Header=BB320_153 Depth=1
	v_or_b32_e32 v52, 0x10000, v53
	v_cmp_eq_u32_sdwa s[2:3], v53, v13 src0_sel:WORD_0 src1_sel:DWORD
	s_nop 1
	v_cndmask_b32_e64 v52, v52, v53, s[2:3]
; %bb.388:                              ;   in Loop: Header=BB320_153 Depth=1
	s_or_b64 exec, exec, s[14:15]
	v_bfe_u32 v53, v2, 8, 8
	v_cvt_f32_fp8_sdwa v53, v53 src0_sel:BYTE_0
	s_nop 0
	v_mul_f32_e32 v54, s27, v53
	v_and_b32_e32 v53, 0x7f800000, v54
	v_cmp_ne_u32_e64 s[2:3], s22, v53
                                        ; implicit-def: $vgpr53
	s_and_saveexec_b64 s[14:15], s[2:3]
	s_xor_b64 s[2:3], exec, s[14:15]
; %bb.389:                              ;   in Loop: Header=BB320_153 Depth=1
	v_bfe_u32 v53, v54, 16, 1
	v_add3_u32 v53, v54, v53, s23
                                        ; implicit-def: $vgpr54
; %bb.390:                              ;   in Loop: Header=BB320_153 Depth=1
	s_andn2_saveexec_b64 s[14:15], s[2:3]
; %bb.391:                              ;   in Loop: Header=BB320_153 Depth=1
	v_or_b32_e32 v53, 0x10000, v54
	v_cmp_eq_u32_sdwa s[2:3], v54, v13 src0_sel:WORD_0 src1_sel:DWORD
	s_nop 1
	v_cndmask_b32_e64 v53, v53, v54, s[2:3]
; %bb.392:                              ;   in Loop: Header=BB320_153 Depth=1
	s_or_b64 exec, exec, s[14:15]
	v_bfe_u32 v54, v2, 16, 8
	v_cvt_f32_fp8_sdwa v54, v54 src0_sel:BYTE_0
	s_nop 0
	v_mul_f32_e32 v54, s27, v54
	v_and_b32_e32 v55, 0x7f800000, v54
	v_cmp_ne_u32_e64 s[2:3], s22, v55
                                        ; implicit-def: $vgpr55
	s_and_saveexec_b64 s[14:15], s[2:3]
	s_xor_b64 s[2:3], exec, s[14:15]
; %bb.393:                              ;   in Loop: Header=BB320_153 Depth=1
	v_bfe_u32 v55, v54, 16, 1
	v_add3_u32 v55, v54, v55, s23
                                        ; implicit-def: $vgpr54
; %bb.394:                              ;   in Loop: Header=BB320_153 Depth=1
	s_andn2_saveexec_b64 s[14:15], s[2:3]
; %bb.395:                              ;   in Loop: Header=BB320_153 Depth=1
	v_or_b32_e32 v55, 0x10000, v54
	v_cmp_eq_u32_sdwa s[2:3], v54, v13 src0_sel:WORD_0 src1_sel:DWORD
	s_nop 1
	v_cndmask_b32_e64 v55, v55, v54, s[2:3]
; %bb.396:                              ;   in Loop: Header=BB320_153 Depth=1
	s_or_b64 exec, exec, s[14:15]
	v_lshrrev_b32_e32 v2, 24, v2
	v_cvt_f32_fp8_sdwa v2, v2 src0_sel:BYTE_0
	s_nop 0
	v_mul_f32_e32 v54, s27, v2
	v_and_b32_e32 v2, 0x7f800000, v54
	v_cmp_ne_u32_e64 s[2:3], s22, v2
                                        ; implicit-def: $vgpr2
	s_and_saveexec_b64 s[14:15], s[2:3]
	s_xor_b64 s[2:3], exec, s[14:15]
; %bb.397:                              ;   in Loop: Header=BB320_153 Depth=1
	v_bfe_u32 v2, v54, 16, 1
	v_add3_u32 v2, v54, v2, s23
                                        ; implicit-def: $vgpr54
; %bb.398:                              ;   in Loop: Header=BB320_153 Depth=1
	s_andn2_saveexec_b64 s[14:15], s[2:3]
; %bb.399:                              ;   in Loop: Header=BB320_153 Depth=1
	v_or_b32_e32 v2, 0x10000, v54
	v_cmp_eq_u32_sdwa s[2:3], v54, v13 src0_sel:WORD_0 src1_sel:DWORD
	s_nop 1
	v_cndmask_b32_e64 v2, v2, v54, s[2:3]
; %bb.400:                              ;   in Loop: Header=BB320_153 Depth=1
	s_or_b64 exec, exec, s[14:15]
	v_and_b32_e32 v54, 0xff, v3
	v_cvt_f32_fp8_sdwa v54, v54 src0_sel:BYTE_0
	s_nop 0
	v_mul_f32_e32 v54, s27, v54
	v_and_b32_e32 v56, 0x7f800000, v54
	v_cmp_ne_u32_e64 s[2:3], s22, v56
                                        ; implicit-def: $vgpr56
	s_and_saveexec_b64 s[14:15], s[2:3]
	s_xor_b64 s[2:3], exec, s[14:15]
; %bb.401:                              ;   in Loop: Header=BB320_153 Depth=1
	v_bfe_u32 v56, v54, 16, 1
	v_add3_u32 v56, v54, v56, s23
                                        ; implicit-def: $vgpr54
; %bb.402:                              ;   in Loop: Header=BB320_153 Depth=1
	s_andn2_saveexec_b64 s[14:15], s[2:3]
; %bb.403:                              ;   in Loop: Header=BB320_153 Depth=1
	v_or_b32_e32 v56, 0x10000, v54
	v_cmp_eq_u32_sdwa s[2:3], v54, v13 src0_sel:WORD_0 src1_sel:DWORD
	s_nop 1
	v_cndmask_b32_e64 v56, v56, v54, s[2:3]
; %bb.404:                              ;   in Loop: Header=BB320_153 Depth=1
	s_or_b64 exec, exec, s[14:15]
	v_bfe_u32 v54, v3, 8, 8
	v_cvt_f32_fp8_sdwa v54, v54 src0_sel:BYTE_0
	s_nop 0
	v_mul_f32_e32 v57, s27, v54
	v_and_b32_e32 v54, 0x7f800000, v57
	v_cmp_ne_u32_e64 s[2:3], s22, v54
                                        ; implicit-def: $vgpr54
	s_and_saveexec_b64 s[14:15], s[2:3]
	s_xor_b64 s[2:3], exec, s[14:15]
; %bb.405:                              ;   in Loop: Header=BB320_153 Depth=1
	v_bfe_u32 v54, v57, 16, 1
	v_add3_u32 v54, v57, v54, s23
                                        ; implicit-def: $vgpr57
; %bb.406:                              ;   in Loop: Header=BB320_153 Depth=1
	s_andn2_saveexec_b64 s[14:15], s[2:3]
; %bb.407:                              ;   in Loop: Header=BB320_153 Depth=1
	v_or_b32_e32 v54, 0x10000, v57
	v_cmp_eq_u32_sdwa s[2:3], v57, v13 src0_sel:WORD_0 src1_sel:DWORD
	s_nop 1
	v_cndmask_b32_e64 v54, v54, v57, s[2:3]
; %bb.408:                              ;   in Loop: Header=BB320_153 Depth=1
	s_or_b64 exec, exec, s[14:15]
	v_bfe_u32 v57, v3, 16, 8
	v_cvt_f32_fp8_sdwa v57, v57 src0_sel:BYTE_0
	s_nop 0
	v_mul_f32_e32 v57, s27, v57
	v_and_b32_e32 v58, 0x7f800000, v57
	v_cmp_ne_u32_e64 s[2:3], s22, v58
                                        ; implicit-def: $vgpr58
	s_and_saveexec_b64 s[14:15], s[2:3]
	s_xor_b64 s[2:3], exec, s[14:15]
; %bb.409:                              ;   in Loop: Header=BB320_153 Depth=1
	v_bfe_u32 v58, v57, 16, 1
	v_add3_u32 v58, v57, v58, s23
                                        ; implicit-def: $vgpr57
; %bb.410:                              ;   in Loop: Header=BB320_153 Depth=1
	s_andn2_saveexec_b64 s[14:15], s[2:3]
; %bb.411:                              ;   in Loop: Header=BB320_153 Depth=1
	v_or_b32_e32 v58, 0x10000, v57
	v_cmp_eq_u32_sdwa s[2:3], v57, v13 src0_sel:WORD_0 src1_sel:DWORD
	s_nop 1
	v_cndmask_b32_e64 v58, v58, v57, s[2:3]
; %bb.412:                              ;   in Loop: Header=BB320_153 Depth=1
	s_or_b64 exec, exec, s[14:15]
	v_lshrrev_b32_e32 v3, 24, v3
	v_cvt_f32_fp8_sdwa v3, v3 src0_sel:BYTE_0
                                        ; implicit-def: $vgpr59
	s_nop 0
	v_mul_f32_e32 v3, s27, v3
	v_and_b32_e32 v57, 0x7f800000, v3
	v_cmp_ne_u32_e64 s[2:3], s22, v57
	s_and_saveexec_b64 s[14:15], s[2:3]
	s_xor_b64 s[2:3], exec, s[14:15]
; %bb.413:                              ;   in Loop: Header=BB320_153 Depth=1
	v_bfe_u32 v57, v3, 16, 1
	v_add3_u32 v59, v3, v57, s23
                                        ; implicit-def: $vgpr3
; %bb.414:                              ;   in Loop: Header=BB320_153 Depth=1
	s_andn2_saveexec_b64 s[14:15], s[2:3]
; %bb.415:                              ;   in Loop: Header=BB320_153 Depth=1
	v_or_b32_e32 v57, 0x10000, v3
	v_cmp_eq_u32_sdwa s[2:3], v3, v13 src0_sel:WORD_0 src1_sel:DWORD
	s_nop 1
	v_cndmask_b32_e64 v59, v57, v3, s[2:3]
; %bb.416:                              ;   in Loop: Header=BB320_153 Depth=1
	s_or_b64 exec, exec, s[14:15]
	v_lshrrev_b32_e32 v54, 16, v54
	v_lshrrev_b32_e32 v56, 16, v56
	;; [unrolled: 1-line block ×8, first 2 shown]
	s_and_saveexec_b64 s[2:3], s[0:1]
	s_cbranch_execz .LBB320_418
; %bb.417:                              ;   in Loop: Header=BB320_153 Depth=1
	v_cmp_gt_i32_e64 s[0:1], s33, v31
	v_add_u32_e32 v31, -6, v23
	s_nop 0
	v_cndmask_b32_e64 v3, 0, v3, s[0:1]
	v_cmp_gt_i32_e64 s[0:1], s33, v31
	v_add_u32_e32 v31, -5, v23
	s_nop 0
	v_cndmask_b32_e64 v53, 0, v53, s[0:1]
	v_cmp_gt_i32_e64 s[0:1], s33, v31
	v_add_u32_e32 v31, -4, v23
	s_nop 0
	v_cndmask_b32_e64 v55, 0, v55, s[0:1]
	v_cmp_gt_i32_e64 s[0:1], s33, v31
	v_add_u32_e32 v31, -3, v23
	s_nop 0
	v_cndmask_b32_e64 v57, 0, v57, s[0:1]
	v_cmp_gt_i32_e64 s[0:1], s33, v31
	v_add_u32_e32 v31, -2, v23
	s_nop 0
	v_cndmask_b32_e64 v56, 0, v56, s[0:1]
	v_cmp_gt_i32_e64 s[0:1], s33, v31
	v_add_u32_e32 v31, -1, v23
	s_nop 0
	v_cndmask_b32_e64 v54, 0, v54, s[0:1]
	v_cmp_gt_i32_e64 s[0:1], s33, v31
	s_nop 1
	v_cndmask_b32_e64 v52, 0, v52, s[0:1]
	v_cmp_gt_i32_e64 s[0:1], s33, v23
	s_nop 1
	v_cndmask_b32_e64 v2, 0, v2, s[0:1]
.LBB320_418:                            ;   in Loop: Header=BB320_153 Depth=1
	s_or_b64 exec, exec, s[2:3]
	v_lshlrev_b32_e32 v3, 16, v3
	v_mul_f32_e32 v31, v32, v3
	v_and_b32_e32 v3, 0x7f800000, v31
	v_cmp_ne_u32_e64 s[0:1], s22, v3
                                        ; implicit-def: $vgpr3
	s_and_saveexec_b64 s[2:3], s[0:1]
	s_xor_b64 s[0:1], exec, s[2:3]
; %bb.419:                              ;   in Loop: Header=BB320_153 Depth=1
	v_bfe_u32 v3, v31, 16, 1
	v_add3_u32 v3, v31, v3, s23
                                        ; implicit-def: $vgpr31
; %bb.420:                              ;   in Loop: Header=BB320_153 Depth=1
	s_andn2_saveexec_b64 s[2:3], s[0:1]
; %bb.421:                              ;   in Loop: Header=BB320_153 Depth=1
	v_or_b32_e32 v3, 0x10000, v31
	v_cmp_eq_u32_sdwa s[0:1], v31, v13 src0_sel:WORD_0 src1_sel:DWORD
	s_nop 1
	v_cndmask_b32_e64 v3, v3, v31, s[0:1]
; %bb.422:                              ;   in Loop: Header=BB320_153 Depth=1
	s_or_b64 exec, exec, s[2:3]
	v_lshlrev_b32_e32 v31, 16, v53
	v_mul_f32_e32 v32, v33, v31
	v_and_b32_e32 v31, 0x7f800000, v32
	v_cmp_ne_u32_e64 s[0:1], s22, v31
                                        ; implicit-def: $vgpr31
	s_and_saveexec_b64 s[2:3], s[0:1]
	s_xor_b64 s[0:1], exec, s[2:3]
; %bb.423:                              ;   in Loop: Header=BB320_153 Depth=1
	v_bfe_u32 v31, v32, 16, 1
	v_add3_u32 v31, v32, v31, s23
                                        ; implicit-def: $vgpr32
; %bb.424:                              ;   in Loop: Header=BB320_153 Depth=1
	s_andn2_saveexec_b64 s[2:3], s[0:1]
; %bb.425:                              ;   in Loop: Header=BB320_153 Depth=1
	v_or_b32_e32 v31, 0x10000, v32
	v_cmp_eq_u32_sdwa s[0:1], v32, v13 src0_sel:WORD_0 src1_sel:DWORD
	s_nop 1
	v_cndmask_b32_e64 v31, v31, v32, s[0:1]
; %bb.426:                              ;   in Loop: Header=BB320_153 Depth=1
	s_or_b64 exec, exec, s[2:3]
	v_lshlrev_b32_e32 v32, 16, v55
	v_mul_f32_e32 v33, v34, v32
	v_and_b32_e32 v32, 0x7f800000, v33
	v_cmp_ne_u32_e64 s[0:1], s22, v32
                                        ; implicit-def: $vgpr32
	s_and_saveexec_b64 s[2:3], s[0:1]
	s_xor_b64 s[0:1], exec, s[2:3]
; %bb.427:                              ;   in Loop: Header=BB320_153 Depth=1
	v_bfe_u32 v32, v33, 16, 1
	v_add3_u32 v32, v33, v32, s23
                                        ; implicit-def: $vgpr33
; %bb.428:                              ;   in Loop: Header=BB320_153 Depth=1
	s_andn2_saveexec_b64 s[2:3], s[0:1]
; %bb.429:                              ;   in Loop: Header=BB320_153 Depth=1
	v_or_b32_e32 v32, 0x10000, v33
	v_cmp_eq_u32_sdwa s[0:1], v33, v13 src0_sel:WORD_0 src1_sel:DWORD
	s_nop 1
	v_cndmask_b32_e64 v32, v32, v33, s[0:1]
; %bb.430:                              ;   in Loop: Header=BB320_153 Depth=1
	s_or_b64 exec, exec, s[2:3]
	v_lshlrev_b32_e32 v33, 16, v57
	v_mul_f32_e32 v34, v35, v33
	v_and_b32_e32 v33, 0x7f800000, v34
	v_cmp_ne_u32_e64 s[0:1], s22, v33
                                        ; implicit-def: $vgpr33
	s_and_saveexec_b64 s[2:3], s[0:1]
	s_xor_b64 s[0:1], exec, s[2:3]
; %bb.431:                              ;   in Loop: Header=BB320_153 Depth=1
	v_bfe_u32 v33, v34, 16, 1
	v_add3_u32 v33, v34, v33, s23
                                        ; implicit-def: $vgpr34
; %bb.432:                              ;   in Loop: Header=BB320_153 Depth=1
	s_andn2_saveexec_b64 s[2:3], s[0:1]
; %bb.433:                              ;   in Loop: Header=BB320_153 Depth=1
	v_or_b32_e32 v33, 0x10000, v34
	v_cmp_eq_u32_sdwa s[0:1], v34, v13 src0_sel:WORD_0 src1_sel:DWORD
	s_nop 1
	v_cndmask_b32_e64 v33, v33, v34, s[0:1]
; %bb.434:                              ;   in Loop: Header=BB320_153 Depth=1
	s_or_b64 exec, exec, s[2:3]
	v_lshlrev_b32_e32 v34, 16, v56
	v_mul_f32_e32 v35, v36, v34
	v_and_b32_e32 v34, 0x7f800000, v35
	v_cmp_ne_u32_e64 s[0:1], s22, v34
                                        ; implicit-def: $vgpr34
	s_and_saveexec_b64 s[2:3], s[0:1]
	s_xor_b64 s[0:1], exec, s[2:3]
; %bb.435:                              ;   in Loop: Header=BB320_153 Depth=1
	v_bfe_u32 v34, v35, 16, 1
	v_add3_u32 v34, v35, v34, s23
                                        ; implicit-def: $vgpr35
; %bb.436:                              ;   in Loop: Header=BB320_153 Depth=1
	s_andn2_saveexec_b64 s[2:3], s[0:1]
; %bb.437:                              ;   in Loop: Header=BB320_153 Depth=1
	v_or_b32_e32 v34, 0x10000, v35
	v_cmp_eq_u32_sdwa s[0:1], v35, v13 src0_sel:WORD_0 src1_sel:DWORD
	s_nop 1
	v_cndmask_b32_e64 v34, v34, v35, s[0:1]
; %bb.438:                              ;   in Loop: Header=BB320_153 Depth=1
	s_or_b64 exec, exec, s[2:3]
	v_lshlrev_b32_e32 v35, 16, v54
	v_mul_f32_e32 v36, v37, v35
	v_and_b32_e32 v35, 0x7f800000, v36
	v_cmp_ne_u32_e64 s[0:1], s22, v35
                                        ; implicit-def: $vgpr35
	s_and_saveexec_b64 s[2:3], s[0:1]
	s_xor_b64 s[0:1], exec, s[2:3]
; %bb.439:                              ;   in Loop: Header=BB320_153 Depth=1
	v_bfe_u32 v35, v36, 16, 1
	v_add3_u32 v35, v36, v35, s23
                                        ; implicit-def: $vgpr36
; %bb.440:                              ;   in Loop: Header=BB320_153 Depth=1
	s_andn2_saveexec_b64 s[2:3], s[0:1]
; %bb.441:                              ;   in Loop: Header=BB320_153 Depth=1
	v_or_b32_e32 v35, 0x10000, v36
	v_cmp_eq_u32_sdwa s[0:1], v36, v13 src0_sel:WORD_0 src1_sel:DWORD
	s_nop 1
	v_cndmask_b32_e64 v35, v35, v36, s[0:1]
; %bb.442:                              ;   in Loop: Header=BB320_153 Depth=1
	s_or_b64 exec, exec, s[2:3]
	v_lshlrev_b32_e32 v36, 16, v52
	v_mul_f32_e32 v37, v38, v36
	v_and_b32_e32 v36, 0x7f800000, v37
	v_cmp_ne_u32_e64 s[0:1], s22, v36
                                        ; implicit-def: $vgpr36
	s_and_saveexec_b64 s[2:3], s[0:1]
	s_xor_b64 s[0:1], exec, s[2:3]
; %bb.443:                              ;   in Loop: Header=BB320_153 Depth=1
	v_bfe_u32 v36, v37, 16, 1
	v_add3_u32 v36, v37, v36, s23
                                        ; implicit-def: $vgpr37
; %bb.444:                              ;   in Loop: Header=BB320_153 Depth=1
	s_andn2_saveexec_b64 s[2:3], s[0:1]
; %bb.445:                              ;   in Loop: Header=BB320_153 Depth=1
	v_or_b32_e32 v36, 0x10000, v37
	v_cmp_eq_u32_sdwa s[0:1], v37, v13 src0_sel:WORD_0 src1_sel:DWORD
	s_nop 1
	v_cndmask_b32_e64 v36, v36, v37, s[0:1]
; %bb.446:                              ;   in Loop: Header=BB320_153 Depth=1
	s_or_b64 exec, exec, s[2:3]
	v_lshlrev_b32_e32 v2, 16, v2
	v_mul_f32_e32 v2, v39, v2
	v_and_b32_e32 v37, 0x7f800000, v2
	v_cmp_ne_u32_e64 s[0:1], s22, v37
                                        ; implicit-def: $vgpr37
	s_and_saveexec_b64 s[2:3], s[0:1]
	s_xor_b64 s[0:1], exec, s[2:3]
; %bb.447:                              ;   in Loop: Header=BB320_153 Depth=1
	v_bfe_u32 v37, v2, 16, 1
	v_add3_u32 v37, v2, v37, s23
                                        ; implicit-def: $vgpr2
; %bb.448:                              ;   in Loop: Header=BB320_153 Depth=1
	s_andn2_saveexec_b64 s[2:3], s[0:1]
	s_cbranch_execz .LBB320_151
; %bb.449:                              ;   in Loop: Header=BB320_153 Depth=1
	v_or_b32_e32 v37, 0x10000, v2
	v_cmp_eq_u32_sdwa s[0:1], v2, v13 src0_sel:WORD_0 src1_sel:DWORD
	s_nop 1
	v_cndmask_b32_e64 v37, v37, v2, s[0:1]
	s_branch .LBB320_151
.LBB320_450:
	s_or_b64 exec, exec, s[10:11]
.LBB320_451:
	s_or_b64 exec, exec, s[8:9]
	ds_bpermute_b32 v2, v20, v14
	ds_bpermute_b32 v3, v20, v15
	;; [unrolled: 1-line block ×4, first 2 shown]
	v_and_b32_e32 v1, 0x3c0, v0
	v_cmp_eq_u32_e32 vcc, 64, v1
	s_waitcnt lgkmcnt(2)
	v_pk_add_f32 v[4:5], v[14:15], v[2:3]
	s_waitcnt lgkmcnt(0)
	v_pk_add_f32 v[2:3], v[10:11], v[6:7]
	s_barrier
	s_and_saveexec_b64 s[2:3], vcc
	s_cbranch_execz .LBB320_456
; %bb.452:
	v_cmp_eq_u32_e32 vcc, 0, v21
	s_and_saveexec_b64 s[0:1], vcc
	s_cbranch_execz .LBB320_454
; %bb.453:
	v_mov_b32_e32 v1, 0xf0
	v_lshl_add_u32 v1, v22, 2, v1
	ds_write2_b32 v1, v4, v5 offset1:32
	ds_write_b32 v1, v2 offset:256
.LBB320_454:
	s_or_b64 exec, exec, s[0:1]
	v_or_b32_e32 v1, 0x60, v22
	s_movk_i32 s0, 0x70
	v_cmp_gt_u32_e64 s[0:1], s0, v1
	s_and_b64 s[0:1], vcc, s[0:1]
	s_and_b64 exec, exec, s[0:1]
	s_cbranch_execz .LBB320_456
; %bb.455:
	v_mov_b32_e32 v1, 0xf0
	v_lshl_add_u32 v1, v22, 2, v1
	ds_write_b32 v1, v3 offset:384
.LBB320_456:
	s_or_b64 exec, exec, s[2:3]
	v_cmp_gt_u32_e32 vcc, 64, v0
	v_lshrrev_b32_e32 v6, 1, v0
	s_waitcnt lgkmcnt(0)
	s_barrier
	s_and_saveexec_b64 s[6:7], vcc
	s_cbranch_execz .LBB320_464
; %bb.457:
	v_cmp_eq_u32_e64 s[0:1], 0, v21
	s_and_saveexec_b64 s[2:3], s[0:1]
	s_cbranch_execnz .LBB320_486
; %bb.458:
	s_or_b64 exec, exec, s[2:3]
	s_and_saveexec_b64 s[2:3], s[0:1]
	s_cbranch_execnz .LBB320_487
.LBB320_459:
	s_or_b64 exec, exec, s[2:3]
	s_and_saveexec_b64 s[2:3], s[0:1]
	s_cbranch_execz .LBB320_461
.LBB320_460:
	v_mov_b32_e32 v0, 0xf0
	v_lshl_add_u32 v0, v6, 2, v0
	ds_read_b32 v0, v0 offset:256
	s_waitcnt lgkmcnt(0)
	v_add_f32_e32 v2, v2, v0
.LBB320_461:
	s_or_b64 exec, exec, s[2:3]
	v_or_b32_e32 v0, 0x60, v6
	s_movk_i32 s2, 0x70
	v_cmp_gt_u32_e64 s[2:3], s2, v0
	s_and_b64 s[2:3], s[0:1], s[2:3]
	s_and_saveexec_b64 s[0:1], s[2:3]
	s_cbranch_execz .LBB320_463
; %bb.462:
	v_mov_b32_e32 v0, 0xf0
	v_lshl_add_u32 v0, v6, 2, v0
	ds_read_b32 v0, v0 offset:384
	s_waitcnt lgkmcnt(0)
	v_add_f32_e32 v3, v3, v0
.LBB320_463:
	s_or_b64 exec, exec, s[0:1]
.LBB320_464:
	s_or_b64 exec, exec, s[6:7]
	s_barrier
	s_and_saveexec_b64 s[0:1], vcc
	s_cbranch_execz .LBB320_485
; %bb.465:
	s_mul_i32 s0, s16, s17
	s_mul_i32 s0, s0, s5
	s_mulk_i32 s0, 0x70
	s_ashr_i32 s1, s0, 31
	s_lshl_b64 s[0:1], s[0:1], 1
	s_add_u32 s2, s20, s0
	s_mul_i32 s0, s17, s18
	s_addc_u32 s3, s21, s1
	s_ashr_i32 s1, s0, 31
	s_lshl_b64 s[0:1], s[0:1], 1
	s_add_u32 s2, s2, s0
	s_mul_i32 s0, s4, 0x70
	s_addc_u32 s3, s3, s1
	s_ashr_i32 s1, s0, 31
	s_lshl_b64 s[0:1], s[0:1], 1
	s_add_u32 s2, s2, s0
	s_addc_u32 s3, s3, s1
	v_cmp_eq_u32_e32 vcc, 0, v21
	s_and_saveexec_b64 s[4:5], vcc
	s_cbranch_execz .LBB320_479
; %bb.466:
	s_mov_b32 s0, 0x7f800000
	v_and_b32_e32 v0, 0x7f800000, v4
	v_cmp_ne_u32_e64 s[0:1], s0, v0
                                        ; implicit-def: $vgpr7
	s_and_saveexec_b64 s[6:7], s[0:1]
	s_xor_b64 s[0:1], exec, s[6:7]
; %bb.467:
	v_bfe_u32 v0, v4, 16, 1
	s_movk_i32 s6, 0x7fff
	v_add3_u32 v7, v4, v0, s6
; %bb.468:
	s_andn2_saveexec_b64 s[6:7], s[0:1]
; %bb.469:
	v_mov_b32_e32 v0, 0
	v_or_b32_e32 v1, 0x10000, v4
	v_cmp_eq_u32_sdwa s[0:1], v4, v0 src0_sel:WORD_0 src1_sel:DWORD
	s_nop 1
	v_cndmask_b32_e64 v7, v1, v4, s[0:1]
; %bb.470:
	s_or_b64 exec, exec, s[6:7]
	s_mov_b32 s0, 0x7f800000
	v_and_b32_e32 v4, 0x7f800000, v5
	v_lshlrev_b32_e32 v0, 1, v6
	v_mov_b32_e32 v1, 0
	v_cmp_ne_u32_e64 s[0:1], s0, v4
	global_store_short_d16_hi v0, v7, s[2:3]
                                        ; implicit-def: $vgpr4
	s_and_saveexec_b64 s[6:7], s[0:1]
	s_xor_b64 s[0:1], exec, s[6:7]
; %bb.471:
	v_bfe_u32 v4, v5, 16, 1
	s_movk_i32 s6, 0x7fff
	v_add3_u32 v4, v5, v4, s6
; %bb.472:
	s_or_saveexec_b64 s[6:7], s[0:1]
	v_lshl_add_u64 v[0:1], s[2:3], 0, v[0:1]
	s_xor_b64 exec, exec, s[6:7]
; %bb.473:
	v_mov_b32_e32 v4, 0
	v_or_b32_e32 v7, 0x10000, v5
	v_cmp_eq_u32_sdwa s[0:1], v5, v4 src0_sel:WORD_0 src1_sel:DWORD
	s_nop 1
	v_cndmask_b32_e64 v4, v7, v5, s[0:1]
; %bb.474:
	s_or_b64 exec, exec, s[6:7]
	global_store_short_d16_hi v[0:1], v4, off offset:64
	s_mov_b32 s0, 0x7f800000
	v_and_b32_e32 v4, 0x7f800000, v2
	v_cmp_ne_u32_e64 s[0:1], s0, v4
                                        ; implicit-def: $vgpr4
	s_and_saveexec_b64 s[6:7], s[0:1]
	s_xor_b64 s[0:1], exec, s[6:7]
; %bb.475:
	v_bfe_u32 v4, v2, 16, 1
	s_movk_i32 s6, 0x7fff
	v_add3_u32 v4, v2, v4, s6
; %bb.476:
	s_andn2_saveexec_b64 s[6:7], s[0:1]
; %bb.477:
	v_mov_b32_e32 v4, 0
	v_or_b32_e32 v5, 0x10000, v2
	v_cmp_eq_u32_sdwa s[0:1], v2, v4 src0_sel:WORD_0 src1_sel:DWORD
	s_nop 1
	v_cndmask_b32_e64 v4, v5, v2, s[0:1]
; %bb.478:
	s_or_b64 exec, exec, s[6:7]
	global_store_short_d16_hi v[0:1], v4, off offset:128
.LBB320_479:
	s_or_b64 exec, exec, s[4:5]
	v_or_b32_e32 v0, 0x60, v6
	s_movk_i32 s0, 0x70
	v_cmp_gt_u32_e64 s[0:1], s0, v0
	s_and_b64 s[0:1], vcc, s[0:1]
	s_and_b64 exec, exec, s[0:1]
	s_cbranch_execz .LBB320_485
; %bb.480:
	s_mov_b32 s0, 0x7f800000
	v_and_b32_e32 v0, 0x7f800000, v3
	v_cmp_ne_u32_e32 vcc, s0, v0
                                        ; implicit-def: $vgpr4
	s_and_saveexec_b64 s[0:1], vcc
	s_xor_b64 s[0:1], exec, s[0:1]
; %bb.481:
	v_bfe_u32 v0, v3, 16, 1
	s_movk_i32 s4, 0x7fff
	v_add3_u32 v4, v3, v0, s4
                                        ; implicit-def: $vgpr0_vgpr1_vgpr2_vgpr3
; %bb.482:
	s_andn2_saveexec_b64 s[0:1], s[0:1]
; %bb.483:
	v_mov_b32_e32 v0, 0
	v_or_b32_e32 v1, 0x10000, v3
	v_cmp_eq_u32_sdwa vcc, v3, v0 src0_sel:WORD_0 src1_sel:DWORD
	s_nop 1
	v_cndmask_b32_e32 v4, v1, v3, vcc
; %bb.484:
	s_or_b64 exec, exec, s[0:1]
	v_lshlrev_b32_e32 v0, 1, v6
	global_store_short_d16_hi v0, v4, s[2:3] offset:192
.LBB320_485:
	s_endpgm
.LBB320_486:
	v_mov_b32_e32 v0, 0xf0
	v_lshl_add_u32 v0, v6, 2, v0
	ds_read_b32 v0, v0
	s_waitcnt lgkmcnt(0)
	v_add_f32_e32 v4, v4, v0
	s_or_b64 exec, exec, s[2:3]
	s_and_saveexec_b64 s[2:3], s[0:1]
	s_cbranch_execz .LBB320_459
.LBB320_487:
	v_mov_b32_e32 v0, 0xf0
	v_lshl_add_u32 v0, v6, 2, v0
	ds_read_b32 v0, v0 offset:128
	s_waitcnt lgkmcnt(0)
	v_add_f32_e32 v5, v5, v0
	s_or_b64 exec, exec, s[2:3]
	s_and_saveexec_b64 s[2:3], s[0:1]
	s_cbranch_execnz .LBB320_460
	s_branch .LBB320_461
	.section	.rodata,"a",@progbits
	.p2align	6, 0x0
	.amdhsa_kernel _ZN4vllm25paged_attention_v1_kernelI14__hip_bfloat16hLi112ELi16ELi128ELNS_18Fp8KVCacheDataTypeE1ELb0EEEvPT_PKS3_PKT0_S9_ifPKiSB_iPKfiiiSD_SD_iiiii
		.amdhsa_group_segment_fixed_size 240
		.amdhsa_private_segment_fixed_size 0
		.amdhsa_kernarg_size 384
		.amdhsa_user_sgpr_count 2
		.amdhsa_user_sgpr_dispatch_ptr 0
		.amdhsa_user_sgpr_queue_ptr 0
		.amdhsa_user_sgpr_kernarg_segment_ptr 1
		.amdhsa_user_sgpr_dispatch_id 0
		.amdhsa_user_sgpr_kernarg_preload_length 0
		.amdhsa_user_sgpr_kernarg_preload_offset 0
		.amdhsa_user_sgpr_private_segment_size 0
		.amdhsa_uses_dynamic_stack 0
		.amdhsa_enable_private_segment 0
		.amdhsa_system_sgpr_workgroup_id_x 1
		.amdhsa_system_sgpr_workgroup_id_y 1
		.amdhsa_system_sgpr_workgroup_id_z 1
		.amdhsa_system_sgpr_workgroup_info 0
		.amdhsa_system_vgpr_workitem_id 0
		.amdhsa_next_free_vgpr 74
		.amdhsa_next_free_sgpr 40
		.amdhsa_accum_offset 76
		.amdhsa_reserve_vcc 1
		.amdhsa_float_round_mode_32 0
		.amdhsa_float_round_mode_16_64 0
		.amdhsa_float_denorm_mode_32 3
		.amdhsa_float_denorm_mode_16_64 3
		.amdhsa_dx10_clamp 1
		.amdhsa_ieee_mode 1
		.amdhsa_fp16_overflow 0
		.amdhsa_tg_split 0
		.amdhsa_exception_fp_ieee_invalid_op 0
		.amdhsa_exception_fp_denorm_src 0
		.amdhsa_exception_fp_ieee_div_zero 0
		.amdhsa_exception_fp_ieee_overflow 0
		.amdhsa_exception_fp_ieee_underflow 0
		.amdhsa_exception_fp_ieee_inexact 0
		.amdhsa_exception_int_div_zero 0
	.end_amdhsa_kernel
	.section	.text._ZN4vllm25paged_attention_v1_kernelI14__hip_bfloat16hLi112ELi16ELi128ELNS_18Fp8KVCacheDataTypeE1ELb0EEEvPT_PKS3_PKT0_S9_ifPKiSB_iPKfiiiSD_SD_iiiii,"axG",@progbits,_ZN4vllm25paged_attention_v1_kernelI14__hip_bfloat16hLi112ELi16ELi128ELNS_18Fp8KVCacheDataTypeE1ELb0EEEvPT_PKS3_PKT0_S9_ifPKiSB_iPKfiiiSD_SD_iiiii,comdat
.Lfunc_end320:
	.size	_ZN4vllm25paged_attention_v1_kernelI14__hip_bfloat16hLi112ELi16ELi128ELNS_18Fp8KVCacheDataTypeE1ELb0EEEvPT_PKS3_PKT0_S9_ifPKiSB_iPKfiiiSD_SD_iiiii, .Lfunc_end320-_ZN4vllm25paged_attention_v1_kernelI14__hip_bfloat16hLi112ELi16ELi128ELNS_18Fp8KVCacheDataTypeE1ELb0EEEvPT_PKS3_PKT0_S9_ifPKiSB_iPKfiiiSD_SD_iiiii
                                        ; -- End function
	.section	.AMDGPU.csdata,"",@progbits
; Kernel info:
; codeLenInByte = 15096
; NumSgprs: 46
; NumVgprs: 74
; NumAgprs: 0
; TotalNumVgprs: 74
; ScratchSize: 0
; MemoryBound: 0
; FloatMode: 240
; IeeeMode: 1
; LDSByteSize: 240 bytes/workgroup (compile time only)
; SGPRBlocks: 5
; VGPRBlocks: 9
; NumSGPRsForWavesPerEU: 46
; NumVGPRsForWavesPerEU: 74
; AccumOffset: 76
; Occupancy: 6
; WaveLimiterHint : 1
; COMPUTE_PGM_RSRC2:SCRATCH_EN: 0
; COMPUTE_PGM_RSRC2:USER_SGPR: 2
; COMPUTE_PGM_RSRC2:TRAP_HANDLER: 0
; COMPUTE_PGM_RSRC2:TGID_X_EN: 1
; COMPUTE_PGM_RSRC2:TGID_Y_EN: 1
; COMPUTE_PGM_RSRC2:TGID_Z_EN: 1
; COMPUTE_PGM_RSRC2:TIDIG_COMP_CNT: 0
; COMPUTE_PGM_RSRC3_GFX90A:ACCUM_OFFSET: 18
; COMPUTE_PGM_RSRC3_GFX90A:TG_SPLIT: 0
	.section	.text._ZN4vllm25paged_attention_v1_kernelI14__hip_bfloat16hLi120ELi16ELi128ELNS_18Fp8KVCacheDataTypeE1ELb0EEEvPT_PKS3_PKT0_S9_ifPKiSB_iPKfiiiSD_SD_iiiii,"axG",@progbits,_ZN4vllm25paged_attention_v1_kernelI14__hip_bfloat16hLi120ELi16ELi128ELNS_18Fp8KVCacheDataTypeE1ELb0EEEvPT_PKS3_PKT0_S9_ifPKiSB_iPKfiiiSD_SD_iiiii,comdat
	.protected	_ZN4vllm25paged_attention_v1_kernelI14__hip_bfloat16hLi120ELi16ELi128ELNS_18Fp8KVCacheDataTypeE1ELb0EEEvPT_PKS3_PKT0_S9_ifPKiSB_iPKfiiiSD_SD_iiiii ; -- Begin function _ZN4vllm25paged_attention_v1_kernelI14__hip_bfloat16hLi120ELi16ELi128ELNS_18Fp8KVCacheDataTypeE1ELb0EEEvPT_PKS3_PKT0_S9_ifPKiSB_iPKfiiiSD_SD_iiiii
	.globl	_ZN4vllm25paged_attention_v1_kernelI14__hip_bfloat16hLi120ELi16ELi128ELNS_18Fp8KVCacheDataTypeE1ELb0EEEvPT_PKS3_PKT0_S9_ifPKiSB_iPKfiiiSD_SD_iiiii
	.p2align	8
	.type	_ZN4vllm25paged_attention_v1_kernelI14__hip_bfloat16hLi120ELi16ELi128ELNS_18Fp8KVCacheDataTypeE1ELb0EEEvPT_PKS3_PKT0_S9_ifPKiSB_iPKfiiiSD_SD_iiiii,@function
_ZN4vllm25paged_attention_v1_kernelI14__hip_bfloat16hLi120ELi16ELi128ELNS_18Fp8KVCacheDataTypeE1ELb0EEEvPT_PKS3_PKT0_S9_ifPKiSB_iPKfiiiSD_SD_iiiii: ; @_ZN4vllm25paged_attention_v1_kernelI14__hip_bfloat16hLi120ELi16ELi128ELNS_18Fp8KVCacheDataTypeE1ELb0EEEvPT_PKS3_PKT0_S9_ifPKiSB_iPKfiiiSD_SD_iiiii
; %bb.0:
	s_load_dword s5, s[0:1], 0x80
	s_load_dwordx2 s[6:7], s[0:1], 0x30
	s_load_dwordx2 s[28:29], s[0:1], 0x20
	s_mov_b32 s16, s3
	s_ashr_i32 s17, s3, 31
	s_lshl_b64 s[8:9], s[16:17], 2
	s_waitcnt lgkmcnt(0)
	s_add_u32 s6, s6, s8
	s_addc_u32 s7, s7, s9
	s_abs_i32 s3, s28
	v_cvt_f32_u32_e32 v1, s3
	s_sub_i32 s10, 0, s3
	s_abs_i32 s9, s5
	s_xor_b32 s8, s5, s28
	v_rcp_iflag_f32_e32 v1, v1
	s_ashr_i32 s8, s8, 31
	s_mov_b32 s28, 0
	v_mul_f32_e32 v1, 0x4f7ffffe, v1
	v_cvt_u32_f32_e32 v1, v1
	s_nop 0
	v_readfirstlane_b32 s11, v1
	s_mul_i32 s10, s10, s11
	s_mul_hi_u32 s10, s11, s10
	s_add_i32 s11, s11, s10
	s_mul_hi_u32 s10, s9, s11
	s_mul_i32 s11, s10, s3
	s_sub_i32 s9, s9, s11
	s_add_i32 s11, s10, 1
	s_sub_i32 s12, s9, s3
	s_cmp_ge_u32 s9, s3
	s_cselect_b32 s10, s11, s10
	s_cselect_b32 s9, s12, s9
	s_add_i32 s11, s10, 1
	s_cmp_ge_u32 s9, s3
	s_cselect_b32 s3, s11, s10
	s_xor_b32 s3, s3, s8
	s_sub_i32 s18, s3, s8
	s_abs_i32 s10, s18
	v_cvt_f32_u32_e32 v1, s10
	s_load_dwordx2 s[8:9], s[0:1], 0x40
	s_sub_i32 s3, 0, s10
	s_abs_i32 s11, s2
	v_rcp_iflag_f32_e32 v1, v1
	s_nop 0
	v_mul_f32_e32 v1, 0x4f7ffffe, v1
	v_cvt_u32_f32_e32 v1, v1
	s_nop 0
	v_readfirstlane_b32 s12, v1
	s_mul_i32 s3, s3, s12
	s_mul_hi_u32 s3, s12, s3
	s_add_i32 s12, s12, s3
	s_waitcnt lgkmcnt(0)
	s_cmp_eq_u64 s[8:9], 0
	s_mul_hi_u32 s17, s11, s12
	s_cbranch_scc1 .LBB321_2
; %bb.1:
	s_ashr_i32 s3, s2, 31
	s_lshl_b64 s[12:13], s[2:3], 2
	s_add_u32 s8, s8, s12
	s_addc_u32 s9, s9, s13
	s_load_dword s28, s[8:9], 0x0
.LBB321_2:
	s_load_dword s33, s[6:7], 0x0
	s_load_dwordx4 s[12:15], s[0:1], 0x48
	s_ashr_i32 s6, s2, 31
	s_ashr_i32 s7, s18, 31
	v_and_b32_e32 v6, 3, v0
	s_mul_i32 s18, s2, 0x78
	v_cmp_gt_u32_e32 vcc, 60, v0
	s_and_saveexec_b64 s[2:3], vcc
	s_cbranch_execz .LBB321_4
; %bb.3:
	s_load_dwordx2 s[8:9], s[0:1], 0x8
	s_waitcnt lgkmcnt(0)
	s_mul_i32 s20, s16, s12
	s_ashr_i32 s21, s20, 31
	s_lshl_b64 s[20:21], s[20:21], 1
	v_lshlrev_b32_e32 v1, 2, v0
	s_add_u32 s12, s8, s20
	s_addc_u32 s15, s9, s21
	s_ashr_i32 s19, s18, 31
	s_lshl_b64 s[8:9], s[18:19], 1
	s_add_u32 s8, s12, s8
	s_addc_u32 s9, s15, s9
	global_load_dword v1, v1, s[8:9]
	v_and_b32_e32 v2, 0x3fc, v0
	v_mad_u32_u24 v2, v6, 60, v2
	s_waitcnt vmcnt(0)
	ds_write_b32 v2, v1
.LBB321_4:
	s_or_b64 exec, exec, s[2:3]
	s_waitcnt lgkmcnt(0)
	s_add_i32 s3, s33, 15
	s_ashr_i32 s8, s3, 31
	s_lshr_b32 s8, s8, 28
	s_add_i32 s3, s3, s8
	s_ashr_i32 s19, s3, 4
	s_xor_b32 s3, s6, s7
	s_mul_i32 s6, s17, s10
	s_sub_i32 s6, s11, s6
	s_add_i32 s7, s17, 1
	s_sub_i32 s8, s6, s10
	s_load_dwordx2 s[22:23], s[0:1], 0x28
	s_load_dword s2, s[0:1], 0x38
	s_cmp_ge_u32 s6, s10
	s_cselect_b32 s7, s7, s17
	s_cselect_b32 s6, s8, s6
	s_add_i32 s8, s7, 1
	s_cmp_ge_u32 s6, s10
	s_cselect_b32 s6, s8, s7
	v_lshrrev_b32_e32 v1, 6, v0
	s_xor_b32 s6, s6, s3
	s_waitcnt lgkmcnt(0)
	s_mul_i32 s24, s16, s2
	s_sub_i32 s12, s6, s3
	s_ashr_i32 s25, s24, 31
	v_cmp_gt_i32_e64 s[6:7], s19, v1
	v_cmp_le_i32_e32 vcc, s19, v1
	v_mbcnt_lo_u32_b32 v7, -1, 0
	s_barrier
	s_waitcnt lgkmcnt(0)
                                        ; implicit-def: $sgpr15
                                        ; implicit-def: $vgpr10
                                        ; implicit-def: $vgpr11
	s_and_saveexec_b64 s[2:3], vcc
	s_xor_b64 s[2:3], exec, s[2:3]
; %bb.5:
	v_mbcnt_hi_u32_b32 v10, -1, v7
	v_and_b32_e32 v2, 64, v10
	v_add_u32_e32 v11, 64, v2
	s_mov_b32 s15, 0xff7fffff
                                        ; implicit-def: $vgpr6
                                        ; implicit-def: $vgpr7
; %bb.6:
	s_or_saveexec_b64 s[30:31], s[2:3]
	s_load_dwordx2 s[20:21], s[0:1], 0x0
	s_load_dwordx2 s[26:27], s[0:1], 0x18
	s_load_dword s17, s[0:1], 0x88
	s_load_dwordx4 s[8:11], s[0:1], 0x58
	v_mov_b32_e32 v43, s15
	s_mul_i32 s12, s12, s14
	v_lshrrev_b32_e32 v18, 4, v0
	s_xor_b64 exec, exec, s[30:31]
	s_cbranch_execz .LBB321_132
; %bb.7:
	v_mul_u32_u24_e32 v30, 60, v6
	ds_read2_b32 v[8:9], v30 offset1:1
	ds_read2_b32 v[10:11], v30 offset0:2 offset1:3
	ds_read2_b32 v[24:25], v30 offset0:4 offset1:5
	;; [unrolled: 1-line block ×3, first 2 shown]
	s_load_dwordx2 s[0:1], s[0:1], 0x10
	s_ashr_i32 s2, s12, 31
	s_waitcnt lgkmcnt(0)
	v_lshlrev_b32_e32 v16, 16, v10
	v_lshlrev_b32_e32 v12, 16, v8
	v_and_b32_e32 v13, 0xffff0000, v8
	v_lshlrev_b32_e32 v14, 16, v9
	v_and_b32_e32 v15, 0xffff0000, v9
	v_and_b32_e32 v17, 0xffff0000, v10
	v_lshlrev_b32_e32 v19, 16, v11
	v_and_b32_e32 v20, 0xffff0000, v11
	ds_read2_b32 v[8:9], v30 offset0:8 offset1:9
	ds_read2_b32 v[10:11], v30 offset0:10 offset1:11
	;; [unrolled: 1-line block ×3, first 2 shown]
	ds_read_b32 v42, v30 offset:56
	v_bfe_u32 v43, v0, 2, 4
	s_add_u32 s0, s0, s12
	s_waitcnt lgkmcnt(2)
	v_lshlrev_b32_e32 v33, 16, v10
	v_and_b32_e32 v34, 0xffff0000, v10
	v_mbcnt_hi_u32_b32 v10, -1, v7
	v_and_b32_e32 v7, 64, v10
	v_lshlrev_b32_e32 v35, 16, v11
	v_and_b32_e32 v36, 0xffff0000, v11
	v_add_u32_e32 v11, 64, v7
	v_xor_b32_e32 v7, 2, v10
	v_cmp_lt_i32_e32 vcc, v7, v11
	v_lshlrev_b32_e32 v2, 4, v43
	s_addc_u32 s1, s1, s2
	v_cndmask_b32_e32 v7, v10, v7, vcc
	v_lshlrev_b32_e32 v44, 2, v7
	v_xor_b32_e32 v7, 1, v10
	v_mov_b32_e32 v3, 0
	v_cmp_lt_i32_e32 vcc, v7, v11
	s_load_dword s35, s[8:9], 0x0
	v_lshl_add_u64 v[4:5], s[0:1], 0, v[2:3]
	v_lshlrev_b32_e32 v2, 1, v6
	v_cndmask_b32_e32 v7, v10, v7, vcc
	v_cmp_eq_u32_e32 vcc, 0, v6
	s_sub_i32 s36, 1, s33
	v_lshlrev_b32_e32 v6, 2, v43
	s_lshl_b64 s[0:1], s[24:25], 2
	v_lshl_or_b32 v6, v1, 6, v6
	s_add_u32 s0, s22, s0
	v_lshlrev_b32_e32 v45, 2, v7
	v_add_u32_e32 v47, 0x100, v6
	v_and_b32_e32 v6, 60, v18
	v_mov_b32_e32 v7, v3
	s_addc_u32 s1, s23, s1
	s_mov_b32 s34, s13
	v_lshlrev_b32_e32 v21, 16, v24
	v_and_b32_e32 v22, 0xffff0000, v24
	v_lshlrev_b32_e32 v23, 16, v25
	v_and_b32_e32 v24, 0xffff0000, v25
	;; [unrolled: 2-line block ×6, first 2 shown]
	s_waitcnt lgkmcnt(0)
	v_lshlrev_b32_e32 v37, 16, v40
	v_and_b32_e32 v38, 0xffff0000, v40
	v_lshlrev_b32_e32 v39, 16, v41
	v_and_b32_e32 v40, 0xffff0000, v41
	;; [unrolled: 2-line block ×3, first 2 shown]
	v_cmp_neq_f32_e64 s[2:3], s28, 0
	v_lshl_or_b32 v46, v1, 4, v43
	v_lshl_add_u64 v[6:7], s[0:1], 0, v[6:7]
	s_mov_b64 s[8:9], 0
	v_mov_b32_e32 v43, 0xff7fffff
	s_mov_b32 s37, 0xffff
	s_mov_b32 s38, 0x7f800000
	s_movk_i32 s39, 0x7fff
	v_mov_b32_e32 v48, v1
	s_branch .LBB321_9
.LBB321_8:                              ;   in Loop: Header=BB321_9 Depth=1
	s_or_b64 exec, exec, s[14:15]
	v_add_u32_e32 v48, 2, v48
	v_cmp_le_i32_e64 s[0:1], s19, v48
	v_add_u32_e32 v46, 32, v46
	v_add_u32_e32 v47, 0x80, v47
	s_or_b64 s[8:9], s[0:1], s[8:9]
	v_lshl_add_u64 v[6:7], v[6:7], 0, 8
	s_andn2_b64 exec, exec, s[8:9]
	s_cbranch_execz .LBB321_131
.LBB321_9:                              ; =>This Inner Loop Header: Depth=1
	global_load_dword v8, v[6:7], off
	s_waitcnt vmcnt(0) lgkmcnt(0)
	v_mad_i64_i32 v[8:9], s[0:1], v8, s34, v[4:5]
	v_lshl_add_u64 v[8:9], v[8:9], 0, v[2:3]
	global_load_ushort v50, v[8:9], off
	s_waitcnt vmcnt(0)
	v_and_b32_sdwa v49, s37, v50 dst_sel:DWORD dst_unused:UNUSED_PAD src0_sel:DWORD src1_sel:BYTE_0
	v_cvt_f32_fp8_sdwa v49, v49 src0_sel:BYTE_0
	s_nop 0
	v_mul_f32_e32 v51, s35, v49
	v_and_b32_e32 v49, 0x7f800000, v51
	v_cmp_ne_u32_e64 s[0:1], s38, v49
                                        ; implicit-def: $vgpr49
	s_and_saveexec_b64 s[14:15], s[0:1]
	s_xor_b64 s[0:1], exec, s[14:15]
; %bb.10:                               ;   in Loop: Header=BB321_9 Depth=1
	v_bfe_u32 v49, v51, 16, 1
	v_add3_u32 v49, v51, v49, s39
                                        ; implicit-def: $vgpr51
; %bb.11:                               ;   in Loop: Header=BB321_9 Depth=1
	s_andn2_saveexec_b64 s[14:15], s[0:1]
; %bb.12:                               ;   in Loop: Header=BB321_9 Depth=1
	v_or_b32_e32 v49, 0x10000, v51
	v_cmp_eq_u32_sdwa s[0:1], v51, v3 src0_sel:WORD_0 src1_sel:DWORD
	s_nop 1
	v_cndmask_b32_e64 v49, v49, v51, s[0:1]
; %bb.13:                               ;   in Loop: Header=BB321_9 Depth=1
	s_or_b64 exec, exec, s[14:15]
	v_lshrrev_b16_e32 v50, 8, v50
	v_cvt_f32_fp8_sdwa v50, v50 src0_sel:BYTE_0
	s_nop 0
	v_mul_f32_e32 v51, s35, v50
	v_and_b32_e32 v50, 0x7f800000, v51
	v_cmp_ne_u32_e64 s[0:1], s38, v50
                                        ; implicit-def: $vgpr50
	s_and_saveexec_b64 s[14:15], s[0:1]
	s_xor_b64 s[0:1], exec, s[14:15]
; %bb.14:                               ;   in Loop: Header=BB321_9 Depth=1
	v_bfe_u32 v50, v51, 16, 1
	v_add3_u32 v50, v51, v50, s39
                                        ; implicit-def: $vgpr51
; %bb.15:                               ;   in Loop: Header=BB321_9 Depth=1
	s_andn2_saveexec_b64 s[14:15], s[0:1]
; %bb.16:                               ;   in Loop: Header=BB321_9 Depth=1
	v_or_b32_e32 v50, 0x10000, v51
	v_cmp_eq_u32_sdwa s[0:1], v51, v3 src0_sel:WORD_0 src1_sel:DWORD
	s_nop 1
	v_cndmask_b32_e64 v50, v50, v51, s[0:1]
; %bb.17:                               ;   in Loop: Header=BB321_9 Depth=1
	s_or_b64 exec, exec, s[14:15]
	global_load_ushort v52, v[8:9], off offset:8
	s_waitcnt vmcnt(0)
	v_and_b32_sdwa v51, s37, v52 dst_sel:DWORD dst_unused:UNUSED_PAD src0_sel:DWORD src1_sel:BYTE_0
	v_cvt_f32_fp8_sdwa v51, v51 src0_sel:BYTE_0
	s_nop 0
	v_mul_f32_e32 v53, s35, v51
	v_and_b32_e32 v51, 0x7f800000, v53
	v_cmp_ne_u32_e64 s[0:1], s38, v51
                                        ; implicit-def: $vgpr51
	s_and_saveexec_b64 s[14:15], s[0:1]
	s_xor_b64 s[0:1], exec, s[14:15]
; %bb.18:                               ;   in Loop: Header=BB321_9 Depth=1
	v_bfe_u32 v51, v53, 16, 1
	v_add3_u32 v51, v53, v51, s39
                                        ; implicit-def: $vgpr53
; %bb.19:                               ;   in Loop: Header=BB321_9 Depth=1
	s_andn2_saveexec_b64 s[14:15], s[0:1]
; %bb.20:                               ;   in Loop: Header=BB321_9 Depth=1
	v_or_b32_e32 v51, 0x10000, v53
	v_cmp_eq_u32_sdwa s[0:1], v53, v3 src0_sel:WORD_0 src1_sel:DWORD
	s_nop 1
	v_cndmask_b32_e64 v51, v51, v53, s[0:1]
; %bb.21:                               ;   in Loop: Header=BB321_9 Depth=1
	s_or_b64 exec, exec, s[14:15]
	v_lshrrev_b16_e32 v52, 8, v52
	v_cvt_f32_fp8_sdwa v52, v52 src0_sel:BYTE_0
	s_nop 0
	v_mul_f32_e32 v53, s35, v52
	v_and_b32_e32 v52, 0x7f800000, v53
	v_cmp_ne_u32_e64 s[0:1], s38, v52
                                        ; implicit-def: $vgpr52
	s_and_saveexec_b64 s[14:15], s[0:1]
	s_xor_b64 s[0:1], exec, s[14:15]
; %bb.22:                               ;   in Loop: Header=BB321_9 Depth=1
	v_bfe_u32 v52, v53, 16, 1
	v_add3_u32 v52, v53, v52, s39
                                        ; implicit-def: $vgpr53
; %bb.23:                               ;   in Loop: Header=BB321_9 Depth=1
	s_andn2_saveexec_b64 s[14:15], s[0:1]
; %bb.24:                               ;   in Loop: Header=BB321_9 Depth=1
	v_or_b32_e32 v52, 0x10000, v53
	v_cmp_eq_u32_sdwa s[0:1], v53, v3 src0_sel:WORD_0 src1_sel:DWORD
	s_nop 1
	v_cndmask_b32_e64 v52, v52, v53, s[0:1]
; %bb.25:                               ;   in Loop: Header=BB321_9 Depth=1
	s_or_b64 exec, exec, s[14:15]
	global_load_ushort v54, v[8:9], off offset:256
	s_waitcnt vmcnt(0)
	v_and_b32_sdwa v53, s37, v54 dst_sel:DWORD dst_unused:UNUSED_PAD src0_sel:DWORD src1_sel:BYTE_0
	v_cvt_f32_fp8_sdwa v53, v53 src0_sel:BYTE_0
	s_nop 0
	v_mul_f32_e32 v55, s35, v53
	v_and_b32_e32 v53, 0x7f800000, v55
	v_cmp_ne_u32_e64 s[0:1], s38, v53
                                        ; implicit-def: $vgpr53
	s_and_saveexec_b64 s[14:15], s[0:1]
	s_xor_b64 s[0:1], exec, s[14:15]
; %bb.26:                               ;   in Loop: Header=BB321_9 Depth=1
	v_bfe_u32 v53, v55, 16, 1
	v_add3_u32 v53, v55, v53, s39
                                        ; implicit-def: $vgpr55
; %bb.27:                               ;   in Loop: Header=BB321_9 Depth=1
	s_andn2_saveexec_b64 s[14:15], s[0:1]
; %bb.28:                               ;   in Loop: Header=BB321_9 Depth=1
	v_or_b32_e32 v53, 0x10000, v55
	v_cmp_eq_u32_sdwa s[0:1], v55, v3 src0_sel:WORD_0 src1_sel:DWORD
	s_nop 1
	v_cndmask_b32_e64 v53, v53, v55, s[0:1]
; %bb.29:                               ;   in Loop: Header=BB321_9 Depth=1
	s_or_b64 exec, exec, s[14:15]
	v_lshrrev_b16_e32 v54, 8, v54
	v_cvt_f32_fp8_sdwa v54, v54 src0_sel:BYTE_0
	s_nop 0
	v_mul_f32_e32 v55, s35, v54
	v_and_b32_e32 v54, 0x7f800000, v55
	v_cmp_ne_u32_e64 s[0:1], s38, v54
                                        ; implicit-def: $vgpr54
	s_and_saveexec_b64 s[14:15], s[0:1]
	s_xor_b64 s[0:1], exec, s[14:15]
; %bb.30:                               ;   in Loop: Header=BB321_9 Depth=1
	v_bfe_u32 v54, v55, 16, 1
	v_add3_u32 v54, v55, v54, s39
                                        ; implicit-def: $vgpr55
; %bb.31:                               ;   in Loop: Header=BB321_9 Depth=1
	s_andn2_saveexec_b64 s[14:15], s[0:1]
; %bb.32:                               ;   in Loop: Header=BB321_9 Depth=1
	v_or_b32_e32 v54, 0x10000, v55
	v_cmp_eq_u32_sdwa s[0:1], v55, v3 src0_sel:WORD_0 src1_sel:DWORD
	s_nop 1
	v_cndmask_b32_e64 v54, v54, v55, s[0:1]
; %bb.33:                               ;   in Loop: Header=BB321_9 Depth=1
	s_or_b64 exec, exec, s[14:15]
	global_load_ushort v56, v[8:9], off offset:264
	s_waitcnt vmcnt(0)
	v_and_b32_sdwa v55, s37, v56 dst_sel:DWORD dst_unused:UNUSED_PAD src0_sel:DWORD src1_sel:BYTE_0
	v_cvt_f32_fp8_sdwa v55, v55 src0_sel:BYTE_0
	s_nop 0
	v_mul_f32_e32 v57, s35, v55
	v_and_b32_e32 v55, 0x7f800000, v57
	v_cmp_ne_u32_e64 s[0:1], s38, v55
                                        ; implicit-def: $vgpr55
	s_and_saveexec_b64 s[14:15], s[0:1]
	s_xor_b64 s[0:1], exec, s[14:15]
; %bb.34:                               ;   in Loop: Header=BB321_9 Depth=1
	v_bfe_u32 v55, v57, 16, 1
	v_add3_u32 v55, v57, v55, s39
                                        ; implicit-def: $vgpr57
; %bb.35:                               ;   in Loop: Header=BB321_9 Depth=1
	s_andn2_saveexec_b64 s[14:15], s[0:1]
; %bb.36:                               ;   in Loop: Header=BB321_9 Depth=1
	v_or_b32_e32 v55, 0x10000, v57
	v_cmp_eq_u32_sdwa s[0:1], v57, v3 src0_sel:WORD_0 src1_sel:DWORD
	s_nop 1
	v_cndmask_b32_e64 v55, v55, v57, s[0:1]
; %bb.37:                               ;   in Loop: Header=BB321_9 Depth=1
	s_or_b64 exec, exec, s[14:15]
	v_lshrrev_b16_e32 v56, 8, v56
	v_cvt_f32_fp8_sdwa v56, v56 src0_sel:BYTE_0
	s_nop 0
	v_mul_f32_e32 v57, s35, v56
	v_and_b32_e32 v56, 0x7f800000, v57
	v_cmp_ne_u32_e64 s[0:1], s38, v56
                                        ; implicit-def: $vgpr56
	s_and_saveexec_b64 s[14:15], s[0:1]
	s_xor_b64 s[0:1], exec, s[14:15]
; %bb.38:                               ;   in Loop: Header=BB321_9 Depth=1
	v_bfe_u32 v56, v57, 16, 1
	v_add3_u32 v56, v57, v56, s39
                                        ; implicit-def: $vgpr57
; %bb.39:                               ;   in Loop: Header=BB321_9 Depth=1
	s_andn2_saveexec_b64 s[14:15], s[0:1]
; %bb.40:                               ;   in Loop: Header=BB321_9 Depth=1
	v_or_b32_e32 v56, 0x10000, v57
	v_cmp_eq_u32_sdwa s[0:1], v57, v3 src0_sel:WORD_0 src1_sel:DWORD
	s_nop 1
	v_cndmask_b32_e64 v56, v56, v57, s[0:1]
; %bb.41:                               ;   in Loop: Header=BB321_9 Depth=1
	s_or_b64 exec, exec, s[14:15]
	global_load_ushort v58, v[8:9], off offset:512
	s_waitcnt vmcnt(0)
	v_and_b32_sdwa v57, s37, v58 dst_sel:DWORD dst_unused:UNUSED_PAD src0_sel:DWORD src1_sel:BYTE_0
	v_cvt_f32_fp8_sdwa v57, v57 src0_sel:BYTE_0
	s_nop 0
	v_mul_f32_e32 v59, s35, v57
	v_and_b32_e32 v57, 0x7f800000, v59
	v_cmp_ne_u32_e64 s[0:1], s38, v57
                                        ; implicit-def: $vgpr57
	s_and_saveexec_b64 s[14:15], s[0:1]
	s_xor_b64 s[0:1], exec, s[14:15]
; %bb.42:                               ;   in Loop: Header=BB321_9 Depth=1
	v_bfe_u32 v57, v59, 16, 1
	v_add3_u32 v57, v59, v57, s39
                                        ; implicit-def: $vgpr59
; %bb.43:                               ;   in Loop: Header=BB321_9 Depth=1
	s_andn2_saveexec_b64 s[14:15], s[0:1]
; %bb.44:                               ;   in Loop: Header=BB321_9 Depth=1
	v_or_b32_e32 v57, 0x10000, v59
	v_cmp_eq_u32_sdwa s[0:1], v59, v3 src0_sel:WORD_0 src1_sel:DWORD
	s_nop 1
	v_cndmask_b32_e64 v57, v57, v59, s[0:1]
; %bb.45:                               ;   in Loop: Header=BB321_9 Depth=1
	s_or_b64 exec, exec, s[14:15]
	v_lshrrev_b16_e32 v58, 8, v58
	v_cvt_f32_fp8_sdwa v58, v58 src0_sel:BYTE_0
	s_nop 0
	v_mul_f32_e32 v59, s35, v58
	v_and_b32_e32 v58, 0x7f800000, v59
	v_cmp_ne_u32_e64 s[0:1], s38, v58
                                        ; implicit-def: $vgpr58
	s_and_saveexec_b64 s[14:15], s[0:1]
	s_xor_b64 s[0:1], exec, s[14:15]
; %bb.46:                               ;   in Loop: Header=BB321_9 Depth=1
	v_bfe_u32 v58, v59, 16, 1
	v_add3_u32 v58, v59, v58, s39
                                        ; implicit-def: $vgpr59
; %bb.47:                               ;   in Loop: Header=BB321_9 Depth=1
	s_andn2_saveexec_b64 s[14:15], s[0:1]
; %bb.48:                               ;   in Loop: Header=BB321_9 Depth=1
	v_or_b32_e32 v58, 0x10000, v59
	v_cmp_eq_u32_sdwa s[0:1], v59, v3 src0_sel:WORD_0 src1_sel:DWORD
	s_nop 1
	v_cndmask_b32_e64 v58, v58, v59, s[0:1]
; %bb.49:                               ;   in Loop: Header=BB321_9 Depth=1
	s_or_b64 exec, exec, s[14:15]
	global_load_ushort v60, v[8:9], off offset:520
	s_waitcnt vmcnt(0)
	v_and_b32_sdwa v59, s37, v60 dst_sel:DWORD dst_unused:UNUSED_PAD src0_sel:DWORD src1_sel:BYTE_0
	v_cvt_f32_fp8_sdwa v59, v59 src0_sel:BYTE_0
	s_nop 0
	v_mul_f32_e32 v61, s35, v59
	v_and_b32_e32 v59, 0x7f800000, v61
	v_cmp_ne_u32_e64 s[0:1], s38, v59
                                        ; implicit-def: $vgpr59
	s_and_saveexec_b64 s[14:15], s[0:1]
	s_xor_b64 s[0:1], exec, s[14:15]
; %bb.50:                               ;   in Loop: Header=BB321_9 Depth=1
	v_bfe_u32 v59, v61, 16, 1
	v_add3_u32 v59, v61, v59, s39
                                        ; implicit-def: $vgpr61
; %bb.51:                               ;   in Loop: Header=BB321_9 Depth=1
	s_andn2_saveexec_b64 s[14:15], s[0:1]
; %bb.52:                               ;   in Loop: Header=BB321_9 Depth=1
	v_or_b32_e32 v59, 0x10000, v61
	v_cmp_eq_u32_sdwa s[0:1], v61, v3 src0_sel:WORD_0 src1_sel:DWORD
	s_nop 1
	v_cndmask_b32_e64 v59, v59, v61, s[0:1]
; %bb.53:                               ;   in Loop: Header=BB321_9 Depth=1
	s_or_b64 exec, exec, s[14:15]
	v_lshrrev_b16_e32 v60, 8, v60
	v_cvt_f32_fp8_sdwa v60, v60 src0_sel:BYTE_0
	s_nop 0
	v_mul_f32_e32 v61, s35, v60
	v_and_b32_e32 v60, 0x7f800000, v61
	v_cmp_ne_u32_e64 s[0:1], s38, v60
                                        ; implicit-def: $vgpr60
	s_and_saveexec_b64 s[14:15], s[0:1]
	s_xor_b64 s[0:1], exec, s[14:15]
; %bb.54:                               ;   in Loop: Header=BB321_9 Depth=1
	v_bfe_u32 v60, v61, 16, 1
	v_add3_u32 v60, v61, v60, s39
                                        ; implicit-def: $vgpr61
; %bb.55:                               ;   in Loop: Header=BB321_9 Depth=1
	s_andn2_saveexec_b64 s[14:15], s[0:1]
; %bb.56:                               ;   in Loop: Header=BB321_9 Depth=1
	v_or_b32_e32 v60, 0x10000, v61
	v_cmp_eq_u32_sdwa s[0:1], v61, v3 src0_sel:WORD_0 src1_sel:DWORD
	s_nop 1
	v_cndmask_b32_e64 v60, v60, v61, s[0:1]
; %bb.57:                               ;   in Loop: Header=BB321_9 Depth=1
	s_or_b64 exec, exec, s[14:15]
	global_load_ushort v62, v[8:9], off offset:768
	s_waitcnt vmcnt(0)
	v_and_b32_sdwa v61, s37, v62 dst_sel:DWORD dst_unused:UNUSED_PAD src0_sel:DWORD src1_sel:BYTE_0
	v_cvt_f32_fp8_sdwa v61, v61 src0_sel:BYTE_0
	s_nop 0
	v_mul_f32_e32 v63, s35, v61
	v_and_b32_e32 v61, 0x7f800000, v63
	v_cmp_ne_u32_e64 s[0:1], s38, v61
                                        ; implicit-def: $vgpr61
	s_and_saveexec_b64 s[14:15], s[0:1]
	s_xor_b64 s[0:1], exec, s[14:15]
; %bb.58:                               ;   in Loop: Header=BB321_9 Depth=1
	v_bfe_u32 v61, v63, 16, 1
	v_add3_u32 v61, v63, v61, s39
                                        ; implicit-def: $vgpr63
; %bb.59:                               ;   in Loop: Header=BB321_9 Depth=1
	s_andn2_saveexec_b64 s[14:15], s[0:1]
; %bb.60:                               ;   in Loop: Header=BB321_9 Depth=1
	v_or_b32_e32 v61, 0x10000, v63
	v_cmp_eq_u32_sdwa s[0:1], v63, v3 src0_sel:WORD_0 src1_sel:DWORD
	s_nop 1
	v_cndmask_b32_e64 v61, v61, v63, s[0:1]
; %bb.61:                               ;   in Loop: Header=BB321_9 Depth=1
	s_or_b64 exec, exec, s[14:15]
	v_lshrrev_b16_e32 v62, 8, v62
	v_cvt_f32_fp8_sdwa v62, v62 src0_sel:BYTE_0
	s_nop 0
	v_mul_f32_e32 v63, s35, v62
	v_and_b32_e32 v62, 0x7f800000, v63
	v_cmp_ne_u32_e64 s[0:1], s38, v62
                                        ; implicit-def: $vgpr62
	s_and_saveexec_b64 s[14:15], s[0:1]
	s_xor_b64 s[0:1], exec, s[14:15]
; %bb.62:                               ;   in Loop: Header=BB321_9 Depth=1
	v_bfe_u32 v62, v63, 16, 1
	v_add3_u32 v62, v63, v62, s39
                                        ; implicit-def: $vgpr63
; %bb.63:                               ;   in Loop: Header=BB321_9 Depth=1
	s_andn2_saveexec_b64 s[14:15], s[0:1]
; %bb.64:                               ;   in Loop: Header=BB321_9 Depth=1
	v_or_b32_e32 v62, 0x10000, v63
	v_cmp_eq_u32_sdwa s[0:1], v63, v3 src0_sel:WORD_0 src1_sel:DWORD
	s_nop 1
	v_cndmask_b32_e64 v62, v62, v63, s[0:1]
; %bb.65:                               ;   in Loop: Header=BB321_9 Depth=1
	s_or_b64 exec, exec, s[14:15]
	global_load_ushort v64, v[8:9], off offset:776
	s_waitcnt vmcnt(0)
	v_and_b32_sdwa v63, s37, v64 dst_sel:DWORD dst_unused:UNUSED_PAD src0_sel:DWORD src1_sel:BYTE_0
	v_cvt_f32_fp8_sdwa v63, v63 src0_sel:BYTE_0
	s_nop 0
	v_mul_f32_e32 v65, s35, v63
	v_and_b32_e32 v63, 0x7f800000, v65
	v_cmp_ne_u32_e64 s[0:1], s38, v63
                                        ; implicit-def: $vgpr63
	s_and_saveexec_b64 s[14:15], s[0:1]
	s_xor_b64 s[0:1], exec, s[14:15]
; %bb.66:                               ;   in Loop: Header=BB321_9 Depth=1
	v_bfe_u32 v63, v65, 16, 1
	v_add3_u32 v63, v65, v63, s39
                                        ; implicit-def: $vgpr65
; %bb.67:                               ;   in Loop: Header=BB321_9 Depth=1
	s_andn2_saveexec_b64 s[14:15], s[0:1]
; %bb.68:                               ;   in Loop: Header=BB321_9 Depth=1
	v_or_b32_e32 v63, 0x10000, v65
	v_cmp_eq_u32_sdwa s[0:1], v65, v3 src0_sel:WORD_0 src1_sel:DWORD
	s_nop 1
	v_cndmask_b32_e64 v63, v63, v65, s[0:1]
; %bb.69:                               ;   in Loop: Header=BB321_9 Depth=1
	s_or_b64 exec, exec, s[14:15]
	v_lshrrev_b16_e32 v64, 8, v64
	v_cvt_f32_fp8_sdwa v64, v64 src0_sel:BYTE_0
	s_nop 0
	v_mul_f32_e32 v65, s35, v64
	v_and_b32_e32 v64, 0x7f800000, v65
	v_cmp_ne_u32_e64 s[0:1], s38, v64
                                        ; implicit-def: $vgpr64
	s_and_saveexec_b64 s[14:15], s[0:1]
	s_xor_b64 s[0:1], exec, s[14:15]
; %bb.70:                               ;   in Loop: Header=BB321_9 Depth=1
	v_bfe_u32 v64, v65, 16, 1
	v_add3_u32 v64, v65, v64, s39
                                        ; implicit-def: $vgpr65
; %bb.71:                               ;   in Loop: Header=BB321_9 Depth=1
	s_andn2_saveexec_b64 s[14:15], s[0:1]
; %bb.72:                               ;   in Loop: Header=BB321_9 Depth=1
	v_or_b32_e32 v64, 0x10000, v65
	v_cmp_eq_u32_sdwa s[0:1], v65, v3 src0_sel:WORD_0 src1_sel:DWORD
	s_nop 1
	v_cndmask_b32_e64 v64, v64, v65, s[0:1]
; %bb.73:                               ;   in Loop: Header=BB321_9 Depth=1
	s_or_b64 exec, exec, s[14:15]
	global_load_ushort v66, v[8:9], off offset:1024
	s_waitcnt vmcnt(0)
	v_and_b32_sdwa v65, s37, v66 dst_sel:DWORD dst_unused:UNUSED_PAD src0_sel:DWORD src1_sel:BYTE_0
	v_cvt_f32_fp8_sdwa v65, v65 src0_sel:BYTE_0
	s_nop 0
	v_mul_f32_e32 v67, s35, v65
	v_and_b32_e32 v65, 0x7f800000, v67
	v_cmp_ne_u32_e64 s[0:1], s38, v65
                                        ; implicit-def: $vgpr65
	s_and_saveexec_b64 s[14:15], s[0:1]
	s_xor_b64 s[0:1], exec, s[14:15]
; %bb.74:                               ;   in Loop: Header=BB321_9 Depth=1
	v_bfe_u32 v65, v67, 16, 1
	v_add3_u32 v65, v67, v65, s39
                                        ; implicit-def: $vgpr67
; %bb.75:                               ;   in Loop: Header=BB321_9 Depth=1
	s_andn2_saveexec_b64 s[14:15], s[0:1]
; %bb.76:                               ;   in Loop: Header=BB321_9 Depth=1
	v_or_b32_e32 v65, 0x10000, v67
	v_cmp_eq_u32_sdwa s[0:1], v67, v3 src0_sel:WORD_0 src1_sel:DWORD
	s_nop 1
	v_cndmask_b32_e64 v65, v65, v67, s[0:1]
; %bb.77:                               ;   in Loop: Header=BB321_9 Depth=1
	s_or_b64 exec, exec, s[14:15]
	v_lshrrev_b16_e32 v66, 8, v66
	v_cvt_f32_fp8_sdwa v66, v66 src0_sel:BYTE_0
	s_nop 0
	v_mul_f32_e32 v67, s35, v66
	v_and_b32_e32 v66, 0x7f800000, v67
	v_cmp_ne_u32_e64 s[0:1], s38, v66
                                        ; implicit-def: $vgpr66
	s_and_saveexec_b64 s[14:15], s[0:1]
	s_xor_b64 s[0:1], exec, s[14:15]
; %bb.78:                               ;   in Loop: Header=BB321_9 Depth=1
	v_bfe_u32 v66, v67, 16, 1
	v_add3_u32 v66, v67, v66, s39
                                        ; implicit-def: $vgpr67
; %bb.79:                               ;   in Loop: Header=BB321_9 Depth=1
	s_andn2_saveexec_b64 s[14:15], s[0:1]
; %bb.80:                               ;   in Loop: Header=BB321_9 Depth=1
	v_or_b32_e32 v66, 0x10000, v67
	v_cmp_eq_u32_sdwa s[0:1], v67, v3 src0_sel:WORD_0 src1_sel:DWORD
	s_nop 1
	v_cndmask_b32_e64 v66, v66, v67, s[0:1]
; %bb.81:                               ;   in Loop: Header=BB321_9 Depth=1
	s_or_b64 exec, exec, s[14:15]
	global_load_ushort v68, v[8:9], off offset:1032
	s_waitcnt vmcnt(0)
	v_and_b32_sdwa v67, s37, v68 dst_sel:DWORD dst_unused:UNUSED_PAD src0_sel:DWORD src1_sel:BYTE_0
	v_cvt_f32_fp8_sdwa v67, v67 src0_sel:BYTE_0
	s_nop 0
	v_mul_f32_e32 v69, s35, v67
	v_and_b32_e32 v67, 0x7f800000, v69
	v_cmp_ne_u32_e64 s[0:1], s38, v67
                                        ; implicit-def: $vgpr67
	s_and_saveexec_b64 s[14:15], s[0:1]
	s_xor_b64 s[0:1], exec, s[14:15]
; %bb.82:                               ;   in Loop: Header=BB321_9 Depth=1
	v_bfe_u32 v67, v69, 16, 1
	v_add3_u32 v67, v69, v67, s39
                                        ; implicit-def: $vgpr69
; %bb.83:                               ;   in Loop: Header=BB321_9 Depth=1
	s_andn2_saveexec_b64 s[14:15], s[0:1]
; %bb.84:                               ;   in Loop: Header=BB321_9 Depth=1
	v_or_b32_e32 v67, 0x10000, v69
	v_cmp_eq_u32_sdwa s[0:1], v69, v3 src0_sel:WORD_0 src1_sel:DWORD
	s_nop 1
	v_cndmask_b32_e64 v67, v67, v69, s[0:1]
; %bb.85:                               ;   in Loop: Header=BB321_9 Depth=1
	s_or_b64 exec, exec, s[14:15]
	v_lshrrev_b16_e32 v68, 8, v68
	v_cvt_f32_fp8_sdwa v68, v68 src0_sel:BYTE_0
	s_nop 0
	v_mul_f32_e32 v69, s35, v68
	v_and_b32_e32 v68, 0x7f800000, v69
	v_cmp_ne_u32_e64 s[0:1], s38, v68
                                        ; implicit-def: $vgpr68
	s_and_saveexec_b64 s[14:15], s[0:1]
	s_xor_b64 s[0:1], exec, s[14:15]
; %bb.86:                               ;   in Loop: Header=BB321_9 Depth=1
	v_bfe_u32 v68, v69, 16, 1
	v_add3_u32 v68, v69, v68, s39
                                        ; implicit-def: $vgpr69
; %bb.87:                               ;   in Loop: Header=BB321_9 Depth=1
	s_andn2_saveexec_b64 s[14:15], s[0:1]
; %bb.88:                               ;   in Loop: Header=BB321_9 Depth=1
	v_or_b32_e32 v68, 0x10000, v69
	v_cmp_eq_u32_sdwa s[0:1], v69, v3 src0_sel:WORD_0 src1_sel:DWORD
	s_nop 1
	v_cndmask_b32_e64 v68, v68, v69, s[0:1]
; %bb.89:                               ;   in Loop: Header=BB321_9 Depth=1
	s_or_b64 exec, exec, s[14:15]
	global_load_ushort v70, v[8:9], off offset:1280
	s_waitcnt vmcnt(0)
	v_and_b32_sdwa v69, s37, v70 dst_sel:DWORD dst_unused:UNUSED_PAD src0_sel:DWORD src1_sel:BYTE_0
	v_cvt_f32_fp8_sdwa v69, v69 src0_sel:BYTE_0
	s_nop 0
	v_mul_f32_e32 v71, s35, v69
	v_and_b32_e32 v69, 0x7f800000, v71
	v_cmp_ne_u32_e64 s[0:1], s38, v69
                                        ; implicit-def: $vgpr69
	s_and_saveexec_b64 s[14:15], s[0:1]
	s_xor_b64 s[0:1], exec, s[14:15]
; %bb.90:                               ;   in Loop: Header=BB321_9 Depth=1
	v_bfe_u32 v69, v71, 16, 1
	v_add3_u32 v69, v71, v69, s39
                                        ; implicit-def: $vgpr71
; %bb.91:                               ;   in Loop: Header=BB321_9 Depth=1
	s_andn2_saveexec_b64 s[14:15], s[0:1]
; %bb.92:                               ;   in Loop: Header=BB321_9 Depth=1
	v_or_b32_e32 v69, 0x10000, v71
	v_cmp_eq_u32_sdwa s[0:1], v71, v3 src0_sel:WORD_0 src1_sel:DWORD
	s_nop 1
	v_cndmask_b32_e64 v69, v69, v71, s[0:1]
; %bb.93:                               ;   in Loop: Header=BB321_9 Depth=1
	s_or_b64 exec, exec, s[14:15]
	v_lshrrev_b16_e32 v70, 8, v70
	v_cvt_f32_fp8_sdwa v70, v70 src0_sel:BYTE_0
	s_nop 0
	v_mul_f32_e32 v71, s35, v70
	v_and_b32_e32 v70, 0x7f800000, v71
	v_cmp_ne_u32_e64 s[0:1], s38, v70
                                        ; implicit-def: $vgpr70
	s_and_saveexec_b64 s[14:15], s[0:1]
	s_xor_b64 s[0:1], exec, s[14:15]
; %bb.94:                               ;   in Loop: Header=BB321_9 Depth=1
	v_bfe_u32 v70, v71, 16, 1
	v_add3_u32 v70, v71, v70, s39
                                        ; implicit-def: $vgpr71
; %bb.95:                               ;   in Loop: Header=BB321_9 Depth=1
	s_andn2_saveexec_b64 s[14:15], s[0:1]
; %bb.96:                               ;   in Loop: Header=BB321_9 Depth=1
	v_or_b32_e32 v70, 0x10000, v71
	v_cmp_eq_u32_sdwa s[0:1], v71, v3 src0_sel:WORD_0 src1_sel:DWORD
	s_nop 1
	v_cndmask_b32_e64 v70, v70, v71, s[0:1]
; %bb.97:                               ;   in Loop: Header=BB321_9 Depth=1
	s_or_b64 exec, exec, s[14:15]
	global_load_ushort v72, v[8:9], off offset:1288
	s_waitcnt vmcnt(0)
	v_and_b32_sdwa v71, s37, v72 dst_sel:DWORD dst_unused:UNUSED_PAD src0_sel:DWORD src1_sel:BYTE_0
	v_cvt_f32_fp8_sdwa v71, v71 src0_sel:BYTE_0
	s_nop 0
	v_mul_f32_e32 v73, s35, v71
	v_and_b32_e32 v71, 0x7f800000, v73
	v_cmp_ne_u32_e64 s[0:1], s38, v71
                                        ; implicit-def: $vgpr71
	s_and_saveexec_b64 s[14:15], s[0:1]
	s_xor_b64 s[0:1], exec, s[14:15]
; %bb.98:                               ;   in Loop: Header=BB321_9 Depth=1
	v_bfe_u32 v71, v73, 16, 1
	v_add3_u32 v71, v73, v71, s39
                                        ; implicit-def: $vgpr73
; %bb.99:                               ;   in Loop: Header=BB321_9 Depth=1
	s_andn2_saveexec_b64 s[14:15], s[0:1]
; %bb.100:                              ;   in Loop: Header=BB321_9 Depth=1
	v_or_b32_e32 v71, 0x10000, v73
	v_cmp_eq_u32_sdwa s[0:1], v73, v3 src0_sel:WORD_0 src1_sel:DWORD
	s_nop 1
	v_cndmask_b32_e64 v71, v71, v73, s[0:1]
; %bb.101:                              ;   in Loop: Header=BB321_9 Depth=1
	s_or_b64 exec, exec, s[14:15]
	v_lshrrev_b16_e32 v72, 8, v72
	v_cvt_f32_fp8_sdwa v72, v72 src0_sel:BYTE_0
	s_nop 0
	v_mul_f32_e32 v73, s35, v72
	v_and_b32_e32 v72, 0x7f800000, v73
	v_cmp_ne_u32_e64 s[0:1], s38, v72
                                        ; implicit-def: $vgpr72
	s_and_saveexec_b64 s[14:15], s[0:1]
	s_xor_b64 s[0:1], exec, s[14:15]
; %bb.102:                              ;   in Loop: Header=BB321_9 Depth=1
	v_bfe_u32 v72, v73, 16, 1
	v_add3_u32 v72, v73, v72, s39
                                        ; implicit-def: $vgpr73
; %bb.103:                              ;   in Loop: Header=BB321_9 Depth=1
	s_andn2_saveexec_b64 s[14:15], s[0:1]
; %bb.104:                              ;   in Loop: Header=BB321_9 Depth=1
	v_or_b32_e32 v72, 0x10000, v73
	v_cmp_eq_u32_sdwa s[0:1], v73, v3 src0_sel:WORD_0 src1_sel:DWORD
	s_nop 1
	v_cndmask_b32_e64 v72, v72, v73, s[0:1]
; %bb.105:                              ;   in Loop: Header=BB321_9 Depth=1
	s_or_b64 exec, exec, s[14:15]
	global_load_ushort v74, v[8:9], off offset:1536
	s_waitcnt vmcnt(0)
	v_and_b32_sdwa v73, s37, v74 dst_sel:DWORD dst_unused:UNUSED_PAD src0_sel:DWORD src1_sel:BYTE_0
	v_cvt_f32_fp8_sdwa v73, v73 src0_sel:BYTE_0
	s_nop 0
	v_mul_f32_e32 v75, s35, v73
	v_and_b32_e32 v73, 0x7f800000, v75
	v_cmp_ne_u32_e64 s[0:1], s38, v73
                                        ; implicit-def: $vgpr73
	s_and_saveexec_b64 s[14:15], s[0:1]
	s_xor_b64 s[0:1], exec, s[14:15]
; %bb.106:                              ;   in Loop: Header=BB321_9 Depth=1
	v_bfe_u32 v73, v75, 16, 1
	v_add3_u32 v73, v75, v73, s39
                                        ; implicit-def: $vgpr75
; %bb.107:                              ;   in Loop: Header=BB321_9 Depth=1
	s_andn2_saveexec_b64 s[14:15], s[0:1]
; %bb.108:                              ;   in Loop: Header=BB321_9 Depth=1
	v_or_b32_e32 v73, 0x10000, v75
	v_cmp_eq_u32_sdwa s[0:1], v75, v3 src0_sel:WORD_0 src1_sel:DWORD
	s_nop 1
	v_cndmask_b32_e64 v73, v73, v75, s[0:1]
; %bb.109:                              ;   in Loop: Header=BB321_9 Depth=1
	s_or_b64 exec, exec, s[14:15]
	v_lshrrev_b16_e32 v74, 8, v74
	v_cvt_f32_fp8_sdwa v74, v74 src0_sel:BYTE_0
	s_nop 0
	v_mul_f32_e32 v75, s35, v74
	v_and_b32_e32 v74, 0x7f800000, v75
	v_cmp_ne_u32_e64 s[0:1], s38, v74
                                        ; implicit-def: $vgpr74
	s_and_saveexec_b64 s[14:15], s[0:1]
	s_xor_b64 s[0:1], exec, s[14:15]
; %bb.110:                              ;   in Loop: Header=BB321_9 Depth=1
	v_bfe_u32 v74, v75, 16, 1
	v_add3_u32 v74, v75, v74, s39
                                        ; implicit-def: $vgpr75
; %bb.111:                              ;   in Loop: Header=BB321_9 Depth=1
	s_andn2_saveexec_b64 s[14:15], s[0:1]
; %bb.112:                              ;   in Loop: Header=BB321_9 Depth=1
	v_or_b32_e32 v74, 0x10000, v75
	v_cmp_eq_u32_sdwa s[0:1], v75, v3 src0_sel:WORD_0 src1_sel:DWORD
	s_nop 1
	v_cndmask_b32_e64 v74, v74, v75, s[0:1]
; %bb.113:                              ;   in Loop: Header=BB321_9 Depth=1
	s_or_b64 exec, exec, s[14:15]
	global_load_ushort v76, v[8:9], off offset:1544
	s_waitcnt vmcnt(0)
	v_and_b32_sdwa v75, s37, v76 dst_sel:DWORD dst_unused:UNUSED_PAD src0_sel:DWORD src1_sel:BYTE_0
	v_cvt_f32_fp8_sdwa v75, v75 src0_sel:BYTE_0
	s_nop 0
	v_mul_f32_e32 v77, s35, v75
	v_and_b32_e32 v75, 0x7f800000, v77
	v_cmp_ne_u32_e64 s[0:1], s38, v75
                                        ; implicit-def: $vgpr75
	s_and_saveexec_b64 s[14:15], s[0:1]
	s_xor_b64 s[0:1], exec, s[14:15]
; %bb.114:                              ;   in Loop: Header=BB321_9 Depth=1
	v_bfe_u32 v75, v77, 16, 1
	v_add3_u32 v75, v77, v75, s39
                                        ; implicit-def: $vgpr77
; %bb.115:                              ;   in Loop: Header=BB321_9 Depth=1
	s_andn2_saveexec_b64 s[14:15], s[0:1]
; %bb.116:                              ;   in Loop: Header=BB321_9 Depth=1
	v_or_b32_e32 v75, 0x10000, v77
	v_cmp_eq_u32_sdwa s[0:1], v77, v3 src0_sel:WORD_0 src1_sel:DWORD
	s_nop 1
	v_cndmask_b32_e64 v75, v75, v77, s[0:1]
; %bb.117:                              ;   in Loop: Header=BB321_9 Depth=1
	s_or_b64 exec, exec, s[14:15]
	v_lshrrev_b16_e32 v76, 8, v76
	v_cvt_f32_fp8_sdwa v76, v76 src0_sel:BYTE_0
	s_nop 0
	v_mul_f32_e32 v77, s35, v76
	v_and_b32_e32 v76, 0x7f800000, v77
	v_cmp_ne_u32_e64 s[0:1], s38, v76
                                        ; implicit-def: $vgpr76
	s_and_saveexec_b64 s[14:15], s[0:1]
	s_xor_b64 s[0:1], exec, s[14:15]
; %bb.118:                              ;   in Loop: Header=BB321_9 Depth=1
	v_bfe_u32 v76, v77, 16, 1
	v_add3_u32 v76, v77, v76, s39
                                        ; implicit-def: $vgpr77
; %bb.119:                              ;   in Loop: Header=BB321_9 Depth=1
	s_andn2_saveexec_b64 s[14:15], s[0:1]
; %bb.120:                              ;   in Loop: Header=BB321_9 Depth=1
	v_or_b32_e32 v76, 0x10000, v77
	v_cmp_eq_u32_sdwa s[0:1], v77, v3 src0_sel:WORD_0 src1_sel:DWORD
	s_nop 1
	v_cndmask_b32_e64 v76, v76, v77, s[0:1]
; %bb.121:                              ;   in Loop: Header=BB321_9 Depth=1
	s_or_b64 exec, exec, s[14:15]
	global_load_ushort v9, v[8:9], off offset:1792
	s_waitcnt vmcnt(0)
	v_and_b32_sdwa v8, s37, v9 dst_sel:DWORD dst_unused:UNUSED_PAD src0_sel:DWORD src1_sel:BYTE_0
	v_cvt_f32_fp8_sdwa v8, v8 src0_sel:BYTE_0
	s_nop 0
	v_mul_f32_e32 v77, s35, v8
	v_and_b32_e32 v8, 0x7f800000, v77
	v_cmp_ne_u32_e64 s[0:1], s38, v8
                                        ; implicit-def: $vgpr8
	s_and_saveexec_b64 s[14:15], s[0:1]
	s_xor_b64 s[0:1], exec, s[14:15]
; %bb.122:                              ;   in Loop: Header=BB321_9 Depth=1
	v_bfe_u32 v8, v77, 16, 1
	v_add3_u32 v8, v77, v8, s39
                                        ; implicit-def: $vgpr77
; %bb.123:                              ;   in Loop: Header=BB321_9 Depth=1
	s_andn2_saveexec_b64 s[14:15], s[0:1]
; %bb.124:                              ;   in Loop: Header=BB321_9 Depth=1
	v_or_b32_e32 v8, 0x10000, v77
	v_cmp_eq_u32_sdwa s[0:1], v77, v3 src0_sel:WORD_0 src1_sel:DWORD
	s_nop 1
	v_cndmask_b32_e64 v8, v8, v77, s[0:1]
; %bb.125:                              ;   in Loop: Header=BB321_9 Depth=1
	s_or_b64 exec, exec, s[14:15]
	v_lshrrev_b16_e32 v9, 8, v9
	v_cvt_f32_fp8_sdwa v9, v9 src0_sel:BYTE_0
	s_nop 0
	v_mul_f32_e32 v77, s35, v9
	v_and_b32_e32 v9, 0x7f800000, v77
	v_cmp_ne_u32_e64 s[0:1], s38, v9
                                        ; implicit-def: $vgpr9
	s_and_saveexec_b64 s[14:15], s[0:1]
	s_xor_b64 s[0:1], exec, s[14:15]
; %bb.126:                              ;   in Loop: Header=BB321_9 Depth=1
	v_bfe_u32 v9, v77, 16, 1
	v_add3_u32 v9, v77, v9, s39
                                        ; implicit-def: $vgpr77
; %bb.127:                              ;   in Loop: Header=BB321_9 Depth=1
	s_andn2_saveexec_b64 s[14:15], s[0:1]
; %bb.128:                              ;   in Loop: Header=BB321_9 Depth=1
	v_or_b32_e32 v9, 0x10000, v77
	v_cmp_eq_u32_sdwa s[0:1], v77, v3 src0_sel:WORD_0 src1_sel:DWORD
	s_nop 1
	v_cndmask_b32_e64 v9, v9, v77, s[0:1]
; %bb.129:                              ;   in Loop: Header=BB321_9 Depth=1
	s_or_b64 exec, exec, s[14:15]
	v_and_b32_e32 v51, 0xffff0000, v51
	v_and_b32_e32 v52, 0xffff0000, v52
	v_and_b32_e32 v49, 0xffff0000, v49
	v_mul_f32_e32 v51, v14, v51
	v_and_b32_e32 v50, 0xffff0000, v50
	v_fmac_f32_e32 v51, v12, v49
	v_mul_f32_e32 v49, v15, v52
	v_and_b32_e32 v54, 0xffff0000, v54
	v_and_b32_e32 v53, 0xffff0000, v53
	v_fmac_f32_e32 v49, v13, v50
	v_and_b32_e32 v56, 0xffff0000, v56
	v_and_b32_e32 v55, 0xffff0000, v55
	v_fmac_f32_e32 v51, v16, v53
	v_fmac_f32_e32 v49, v17, v54
	v_and_b32_e32 v58, 0xffff0000, v58
	v_and_b32_e32 v57, 0xffff0000, v57
	v_fmac_f32_e32 v51, v19, v55
	;; [unrolled: 4-line block ×12, first 2 shown]
	v_fmac_f32_e32 v49, v40, v76
	v_fmac_f32_e32 v51, v41, v8
	;; [unrolled: 1-line block ×3, first 2 shown]
	v_add_f32_e32 v8, v51, v49
	ds_bpermute_b32 v9, v44, v8
	s_waitcnt lgkmcnt(0)
	v_add_f32_e32 v8, v8, v9
	ds_bpermute_b32 v9, v45, v8
	s_and_saveexec_b64 s[14:15], vcc
	s_cbranch_execz .LBB321_8
; %bb.130:                              ;   in Loop: Header=BB321_9 Depth=1
	v_add_u32_e32 v49, s36, v46
	v_cvt_f32_i32_e32 v49, v49
	s_waitcnt lgkmcnt(0)
	v_add_f32_e32 v8, v8, v9
	v_cmp_gt_i32_e64 s[0:1], s33, v46
	v_max_f32_e32 v9, v43, v43
	v_mul_f32_e32 v49, s28, v49
	v_cndmask_b32_e64 v49, 0, v49, s[2:3]
	v_fmac_f32_e32 v49, s29, v8
	v_cndmask_b32_e64 v8, 0, v49, s[0:1]
	ds_write_b32 v47, v8
	v_max_f32_e32 v8, v9, v49
	v_cndmask_b32_e64 v43, v43, v8, s[0:1]
	s_branch .LBB321_8
.LBB321_131:
	s_or_b64 exec, exec, s[8:9]
.LBB321_132:
	s_or_b64 exec, exec, s[30:31]
	v_xor_b32_e32 v2, 32, v10
	v_cmp_lt_i32_e32 vcc, v2, v11
	v_xor_b32_e32 v5, 16, v10
	v_max_f32_e32 v4, v43, v43
	v_cndmask_b32_e32 v2, v10, v2, vcc
	v_lshlrev_b32_e32 v2, 2, v2
	ds_bpermute_b32 v3, v2, v43
	v_cmp_lt_i32_e32 vcc, v5, v11
	v_xor_b32_e32 v6, 8, v10
	v_xor_b32_e32 v8, 4, v10
	s_waitcnt lgkmcnt(0)
	v_max_f32_e32 v3, v3, v3
	v_max_f32_e32 v4, v4, v3
	v_cndmask_b32_e32 v3, v10, v5, vcc
	v_lshlrev_b32_e32 v3, 2, v3
	ds_bpermute_b32 v5, v3, v4
	v_cmp_lt_i32_e32 vcc, v6, v11
	s_waitcnt lgkmcnt(0)
	v_max_f32_e32 v5, v5, v5
	v_max_f32_e32 v4, v4, v5
	v_cndmask_b32_e32 v5, v10, v6, vcc
	v_lshlrev_b32_e32 v7, 2, v5
	ds_bpermute_b32 v5, v7, v4
	v_cmp_lt_i32_e32 vcc, v8, v11
	s_waitcnt lgkmcnt(0)
	v_max_f32_e32 v5, v5, v5
	v_max_f32_e32 v6, v4, v5
	v_cndmask_b32_e32 v4, v10, v8, vcc
	v_lshlrev_b32_e32 v8, 2, v4
	ds_bpermute_b32 v9, v8, v6
	v_and_b32_e32 v4, 63, v0
	v_cmp_eq_u32_e32 vcc, 0, v4
	v_lshlrev_b32_e32 v5, 2, v1
	s_and_saveexec_b64 s[0:1], vcc
	s_cbranch_execz .LBB321_134
; %bb.133:
	s_waitcnt lgkmcnt(0)
	v_max_f32_e32 v9, v9, v9
	v_max_f32_e32 v6, v6, v6
	;; [unrolled: 1-line block ×3, first 2 shown]
	ds_write_b32 v5, v6 offset:240
.LBB321_134:
	s_or_b64 exec, exec, s[0:1]
	v_cmp_gt_u32_e64 s[0:1], 2, v4
	s_waitcnt lgkmcnt(0)
	v_mov_b32_e32 v9, 0xff7fffff
	v_lshlrev_b32_e32 v6, 2, v4
	s_barrier
	s_and_saveexec_b64 s[2:3], s[0:1]
	s_cbranch_execz .LBB321_136
; %bb.135:
	ds_read_b32 v9, v6 offset:240
.LBB321_136:
	s_or_b64 exec, exec, s[2:3]
	v_xor_b32_e32 v12, 1, v10
	v_cmp_lt_i32_e64 s[2:3], v12, v11
	v_lshlrev_b32_e32 v13, 2, v10
	s_nop 0
	v_cndmask_b32_e64 v12, v10, v12, s[2:3]
	v_lshlrev_b32_e32 v20, 2, v12
	s_waitcnt lgkmcnt(0)
	ds_bpermute_b32 v12, v20, v9
	v_max_f32_e32 v9, v9, v9
	s_lshl_b32 s2, s19, 4
	s_min_i32 s30, s2, s33
	v_cmp_gt_i32_e64 s[2:3], s30, v0
	s_waitcnt lgkmcnt(0)
	v_max_f32_e32 v12, v12, v12
	v_max_f32_e32 v12, v9, v12
	v_and_b32_e32 v9, 0xffffff00, v13
	ds_bpermute_b32 v13, v9, v12
	v_mov_b32_e32 v12, 0
	s_and_saveexec_b64 s[14:15], s[2:3]
	s_cbranch_execz .LBB321_140
; %bb.137:
	v_mov_b32_e32 v12, 0x100
	v_lshl_add_u32 v14, v0, 2, v12
	s_mov_b64 s[28:29], 0
	v_mov_b32_e32 v12, 0
	v_mov_b32_e32 v15, v0
.LBB321_138:                            ; =>This Inner Loop Header: Depth=1
	ds_read_b32 v16, v14
	v_add_u32_e32 v15, 0x80, v15
	v_cmp_le_i32_e64 s[8:9], s30, v15
	s_or_b64 s[28:29], s[8:9], s[28:29]
	s_waitcnt lgkmcnt(0)
	v_sub_f32_e32 v16, v16, v13
	v_mul_f32_e32 v16, 0x3fb8aa3b, v16
	v_exp_f32_e32 v16, v16
	ds_write_b32 v14, v16
	v_add_f32_e32 v12, v12, v16
	v_add_u32_e32 v14, 0x200, v14
	s_andn2_b64 exec, exec, s[28:29]
	s_cbranch_execnz .LBB321_138
; %bb.139:
	s_or_b64 exec, exec, s[28:29]
.LBB321_140:
	s_or_b64 exec, exec, s[14:15]
	ds_bpermute_b32 v2, v2, v12
	s_waitcnt lgkmcnt(0)
	v_add_f32_e32 v2, v12, v2
	ds_bpermute_b32 v3, v3, v2
	s_waitcnt lgkmcnt(0)
	v_add_f32_e32 v2, v2, v3
	ds_bpermute_b32 v3, v7, v2
	v_xor_b32_e32 v7, 2, v10
	v_cmp_lt_i32_e64 s[8:9], v7, v11
	s_waitcnt lgkmcnt(0)
	v_add_f32_e32 v2, v2, v3
	ds_bpermute_b32 v3, v8, v2
	v_cndmask_b32_e64 v7, v10, v7, s[8:9]
	s_waitcnt lgkmcnt(0)
	v_add_f32_e32 v2, v2, v3
	v_lshlrev_b32_e32 v3, 2, v7
	ds_bpermute_b32 v3, v3, v2
	s_waitcnt lgkmcnt(0)
	v_add_f32_e32 v2, v2, v3
	ds_bpermute_b32 v3, v20, v2
	s_waitcnt lgkmcnt(0)
	v_add_f32_e32 v2, v2, v3
	s_and_saveexec_b64 s[8:9], vcc
	s_cbranch_execz .LBB321_142
; %bb.141:
	ds_write_b32 v5, v2 offset:248
.LBB321_142:
	s_or_b64 exec, exec, s[8:9]
	s_waitcnt lgkmcnt(0)
	s_barrier
	s_and_saveexec_b64 s[8:9], s[0:1]
	s_cbranch_execz .LBB321_144
; %bb.143:
	ds_read_b32 v2, v6 offset:248
.LBB321_144:
	s_or_b64 exec, exec, s[8:9]
	s_waitcnt lgkmcnt(0)
	ds_bpermute_b32 v3, v20, v2
	s_waitcnt lgkmcnt(0)
	v_add_f32_e32 v2, v2, v3
	ds_bpermute_b32 v2, v9, v2
	s_and_saveexec_b64 s[0:1], s[2:3]
	s_cbranch_execz .LBB321_157
; %bb.145:
	s_waitcnt lgkmcnt(0)
	v_add_f32_e32 v2, 0x358637bd, v2
	v_div_scale_f32 v3, s[2:3], v2, v2, 1.0
	v_rcp_f32_e32 v5, v3
	v_div_scale_f32 v6, vcc, 1.0, v2, 1.0
	s_movk_i32 s2, 0x7f
	v_fma_f32 v7, -v3, v5, 1.0
	v_fmac_f32_e32 v5, v7, v5
	v_mul_f32_e32 v7, v6, v5
	v_fma_f32 v8, -v3, v7, v6
	v_fmac_f32_e32 v7, v8, v5
	v_fma_f32 v3, -v3, v7, v6
	v_div_fmas_f32 v3, v3, v5, v7
	v_xad_u32 v5, v0, -1, s30
	v_div_fixup_f32 v2, v3, v2, 1.0
	v_cmp_lt_u32_e32 vcc, s2, v5
	s_mov_b64 s[8:9], -1
	v_mov_b32_e32 v3, v0
	s_and_saveexec_b64 s[2:3], vcc
	s_cbranch_execz .LBB321_154
; %bb.146:
	v_lshrrev_b32_e32 v5, 7, v5
	v_add_u32_e32 v7, -1, v5
	v_lshrrev_b32_e32 v6, 1, v7
	v_mov_b32_e32 v3, v2
	v_add_u32_e32 v6, 1, v6
	v_cmp_lt_u32_e32 vcc, 13, v7
	v_mov_b32_e32 v9, 0
	s_and_saveexec_b64 s[8:9], vcc
	s_cbranch_execz .LBB321_150
; %bb.147:
	v_mov_b32_e32 v8, 0x100
	v_and_b32_e32 v7, -8, v6
	v_lshl_add_u32 v8, v0, 2, v8
	s_mov_b32 s28, 0
	s_mov_b64 s[14:15], 0
.LBB321_148:                            ; =>This Inner Loop Header: Depth=1
	ds_read2st64_b32 v[10:11], v8 offset1:2
	ds_read2st64_b32 v[12:13], v8 offset0:4 offset1:6
	ds_read2st64_b32 v[14:15], v8 offset0:8 offset1:10
	;; [unrolled: 1-line block ×3, first 2 shown]
	v_add_u32_e32 v7, -8, v7
	s_waitcnt lgkmcnt(3)
	v_pk_mul_f32 v[10:11], v[2:3], v[10:11]
	s_waitcnt lgkmcnt(2)
	v_pk_mul_f32 v[12:13], v[2:3], v[12:13]
	ds_write2st64_b32 v8, v10, v11 offset1:2
	ds_write2st64_b32 v8, v12, v13 offset0:4 offset1:6
	ds_read2st64_b32 v[12:13], v8 offset0:16 offset1:18
	s_waitcnt lgkmcnt(4)
	v_pk_mul_f32 v[10:11], v[2:3], v[14:15]
	ds_write2st64_b32 v8, v10, v11 offset0:8 offset1:10
	s_waitcnt lgkmcnt(4)
	v_pk_mul_f32 v[10:11], v[2:3], v[16:17]
	ds_write2st64_b32 v8, v10, v11 offset0:12 offset1:14
	ds_read2st64_b32 v[10:11], v8 offset0:20 offset1:22
	s_waitcnt lgkmcnt(3)
	v_pk_mul_f32 v[12:13], v[2:3], v[12:13]
	ds_read2st64_b32 v[14:15], v8 offset0:24 offset1:26
	ds_write2st64_b32 v8, v12, v13 offset0:16 offset1:18
	ds_read2st64_b32 v[12:13], v8 offset0:28 offset1:30
	s_waitcnt lgkmcnt(3)
	v_pk_mul_f32 v[10:11], v[2:3], v[10:11]
	ds_write2st64_b32 v8, v10, v11 offset0:20 offset1:22
	s_waitcnt lgkmcnt(3)
	v_pk_mul_f32 v[10:11], v[2:3], v[14:15]
	ds_write2st64_b32 v8, v10, v11 offset0:24 offset1:26
	s_waitcnt lgkmcnt(2)
	v_pk_mul_f32 v[10:11], v[2:3], v[12:13]
	s_add_i32 s28, s28, 16
	v_cmp_eq_u32_e32 vcc, 0, v7
	ds_write2st64_b32 v8, v10, v11 offset0:28 offset1:30
	v_add_u32_e32 v8, 0x2000, v8
	s_or_b64 s[14:15], vcc, s[14:15]
	v_mov_b32_e32 v9, s28
	s_andn2_b64 exec, exec, s[14:15]
	s_cbranch_execnz .LBB321_148
; %bb.149:
	s_or_b64 exec, exec, s[14:15]
.LBB321_150:
	s_or_b64 exec, exec, s[8:9]
	v_and_b32_e32 v6, 7, v6
	v_cmp_ne_u32_e32 vcc, 0, v6
	s_and_saveexec_b64 s[8:9], vcc
	s_cbranch_execz .LBB321_153
; %bb.151:
	v_lshlrev_b32_e32 v7, 9, v9
	v_lshlrev_b32_e32 v8, 2, v0
	s_movk_i32 s14, 0x100
	v_add3_u32 v7, v7, v8, s14
	s_mov_b64 s[14:15], 0
.LBB321_152:                            ; =>This Inner Loop Header: Depth=1
	ds_read2st64_b32 v[8:9], v7 offset1:2
	v_add_u32_e32 v6, -1, v6
	v_cmp_eq_u32_e32 vcc, 0, v6
	s_or_b64 s[14:15], vcc, s[14:15]
	s_waitcnt lgkmcnt(0)
	v_pk_mul_f32 v[8:9], v[2:3], v[8:9]
	ds_write2st64_b32 v7, v8, v9 offset1:2
	v_add_u32_e32 v7, 0x400, v7
	s_andn2_b64 exec, exec, s[14:15]
	s_cbranch_execnz .LBB321_152
.LBB321_153:
	s_or_b64 exec, exec, s[8:9]
	v_add_u32_e32 v5, 1, v5
	v_and_b32_e32 v6, 0x3fffffe, v5
	v_cmp_ne_u32_e32 vcc, v5, v6
	v_lshl_add_u32 v3, v6, 7, v0
	s_orn2_b64 s[8:9], vcc, exec
.LBB321_154:
	s_or_b64 exec, exec, s[2:3]
	s_and_b64 exec, exec, s[8:9]
	s_cbranch_execz .LBB321_157
; %bb.155:
	v_mov_b32_e32 v5, 0x100
	v_lshl_add_u32 v5, v3, 2, v5
	s_mov_b64 s[2:3], 0
.LBB321_156:                            ; =>This Inner Loop Header: Depth=1
	ds_read_b32 v6, v5
	v_add_u32_e32 v3, 0x80, v3
	v_cmp_le_i32_e32 vcc, s30, v3
	s_or_b64 s[2:3], vcc, s[2:3]
	s_waitcnt lgkmcnt(0)
	v_mul_f32_e32 v6, v2, v6
	ds_write_b32 v5, v6
	v_add_u32_e32 v5, 0x200, v5
	s_andn2_b64 exec, exec, s[2:3]
	s_cbranch_execnz .LBB321_156
.LBB321_157:
	s_or_b64 exec, exec, s[0:1]
	v_mov_b32_e32 v11, 0
	v_lshrrev_b32_e32 v22, 1, v4
	v_and_b32_e32 v21, 1, v0
	v_mov_b32_e32 v10, 0
	v_mov_b32_e32 v15, 0
	;; [unrolled: 1-line block ×3, first 2 shown]
	s_waitcnt lgkmcnt(0)
	s_barrier
	s_and_saveexec_b64 s[8:9], s[6:7]
	s_cbranch_execz .LBB321_459
; %bb.158:
	s_ashr_i32 s0, s12, 31
	v_lshlrev_b32_e32 v2, 3, v0
	s_add_u32 s6, s26, s12
	v_and_b32_e32 v2, 8, v2
	s_addc_u32 s7, s27, s0
	v_or_b32_e32 v3, 0x60, v22
	s_movk_i32 s0, 0x78
	s_load_dword s27, s[10:11], 0x0
	v_cmp_gt_u32_e32 vcc, s0, v3
	v_lshl_or_b32 v16, v3, 4, v2
	v_lshlrev_b32_e32 v3, 4, v1
	s_add_i32 s26, s19, -1
	v_lshl_or_b32 v12, v22, 4, v2
	v_or3_b32 v23, v3, v2, 7
	v_lshlrev_b32_e32 v2, 5, v21
	s_lshl_b64 s[0:1], s[24:25], 2
	v_mov_b32_e32 v13, 0
	v_lshl_or_b32 v2, v1, 6, v2
	s_add_u32 s0, s22, s0
	v_add_u32_e32 v24, 0x100, v2
	v_and_b32_e32 v2, 60, v18
	v_mov_b32_e32 v3, v13
	s_addc_u32 s1, s23, s1
	s_mov_b32 s28, s13
	v_mov_b32_e32 v17, v13
	v_lshl_add_u64 v[18:19], s[0:1], 0, v[2:3]
	s_mov_b64 s[10:11], 0
	s_mov_b32 s22, 0x7f800000
	s_movk_i32 s23, 0x7fff
	v_mov_b32_e32 v14, v13
	v_mov_b32_e32 v15, v13
	;; [unrolled: 1-line block ×4, first 2 shown]
	s_branch .LBB321_161
.LBB321_159:                            ;   in Loop: Header=BB321_161 Depth=1
	s_or_b64 exec, exec, s[2:3]
	v_and_b32_e32 v39, 0xffff0000, v37
	v_and_b32_e32 v38, 0xffff0000, v35
	;; [unrolled: 1-line block ×8, first 2 shown]
	v_pk_add_f32 v[2:3], v[32:33], v[36:37]
	v_pk_add_f32 v[32:33], v[34:35], v[38:39]
	v_add_f32_e32 v2, v2, v3
	v_add_f32_e32 v2, v2, v32
	;; [unrolled: 1-line block ×4, first 2 shown]
.LBB321_160:                            ;   in Loop: Header=BB321_161 Depth=1
	s_or_b64 exec, exec, s[12:13]
	v_and_b32_e32 v2, 0xffff0000, v28
	v_and_b32_e32 v28, 0xffff0000, v27
	;; [unrolled: 1-line block ×8, first 2 shown]
	v_pk_add_f32 v[8:9], v[8:9], v[26:27]
	v_pk_add_f32 v[2:3], v[28:29], v[2:3]
	v_add_f32_e32 v8, v8, v9
	v_add_f32_e32 v2, v8, v2
	;; [unrolled: 1-line block ×3, first 2 shown]
	v_and_b32_e32 v27, 0xffff0000, v41
	v_and_b32_e32 v26, 0xffff0000, v7
	;; [unrolled: 1-line block ×4, first 2 shown]
	v_add_f32_e32 v14, v14, v2
	v_and_b32_e32 v3, 0xffff0000, v45
	v_and_b32_e32 v2, 0xffff0000, v43
	;; [unrolled: 1-line block ×4, first 2 shown]
	v_pk_add_f32 v[6:7], v[6:7], v[26:27]
	v_pk_add_f32 v[2:3], v[8:9], v[2:3]
	v_add_f32_e32 v6, v6, v7
	v_add_f32_e32 v2, v6, v2
	;; [unrolled: 1-line block ×3, first 2 shown]
	v_and_b32_e32 v9, 0xffff0000, v47
	v_and_b32_e32 v8, 0xffff0000, v5
	;; [unrolled: 1-line block ×4, first 2 shown]
	v_add_f32_e32 v15, v15, v2
	v_and_b32_e32 v3, 0xffff0000, v51
	v_and_b32_e32 v2, 0xffff0000, v49
	v_and_b32_e32 v7, 0xffff0000, v50
	v_and_b32_e32 v6, 0xffff0000, v48
	v_pk_add_f32 v[4:5], v[4:5], v[8:9]
	v_pk_add_f32 v[2:3], v[6:7], v[2:3]
	v_add_f32_e32 v4, v4, v5
	v_add_f32_e32 v2, v4, v2
	v_add_u32_e32 v1, 2, v1
	v_add_f32_e32 v2, v2, v3
	v_cmp_le_i32_e64 s[0:1], s19, v1
	v_add_f32_e32 v10, v10, v2
	v_add_u32_e32 v23, 32, v23
	v_add_u32_e32 v24, 0x80, v24
	s_or_b64 s[10:11], s[0:1], s[10:11]
	v_lshl_add_u64 v[18:19], v[18:19], 0, 8
	s_andn2_b64 exec, exec, s[10:11]
	s_cbranch_execz .LBB321_458
.LBB321_161:                            ; =>This Inner Loop Header: Depth=1
	global_load_dword v31, v[18:19], off
	ds_read2_b64 v[6:9], v24 offset1:1
	ds_read2_b64 v[2:5], v24 offset0:2 offset1:3
                                        ; implicit-def: $vgpr32
	s_waitcnt lgkmcnt(0)
	v_and_b32_e32 v25, 0x7f800000, v6
	v_cmp_ne_u32_e64 s[0:1], s22, v25
	s_and_saveexec_b64 s[2:3], s[0:1]
	s_xor_b64 s[0:1], exec, s[2:3]
; %bb.162:                              ;   in Loop: Header=BB321_161 Depth=1
	v_bfe_u32 v25, v6, 16, 1
	v_add3_u32 v32, v6, v25, s23
; %bb.163:                              ;   in Loop: Header=BB321_161 Depth=1
	s_andn2_saveexec_b64 s[2:3], s[0:1]
; %bb.164:                              ;   in Loop: Header=BB321_161 Depth=1
	v_or_b32_e32 v25, 0x10000, v6
	v_cmp_eq_u32_sdwa s[0:1], v6, v13 src0_sel:WORD_0 src1_sel:DWORD
	s_nop 1
	v_cndmask_b32_e64 v32, v25, v6, s[0:1]
; %bb.165:                              ;   in Loop: Header=BB321_161 Depth=1
	s_or_b64 exec, exec, s[2:3]
	v_and_b32_e32 v6, 0x7f800000, v7
	v_cmp_ne_u32_e64 s[0:1], s22, v6
                                        ; implicit-def: $vgpr33
	s_and_saveexec_b64 s[2:3], s[0:1]
	s_xor_b64 s[0:1], exec, s[2:3]
; %bb.166:                              ;   in Loop: Header=BB321_161 Depth=1
	v_bfe_u32 v6, v7, 16, 1
	v_add3_u32 v33, v7, v6, s23
; %bb.167:                              ;   in Loop: Header=BB321_161 Depth=1
	s_andn2_saveexec_b64 s[2:3], s[0:1]
; %bb.168:                              ;   in Loop: Header=BB321_161 Depth=1
	v_or_b32_e32 v6, 0x10000, v7
	v_cmp_eq_u32_sdwa s[0:1], v7, v13 src0_sel:WORD_0 src1_sel:DWORD
	s_nop 1
	v_cndmask_b32_e64 v33, v6, v7, s[0:1]
; %bb.169:                              ;   in Loop: Header=BB321_161 Depth=1
	s_or_b64 exec, exec, s[2:3]
	v_and_b32_e32 v6, 0x7f800000, v8
	v_cmp_ne_u32_e64 s[0:1], s22, v6
                                        ; implicit-def: $vgpr25
	s_and_saveexec_b64 s[2:3], s[0:1]
	s_xor_b64 s[0:1], exec, s[2:3]
; %bb.170:                              ;   in Loop: Header=BB321_161 Depth=1
	v_bfe_u32 v6, v8, 16, 1
	v_add3_u32 v25, v8, v6, s23
; %bb.171:                              ;   in Loop: Header=BB321_161 Depth=1
	s_andn2_saveexec_b64 s[2:3], s[0:1]
; %bb.172:                              ;   in Loop: Header=BB321_161 Depth=1
	v_or_b32_e32 v6, 0x10000, v8
	v_cmp_eq_u32_sdwa s[0:1], v8, v13 src0_sel:WORD_0 src1_sel:DWORD
	s_nop 1
	v_cndmask_b32_e64 v25, v6, v8, s[0:1]
; %bb.173:                              ;   in Loop: Header=BB321_161 Depth=1
	s_or_b64 exec, exec, s[2:3]
	v_and_b32_e32 v6, 0x7f800000, v9
	v_cmp_ne_u32_e64 s[0:1], s22, v6
                                        ; implicit-def: $vgpr26
	s_and_saveexec_b64 s[2:3], s[0:1]
	s_xor_b64 s[0:1], exec, s[2:3]
; %bb.174:                              ;   in Loop: Header=BB321_161 Depth=1
	v_bfe_u32 v6, v9, 16, 1
	v_add3_u32 v26, v9, v6, s23
                                        ; implicit-def: $vgpr6_vgpr7_vgpr8_vgpr9
; %bb.175:                              ;   in Loop: Header=BB321_161 Depth=1
	s_andn2_saveexec_b64 s[2:3], s[0:1]
; %bb.176:                              ;   in Loop: Header=BB321_161 Depth=1
	v_or_b32_e32 v6, 0x10000, v9
	v_cmp_eq_u32_sdwa s[0:1], v9, v13 src0_sel:WORD_0 src1_sel:DWORD
	s_nop 1
	v_cndmask_b32_e64 v26, v6, v9, s[0:1]
; %bb.177:                              ;   in Loop: Header=BB321_161 Depth=1
	s_or_b64 exec, exec, s[2:3]
	v_and_b32_e32 v6, 0x7f800000, v2
	v_cmp_ne_u32_e64 s[0:1], s22, v6
                                        ; implicit-def: $vgpr27
	s_and_saveexec_b64 s[2:3], s[0:1]
	s_xor_b64 s[0:1], exec, s[2:3]
; %bb.178:                              ;   in Loop: Header=BB321_161 Depth=1
	v_bfe_u32 v6, v2, 16, 1
	v_add3_u32 v27, v2, v6, s23
; %bb.179:                              ;   in Loop: Header=BB321_161 Depth=1
	s_andn2_saveexec_b64 s[2:3], s[0:1]
; %bb.180:                              ;   in Loop: Header=BB321_161 Depth=1
	v_or_b32_e32 v6, 0x10000, v2
	v_cmp_eq_u32_sdwa s[0:1], v2, v13 src0_sel:WORD_0 src1_sel:DWORD
	s_nop 1
	v_cndmask_b32_e64 v27, v6, v2, s[0:1]
; %bb.181:                              ;   in Loop: Header=BB321_161 Depth=1
	s_or_b64 exec, exec, s[2:3]
	v_and_b32_e32 v2, 0x7f800000, v3
	v_cmp_ne_u32_e64 s[0:1], s22, v2
                                        ; implicit-def: $vgpr28
	s_and_saveexec_b64 s[2:3], s[0:1]
	s_xor_b64 s[0:1], exec, s[2:3]
; %bb.182:                              ;   in Loop: Header=BB321_161 Depth=1
	v_bfe_u32 v2, v3, 16, 1
	v_add3_u32 v28, v3, v2, s23
; %bb.183:                              ;   in Loop: Header=BB321_161 Depth=1
	s_andn2_saveexec_b64 s[2:3], s[0:1]
; %bb.184:                              ;   in Loop: Header=BB321_161 Depth=1
	v_or_b32_e32 v2, 0x10000, v3
	v_cmp_eq_u32_sdwa s[0:1], v3, v13 src0_sel:WORD_0 src1_sel:DWORD
	s_nop 1
	v_cndmask_b32_e64 v28, v2, v3, s[0:1]
; %bb.185:                              ;   in Loop: Header=BB321_161 Depth=1
	s_or_b64 exec, exec, s[2:3]
	v_and_b32_e32 v2, 0x7f800000, v4
	v_cmp_ne_u32_e64 s[0:1], s22, v2
                                        ; implicit-def: $vgpr29
	s_and_saveexec_b64 s[2:3], s[0:1]
	s_xor_b64 s[0:1], exec, s[2:3]
; %bb.186:                              ;   in Loop: Header=BB321_161 Depth=1
	v_bfe_u32 v2, v4, 16, 1
	v_add3_u32 v29, v4, v2, s23
; %bb.187:                              ;   in Loop: Header=BB321_161 Depth=1
	s_andn2_saveexec_b64 s[2:3], s[0:1]
; %bb.188:                              ;   in Loop: Header=BB321_161 Depth=1
	v_or_b32_e32 v2, 0x10000, v4
	v_cmp_eq_u32_sdwa s[0:1], v4, v13 src0_sel:WORD_0 src1_sel:DWORD
	s_nop 1
	v_cndmask_b32_e64 v29, v2, v4, s[0:1]
; %bb.189:                              ;   in Loop: Header=BB321_161 Depth=1
	s_or_b64 exec, exec, s[2:3]
	v_and_b32_e32 v2, 0x7f800000, v5
	v_cmp_ne_u32_e64 s[0:1], s22, v2
                                        ; implicit-def: $vgpr30
	s_and_saveexec_b64 s[2:3], s[0:1]
	s_xor_b64 s[0:1], exec, s[2:3]
; %bb.190:                              ;   in Loop: Header=BB321_161 Depth=1
	v_bfe_u32 v2, v5, 16, 1
	v_add3_u32 v30, v5, v2, s23
                                        ; implicit-def: $vgpr2_vgpr3_vgpr4_vgpr5
; %bb.191:                              ;   in Loop: Header=BB321_161 Depth=1
	s_andn2_saveexec_b64 s[2:3], s[0:1]
; %bb.192:                              ;   in Loop: Header=BB321_161 Depth=1
	v_or_b32_e32 v2, 0x10000, v5
	v_cmp_eq_u32_sdwa s[0:1], v5, v13 src0_sel:WORD_0 src1_sel:DWORD
	s_nop 1
	v_cndmask_b32_e64 v30, v2, v5, s[0:1]
; %bb.193:                              ;   in Loop: Header=BB321_161 Depth=1
	s_or_b64 exec, exec, s[2:3]
	v_mov_b64_e32 v[2:3], s[6:7]
	s_waitcnt vmcnt(0)
	v_mad_i64_i32 v[2:3], s[0:1], v31, s28, v[2:3]
	v_lshl_add_u64 v[4:5], v[2:3], 0, v[12:13]
	global_load_dwordx2 v[6:7], v[4:5], off
	s_waitcnt vmcnt(0)
	v_and_b32_e32 v8, 0xff, v6
	v_cvt_f32_fp8_sdwa v8, v8 src0_sel:BYTE_0
	s_nop 0
	v_mul_f32_e32 v9, s27, v8
	v_and_b32_e32 v8, 0x7f800000, v9
	v_cmp_ne_u32_e64 s[0:1], s22, v8
                                        ; implicit-def: $vgpr8
	s_and_saveexec_b64 s[2:3], s[0:1]
	s_xor_b64 s[0:1], exec, s[2:3]
; %bb.194:                              ;   in Loop: Header=BB321_161 Depth=1
	v_bfe_u32 v8, v9, 16, 1
	v_add3_u32 v8, v9, v8, s23
                                        ; implicit-def: $vgpr9
; %bb.195:                              ;   in Loop: Header=BB321_161 Depth=1
	s_andn2_saveexec_b64 s[2:3], s[0:1]
; %bb.196:                              ;   in Loop: Header=BB321_161 Depth=1
	v_or_b32_e32 v8, 0x10000, v9
	v_cmp_eq_u32_sdwa s[0:1], v9, v13 src0_sel:WORD_0 src1_sel:DWORD
	s_nop 1
	v_cndmask_b32_e64 v8, v8, v9, s[0:1]
; %bb.197:                              ;   in Loop: Header=BB321_161 Depth=1
	s_or_b64 exec, exec, s[2:3]
	v_bfe_u32 v9, v6, 8, 8
	v_cvt_f32_fp8_sdwa v9, v9 src0_sel:BYTE_0
	s_nop 0
	v_mul_f32_e32 v31, s27, v9
	v_and_b32_e32 v9, 0x7f800000, v31
	v_cmp_ne_u32_e64 s[0:1], s22, v9
                                        ; implicit-def: $vgpr9
	s_and_saveexec_b64 s[2:3], s[0:1]
	s_xor_b64 s[0:1], exec, s[2:3]
; %bb.198:                              ;   in Loop: Header=BB321_161 Depth=1
	v_bfe_u32 v9, v31, 16, 1
	v_add3_u32 v9, v31, v9, s23
                                        ; implicit-def: $vgpr31
; %bb.199:                              ;   in Loop: Header=BB321_161 Depth=1
	s_andn2_saveexec_b64 s[2:3], s[0:1]
; %bb.200:                              ;   in Loop: Header=BB321_161 Depth=1
	v_or_b32_e32 v9, 0x10000, v31
	v_cmp_eq_u32_sdwa s[0:1], v31, v13 src0_sel:WORD_0 src1_sel:DWORD
	s_nop 1
	v_cndmask_b32_e64 v9, v9, v31, s[0:1]
; %bb.201:                              ;   in Loop: Header=BB321_161 Depth=1
	s_or_b64 exec, exec, s[2:3]
	v_bfe_u32 v31, v6, 16, 8
	v_cvt_f32_fp8_sdwa v31, v31 src0_sel:BYTE_0
	s_nop 0
	v_mul_f32_e32 v31, s27, v31
	v_and_b32_e32 v34, 0x7f800000, v31
	v_cmp_ne_u32_e64 s[0:1], s22, v34
                                        ; implicit-def: $vgpr34
	s_and_saveexec_b64 s[2:3], s[0:1]
	s_xor_b64 s[0:1], exec, s[2:3]
; %bb.202:                              ;   in Loop: Header=BB321_161 Depth=1
	v_bfe_u32 v34, v31, 16, 1
	v_add3_u32 v34, v31, v34, s23
                                        ; implicit-def: $vgpr31
; %bb.203:                              ;   in Loop: Header=BB321_161 Depth=1
	s_andn2_saveexec_b64 s[2:3], s[0:1]
; %bb.204:                              ;   in Loop: Header=BB321_161 Depth=1
	v_or_b32_e32 v34, 0x10000, v31
	v_cmp_eq_u32_sdwa s[0:1], v31, v13 src0_sel:WORD_0 src1_sel:DWORD
	s_nop 1
	v_cndmask_b32_e64 v34, v34, v31, s[0:1]
; %bb.205:                              ;   in Loop: Header=BB321_161 Depth=1
	s_or_b64 exec, exec, s[2:3]
	v_lshrrev_b32_e32 v6, 24, v6
	v_cvt_f32_fp8_sdwa v6, v6 src0_sel:BYTE_0
	s_nop 0
	v_mul_f32_e32 v31, s27, v6
	v_and_b32_e32 v6, 0x7f800000, v31
	v_cmp_ne_u32_e64 s[0:1], s22, v6
                                        ; implicit-def: $vgpr6
	s_and_saveexec_b64 s[2:3], s[0:1]
	s_xor_b64 s[0:1], exec, s[2:3]
; %bb.206:                              ;   in Loop: Header=BB321_161 Depth=1
	v_bfe_u32 v6, v31, 16, 1
	v_add3_u32 v6, v31, v6, s23
                                        ; implicit-def: $vgpr31
; %bb.207:                              ;   in Loop: Header=BB321_161 Depth=1
	s_andn2_saveexec_b64 s[2:3], s[0:1]
; %bb.208:                              ;   in Loop: Header=BB321_161 Depth=1
	v_or_b32_e32 v6, 0x10000, v31
	v_cmp_eq_u32_sdwa s[0:1], v31, v13 src0_sel:WORD_0 src1_sel:DWORD
	s_nop 1
	v_cndmask_b32_e64 v6, v6, v31, s[0:1]
; %bb.209:                              ;   in Loop: Header=BB321_161 Depth=1
	s_or_b64 exec, exec, s[2:3]
	v_and_b32_e32 v31, 0xff, v7
	v_cvt_f32_fp8_sdwa v31, v31 src0_sel:BYTE_0
	s_nop 0
	v_mul_f32_e32 v31, s27, v31
	v_and_b32_e32 v35, 0x7f800000, v31
	v_cmp_ne_u32_e64 s[0:1], s22, v35
                                        ; implicit-def: $vgpr35
	s_and_saveexec_b64 s[2:3], s[0:1]
	s_xor_b64 s[0:1], exec, s[2:3]
; %bb.210:                              ;   in Loop: Header=BB321_161 Depth=1
	v_bfe_u32 v35, v31, 16, 1
	v_add3_u32 v35, v31, v35, s23
                                        ; implicit-def: $vgpr31
; %bb.211:                              ;   in Loop: Header=BB321_161 Depth=1
	s_andn2_saveexec_b64 s[2:3], s[0:1]
; %bb.212:                              ;   in Loop: Header=BB321_161 Depth=1
	v_or_b32_e32 v35, 0x10000, v31
	v_cmp_eq_u32_sdwa s[0:1], v31, v13 src0_sel:WORD_0 src1_sel:DWORD
	s_nop 1
	v_cndmask_b32_e64 v35, v35, v31, s[0:1]
; %bb.213:                              ;   in Loop: Header=BB321_161 Depth=1
	s_or_b64 exec, exec, s[2:3]
	v_bfe_u32 v31, v7, 8, 8
	v_cvt_f32_fp8_sdwa v31, v31 src0_sel:BYTE_0
	s_nop 0
	v_mul_f32_e32 v31, s27, v31
	v_and_b32_e32 v36, 0x7f800000, v31
	v_cmp_ne_u32_e64 s[0:1], s22, v36
                                        ; implicit-def: $vgpr36
	s_and_saveexec_b64 s[2:3], s[0:1]
	s_xor_b64 s[0:1], exec, s[2:3]
; %bb.214:                              ;   in Loop: Header=BB321_161 Depth=1
	v_bfe_u32 v36, v31, 16, 1
	v_add3_u32 v36, v31, v36, s23
                                        ; implicit-def: $vgpr31
; %bb.215:                              ;   in Loop: Header=BB321_161 Depth=1
	s_andn2_saveexec_b64 s[2:3], s[0:1]
; %bb.216:                              ;   in Loop: Header=BB321_161 Depth=1
	v_or_b32_e32 v36, 0x10000, v31
	v_cmp_eq_u32_sdwa s[0:1], v31, v13 src0_sel:WORD_0 src1_sel:DWORD
	s_nop 1
	v_cndmask_b32_e64 v36, v36, v31, s[0:1]
; %bb.217:                              ;   in Loop: Header=BB321_161 Depth=1
	s_or_b64 exec, exec, s[2:3]
	v_bfe_u32 v31, v7, 16, 8
	v_cvt_f32_fp8_sdwa v31, v31 src0_sel:BYTE_0
                                        ; implicit-def: $vgpr39
	s_nop 0
	v_mul_f32_e32 v31, s27, v31
	v_and_b32_e32 v37, 0x7f800000, v31
	v_cmp_ne_u32_e64 s[0:1], s22, v37
	s_and_saveexec_b64 s[2:3], s[0:1]
	s_xor_b64 s[0:1], exec, s[2:3]
; %bb.218:                              ;   in Loop: Header=BB321_161 Depth=1
	v_bfe_u32 v37, v31, 16, 1
	v_add3_u32 v39, v31, v37, s23
                                        ; implicit-def: $vgpr31
; %bb.219:                              ;   in Loop: Header=BB321_161 Depth=1
	s_andn2_saveexec_b64 s[2:3], s[0:1]
; %bb.220:                              ;   in Loop: Header=BB321_161 Depth=1
	v_or_b32_e32 v37, 0x10000, v31
	v_cmp_eq_u32_sdwa s[0:1], v31, v13 src0_sel:WORD_0 src1_sel:DWORD
	s_nop 1
	v_cndmask_b32_e64 v39, v37, v31, s[0:1]
; %bb.221:                              ;   in Loop: Header=BB321_161 Depth=1
	s_or_b64 exec, exec, s[2:3]
	v_lshrrev_b32_e32 v7, 24, v7
	v_cvt_f32_fp8_sdwa v7, v7 src0_sel:BYTE_0
                                        ; implicit-def: $vgpr40
	s_nop 0
	v_mul_f32_e32 v7, s27, v7
	v_and_b32_e32 v31, 0x7f800000, v7
	v_cmp_ne_u32_e64 s[0:1], s22, v31
	s_and_saveexec_b64 s[2:3], s[0:1]
	s_xor_b64 s[0:1], exec, s[2:3]
; %bb.222:                              ;   in Loop: Header=BB321_161 Depth=1
	v_bfe_u32 v31, v7, 16, 1
	v_add3_u32 v40, v7, v31, s23
                                        ; implicit-def: $vgpr7
; %bb.223:                              ;   in Loop: Header=BB321_161 Depth=1
	s_andn2_saveexec_b64 s[2:3], s[0:1]
; %bb.224:                              ;   in Loop: Header=BB321_161 Depth=1
	v_or_b32_e32 v31, 0x10000, v7
	v_cmp_eq_u32_sdwa s[0:1], v7, v13 src0_sel:WORD_0 src1_sel:DWORD
	s_nop 1
	v_cndmask_b32_e64 v40, v31, v7, s[0:1]
; %bb.225:                              ;   in Loop: Header=BB321_161 Depth=1
	s_or_b64 exec, exec, s[2:3]
	v_cmp_eq_u32_e64 s[0:1], s26, v1
	v_add_u32_e32 v31, -7, v23
	v_lshrrev_b32_e32 v38, 16, v36
	v_lshrrev_b32_e32 v37, 16, v35
	;; [unrolled: 1-line block ×8, first 2 shown]
	s_and_saveexec_b64 s[12:13], s[0:1]
	s_cbranch_execz .LBB321_227
; %bb.226:                              ;   in Loop: Header=BB321_161 Depth=1
	v_cmp_gt_i32_e64 s[2:3], s33, v31
	v_add_u32_e32 v34, -6, v23
	s_nop 0
	v_cndmask_b32_e64 v8, 0, v8, s[2:3]
	v_cmp_gt_i32_e64 s[2:3], s33, v34
	v_add_u32_e32 v34, -5, v23
	s_nop 0
	v_cndmask_b32_e64 v9, 0, v9, s[2:3]
	;; [unrolled: 4-line block ×6, first 2 shown]
	v_cmp_gt_i32_e64 s[2:3], s33, v34
	s_nop 1
	v_cndmask_b32_e64 v7, 0, v7, s[2:3]
	v_cmp_gt_i32_e64 s[2:3], s33, v23
	s_nop 1
	v_cndmask_b32_e64 v6, 0, v6, s[2:3]
.LBB321_227:                            ;   in Loop: Header=BB321_161 Depth=1
	s_or_b64 exec, exec, s[12:13]
	v_and_b32_e32 v32, 0xffff0000, v32
	v_lshlrev_b32_e32 v8, 16, v8
	v_mul_f32_e32 v34, v32, v8
	v_and_b32_e32 v8, 0x7f800000, v34
	v_cmp_ne_u32_e64 s[2:3], s22, v8
                                        ; implicit-def: $vgpr8
	s_and_saveexec_b64 s[12:13], s[2:3]
	s_xor_b64 s[2:3], exec, s[12:13]
; %bb.228:                              ;   in Loop: Header=BB321_161 Depth=1
	v_bfe_u32 v8, v34, 16, 1
	v_add3_u32 v8, v34, v8, s23
                                        ; implicit-def: $vgpr34
; %bb.229:                              ;   in Loop: Header=BB321_161 Depth=1
	s_andn2_saveexec_b64 s[12:13], s[2:3]
; %bb.230:                              ;   in Loop: Header=BB321_161 Depth=1
	v_or_b32_e32 v8, 0x10000, v34
	v_cmp_eq_u32_sdwa s[2:3], v34, v13 src0_sel:WORD_0 src1_sel:DWORD
	s_nop 1
	v_cndmask_b32_e64 v8, v8, v34, s[2:3]
; %bb.231:                              ;   in Loop: Header=BB321_161 Depth=1
	s_or_b64 exec, exec, s[12:13]
	v_and_b32_e32 v33, 0xffff0000, v33
	v_lshlrev_b32_e32 v9, 16, v9
	v_mul_f32_e32 v34, v33, v9
	v_and_b32_e32 v9, 0x7f800000, v34
	v_cmp_ne_u32_e64 s[2:3], s22, v9
                                        ; implicit-def: $vgpr9
	s_and_saveexec_b64 s[12:13], s[2:3]
	s_xor_b64 s[2:3], exec, s[12:13]
; %bb.232:                              ;   in Loop: Header=BB321_161 Depth=1
	v_bfe_u32 v9, v34, 16, 1
	v_add3_u32 v9, v34, v9, s23
                                        ; implicit-def: $vgpr34
; %bb.233:                              ;   in Loop: Header=BB321_161 Depth=1
	s_andn2_saveexec_b64 s[12:13], s[2:3]
; %bb.234:                              ;   in Loop: Header=BB321_161 Depth=1
	v_or_b32_e32 v9, 0x10000, v34
	v_cmp_eq_u32_sdwa s[2:3], v34, v13 src0_sel:WORD_0 src1_sel:DWORD
	s_nop 1
	v_cndmask_b32_e64 v9, v9, v34, s[2:3]
; %bb.235:                              ;   in Loop: Header=BB321_161 Depth=1
	s_or_b64 exec, exec, s[12:13]
	v_and_b32_e32 v34, 0xffff0000, v25
	v_lshlrev_b32_e32 v25, 16, v35
	v_mul_f32_e32 v35, v34, v25
	v_and_b32_e32 v25, 0x7f800000, v35
	v_cmp_ne_u32_e64 s[2:3], s22, v25
                                        ; implicit-def: $vgpr25
	s_and_saveexec_b64 s[12:13], s[2:3]
	s_xor_b64 s[2:3], exec, s[12:13]
; %bb.236:                              ;   in Loop: Header=BB321_161 Depth=1
	v_bfe_u32 v25, v35, 16, 1
	v_add3_u32 v25, v35, v25, s23
                                        ; implicit-def: $vgpr35
; %bb.237:                              ;   in Loop: Header=BB321_161 Depth=1
	s_andn2_saveexec_b64 s[12:13], s[2:3]
; %bb.238:                              ;   in Loop: Header=BB321_161 Depth=1
	v_or_b32_e32 v25, 0x10000, v35
	v_cmp_eq_u32_sdwa s[2:3], v35, v13 src0_sel:WORD_0 src1_sel:DWORD
	s_nop 1
	v_cndmask_b32_e64 v25, v25, v35, s[2:3]
; %bb.239:                              ;   in Loop: Header=BB321_161 Depth=1
	s_or_b64 exec, exec, s[12:13]
	v_and_b32_e32 v35, 0xffff0000, v26
	v_lshlrev_b32_e32 v26, 16, v36
	v_mul_f32_e32 v36, v35, v26
	v_and_b32_e32 v26, 0x7f800000, v36
	v_cmp_ne_u32_e64 s[2:3], s22, v26
                                        ; implicit-def: $vgpr26
	s_and_saveexec_b64 s[12:13], s[2:3]
	s_xor_b64 s[2:3], exec, s[12:13]
; %bb.240:                              ;   in Loop: Header=BB321_161 Depth=1
	v_bfe_u32 v26, v36, 16, 1
	v_add3_u32 v26, v36, v26, s23
                                        ; implicit-def: $vgpr36
; %bb.241:                              ;   in Loop: Header=BB321_161 Depth=1
	s_andn2_saveexec_b64 s[12:13], s[2:3]
; %bb.242:                              ;   in Loop: Header=BB321_161 Depth=1
	v_or_b32_e32 v26, 0x10000, v36
	v_cmp_eq_u32_sdwa s[2:3], v36, v13 src0_sel:WORD_0 src1_sel:DWORD
	s_nop 1
	v_cndmask_b32_e64 v26, v26, v36, s[2:3]
; %bb.243:                              ;   in Loop: Header=BB321_161 Depth=1
	s_or_b64 exec, exec, s[12:13]
	v_and_b32_e32 v36, 0xffff0000, v27
	v_lshlrev_b32_e32 v27, 16, v37
	v_mul_f32_e32 v37, v36, v27
	v_and_b32_e32 v27, 0x7f800000, v37
	v_cmp_ne_u32_e64 s[2:3], s22, v27
                                        ; implicit-def: $vgpr27
	s_and_saveexec_b64 s[12:13], s[2:3]
	s_xor_b64 s[2:3], exec, s[12:13]
; %bb.244:                              ;   in Loop: Header=BB321_161 Depth=1
	v_bfe_u32 v27, v37, 16, 1
	v_add3_u32 v27, v37, v27, s23
                                        ; implicit-def: $vgpr37
; %bb.245:                              ;   in Loop: Header=BB321_161 Depth=1
	s_andn2_saveexec_b64 s[12:13], s[2:3]
; %bb.246:                              ;   in Loop: Header=BB321_161 Depth=1
	v_or_b32_e32 v27, 0x10000, v37
	v_cmp_eq_u32_sdwa s[2:3], v37, v13 src0_sel:WORD_0 src1_sel:DWORD
	s_nop 1
	v_cndmask_b32_e64 v27, v27, v37, s[2:3]
; %bb.247:                              ;   in Loop: Header=BB321_161 Depth=1
	s_or_b64 exec, exec, s[12:13]
	v_and_b32_e32 v37, 0xffff0000, v28
	v_lshlrev_b32_e32 v28, 16, v38
	v_mul_f32_e32 v38, v37, v28
	v_and_b32_e32 v28, 0x7f800000, v38
	v_cmp_ne_u32_e64 s[2:3], s22, v28
                                        ; implicit-def: $vgpr28
	s_and_saveexec_b64 s[12:13], s[2:3]
	s_xor_b64 s[2:3], exec, s[12:13]
; %bb.248:                              ;   in Loop: Header=BB321_161 Depth=1
	v_bfe_u32 v28, v38, 16, 1
	v_add3_u32 v28, v38, v28, s23
                                        ; implicit-def: $vgpr38
; %bb.249:                              ;   in Loop: Header=BB321_161 Depth=1
	s_andn2_saveexec_b64 s[12:13], s[2:3]
; %bb.250:                              ;   in Loop: Header=BB321_161 Depth=1
	v_or_b32_e32 v28, 0x10000, v38
	v_cmp_eq_u32_sdwa s[2:3], v38, v13 src0_sel:WORD_0 src1_sel:DWORD
	s_nop 1
	v_cndmask_b32_e64 v28, v28, v38, s[2:3]
; %bb.251:                              ;   in Loop: Header=BB321_161 Depth=1
	s_or_b64 exec, exec, s[12:13]
	v_and_b32_e32 v38, 0xffff0000, v29
	v_lshlrev_b32_e32 v7, 16, v7
	v_mul_f32_e32 v7, v38, v7
	v_and_b32_e32 v29, 0x7f800000, v7
	v_cmp_ne_u32_e64 s[2:3], s22, v29
                                        ; implicit-def: $vgpr29
	s_and_saveexec_b64 s[12:13], s[2:3]
	s_xor_b64 s[2:3], exec, s[12:13]
; %bb.252:                              ;   in Loop: Header=BB321_161 Depth=1
	v_bfe_u32 v29, v7, 16, 1
	v_add3_u32 v29, v7, v29, s23
                                        ; implicit-def: $vgpr7
; %bb.253:                              ;   in Loop: Header=BB321_161 Depth=1
	s_andn2_saveexec_b64 s[12:13], s[2:3]
; %bb.254:                              ;   in Loop: Header=BB321_161 Depth=1
	v_or_b32_e32 v29, 0x10000, v7
	v_cmp_eq_u32_sdwa s[2:3], v7, v13 src0_sel:WORD_0 src1_sel:DWORD
	s_nop 1
	v_cndmask_b32_e64 v29, v29, v7, s[2:3]
; %bb.255:                              ;   in Loop: Header=BB321_161 Depth=1
	s_or_b64 exec, exec, s[12:13]
	v_and_b32_e32 v39, 0xffff0000, v30
	v_lshlrev_b32_e32 v6, 16, v6
	v_mul_f32_e32 v6, v39, v6
	v_and_b32_e32 v7, 0x7f800000, v6
	v_cmp_ne_u32_e64 s[2:3], s22, v7
                                        ; implicit-def: $vgpr30
	s_and_saveexec_b64 s[12:13], s[2:3]
	s_xor_b64 s[2:3], exec, s[12:13]
; %bb.256:                              ;   in Loop: Header=BB321_161 Depth=1
	v_bfe_u32 v7, v6, 16, 1
	v_add3_u32 v30, v6, v7, s23
                                        ; implicit-def: $vgpr6
; %bb.257:                              ;   in Loop: Header=BB321_161 Depth=1
	s_andn2_saveexec_b64 s[12:13], s[2:3]
; %bb.258:                              ;   in Loop: Header=BB321_161 Depth=1
	v_or_b32_e32 v7, 0x10000, v6
	v_cmp_eq_u32_sdwa s[2:3], v6, v13 src0_sel:WORD_0 src1_sel:DWORD
	s_nop 1
	v_cndmask_b32_e64 v30, v7, v6, s[2:3]
; %bb.259:                              ;   in Loop: Header=BB321_161 Depth=1
	s_or_b64 exec, exec, s[12:13]
	global_load_dwordx2 v[6:7], v[4:5], off offset:512
	s_waitcnt vmcnt(0)
	v_and_b32_e32 v40, 0xff, v6
	v_cvt_f32_fp8_sdwa v40, v40 src0_sel:BYTE_0
	s_nop 0
	v_mul_f32_e32 v41, s27, v40
	v_and_b32_e32 v40, 0x7f800000, v41
	v_cmp_ne_u32_e64 s[2:3], s22, v40
                                        ; implicit-def: $vgpr40
	s_and_saveexec_b64 s[12:13], s[2:3]
	s_xor_b64 s[2:3], exec, s[12:13]
; %bb.260:                              ;   in Loop: Header=BB321_161 Depth=1
	v_bfe_u32 v40, v41, 16, 1
	v_add3_u32 v40, v41, v40, s23
                                        ; implicit-def: $vgpr41
; %bb.261:                              ;   in Loop: Header=BB321_161 Depth=1
	s_andn2_saveexec_b64 s[12:13], s[2:3]
; %bb.262:                              ;   in Loop: Header=BB321_161 Depth=1
	v_or_b32_e32 v40, 0x10000, v41
	v_cmp_eq_u32_sdwa s[2:3], v41, v13 src0_sel:WORD_0 src1_sel:DWORD
	s_nop 1
	v_cndmask_b32_e64 v40, v40, v41, s[2:3]
; %bb.263:                              ;   in Loop: Header=BB321_161 Depth=1
	s_or_b64 exec, exec, s[12:13]
	v_bfe_u32 v41, v6, 8, 8
	v_cvt_f32_fp8_sdwa v41, v41 src0_sel:BYTE_0
	s_nop 0
	v_mul_f32_e32 v42, s27, v41
	v_and_b32_e32 v41, 0x7f800000, v42
	v_cmp_ne_u32_e64 s[2:3], s22, v41
                                        ; implicit-def: $vgpr41
	s_and_saveexec_b64 s[12:13], s[2:3]
	s_xor_b64 s[2:3], exec, s[12:13]
; %bb.264:                              ;   in Loop: Header=BB321_161 Depth=1
	v_bfe_u32 v41, v42, 16, 1
	v_add3_u32 v41, v42, v41, s23
                                        ; implicit-def: $vgpr42
; %bb.265:                              ;   in Loop: Header=BB321_161 Depth=1
	s_andn2_saveexec_b64 s[12:13], s[2:3]
; %bb.266:                              ;   in Loop: Header=BB321_161 Depth=1
	v_or_b32_e32 v41, 0x10000, v42
	v_cmp_eq_u32_sdwa s[2:3], v42, v13 src0_sel:WORD_0 src1_sel:DWORD
	s_nop 1
	v_cndmask_b32_e64 v41, v41, v42, s[2:3]
; %bb.267:                              ;   in Loop: Header=BB321_161 Depth=1
	s_or_b64 exec, exec, s[12:13]
	v_bfe_u32 v42, v6, 16, 8
	v_cvt_f32_fp8_sdwa v42, v42 src0_sel:BYTE_0
	s_nop 0
	v_mul_f32_e32 v43, s27, v42
	v_and_b32_e32 v42, 0x7f800000, v43
	v_cmp_ne_u32_e64 s[2:3], s22, v42
                                        ; implicit-def: $vgpr42
	s_and_saveexec_b64 s[12:13], s[2:3]
	s_xor_b64 s[2:3], exec, s[12:13]
; %bb.268:                              ;   in Loop: Header=BB321_161 Depth=1
	v_bfe_u32 v42, v43, 16, 1
	v_add3_u32 v42, v43, v42, s23
                                        ; implicit-def: $vgpr43
; %bb.269:                              ;   in Loop: Header=BB321_161 Depth=1
	s_andn2_saveexec_b64 s[12:13], s[2:3]
; %bb.270:                              ;   in Loop: Header=BB321_161 Depth=1
	v_or_b32_e32 v42, 0x10000, v43
	v_cmp_eq_u32_sdwa s[2:3], v43, v13 src0_sel:WORD_0 src1_sel:DWORD
	s_nop 1
	v_cndmask_b32_e64 v42, v42, v43, s[2:3]
; %bb.271:                              ;   in Loop: Header=BB321_161 Depth=1
	s_or_b64 exec, exec, s[12:13]
	v_lshrrev_b32_e32 v6, 24, v6
	v_cvt_f32_fp8_sdwa v6, v6 src0_sel:BYTE_0
	s_nop 0
	v_mul_f32_e32 v43, s27, v6
	v_and_b32_e32 v6, 0x7f800000, v43
	v_cmp_ne_u32_e64 s[2:3], s22, v6
                                        ; implicit-def: $vgpr6
	s_and_saveexec_b64 s[12:13], s[2:3]
	s_xor_b64 s[2:3], exec, s[12:13]
; %bb.272:                              ;   in Loop: Header=BB321_161 Depth=1
	v_bfe_u32 v6, v43, 16, 1
	v_add3_u32 v6, v43, v6, s23
                                        ; implicit-def: $vgpr43
; %bb.273:                              ;   in Loop: Header=BB321_161 Depth=1
	s_andn2_saveexec_b64 s[12:13], s[2:3]
; %bb.274:                              ;   in Loop: Header=BB321_161 Depth=1
	v_or_b32_e32 v6, 0x10000, v43
	v_cmp_eq_u32_sdwa s[2:3], v43, v13 src0_sel:WORD_0 src1_sel:DWORD
	s_nop 1
	v_cndmask_b32_e64 v6, v6, v43, s[2:3]
; %bb.275:                              ;   in Loop: Header=BB321_161 Depth=1
	s_or_b64 exec, exec, s[12:13]
	v_and_b32_e32 v43, 0xff, v7
	v_cvt_f32_fp8_sdwa v43, v43 src0_sel:BYTE_0
	s_nop 0
	v_mul_f32_e32 v43, s27, v43
	v_and_b32_e32 v44, 0x7f800000, v43
	v_cmp_ne_u32_e64 s[2:3], s22, v44
                                        ; implicit-def: $vgpr44
	s_and_saveexec_b64 s[12:13], s[2:3]
	s_xor_b64 s[2:3], exec, s[12:13]
; %bb.276:                              ;   in Loop: Header=BB321_161 Depth=1
	v_bfe_u32 v44, v43, 16, 1
	v_add3_u32 v44, v43, v44, s23
                                        ; implicit-def: $vgpr43
; %bb.277:                              ;   in Loop: Header=BB321_161 Depth=1
	s_andn2_saveexec_b64 s[12:13], s[2:3]
; %bb.278:                              ;   in Loop: Header=BB321_161 Depth=1
	v_or_b32_e32 v44, 0x10000, v43
	v_cmp_eq_u32_sdwa s[2:3], v43, v13 src0_sel:WORD_0 src1_sel:DWORD
	s_nop 1
	v_cndmask_b32_e64 v44, v44, v43, s[2:3]
; %bb.279:                              ;   in Loop: Header=BB321_161 Depth=1
	s_or_b64 exec, exec, s[12:13]
	v_bfe_u32 v43, v7, 8, 8
	v_cvt_f32_fp8_sdwa v43, v43 src0_sel:BYTE_0
	s_nop 0
	v_mul_f32_e32 v45, s27, v43
	v_and_b32_e32 v43, 0x7f800000, v45
	v_cmp_ne_u32_e64 s[2:3], s22, v43
                                        ; implicit-def: $vgpr43
	s_and_saveexec_b64 s[12:13], s[2:3]
	s_xor_b64 s[2:3], exec, s[12:13]
; %bb.280:                              ;   in Loop: Header=BB321_161 Depth=1
	v_bfe_u32 v43, v45, 16, 1
	v_add3_u32 v43, v45, v43, s23
                                        ; implicit-def: $vgpr45
; %bb.281:                              ;   in Loop: Header=BB321_161 Depth=1
	s_andn2_saveexec_b64 s[12:13], s[2:3]
; %bb.282:                              ;   in Loop: Header=BB321_161 Depth=1
	v_or_b32_e32 v43, 0x10000, v45
	v_cmp_eq_u32_sdwa s[2:3], v45, v13 src0_sel:WORD_0 src1_sel:DWORD
	s_nop 1
	v_cndmask_b32_e64 v43, v43, v45, s[2:3]
; %bb.283:                              ;   in Loop: Header=BB321_161 Depth=1
	s_or_b64 exec, exec, s[12:13]
	v_bfe_u32 v45, v7, 16, 8
	v_cvt_f32_fp8_sdwa v45, v45 src0_sel:BYTE_0
	s_nop 0
	v_mul_f32_e32 v46, s27, v45
	v_and_b32_e32 v45, 0x7f800000, v46
	v_cmp_ne_u32_e64 s[2:3], s22, v45
                                        ; implicit-def: $vgpr45
	s_and_saveexec_b64 s[12:13], s[2:3]
	s_xor_b64 s[2:3], exec, s[12:13]
; %bb.284:                              ;   in Loop: Header=BB321_161 Depth=1
	v_bfe_u32 v45, v46, 16, 1
	v_add3_u32 v45, v46, v45, s23
                                        ; implicit-def: $vgpr46
; %bb.285:                              ;   in Loop: Header=BB321_161 Depth=1
	s_andn2_saveexec_b64 s[12:13], s[2:3]
; %bb.286:                              ;   in Loop: Header=BB321_161 Depth=1
	v_or_b32_e32 v45, 0x10000, v46
	v_cmp_eq_u32_sdwa s[2:3], v46, v13 src0_sel:WORD_0 src1_sel:DWORD
	s_nop 1
	v_cndmask_b32_e64 v45, v45, v46, s[2:3]
; %bb.287:                              ;   in Loop: Header=BB321_161 Depth=1
	s_or_b64 exec, exec, s[12:13]
	v_lshrrev_b32_e32 v7, 24, v7
	v_cvt_f32_fp8_sdwa v7, v7 src0_sel:BYTE_0
                                        ; implicit-def: $vgpr48
	s_nop 0
	v_mul_f32_e32 v7, s27, v7
	v_and_b32_e32 v46, 0x7f800000, v7
	v_cmp_ne_u32_e64 s[2:3], s22, v46
	s_and_saveexec_b64 s[12:13], s[2:3]
	s_xor_b64 s[2:3], exec, s[12:13]
; %bb.288:                              ;   in Loop: Header=BB321_161 Depth=1
	v_bfe_u32 v46, v7, 16, 1
	v_add3_u32 v48, v7, v46, s23
                                        ; implicit-def: $vgpr7
; %bb.289:                              ;   in Loop: Header=BB321_161 Depth=1
	s_andn2_saveexec_b64 s[12:13], s[2:3]
; %bb.290:                              ;   in Loop: Header=BB321_161 Depth=1
	v_or_b32_e32 v46, 0x10000, v7
	v_cmp_eq_u32_sdwa s[2:3], v7, v13 src0_sel:WORD_0 src1_sel:DWORD
	s_nop 1
	v_cndmask_b32_e64 v48, v46, v7, s[2:3]
; %bb.291:                              ;   in Loop: Header=BB321_161 Depth=1
	s_or_b64 exec, exec, s[12:13]
	v_lshrrev_b32_e32 v43, 16, v43
	v_lshrrev_b32_e32 v46, 16, v44
	;; [unrolled: 1-line block ×8, first 2 shown]
	s_and_saveexec_b64 s[12:13], s[0:1]
	s_cbranch_execz .LBB321_293
; %bb.292:                              ;   in Loop: Header=BB321_161 Depth=1
	v_cmp_gt_i32_e64 s[2:3], s33, v31
	v_add_u32_e32 v40, -6, v23
	s_nop 0
	v_cndmask_b32_e64 v6, 0, v6, s[2:3]
	v_cmp_gt_i32_e64 s[2:3], s33, v40
	v_add_u32_e32 v40, -5, v23
	s_nop 0
	v_cndmask_b32_e64 v7, 0, v7, s[2:3]
	;; [unrolled: 4-line block ×6, first 2 shown]
	v_cmp_gt_i32_e64 s[2:3], s33, v40
	s_nop 1
	v_cndmask_b32_e64 v44, 0, v44, s[2:3]
	v_cmp_gt_i32_e64 s[2:3], s33, v23
	s_nop 1
	v_cndmask_b32_e64 v45, 0, v45, s[2:3]
.LBB321_293:                            ;   in Loop: Header=BB321_161 Depth=1
	s_or_b64 exec, exec, s[12:13]
	v_lshlrev_b32_e32 v6, 16, v6
	v_mul_f32_e32 v40, v32, v6
	v_and_b32_e32 v6, 0x7f800000, v40
	v_cmp_ne_u32_e64 s[2:3], s22, v6
                                        ; implicit-def: $vgpr6
	s_and_saveexec_b64 s[12:13], s[2:3]
	s_xor_b64 s[2:3], exec, s[12:13]
; %bb.294:                              ;   in Loop: Header=BB321_161 Depth=1
	v_bfe_u32 v6, v40, 16, 1
	v_add3_u32 v6, v40, v6, s23
                                        ; implicit-def: $vgpr40
; %bb.295:                              ;   in Loop: Header=BB321_161 Depth=1
	s_andn2_saveexec_b64 s[12:13], s[2:3]
; %bb.296:                              ;   in Loop: Header=BB321_161 Depth=1
	v_or_b32_e32 v6, 0x10000, v40
	v_cmp_eq_u32_sdwa s[2:3], v40, v13 src0_sel:WORD_0 src1_sel:DWORD
	s_nop 1
	v_cndmask_b32_e64 v6, v6, v40, s[2:3]
; %bb.297:                              ;   in Loop: Header=BB321_161 Depth=1
	s_or_b64 exec, exec, s[12:13]
	v_lshlrev_b32_e32 v7, 16, v7
	v_mul_f32_e32 v40, v33, v7
	v_and_b32_e32 v7, 0x7f800000, v40
	v_cmp_ne_u32_e64 s[2:3], s22, v7
                                        ; implicit-def: $vgpr7
	s_and_saveexec_b64 s[12:13], s[2:3]
	s_xor_b64 s[2:3], exec, s[12:13]
; %bb.298:                              ;   in Loop: Header=BB321_161 Depth=1
	v_bfe_u32 v7, v40, 16, 1
	v_add3_u32 v7, v40, v7, s23
                                        ; implicit-def: $vgpr40
; %bb.299:                              ;   in Loop: Header=BB321_161 Depth=1
	s_andn2_saveexec_b64 s[12:13], s[2:3]
; %bb.300:                              ;   in Loop: Header=BB321_161 Depth=1
	v_or_b32_e32 v7, 0x10000, v40
	v_cmp_eq_u32_sdwa s[2:3], v40, v13 src0_sel:WORD_0 src1_sel:DWORD
	s_nop 1
	v_cndmask_b32_e64 v7, v7, v40, s[2:3]
; %bb.301:                              ;   in Loop: Header=BB321_161 Depth=1
	s_or_b64 exec, exec, s[12:13]
	v_lshlrev_b32_e32 v40, 16, v42
	v_mul_f32_e32 v41, v34, v40
	v_and_b32_e32 v40, 0x7f800000, v41
	v_cmp_ne_u32_e64 s[2:3], s22, v40
                                        ; implicit-def: $vgpr40
	s_and_saveexec_b64 s[12:13], s[2:3]
	s_xor_b64 s[2:3], exec, s[12:13]
; %bb.302:                              ;   in Loop: Header=BB321_161 Depth=1
	v_bfe_u32 v40, v41, 16, 1
	v_add3_u32 v40, v41, v40, s23
                                        ; implicit-def: $vgpr41
; %bb.303:                              ;   in Loop: Header=BB321_161 Depth=1
	s_andn2_saveexec_b64 s[12:13], s[2:3]
; %bb.304:                              ;   in Loop: Header=BB321_161 Depth=1
	v_or_b32_e32 v40, 0x10000, v41
	v_cmp_eq_u32_sdwa s[2:3], v41, v13 src0_sel:WORD_0 src1_sel:DWORD
	s_nop 1
	v_cndmask_b32_e64 v40, v40, v41, s[2:3]
; %bb.305:                              ;   in Loop: Header=BB321_161 Depth=1
	s_or_b64 exec, exec, s[12:13]
	v_lshlrev_b32_e32 v41, 16, v47
	v_mul_f32_e32 v42, v35, v41
	v_and_b32_e32 v41, 0x7f800000, v42
	v_cmp_ne_u32_e64 s[2:3], s22, v41
                                        ; implicit-def: $vgpr41
	s_and_saveexec_b64 s[12:13], s[2:3]
	s_xor_b64 s[2:3], exec, s[12:13]
; %bb.306:                              ;   in Loop: Header=BB321_161 Depth=1
	v_bfe_u32 v41, v42, 16, 1
	v_add3_u32 v41, v42, v41, s23
                                        ; implicit-def: $vgpr42
; %bb.307:                              ;   in Loop: Header=BB321_161 Depth=1
	s_andn2_saveexec_b64 s[12:13], s[2:3]
; %bb.308:                              ;   in Loop: Header=BB321_161 Depth=1
	v_or_b32_e32 v41, 0x10000, v42
	v_cmp_eq_u32_sdwa s[2:3], v42, v13 src0_sel:WORD_0 src1_sel:DWORD
	s_nop 1
	v_cndmask_b32_e64 v41, v41, v42, s[2:3]
; %bb.309:                              ;   in Loop: Header=BB321_161 Depth=1
	s_or_b64 exec, exec, s[12:13]
	v_lshlrev_b32_e32 v42, 16, v46
	v_mul_f32_e32 v46, v36, v42
	v_and_b32_e32 v42, 0x7f800000, v46
	v_cmp_ne_u32_e64 s[2:3], s22, v42
                                        ; implicit-def: $vgpr42
	s_and_saveexec_b64 s[12:13], s[2:3]
	s_xor_b64 s[2:3], exec, s[12:13]
; %bb.310:                              ;   in Loop: Header=BB321_161 Depth=1
	v_bfe_u32 v42, v46, 16, 1
	v_add3_u32 v42, v46, v42, s23
                                        ; implicit-def: $vgpr46
; %bb.311:                              ;   in Loop: Header=BB321_161 Depth=1
	s_andn2_saveexec_b64 s[12:13], s[2:3]
; %bb.312:                              ;   in Loop: Header=BB321_161 Depth=1
	v_or_b32_e32 v42, 0x10000, v46
	v_cmp_eq_u32_sdwa s[2:3], v46, v13 src0_sel:WORD_0 src1_sel:DWORD
	s_nop 1
	v_cndmask_b32_e64 v42, v42, v46, s[2:3]
; %bb.313:                              ;   in Loop: Header=BB321_161 Depth=1
	s_or_b64 exec, exec, s[12:13]
	v_lshlrev_b32_e32 v43, 16, v43
	v_mul_f32_e32 v46, v37, v43
	v_and_b32_e32 v43, 0x7f800000, v46
	v_cmp_ne_u32_e64 s[2:3], s22, v43
                                        ; implicit-def: $vgpr43
	s_and_saveexec_b64 s[12:13], s[2:3]
	s_xor_b64 s[2:3], exec, s[12:13]
; %bb.314:                              ;   in Loop: Header=BB321_161 Depth=1
	v_bfe_u32 v43, v46, 16, 1
	v_add3_u32 v43, v46, v43, s23
                                        ; implicit-def: $vgpr46
; %bb.315:                              ;   in Loop: Header=BB321_161 Depth=1
	s_andn2_saveexec_b64 s[12:13], s[2:3]
; %bb.316:                              ;   in Loop: Header=BB321_161 Depth=1
	v_or_b32_e32 v43, 0x10000, v46
	v_cmp_eq_u32_sdwa s[2:3], v46, v13 src0_sel:WORD_0 src1_sel:DWORD
	s_nop 1
	v_cndmask_b32_e64 v43, v43, v46, s[2:3]
; %bb.317:                              ;   in Loop: Header=BB321_161 Depth=1
	s_or_b64 exec, exec, s[12:13]
	v_lshlrev_b32_e32 v44, 16, v44
	v_mul_f32_e32 v46, v38, v44
	v_and_b32_e32 v44, 0x7f800000, v46
	v_cmp_ne_u32_e64 s[2:3], s22, v44
                                        ; implicit-def: $vgpr44
	s_and_saveexec_b64 s[12:13], s[2:3]
	s_xor_b64 s[2:3], exec, s[12:13]
; %bb.318:                              ;   in Loop: Header=BB321_161 Depth=1
	v_bfe_u32 v44, v46, 16, 1
	v_add3_u32 v44, v46, v44, s23
                                        ; implicit-def: $vgpr46
; %bb.319:                              ;   in Loop: Header=BB321_161 Depth=1
	s_andn2_saveexec_b64 s[12:13], s[2:3]
; %bb.320:                              ;   in Loop: Header=BB321_161 Depth=1
	v_or_b32_e32 v44, 0x10000, v46
	v_cmp_eq_u32_sdwa s[2:3], v46, v13 src0_sel:WORD_0 src1_sel:DWORD
	s_nop 1
	v_cndmask_b32_e64 v44, v44, v46, s[2:3]
; %bb.321:                              ;   in Loop: Header=BB321_161 Depth=1
	s_or_b64 exec, exec, s[12:13]
	v_lshlrev_b32_e32 v45, 16, v45
	v_mul_f32_e32 v46, v39, v45
	v_and_b32_e32 v45, 0x7f800000, v46
	v_cmp_ne_u32_e64 s[2:3], s22, v45
                                        ; implicit-def: $vgpr45
	s_and_saveexec_b64 s[12:13], s[2:3]
	s_xor_b64 s[2:3], exec, s[12:13]
; %bb.322:                              ;   in Loop: Header=BB321_161 Depth=1
	v_bfe_u32 v45, v46, 16, 1
	v_add3_u32 v45, v46, v45, s23
                                        ; implicit-def: $vgpr46
; %bb.323:                              ;   in Loop: Header=BB321_161 Depth=1
	s_andn2_saveexec_b64 s[12:13], s[2:3]
; %bb.324:                              ;   in Loop: Header=BB321_161 Depth=1
	v_or_b32_e32 v45, 0x10000, v46
	v_cmp_eq_u32_sdwa s[2:3], v46, v13 src0_sel:WORD_0 src1_sel:DWORD
	s_nop 1
	v_cndmask_b32_e64 v45, v45, v46, s[2:3]
; %bb.325:                              ;   in Loop: Header=BB321_161 Depth=1
	s_or_b64 exec, exec, s[12:13]
	global_load_dwordx2 v[4:5], v[4:5], off offset:1024
	s_waitcnt vmcnt(0)
	v_and_b32_e32 v46, 0xff, v4
	v_cvt_f32_fp8_sdwa v46, v46 src0_sel:BYTE_0
	s_nop 0
	v_mul_f32_e32 v47, s27, v46
	v_and_b32_e32 v46, 0x7f800000, v47
	v_cmp_ne_u32_e64 s[2:3], s22, v46
                                        ; implicit-def: $vgpr46
	s_and_saveexec_b64 s[12:13], s[2:3]
	s_xor_b64 s[2:3], exec, s[12:13]
; %bb.326:                              ;   in Loop: Header=BB321_161 Depth=1
	v_bfe_u32 v46, v47, 16, 1
	v_add3_u32 v46, v47, v46, s23
                                        ; implicit-def: $vgpr47
; %bb.327:                              ;   in Loop: Header=BB321_161 Depth=1
	s_andn2_saveexec_b64 s[12:13], s[2:3]
; %bb.328:                              ;   in Loop: Header=BB321_161 Depth=1
	v_or_b32_e32 v46, 0x10000, v47
	v_cmp_eq_u32_sdwa s[2:3], v47, v13 src0_sel:WORD_0 src1_sel:DWORD
	s_nop 1
	v_cndmask_b32_e64 v46, v46, v47, s[2:3]
; %bb.329:                              ;   in Loop: Header=BB321_161 Depth=1
	s_or_b64 exec, exec, s[12:13]
	v_bfe_u32 v47, v4, 8, 8
	v_cvt_f32_fp8_sdwa v47, v47 src0_sel:BYTE_0
	s_nop 0
	v_mul_f32_e32 v48, s27, v47
	v_and_b32_e32 v47, 0x7f800000, v48
	v_cmp_ne_u32_e64 s[2:3], s22, v47
                                        ; implicit-def: $vgpr47
	s_and_saveexec_b64 s[12:13], s[2:3]
	s_xor_b64 s[2:3], exec, s[12:13]
; %bb.330:                              ;   in Loop: Header=BB321_161 Depth=1
	v_bfe_u32 v47, v48, 16, 1
	v_add3_u32 v47, v48, v47, s23
                                        ; implicit-def: $vgpr48
; %bb.331:                              ;   in Loop: Header=BB321_161 Depth=1
	s_andn2_saveexec_b64 s[12:13], s[2:3]
; %bb.332:                              ;   in Loop: Header=BB321_161 Depth=1
	v_or_b32_e32 v47, 0x10000, v48
	v_cmp_eq_u32_sdwa s[2:3], v48, v13 src0_sel:WORD_0 src1_sel:DWORD
	s_nop 1
	v_cndmask_b32_e64 v47, v47, v48, s[2:3]
; %bb.333:                              ;   in Loop: Header=BB321_161 Depth=1
	s_or_b64 exec, exec, s[12:13]
	v_bfe_u32 v48, v4, 16, 8
	v_cvt_f32_fp8_sdwa v48, v48 src0_sel:BYTE_0
	s_nop 0
	v_mul_f32_e32 v49, s27, v48
	v_and_b32_e32 v48, 0x7f800000, v49
	v_cmp_ne_u32_e64 s[2:3], s22, v48
                                        ; implicit-def: $vgpr48
	s_and_saveexec_b64 s[12:13], s[2:3]
	s_xor_b64 s[2:3], exec, s[12:13]
; %bb.334:                              ;   in Loop: Header=BB321_161 Depth=1
	v_bfe_u32 v48, v49, 16, 1
	v_add3_u32 v48, v49, v48, s23
                                        ; implicit-def: $vgpr49
; %bb.335:                              ;   in Loop: Header=BB321_161 Depth=1
	s_andn2_saveexec_b64 s[12:13], s[2:3]
; %bb.336:                              ;   in Loop: Header=BB321_161 Depth=1
	v_or_b32_e32 v48, 0x10000, v49
	v_cmp_eq_u32_sdwa s[2:3], v49, v13 src0_sel:WORD_0 src1_sel:DWORD
	s_nop 1
	v_cndmask_b32_e64 v48, v48, v49, s[2:3]
; %bb.337:                              ;   in Loop: Header=BB321_161 Depth=1
	s_or_b64 exec, exec, s[12:13]
	v_lshrrev_b32_e32 v4, 24, v4
	v_cvt_f32_fp8_sdwa v4, v4 src0_sel:BYTE_0
	s_nop 0
	v_mul_f32_e32 v49, s27, v4
	v_and_b32_e32 v4, 0x7f800000, v49
	v_cmp_ne_u32_e64 s[2:3], s22, v4
                                        ; implicit-def: $vgpr4
	s_and_saveexec_b64 s[12:13], s[2:3]
	s_xor_b64 s[2:3], exec, s[12:13]
; %bb.338:                              ;   in Loop: Header=BB321_161 Depth=1
	v_bfe_u32 v4, v49, 16, 1
	v_add3_u32 v4, v49, v4, s23
                                        ; implicit-def: $vgpr49
; %bb.339:                              ;   in Loop: Header=BB321_161 Depth=1
	s_andn2_saveexec_b64 s[12:13], s[2:3]
; %bb.340:                              ;   in Loop: Header=BB321_161 Depth=1
	v_or_b32_e32 v4, 0x10000, v49
	v_cmp_eq_u32_sdwa s[2:3], v49, v13 src0_sel:WORD_0 src1_sel:DWORD
	s_nop 1
	v_cndmask_b32_e64 v4, v4, v49, s[2:3]
; %bb.341:                              ;   in Loop: Header=BB321_161 Depth=1
	s_or_b64 exec, exec, s[12:13]
	v_and_b32_e32 v49, 0xff, v5
	v_cvt_f32_fp8_sdwa v49, v49 src0_sel:BYTE_0
	s_nop 0
	v_mul_f32_e32 v49, s27, v49
	v_and_b32_e32 v50, 0x7f800000, v49
	v_cmp_ne_u32_e64 s[2:3], s22, v50
                                        ; implicit-def: $vgpr50
	s_and_saveexec_b64 s[12:13], s[2:3]
	s_xor_b64 s[2:3], exec, s[12:13]
; %bb.342:                              ;   in Loop: Header=BB321_161 Depth=1
	v_bfe_u32 v50, v49, 16, 1
	v_add3_u32 v50, v49, v50, s23
                                        ; implicit-def: $vgpr49
; %bb.343:                              ;   in Loop: Header=BB321_161 Depth=1
	s_andn2_saveexec_b64 s[12:13], s[2:3]
; %bb.344:                              ;   in Loop: Header=BB321_161 Depth=1
	v_or_b32_e32 v50, 0x10000, v49
	v_cmp_eq_u32_sdwa s[2:3], v49, v13 src0_sel:WORD_0 src1_sel:DWORD
	s_nop 1
	v_cndmask_b32_e64 v50, v50, v49, s[2:3]
; %bb.345:                              ;   in Loop: Header=BB321_161 Depth=1
	s_or_b64 exec, exec, s[12:13]
	v_bfe_u32 v49, v5, 8, 8
	v_cvt_f32_fp8_sdwa v49, v49 src0_sel:BYTE_0
	s_nop 0
	v_mul_f32_e32 v51, s27, v49
	v_and_b32_e32 v49, 0x7f800000, v51
	v_cmp_ne_u32_e64 s[2:3], s22, v49
                                        ; implicit-def: $vgpr49
	s_and_saveexec_b64 s[12:13], s[2:3]
	s_xor_b64 s[2:3], exec, s[12:13]
; %bb.346:                              ;   in Loop: Header=BB321_161 Depth=1
	v_bfe_u32 v49, v51, 16, 1
	v_add3_u32 v49, v51, v49, s23
                                        ; implicit-def: $vgpr51
; %bb.347:                              ;   in Loop: Header=BB321_161 Depth=1
	s_andn2_saveexec_b64 s[12:13], s[2:3]
; %bb.348:                              ;   in Loop: Header=BB321_161 Depth=1
	v_or_b32_e32 v49, 0x10000, v51
	v_cmp_eq_u32_sdwa s[2:3], v51, v13 src0_sel:WORD_0 src1_sel:DWORD
	s_nop 1
	v_cndmask_b32_e64 v49, v49, v51, s[2:3]
; %bb.349:                              ;   in Loop: Header=BB321_161 Depth=1
	s_or_b64 exec, exec, s[12:13]
	v_bfe_u32 v51, v5, 16, 8
	v_cvt_f32_fp8_sdwa v51, v51 src0_sel:BYTE_0
	s_nop 0
	v_mul_f32_e32 v52, s27, v51
	v_and_b32_e32 v51, 0x7f800000, v52
	v_cmp_ne_u32_e64 s[2:3], s22, v51
                                        ; implicit-def: $vgpr51
	s_and_saveexec_b64 s[12:13], s[2:3]
	s_xor_b64 s[2:3], exec, s[12:13]
; %bb.350:                              ;   in Loop: Header=BB321_161 Depth=1
	v_bfe_u32 v51, v52, 16, 1
	v_add3_u32 v51, v52, v51, s23
                                        ; implicit-def: $vgpr52
; %bb.351:                              ;   in Loop: Header=BB321_161 Depth=1
	s_andn2_saveexec_b64 s[12:13], s[2:3]
; %bb.352:                              ;   in Loop: Header=BB321_161 Depth=1
	v_or_b32_e32 v51, 0x10000, v52
	v_cmp_eq_u32_sdwa s[2:3], v52, v13 src0_sel:WORD_0 src1_sel:DWORD
	s_nop 1
	v_cndmask_b32_e64 v51, v51, v52, s[2:3]
; %bb.353:                              ;   in Loop: Header=BB321_161 Depth=1
	s_or_b64 exec, exec, s[12:13]
	v_lshrrev_b32_e32 v5, 24, v5
	v_cvt_f32_fp8_sdwa v5, v5 src0_sel:BYTE_0
                                        ; implicit-def: $vgpr54
	s_nop 0
	v_mul_f32_e32 v5, s27, v5
	v_and_b32_e32 v52, 0x7f800000, v5
	v_cmp_ne_u32_e64 s[2:3], s22, v52
	s_and_saveexec_b64 s[12:13], s[2:3]
	s_xor_b64 s[2:3], exec, s[12:13]
; %bb.354:                              ;   in Loop: Header=BB321_161 Depth=1
	v_bfe_u32 v52, v5, 16, 1
	v_add3_u32 v54, v5, v52, s23
                                        ; implicit-def: $vgpr5
; %bb.355:                              ;   in Loop: Header=BB321_161 Depth=1
	s_andn2_saveexec_b64 s[12:13], s[2:3]
; %bb.356:                              ;   in Loop: Header=BB321_161 Depth=1
	v_or_b32_e32 v52, 0x10000, v5
	v_cmp_eq_u32_sdwa s[2:3], v5, v13 src0_sel:WORD_0 src1_sel:DWORD
	s_nop 1
	v_cndmask_b32_e64 v54, v52, v5, s[2:3]
; %bb.357:                              ;   in Loop: Header=BB321_161 Depth=1
	s_or_b64 exec, exec, s[12:13]
	v_lshrrev_b32_e32 v49, 16, v49
	v_lshrrev_b32_e32 v52, 16, v50
	;; [unrolled: 1-line block ×8, first 2 shown]
	s_and_saveexec_b64 s[12:13], s[0:1]
	s_cbranch_execz .LBB321_359
; %bb.358:                              ;   in Loop: Header=BB321_161 Depth=1
	v_cmp_gt_i32_e64 s[2:3], s33, v31
	v_add_u32_e32 v46, -6, v23
	s_nop 0
	v_cndmask_b32_e64 v4, 0, v4, s[2:3]
	v_cmp_gt_i32_e64 s[2:3], s33, v46
	v_add_u32_e32 v46, -5, v23
	s_nop 0
	v_cndmask_b32_e64 v5, 0, v5, s[2:3]
	;; [unrolled: 4-line block ×6, first 2 shown]
	v_cmp_gt_i32_e64 s[2:3], s33, v46
	s_nop 1
	v_cndmask_b32_e64 v50, 0, v50, s[2:3]
	v_cmp_gt_i32_e64 s[2:3], s33, v23
	s_nop 1
	v_cndmask_b32_e64 v51, 0, v51, s[2:3]
.LBB321_359:                            ;   in Loop: Header=BB321_161 Depth=1
	s_or_b64 exec, exec, s[12:13]
	v_lshlrev_b32_e32 v4, 16, v4
	v_mul_f32_e32 v46, v32, v4
	v_and_b32_e32 v4, 0x7f800000, v46
	v_cmp_ne_u32_e64 s[2:3], s22, v4
                                        ; implicit-def: $vgpr4
	s_and_saveexec_b64 s[12:13], s[2:3]
	s_xor_b64 s[2:3], exec, s[12:13]
; %bb.360:                              ;   in Loop: Header=BB321_161 Depth=1
	v_bfe_u32 v4, v46, 16, 1
	v_add3_u32 v4, v46, v4, s23
                                        ; implicit-def: $vgpr46
; %bb.361:                              ;   in Loop: Header=BB321_161 Depth=1
	s_andn2_saveexec_b64 s[12:13], s[2:3]
; %bb.362:                              ;   in Loop: Header=BB321_161 Depth=1
	v_or_b32_e32 v4, 0x10000, v46
	v_cmp_eq_u32_sdwa s[2:3], v46, v13 src0_sel:WORD_0 src1_sel:DWORD
	s_nop 1
	v_cndmask_b32_e64 v4, v4, v46, s[2:3]
; %bb.363:                              ;   in Loop: Header=BB321_161 Depth=1
	s_or_b64 exec, exec, s[12:13]
	v_lshlrev_b32_e32 v5, 16, v5
	v_mul_f32_e32 v46, v33, v5
	v_and_b32_e32 v5, 0x7f800000, v46
	v_cmp_ne_u32_e64 s[2:3], s22, v5
                                        ; implicit-def: $vgpr5
	s_and_saveexec_b64 s[12:13], s[2:3]
	s_xor_b64 s[2:3], exec, s[12:13]
; %bb.364:                              ;   in Loop: Header=BB321_161 Depth=1
	v_bfe_u32 v5, v46, 16, 1
	v_add3_u32 v5, v46, v5, s23
                                        ; implicit-def: $vgpr46
; %bb.365:                              ;   in Loop: Header=BB321_161 Depth=1
	s_andn2_saveexec_b64 s[12:13], s[2:3]
; %bb.366:                              ;   in Loop: Header=BB321_161 Depth=1
	v_or_b32_e32 v5, 0x10000, v46
	v_cmp_eq_u32_sdwa s[2:3], v46, v13 src0_sel:WORD_0 src1_sel:DWORD
	s_nop 1
	v_cndmask_b32_e64 v5, v5, v46, s[2:3]
; %bb.367:                              ;   in Loop: Header=BB321_161 Depth=1
	s_or_b64 exec, exec, s[12:13]
	v_lshlrev_b32_e32 v46, 16, v48
	v_mul_f32_e32 v47, v34, v46
	v_and_b32_e32 v46, 0x7f800000, v47
	v_cmp_ne_u32_e64 s[2:3], s22, v46
                                        ; implicit-def: $vgpr46
	s_and_saveexec_b64 s[12:13], s[2:3]
	s_xor_b64 s[2:3], exec, s[12:13]
; %bb.368:                              ;   in Loop: Header=BB321_161 Depth=1
	v_bfe_u32 v46, v47, 16, 1
	v_add3_u32 v46, v47, v46, s23
                                        ; implicit-def: $vgpr47
; %bb.369:                              ;   in Loop: Header=BB321_161 Depth=1
	s_andn2_saveexec_b64 s[12:13], s[2:3]
; %bb.370:                              ;   in Loop: Header=BB321_161 Depth=1
	v_or_b32_e32 v46, 0x10000, v47
	v_cmp_eq_u32_sdwa s[2:3], v47, v13 src0_sel:WORD_0 src1_sel:DWORD
	s_nop 1
	v_cndmask_b32_e64 v46, v46, v47, s[2:3]
; %bb.371:                              ;   in Loop: Header=BB321_161 Depth=1
	s_or_b64 exec, exec, s[12:13]
	v_lshlrev_b32_e32 v47, 16, v53
	v_mul_f32_e32 v48, v35, v47
	v_and_b32_e32 v47, 0x7f800000, v48
	v_cmp_ne_u32_e64 s[2:3], s22, v47
                                        ; implicit-def: $vgpr47
	s_and_saveexec_b64 s[12:13], s[2:3]
	s_xor_b64 s[2:3], exec, s[12:13]
; %bb.372:                              ;   in Loop: Header=BB321_161 Depth=1
	v_bfe_u32 v47, v48, 16, 1
	v_add3_u32 v47, v48, v47, s23
                                        ; implicit-def: $vgpr48
; %bb.373:                              ;   in Loop: Header=BB321_161 Depth=1
	s_andn2_saveexec_b64 s[12:13], s[2:3]
; %bb.374:                              ;   in Loop: Header=BB321_161 Depth=1
	v_or_b32_e32 v47, 0x10000, v48
	v_cmp_eq_u32_sdwa s[2:3], v48, v13 src0_sel:WORD_0 src1_sel:DWORD
	s_nop 1
	v_cndmask_b32_e64 v47, v47, v48, s[2:3]
; %bb.375:                              ;   in Loop: Header=BB321_161 Depth=1
	s_or_b64 exec, exec, s[12:13]
	v_lshlrev_b32_e32 v48, 16, v52
	v_mul_f32_e32 v52, v36, v48
	v_and_b32_e32 v48, 0x7f800000, v52
	v_cmp_ne_u32_e64 s[2:3], s22, v48
                                        ; implicit-def: $vgpr48
	s_and_saveexec_b64 s[12:13], s[2:3]
	s_xor_b64 s[2:3], exec, s[12:13]
; %bb.376:                              ;   in Loop: Header=BB321_161 Depth=1
	v_bfe_u32 v48, v52, 16, 1
	v_add3_u32 v48, v52, v48, s23
                                        ; implicit-def: $vgpr52
; %bb.377:                              ;   in Loop: Header=BB321_161 Depth=1
	s_andn2_saveexec_b64 s[12:13], s[2:3]
; %bb.378:                              ;   in Loop: Header=BB321_161 Depth=1
	v_or_b32_e32 v48, 0x10000, v52
	v_cmp_eq_u32_sdwa s[2:3], v52, v13 src0_sel:WORD_0 src1_sel:DWORD
	s_nop 1
	v_cndmask_b32_e64 v48, v48, v52, s[2:3]
; %bb.379:                              ;   in Loop: Header=BB321_161 Depth=1
	s_or_b64 exec, exec, s[12:13]
	v_lshlrev_b32_e32 v49, 16, v49
	v_mul_f32_e32 v52, v37, v49
	v_and_b32_e32 v49, 0x7f800000, v52
	v_cmp_ne_u32_e64 s[2:3], s22, v49
                                        ; implicit-def: $vgpr49
	s_and_saveexec_b64 s[12:13], s[2:3]
	s_xor_b64 s[2:3], exec, s[12:13]
; %bb.380:                              ;   in Loop: Header=BB321_161 Depth=1
	v_bfe_u32 v49, v52, 16, 1
	v_add3_u32 v49, v52, v49, s23
                                        ; implicit-def: $vgpr52
; %bb.381:                              ;   in Loop: Header=BB321_161 Depth=1
	s_andn2_saveexec_b64 s[12:13], s[2:3]
; %bb.382:                              ;   in Loop: Header=BB321_161 Depth=1
	v_or_b32_e32 v49, 0x10000, v52
	v_cmp_eq_u32_sdwa s[2:3], v52, v13 src0_sel:WORD_0 src1_sel:DWORD
	s_nop 1
	v_cndmask_b32_e64 v49, v49, v52, s[2:3]
; %bb.383:                              ;   in Loop: Header=BB321_161 Depth=1
	s_or_b64 exec, exec, s[12:13]
	v_lshlrev_b32_e32 v50, 16, v50
	v_mul_f32_e32 v52, v38, v50
	v_and_b32_e32 v50, 0x7f800000, v52
	v_cmp_ne_u32_e64 s[2:3], s22, v50
                                        ; implicit-def: $vgpr50
	s_and_saveexec_b64 s[12:13], s[2:3]
	s_xor_b64 s[2:3], exec, s[12:13]
; %bb.384:                              ;   in Loop: Header=BB321_161 Depth=1
	v_bfe_u32 v50, v52, 16, 1
	v_add3_u32 v50, v52, v50, s23
                                        ; implicit-def: $vgpr52
; %bb.385:                              ;   in Loop: Header=BB321_161 Depth=1
	s_andn2_saveexec_b64 s[12:13], s[2:3]
; %bb.386:                              ;   in Loop: Header=BB321_161 Depth=1
	v_or_b32_e32 v50, 0x10000, v52
	v_cmp_eq_u32_sdwa s[2:3], v52, v13 src0_sel:WORD_0 src1_sel:DWORD
	s_nop 1
	v_cndmask_b32_e64 v50, v50, v52, s[2:3]
; %bb.387:                              ;   in Loop: Header=BB321_161 Depth=1
	s_or_b64 exec, exec, s[12:13]
	v_lshlrev_b32_e32 v51, 16, v51
	v_mul_f32_e32 v52, v39, v51
	v_and_b32_e32 v51, 0x7f800000, v52
	v_cmp_ne_u32_e64 s[2:3], s22, v51
                                        ; implicit-def: $vgpr51
	s_and_saveexec_b64 s[12:13], s[2:3]
	s_xor_b64 s[2:3], exec, s[12:13]
	s_cbranch_execnz .LBB321_390
; %bb.388:                              ;   in Loop: Header=BB321_161 Depth=1
	s_andn2_saveexec_b64 s[12:13], s[2:3]
	s_cbranch_execnz .LBB321_391
.LBB321_389:                            ;   in Loop: Header=BB321_161 Depth=1
	s_or_b64 exec, exec, s[12:13]
	s_and_saveexec_b64 s[12:13], vcc
	s_cbranch_execz .LBB321_160
	s_branch .LBB321_392
.LBB321_390:                            ;   in Loop: Header=BB321_161 Depth=1
	v_bfe_u32 v51, v52, 16, 1
	v_add3_u32 v51, v52, v51, s23
                                        ; implicit-def: $vgpr52
	s_andn2_saveexec_b64 s[12:13], s[2:3]
	s_cbranch_execz .LBB321_389
.LBB321_391:                            ;   in Loop: Header=BB321_161 Depth=1
	v_or_b32_e32 v51, 0x10000, v52
	v_cmp_eq_u32_sdwa s[2:3], v52, v13 src0_sel:WORD_0 src1_sel:DWORD
	s_nop 1
	v_cndmask_b32_e64 v51, v51, v52, s[2:3]
	s_or_b64 exec, exec, s[12:13]
	s_and_saveexec_b64 s[12:13], vcc
	s_cbranch_execz .LBB321_160
.LBB321_392:                            ;   in Loop: Header=BB321_161 Depth=1
	v_lshl_add_u64 v[2:3], v[2:3], 0, v[16:17]
	global_load_dwordx2 v[2:3], v[2:3], off
	s_waitcnt vmcnt(0)
	v_and_b32_e32 v52, 0xff, v2
	v_cvt_f32_fp8_sdwa v52, v52 src0_sel:BYTE_0
	s_nop 0
	v_mul_f32_e32 v53, s27, v52
	v_and_b32_e32 v52, 0x7f800000, v53
	v_cmp_ne_u32_e64 s[2:3], s22, v52
                                        ; implicit-def: $vgpr52
	s_and_saveexec_b64 s[14:15], s[2:3]
	s_xor_b64 s[2:3], exec, s[14:15]
; %bb.393:                              ;   in Loop: Header=BB321_161 Depth=1
	v_bfe_u32 v52, v53, 16, 1
	v_add3_u32 v52, v53, v52, s23
                                        ; implicit-def: $vgpr53
; %bb.394:                              ;   in Loop: Header=BB321_161 Depth=1
	s_andn2_saveexec_b64 s[14:15], s[2:3]
; %bb.395:                              ;   in Loop: Header=BB321_161 Depth=1
	v_or_b32_e32 v52, 0x10000, v53
	v_cmp_eq_u32_sdwa s[2:3], v53, v13 src0_sel:WORD_0 src1_sel:DWORD
	s_nop 1
	v_cndmask_b32_e64 v52, v52, v53, s[2:3]
; %bb.396:                              ;   in Loop: Header=BB321_161 Depth=1
	s_or_b64 exec, exec, s[14:15]
	v_bfe_u32 v53, v2, 8, 8
	v_cvt_f32_fp8_sdwa v53, v53 src0_sel:BYTE_0
	s_nop 0
	v_mul_f32_e32 v54, s27, v53
	v_and_b32_e32 v53, 0x7f800000, v54
	v_cmp_ne_u32_e64 s[2:3], s22, v53
                                        ; implicit-def: $vgpr53
	s_and_saveexec_b64 s[14:15], s[2:3]
	s_xor_b64 s[2:3], exec, s[14:15]
; %bb.397:                              ;   in Loop: Header=BB321_161 Depth=1
	v_bfe_u32 v53, v54, 16, 1
	v_add3_u32 v53, v54, v53, s23
                                        ; implicit-def: $vgpr54
; %bb.398:                              ;   in Loop: Header=BB321_161 Depth=1
	s_andn2_saveexec_b64 s[14:15], s[2:3]
; %bb.399:                              ;   in Loop: Header=BB321_161 Depth=1
	v_or_b32_e32 v53, 0x10000, v54
	v_cmp_eq_u32_sdwa s[2:3], v54, v13 src0_sel:WORD_0 src1_sel:DWORD
	s_nop 1
	v_cndmask_b32_e64 v53, v53, v54, s[2:3]
; %bb.400:                              ;   in Loop: Header=BB321_161 Depth=1
	s_or_b64 exec, exec, s[14:15]
	v_bfe_u32 v54, v2, 16, 8
	v_cvt_f32_fp8_sdwa v54, v54 src0_sel:BYTE_0
	s_nop 0
	v_mul_f32_e32 v54, s27, v54
	v_and_b32_e32 v55, 0x7f800000, v54
	v_cmp_ne_u32_e64 s[2:3], s22, v55
                                        ; implicit-def: $vgpr55
	s_and_saveexec_b64 s[14:15], s[2:3]
	s_xor_b64 s[2:3], exec, s[14:15]
; %bb.401:                              ;   in Loop: Header=BB321_161 Depth=1
	v_bfe_u32 v55, v54, 16, 1
	v_add3_u32 v55, v54, v55, s23
                                        ; implicit-def: $vgpr54
; %bb.402:                              ;   in Loop: Header=BB321_161 Depth=1
	s_andn2_saveexec_b64 s[14:15], s[2:3]
; %bb.403:                              ;   in Loop: Header=BB321_161 Depth=1
	v_or_b32_e32 v55, 0x10000, v54
	v_cmp_eq_u32_sdwa s[2:3], v54, v13 src0_sel:WORD_0 src1_sel:DWORD
	s_nop 1
	v_cndmask_b32_e64 v55, v55, v54, s[2:3]
; %bb.404:                              ;   in Loop: Header=BB321_161 Depth=1
	s_or_b64 exec, exec, s[14:15]
	v_lshrrev_b32_e32 v2, 24, v2
	v_cvt_f32_fp8_sdwa v2, v2 src0_sel:BYTE_0
	s_nop 0
	v_mul_f32_e32 v54, s27, v2
	v_and_b32_e32 v2, 0x7f800000, v54
	v_cmp_ne_u32_e64 s[2:3], s22, v2
                                        ; implicit-def: $vgpr2
	s_and_saveexec_b64 s[14:15], s[2:3]
	s_xor_b64 s[2:3], exec, s[14:15]
; %bb.405:                              ;   in Loop: Header=BB321_161 Depth=1
	v_bfe_u32 v2, v54, 16, 1
	v_add3_u32 v2, v54, v2, s23
                                        ; implicit-def: $vgpr54
; %bb.406:                              ;   in Loop: Header=BB321_161 Depth=1
	s_andn2_saveexec_b64 s[14:15], s[2:3]
; %bb.407:                              ;   in Loop: Header=BB321_161 Depth=1
	v_or_b32_e32 v2, 0x10000, v54
	v_cmp_eq_u32_sdwa s[2:3], v54, v13 src0_sel:WORD_0 src1_sel:DWORD
	s_nop 1
	v_cndmask_b32_e64 v2, v2, v54, s[2:3]
; %bb.408:                              ;   in Loop: Header=BB321_161 Depth=1
	s_or_b64 exec, exec, s[14:15]
	v_and_b32_e32 v54, 0xff, v3
	v_cvt_f32_fp8_sdwa v54, v54 src0_sel:BYTE_0
	s_nop 0
	v_mul_f32_e32 v54, s27, v54
	v_and_b32_e32 v56, 0x7f800000, v54
	v_cmp_ne_u32_e64 s[2:3], s22, v56
                                        ; implicit-def: $vgpr56
	s_and_saveexec_b64 s[14:15], s[2:3]
	s_xor_b64 s[2:3], exec, s[14:15]
; %bb.409:                              ;   in Loop: Header=BB321_161 Depth=1
	v_bfe_u32 v56, v54, 16, 1
	v_add3_u32 v56, v54, v56, s23
                                        ; implicit-def: $vgpr54
; %bb.410:                              ;   in Loop: Header=BB321_161 Depth=1
	s_andn2_saveexec_b64 s[14:15], s[2:3]
; %bb.411:                              ;   in Loop: Header=BB321_161 Depth=1
	v_or_b32_e32 v56, 0x10000, v54
	v_cmp_eq_u32_sdwa s[2:3], v54, v13 src0_sel:WORD_0 src1_sel:DWORD
	s_nop 1
	v_cndmask_b32_e64 v56, v56, v54, s[2:3]
; %bb.412:                              ;   in Loop: Header=BB321_161 Depth=1
	s_or_b64 exec, exec, s[14:15]
	v_bfe_u32 v54, v3, 8, 8
	v_cvt_f32_fp8_sdwa v54, v54 src0_sel:BYTE_0
	s_nop 0
	v_mul_f32_e32 v57, s27, v54
	v_and_b32_e32 v54, 0x7f800000, v57
	v_cmp_ne_u32_e64 s[2:3], s22, v54
                                        ; implicit-def: $vgpr54
	s_and_saveexec_b64 s[14:15], s[2:3]
	s_xor_b64 s[2:3], exec, s[14:15]
; %bb.413:                              ;   in Loop: Header=BB321_161 Depth=1
	v_bfe_u32 v54, v57, 16, 1
	v_add3_u32 v54, v57, v54, s23
                                        ; implicit-def: $vgpr57
; %bb.414:                              ;   in Loop: Header=BB321_161 Depth=1
	s_andn2_saveexec_b64 s[14:15], s[2:3]
; %bb.415:                              ;   in Loop: Header=BB321_161 Depth=1
	v_or_b32_e32 v54, 0x10000, v57
	v_cmp_eq_u32_sdwa s[2:3], v57, v13 src0_sel:WORD_0 src1_sel:DWORD
	s_nop 1
	v_cndmask_b32_e64 v54, v54, v57, s[2:3]
; %bb.416:                              ;   in Loop: Header=BB321_161 Depth=1
	s_or_b64 exec, exec, s[14:15]
	v_bfe_u32 v57, v3, 16, 8
	v_cvt_f32_fp8_sdwa v57, v57 src0_sel:BYTE_0
	s_nop 0
	v_mul_f32_e32 v57, s27, v57
	v_and_b32_e32 v58, 0x7f800000, v57
	v_cmp_ne_u32_e64 s[2:3], s22, v58
                                        ; implicit-def: $vgpr58
	s_and_saveexec_b64 s[14:15], s[2:3]
	s_xor_b64 s[2:3], exec, s[14:15]
; %bb.417:                              ;   in Loop: Header=BB321_161 Depth=1
	v_bfe_u32 v58, v57, 16, 1
	v_add3_u32 v58, v57, v58, s23
                                        ; implicit-def: $vgpr57
; %bb.418:                              ;   in Loop: Header=BB321_161 Depth=1
	s_andn2_saveexec_b64 s[14:15], s[2:3]
; %bb.419:                              ;   in Loop: Header=BB321_161 Depth=1
	v_or_b32_e32 v58, 0x10000, v57
	v_cmp_eq_u32_sdwa s[2:3], v57, v13 src0_sel:WORD_0 src1_sel:DWORD
	s_nop 1
	v_cndmask_b32_e64 v58, v58, v57, s[2:3]
; %bb.420:                              ;   in Loop: Header=BB321_161 Depth=1
	s_or_b64 exec, exec, s[14:15]
	v_lshrrev_b32_e32 v3, 24, v3
	v_cvt_f32_fp8_sdwa v3, v3 src0_sel:BYTE_0
                                        ; implicit-def: $vgpr59
	s_nop 0
	v_mul_f32_e32 v3, s27, v3
	v_and_b32_e32 v57, 0x7f800000, v3
	v_cmp_ne_u32_e64 s[2:3], s22, v57
	s_and_saveexec_b64 s[14:15], s[2:3]
	s_xor_b64 s[2:3], exec, s[14:15]
; %bb.421:                              ;   in Loop: Header=BB321_161 Depth=1
	v_bfe_u32 v57, v3, 16, 1
	v_add3_u32 v59, v3, v57, s23
                                        ; implicit-def: $vgpr3
; %bb.422:                              ;   in Loop: Header=BB321_161 Depth=1
	s_andn2_saveexec_b64 s[14:15], s[2:3]
; %bb.423:                              ;   in Loop: Header=BB321_161 Depth=1
	v_or_b32_e32 v57, 0x10000, v3
	v_cmp_eq_u32_sdwa s[2:3], v3, v13 src0_sel:WORD_0 src1_sel:DWORD
	s_nop 1
	v_cndmask_b32_e64 v59, v57, v3, s[2:3]
; %bb.424:                              ;   in Loop: Header=BB321_161 Depth=1
	s_or_b64 exec, exec, s[14:15]
	v_lshrrev_b32_e32 v54, 16, v54
	v_lshrrev_b32_e32 v56, 16, v56
	;; [unrolled: 1-line block ×8, first 2 shown]
	s_and_saveexec_b64 s[2:3], s[0:1]
	s_cbranch_execz .LBB321_426
; %bb.425:                              ;   in Loop: Header=BB321_161 Depth=1
	v_cmp_gt_i32_e64 s[0:1], s33, v31
	v_add_u32_e32 v31, -6, v23
	s_nop 0
	v_cndmask_b32_e64 v3, 0, v3, s[0:1]
	v_cmp_gt_i32_e64 s[0:1], s33, v31
	v_add_u32_e32 v31, -5, v23
	s_nop 0
	v_cndmask_b32_e64 v53, 0, v53, s[0:1]
	;; [unrolled: 4-line block ×6, first 2 shown]
	v_cmp_gt_i32_e64 s[0:1], s33, v31
	s_nop 1
	v_cndmask_b32_e64 v52, 0, v52, s[0:1]
	v_cmp_gt_i32_e64 s[0:1], s33, v23
	s_nop 1
	v_cndmask_b32_e64 v2, 0, v2, s[0:1]
.LBB321_426:                            ;   in Loop: Header=BB321_161 Depth=1
	s_or_b64 exec, exec, s[2:3]
	v_lshlrev_b32_e32 v3, 16, v3
	v_mul_f32_e32 v31, v32, v3
	v_and_b32_e32 v3, 0x7f800000, v31
	v_cmp_ne_u32_e64 s[0:1], s22, v3
                                        ; implicit-def: $vgpr3
	s_and_saveexec_b64 s[2:3], s[0:1]
	s_xor_b64 s[0:1], exec, s[2:3]
; %bb.427:                              ;   in Loop: Header=BB321_161 Depth=1
	v_bfe_u32 v3, v31, 16, 1
	v_add3_u32 v3, v31, v3, s23
                                        ; implicit-def: $vgpr31
; %bb.428:                              ;   in Loop: Header=BB321_161 Depth=1
	s_andn2_saveexec_b64 s[2:3], s[0:1]
; %bb.429:                              ;   in Loop: Header=BB321_161 Depth=1
	v_or_b32_e32 v3, 0x10000, v31
	v_cmp_eq_u32_sdwa s[0:1], v31, v13 src0_sel:WORD_0 src1_sel:DWORD
	s_nop 1
	v_cndmask_b32_e64 v3, v3, v31, s[0:1]
; %bb.430:                              ;   in Loop: Header=BB321_161 Depth=1
	s_or_b64 exec, exec, s[2:3]
	v_lshlrev_b32_e32 v31, 16, v53
	v_mul_f32_e32 v32, v33, v31
	v_and_b32_e32 v31, 0x7f800000, v32
	v_cmp_ne_u32_e64 s[0:1], s22, v31
                                        ; implicit-def: $vgpr31
	s_and_saveexec_b64 s[2:3], s[0:1]
	s_xor_b64 s[0:1], exec, s[2:3]
; %bb.431:                              ;   in Loop: Header=BB321_161 Depth=1
	v_bfe_u32 v31, v32, 16, 1
	v_add3_u32 v31, v32, v31, s23
                                        ; implicit-def: $vgpr32
; %bb.432:                              ;   in Loop: Header=BB321_161 Depth=1
	s_andn2_saveexec_b64 s[2:3], s[0:1]
; %bb.433:                              ;   in Loop: Header=BB321_161 Depth=1
	v_or_b32_e32 v31, 0x10000, v32
	v_cmp_eq_u32_sdwa s[0:1], v32, v13 src0_sel:WORD_0 src1_sel:DWORD
	s_nop 1
	v_cndmask_b32_e64 v31, v31, v32, s[0:1]
; %bb.434:                              ;   in Loop: Header=BB321_161 Depth=1
	s_or_b64 exec, exec, s[2:3]
	v_lshlrev_b32_e32 v32, 16, v55
	v_mul_f32_e32 v33, v34, v32
	v_and_b32_e32 v32, 0x7f800000, v33
	v_cmp_ne_u32_e64 s[0:1], s22, v32
                                        ; implicit-def: $vgpr32
	s_and_saveexec_b64 s[2:3], s[0:1]
	s_xor_b64 s[0:1], exec, s[2:3]
; %bb.435:                              ;   in Loop: Header=BB321_161 Depth=1
	v_bfe_u32 v32, v33, 16, 1
	v_add3_u32 v32, v33, v32, s23
                                        ; implicit-def: $vgpr33
; %bb.436:                              ;   in Loop: Header=BB321_161 Depth=1
	s_andn2_saveexec_b64 s[2:3], s[0:1]
; %bb.437:                              ;   in Loop: Header=BB321_161 Depth=1
	v_or_b32_e32 v32, 0x10000, v33
	v_cmp_eq_u32_sdwa s[0:1], v33, v13 src0_sel:WORD_0 src1_sel:DWORD
	s_nop 1
	v_cndmask_b32_e64 v32, v32, v33, s[0:1]
; %bb.438:                              ;   in Loop: Header=BB321_161 Depth=1
	s_or_b64 exec, exec, s[2:3]
	v_lshlrev_b32_e32 v33, 16, v57
	v_mul_f32_e32 v34, v35, v33
	v_and_b32_e32 v33, 0x7f800000, v34
	v_cmp_ne_u32_e64 s[0:1], s22, v33
                                        ; implicit-def: $vgpr33
	s_and_saveexec_b64 s[2:3], s[0:1]
	s_xor_b64 s[0:1], exec, s[2:3]
; %bb.439:                              ;   in Loop: Header=BB321_161 Depth=1
	v_bfe_u32 v33, v34, 16, 1
	v_add3_u32 v33, v34, v33, s23
                                        ; implicit-def: $vgpr34
; %bb.440:                              ;   in Loop: Header=BB321_161 Depth=1
	s_andn2_saveexec_b64 s[2:3], s[0:1]
; %bb.441:                              ;   in Loop: Header=BB321_161 Depth=1
	v_or_b32_e32 v33, 0x10000, v34
	v_cmp_eq_u32_sdwa s[0:1], v34, v13 src0_sel:WORD_0 src1_sel:DWORD
	s_nop 1
	v_cndmask_b32_e64 v33, v33, v34, s[0:1]
; %bb.442:                              ;   in Loop: Header=BB321_161 Depth=1
	s_or_b64 exec, exec, s[2:3]
	v_lshlrev_b32_e32 v34, 16, v56
	v_mul_f32_e32 v35, v36, v34
	v_and_b32_e32 v34, 0x7f800000, v35
	v_cmp_ne_u32_e64 s[0:1], s22, v34
                                        ; implicit-def: $vgpr34
	s_and_saveexec_b64 s[2:3], s[0:1]
	s_xor_b64 s[0:1], exec, s[2:3]
; %bb.443:                              ;   in Loop: Header=BB321_161 Depth=1
	v_bfe_u32 v34, v35, 16, 1
	v_add3_u32 v34, v35, v34, s23
                                        ; implicit-def: $vgpr35
; %bb.444:                              ;   in Loop: Header=BB321_161 Depth=1
	s_andn2_saveexec_b64 s[2:3], s[0:1]
; %bb.445:                              ;   in Loop: Header=BB321_161 Depth=1
	v_or_b32_e32 v34, 0x10000, v35
	v_cmp_eq_u32_sdwa s[0:1], v35, v13 src0_sel:WORD_0 src1_sel:DWORD
	s_nop 1
	v_cndmask_b32_e64 v34, v34, v35, s[0:1]
; %bb.446:                              ;   in Loop: Header=BB321_161 Depth=1
	s_or_b64 exec, exec, s[2:3]
	v_lshlrev_b32_e32 v35, 16, v54
	v_mul_f32_e32 v36, v37, v35
	v_and_b32_e32 v35, 0x7f800000, v36
	v_cmp_ne_u32_e64 s[0:1], s22, v35
                                        ; implicit-def: $vgpr35
	s_and_saveexec_b64 s[2:3], s[0:1]
	s_xor_b64 s[0:1], exec, s[2:3]
; %bb.447:                              ;   in Loop: Header=BB321_161 Depth=1
	v_bfe_u32 v35, v36, 16, 1
	v_add3_u32 v35, v36, v35, s23
                                        ; implicit-def: $vgpr36
; %bb.448:                              ;   in Loop: Header=BB321_161 Depth=1
	s_andn2_saveexec_b64 s[2:3], s[0:1]
; %bb.449:                              ;   in Loop: Header=BB321_161 Depth=1
	v_or_b32_e32 v35, 0x10000, v36
	v_cmp_eq_u32_sdwa s[0:1], v36, v13 src0_sel:WORD_0 src1_sel:DWORD
	s_nop 1
	v_cndmask_b32_e64 v35, v35, v36, s[0:1]
; %bb.450:                              ;   in Loop: Header=BB321_161 Depth=1
	s_or_b64 exec, exec, s[2:3]
	v_lshlrev_b32_e32 v36, 16, v52
	v_mul_f32_e32 v37, v38, v36
	v_and_b32_e32 v36, 0x7f800000, v37
	v_cmp_ne_u32_e64 s[0:1], s22, v36
                                        ; implicit-def: $vgpr36
	s_and_saveexec_b64 s[2:3], s[0:1]
	s_xor_b64 s[0:1], exec, s[2:3]
; %bb.451:                              ;   in Loop: Header=BB321_161 Depth=1
	v_bfe_u32 v36, v37, 16, 1
	v_add3_u32 v36, v37, v36, s23
                                        ; implicit-def: $vgpr37
; %bb.452:                              ;   in Loop: Header=BB321_161 Depth=1
	s_andn2_saveexec_b64 s[2:3], s[0:1]
; %bb.453:                              ;   in Loop: Header=BB321_161 Depth=1
	v_or_b32_e32 v36, 0x10000, v37
	v_cmp_eq_u32_sdwa s[0:1], v37, v13 src0_sel:WORD_0 src1_sel:DWORD
	s_nop 1
	v_cndmask_b32_e64 v36, v36, v37, s[0:1]
; %bb.454:                              ;   in Loop: Header=BB321_161 Depth=1
	s_or_b64 exec, exec, s[2:3]
	v_lshlrev_b32_e32 v2, 16, v2
	v_mul_f32_e32 v2, v39, v2
	v_and_b32_e32 v37, 0x7f800000, v2
	v_cmp_ne_u32_e64 s[0:1], s22, v37
                                        ; implicit-def: $vgpr37
	s_and_saveexec_b64 s[2:3], s[0:1]
	s_xor_b64 s[0:1], exec, s[2:3]
; %bb.455:                              ;   in Loop: Header=BB321_161 Depth=1
	v_bfe_u32 v37, v2, 16, 1
	v_add3_u32 v37, v2, v37, s23
                                        ; implicit-def: $vgpr2
; %bb.456:                              ;   in Loop: Header=BB321_161 Depth=1
	s_andn2_saveexec_b64 s[2:3], s[0:1]
	s_cbranch_execz .LBB321_159
; %bb.457:                              ;   in Loop: Header=BB321_161 Depth=1
	v_or_b32_e32 v37, 0x10000, v2
	v_cmp_eq_u32_sdwa s[0:1], v2, v13 src0_sel:WORD_0 src1_sel:DWORD
	s_nop 1
	v_cndmask_b32_e64 v37, v37, v2, s[0:1]
	s_branch .LBB321_159
.LBB321_458:
	s_or_b64 exec, exec, s[10:11]
.LBB321_459:
	s_or_b64 exec, exec, s[8:9]
	ds_bpermute_b32 v2, v20, v14
	ds_bpermute_b32 v3, v20, v15
	;; [unrolled: 1-line block ×4, first 2 shown]
	v_and_b32_e32 v1, 0x3c0, v0
	v_cmp_eq_u32_e32 vcc, 64, v1
	s_waitcnt lgkmcnt(2)
	v_pk_add_f32 v[4:5], v[14:15], v[2:3]
	s_waitcnt lgkmcnt(0)
	v_pk_add_f32 v[2:3], v[10:11], v[6:7]
	s_barrier
	s_and_saveexec_b64 s[2:3], vcc
	s_cbranch_execz .LBB321_464
; %bb.460:
	v_cmp_eq_u32_e32 vcc, 0, v21
	s_and_saveexec_b64 s[0:1], vcc
	s_cbranch_execz .LBB321_462
; %bb.461:
	v_mov_b32_e32 v1, 0x100
	v_lshl_add_u32 v1, v22, 2, v1
	ds_write2_b32 v1, v4, v5 offset1:32
	ds_write_b32 v1, v2 offset:256
.LBB321_462:
	s_or_b64 exec, exec, s[0:1]
	v_or_b32_e32 v1, 0x60, v22
	s_movk_i32 s0, 0x78
	v_cmp_gt_u32_e64 s[0:1], s0, v1
	s_and_b64 s[0:1], vcc, s[0:1]
	s_and_b64 exec, exec, s[0:1]
	s_cbranch_execz .LBB321_464
; %bb.463:
	v_mov_b32_e32 v1, 0x100
	v_lshl_add_u32 v1, v22, 2, v1
	ds_write_b32 v1, v3 offset:384
.LBB321_464:
	s_or_b64 exec, exec, s[2:3]
	v_cmp_gt_u32_e32 vcc, 64, v0
	v_lshrrev_b32_e32 v6, 1, v0
	s_waitcnt lgkmcnt(0)
	s_barrier
	s_and_saveexec_b64 s[6:7], vcc
	s_cbranch_execz .LBB321_472
; %bb.465:
	v_cmp_eq_u32_e64 s[0:1], 0, v21
	s_and_saveexec_b64 s[2:3], s[0:1]
	s_cbranch_execnz .LBB321_494
; %bb.466:
	s_or_b64 exec, exec, s[2:3]
	s_and_saveexec_b64 s[2:3], s[0:1]
	s_cbranch_execnz .LBB321_495
.LBB321_467:
	s_or_b64 exec, exec, s[2:3]
	s_and_saveexec_b64 s[2:3], s[0:1]
	s_cbranch_execz .LBB321_469
.LBB321_468:
	v_mov_b32_e32 v0, 0x100
	v_lshl_add_u32 v0, v6, 2, v0
	ds_read_b32 v0, v0 offset:256
	s_waitcnt lgkmcnt(0)
	v_add_f32_e32 v2, v2, v0
.LBB321_469:
	s_or_b64 exec, exec, s[2:3]
	v_or_b32_e32 v0, 0x60, v6
	s_movk_i32 s2, 0x78
	v_cmp_gt_u32_e64 s[2:3], s2, v0
	s_and_b64 s[2:3], s[0:1], s[2:3]
	s_and_saveexec_b64 s[0:1], s[2:3]
	s_cbranch_execz .LBB321_471
; %bb.470:
	v_mov_b32_e32 v0, 0x100
	v_lshl_add_u32 v0, v6, 2, v0
	ds_read_b32 v0, v0 offset:384
	s_waitcnt lgkmcnt(0)
	v_add_f32_e32 v3, v3, v0
.LBB321_471:
	s_or_b64 exec, exec, s[0:1]
.LBB321_472:
	s_or_b64 exec, exec, s[6:7]
	s_barrier
	s_and_saveexec_b64 s[0:1], vcc
	s_cbranch_execz .LBB321_493
; %bb.473:
	s_mul_i32 s0, s16, s17
	s_mul_i32 s0, s0, s5
	s_mulk_i32 s0, 0x78
	s_ashr_i32 s1, s0, 31
	s_lshl_b64 s[0:1], s[0:1], 1
	s_add_u32 s2, s20, s0
	s_mul_i32 s0, s17, s18
	s_addc_u32 s3, s21, s1
	s_ashr_i32 s1, s0, 31
	s_lshl_b64 s[0:1], s[0:1], 1
	s_add_u32 s2, s2, s0
	s_mul_i32 s0, s4, 0x78
	s_addc_u32 s3, s3, s1
	s_ashr_i32 s1, s0, 31
	s_lshl_b64 s[0:1], s[0:1], 1
	s_add_u32 s2, s2, s0
	s_addc_u32 s3, s3, s1
	v_cmp_eq_u32_e32 vcc, 0, v21
	s_and_saveexec_b64 s[4:5], vcc
	s_cbranch_execz .LBB321_487
; %bb.474:
	s_mov_b32 s0, 0x7f800000
	v_and_b32_e32 v0, 0x7f800000, v4
	v_cmp_ne_u32_e64 s[0:1], s0, v0
                                        ; implicit-def: $vgpr7
	s_and_saveexec_b64 s[6:7], s[0:1]
	s_xor_b64 s[0:1], exec, s[6:7]
; %bb.475:
	v_bfe_u32 v0, v4, 16, 1
	s_movk_i32 s6, 0x7fff
	v_add3_u32 v7, v4, v0, s6
; %bb.476:
	s_andn2_saveexec_b64 s[6:7], s[0:1]
; %bb.477:
	v_mov_b32_e32 v0, 0
	v_or_b32_e32 v1, 0x10000, v4
	v_cmp_eq_u32_sdwa s[0:1], v4, v0 src0_sel:WORD_0 src1_sel:DWORD
	s_nop 1
	v_cndmask_b32_e64 v7, v1, v4, s[0:1]
; %bb.478:
	s_or_b64 exec, exec, s[6:7]
	s_mov_b32 s0, 0x7f800000
	v_and_b32_e32 v4, 0x7f800000, v5
	v_lshlrev_b32_e32 v0, 1, v6
	v_mov_b32_e32 v1, 0
	v_cmp_ne_u32_e64 s[0:1], s0, v4
	global_store_short_d16_hi v0, v7, s[2:3]
                                        ; implicit-def: $vgpr4
	s_and_saveexec_b64 s[6:7], s[0:1]
	s_xor_b64 s[0:1], exec, s[6:7]
; %bb.479:
	v_bfe_u32 v4, v5, 16, 1
	s_movk_i32 s6, 0x7fff
	v_add3_u32 v4, v5, v4, s6
; %bb.480:
	s_or_saveexec_b64 s[6:7], s[0:1]
	v_lshl_add_u64 v[0:1], s[2:3], 0, v[0:1]
	s_xor_b64 exec, exec, s[6:7]
; %bb.481:
	v_mov_b32_e32 v4, 0
	v_or_b32_e32 v7, 0x10000, v5
	v_cmp_eq_u32_sdwa s[0:1], v5, v4 src0_sel:WORD_0 src1_sel:DWORD
	s_nop 1
	v_cndmask_b32_e64 v4, v7, v5, s[0:1]
; %bb.482:
	s_or_b64 exec, exec, s[6:7]
	global_store_short_d16_hi v[0:1], v4, off offset:64
	s_mov_b32 s0, 0x7f800000
	v_and_b32_e32 v4, 0x7f800000, v2
	v_cmp_ne_u32_e64 s[0:1], s0, v4
                                        ; implicit-def: $vgpr4
	s_and_saveexec_b64 s[6:7], s[0:1]
	s_xor_b64 s[0:1], exec, s[6:7]
; %bb.483:
	v_bfe_u32 v4, v2, 16, 1
	s_movk_i32 s6, 0x7fff
	v_add3_u32 v4, v2, v4, s6
; %bb.484:
	s_andn2_saveexec_b64 s[6:7], s[0:1]
; %bb.485:
	v_mov_b32_e32 v4, 0
	v_or_b32_e32 v5, 0x10000, v2
	v_cmp_eq_u32_sdwa s[0:1], v2, v4 src0_sel:WORD_0 src1_sel:DWORD
	s_nop 1
	v_cndmask_b32_e64 v4, v5, v2, s[0:1]
; %bb.486:
	s_or_b64 exec, exec, s[6:7]
	global_store_short_d16_hi v[0:1], v4, off offset:128
.LBB321_487:
	s_or_b64 exec, exec, s[4:5]
	v_or_b32_e32 v0, 0x60, v6
	s_movk_i32 s0, 0x78
	v_cmp_gt_u32_e64 s[0:1], s0, v0
	s_and_b64 s[0:1], vcc, s[0:1]
	s_and_b64 exec, exec, s[0:1]
	s_cbranch_execz .LBB321_493
; %bb.488:
	s_mov_b32 s0, 0x7f800000
	v_and_b32_e32 v0, 0x7f800000, v3
	v_cmp_ne_u32_e32 vcc, s0, v0
                                        ; implicit-def: $vgpr4
	s_and_saveexec_b64 s[0:1], vcc
	s_xor_b64 s[0:1], exec, s[0:1]
; %bb.489:
	v_bfe_u32 v0, v3, 16, 1
	s_movk_i32 s4, 0x7fff
	v_add3_u32 v4, v3, v0, s4
                                        ; implicit-def: $vgpr0_vgpr1_vgpr2_vgpr3
; %bb.490:
	s_andn2_saveexec_b64 s[0:1], s[0:1]
; %bb.491:
	v_mov_b32_e32 v0, 0
	v_or_b32_e32 v1, 0x10000, v3
	v_cmp_eq_u32_sdwa vcc, v3, v0 src0_sel:WORD_0 src1_sel:DWORD
	s_nop 1
	v_cndmask_b32_e32 v4, v1, v3, vcc
; %bb.492:
	s_or_b64 exec, exec, s[0:1]
	v_lshlrev_b32_e32 v0, 1, v6
	global_store_short_d16_hi v0, v4, s[2:3] offset:192
.LBB321_493:
	s_endpgm
.LBB321_494:
	v_mov_b32_e32 v0, 0x100
	v_lshl_add_u32 v0, v6, 2, v0
	ds_read_b32 v0, v0
	s_waitcnt lgkmcnt(0)
	v_add_f32_e32 v4, v4, v0
	s_or_b64 exec, exec, s[2:3]
	s_and_saveexec_b64 s[2:3], s[0:1]
	s_cbranch_execz .LBB321_467
.LBB321_495:
	v_mov_b32_e32 v0, 0x100
	v_lshl_add_u32 v0, v6, 2, v0
	ds_read_b32 v0, v0 offset:128
	s_waitcnt lgkmcnt(0)
	v_add_f32_e32 v5, v5, v0
	s_or_b64 exec, exec, s[2:3]
	s_and_saveexec_b64 s[2:3], s[0:1]
	s_cbranch_execnz .LBB321_468
	s_branch .LBB321_469
	.section	.rodata,"a",@progbits
	.p2align	6, 0x0
	.amdhsa_kernel _ZN4vllm25paged_attention_v1_kernelI14__hip_bfloat16hLi120ELi16ELi128ELNS_18Fp8KVCacheDataTypeE1ELb0EEEvPT_PKS3_PKT0_S9_ifPKiSB_iPKfiiiSD_SD_iiiii
		.amdhsa_group_segment_fixed_size 256
		.amdhsa_private_segment_fixed_size 0
		.amdhsa_kernarg_size 384
		.amdhsa_user_sgpr_count 2
		.amdhsa_user_sgpr_dispatch_ptr 0
		.amdhsa_user_sgpr_queue_ptr 0
		.amdhsa_user_sgpr_kernarg_segment_ptr 1
		.amdhsa_user_sgpr_dispatch_id 0
		.amdhsa_user_sgpr_kernarg_preload_length 0
		.amdhsa_user_sgpr_kernarg_preload_offset 0
		.amdhsa_user_sgpr_private_segment_size 0
		.amdhsa_uses_dynamic_stack 0
		.amdhsa_enable_private_segment 0
		.amdhsa_system_sgpr_workgroup_id_x 1
		.amdhsa_system_sgpr_workgroup_id_y 1
		.amdhsa_system_sgpr_workgroup_id_z 1
		.amdhsa_system_sgpr_workgroup_info 0
		.amdhsa_system_vgpr_workitem_id 0
		.amdhsa_next_free_vgpr 78
		.amdhsa_next_free_sgpr 40
		.amdhsa_accum_offset 80
		.amdhsa_reserve_vcc 1
		.amdhsa_float_round_mode_32 0
		.amdhsa_float_round_mode_16_64 0
		.amdhsa_float_denorm_mode_32 3
		.amdhsa_float_denorm_mode_16_64 3
		.amdhsa_dx10_clamp 1
		.amdhsa_ieee_mode 1
		.amdhsa_fp16_overflow 0
		.amdhsa_tg_split 0
		.amdhsa_exception_fp_ieee_invalid_op 0
		.amdhsa_exception_fp_denorm_src 0
		.amdhsa_exception_fp_ieee_div_zero 0
		.amdhsa_exception_fp_ieee_overflow 0
		.amdhsa_exception_fp_ieee_underflow 0
		.amdhsa_exception_fp_ieee_inexact 0
		.amdhsa_exception_int_div_zero 0
	.end_amdhsa_kernel
	.section	.text._ZN4vllm25paged_attention_v1_kernelI14__hip_bfloat16hLi120ELi16ELi128ELNS_18Fp8KVCacheDataTypeE1ELb0EEEvPT_PKS3_PKT0_S9_ifPKiSB_iPKfiiiSD_SD_iiiii,"axG",@progbits,_ZN4vllm25paged_attention_v1_kernelI14__hip_bfloat16hLi120ELi16ELi128ELNS_18Fp8KVCacheDataTypeE1ELb0EEEvPT_PKS3_PKT0_S9_ifPKiSB_iPKfiiiSD_SD_iiiii,comdat
.Lfunc_end321:
	.size	_ZN4vllm25paged_attention_v1_kernelI14__hip_bfloat16hLi120ELi16ELi128ELNS_18Fp8KVCacheDataTypeE1ELb0EEEvPT_PKS3_PKT0_S9_ifPKiSB_iPKfiiiSD_SD_iiiii, .Lfunc_end321-_ZN4vllm25paged_attention_v1_kernelI14__hip_bfloat16hLi120ELi16ELi128ELNS_18Fp8KVCacheDataTypeE1ELb0EEEvPT_PKS3_PKT0_S9_ifPKiSB_iPKfiiiSD_SD_iiiii
                                        ; -- End function
	.section	.AMDGPU.csdata,"",@progbits
; Kernel info:
; codeLenInByte = 15372
; NumSgprs: 46
; NumVgprs: 78
; NumAgprs: 0
; TotalNumVgprs: 78
; ScratchSize: 0
; MemoryBound: 0
; FloatMode: 240
; IeeeMode: 1
; LDSByteSize: 256 bytes/workgroup (compile time only)
; SGPRBlocks: 5
; VGPRBlocks: 9
; NumSGPRsForWavesPerEU: 46
; NumVGPRsForWavesPerEU: 78
; AccumOffset: 80
; Occupancy: 6
; WaveLimiterHint : 1
; COMPUTE_PGM_RSRC2:SCRATCH_EN: 0
; COMPUTE_PGM_RSRC2:USER_SGPR: 2
; COMPUTE_PGM_RSRC2:TRAP_HANDLER: 0
; COMPUTE_PGM_RSRC2:TGID_X_EN: 1
; COMPUTE_PGM_RSRC2:TGID_Y_EN: 1
; COMPUTE_PGM_RSRC2:TGID_Z_EN: 1
; COMPUTE_PGM_RSRC2:TIDIG_COMP_CNT: 0
; COMPUTE_PGM_RSRC3_GFX90A:ACCUM_OFFSET: 19
; COMPUTE_PGM_RSRC3_GFX90A:TG_SPLIT: 0
	.section	.text._ZN4vllm25paged_attention_v1_kernelI14__hip_bfloat16hLi128ELi16ELi128ELNS_18Fp8KVCacheDataTypeE1ELb0EEEvPT_PKS3_PKT0_S9_ifPKiSB_iPKfiiiSD_SD_iiiii,"axG",@progbits,_ZN4vllm25paged_attention_v1_kernelI14__hip_bfloat16hLi128ELi16ELi128ELNS_18Fp8KVCacheDataTypeE1ELb0EEEvPT_PKS3_PKT0_S9_ifPKiSB_iPKfiiiSD_SD_iiiii,comdat
	.protected	_ZN4vllm25paged_attention_v1_kernelI14__hip_bfloat16hLi128ELi16ELi128ELNS_18Fp8KVCacheDataTypeE1ELb0EEEvPT_PKS3_PKT0_S9_ifPKiSB_iPKfiiiSD_SD_iiiii ; -- Begin function _ZN4vllm25paged_attention_v1_kernelI14__hip_bfloat16hLi128ELi16ELi128ELNS_18Fp8KVCacheDataTypeE1ELb0EEEvPT_PKS3_PKT0_S9_ifPKiSB_iPKfiiiSD_SD_iiiii
	.globl	_ZN4vllm25paged_attention_v1_kernelI14__hip_bfloat16hLi128ELi16ELi128ELNS_18Fp8KVCacheDataTypeE1ELb0EEEvPT_PKS3_PKT0_S9_ifPKiSB_iPKfiiiSD_SD_iiiii
	.p2align	8
	.type	_ZN4vllm25paged_attention_v1_kernelI14__hip_bfloat16hLi128ELi16ELi128ELNS_18Fp8KVCacheDataTypeE1ELb0EEEvPT_PKS3_PKT0_S9_ifPKiSB_iPKfiiiSD_SD_iiiii,@function
_ZN4vllm25paged_attention_v1_kernelI14__hip_bfloat16hLi128ELi16ELi128ELNS_18Fp8KVCacheDataTypeE1ELb0EEEvPT_PKS3_PKT0_S9_ifPKiSB_iPKfiiiSD_SD_iiiii: ; @_ZN4vllm25paged_attention_v1_kernelI14__hip_bfloat16hLi128ELi16ELi128ELNS_18Fp8KVCacheDataTypeE1ELb0EEEvPT_PKS3_PKT0_S9_ifPKiSB_iPKfiiiSD_SD_iiiii
; %bb.0:
	s_load_dword s5, s[0:1], 0x80
	s_load_dwordx2 s[6:7], s[0:1], 0x30
	s_load_dwordx2 s[10:11], s[0:1], 0x20
	s_mov_b32 s20, s3
	s_ashr_i32 s21, s3, 31
	s_lshl_b64 s[8:9], s[20:21], 2
	s_waitcnt lgkmcnt(0)
	s_add_u32 s6, s6, s8
	s_addc_u32 s7, s7, s9
	s_abs_i32 s3, s10
	v_cvt_f32_u32_e32 v1, s3
	s_xor_b32 s8, s5, s10
	s_sub_i32 s10, 0, s3
	s_abs_i32 s9, s5
	v_rcp_iflag_f32_e32 v1, v1
	s_ashr_i32 s8, s8, 31
	v_mul_f32_e32 v1, 0x4f7ffffe, v1
	v_cvt_u32_f32_e32 v1, v1
	s_nop 0
	v_readfirstlane_b32 s12, v1
	s_mul_i32 s10, s10, s12
	s_mul_hi_u32 s10, s12, s10
	s_add_i32 s12, s12, s10
	s_mul_hi_u32 s10, s9, s12
	s_mul_i32 s12, s10, s3
	s_sub_i32 s9, s9, s12
	s_add_i32 s12, s10, 1
	s_sub_i32 s13, s9, s3
	s_cmp_ge_u32 s9, s3
	s_cselect_b32 s10, s12, s10
	s_cselect_b32 s9, s13, s9
	s_add_i32 s12, s10, 1
	s_cmp_ge_u32 s9, s3
	s_cselect_b32 s3, s12, s10
	s_xor_b32 s3, s3, s8
	s_sub_i32 s19, s3, s8
	s_abs_i32 s16, s19
	v_cvt_f32_u32_e32 v1, s16
	s_load_dwordx2 s[8:9], s[0:1], 0x40
	s_sub_i32 s3, 0, s16
	s_abs_i32 s17, s2
	v_rcp_iflag_f32_e32 v1, v1
	s_mov_b32 s10, 0
	v_mul_f32_e32 v1, 0x4f7ffffe, v1
	v_cvt_u32_f32_e32 v1, v1
	s_nop 0
	v_readfirstlane_b32 s12, v1
	s_mul_i32 s3, s3, s12
	s_mul_hi_u32 s3, s12, s3
	s_add_i32 s12, s12, s3
	s_waitcnt lgkmcnt(0)
	s_cmp_eq_u64 s[8:9], 0
	s_mul_hi_u32 s18, s17, s12
	s_cbranch_scc1 .LBB322_2
; %bb.1:
	s_ashr_i32 s3, s2, 31
	s_lshl_b64 s[12:13], s[2:3], 2
	s_add_u32 s8, s8, s12
	s_addc_u32 s9, s9, s13
	s_load_dword s10, s[8:9], 0x0
.LBB322_2:
	s_load_dword s21, s[6:7], 0x0
	s_load_dwordx4 s[12:15], s[0:1], 0x48
	s_ashr_i32 s8, s2, 31
	s_ashr_i32 s9, s19, 31
	v_and_b32_e32 v6, 3, v0
	s_lshl_b32 s22, s2, 7
	v_cmp_gt_u32_e64 s[6:7], 64, v0
	s_and_saveexec_b64 s[2:3], s[6:7]
	s_cbranch_execz .LBB322_4
; %bb.3:
	s_load_dwordx2 s[24:25], s[0:1], 0x8
	s_waitcnt lgkmcnt(0)
	s_mul_i32 s26, s20, s12
	s_ashr_i32 s27, s26, 31
	s_lshl_b64 s[26:27], s[26:27], 1
	v_lshlrev_b32_e32 v1, 2, v0
	s_add_u32 s12, s24, s26
	s_addc_u32 s15, s25, s27
	s_ashr_i32 s23, s22, 31
	s_lshl_b64 s[24:25], s[22:23], 1
	s_add_u32 s24, s12, s24
	s_addc_u32 s25, s15, s25
	global_load_dword v1, v1, s[24:25]
	v_and_b32_e32 v2, 0x3fc, v0
	v_lshl_add_u32 v2, v6, 6, v2
	s_waitcnt vmcnt(0)
	ds_write_b32 v2, v1
.LBB322_4:
	s_or_b64 exec, exec, s[2:3]
	s_waitcnt lgkmcnt(0)
	s_add_i32 s3, s21, 15
	s_ashr_i32 s12, s3, 31
	s_lshr_b32 s12, s12, 28
	s_add_i32 s3, s3, s12
	s_ashr_i32 s23, s3, 4
	s_xor_b32 s3, s8, s9
	s_mul_i32 s8, s18, s16
	s_sub_i32 s8, s17, s8
	s_add_i32 s9, s18, 1
	s_sub_i32 s12, s8, s16
	s_load_dwordx2 s[26:27], s[0:1], 0x28
	s_load_dword s2, s[0:1], 0x38
	s_cmp_ge_u32 s8, s16
	s_cselect_b32 s9, s9, s18
	s_cselect_b32 s8, s12, s8
	s_add_i32 s12, s9, 1
	s_cmp_ge_u32 s8, s16
	s_cselect_b32 s8, s12, s9
	v_lshrrev_b32_e32 v1, 6, v0
	s_xor_b32 s8, s8, s3
	s_waitcnt lgkmcnt(0)
	s_mul_i32 s28, s20, s2
	s_sub_i32 s33, s8, s3
	s_ashr_i32 s29, s28, 31
	v_cmp_gt_i32_e64 s[2:3], s23, v1
	v_cmp_le_i32_e32 vcc, s23, v1
	v_mbcnt_lo_u32_b32 v7, -1, 0
	s_barrier
	s_waitcnt lgkmcnt(0)
                                        ; implicit-def: $sgpr15
                                        ; implicit-def: $vgpr10
                                        ; implicit-def: $vgpr11
	s_and_saveexec_b64 s[8:9], vcc
	s_xor_b64 s[8:9], exec, s[8:9]
; %bb.5:
	v_mbcnt_hi_u32_b32 v10, -1, v7
	v_and_b32_e32 v2, 64, v10
	v_add_u32_e32 v11, 64, v2
	s_mov_b32 s15, 0xff7fffff
                                        ; implicit-def: $vgpr6
                                        ; implicit-def: $vgpr7
; %bb.6:
	s_or_saveexec_b64 s[34:35], s[8:9]
	s_load_dwordx2 s[24:25], s[0:1], 0x0
	s_load_dwordx2 s[30:31], s[0:1], 0x18
	s_load_dword s12, s[0:1], 0x88
	s_load_dwordx4 s[16:19], s[0:1], 0x58
	v_mov_b32_e32 v45, s15
	s_mul_i32 s33, s33, s14
	v_lshrrev_b32_e32 v18, 4, v0
	s_xor_b64 exec, exec, s[34:35]
	s_cbranch_execz .LBB322_140
; %bb.7:
	v_lshlrev_b32_e32 v12, 6, v6
	ds_read_b128 v[8:11], v12
	s_load_dwordx2 s[0:1], s[0:1], 0x10
	s_ashr_i32 s8, s33, 31
	v_bfe_u32 v49, v0, 2, 4
	ds_read_b128 v[26:29], v12 offset:16
	ds_read_b128 v[34:37], v12 offset:32
	;; [unrolled: 1-line block ×3, first 2 shown]
	s_waitcnt lgkmcnt(0)
	v_lshlrev_b32_e32 v16, 16, v10
	v_and_b32_e32 v17, 0xffff0000, v10
	v_mbcnt_hi_u32_b32 v10, -1, v7
	v_and_b32_e32 v7, 64, v10
	v_lshlrev_b32_e32 v19, 16, v11
	v_and_b32_e32 v20, 0xffff0000, v11
	v_add_u32_e32 v11, 64, v7
	v_xor_b32_e32 v7, 2, v10
	v_cmp_lt_i32_e32 vcc, v7, v11
	s_add_u32 s0, s0, s33
	v_lshlrev_b32_e32 v2, 4, v49
	v_cndmask_b32_e32 v7, v10, v7, vcc
	v_lshlrev_b32_e32 v46, 2, v7
	v_xor_b32_e32 v7, 1, v10
	s_addc_u32 s1, s1, s8
	v_mov_b32_e32 v3, 0
	v_cmp_lt_i32_e32 vcc, v7, v11
	s_load_dword s37, s[16:17], 0x0
	v_lshl_add_u64 v[4:5], s[0:1], 0, v[2:3]
	v_lshlrev_b32_e32 v2, 1, v6
	v_cndmask_b32_e32 v7, v10, v7, vcc
	v_cmp_eq_u32_e32 vcc, 0, v6
	s_sub_i32 s38, 1, s21
	v_lshlrev_b32_e32 v6, 2, v49
	s_lshl_b64 s[8:9], s[28:29], 2
	v_lshl_or_b32 v6, v1, 6, v6
	s_add_u32 s8, s26, s8
	v_lshlrev_b32_e32 v47, 2, v7
	v_lshl_or_b32 v48, v1, 4, v49
	v_add_u32_e32 v49, 0x110, v6
	v_and_b32_e32 v6, 60, v18
	v_mov_b32_e32 v7, v3
	s_addc_u32 s9, s27, s9
	s_mov_b32 s36, s13
	v_lshlrev_b32_e32 v12, 16, v8
	v_and_b32_e32 v13, 0xffff0000, v8
	v_lshlrev_b32_e32 v14, 16, v9
	v_and_b32_e32 v15, 0xffff0000, v9
	;; [unrolled: 2-line block ×14, first 2 shown]
	v_cmp_neq_f32_e64 s[0:1], s10, 0
	v_lshl_add_u64 v[6:7], s[8:9], 0, v[6:7]
	s_mov_b64 s[14:15], 0
	v_mov_b32_e32 v45, 0xff7fffff
	s_mov_b32 s39, 0xffff
	s_mov_b32 s40, 0x7f800000
	s_movk_i32 s41, 0x7fff
	v_mov_b32_e32 v50, v1
	s_branch .LBB322_9
.LBB322_8:                              ;   in Loop: Header=BB322_9 Depth=1
	s_or_b64 exec, exec, s[16:17]
	v_add_u32_e32 v50, 2, v50
	v_cmp_le_i32_e64 s[8:9], s23, v50
	v_add_u32_e32 v48, 32, v48
	v_add_u32_e32 v49, 0x80, v49
	s_or_b64 s[14:15], s[8:9], s[14:15]
	v_lshl_add_u64 v[6:7], v[6:7], 0, 8
	s_andn2_b64 exec, exec, s[14:15]
	s_cbranch_execz .LBB322_139
.LBB322_9:                              ; =>This Inner Loop Header: Depth=1
	global_load_dword v8, v[6:7], off
	s_waitcnt vmcnt(0) lgkmcnt(0)
	v_mad_i64_i32 v[8:9], s[8:9], v8, s36, v[4:5]
	v_lshl_add_u64 v[8:9], v[8:9], 0, v[2:3]
	global_load_ushort v52, v[8:9], off
	s_waitcnt vmcnt(0)
	v_and_b32_sdwa v51, s39, v52 dst_sel:DWORD dst_unused:UNUSED_PAD src0_sel:DWORD src1_sel:BYTE_0
	v_cvt_f32_fp8_sdwa v51, v51 src0_sel:BYTE_0
	s_waitcnt lgkmcnt(0)
	v_mul_f32_e32 v53, s37, v51
	v_and_b32_e32 v51, 0x7f800000, v53
	v_cmp_ne_u32_e64 s[8:9], s40, v51
                                        ; implicit-def: $vgpr51
	s_and_saveexec_b64 s[16:17], s[8:9]
	s_xor_b64 s[8:9], exec, s[16:17]
; %bb.10:                               ;   in Loop: Header=BB322_9 Depth=1
	v_bfe_u32 v51, v53, 16, 1
	v_add3_u32 v51, v53, v51, s41
                                        ; implicit-def: $vgpr53
; %bb.11:                               ;   in Loop: Header=BB322_9 Depth=1
	s_andn2_saveexec_b64 s[16:17], s[8:9]
; %bb.12:                               ;   in Loop: Header=BB322_9 Depth=1
	v_or_b32_e32 v51, 0x10000, v53
	v_cmp_eq_u32_sdwa s[8:9], v53, v3 src0_sel:WORD_0 src1_sel:DWORD
	s_nop 1
	v_cndmask_b32_e64 v51, v51, v53, s[8:9]
; %bb.13:                               ;   in Loop: Header=BB322_9 Depth=1
	s_or_b64 exec, exec, s[16:17]
	v_lshrrev_b16_e32 v52, 8, v52
	v_cvt_f32_fp8_sdwa v52, v52 src0_sel:BYTE_0
	s_nop 0
	v_mul_f32_e32 v53, s37, v52
	v_and_b32_e32 v52, 0x7f800000, v53
	v_cmp_ne_u32_e64 s[8:9], s40, v52
                                        ; implicit-def: $vgpr52
	s_and_saveexec_b64 s[16:17], s[8:9]
	s_xor_b64 s[8:9], exec, s[16:17]
; %bb.14:                               ;   in Loop: Header=BB322_9 Depth=1
	v_bfe_u32 v52, v53, 16, 1
	v_add3_u32 v52, v53, v52, s41
                                        ; implicit-def: $vgpr53
; %bb.15:                               ;   in Loop: Header=BB322_9 Depth=1
	s_andn2_saveexec_b64 s[16:17], s[8:9]
; %bb.16:                               ;   in Loop: Header=BB322_9 Depth=1
	v_or_b32_e32 v52, 0x10000, v53
	v_cmp_eq_u32_sdwa s[8:9], v53, v3 src0_sel:WORD_0 src1_sel:DWORD
	s_nop 1
	v_cndmask_b32_e64 v52, v52, v53, s[8:9]
; %bb.17:                               ;   in Loop: Header=BB322_9 Depth=1
	s_or_b64 exec, exec, s[16:17]
	global_load_ushort v54, v[8:9], off offset:8
	s_waitcnt vmcnt(0)
	v_and_b32_sdwa v53, s39, v54 dst_sel:DWORD dst_unused:UNUSED_PAD src0_sel:DWORD src1_sel:BYTE_0
	v_cvt_f32_fp8_sdwa v53, v53 src0_sel:BYTE_0
	s_nop 0
	v_mul_f32_e32 v55, s37, v53
	v_and_b32_e32 v53, 0x7f800000, v55
	v_cmp_ne_u32_e64 s[8:9], s40, v53
                                        ; implicit-def: $vgpr53
	s_and_saveexec_b64 s[16:17], s[8:9]
	s_xor_b64 s[8:9], exec, s[16:17]
; %bb.18:                               ;   in Loop: Header=BB322_9 Depth=1
	v_bfe_u32 v53, v55, 16, 1
	v_add3_u32 v53, v55, v53, s41
                                        ; implicit-def: $vgpr55
; %bb.19:                               ;   in Loop: Header=BB322_9 Depth=1
	s_andn2_saveexec_b64 s[16:17], s[8:9]
; %bb.20:                               ;   in Loop: Header=BB322_9 Depth=1
	v_or_b32_e32 v53, 0x10000, v55
	v_cmp_eq_u32_sdwa s[8:9], v55, v3 src0_sel:WORD_0 src1_sel:DWORD
	s_nop 1
	v_cndmask_b32_e64 v53, v53, v55, s[8:9]
; %bb.21:                               ;   in Loop: Header=BB322_9 Depth=1
	s_or_b64 exec, exec, s[16:17]
	v_lshrrev_b16_e32 v54, 8, v54
	v_cvt_f32_fp8_sdwa v54, v54 src0_sel:BYTE_0
	s_nop 0
	v_mul_f32_e32 v55, s37, v54
	v_and_b32_e32 v54, 0x7f800000, v55
	v_cmp_ne_u32_e64 s[8:9], s40, v54
                                        ; implicit-def: $vgpr54
	s_and_saveexec_b64 s[16:17], s[8:9]
	s_xor_b64 s[8:9], exec, s[16:17]
; %bb.22:                               ;   in Loop: Header=BB322_9 Depth=1
	v_bfe_u32 v54, v55, 16, 1
	v_add3_u32 v54, v55, v54, s41
                                        ; implicit-def: $vgpr55
; %bb.23:                               ;   in Loop: Header=BB322_9 Depth=1
	s_andn2_saveexec_b64 s[16:17], s[8:9]
; %bb.24:                               ;   in Loop: Header=BB322_9 Depth=1
	v_or_b32_e32 v54, 0x10000, v55
	v_cmp_eq_u32_sdwa s[8:9], v55, v3 src0_sel:WORD_0 src1_sel:DWORD
	s_nop 1
	v_cndmask_b32_e64 v54, v54, v55, s[8:9]
; %bb.25:                               ;   in Loop: Header=BB322_9 Depth=1
	s_or_b64 exec, exec, s[16:17]
	global_load_ushort v56, v[8:9], off offset:256
	s_waitcnt vmcnt(0)
	v_and_b32_sdwa v55, s39, v56 dst_sel:DWORD dst_unused:UNUSED_PAD src0_sel:DWORD src1_sel:BYTE_0
	v_cvt_f32_fp8_sdwa v55, v55 src0_sel:BYTE_0
	s_nop 0
	v_mul_f32_e32 v57, s37, v55
	v_and_b32_e32 v55, 0x7f800000, v57
	v_cmp_ne_u32_e64 s[8:9], s40, v55
                                        ; implicit-def: $vgpr55
	s_and_saveexec_b64 s[16:17], s[8:9]
	s_xor_b64 s[8:9], exec, s[16:17]
; %bb.26:                               ;   in Loop: Header=BB322_9 Depth=1
	v_bfe_u32 v55, v57, 16, 1
	v_add3_u32 v55, v57, v55, s41
                                        ; implicit-def: $vgpr57
; %bb.27:                               ;   in Loop: Header=BB322_9 Depth=1
	s_andn2_saveexec_b64 s[16:17], s[8:9]
; %bb.28:                               ;   in Loop: Header=BB322_9 Depth=1
	v_or_b32_e32 v55, 0x10000, v57
	v_cmp_eq_u32_sdwa s[8:9], v57, v3 src0_sel:WORD_0 src1_sel:DWORD
	s_nop 1
	v_cndmask_b32_e64 v55, v55, v57, s[8:9]
; %bb.29:                               ;   in Loop: Header=BB322_9 Depth=1
	s_or_b64 exec, exec, s[16:17]
	v_lshrrev_b16_e32 v56, 8, v56
	v_cvt_f32_fp8_sdwa v56, v56 src0_sel:BYTE_0
	s_nop 0
	v_mul_f32_e32 v57, s37, v56
	v_and_b32_e32 v56, 0x7f800000, v57
	v_cmp_ne_u32_e64 s[8:9], s40, v56
                                        ; implicit-def: $vgpr56
	s_and_saveexec_b64 s[16:17], s[8:9]
	s_xor_b64 s[8:9], exec, s[16:17]
; %bb.30:                               ;   in Loop: Header=BB322_9 Depth=1
	v_bfe_u32 v56, v57, 16, 1
	v_add3_u32 v56, v57, v56, s41
                                        ; implicit-def: $vgpr57
; %bb.31:                               ;   in Loop: Header=BB322_9 Depth=1
	s_andn2_saveexec_b64 s[16:17], s[8:9]
; %bb.32:                               ;   in Loop: Header=BB322_9 Depth=1
	v_or_b32_e32 v56, 0x10000, v57
	v_cmp_eq_u32_sdwa s[8:9], v57, v3 src0_sel:WORD_0 src1_sel:DWORD
	s_nop 1
	v_cndmask_b32_e64 v56, v56, v57, s[8:9]
; %bb.33:                               ;   in Loop: Header=BB322_9 Depth=1
	s_or_b64 exec, exec, s[16:17]
	global_load_ushort v58, v[8:9], off offset:264
	s_waitcnt vmcnt(0)
	v_and_b32_sdwa v57, s39, v58 dst_sel:DWORD dst_unused:UNUSED_PAD src0_sel:DWORD src1_sel:BYTE_0
	v_cvt_f32_fp8_sdwa v57, v57 src0_sel:BYTE_0
	s_nop 0
	v_mul_f32_e32 v59, s37, v57
	v_and_b32_e32 v57, 0x7f800000, v59
	v_cmp_ne_u32_e64 s[8:9], s40, v57
                                        ; implicit-def: $vgpr57
	s_and_saveexec_b64 s[16:17], s[8:9]
	s_xor_b64 s[8:9], exec, s[16:17]
; %bb.34:                               ;   in Loop: Header=BB322_9 Depth=1
	v_bfe_u32 v57, v59, 16, 1
	v_add3_u32 v57, v59, v57, s41
                                        ; implicit-def: $vgpr59
; %bb.35:                               ;   in Loop: Header=BB322_9 Depth=1
	s_andn2_saveexec_b64 s[16:17], s[8:9]
; %bb.36:                               ;   in Loop: Header=BB322_9 Depth=1
	v_or_b32_e32 v57, 0x10000, v59
	v_cmp_eq_u32_sdwa s[8:9], v59, v3 src0_sel:WORD_0 src1_sel:DWORD
	s_nop 1
	v_cndmask_b32_e64 v57, v57, v59, s[8:9]
; %bb.37:                               ;   in Loop: Header=BB322_9 Depth=1
	s_or_b64 exec, exec, s[16:17]
	v_lshrrev_b16_e32 v58, 8, v58
	v_cvt_f32_fp8_sdwa v58, v58 src0_sel:BYTE_0
	s_nop 0
	v_mul_f32_e32 v59, s37, v58
	v_and_b32_e32 v58, 0x7f800000, v59
	v_cmp_ne_u32_e64 s[8:9], s40, v58
                                        ; implicit-def: $vgpr58
	s_and_saveexec_b64 s[16:17], s[8:9]
	s_xor_b64 s[8:9], exec, s[16:17]
; %bb.38:                               ;   in Loop: Header=BB322_9 Depth=1
	v_bfe_u32 v58, v59, 16, 1
	v_add3_u32 v58, v59, v58, s41
                                        ; implicit-def: $vgpr59
; %bb.39:                               ;   in Loop: Header=BB322_9 Depth=1
	s_andn2_saveexec_b64 s[16:17], s[8:9]
; %bb.40:                               ;   in Loop: Header=BB322_9 Depth=1
	v_or_b32_e32 v58, 0x10000, v59
	v_cmp_eq_u32_sdwa s[8:9], v59, v3 src0_sel:WORD_0 src1_sel:DWORD
	s_nop 1
	v_cndmask_b32_e64 v58, v58, v59, s[8:9]
; %bb.41:                               ;   in Loop: Header=BB322_9 Depth=1
	s_or_b64 exec, exec, s[16:17]
	global_load_ushort v60, v[8:9], off offset:512
	s_waitcnt vmcnt(0)
	v_and_b32_sdwa v59, s39, v60 dst_sel:DWORD dst_unused:UNUSED_PAD src0_sel:DWORD src1_sel:BYTE_0
	v_cvt_f32_fp8_sdwa v59, v59 src0_sel:BYTE_0
	s_nop 0
	v_mul_f32_e32 v61, s37, v59
	v_and_b32_e32 v59, 0x7f800000, v61
	v_cmp_ne_u32_e64 s[8:9], s40, v59
                                        ; implicit-def: $vgpr59
	s_and_saveexec_b64 s[16:17], s[8:9]
	s_xor_b64 s[8:9], exec, s[16:17]
; %bb.42:                               ;   in Loop: Header=BB322_9 Depth=1
	v_bfe_u32 v59, v61, 16, 1
	v_add3_u32 v59, v61, v59, s41
                                        ; implicit-def: $vgpr61
; %bb.43:                               ;   in Loop: Header=BB322_9 Depth=1
	s_andn2_saveexec_b64 s[16:17], s[8:9]
; %bb.44:                               ;   in Loop: Header=BB322_9 Depth=1
	v_or_b32_e32 v59, 0x10000, v61
	v_cmp_eq_u32_sdwa s[8:9], v61, v3 src0_sel:WORD_0 src1_sel:DWORD
	s_nop 1
	v_cndmask_b32_e64 v59, v59, v61, s[8:9]
; %bb.45:                               ;   in Loop: Header=BB322_9 Depth=1
	s_or_b64 exec, exec, s[16:17]
	v_lshrrev_b16_e32 v60, 8, v60
	v_cvt_f32_fp8_sdwa v60, v60 src0_sel:BYTE_0
	s_nop 0
	v_mul_f32_e32 v61, s37, v60
	v_and_b32_e32 v60, 0x7f800000, v61
	v_cmp_ne_u32_e64 s[8:9], s40, v60
                                        ; implicit-def: $vgpr60
	s_and_saveexec_b64 s[16:17], s[8:9]
	s_xor_b64 s[8:9], exec, s[16:17]
; %bb.46:                               ;   in Loop: Header=BB322_9 Depth=1
	v_bfe_u32 v60, v61, 16, 1
	v_add3_u32 v60, v61, v60, s41
                                        ; implicit-def: $vgpr61
; %bb.47:                               ;   in Loop: Header=BB322_9 Depth=1
	s_andn2_saveexec_b64 s[16:17], s[8:9]
; %bb.48:                               ;   in Loop: Header=BB322_9 Depth=1
	v_or_b32_e32 v60, 0x10000, v61
	v_cmp_eq_u32_sdwa s[8:9], v61, v3 src0_sel:WORD_0 src1_sel:DWORD
	s_nop 1
	v_cndmask_b32_e64 v60, v60, v61, s[8:9]
; %bb.49:                               ;   in Loop: Header=BB322_9 Depth=1
	s_or_b64 exec, exec, s[16:17]
	global_load_ushort v62, v[8:9], off offset:520
	s_waitcnt vmcnt(0)
	v_and_b32_sdwa v61, s39, v62 dst_sel:DWORD dst_unused:UNUSED_PAD src0_sel:DWORD src1_sel:BYTE_0
	v_cvt_f32_fp8_sdwa v61, v61 src0_sel:BYTE_0
	s_nop 0
	v_mul_f32_e32 v63, s37, v61
	v_and_b32_e32 v61, 0x7f800000, v63
	v_cmp_ne_u32_e64 s[8:9], s40, v61
                                        ; implicit-def: $vgpr61
	s_and_saveexec_b64 s[16:17], s[8:9]
	s_xor_b64 s[8:9], exec, s[16:17]
; %bb.50:                               ;   in Loop: Header=BB322_9 Depth=1
	v_bfe_u32 v61, v63, 16, 1
	v_add3_u32 v61, v63, v61, s41
                                        ; implicit-def: $vgpr63
; %bb.51:                               ;   in Loop: Header=BB322_9 Depth=1
	s_andn2_saveexec_b64 s[16:17], s[8:9]
; %bb.52:                               ;   in Loop: Header=BB322_9 Depth=1
	v_or_b32_e32 v61, 0x10000, v63
	v_cmp_eq_u32_sdwa s[8:9], v63, v3 src0_sel:WORD_0 src1_sel:DWORD
	s_nop 1
	v_cndmask_b32_e64 v61, v61, v63, s[8:9]
; %bb.53:                               ;   in Loop: Header=BB322_9 Depth=1
	s_or_b64 exec, exec, s[16:17]
	v_lshrrev_b16_e32 v62, 8, v62
	v_cvt_f32_fp8_sdwa v62, v62 src0_sel:BYTE_0
	s_nop 0
	v_mul_f32_e32 v63, s37, v62
	v_and_b32_e32 v62, 0x7f800000, v63
	v_cmp_ne_u32_e64 s[8:9], s40, v62
                                        ; implicit-def: $vgpr62
	s_and_saveexec_b64 s[16:17], s[8:9]
	s_xor_b64 s[8:9], exec, s[16:17]
; %bb.54:                               ;   in Loop: Header=BB322_9 Depth=1
	v_bfe_u32 v62, v63, 16, 1
	v_add3_u32 v62, v63, v62, s41
                                        ; implicit-def: $vgpr63
; %bb.55:                               ;   in Loop: Header=BB322_9 Depth=1
	s_andn2_saveexec_b64 s[16:17], s[8:9]
; %bb.56:                               ;   in Loop: Header=BB322_9 Depth=1
	v_or_b32_e32 v62, 0x10000, v63
	v_cmp_eq_u32_sdwa s[8:9], v63, v3 src0_sel:WORD_0 src1_sel:DWORD
	s_nop 1
	v_cndmask_b32_e64 v62, v62, v63, s[8:9]
; %bb.57:                               ;   in Loop: Header=BB322_9 Depth=1
	s_or_b64 exec, exec, s[16:17]
	global_load_ushort v64, v[8:9], off offset:768
	s_waitcnt vmcnt(0)
	v_and_b32_sdwa v63, s39, v64 dst_sel:DWORD dst_unused:UNUSED_PAD src0_sel:DWORD src1_sel:BYTE_0
	v_cvt_f32_fp8_sdwa v63, v63 src0_sel:BYTE_0
	s_nop 0
	v_mul_f32_e32 v65, s37, v63
	v_and_b32_e32 v63, 0x7f800000, v65
	v_cmp_ne_u32_e64 s[8:9], s40, v63
                                        ; implicit-def: $vgpr63
	s_and_saveexec_b64 s[16:17], s[8:9]
	s_xor_b64 s[8:9], exec, s[16:17]
; %bb.58:                               ;   in Loop: Header=BB322_9 Depth=1
	v_bfe_u32 v63, v65, 16, 1
	v_add3_u32 v63, v65, v63, s41
                                        ; implicit-def: $vgpr65
; %bb.59:                               ;   in Loop: Header=BB322_9 Depth=1
	s_andn2_saveexec_b64 s[16:17], s[8:9]
; %bb.60:                               ;   in Loop: Header=BB322_9 Depth=1
	v_or_b32_e32 v63, 0x10000, v65
	v_cmp_eq_u32_sdwa s[8:9], v65, v3 src0_sel:WORD_0 src1_sel:DWORD
	s_nop 1
	v_cndmask_b32_e64 v63, v63, v65, s[8:9]
; %bb.61:                               ;   in Loop: Header=BB322_9 Depth=1
	s_or_b64 exec, exec, s[16:17]
	v_lshrrev_b16_e32 v64, 8, v64
	v_cvt_f32_fp8_sdwa v64, v64 src0_sel:BYTE_0
	s_nop 0
	v_mul_f32_e32 v65, s37, v64
	v_and_b32_e32 v64, 0x7f800000, v65
	v_cmp_ne_u32_e64 s[8:9], s40, v64
                                        ; implicit-def: $vgpr64
	s_and_saveexec_b64 s[16:17], s[8:9]
	s_xor_b64 s[8:9], exec, s[16:17]
; %bb.62:                               ;   in Loop: Header=BB322_9 Depth=1
	v_bfe_u32 v64, v65, 16, 1
	v_add3_u32 v64, v65, v64, s41
                                        ; implicit-def: $vgpr65
; %bb.63:                               ;   in Loop: Header=BB322_9 Depth=1
	s_andn2_saveexec_b64 s[16:17], s[8:9]
; %bb.64:                               ;   in Loop: Header=BB322_9 Depth=1
	v_or_b32_e32 v64, 0x10000, v65
	v_cmp_eq_u32_sdwa s[8:9], v65, v3 src0_sel:WORD_0 src1_sel:DWORD
	s_nop 1
	v_cndmask_b32_e64 v64, v64, v65, s[8:9]
; %bb.65:                               ;   in Loop: Header=BB322_9 Depth=1
	s_or_b64 exec, exec, s[16:17]
	global_load_ushort v66, v[8:9], off offset:776
	s_waitcnt vmcnt(0)
	v_and_b32_sdwa v65, s39, v66 dst_sel:DWORD dst_unused:UNUSED_PAD src0_sel:DWORD src1_sel:BYTE_0
	v_cvt_f32_fp8_sdwa v65, v65 src0_sel:BYTE_0
	s_nop 0
	v_mul_f32_e32 v67, s37, v65
	v_and_b32_e32 v65, 0x7f800000, v67
	v_cmp_ne_u32_e64 s[8:9], s40, v65
                                        ; implicit-def: $vgpr65
	s_and_saveexec_b64 s[16:17], s[8:9]
	s_xor_b64 s[8:9], exec, s[16:17]
; %bb.66:                               ;   in Loop: Header=BB322_9 Depth=1
	v_bfe_u32 v65, v67, 16, 1
	v_add3_u32 v65, v67, v65, s41
                                        ; implicit-def: $vgpr67
; %bb.67:                               ;   in Loop: Header=BB322_9 Depth=1
	s_andn2_saveexec_b64 s[16:17], s[8:9]
; %bb.68:                               ;   in Loop: Header=BB322_9 Depth=1
	v_or_b32_e32 v65, 0x10000, v67
	v_cmp_eq_u32_sdwa s[8:9], v67, v3 src0_sel:WORD_0 src1_sel:DWORD
	s_nop 1
	v_cndmask_b32_e64 v65, v65, v67, s[8:9]
; %bb.69:                               ;   in Loop: Header=BB322_9 Depth=1
	s_or_b64 exec, exec, s[16:17]
	v_lshrrev_b16_e32 v66, 8, v66
	v_cvt_f32_fp8_sdwa v66, v66 src0_sel:BYTE_0
	s_nop 0
	v_mul_f32_e32 v67, s37, v66
	v_and_b32_e32 v66, 0x7f800000, v67
	v_cmp_ne_u32_e64 s[8:9], s40, v66
                                        ; implicit-def: $vgpr66
	s_and_saveexec_b64 s[16:17], s[8:9]
	s_xor_b64 s[8:9], exec, s[16:17]
; %bb.70:                               ;   in Loop: Header=BB322_9 Depth=1
	v_bfe_u32 v66, v67, 16, 1
	v_add3_u32 v66, v67, v66, s41
                                        ; implicit-def: $vgpr67
; %bb.71:                               ;   in Loop: Header=BB322_9 Depth=1
	s_andn2_saveexec_b64 s[16:17], s[8:9]
; %bb.72:                               ;   in Loop: Header=BB322_9 Depth=1
	v_or_b32_e32 v66, 0x10000, v67
	v_cmp_eq_u32_sdwa s[8:9], v67, v3 src0_sel:WORD_0 src1_sel:DWORD
	s_nop 1
	v_cndmask_b32_e64 v66, v66, v67, s[8:9]
; %bb.73:                               ;   in Loop: Header=BB322_9 Depth=1
	s_or_b64 exec, exec, s[16:17]
	global_load_ushort v68, v[8:9], off offset:1024
	s_waitcnt vmcnt(0)
	v_and_b32_sdwa v67, s39, v68 dst_sel:DWORD dst_unused:UNUSED_PAD src0_sel:DWORD src1_sel:BYTE_0
	v_cvt_f32_fp8_sdwa v67, v67 src0_sel:BYTE_0
	s_nop 0
	v_mul_f32_e32 v69, s37, v67
	v_and_b32_e32 v67, 0x7f800000, v69
	v_cmp_ne_u32_e64 s[8:9], s40, v67
                                        ; implicit-def: $vgpr67
	s_and_saveexec_b64 s[16:17], s[8:9]
	s_xor_b64 s[8:9], exec, s[16:17]
; %bb.74:                               ;   in Loop: Header=BB322_9 Depth=1
	v_bfe_u32 v67, v69, 16, 1
	v_add3_u32 v67, v69, v67, s41
                                        ; implicit-def: $vgpr69
; %bb.75:                               ;   in Loop: Header=BB322_9 Depth=1
	s_andn2_saveexec_b64 s[16:17], s[8:9]
; %bb.76:                               ;   in Loop: Header=BB322_9 Depth=1
	v_or_b32_e32 v67, 0x10000, v69
	v_cmp_eq_u32_sdwa s[8:9], v69, v3 src0_sel:WORD_0 src1_sel:DWORD
	s_nop 1
	v_cndmask_b32_e64 v67, v67, v69, s[8:9]
; %bb.77:                               ;   in Loop: Header=BB322_9 Depth=1
	s_or_b64 exec, exec, s[16:17]
	v_lshrrev_b16_e32 v68, 8, v68
	v_cvt_f32_fp8_sdwa v68, v68 src0_sel:BYTE_0
	s_nop 0
	v_mul_f32_e32 v69, s37, v68
	v_and_b32_e32 v68, 0x7f800000, v69
	v_cmp_ne_u32_e64 s[8:9], s40, v68
                                        ; implicit-def: $vgpr68
	s_and_saveexec_b64 s[16:17], s[8:9]
	s_xor_b64 s[8:9], exec, s[16:17]
; %bb.78:                               ;   in Loop: Header=BB322_9 Depth=1
	v_bfe_u32 v68, v69, 16, 1
	v_add3_u32 v68, v69, v68, s41
                                        ; implicit-def: $vgpr69
; %bb.79:                               ;   in Loop: Header=BB322_9 Depth=1
	s_andn2_saveexec_b64 s[16:17], s[8:9]
; %bb.80:                               ;   in Loop: Header=BB322_9 Depth=1
	v_or_b32_e32 v68, 0x10000, v69
	v_cmp_eq_u32_sdwa s[8:9], v69, v3 src0_sel:WORD_0 src1_sel:DWORD
	s_nop 1
	v_cndmask_b32_e64 v68, v68, v69, s[8:9]
; %bb.81:                               ;   in Loop: Header=BB322_9 Depth=1
	s_or_b64 exec, exec, s[16:17]
	global_load_ushort v70, v[8:9], off offset:1032
	s_waitcnt vmcnt(0)
	v_and_b32_sdwa v69, s39, v70 dst_sel:DWORD dst_unused:UNUSED_PAD src0_sel:DWORD src1_sel:BYTE_0
	v_cvt_f32_fp8_sdwa v69, v69 src0_sel:BYTE_0
	s_nop 0
	v_mul_f32_e32 v71, s37, v69
	v_and_b32_e32 v69, 0x7f800000, v71
	v_cmp_ne_u32_e64 s[8:9], s40, v69
                                        ; implicit-def: $vgpr69
	s_and_saveexec_b64 s[16:17], s[8:9]
	s_xor_b64 s[8:9], exec, s[16:17]
; %bb.82:                               ;   in Loop: Header=BB322_9 Depth=1
	v_bfe_u32 v69, v71, 16, 1
	v_add3_u32 v69, v71, v69, s41
                                        ; implicit-def: $vgpr71
; %bb.83:                               ;   in Loop: Header=BB322_9 Depth=1
	s_andn2_saveexec_b64 s[16:17], s[8:9]
; %bb.84:                               ;   in Loop: Header=BB322_9 Depth=1
	v_or_b32_e32 v69, 0x10000, v71
	v_cmp_eq_u32_sdwa s[8:9], v71, v3 src0_sel:WORD_0 src1_sel:DWORD
	s_nop 1
	v_cndmask_b32_e64 v69, v69, v71, s[8:9]
; %bb.85:                               ;   in Loop: Header=BB322_9 Depth=1
	s_or_b64 exec, exec, s[16:17]
	v_lshrrev_b16_e32 v70, 8, v70
	v_cvt_f32_fp8_sdwa v70, v70 src0_sel:BYTE_0
	s_nop 0
	v_mul_f32_e32 v71, s37, v70
	v_and_b32_e32 v70, 0x7f800000, v71
	v_cmp_ne_u32_e64 s[8:9], s40, v70
                                        ; implicit-def: $vgpr70
	s_and_saveexec_b64 s[16:17], s[8:9]
	s_xor_b64 s[8:9], exec, s[16:17]
; %bb.86:                               ;   in Loop: Header=BB322_9 Depth=1
	v_bfe_u32 v70, v71, 16, 1
	v_add3_u32 v70, v71, v70, s41
                                        ; implicit-def: $vgpr71
; %bb.87:                               ;   in Loop: Header=BB322_9 Depth=1
	s_andn2_saveexec_b64 s[16:17], s[8:9]
; %bb.88:                               ;   in Loop: Header=BB322_9 Depth=1
	v_or_b32_e32 v70, 0x10000, v71
	v_cmp_eq_u32_sdwa s[8:9], v71, v3 src0_sel:WORD_0 src1_sel:DWORD
	s_nop 1
	v_cndmask_b32_e64 v70, v70, v71, s[8:9]
; %bb.89:                               ;   in Loop: Header=BB322_9 Depth=1
	s_or_b64 exec, exec, s[16:17]
	global_load_ushort v72, v[8:9], off offset:1280
	s_waitcnt vmcnt(0)
	v_and_b32_sdwa v71, s39, v72 dst_sel:DWORD dst_unused:UNUSED_PAD src0_sel:DWORD src1_sel:BYTE_0
	v_cvt_f32_fp8_sdwa v71, v71 src0_sel:BYTE_0
	s_nop 0
	v_mul_f32_e32 v73, s37, v71
	v_and_b32_e32 v71, 0x7f800000, v73
	v_cmp_ne_u32_e64 s[8:9], s40, v71
                                        ; implicit-def: $vgpr71
	s_and_saveexec_b64 s[16:17], s[8:9]
	s_xor_b64 s[8:9], exec, s[16:17]
; %bb.90:                               ;   in Loop: Header=BB322_9 Depth=1
	v_bfe_u32 v71, v73, 16, 1
	v_add3_u32 v71, v73, v71, s41
                                        ; implicit-def: $vgpr73
; %bb.91:                               ;   in Loop: Header=BB322_9 Depth=1
	s_andn2_saveexec_b64 s[16:17], s[8:9]
; %bb.92:                               ;   in Loop: Header=BB322_9 Depth=1
	v_or_b32_e32 v71, 0x10000, v73
	v_cmp_eq_u32_sdwa s[8:9], v73, v3 src0_sel:WORD_0 src1_sel:DWORD
	s_nop 1
	v_cndmask_b32_e64 v71, v71, v73, s[8:9]
; %bb.93:                               ;   in Loop: Header=BB322_9 Depth=1
	s_or_b64 exec, exec, s[16:17]
	v_lshrrev_b16_e32 v72, 8, v72
	v_cvt_f32_fp8_sdwa v72, v72 src0_sel:BYTE_0
	s_nop 0
	v_mul_f32_e32 v73, s37, v72
	v_and_b32_e32 v72, 0x7f800000, v73
	v_cmp_ne_u32_e64 s[8:9], s40, v72
                                        ; implicit-def: $vgpr72
	s_and_saveexec_b64 s[16:17], s[8:9]
	s_xor_b64 s[8:9], exec, s[16:17]
; %bb.94:                               ;   in Loop: Header=BB322_9 Depth=1
	v_bfe_u32 v72, v73, 16, 1
	v_add3_u32 v72, v73, v72, s41
                                        ; implicit-def: $vgpr73
; %bb.95:                               ;   in Loop: Header=BB322_9 Depth=1
	s_andn2_saveexec_b64 s[16:17], s[8:9]
; %bb.96:                               ;   in Loop: Header=BB322_9 Depth=1
	v_or_b32_e32 v72, 0x10000, v73
	v_cmp_eq_u32_sdwa s[8:9], v73, v3 src0_sel:WORD_0 src1_sel:DWORD
	s_nop 1
	v_cndmask_b32_e64 v72, v72, v73, s[8:9]
; %bb.97:                               ;   in Loop: Header=BB322_9 Depth=1
	s_or_b64 exec, exec, s[16:17]
	global_load_ushort v74, v[8:9], off offset:1288
	s_waitcnt vmcnt(0)
	v_and_b32_sdwa v73, s39, v74 dst_sel:DWORD dst_unused:UNUSED_PAD src0_sel:DWORD src1_sel:BYTE_0
	v_cvt_f32_fp8_sdwa v73, v73 src0_sel:BYTE_0
	s_nop 0
	v_mul_f32_e32 v75, s37, v73
	v_and_b32_e32 v73, 0x7f800000, v75
	v_cmp_ne_u32_e64 s[8:9], s40, v73
                                        ; implicit-def: $vgpr73
	s_and_saveexec_b64 s[16:17], s[8:9]
	s_xor_b64 s[8:9], exec, s[16:17]
; %bb.98:                               ;   in Loop: Header=BB322_9 Depth=1
	v_bfe_u32 v73, v75, 16, 1
	v_add3_u32 v73, v75, v73, s41
                                        ; implicit-def: $vgpr75
; %bb.99:                               ;   in Loop: Header=BB322_9 Depth=1
	s_andn2_saveexec_b64 s[16:17], s[8:9]
; %bb.100:                              ;   in Loop: Header=BB322_9 Depth=1
	v_or_b32_e32 v73, 0x10000, v75
	v_cmp_eq_u32_sdwa s[8:9], v75, v3 src0_sel:WORD_0 src1_sel:DWORD
	s_nop 1
	v_cndmask_b32_e64 v73, v73, v75, s[8:9]
; %bb.101:                              ;   in Loop: Header=BB322_9 Depth=1
	s_or_b64 exec, exec, s[16:17]
	v_lshrrev_b16_e32 v74, 8, v74
	v_cvt_f32_fp8_sdwa v74, v74 src0_sel:BYTE_0
	s_nop 0
	v_mul_f32_e32 v75, s37, v74
	v_and_b32_e32 v74, 0x7f800000, v75
	v_cmp_ne_u32_e64 s[8:9], s40, v74
                                        ; implicit-def: $vgpr74
	s_and_saveexec_b64 s[16:17], s[8:9]
	s_xor_b64 s[8:9], exec, s[16:17]
; %bb.102:                              ;   in Loop: Header=BB322_9 Depth=1
	v_bfe_u32 v74, v75, 16, 1
	v_add3_u32 v74, v75, v74, s41
                                        ; implicit-def: $vgpr75
; %bb.103:                              ;   in Loop: Header=BB322_9 Depth=1
	s_andn2_saveexec_b64 s[16:17], s[8:9]
; %bb.104:                              ;   in Loop: Header=BB322_9 Depth=1
	v_or_b32_e32 v74, 0x10000, v75
	v_cmp_eq_u32_sdwa s[8:9], v75, v3 src0_sel:WORD_0 src1_sel:DWORD
	s_nop 1
	v_cndmask_b32_e64 v74, v74, v75, s[8:9]
; %bb.105:                              ;   in Loop: Header=BB322_9 Depth=1
	s_or_b64 exec, exec, s[16:17]
	global_load_ushort v76, v[8:9], off offset:1536
	s_waitcnt vmcnt(0)
	v_and_b32_sdwa v75, s39, v76 dst_sel:DWORD dst_unused:UNUSED_PAD src0_sel:DWORD src1_sel:BYTE_0
	v_cvt_f32_fp8_sdwa v75, v75 src0_sel:BYTE_0
	s_nop 0
	v_mul_f32_e32 v77, s37, v75
	v_and_b32_e32 v75, 0x7f800000, v77
	v_cmp_ne_u32_e64 s[8:9], s40, v75
                                        ; implicit-def: $vgpr75
	s_and_saveexec_b64 s[16:17], s[8:9]
	s_xor_b64 s[8:9], exec, s[16:17]
; %bb.106:                              ;   in Loop: Header=BB322_9 Depth=1
	v_bfe_u32 v75, v77, 16, 1
	v_add3_u32 v75, v77, v75, s41
                                        ; implicit-def: $vgpr77
; %bb.107:                              ;   in Loop: Header=BB322_9 Depth=1
	s_andn2_saveexec_b64 s[16:17], s[8:9]
; %bb.108:                              ;   in Loop: Header=BB322_9 Depth=1
	v_or_b32_e32 v75, 0x10000, v77
	v_cmp_eq_u32_sdwa s[8:9], v77, v3 src0_sel:WORD_0 src1_sel:DWORD
	s_nop 1
	v_cndmask_b32_e64 v75, v75, v77, s[8:9]
; %bb.109:                              ;   in Loop: Header=BB322_9 Depth=1
	s_or_b64 exec, exec, s[16:17]
	v_lshrrev_b16_e32 v76, 8, v76
	v_cvt_f32_fp8_sdwa v76, v76 src0_sel:BYTE_0
	s_nop 0
	v_mul_f32_e32 v77, s37, v76
	v_and_b32_e32 v76, 0x7f800000, v77
	v_cmp_ne_u32_e64 s[8:9], s40, v76
                                        ; implicit-def: $vgpr76
	s_and_saveexec_b64 s[16:17], s[8:9]
	s_xor_b64 s[8:9], exec, s[16:17]
; %bb.110:                              ;   in Loop: Header=BB322_9 Depth=1
	v_bfe_u32 v76, v77, 16, 1
	v_add3_u32 v76, v77, v76, s41
                                        ; implicit-def: $vgpr77
; %bb.111:                              ;   in Loop: Header=BB322_9 Depth=1
	s_andn2_saveexec_b64 s[16:17], s[8:9]
; %bb.112:                              ;   in Loop: Header=BB322_9 Depth=1
	v_or_b32_e32 v76, 0x10000, v77
	v_cmp_eq_u32_sdwa s[8:9], v77, v3 src0_sel:WORD_0 src1_sel:DWORD
	s_nop 1
	v_cndmask_b32_e64 v76, v76, v77, s[8:9]
; %bb.113:                              ;   in Loop: Header=BB322_9 Depth=1
	s_or_b64 exec, exec, s[16:17]
	global_load_ushort v78, v[8:9], off offset:1544
	s_waitcnt vmcnt(0)
	v_and_b32_sdwa v77, s39, v78 dst_sel:DWORD dst_unused:UNUSED_PAD src0_sel:DWORD src1_sel:BYTE_0
	v_cvt_f32_fp8_sdwa v77, v77 src0_sel:BYTE_0
	s_nop 0
	v_mul_f32_e32 v79, s37, v77
	v_and_b32_e32 v77, 0x7f800000, v79
	v_cmp_ne_u32_e64 s[8:9], s40, v77
                                        ; implicit-def: $vgpr77
	s_and_saveexec_b64 s[16:17], s[8:9]
	s_xor_b64 s[8:9], exec, s[16:17]
; %bb.114:                              ;   in Loop: Header=BB322_9 Depth=1
	v_bfe_u32 v77, v79, 16, 1
	v_add3_u32 v77, v79, v77, s41
                                        ; implicit-def: $vgpr79
; %bb.115:                              ;   in Loop: Header=BB322_9 Depth=1
	s_andn2_saveexec_b64 s[16:17], s[8:9]
; %bb.116:                              ;   in Loop: Header=BB322_9 Depth=1
	v_or_b32_e32 v77, 0x10000, v79
	v_cmp_eq_u32_sdwa s[8:9], v79, v3 src0_sel:WORD_0 src1_sel:DWORD
	s_nop 1
	v_cndmask_b32_e64 v77, v77, v79, s[8:9]
; %bb.117:                              ;   in Loop: Header=BB322_9 Depth=1
	s_or_b64 exec, exec, s[16:17]
	v_lshrrev_b16_e32 v78, 8, v78
	v_cvt_f32_fp8_sdwa v78, v78 src0_sel:BYTE_0
	s_nop 0
	v_mul_f32_e32 v79, s37, v78
	v_and_b32_e32 v78, 0x7f800000, v79
	v_cmp_ne_u32_e64 s[8:9], s40, v78
                                        ; implicit-def: $vgpr78
	s_and_saveexec_b64 s[16:17], s[8:9]
	s_xor_b64 s[8:9], exec, s[16:17]
; %bb.118:                              ;   in Loop: Header=BB322_9 Depth=1
	v_bfe_u32 v78, v79, 16, 1
	v_add3_u32 v78, v79, v78, s41
                                        ; implicit-def: $vgpr79
; %bb.119:                              ;   in Loop: Header=BB322_9 Depth=1
	s_andn2_saveexec_b64 s[16:17], s[8:9]
; %bb.120:                              ;   in Loop: Header=BB322_9 Depth=1
	v_or_b32_e32 v78, 0x10000, v79
	v_cmp_eq_u32_sdwa s[8:9], v79, v3 src0_sel:WORD_0 src1_sel:DWORD
	s_nop 1
	v_cndmask_b32_e64 v78, v78, v79, s[8:9]
; %bb.121:                              ;   in Loop: Header=BB322_9 Depth=1
	s_or_b64 exec, exec, s[16:17]
	global_load_ushort v80, v[8:9], off offset:1792
	s_waitcnt vmcnt(0)
	v_and_b32_sdwa v79, s39, v80 dst_sel:DWORD dst_unused:UNUSED_PAD src0_sel:DWORD src1_sel:BYTE_0
	v_cvt_f32_fp8_sdwa v79, v79 src0_sel:BYTE_0
	s_nop 0
	v_mul_f32_e32 v81, s37, v79
	v_and_b32_e32 v79, 0x7f800000, v81
	v_cmp_ne_u32_e64 s[8:9], s40, v79
                                        ; implicit-def: $vgpr79
	s_and_saveexec_b64 s[16:17], s[8:9]
	s_xor_b64 s[8:9], exec, s[16:17]
; %bb.122:                              ;   in Loop: Header=BB322_9 Depth=1
	v_bfe_u32 v79, v81, 16, 1
	v_add3_u32 v79, v81, v79, s41
                                        ; implicit-def: $vgpr81
; %bb.123:                              ;   in Loop: Header=BB322_9 Depth=1
	s_andn2_saveexec_b64 s[16:17], s[8:9]
; %bb.124:                              ;   in Loop: Header=BB322_9 Depth=1
	v_or_b32_e32 v79, 0x10000, v81
	v_cmp_eq_u32_sdwa s[8:9], v81, v3 src0_sel:WORD_0 src1_sel:DWORD
	s_nop 1
	v_cndmask_b32_e64 v79, v79, v81, s[8:9]
; %bb.125:                              ;   in Loop: Header=BB322_9 Depth=1
	s_or_b64 exec, exec, s[16:17]
	v_lshrrev_b16_e32 v80, 8, v80
	v_cvt_f32_fp8_sdwa v80, v80 src0_sel:BYTE_0
	s_nop 0
	v_mul_f32_e32 v81, s37, v80
	v_and_b32_e32 v80, 0x7f800000, v81
	v_cmp_ne_u32_e64 s[8:9], s40, v80
                                        ; implicit-def: $vgpr80
	s_and_saveexec_b64 s[16:17], s[8:9]
	s_xor_b64 s[8:9], exec, s[16:17]
; %bb.126:                              ;   in Loop: Header=BB322_9 Depth=1
	v_bfe_u32 v80, v81, 16, 1
	v_add3_u32 v80, v81, v80, s41
                                        ; implicit-def: $vgpr81
; %bb.127:                              ;   in Loop: Header=BB322_9 Depth=1
	s_andn2_saveexec_b64 s[16:17], s[8:9]
; %bb.128:                              ;   in Loop: Header=BB322_9 Depth=1
	v_or_b32_e32 v80, 0x10000, v81
	v_cmp_eq_u32_sdwa s[8:9], v81, v3 src0_sel:WORD_0 src1_sel:DWORD
	s_nop 1
	v_cndmask_b32_e64 v80, v80, v81, s[8:9]
; %bb.129:                              ;   in Loop: Header=BB322_9 Depth=1
	s_or_b64 exec, exec, s[16:17]
	global_load_ushort v9, v[8:9], off offset:1800
	s_waitcnt vmcnt(0)
	v_and_b32_sdwa v8, s39, v9 dst_sel:DWORD dst_unused:UNUSED_PAD src0_sel:DWORD src1_sel:BYTE_0
	v_cvt_f32_fp8_sdwa v8, v8 src0_sel:BYTE_0
	s_nop 0
	v_mul_f32_e32 v81, s37, v8
	v_and_b32_e32 v8, 0x7f800000, v81
	v_cmp_ne_u32_e64 s[8:9], s40, v8
                                        ; implicit-def: $vgpr8
	s_and_saveexec_b64 s[16:17], s[8:9]
	s_xor_b64 s[8:9], exec, s[16:17]
; %bb.130:                              ;   in Loop: Header=BB322_9 Depth=1
	v_bfe_u32 v8, v81, 16, 1
	v_add3_u32 v8, v81, v8, s41
                                        ; implicit-def: $vgpr81
; %bb.131:                              ;   in Loop: Header=BB322_9 Depth=1
	s_andn2_saveexec_b64 s[16:17], s[8:9]
; %bb.132:                              ;   in Loop: Header=BB322_9 Depth=1
	v_or_b32_e32 v8, 0x10000, v81
	v_cmp_eq_u32_sdwa s[8:9], v81, v3 src0_sel:WORD_0 src1_sel:DWORD
	s_nop 1
	v_cndmask_b32_e64 v8, v8, v81, s[8:9]
; %bb.133:                              ;   in Loop: Header=BB322_9 Depth=1
	s_or_b64 exec, exec, s[16:17]
	v_lshrrev_b16_e32 v9, 8, v9
	v_cvt_f32_fp8_sdwa v9, v9 src0_sel:BYTE_0
	s_nop 0
	v_mul_f32_e32 v81, s37, v9
	v_and_b32_e32 v9, 0x7f800000, v81
	v_cmp_ne_u32_e64 s[8:9], s40, v9
                                        ; implicit-def: $vgpr9
	s_and_saveexec_b64 s[16:17], s[8:9]
	s_xor_b64 s[8:9], exec, s[16:17]
; %bb.134:                              ;   in Loop: Header=BB322_9 Depth=1
	v_bfe_u32 v9, v81, 16, 1
	v_add3_u32 v9, v81, v9, s41
                                        ; implicit-def: $vgpr81
; %bb.135:                              ;   in Loop: Header=BB322_9 Depth=1
	s_andn2_saveexec_b64 s[16:17], s[8:9]
; %bb.136:                              ;   in Loop: Header=BB322_9 Depth=1
	v_or_b32_e32 v9, 0x10000, v81
	v_cmp_eq_u32_sdwa s[8:9], v81, v3 src0_sel:WORD_0 src1_sel:DWORD
	s_nop 1
	v_cndmask_b32_e64 v9, v9, v81, s[8:9]
; %bb.137:                              ;   in Loop: Header=BB322_9 Depth=1
	s_or_b64 exec, exec, s[16:17]
	v_and_b32_e32 v53, 0xffff0000, v53
	v_and_b32_e32 v54, 0xffff0000, v54
	;; [unrolled: 1-line block ×3, first 2 shown]
	v_mul_f32_e32 v53, v14, v53
	v_and_b32_e32 v52, 0xffff0000, v52
	v_fmac_f32_e32 v53, v12, v51
	v_mul_f32_e32 v51, v15, v54
	v_and_b32_e32 v56, 0xffff0000, v56
	v_and_b32_e32 v55, 0xffff0000, v55
	v_fmac_f32_e32 v51, v13, v52
	v_and_b32_e32 v58, 0xffff0000, v58
	v_and_b32_e32 v57, 0xffff0000, v57
	v_fmac_f32_e32 v53, v16, v55
	v_fmac_f32_e32 v51, v17, v56
	v_and_b32_e32 v60, 0xffff0000, v60
	v_and_b32_e32 v59, 0xffff0000, v59
	v_fmac_f32_e32 v53, v19, v57
	;; [unrolled: 4-line block ×13, first 2 shown]
	v_fmac_f32_e32 v51, v42, v80
	v_fmac_f32_e32 v53, v43, v8
	;; [unrolled: 1-line block ×3, first 2 shown]
	v_add_f32_e32 v8, v53, v51
	ds_bpermute_b32 v9, v46, v8
	s_waitcnt lgkmcnt(0)
	v_add_f32_e32 v8, v8, v9
	ds_bpermute_b32 v9, v47, v8
	s_and_saveexec_b64 s[16:17], vcc
	s_cbranch_execz .LBB322_8
; %bb.138:                              ;   in Loop: Header=BB322_9 Depth=1
	v_add_u32_e32 v51, s38, v48
	v_cvt_f32_i32_e32 v51, v51
	s_waitcnt lgkmcnt(0)
	v_add_f32_e32 v8, v8, v9
	v_cmp_gt_i32_e64 s[8:9], s21, v48
	v_max_f32_e32 v9, v45, v45
	v_mul_f32_e32 v51, s10, v51
	v_cndmask_b32_e64 v51, 0, v51, s[0:1]
	v_fmac_f32_e32 v51, s11, v8
	v_cndmask_b32_e64 v8, 0, v51, s[8:9]
	ds_write_b32 v49, v8
	v_max_f32_e32 v8, v9, v51
	v_cndmask_b32_e64 v45, v45, v8, s[8:9]
	s_branch .LBB322_8
.LBB322_139:
	s_or_b64 exec, exec, s[14:15]
.LBB322_140:
	s_or_b64 exec, exec, s[34:35]
	v_xor_b32_e32 v2, 32, v10
	v_cmp_lt_i32_e32 vcc, v2, v11
	v_xor_b32_e32 v5, 16, v10
	v_max_f32_e32 v4, v45, v45
	v_cndmask_b32_e32 v2, v10, v2, vcc
	v_lshlrev_b32_e32 v2, 2, v2
	ds_bpermute_b32 v3, v2, v45
	v_cmp_lt_i32_e32 vcc, v5, v11
	v_xor_b32_e32 v6, 8, v10
	v_xor_b32_e32 v7, 4, v10
	v_and_b32_e32 v20, 63, v0
	s_waitcnt lgkmcnt(0)
	v_max_f32_e32 v3, v3, v3
	v_max_f32_e32 v4, v4, v3
	v_cndmask_b32_e32 v3, v10, v5, vcc
	v_lshlrev_b32_e32 v3, 2, v3
	ds_bpermute_b32 v5, v3, v4
	v_cmp_lt_i32_e32 vcc, v6, v11
	s_waitcnt lgkmcnt(0)
	v_max_f32_e32 v5, v5, v5
	v_max_f32_e32 v4, v4, v5
	v_cndmask_b32_e32 v5, v10, v6, vcc
	v_lshlrev_b32_e32 v6, 2, v5
	ds_bpermute_b32 v5, v6, v4
	v_cmp_lt_i32_e32 vcc, v7, v11
	s_waitcnt lgkmcnt(0)
	v_max_f32_e32 v5, v5, v5
	v_max_f32_e32 v5, v4, v5
	v_cndmask_b32_e32 v4, v10, v7, vcc
	v_lshlrev_b32_e32 v7, 2, v4
	ds_bpermute_b32 v8, v7, v5
	v_cmp_eq_u32_e32 vcc, 0, v20
	v_lshlrev_b32_e32 v4, 2, v1
	s_and_saveexec_b64 s[0:1], vcc
	s_cbranch_execz .LBB322_142
; %bb.141:
	s_waitcnt lgkmcnt(0)
	v_max_f32_e32 v8, v8, v8
	v_max_f32_e32 v5, v5, v5
	;; [unrolled: 1-line block ×3, first 2 shown]
	ds_write_b32 v4, v5 offset:256
.LBB322_142:
	s_or_b64 exec, exec, s[0:1]
	v_cmp_gt_u32_e64 s[0:1], 2, v20
	s_waitcnt lgkmcnt(0)
	v_mov_b32_e32 v8, 0xff7fffff
	v_lshlrev_b32_e32 v5, 2, v20
	s_barrier
	s_and_saveexec_b64 s[8:9], s[0:1]
	s_cbranch_execz .LBB322_144
; %bb.143:
	ds_read_b32 v8, v5 offset:256
.LBB322_144:
	s_or_b64 exec, exec, s[8:9]
	v_xor_b32_e32 v9, 1, v10
	v_cmp_lt_i32_e64 s[8:9], v9, v11
	v_lshlrev_b32_e32 v12, 2, v10
	s_nop 0
	v_cndmask_b32_e64 v9, v10, v9, s[8:9]
	v_lshlrev_b32_e32 v21, 2, v9
	s_waitcnt lgkmcnt(0)
	ds_bpermute_b32 v9, v21, v8
	v_max_f32_e32 v8, v8, v8
	s_lshl_b32 s8, s23, 4
	s_min_i32 s34, s8, s21
	v_cmp_gt_i32_e64 s[8:9], s34, v0
	s_waitcnt lgkmcnt(0)
	v_max_f32_e32 v9, v9, v9
	v_max_f32_e32 v9, v8, v9
	v_and_b32_e32 v8, 0xffffff00, v12
	ds_bpermute_b32 v12, v8, v9
	v_mov_b32_e32 v9, 0
	s_and_saveexec_b64 s[14:15], s[8:9]
	s_cbranch_execz .LBB322_148
; %bb.145:
	v_mov_b32_e32 v9, 0x110
	v_lshl_add_u32 v13, v0, 2, v9
	s_mov_b64 s[16:17], 0
	v_mov_b32_e32 v9, 0
	v_mov_b32_e32 v14, v0
.LBB322_146:                            ; =>This Inner Loop Header: Depth=1
	ds_read_b32 v15, v13
	v_add_u32_e32 v14, 0x80, v14
	v_cmp_le_i32_e64 s[10:11], s34, v14
	s_or_b64 s[16:17], s[10:11], s[16:17]
	s_waitcnt lgkmcnt(0)
	v_sub_f32_e32 v15, v15, v12
	v_mul_f32_e32 v15, 0x3fb8aa3b, v15
	v_exp_f32_e32 v15, v15
	ds_write_b32 v13, v15
	v_add_f32_e32 v9, v9, v15
	v_add_u32_e32 v13, 0x200, v13
	s_andn2_b64 exec, exec, s[16:17]
	s_cbranch_execnz .LBB322_146
; %bb.147:
	s_or_b64 exec, exec, s[16:17]
.LBB322_148:
	s_or_b64 exec, exec, s[14:15]
	ds_bpermute_b32 v2, v2, v9
	s_waitcnt lgkmcnt(0)
	v_add_f32_e32 v2, v9, v2
	ds_bpermute_b32 v3, v3, v2
	s_waitcnt lgkmcnt(0)
	v_add_f32_e32 v2, v2, v3
	ds_bpermute_b32 v3, v6, v2
	v_xor_b32_e32 v6, 2, v10
	v_cmp_lt_i32_e64 s[10:11], v6, v11
	s_waitcnt lgkmcnt(0)
	v_add_f32_e32 v2, v2, v3
	ds_bpermute_b32 v3, v7, v2
	v_cndmask_b32_e64 v6, v10, v6, s[10:11]
	s_waitcnt lgkmcnt(0)
	v_add_f32_e32 v2, v2, v3
	v_lshlrev_b32_e32 v3, 2, v6
	ds_bpermute_b32 v3, v3, v2
	s_waitcnt lgkmcnt(0)
	v_add_f32_e32 v2, v2, v3
	ds_bpermute_b32 v3, v21, v2
	s_waitcnt lgkmcnt(0)
	v_add_f32_e32 v2, v2, v3
	s_and_saveexec_b64 s[10:11], vcc
	s_cbranch_execz .LBB322_150
; %bb.149:
	ds_write_b32 v4, v2 offset:264
.LBB322_150:
	s_or_b64 exec, exec, s[10:11]
	s_waitcnt lgkmcnt(0)
	s_barrier
	s_and_saveexec_b64 s[10:11], s[0:1]
	s_cbranch_execz .LBB322_152
; %bb.151:
	ds_read_b32 v2, v5 offset:264
.LBB322_152:
	s_or_b64 exec, exec, s[10:11]
	s_waitcnt lgkmcnt(0)
	ds_bpermute_b32 v3, v21, v2
	s_waitcnt lgkmcnt(0)
	v_add_f32_e32 v2, v2, v3
	ds_bpermute_b32 v2, v8, v2
	s_and_saveexec_b64 s[0:1], s[8:9]
	s_cbranch_execz .LBB322_165
; %bb.153:
	s_waitcnt lgkmcnt(0)
	v_add_f32_e32 v2, 0x358637bd, v2
	v_div_scale_f32 v3, s[8:9], v2, v2, 1.0
	v_rcp_f32_e32 v4, v3
	v_div_scale_f32 v5, vcc, 1.0, v2, 1.0
	s_movk_i32 s8, 0x7f
	v_fma_f32 v6, -v3, v4, 1.0
	v_fmac_f32_e32 v4, v6, v4
	v_mul_f32_e32 v6, v5, v4
	v_fma_f32 v7, -v3, v6, v5
	v_fmac_f32_e32 v6, v7, v4
	v_fma_f32 v3, -v3, v6, v5
	v_div_fmas_f32 v3, v3, v4, v6
	v_xad_u32 v4, v0, -1, s34
	v_div_fixup_f32 v2, v3, v2, 1.0
	v_cmp_lt_u32_e32 vcc, s8, v4
	s_mov_b64 s[10:11], -1
	v_mov_b32_e32 v3, v0
	s_and_saveexec_b64 s[8:9], vcc
	s_cbranch_execz .LBB322_162
; %bb.154:
	v_lshrrev_b32_e32 v4, 7, v4
	v_add_u32_e32 v6, -1, v4
	v_lshrrev_b32_e32 v5, 1, v6
	v_mov_b32_e32 v3, v2
	v_add_u32_e32 v5, 1, v5
	v_cmp_lt_u32_e32 vcc, 13, v6
	v_mov_b32_e32 v8, 0
	s_and_saveexec_b64 s[10:11], vcc
	s_cbranch_execz .LBB322_158
; %bb.155:
	v_mov_b32_e32 v7, 0x110
	v_and_b32_e32 v6, -8, v5
	v_lshl_add_u32 v7, v0, 2, v7
	s_mov_b32 s16, 0
	s_mov_b64 s[14:15], 0
.LBB322_156:                            ; =>This Inner Loop Header: Depth=1
	ds_read2st64_b32 v[8:9], v7 offset1:2
	ds_read2st64_b32 v[10:11], v7 offset0:4 offset1:6
	ds_read2st64_b32 v[12:13], v7 offset0:8 offset1:10
	;; [unrolled: 1-line block ×3, first 2 shown]
	v_add_u32_e32 v6, -8, v6
	s_waitcnt lgkmcnt(3)
	v_pk_mul_f32 v[8:9], v[2:3], v[8:9]
	s_waitcnt lgkmcnt(2)
	v_pk_mul_f32 v[10:11], v[2:3], v[10:11]
	ds_write2st64_b32 v7, v8, v9 offset1:2
	ds_write2st64_b32 v7, v10, v11 offset0:4 offset1:6
	ds_read2st64_b32 v[10:11], v7 offset0:16 offset1:18
	s_waitcnt lgkmcnt(4)
	v_pk_mul_f32 v[8:9], v[2:3], v[12:13]
	ds_write2st64_b32 v7, v8, v9 offset0:8 offset1:10
	s_waitcnt lgkmcnt(4)
	v_pk_mul_f32 v[8:9], v[2:3], v[14:15]
	ds_write2st64_b32 v7, v8, v9 offset0:12 offset1:14
	ds_read2st64_b32 v[8:9], v7 offset0:20 offset1:22
	s_waitcnt lgkmcnt(3)
	v_pk_mul_f32 v[10:11], v[2:3], v[10:11]
	ds_read2st64_b32 v[12:13], v7 offset0:24 offset1:26
	ds_write2st64_b32 v7, v10, v11 offset0:16 offset1:18
	ds_read2st64_b32 v[10:11], v7 offset0:28 offset1:30
	s_waitcnt lgkmcnt(3)
	v_pk_mul_f32 v[8:9], v[2:3], v[8:9]
	ds_write2st64_b32 v7, v8, v9 offset0:20 offset1:22
	s_waitcnt lgkmcnt(3)
	v_pk_mul_f32 v[8:9], v[2:3], v[12:13]
	ds_write2st64_b32 v7, v8, v9 offset0:24 offset1:26
	s_waitcnt lgkmcnt(2)
	v_pk_mul_f32 v[8:9], v[2:3], v[10:11]
	s_add_i32 s16, s16, 16
	v_cmp_eq_u32_e32 vcc, 0, v6
	ds_write2st64_b32 v7, v8, v9 offset0:28 offset1:30
	v_add_u32_e32 v7, 0x2000, v7
	s_or_b64 s[14:15], vcc, s[14:15]
	v_mov_b32_e32 v8, s16
	s_andn2_b64 exec, exec, s[14:15]
	s_cbranch_execnz .LBB322_156
; %bb.157:
	s_or_b64 exec, exec, s[14:15]
.LBB322_158:
	s_or_b64 exec, exec, s[10:11]
	v_and_b32_e32 v5, 7, v5
	v_cmp_ne_u32_e32 vcc, 0, v5
	s_and_saveexec_b64 s[10:11], vcc
	s_cbranch_execz .LBB322_161
; %bb.159:
	v_lshlrev_b32_e32 v6, 9, v8
	v_lshlrev_b32_e32 v7, 2, v0
	s_movk_i32 s14, 0x110
	v_add3_u32 v6, v6, v7, s14
	s_mov_b64 s[14:15], 0
.LBB322_160:                            ; =>This Inner Loop Header: Depth=1
	ds_read2st64_b32 v[8:9], v6 offset1:2
	v_add_u32_e32 v5, -1, v5
	v_cmp_eq_u32_e32 vcc, 0, v5
	s_or_b64 s[14:15], vcc, s[14:15]
	s_waitcnt lgkmcnt(0)
	v_pk_mul_f32 v[8:9], v[2:3], v[8:9]
	ds_write2st64_b32 v6, v8, v9 offset1:2
	v_add_u32_e32 v6, 0x400, v6
	s_andn2_b64 exec, exec, s[14:15]
	s_cbranch_execnz .LBB322_160
.LBB322_161:
	s_or_b64 exec, exec, s[10:11]
	v_add_u32_e32 v4, 1, v4
	v_and_b32_e32 v5, 0x3fffffe, v4
	v_cmp_ne_u32_e32 vcc, v4, v5
	v_lshl_add_u32 v3, v5, 7, v0
	s_orn2_b64 s[10:11], vcc, exec
.LBB322_162:
	s_or_b64 exec, exec, s[8:9]
	s_and_b64 exec, exec, s[10:11]
	s_cbranch_execz .LBB322_165
; %bb.163:
	v_mov_b32_e32 v4, 0x110
	v_lshl_add_u32 v4, v3, 2, v4
	s_mov_b64 s[8:9], 0
.LBB322_164:                            ; =>This Inner Loop Header: Depth=1
	ds_read_b32 v5, v4
	v_add_u32_e32 v3, 0x80, v3
	v_cmp_le_i32_e32 vcc, s34, v3
	s_or_b64 s[8:9], vcc, s[8:9]
	s_waitcnt lgkmcnt(0)
	v_mul_f32_e32 v5, v2, v5
	ds_write_b32 v4, v5
	v_add_u32_e32 v4, 0x200, v4
	s_andn2_b64 exec, exec, s[8:9]
	s_cbranch_execnz .LBB322_164
.LBB322_165:
	s_or_b64 exec, exec, s[0:1]
	v_mov_b32_e32 v11, 0
	v_and_b32_e32 v22, 1, v0
	v_mov_b32_e32 v10, 0
	v_mov_b32_e32 v13, 0
	;; [unrolled: 1-line block ×3, first 2 shown]
	s_waitcnt lgkmcnt(0)
	s_barrier
	s_and_saveexec_b64 s[8:9], s[2:3]
	s_cbranch_execz .LBB322_465
; %bb.166:
	s_ashr_i32 s1, s33, 31
	v_lshlrev_b32_e32 v2, 3, v0
	s_add_u32 s0, s30, s33
	s_addc_u32 s1, s31, s1
	s_load_dword s14, s[18:19], 0x0
	v_and_b32_e32 v14, 0x1f8, v2
	v_mov_b32_e32 v15, 0
	v_and_b32_e32 v3, 8, v2
	s_add_i32 s15, s23, -1
	v_lshl_add_u64 v[16:17], s[0:1], 0, v[14:15]
	v_lshlrev_b32_e32 v2, 4, v1
	s_lshl_b64 s[0:1], s[28:29], 2
	v_or3_b32 v23, v2, v3, 7
	v_lshlrev_b32_e32 v2, 5, v22
	s_add_u32 s0, s26, s0
	v_lshl_or_b32 v2, v1, 6, v2
	v_and_b32_e32 v14, 60, v18
	s_addc_u32 s1, s27, s1
	v_add_u32_e32 v24, 0x110, v2
	v_lshl_add_u64 v[18:19], s[0:1], 0, v[14:15]
	s_mov_b64 s[2:3], 0
	s_mov_b32 s16, 0x7f800000
	s_movk_i32 s17, 0x7fff
	v_mov_b32_e32 v12, 0
	v_mov_b32_e32 v13, 0
	;; [unrolled: 1-line block ×4, first 2 shown]
	s_branch .LBB322_168
.LBB322_167:                            ;   in Loop: Header=BB322_168 Depth=1
	s_or_b64 exec, exec, s[0:1]
	v_and_b32_e32 v39, 0xffff0000, v9
	v_and_b32_e32 v38, 0xffff0000, v7
	;; [unrolled: 1-line block ×8, first 2 shown]
	v_pk_add_f32 v[6:7], v[6:7], v[38:39]
	v_pk_add_f32 v[8:9], v[36:37], v[34:35]
	v_add_f32_e32 v6, v6, v7
	v_add_f32_e32 v6, v6, v8
	v_add_f32_e32 v6, v6, v9
	v_and_b32_e32 v35, 0xffff0000, v46
	v_and_b32_e32 v34, 0xffff0000, v44
	v_and_b32_e32 v37, 0xffff0000, v45
	v_and_b32_e32 v36, 0xffff0000, v43
	v_add_f32_e32 v12, v12, v6
	v_and_b32_e32 v7, 0xffff0000, v50
	v_and_b32_e32 v6, 0xffff0000, v48
	v_and_b32_e32 v9, 0xffff0000, v49
	v_and_b32_e32 v8, 0xffff0000, v47
	v_pk_add_f32 v[34:35], v[36:37], v[34:35]
	v_pk_add_f32 v[6:7], v[8:9], v[6:7]
	v_add_f32_e32 v8, v34, v35
	v_add_f32_e32 v6, v8, v6
	v_add_f32_e32 v6, v6, v7
	v_and_b32_e32 v35, 0xffff0000, v52
	v_and_b32_e32 v34, 0xffff0000, v5
	v_and_b32_e32 v5, 0xffff0000, v51
	v_and_b32_e32 v4, 0xffff0000, v4
	v_add_f32_e32 v13, v13, v6
	v_and_b32_e32 v7, 0xffff0000, v56
	v_and_b32_e32 v6, 0xffff0000, v54
	v_and_b32_e32 v9, 0xffff0000, v55
	v_and_b32_e32 v8, 0xffff0000, v53
	;; [unrolled: 14-line block ×3, first 2 shown]
	v_pk_add_f32 v[2:3], v[2:3], v[8:9]
	v_pk_add_f32 v[4:5], v[6:7], v[4:5]
	v_add_f32_e32 v2, v2, v3
	v_add_f32_e32 v2, v2, v4
	v_add_u32_e32 v1, 2, v1
	v_add_f32_e32 v2, v2, v5
	v_cmp_le_i32_e32 vcc, s23, v1
	v_add_f32_e32 v11, v11, v2
	v_add_u32_e32 v23, 32, v23
	v_add_u32_e32 v24, 0x80, v24
	s_or_b64 s[2:3], vcc, s[2:3]
	v_lshl_add_u64 v[18:19], v[18:19], 0, 8
	s_andn2_b64 exec, exec, s[2:3]
	s_cbranch_execz .LBB322_464
.LBB322_168:                            ; =>This Inner Loop Header: Depth=1
	global_load_dword v27, v[18:19], off
	ds_read2_b64 v[6:9], v24 offset1:1
	ds_read2_b64 v[2:5], v24 offset0:2 offset1:3
                                        ; implicit-def: $vgpr35
	s_waitcnt lgkmcnt(0)
	v_and_b32_e32 v14, 0x7f800000, v6
	v_cmp_ne_u32_e32 vcc, s16, v14
	s_and_saveexec_b64 s[0:1], vcc
	s_xor_b64 s[0:1], exec, s[0:1]
; %bb.169:                              ;   in Loop: Header=BB322_168 Depth=1
	v_bfe_u32 v14, v6, 16, 1
	v_add3_u32 v35, v6, v14, s17
; %bb.170:                              ;   in Loop: Header=BB322_168 Depth=1
	s_andn2_saveexec_b64 s[0:1], s[0:1]
; %bb.171:                              ;   in Loop: Header=BB322_168 Depth=1
	v_or_b32_e32 v14, 0x10000, v6
	v_cmp_eq_u32_sdwa vcc, v6, v15 src0_sel:WORD_0 src1_sel:DWORD
	s_nop 1
	v_cndmask_b32_e32 v35, v14, v6, vcc
; %bb.172:                              ;   in Loop: Header=BB322_168 Depth=1
	s_or_b64 exec, exec, s[0:1]
	v_and_b32_e32 v6, 0x7f800000, v7
	v_cmp_ne_u32_e32 vcc, s16, v6
                                        ; implicit-def: $vgpr36
	s_and_saveexec_b64 s[0:1], vcc
	s_xor_b64 s[0:1], exec, s[0:1]
; %bb.173:                              ;   in Loop: Header=BB322_168 Depth=1
	v_bfe_u32 v6, v7, 16, 1
	v_add3_u32 v36, v7, v6, s17
; %bb.174:                              ;   in Loop: Header=BB322_168 Depth=1
	s_andn2_saveexec_b64 s[0:1], s[0:1]
; %bb.175:                              ;   in Loop: Header=BB322_168 Depth=1
	v_or_b32_e32 v6, 0x10000, v7
	v_cmp_eq_u32_sdwa vcc, v7, v15 src0_sel:WORD_0 src1_sel:DWORD
	s_nop 1
	v_cndmask_b32_e32 v36, v6, v7, vcc
; %bb.176:                              ;   in Loop: Header=BB322_168 Depth=1
	s_or_b64 exec, exec, s[0:1]
	v_and_b32_e32 v6, 0x7f800000, v8
	v_cmp_ne_u32_e32 vcc, s16, v6
                                        ; implicit-def: $vgpr37
	s_and_saveexec_b64 s[0:1], vcc
	s_xor_b64 s[0:1], exec, s[0:1]
; %bb.177:                              ;   in Loop: Header=BB322_168 Depth=1
	v_bfe_u32 v6, v8, 16, 1
	v_add3_u32 v37, v8, v6, s17
; %bb.178:                              ;   in Loop: Header=BB322_168 Depth=1
	s_andn2_saveexec_b64 s[0:1], s[0:1]
; %bb.179:                              ;   in Loop: Header=BB322_168 Depth=1
	v_or_b32_e32 v6, 0x10000, v8
	v_cmp_eq_u32_sdwa vcc, v8, v15 src0_sel:WORD_0 src1_sel:DWORD
	s_nop 1
	v_cndmask_b32_e32 v37, v6, v8, vcc
; %bb.180:                              ;   in Loop: Header=BB322_168 Depth=1
	s_or_b64 exec, exec, s[0:1]
	v_and_b32_e32 v6, 0x7f800000, v9
	v_cmp_ne_u32_e32 vcc, s16, v6
                                        ; implicit-def: $vgpr38
	s_and_saveexec_b64 s[0:1], vcc
	s_xor_b64 s[0:1], exec, s[0:1]
; %bb.181:                              ;   in Loop: Header=BB322_168 Depth=1
	v_bfe_u32 v6, v9, 16, 1
	v_add3_u32 v38, v9, v6, s17
                                        ; implicit-def: $vgpr6_vgpr7_vgpr8_vgpr9
; %bb.182:                              ;   in Loop: Header=BB322_168 Depth=1
	s_andn2_saveexec_b64 s[0:1], s[0:1]
; %bb.183:                              ;   in Loop: Header=BB322_168 Depth=1
	v_or_b32_e32 v6, 0x10000, v9
	v_cmp_eq_u32_sdwa vcc, v9, v15 src0_sel:WORD_0 src1_sel:DWORD
	s_nop 1
	v_cndmask_b32_e32 v38, v6, v9, vcc
; %bb.184:                              ;   in Loop: Header=BB322_168 Depth=1
	s_or_b64 exec, exec, s[0:1]
	v_and_b32_e32 v6, 0x7f800000, v2
	v_cmp_ne_u32_e32 vcc, s16, v6
                                        ; implicit-def: $vgpr14
	s_and_saveexec_b64 s[0:1], vcc
	s_xor_b64 s[0:1], exec, s[0:1]
; %bb.185:                              ;   in Loop: Header=BB322_168 Depth=1
	v_bfe_u32 v6, v2, 16, 1
	v_add3_u32 v14, v2, v6, s17
; %bb.186:                              ;   in Loop: Header=BB322_168 Depth=1
	s_andn2_saveexec_b64 s[0:1], s[0:1]
; %bb.187:                              ;   in Loop: Header=BB322_168 Depth=1
	v_or_b32_e32 v6, 0x10000, v2
	v_cmp_eq_u32_sdwa vcc, v2, v15 src0_sel:WORD_0 src1_sel:DWORD
	s_nop 1
	v_cndmask_b32_e32 v14, v6, v2, vcc
; %bb.188:                              ;   in Loop: Header=BB322_168 Depth=1
	s_or_b64 exec, exec, s[0:1]
	v_and_b32_e32 v2, 0x7f800000, v3
	v_cmp_ne_u32_e32 vcc, s16, v2
                                        ; implicit-def: $vgpr25
	s_and_saveexec_b64 s[0:1], vcc
	s_xor_b64 s[0:1], exec, s[0:1]
; %bb.189:                              ;   in Loop: Header=BB322_168 Depth=1
	v_bfe_u32 v2, v3, 16, 1
	v_add3_u32 v25, v3, v2, s17
; %bb.190:                              ;   in Loop: Header=BB322_168 Depth=1
	s_andn2_saveexec_b64 s[0:1], s[0:1]
; %bb.191:                              ;   in Loop: Header=BB322_168 Depth=1
	v_or_b32_e32 v2, 0x10000, v3
	v_cmp_eq_u32_sdwa vcc, v3, v15 src0_sel:WORD_0 src1_sel:DWORD
	s_nop 1
	v_cndmask_b32_e32 v25, v2, v3, vcc
; %bb.192:                              ;   in Loop: Header=BB322_168 Depth=1
	s_or_b64 exec, exec, s[0:1]
	v_and_b32_e32 v2, 0x7f800000, v4
	v_cmp_ne_u32_e32 vcc, s16, v2
                                        ; implicit-def: $vgpr26
	s_and_saveexec_b64 s[0:1], vcc
	s_xor_b64 s[0:1], exec, s[0:1]
; %bb.193:                              ;   in Loop: Header=BB322_168 Depth=1
	v_bfe_u32 v2, v4, 16, 1
	v_add3_u32 v26, v4, v2, s17
; %bb.194:                              ;   in Loop: Header=BB322_168 Depth=1
	s_andn2_saveexec_b64 s[0:1], s[0:1]
; %bb.195:                              ;   in Loop: Header=BB322_168 Depth=1
	v_or_b32_e32 v2, 0x10000, v4
	v_cmp_eq_u32_sdwa vcc, v4, v15 src0_sel:WORD_0 src1_sel:DWORD
	s_nop 1
	v_cndmask_b32_e32 v26, v2, v4, vcc
; %bb.196:                              ;   in Loop: Header=BB322_168 Depth=1
	s_or_b64 exec, exec, s[0:1]
	v_and_b32_e32 v2, 0x7f800000, v5
	v_cmp_ne_u32_e32 vcc, s16, v2
                                        ; implicit-def: $vgpr34
	s_and_saveexec_b64 s[0:1], vcc
	s_xor_b64 s[0:1], exec, s[0:1]
; %bb.197:                              ;   in Loop: Header=BB322_168 Depth=1
	v_bfe_u32 v2, v5, 16, 1
	v_add3_u32 v34, v5, v2, s17
                                        ; implicit-def: $vgpr2_vgpr3_vgpr4_vgpr5
; %bb.198:                              ;   in Loop: Header=BB322_168 Depth=1
	s_andn2_saveexec_b64 s[0:1], s[0:1]
; %bb.199:                              ;   in Loop: Header=BB322_168 Depth=1
	v_or_b32_e32 v2, 0x10000, v5
	v_cmp_eq_u32_sdwa vcc, v5, v15 src0_sel:WORD_0 src1_sel:DWORD
	s_nop 1
	v_cndmask_b32_e32 v34, v2, v5, vcc
; %bb.200:                              ;   in Loop: Header=BB322_168 Depth=1
	s_or_b64 exec, exec, s[0:1]
	s_waitcnt vmcnt(0)
	v_mad_i64_i32 v[2:3], s[0:1], v27, s13, v[16:17]
	global_load_dwordx2 v[4:5], v[2:3], off
	s_waitcnt vmcnt(0)
	v_and_b32_e32 v6, 0xff, v4
	v_cvt_f32_fp8_sdwa v6, v6 src0_sel:BYTE_0
	s_nop 0
	v_mul_f32_e32 v7, s14, v6
	v_and_b32_e32 v6, 0x7f800000, v7
	v_cmp_ne_u32_e32 vcc, s16, v6
                                        ; implicit-def: $vgpr6
	s_and_saveexec_b64 s[0:1], vcc
	s_xor_b64 s[0:1], exec, s[0:1]
; %bb.201:                              ;   in Loop: Header=BB322_168 Depth=1
	v_bfe_u32 v6, v7, 16, 1
	v_add3_u32 v6, v7, v6, s17
                                        ; implicit-def: $vgpr7
; %bb.202:                              ;   in Loop: Header=BB322_168 Depth=1
	s_andn2_saveexec_b64 s[0:1], s[0:1]
; %bb.203:                              ;   in Loop: Header=BB322_168 Depth=1
	v_or_b32_e32 v6, 0x10000, v7
	v_cmp_eq_u32_sdwa vcc, v7, v15 src0_sel:WORD_0 src1_sel:DWORD
	s_nop 1
	v_cndmask_b32_e32 v6, v6, v7, vcc
; %bb.204:                              ;   in Loop: Header=BB322_168 Depth=1
	s_or_b64 exec, exec, s[0:1]
	v_bfe_u32 v7, v4, 8, 8
	v_cvt_f32_fp8_sdwa v7, v7 src0_sel:BYTE_0
	s_nop 0
	v_mul_f32_e32 v8, s14, v7
	v_and_b32_e32 v7, 0x7f800000, v8
	v_cmp_ne_u32_e32 vcc, s16, v7
                                        ; implicit-def: $vgpr7
	s_and_saveexec_b64 s[0:1], vcc
	s_xor_b64 s[0:1], exec, s[0:1]
; %bb.205:                              ;   in Loop: Header=BB322_168 Depth=1
	v_bfe_u32 v7, v8, 16, 1
	v_add3_u32 v7, v8, v7, s17
                                        ; implicit-def: $vgpr8
; %bb.206:                              ;   in Loop: Header=BB322_168 Depth=1
	s_andn2_saveexec_b64 s[0:1], s[0:1]
; %bb.207:                              ;   in Loop: Header=BB322_168 Depth=1
	v_or_b32_e32 v7, 0x10000, v8
	v_cmp_eq_u32_sdwa vcc, v8, v15 src0_sel:WORD_0 src1_sel:DWORD
	s_nop 1
	v_cndmask_b32_e32 v7, v7, v8, vcc
; %bb.208:                              ;   in Loop: Header=BB322_168 Depth=1
	s_or_b64 exec, exec, s[0:1]
	v_bfe_u32 v8, v4, 16, 8
	v_cvt_f32_fp8_sdwa v8, v8 src0_sel:BYTE_0
	s_nop 0
	v_mul_f32_e32 v9, s14, v8
	v_and_b32_e32 v8, 0x7f800000, v9
	v_cmp_ne_u32_e32 vcc, s16, v8
                                        ; implicit-def: $vgpr8
	s_and_saveexec_b64 s[0:1], vcc
	s_xor_b64 s[0:1], exec, s[0:1]
; %bb.209:                              ;   in Loop: Header=BB322_168 Depth=1
	v_bfe_u32 v8, v9, 16, 1
	v_add3_u32 v8, v9, v8, s17
                                        ; implicit-def: $vgpr9
; %bb.210:                              ;   in Loop: Header=BB322_168 Depth=1
	s_andn2_saveexec_b64 s[0:1], s[0:1]
; %bb.211:                              ;   in Loop: Header=BB322_168 Depth=1
	v_or_b32_e32 v8, 0x10000, v9
	v_cmp_eq_u32_sdwa vcc, v9, v15 src0_sel:WORD_0 src1_sel:DWORD
	s_nop 1
	v_cndmask_b32_e32 v8, v8, v9, vcc
; %bb.212:                              ;   in Loop: Header=BB322_168 Depth=1
	s_or_b64 exec, exec, s[0:1]
	v_lshrrev_b32_e32 v4, 24, v4
	v_cvt_f32_fp8_sdwa v4, v4 src0_sel:BYTE_0
	s_nop 0
	v_mul_f32_e32 v9, s14, v4
	v_and_b32_e32 v4, 0x7f800000, v9
	v_cmp_ne_u32_e32 vcc, s16, v4
                                        ; implicit-def: $vgpr4
	s_and_saveexec_b64 s[0:1], vcc
	s_xor_b64 s[0:1], exec, s[0:1]
; %bb.213:                              ;   in Loop: Header=BB322_168 Depth=1
	v_bfe_u32 v4, v9, 16, 1
	v_add3_u32 v4, v9, v4, s17
                                        ; implicit-def: $vgpr9
; %bb.214:                              ;   in Loop: Header=BB322_168 Depth=1
	s_andn2_saveexec_b64 s[0:1], s[0:1]
; %bb.215:                              ;   in Loop: Header=BB322_168 Depth=1
	v_or_b32_e32 v4, 0x10000, v9
	v_cmp_eq_u32_sdwa vcc, v9, v15 src0_sel:WORD_0 src1_sel:DWORD
	s_nop 1
	v_cndmask_b32_e32 v4, v4, v9, vcc
; %bb.216:                              ;   in Loop: Header=BB322_168 Depth=1
	s_or_b64 exec, exec, s[0:1]
	v_and_b32_e32 v9, 0xff, v5
	v_cvt_f32_fp8_sdwa v9, v9 src0_sel:BYTE_0
	s_nop 0
	v_mul_f32_e32 v27, s14, v9
	v_and_b32_e32 v9, 0x7f800000, v27
	v_cmp_ne_u32_e32 vcc, s16, v9
                                        ; implicit-def: $vgpr9
	s_and_saveexec_b64 s[0:1], vcc
	s_xor_b64 s[0:1], exec, s[0:1]
; %bb.217:                              ;   in Loop: Header=BB322_168 Depth=1
	v_bfe_u32 v9, v27, 16, 1
	v_add3_u32 v9, v27, v9, s17
                                        ; implicit-def: $vgpr27
; %bb.218:                              ;   in Loop: Header=BB322_168 Depth=1
	s_andn2_saveexec_b64 s[0:1], s[0:1]
; %bb.219:                              ;   in Loop: Header=BB322_168 Depth=1
	v_or_b32_e32 v9, 0x10000, v27
	v_cmp_eq_u32_sdwa vcc, v27, v15 src0_sel:WORD_0 src1_sel:DWORD
	s_nop 1
	v_cndmask_b32_e32 v9, v9, v27, vcc
; %bb.220:                              ;   in Loop: Header=BB322_168 Depth=1
	s_or_b64 exec, exec, s[0:1]
	v_bfe_u32 v27, v5, 8, 8
	v_cvt_f32_fp8_sdwa v27, v27 src0_sel:BYTE_0
	s_nop 0
	v_mul_f32_e32 v27, s14, v27
	v_and_b32_e32 v28, 0x7f800000, v27
	v_cmp_ne_u32_e32 vcc, s16, v28
                                        ; implicit-def: $vgpr28
	s_and_saveexec_b64 s[0:1], vcc
	s_xor_b64 s[0:1], exec, s[0:1]
; %bb.221:                              ;   in Loop: Header=BB322_168 Depth=1
	v_bfe_u32 v28, v27, 16, 1
	v_add3_u32 v28, v27, v28, s17
                                        ; implicit-def: $vgpr27
; %bb.222:                              ;   in Loop: Header=BB322_168 Depth=1
	s_andn2_saveexec_b64 s[0:1], s[0:1]
; %bb.223:                              ;   in Loop: Header=BB322_168 Depth=1
	v_or_b32_e32 v28, 0x10000, v27
	v_cmp_eq_u32_sdwa vcc, v27, v15 src0_sel:WORD_0 src1_sel:DWORD
	s_nop 1
	v_cndmask_b32_e32 v28, v28, v27, vcc
; %bb.224:                              ;   in Loop: Header=BB322_168 Depth=1
	s_or_b64 exec, exec, s[0:1]
	v_bfe_u32 v27, v5, 16, 8
	v_cvt_f32_fp8_sdwa v27, v27 src0_sel:BYTE_0
	s_nop 0
	v_mul_f32_e32 v27, s14, v27
	v_and_b32_e32 v29, 0x7f800000, v27
	v_cmp_ne_u32_e32 vcc, s16, v29
                                        ; implicit-def: $vgpr29
	s_and_saveexec_b64 s[0:1], vcc
	s_xor_b64 s[0:1], exec, s[0:1]
; %bb.225:                              ;   in Loop: Header=BB322_168 Depth=1
	v_bfe_u32 v29, v27, 16, 1
	v_add3_u32 v29, v27, v29, s17
                                        ; implicit-def: $vgpr27
; %bb.226:                              ;   in Loop: Header=BB322_168 Depth=1
	s_andn2_saveexec_b64 s[0:1], s[0:1]
; %bb.227:                              ;   in Loop: Header=BB322_168 Depth=1
	v_or_b32_e32 v29, 0x10000, v27
	v_cmp_eq_u32_sdwa vcc, v27, v15 src0_sel:WORD_0 src1_sel:DWORD
	s_nop 1
	v_cndmask_b32_e32 v29, v29, v27, vcc
; %bb.228:                              ;   in Loop: Header=BB322_168 Depth=1
	s_or_b64 exec, exec, s[0:1]
	v_lshrrev_b32_e32 v5, 24, v5
	v_cvt_f32_fp8_sdwa v5, v5 src0_sel:BYTE_0
                                        ; implicit-def: $vgpr30
	s_nop 0
	v_mul_f32_e32 v5, s14, v5
	v_and_b32_e32 v27, 0x7f800000, v5
	v_cmp_ne_u32_e32 vcc, s16, v27
	s_and_saveexec_b64 s[0:1], vcc
	s_xor_b64 s[0:1], exec, s[0:1]
; %bb.229:                              ;   in Loop: Header=BB322_168 Depth=1
	v_bfe_u32 v27, v5, 16, 1
	v_add3_u32 v30, v5, v27, s17
                                        ; implicit-def: $vgpr5
; %bb.230:                              ;   in Loop: Header=BB322_168 Depth=1
	s_andn2_saveexec_b64 s[0:1], s[0:1]
; %bb.231:                              ;   in Loop: Header=BB322_168 Depth=1
	v_or_b32_e32 v27, 0x10000, v5
	v_cmp_eq_u32_sdwa vcc, v5, v15 src0_sel:WORD_0 src1_sel:DWORD
	s_nop 1
	v_cndmask_b32_e32 v30, v27, v5, vcc
; %bb.232:                              ;   in Loop: Header=BB322_168 Depth=1
	s_or_b64 exec, exec, s[0:1]
	v_cmp_eq_u32_e32 vcc, s15, v1
	v_add_u32_e32 v27, -7, v23
	v_lshrrev_b32_e32 v41, 16, v28
	v_lshrrev_b32_e32 v40, 16, v9
	;; [unrolled: 1-line block ×8, first 2 shown]
	v_add_u32_e32 v33, -6, v23
	v_add_u32_e32 v32, -5, v23
	;; [unrolled: 1-line block ×6, first 2 shown]
	s_and_saveexec_b64 s[10:11], vcc
	s_cbranch_execz .LBB322_234
; %bb.233:                              ;   in Loop: Header=BB322_168 Depth=1
	v_cmp_gt_i32_e64 s[0:1], s21, v27
	s_nop 1
	v_cndmask_b32_e64 v6, 0, v6, s[0:1]
	v_cmp_gt_i32_e64 s[0:1], s21, v33
	s_nop 1
	v_cndmask_b32_e64 v7, 0, v7, s[0:1]
	;; [unrolled: 3-line block ×8, first 2 shown]
.LBB322_234:                            ;   in Loop: Header=BB322_168 Depth=1
	s_or_b64 exec, exec, s[10:11]
	v_and_b32_e32 v35, 0xffff0000, v35
	v_lshlrev_b32_e32 v6, 16, v6
	v_mul_f32_e32 v39, v35, v6
	v_and_b32_e32 v6, 0x7f800000, v39
	v_cmp_ne_u32_e64 s[0:1], s16, v6
                                        ; implicit-def: $vgpr6
	s_and_saveexec_b64 s[10:11], s[0:1]
	s_xor_b64 s[0:1], exec, s[10:11]
; %bb.235:                              ;   in Loop: Header=BB322_168 Depth=1
	v_bfe_u32 v6, v39, 16, 1
	v_add3_u32 v6, v39, v6, s17
                                        ; implicit-def: $vgpr39
; %bb.236:                              ;   in Loop: Header=BB322_168 Depth=1
	s_andn2_saveexec_b64 s[10:11], s[0:1]
; %bb.237:                              ;   in Loop: Header=BB322_168 Depth=1
	v_or_b32_e32 v6, 0x10000, v39
	v_cmp_eq_u32_sdwa s[0:1], v39, v15 src0_sel:WORD_0 src1_sel:DWORD
	s_nop 1
	v_cndmask_b32_e64 v6, v6, v39, s[0:1]
; %bb.238:                              ;   in Loop: Header=BB322_168 Depth=1
	s_or_b64 exec, exec, s[10:11]
	v_and_b32_e32 v36, 0xffff0000, v36
	v_lshlrev_b32_e32 v7, 16, v7
	v_mul_f32_e32 v39, v36, v7
	v_and_b32_e32 v7, 0x7f800000, v39
	v_cmp_ne_u32_e64 s[0:1], s16, v7
                                        ; implicit-def: $vgpr7
	s_and_saveexec_b64 s[10:11], s[0:1]
	s_xor_b64 s[0:1], exec, s[10:11]
; %bb.239:                              ;   in Loop: Header=BB322_168 Depth=1
	v_bfe_u32 v7, v39, 16, 1
	v_add3_u32 v7, v39, v7, s17
                                        ; implicit-def: $vgpr39
; %bb.240:                              ;   in Loop: Header=BB322_168 Depth=1
	s_andn2_saveexec_b64 s[10:11], s[0:1]
; %bb.241:                              ;   in Loop: Header=BB322_168 Depth=1
	v_or_b32_e32 v7, 0x10000, v39
	v_cmp_eq_u32_sdwa s[0:1], v39, v15 src0_sel:WORD_0 src1_sel:DWORD
	s_nop 1
	v_cndmask_b32_e64 v7, v7, v39, s[0:1]
; %bb.242:                              ;   in Loop: Header=BB322_168 Depth=1
	s_or_b64 exec, exec, s[10:11]
	v_and_b32_e32 v37, 0xffff0000, v37
	v_lshlrev_b32_e32 v8, 16, v8
	v_mul_f32_e32 v39, v37, v8
	v_and_b32_e32 v8, 0x7f800000, v39
	v_cmp_ne_u32_e64 s[0:1], s16, v8
                                        ; implicit-def: $vgpr8
	s_and_saveexec_b64 s[10:11], s[0:1]
	s_xor_b64 s[0:1], exec, s[10:11]
; %bb.243:                              ;   in Loop: Header=BB322_168 Depth=1
	v_bfe_u32 v8, v39, 16, 1
	v_add3_u32 v8, v39, v8, s17
                                        ; implicit-def: $vgpr39
; %bb.244:                              ;   in Loop: Header=BB322_168 Depth=1
	s_andn2_saveexec_b64 s[10:11], s[0:1]
; %bb.245:                              ;   in Loop: Header=BB322_168 Depth=1
	v_or_b32_e32 v8, 0x10000, v39
	v_cmp_eq_u32_sdwa s[0:1], v39, v15 src0_sel:WORD_0 src1_sel:DWORD
	s_nop 1
	v_cndmask_b32_e64 v8, v8, v39, s[0:1]
; %bb.246:                              ;   in Loop: Header=BB322_168 Depth=1
	s_or_b64 exec, exec, s[10:11]
	v_and_b32_e32 v38, 0xffff0000, v38
	v_lshlrev_b32_e32 v9, 16, v9
	v_mul_f32_e32 v39, v38, v9
	v_and_b32_e32 v9, 0x7f800000, v39
	v_cmp_ne_u32_e64 s[0:1], s16, v9
                                        ; implicit-def: $vgpr9
	s_and_saveexec_b64 s[10:11], s[0:1]
	s_xor_b64 s[0:1], exec, s[10:11]
; %bb.247:                              ;   in Loop: Header=BB322_168 Depth=1
	v_bfe_u32 v9, v39, 16, 1
	v_add3_u32 v9, v39, v9, s17
                                        ; implicit-def: $vgpr39
; %bb.248:                              ;   in Loop: Header=BB322_168 Depth=1
	s_andn2_saveexec_b64 s[10:11], s[0:1]
; %bb.249:                              ;   in Loop: Header=BB322_168 Depth=1
	v_or_b32_e32 v9, 0x10000, v39
	v_cmp_eq_u32_sdwa s[0:1], v39, v15 src0_sel:WORD_0 src1_sel:DWORD
	s_nop 1
	v_cndmask_b32_e64 v9, v9, v39, s[0:1]
; %bb.250:                              ;   in Loop: Header=BB322_168 Depth=1
	s_or_b64 exec, exec, s[10:11]
	v_and_b32_e32 v39, 0xffff0000, v14
	v_lshlrev_b32_e32 v14, 16, v40
	v_mul_f32_e32 v40, v39, v14
	v_and_b32_e32 v14, 0x7f800000, v40
	v_cmp_ne_u32_e64 s[0:1], s16, v14
                                        ; implicit-def: $vgpr14
	s_and_saveexec_b64 s[10:11], s[0:1]
	s_xor_b64 s[0:1], exec, s[10:11]
; %bb.251:                              ;   in Loop: Header=BB322_168 Depth=1
	v_bfe_u32 v14, v40, 16, 1
	v_add3_u32 v14, v40, v14, s17
                                        ; implicit-def: $vgpr40
; %bb.252:                              ;   in Loop: Header=BB322_168 Depth=1
	s_andn2_saveexec_b64 s[10:11], s[0:1]
; %bb.253:                              ;   in Loop: Header=BB322_168 Depth=1
	v_or_b32_e32 v14, 0x10000, v40
	v_cmp_eq_u32_sdwa s[0:1], v40, v15 src0_sel:WORD_0 src1_sel:DWORD
	s_nop 1
	v_cndmask_b32_e64 v14, v14, v40, s[0:1]
; %bb.254:                              ;   in Loop: Header=BB322_168 Depth=1
	s_or_b64 exec, exec, s[10:11]
	v_and_b32_e32 v40, 0xffff0000, v25
	v_lshlrev_b32_e32 v25, 16, v41
	v_mul_f32_e32 v41, v40, v25
	v_and_b32_e32 v25, 0x7f800000, v41
	v_cmp_ne_u32_e64 s[0:1], s16, v25
                                        ; implicit-def: $vgpr25
	s_and_saveexec_b64 s[10:11], s[0:1]
	s_xor_b64 s[0:1], exec, s[10:11]
; %bb.255:                              ;   in Loop: Header=BB322_168 Depth=1
	v_bfe_u32 v25, v41, 16, 1
	v_add3_u32 v25, v41, v25, s17
                                        ; implicit-def: $vgpr41
; %bb.256:                              ;   in Loop: Header=BB322_168 Depth=1
	s_andn2_saveexec_b64 s[10:11], s[0:1]
; %bb.257:                              ;   in Loop: Header=BB322_168 Depth=1
	v_or_b32_e32 v25, 0x10000, v41
	v_cmp_eq_u32_sdwa s[0:1], v41, v15 src0_sel:WORD_0 src1_sel:DWORD
	s_nop 1
	v_cndmask_b32_e64 v25, v25, v41, s[0:1]
; %bb.258:                              ;   in Loop: Header=BB322_168 Depth=1
	s_or_b64 exec, exec, s[10:11]
	v_and_b32_e32 v41, 0xffff0000, v26
	v_lshlrev_b32_e32 v5, 16, v5
	v_mul_f32_e32 v5, v41, v5
	v_and_b32_e32 v26, 0x7f800000, v5
	v_cmp_ne_u32_e64 s[0:1], s16, v26
                                        ; implicit-def: $vgpr26
	s_and_saveexec_b64 s[10:11], s[0:1]
	s_xor_b64 s[0:1], exec, s[10:11]
; %bb.259:                              ;   in Loop: Header=BB322_168 Depth=1
	v_bfe_u32 v26, v5, 16, 1
	v_add3_u32 v26, v5, v26, s17
                                        ; implicit-def: $vgpr5
; %bb.260:                              ;   in Loop: Header=BB322_168 Depth=1
	s_andn2_saveexec_b64 s[10:11], s[0:1]
; %bb.261:                              ;   in Loop: Header=BB322_168 Depth=1
	v_or_b32_e32 v26, 0x10000, v5
	v_cmp_eq_u32_sdwa s[0:1], v5, v15 src0_sel:WORD_0 src1_sel:DWORD
	s_nop 1
	v_cndmask_b32_e64 v26, v26, v5, s[0:1]
; %bb.262:                              ;   in Loop: Header=BB322_168 Depth=1
	s_or_b64 exec, exec, s[10:11]
	v_and_b32_e32 v42, 0xffff0000, v34
	v_lshlrev_b32_e32 v4, 16, v4
	v_mul_f32_e32 v4, v42, v4
	v_and_b32_e32 v5, 0x7f800000, v4
	v_cmp_ne_u32_e64 s[0:1], s16, v5
                                        ; implicit-def: $vgpr34
	s_and_saveexec_b64 s[10:11], s[0:1]
	s_xor_b64 s[0:1], exec, s[10:11]
; %bb.263:                              ;   in Loop: Header=BB322_168 Depth=1
	v_bfe_u32 v5, v4, 16, 1
	v_add3_u32 v34, v4, v5, s17
                                        ; implicit-def: $vgpr4
; %bb.264:                              ;   in Loop: Header=BB322_168 Depth=1
	s_andn2_saveexec_b64 s[10:11], s[0:1]
; %bb.265:                              ;   in Loop: Header=BB322_168 Depth=1
	v_or_b32_e32 v5, 0x10000, v4
	v_cmp_eq_u32_sdwa s[0:1], v4, v15 src0_sel:WORD_0 src1_sel:DWORD
	s_nop 1
	v_cndmask_b32_e64 v34, v5, v4, s[0:1]
; %bb.266:                              ;   in Loop: Header=BB322_168 Depth=1
	s_or_b64 exec, exec, s[10:11]
	global_load_dwordx2 v[4:5], v[2:3], off offset:512
	s_waitcnt vmcnt(0)
	v_and_b32_e32 v43, 0xff, v4
	v_cvt_f32_fp8_sdwa v43, v43 src0_sel:BYTE_0
	s_nop 0
	v_mul_f32_e32 v44, s14, v43
	v_and_b32_e32 v43, 0x7f800000, v44
	v_cmp_ne_u32_e64 s[0:1], s16, v43
                                        ; implicit-def: $vgpr43
	s_and_saveexec_b64 s[10:11], s[0:1]
	s_xor_b64 s[0:1], exec, s[10:11]
; %bb.267:                              ;   in Loop: Header=BB322_168 Depth=1
	v_bfe_u32 v43, v44, 16, 1
	v_add3_u32 v43, v44, v43, s17
                                        ; implicit-def: $vgpr44
; %bb.268:                              ;   in Loop: Header=BB322_168 Depth=1
	s_andn2_saveexec_b64 s[10:11], s[0:1]
; %bb.269:                              ;   in Loop: Header=BB322_168 Depth=1
	v_or_b32_e32 v43, 0x10000, v44
	v_cmp_eq_u32_sdwa s[0:1], v44, v15 src0_sel:WORD_0 src1_sel:DWORD
	s_nop 1
	v_cndmask_b32_e64 v43, v43, v44, s[0:1]
; %bb.270:                              ;   in Loop: Header=BB322_168 Depth=1
	s_or_b64 exec, exec, s[10:11]
	v_bfe_u32 v44, v4, 8, 8
	v_cvt_f32_fp8_sdwa v44, v44 src0_sel:BYTE_0
	s_nop 0
	v_mul_f32_e32 v45, s14, v44
	v_and_b32_e32 v44, 0x7f800000, v45
	v_cmp_ne_u32_e64 s[0:1], s16, v44
                                        ; implicit-def: $vgpr44
	s_and_saveexec_b64 s[10:11], s[0:1]
	s_xor_b64 s[0:1], exec, s[10:11]
; %bb.271:                              ;   in Loop: Header=BB322_168 Depth=1
	v_bfe_u32 v44, v45, 16, 1
	v_add3_u32 v44, v45, v44, s17
                                        ; implicit-def: $vgpr45
; %bb.272:                              ;   in Loop: Header=BB322_168 Depth=1
	s_andn2_saveexec_b64 s[10:11], s[0:1]
; %bb.273:                              ;   in Loop: Header=BB322_168 Depth=1
	v_or_b32_e32 v44, 0x10000, v45
	v_cmp_eq_u32_sdwa s[0:1], v45, v15 src0_sel:WORD_0 src1_sel:DWORD
	s_nop 1
	v_cndmask_b32_e64 v44, v44, v45, s[0:1]
; %bb.274:                              ;   in Loop: Header=BB322_168 Depth=1
	s_or_b64 exec, exec, s[10:11]
	v_bfe_u32 v45, v4, 16, 8
	v_cvt_f32_fp8_sdwa v45, v45 src0_sel:BYTE_0
	s_nop 0
	v_mul_f32_e32 v46, s14, v45
	v_and_b32_e32 v45, 0x7f800000, v46
	v_cmp_ne_u32_e64 s[0:1], s16, v45
                                        ; implicit-def: $vgpr45
	s_and_saveexec_b64 s[10:11], s[0:1]
	s_xor_b64 s[0:1], exec, s[10:11]
; %bb.275:                              ;   in Loop: Header=BB322_168 Depth=1
	v_bfe_u32 v45, v46, 16, 1
	v_add3_u32 v45, v46, v45, s17
                                        ; implicit-def: $vgpr46
; %bb.276:                              ;   in Loop: Header=BB322_168 Depth=1
	s_andn2_saveexec_b64 s[10:11], s[0:1]
; %bb.277:                              ;   in Loop: Header=BB322_168 Depth=1
	v_or_b32_e32 v45, 0x10000, v46
	v_cmp_eq_u32_sdwa s[0:1], v46, v15 src0_sel:WORD_0 src1_sel:DWORD
	s_nop 1
	v_cndmask_b32_e64 v45, v45, v46, s[0:1]
; %bb.278:                              ;   in Loop: Header=BB322_168 Depth=1
	s_or_b64 exec, exec, s[10:11]
	v_lshrrev_b32_e32 v4, 24, v4
	v_cvt_f32_fp8_sdwa v4, v4 src0_sel:BYTE_0
	s_nop 0
	v_mul_f32_e32 v46, s14, v4
	v_and_b32_e32 v4, 0x7f800000, v46
	v_cmp_ne_u32_e64 s[0:1], s16, v4
                                        ; implicit-def: $vgpr4
	s_and_saveexec_b64 s[10:11], s[0:1]
	s_xor_b64 s[0:1], exec, s[10:11]
; %bb.279:                              ;   in Loop: Header=BB322_168 Depth=1
	v_bfe_u32 v4, v46, 16, 1
	v_add3_u32 v4, v46, v4, s17
                                        ; implicit-def: $vgpr46
; %bb.280:                              ;   in Loop: Header=BB322_168 Depth=1
	s_andn2_saveexec_b64 s[10:11], s[0:1]
; %bb.281:                              ;   in Loop: Header=BB322_168 Depth=1
	v_or_b32_e32 v4, 0x10000, v46
	v_cmp_eq_u32_sdwa s[0:1], v46, v15 src0_sel:WORD_0 src1_sel:DWORD
	s_nop 1
	v_cndmask_b32_e64 v4, v4, v46, s[0:1]
; %bb.282:                              ;   in Loop: Header=BB322_168 Depth=1
	s_or_b64 exec, exec, s[10:11]
	v_and_b32_e32 v46, 0xff, v5
	v_cvt_f32_fp8_sdwa v46, v46 src0_sel:BYTE_0
	s_nop 0
	v_mul_f32_e32 v47, s14, v46
	v_and_b32_e32 v46, 0x7f800000, v47
	v_cmp_ne_u32_e64 s[0:1], s16, v46
                                        ; implicit-def: $vgpr46
	s_and_saveexec_b64 s[10:11], s[0:1]
	s_xor_b64 s[0:1], exec, s[10:11]
; %bb.283:                              ;   in Loop: Header=BB322_168 Depth=1
	v_bfe_u32 v46, v47, 16, 1
	v_add3_u32 v46, v47, v46, s17
                                        ; implicit-def: $vgpr47
; %bb.284:                              ;   in Loop: Header=BB322_168 Depth=1
	s_andn2_saveexec_b64 s[10:11], s[0:1]
; %bb.285:                              ;   in Loop: Header=BB322_168 Depth=1
	v_or_b32_e32 v46, 0x10000, v47
	v_cmp_eq_u32_sdwa s[0:1], v47, v15 src0_sel:WORD_0 src1_sel:DWORD
	s_nop 1
	v_cndmask_b32_e64 v46, v46, v47, s[0:1]
; %bb.286:                              ;   in Loop: Header=BB322_168 Depth=1
	s_or_b64 exec, exec, s[10:11]
	v_bfe_u32 v47, v5, 8, 8
	v_cvt_f32_fp8_sdwa v47, v47 src0_sel:BYTE_0
	s_nop 0
	v_mul_f32_e32 v48, s14, v47
	v_and_b32_e32 v47, 0x7f800000, v48
	v_cmp_ne_u32_e64 s[0:1], s16, v47
                                        ; implicit-def: $vgpr47
	s_and_saveexec_b64 s[10:11], s[0:1]
	s_xor_b64 s[0:1], exec, s[10:11]
; %bb.287:                              ;   in Loop: Header=BB322_168 Depth=1
	v_bfe_u32 v47, v48, 16, 1
	v_add3_u32 v47, v48, v47, s17
                                        ; implicit-def: $vgpr48
; %bb.288:                              ;   in Loop: Header=BB322_168 Depth=1
	s_andn2_saveexec_b64 s[10:11], s[0:1]
; %bb.289:                              ;   in Loop: Header=BB322_168 Depth=1
	v_or_b32_e32 v47, 0x10000, v48
	v_cmp_eq_u32_sdwa s[0:1], v48, v15 src0_sel:WORD_0 src1_sel:DWORD
	s_nop 1
	v_cndmask_b32_e64 v47, v47, v48, s[0:1]
; %bb.290:                              ;   in Loop: Header=BB322_168 Depth=1
	s_or_b64 exec, exec, s[10:11]
	v_bfe_u32 v48, v5, 16, 8
	v_cvt_f32_fp8_sdwa v48, v48 src0_sel:BYTE_0
	s_nop 0
	v_mul_f32_e32 v48, s14, v48
	v_and_b32_e32 v49, 0x7f800000, v48
	v_cmp_ne_u32_e64 s[0:1], s16, v49
                                        ; implicit-def: $vgpr49
	s_and_saveexec_b64 s[10:11], s[0:1]
	s_xor_b64 s[0:1], exec, s[10:11]
; %bb.291:                              ;   in Loop: Header=BB322_168 Depth=1
	v_bfe_u32 v49, v48, 16, 1
	v_add3_u32 v49, v48, v49, s17
                                        ; implicit-def: $vgpr48
; %bb.292:                              ;   in Loop: Header=BB322_168 Depth=1
	s_andn2_saveexec_b64 s[10:11], s[0:1]
; %bb.293:                              ;   in Loop: Header=BB322_168 Depth=1
	v_or_b32_e32 v49, 0x10000, v48
	v_cmp_eq_u32_sdwa s[0:1], v48, v15 src0_sel:WORD_0 src1_sel:DWORD
	s_nop 1
	v_cndmask_b32_e64 v49, v49, v48, s[0:1]
; %bb.294:                              ;   in Loop: Header=BB322_168 Depth=1
	s_or_b64 exec, exec, s[10:11]
	v_lshrrev_b32_e32 v5, 24, v5
	v_cvt_f32_fp8_sdwa v5, v5 src0_sel:BYTE_0
                                        ; implicit-def: $vgpr50
	s_nop 0
	v_mul_f32_e32 v5, s14, v5
	v_and_b32_e32 v48, 0x7f800000, v5
	v_cmp_ne_u32_e64 s[0:1], s16, v48
	s_and_saveexec_b64 s[10:11], s[0:1]
	s_xor_b64 s[0:1], exec, s[10:11]
; %bb.295:                              ;   in Loop: Header=BB322_168 Depth=1
	v_bfe_u32 v48, v5, 16, 1
	v_add3_u32 v50, v5, v48, s17
                                        ; implicit-def: $vgpr5
; %bb.296:                              ;   in Loop: Header=BB322_168 Depth=1
	s_andn2_saveexec_b64 s[10:11], s[0:1]
; %bb.297:                              ;   in Loop: Header=BB322_168 Depth=1
	v_or_b32_e32 v48, 0x10000, v5
	v_cmp_eq_u32_sdwa s[0:1], v5, v15 src0_sel:WORD_0 src1_sel:DWORD
	s_nop 1
	v_cndmask_b32_e64 v50, v48, v5, s[0:1]
; %bb.298:                              ;   in Loop: Header=BB322_168 Depth=1
	s_or_b64 exec, exec, s[10:11]
	v_lshrrev_b32_e32 v48, 16, v47
	v_lshrrev_b32_e32 v47, 16, v46
	;; [unrolled: 1-line block ×8, first 2 shown]
	s_and_saveexec_b64 s[10:11], vcc
	s_cbranch_execz .LBB322_300
; %bb.299:                              ;   in Loop: Header=BB322_168 Depth=1
	v_cmp_gt_i32_e64 s[0:1], s21, v27
	s_nop 1
	v_cndmask_b32_e64 v43, 0, v43, s[0:1]
	v_cmp_gt_i32_e64 s[0:1], s21, v33
	s_nop 1
	v_cndmask_b32_e64 v44, 0, v44, s[0:1]
	;; [unrolled: 3-line block ×8, first 2 shown]
.LBB322_300:                            ;   in Loop: Header=BB322_168 Depth=1
	s_or_b64 exec, exec, s[10:11]
	v_lshlrev_b32_e32 v43, 16, v43
	v_mul_f32_e32 v49, v35, v43
	v_and_b32_e32 v43, 0x7f800000, v49
	v_cmp_ne_u32_e64 s[0:1], s16, v43
                                        ; implicit-def: $vgpr43
	s_and_saveexec_b64 s[10:11], s[0:1]
	s_xor_b64 s[0:1], exec, s[10:11]
; %bb.301:                              ;   in Loop: Header=BB322_168 Depth=1
	v_bfe_u32 v43, v49, 16, 1
	v_add3_u32 v43, v49, v43, s17
                                        ; implicit-def: $vgpr49
; %bb.302:                              ;   in Loop: Header=BB322_168 Depth=1
	s_andn2_saveexec_b64 s[10:11], s[0:1]
; %bb.303:                              ;   in Loop: Header=BB322_168 Depth=1
	v_or_b32_e32 v43, 0x10000, v49
	v_cmp_eq_u32_sdwa s[0:1], v49, v15 src0_sel:WORD_0 src1_sel:DWORD
	s_nop 1
	v_cndmask_b32_e64 v43, v43, v49, s[0:1]
; %bb.304:                              ;   in Loop: Header=BB322_168 Depth=1
	s_or_b64 exec, exec, s[10:11]
	v_lshlrev_b32_e32 v44, 16, v44
	v_mul_f32_e32 v49, v36, v44
	v_and_b32_e32 v44, 0x7f800000, v49
	v_cmp_ne_u32_e64 s[0:1], s16, v44
                                        ; implicit-def: $vgpr44
	s_and_saveexec_b64 s[10:11], s[0:1]
	s_xor_b64 s[0:1], exec, s[10:11]
; %bb.305:                              ;   in Loop: Header=BB322_168 Depth=1
	v_bfe_u32 v44, v49, 16, 1
	v_add3_u32 v44, v49, v44, s17
                                        ; implicit-def: $vgpr49
; %bb.306:                              ;   in Loop: Header=BB322_168 Depth=1
	s_andn2_saveexec_b64 s[10:11], s[0:1]
; %bb.307:                              ;   in Loop: Header=BB322_168 Depth=1
	v_or_b32_e32 v44, 0x10000, v49
	v_cmp_eq_u32_sdwa s[0:1], v49, v15 src0_sel:WORD_0 src1_sel:DWORD
	s_nop 1
	v_cndmask_b32_e64 v44, v44, v49, s[0:1]
; %bb.308:                              ;   in Loop: Header=BB322_168 Depth=1
	s_or_b64 exec, exec, s[10:11]
	v_lshlrev_b32_e32 v45, 16, v45
	v_mul_f32_e32 v49, v37, v45
	v_and_b32_e32 v45, 0x7f800000, v49
	v_cmp_ne_u32_e64 s[0:1], s16, v45
                                        ; implicit-def: $vgpr45
	s_and_saveexec_b64 s[10:11], s[0:1]
	s_xor_b64 s[0:1], exec, s[10:11]
; %bb.309:                              ;   in Loop: Header=BB322_168 Depth=1
	v_bfe_u32 v45, v49, 16, 1
	v_add3_u32 v45, v49, v45, s17
                                        ; implicit-def: $vgpr49
; %bb.310:                              ;   in Loop: Header=BB322_168 Depth=1
	s_andn2_saveexec_b64 s[10:11], s[0:1]
; %bb.311:                              ;   in Loop: Header=BB322_168 Depth=1
	v_or_b32_e32 v45, 0x10000, v49
	v_cmp_eq_u32_sdwa s[0:1], v49, v15 src0_sel:WORD_0 src1_sel:DWORD
	s_nop 1
	v_cndmask_b32_e64 v45, v45, v49, s[0:1]
; %bb.312:                              ;   in Loop: Header=BB322_168 Depth=1
	s_or_b64 exec, exec, s[10:11]
	v_lshlrev_b32_e32 v46, 16, v46
	v_mul_f32_e32 v49, v38, v46
	v_and_b32_e32 v46, 0x7f800000, v49
	v_cmp_ne_u32_e64 s[0:1], s16, v46
                                        ; implicit-def: $vgpr46
	s_and_saveexec_b64 s[10:11], s[0:1]
	s_xor_b64 s[0:1], exec, s[10:11]
; %bb.313:                              ;   in Loop: Header=BB322_168 Depth=1
	v_bfe_u32 v46, v49, 16, 1
	v_add3_u32 v46, v49, v46, s17
                                        ; implicit-def: $vgpr49
; %bb.314:                              ;   in Loop: Header=BB322_168 Depth=1
	s_andn2_saveexec_b64 s[10:11], s[0:1]
; %bb.315:                              ;   in Loop: Header=BB322_168 Depth=1
	v_or_b32_e32 v46, 0x10000, v49
	v_cmp_eq_u32_sdwa s[0:1], v49, v15 src0_sel:WORD_0 src1_sel:DWORD
	s_nop 1
	v_cndmask_b32_e64 v46, v46, v49, s[0:1]
; %bb.316:                              ;   in Loop: Header=BB322_168 Depth=1
	s_or_b64 exec, exec, s[10:11]
	v_lshlrev_b32_e32 v47, 16, v47
	v_mul_f32_e32 v49, v39, v47
	v_and_b32_e32 v47, 0x7f800000, v49
	v_cmp_ne_u32_e64 s[0:1], s16, v47
                                        ; implicit-def: $vgpr47
	s_and_saveexec_b64 s[10:11], s[0:1]
	s_xor_b64 s[0:1], exec, s[10:11]
; %bb.317:                              ;   in Loop: Header=BB322_168 Depth=1
	v_bfe_u32 v47, v49, 16, 1
	v_add3_u32 v47, v49, v47, s17
                                        ; implicit-def: $vgpr49
; %bb.318:                              ;   in Loop: Header=BB322_168 Depth=1
	s_andn2_saveexec_b64 s[10:11], s[0:1]
; %bb.319:                              ;   in Loop: Header=BB322_168 Depth=1
	v_or_b32_e32 v47, 0x10000, v49
	v_cmp_eq_u32_sdwa s[0:1], v49, v15 src0_sel:WORD_0 src1_sel:DWORD
	s_nop 1
	v_cndmask_b32_e64 v47, v47, v49, s[0:1]
; %bb.320:                              ;   in Loop: Header=BB322_168 Depth=1
	s_or_b64 exec, exec, s[10:11]
	v_lshlrev_b32_e32 v48, 16, v48
	v_mul_f32_e32 v49, v40, v48
	v_and_b32_e32 v48, 0x7f800000, v49
	v_cmp_ne_u32_e64 s[0:1], s16, v48
                                        ; implicit-def: $vgpr48
	s_and_saveexec_b64 s[10:11], s[0:1]
	s_xor_b64 s[0:1], exec, s[10:11]
; %bb.321:                              ;   in Loop: Header=BB322_168 Depth=1
	v_bfe_u32 v48, v49, 16, 1
	v_add3_u32 v48, v49, v48, s17
                                        ; implicit-def: $vgpr49
; %bb.322:                              ;   in Loop: Header=BB322_168 Depth=1
	s_andn2_saveexec_b64 s[10:11], s[0:1]
; %bb.323:                              ;   in Loop: Header=BB322_168 Depth=1
	v_or_b32_e32 v48, 0x10000, v49
	v_cmp_eq_u32_sdwa s[0:1], v49, v15 src0_sel:WORD_0 src1_sel:DWORD
	s_nop 1
	v_cndmask_b32_e64 v48, v48, v49, s[0:1]
; %bb.324:                              ;   in Loop: Header=BB322_168 Depth=1
	s_or_b64 exec, exec, s[10:11]
	v_lshlrev_b32_e32 v5, 16, v5
	v_mul_f32_e32 v5, v41, v5
	v_and_b32_e32 v49, 0x7f800000, v5
	v_cmp_ne_u32_e64 s[0:1], s16, v49
                                        ; implicit-def: $vgpr49
	s_and_saveexec_b64 s[10:11], s[0:1]
	s_xor_b64 s[0:1], exec, s[10:11]
; %bb.325:                              ;   in Loop: Header=BB322_168 Depth=1
	v_bfe_u32 v49, v5, 16, 1
	v_add3_u32 v49, v5, v49, s17
                                        ; implicit-def: $vgpr5
; %bb.326:                              ;   in Loop: Header=BB322_168 Depth=1
	s_andn2_saveexec_b64 s[10:11], s[0:1]
; %bb.327:                              ;   in Loop: Header=BB322_168 Depth=1
	v_or_b32_e32 v49, 0x10000, v5
	v_cmp_eq_u32_sdwa s[0:1], v5, v15 src0_sel:WORD_0 src1_sel:DWORD
	s_nop 1
	v_cndmask_b32_e64 v49, v49, v5, s[0:1]
; %bb.328:                              ;   in Loop: Header=BB322_168 Depth=1
	s_or_b64 exec, exec, s[10:11]
	v_lshlrev_b32_e32 v4, 16, v4
	v_mul_f32_e32 v4, v42, v4
	v_and_b32_e32 v5, 0x7f800000, v4
	v_cmp_ne_u32_e64 s[0:1], s16, v5
                                        ; implicit-def: $vgpr50
	s_and_saveexec_b64 s[10:11], s[0:1]
	s_xor_b64 s[0:1], exec, s[10:11]
; %bb.329:                              ;   in Loop: Header=BB322_168 Depth=1
	v_bfe_u32 v5, v4, 16, 1
	v_add3_u32 v50, v4, v5, s17
                                        ; implicit-def: $vgpr4
; %bb.330:                              ;   in Loop: Header=BB322_168 Depth=1
	s_andn2_saveexec_b64 s[10:11], s[0:1]
; %bb.331:                              ;   in Loop: Header=BB322_168 Depth=1
	v_or_b32_e32 v5, 0x10000, v4
	v_cmp_eq_u32_sdwa s[0:1], v4, v15 src0_sel:WORD_0 src1_sel:DWORD
	s_nop 1
	v_cndmask_b32_e64 v50, v5, v4, s[0:1]
; %bb.332:                              ;   in Loop: Header=BB322_168 Depth=1
	s_or_b64 exec, exec, s[10:11]
	global_load_dwordx2 v[4:5], v[2:3], off offset:1024
	s_waitcnt vmcnt(0)
	v_and_b32_e32 v51, 0xff, v4
	v_cvt_f32_fp8_sdwa v51, v51 src0_sel:BYTE_0
	s_nop 0
	v_mul_f32_e32 v52, s14, v51
	v_and_b32_e32 v51, 0x7f800000, v52
	v_cmp_ne_u32_e64 s[0:1], s16, v51
                                        ; implicit-def: $vgpr51
	s_and_saveexec_b64 s[10:11], s[0:1]
	s_xor_b64 s[0:1], exec, s[10:11]
; %bb.333:                              ;   in Loop: Header=BB322_168 Depth=1
	v_bfe_u32 v51, v52, 16, 1
	v_add3_u32 v51, v52, v51, s17
                                        ; implicit-def: $vgpr52
; %bb.334:                              ;   in Loop: Header=BB322_168 Depth=1
	s_andn2_saveexec_b64 s[10:11], s[0:1]
; %bb.335:                              ;   in Loop: Header=BB322_168 Depth=1
	v_or_b32_e32 v51, 0x10000, v52
	v_cmp_eq_u32_sdwa s[0:1], v52, v15 src0_sel:WORD_0 src1_sel:DWORD
	s_nop 1
	v_cndmask_b32_e64 v51, v51, v52, s[0:1]
; %bb.336:                              ;   in Loop: Header=BB322_168 Depth=1
	s_or_b64 exec, exec, s[10:11]
	v_bfe_u32 v52, v4, 8, 8
	v_cvt_f32_fp8_sdwa v52, v52 src0_sel:BYTE_0
	s_nop 0
	v_mul_f32_e32 v53, s14, v52
	v_and_b32_e32 v52, 0x7f800000, v53
	v_cmp_ne_u32_e64 s[0:1], s16, v52
                                        ; implicit-def: $vgpr52
	s_and_saveexec_b64 s[10:11], s[0:1]
	s_xor_b64 s[0:1], exec, s[10:11]
; %bb.337:                              ;   in Loop: Header=BB322_168 Depth=1
	v_bfe_u32 v52, v53, 16, 1
	v_add3_u32 v52, v53, v52, s17
                                        ; implicit-def: $vgpr53
; %bb.338:                              ;   in Loop: Header=BB322_168 Depth=1
	s_andn2_saveexec_b64 s[10:11], s[0:1]
; %bb.339:                              ;   in Loop: Header=BB322_168 Depth=1
	v_or_b32_e32 v52, 0x10000, v53
	v_cmp_eq_u32_sdwa s[0:1], v53, v15 src0_sel:WORD_0 src1_sel:DWORD
	s_nop 1
	v_cndmask_b32_e64 v52, v52, v53, s[0:1]
; %bb.340:                              ;   in Loop: Header=BB322_168 Depth=1
	s_or_b64 exec, exec, s[10:11]
	v_bfe_u32 v53, v4, 16, 8
	v_cvt_f32_fp8_sdwa v53, v53 src0_sel:BYTE_0
	s_nop 0
	v_mul_f32_e32 v54, s14, v53
	v_and_b32_e32 v53, 0x7f800000, v54
	v_cmp_ne_u32_e64 s[0:1], s16, v53
                                        ; implicit-def: $vgpr53
	s_and_saveexec_b64 s[10:11], s[0:1]
	s_xor_b64 s[0:1], exec, s[10:11]
; %bb.341:                              ;   in Loop: Header=BB322_168 Depth=1
	v_bfe_u32 v53, v54, 16, 1
	v_add3_u32 v53, v54, v53, s17
                                        ; implicit-def: $vgpr54
; %bb.342:                              ;   in Loop: Header=BB322_168 Depth=1
	s_andn2_saveexec_b64 s[10:11], s[0:1]
; %bb.343:                              ;   in Loop: Header=BB322_168 Depth=1
	v_or_b32_e32 v53, 0x10000, v54
	v_cmp_eq_u32_sdwa s[0:1], v54, v15 src0_sel:WORD_0 src1_sel:DWORD
	s_nop 1
	v_cndmask_b32_e64 v53, v53, v54, s[0:1]
; %bb.344:                              ;   in Loop: Header=BB322_168 Depth=1
	s_or_b64 exec, exec, s[10:11]
	v_lshrrev_b32_e32 v4, 24, v4
	v_cvt_f32_fp8_sdwa v4, v4 src0_sel:BYTE_0
	s_nop 0
	v_mul_f32_e32 v54, s14, v4
	v_and_b32_e32 v4, 0x7f800000, v54
	v_cmp_ne_u32_e64 s[0:1], s16, v4
                                        ; implicit-def: $vgpr4
	s_and_saveexec_b64 s[10:11], s[0:1]
	s_xor_b64 s[0:1], exec, s[10:11]
; %bb.345:                              ;   in Loop: Header=BB322_168 Depth=1
	v_bfe_u32 v4, v54, 16, 1
	v_add3_u32 v4, v54, v4, s17
                                        ; implicit-def: $vgpr54
; %bb.346:                              ;   in Loop: Header=BB322_168 Depth=1
	s_andn2_saveexec_b64 s[10:11], s[0:1]
; %bb.347:                              ;   in Loop: Header=BB322_168 Depth=1
	v_or_b32_e32 v4, 0x10000, v54
	v_cmp_eq_u32_sdwa s[0:1], v54, v15 src0_sel:WORD_0 src1_sel:DWORD
	s_nop 1
	v_cndmask_b32_e64 v4, v4, v54, s[0:1]
; %bb.348:                              ;   in Loop: Header=BB322_168 Depth=1
	s_or_b64 exec, exec, s[10:11]
	v_and_b32_e32 v54, 0xff, v5
	v_cvt_f32_fp8_sdwa v54, v54 src0_sel:BYTE_0
	s_nop 0
	v_mul_f32_e32 v54, s14, v54
	v_and_b32_e32 v55, 0x7f800000, v54
	v_cmp_ne_u32_e64 s[0:1], s16, v55
                                        ; implicit-def: $vgpr55
	s_and_saveexec_b64 s[10:11], s[0:1]
	s_xor_b64 s[0:1], exec, s[10:11]
; %bb.349:                              ;   in Loop: Header=BB322_168 Depth=1
	v_bfe_u32 v55, v54, 16, 1
	v_add3_u32 v55, v54, v55, s17
                                        ; implicit-def: $vgpr54
; %bb.350:                              ;   in Loop: Header=BB322_168 Depth=1
	s_andn2_saveexec_b64 s[10:11], s[0:1]
; %bb.351:                              ;   in Loop: Header=BB322_168 Depth=1
	v_or_b32_e32 v55, 0x10000, v54
	v_cmp_eq_u32_sdwa s[0:1], v54, v15 src0_sel:WORD_0 src1_sel:DWORD
	s_nop 1
	v_cndmask_b32_e64 v55, v55, v54, s[0:1]
; %bb.352:                              ;   in Loop: Header=BB322_168 Depth=1
	s_or_b64 exec, exec, s[10:11]
	v_bfe_u32 v54, v5, 8, 8
	v_cvt_f32_fp8_sdwa v54, v54 src0_sel:BYTE_0
	s_nop 0
	v_mul_f32_e32 v56, s14, v54
	v_and_b32_e32 v54, 0x7f800000, v56
	v_cmp_ne_u32_e64 s[0:1], s16, v54
                                        ; implicit-def: $vgpr54
	s_and_saveexec_b64 s[10:11], s[0:1]
	s_xor_b64 s[0:1], exec, s[10:11]
; %bb.353:                              ;   in Loop: Header=BB322_168 Depth=1
	v_bfe_u32 v54, v56, 16, 1
	v_add3_u32 v54, v56, v54, s17
                                        ; implicit-def: $vgpr56
; %bb.354:                              ;   in Loop: Header=BB322_168 Depth=1
	s_andn2_saveexec_b64 s[10:11], s[0:1]
; %bb.355:                              ;   in Loop: Header=BB322_168 Depth=1
	v_or_b32_e32 v54, 0x10000, v56
	v_cmp_eq_u32_sdwa s[0:1], v56, v15 src0_sel:WORD_0 src1_sel:DWORD
	s_nop 1
	v_cndmask_b32_e64 v54, v54, v56, s[0:1]
; %bb.356:                              ;   in Loop: Header=BB322_168 Depth=1
	s_or_b64 exec, exec, s[10:11]
	v_bfe_u32 v56, v5, 16, 8
	v_cvt_f32_fp8_sdwa v56, v56 src0_sel:BYTE_0
	s_nop 0
	v_mul_f32_e32 v57, s14, v56
	v_and_b32_e32 v56, 0x7f800000, v57
	v_cmp_ne_u32_e64 s[0:1], s16, v56
                                        ; implicit-def: $vgpr56
	s_and_saveexec_b64 s[10:11], s[0:1]
	s_xor_b64 s[0:1], exec, s[10:11]
; %bb.357:                              ;   in Loop: Header=BB322_168 Depth=1
	v_bfe_u32 v56, v57, 16, 1
	v_add3_u32 v56, v57, v56, s17
                                        ; implicit-def: $vgpr57
; %bb.358:                              ;   in Loop: Header=BB322_168 Depth=1
	s_andn2_saveexec_b64 s[10:11], s[0:1]
; %bb.359:                              ;   in Loop: Header=BB322_168 Depth=1
	v_or_b32_e32 v56, 0x10000, v57
	v_cmp_eq_u32_sdwa s[0:1], v57, v15 src0_sel:WORD_0 src1_sel:DWORD
	s_nop 1
	v_cndmask_b32_e64 v56, v56, v57, s[0:1]
; %bb.360:                              ;   in Loop: Header=BB322_168 Depth=1
	s_or_b64 exec, exec, s[10:11]
	v_lshrrev_b32_e32 v5, 24, v5
	v_cvt_f32_fp8_sdwa v5, v5 src0_sel:BYTE_0
                                        ; implicit-def: $vgpr59
	s_nop 0
	v_mul_f32_e32 v5, s14, v5
	v_and_b32_e32 v57, 0x7f800000, v5
	v_cmp_ne_u32_e64 s[0:1], s16, v57
	s_and_saveexec_b64 s[10:11], s[0:1]
	s_xor_b64 s[0:1], exec, s[10:11]
; %bb.361:                              ;   in Loop: Header=BB322_168 Depth=1
	v_bfe_u32 v57, v5, 16, 1
	v_add3_u32 v59, v5, v57, s17
                                        ; implicit-def: $vgpr5
; %bb.362:                              ;   in Loop: Header=BB322_168 Depth=1
	s_andn2_saveexec_b64 s[10:11], s[0:1]
; %bb.363:                              ;   in Loop: Header=BB322_168 Depth=1
	v_or_b32_e32 v57, 0x10000, v5
	v_cmp_eq_u32_sdwa s[0:1], v5, v15 src0_sel:WORD_0 src1_sel:DWORD
	s_nop 1
	v_cndmask_b32_e64 v59, v57, v5, s[0:1]
; %bb.364:                              ;   in Loop: Header=BB322_168 Depth=1
	s_or_b64 exec, exec, s[10:11]
	v_lshrrev_b32_e32 v54, 16, v54
	v_lshrrev_b32_e32 v57, 16, v55
	;; [unrolled: 1-line block ×8, first 2 shown]
	s_and_saveexec_b64 s[10:11], vcc
	s_cbranch_execz .LBB322_366
; %bb.365:                              ;   in Loop: Header=BB322_168 Depth=1
	v_cmp_gt_i32_e64 s[0:1], s21, v27
	s_nop 1
	v_cndmask_b32_e64 v4, 0, v4, s[0:1]
	v_cmp_gt_i32_e64 s[0:1], s21, v33
	s_nop 1
	v_cndmask_b32_e64 v5, 0, v5, s[0:1]
	;; [unrolled: 3-line block ×8, first 2 shown]
.LBB322_366:                            ;   in Loop: Header=BB322_168 Depth=1
	s_or_b64 exec, exec, s[10:11]
	v_lshlrev_b32_e32 v4, 16, v4
	v_mul_f32_e32 v51, v35, v4
	v_and_b32_e32 v4, 0x7f800000, v51
	v_cmp_ne_u32_e64 s[0:1], s16, v4
                                        ; implicit-def: $vgpr4
	s_and_saveexec_b64 s[10:11], s[0:1]
	s_xor_b64 s[0:1], exec, s[10:11]
; %bb.367:                              ;   in Loop: Header=BB322_168 Depth=1
	v_bfe_u32 v4, v51, 16, 1
	v_add3_u32 v4, v51, v4, s17
                                        ; implicit-def: $vgpr51
; %bb.368:                              ;   in Loop: Header=BB322_168 Depth=1
	s_andn2_saveexec_b64 s[10:11], s[0:1]
; %bb.369:                              ;   in Loop: Header=BB322_168 Depth=1
	v_or_b32_e32 v4, 0x10000, v51
	v_cmp_eq_u32_sdwa s[0:1], v51, v15 src0_sel:WORD_0 src1_sel:DWORD
	s_nop 1
	v_cndmask_b32_e64 v4, v4, v51, s[0:1]
; %bb.370:                              ;   in Loop: Header=BB322_168 Depth=1
	s_or_b64 exec, exec, s[10:11]
	v_lshlrev_b32_e32 v5, 16, v5
	v_mul_f32_e32 v51, v36, v5
	v_and_b32_e32 v5, 0x7f800000, v51
	v_cmp_ne_u32_e64 s[0:1], s16, v5
                                        ; implicit-def: $vgpr5
	s_and_saveexec_b64 s[10:11], s[0:1]
	s_xor_b64 s[0:1], exec, s[10:11]
; %bb.371:                              ;   in Loop: Header=BB322_168 Depth=1
	v_bfe_u32 v5, v51, 16, 1
	v_add3_u32 v5, v51, v5, s17
                                        ; implicit-def: $vgpr51
; %bb.372:                              ;   in Loop: Header=BB322_168 Depth=1
	s_andn2_saveexec_b64 s[10:11], s[0:1]
; %bb.373:                              ;   in Loop: Header=BB322_168 Depth=1
	v_or_b32_e32 v5, 0x10000, v51
	v_cmp_eq_u32_sdwa s[0:1], v51, v15 src0_sel:WORD_0 src1_sel:DWORD
	s_nop 1
	v_cndmask_b32_e64 v5, v5, v51, s[0:1]
; %bb.374:                              ;   in Loop: Header=BB322_168 Depth=1
	s_or_b64 exec, exec, s[10:11]
	v_lshlrev_b32_e32 v51, 16, v53
	v_mul_f32_e32 v52, v37, v51
	v_and_b32_e32 v51, 0x7f800000, v52
	v_cmp_ne_u32_e64 s[0:1], s16, v51
                                        ; implicit-def: $vgpr51
	s_and_saveexec_b64 s[10:11], s[0:1]
	s_xor_b64 s[0:1], exec, s[10:11]
; %bb.375:                              ;   in Loop: Header=BB322_168 Depth=1
	v_bfe_u32 v51, v52, 16, 1
	v_add3_u32 v51, v52, v51, s17
                                        ; implicit-def: $vgpr52
; %bb.376:                              ;   in Loop: Header=BB322_168 Depth=1
	s_andn2_saveexec_b64 s[10:11], s[0:1]
; %bb.377:                              ;   in Loop: Header=BB322_168 Depth=1
	v_or_b32_e32 v51, 0x10000, v52
	v_cmp_eq_u32_sdwa s[0:1], v52, v15 src0_sel:WORD_0 src1_sel:DWORD
	s_nop 1
	v_cndmask_b32_e64 v51, v51, v52, s[0:1]
; %bb.378:                              ;   in Loop: Header=BB322_168 Depth=1
	s_or_b64 exec, exec, s[10:11]
	v_lshlrev_b32_e32 v52, 16, v58
	v_mul_f32_e32 v53, v38, v52
	v_and_b32_e32 v52, 0x7f800000, v53
	v_cmp_ne_u32_e64 s[0:1], s16, v52
                                        ; implicit-def: $vgpr52
	s_and_saveexec_b64 s[10:11], s[0:1]
	s_xor_b64 s[0:1], exec, s[10:11]
; %bb.379:                              ;   in Loop: Header=BB322_168 Depth=1
	v_bfe_u32 v52, v53, 16, 1
	v_add3_u32 v52, v53, v52, s17
                                        ; implicit-def: $vgpr53
; %bb.380:                              ;   in Loop: Header=BB322_168 Depth=1
	s_andn2_saveexec_b64 s[10:11], s[0:1]
; %bb.381:                              ;   in Loop: Header=BB322_168 Depth=1
	v_or_b32_e32 v52, 0x10000, v53
	v_cmp_eq_u32_sdwa s[0:1], v53, v15 src0_sel:WORD_0 src1_sel:DWORD
	s_nop 1
	v_cndmask_b32_e64 v52, v52, v53, s[0:1]
; %bb.382:                              ;   in Loop: Header=BB322_168 Depth=1
	s_or_b64 exec, exec, s[10:11]
	v_lshlrev_b32_e32 v53, 16, v57
	v_mul_f32_e32 v57, v39, v53
	v_and_b32_e32 v53, 0x7f800000, v57
	v_cmp_ne_u32_e64 s[0:1], s16, v53
                                        ; implicit-def: $vgpr53
	s_and_saveexec_b64 s[10:11], s[0:1]
	s_xor_b64 s[0:1], exec, s[10:11]
; %bb.383:                              ;   in Loop: Header=BB322_168 Depth=1
	v_bfe_u32 v53, v57, 16, 1
	v_add3_u32 v53, v57, v53, s17
                                        ; implicit-def: $vgpr57
; %bb.384:                              ;   in Loop: Header=BB322_168 Depth=1
	s_andn2_saveexec_b64 s[10:11], s[0:1]
; %bb.385:                              ;   in Loop: Header=BB322_168 Depth=1
	v_or_b32_e32 v53, 0x10000, v57
	v_cmp_eq_u32_sdwa s[0:1], v57, v15 src0_sel:WORD_0 src1_sel:DWORD
	s_nop 1
	v_cndmask_b32_e64 v53, v53, v57, s[0:1]
; %bb.386:                              ;   in Loop: Header=BB322_168 Depth=1
	s_or_b64 exec, exec, s[10:11]
	v_lshlrev_b32_e32 v54, 16, v54
	v_mul_f32_e32 v57, v40, v54
	v_and_b32_e32 v54, 0x7f800000, v57
	v_cmp_ne_u32_e64 s[0:1], s16, v54
                                        ; implicit-def: $vgpr54
	s_and_saveexec_b64 s[10:11], s[0:1]
	s_xor_b64 s[0:1], exec, s[10:11]
; %bb.387:                              ;   in Loop: Header=BB322_168 Depth=1
	v_bfe_u32 v54, v57, 16, 1
	v_add3_u32 v54, v57, v54, s17
                                        ; implicit-def: $vgpr57
; %bb.388:                              ;   in Loop: Header=BB322_168 Depth=1
	s_andn2_saveexec_b64 s[10:11], s[0:1]
; %bb.389:                              ;   in Loop: Header=BB322_168 Depth=1
	v_or_b32_e32 v54, 0x10000, v57
	v_cmp_eq_u32_sdwa s[0:1], v57, v15 src0_sel:WORD_0 src1_sel:DWORD
	s_nop 1
	v_cndmask_b32_e64 v54, v54, v57, s[0:1]
; %bb.390:                              ;   in Loop: Header=BB322_168 Depth=1
	s_or_b64 exec, exec, s[10:11]
	v_lshlrev_b32_e32 v55, 16, v55
	v_mul_f32_e32 v57, v41, v55
	v_and_b32_e32 v55, 0x7f800000, v57
	v_cmp_ne_u32_e64 s[0:1], s16, v55
                                        ; implicit-def: $vgpr55
	s_and_saveexec_b64 s[10:11], s[0:1]
	s_xor_b64 s[0:1], exec, s[10:11]
; %bb.391:                              ;   in Loop: Header=BB322_168 Depth=1
	v_bfe_u32 v55, v57, 16, 1
	v_add3_u32 v55, v57, v55, s17
                                        ; implicit-def: $vgpr57
; %bb.392:                              ;   in Loop: Header=BB322_168 Depth=1
	s_andn2_saveexec_b64 s[10:11], s[0:1]
; %bb.393:                              ;   in Loop: Header=BB322_168 Depth=1
	v_or_b32_e32 v55, 0x10000, v57
	v_cmp_eq_u32_sdwa s[0:1], v57, v15 src0_sel:WORD_0 src1_sel:DWORD
	s_nop 1
	v_cndmask_b32_e64 v55, v55, v57, s[0:1]
; %bb.394:                              ;   in Loop: Header=BB322_168 Depth=1
	s_or_b64 exec, exec, s[10:11]
	v_lshlrev_b32_e32 v56, 16, v56
	v_mul_f32_e32 v57, v42, v56
	v_and_b32_e32 v56, 0x7f800000, v57
	v_cmp_ne_u32_e64 s[0:1], s16, v56
                                        ; implicit-def: $vgpr56
	s_and_saveexec_b64 s[10:11], s[0:1]
	s_xor_b64 s[0:1], exec, s[10:11]
; %bb.395:                              ;   in Loop: Header=BB322_168 Depth=1
	v_bfe_u32 v56, v57, 16, 1
	v_add3_u32 v56, v57, v56, s17
                                        ; implicit-def: $vgpr57
; %bb.396:                              ;   in Loop: Header=BB322_168 Depth=1
	s_andn2_saveexec_b64 s[10:11], s[0:1]
; %bb.397:                              ;   in Loop: Header=BB322_168 Depth=1
	v_or_b32_e32 v56, 0x10000, v57
	v_cmp_eq_u32_sdwa s[0:1], v57, v15 src0_sel:WORD_0 src1_sel:DWORD
	s_nop 1
	v_cndmask_b32_e64 v56, v56, v57, s[0:1]
; %bb.398:                              ;   in Loop: Header=BB322_168 Depth=1
	s_or_b64 exec, exec, s[10:11]
	global_load_dwordx2 v[2:3], v[2:3], off offset:1536
	s_waitcnt vmcnt(0)
	v_and_b32_e32 v57, 0xff, v2
	v_cvt_f32_fp8_sdwa v57, v57 src0_sel:BYTE_0
	s_nop 0
	v_mul_f32_e32 v58, s14, v57
	v_and_b32_e32 v57, 0x7f800000, v58
	v_cmp_ne_u32_e64 s[0:1], s16, v57
                                        ; implicit-def: $vgpr57
	s_and_saveexec_b64 s[10:11], s[0:1]
	s_xor_b64 s[0:1], exec, s[10:11]
; %bb.399:                              ;   in Loop: Header=BB322_168 Depth=1
	v_bfe_u32 v57, v58, 16, 1
	v_add3_u32 v57, v58, v57, s17
                                        ; implicit-def: $vgpr58
; %bb.400:                              ;   in Loop: Header=BB322_168 Depth=1
	s_andn2_saveexec_b64 s[10:11], s[0:1]
; %bb.401:                              ;   in Loop: Header=BB322_168 Depth=1
	v_or_b32_e32 v57, 0x10000, v58
	v_cmp_eq_u32_sdwa s[0:1], v58, v15 src0_sel:WORD_0 src1_sel:DWORD
	s_nop 1
	v_cndmask_b32_e64 v57, v57, v58, s[0:1]
; %bb.402:                              ;   in Loop: Header=BB322_168 Depth=1
	s_or_b64 exec, exec, s[10:11]
	v_bfe_u32 v58, v2, 8, 8
	v_cvt_f32_fp8_sdwa v58, v58 src0_sel:BYTE_0
	s_nop 0
	v_mul_f32_e32 v59, s14, v58
	v_and_b32_e32 v58, 0x7f800000, v59
	v_cmp_ne_u32_e64 s[0:1], s16, v58
                                        ; implicit-def: $vgpr58
	s_and_saveexec_b64 s[10:11], s[0:1]
	s_xor_b64 s[0:1], exec, s[10:11]
; %bb.403:                              ;   in Loop: Header=BB322_168 Depth=1
	v_bfe_u32 v58, v59, 16, 1
	v_add3_u32 v58, v59, v58, s17
                                        ; implicit-def: $vgpr59
; %bb.404:                              ;   in Loop: Header=BB322_168 Depth=1
	s_andn2_saveexec_b64 s[10:11], s[0:1]
; %bb.405:                              ;   in Loop: Header=BB322_168 Depth=1
	v_or_b32_e32 v58, 0x10000, v59
	v_cmp_eq_u32_sdwa s[0:1], v59, v15 src0_sel:WORD_0 src1_sel:DWORD
	s_nop 1
	v_cndmask_b32_e64 v58, v58, v59, s[0:1]
; %bb.406:                              ;   in Loop: Header=BB322_168 Depth=1
	s_or_b64 exec, exec, s[10:11]
	v_bfe_u32 v59, v2, 16, 8
	v_cvt_f32_fp8_sdwa v59, v59 src0_sel:BYTE_0
	s_nop 0
	v_mul_f32_e32 v59, s14, v59
	v_and_b32_e32 v60, 0x7f800000, v59
	v_cmp_ne_u32_e64 s[0:1], s16, v60
                                        ; implicit-def: $vgpr60
	s_and_saveexec_b64 s[10:11], s[0:1]
	s_xor_b64 s[0:1], exec, s[10:11]
; %bb.407:                              ;   in Loop: Header=BB322_168 Depth=1
	v_bfe_u32 v60, v59, 16, 1
	v_add3_u32 v60, v59, v60, s17
                                        ; implicit-def: $vgpr59
; %bb.408:                              ;   in Loop: Header=BB322_168 Depth=1
	s_andn2_saveexec_b64 s[10:11], s[0:1]
; %bb.409:                              ;   in Loop: Header=BB322_168 Depth=1
	v_or_b32_e32 v60, 0x10000, v59
	v_cmp_eq_u32_sdwa s[0:1], v59, v15 src0_sel:WORD_0 src1_sel:DWORD
	s_nop 1
	v_cndmask_b32_e64 v60, v60, v59, s[0:1]
; %bb.410:                              ;   in Loop: Header=BB322_168 Depth=1
	s_or_b64 exec, exec, s[10:11]
	v_lshrrev_b32_e32 v2, 24, v2
	v_cvt_f32_fp8_sdwa v2, v2 src0_sel:BYTE_0
	s_nop 0
	v_mul_f32_e32 v59, s14, v2
	v_and_b32_e32 v2, 0x7f800000, v59
	v_cmp_ne_u32_e64 s[0:1], s16, v2
                                        ; implicit-def: $vgpr2
	s_and_saveexec_b64 s[10:11], s[0:1]
	s_xor_b64 s[0:1], exec, s[10:11]
; %bb.411:                              ;   in Loop: Header=BB322_168 Depth=1
	v_bfe_u32 v2, v59, 16, 1
	v_add3_u32 v2, v59, v2, s17
                                        ; implicit-def: $vgpr59
; %bb.412:                              ;   in Loop: Header=BB322_168 Depth=1
	s_andn2_saveexec_b64 s[10:11], s[0:1]
; %bb.413:                              ;   in Loop: Header=BB322_168 Depth=1
	v_or_b32_e32 v2, 0x10000, v59
	v_cmp_eq_u32_sdwa s[0:1], v59, v15 src0_sel:WORD_0 src1_sel:DWORD
	s_nop 1
	v_cndmask_b32_e64 v2, v2, v59, s[0:1]
; %bb.414:                              ;   in Loop: Header=BB322_168 Depth=1
	s_or_b64 exec, exec, s[10:11]
	v_and_b32_e32 v59, 0xff, v3
	v_cvt_f32_fp8_sdwa v59, v59 src0_sel:BYTE_0
	s_nop 0
	v_mul_f32_e32 v59, s14, v59
	v_and_b32_e32 v61, 0x7f800000, v59
	v_cmp_ne_u32_e64 s[0:1], s16, v61
                                        ; implicit-def: $vgpr61
	s_and_saveexec_b64 s[10:11], s[0:1]
	s_xor_b64 s[0:1], exec, s[10:11]
; %bb.415:                              ;   in Loop: Header=BB322_168 Depth=1
	v_bfe_u32 v61, v59, 16, 1
	v_add3_u32 v61, v59, v61, s17
                                        ; implicit-def: $vgpr59
; %bb.416:                              ;   in Loop: Header=BB322_168 Depth=1
	s_andn2_saveexec_b64 s[10:11], s[0:1]
; %bb.417:                              ;   in Loop: Header=BB322_168 Depth=1
	v_or_b32_e32 v61, 0x10000, v59
	v_cmp_eq_u32_sdwa s[0:1], v59, v15 src0_sel:WORD_0 src1_sel:DWORD
	s_nop 1
	v_cndmask_b32_e64 v61, v61, v59, s[0:1]
; %bb.418:                              ;   in Loop: Header=BB322_168 Depth=1
	s_or_b64 exec, exec, s[10:11]
	v_bfe_u32 v59, v3, 8, 8
	v_cvt_f32_fp8_sdwa v59, v59 src0_sel:BYTE_0
	s_nop 0
	v_mul_f32_e32 v62, s14, v59
	v_and_b32_e32 v59, 0x7f800000, v62
	v_cmp_ne_u32_e64 s[0:1], s16, v59
                                        ; implicit-def: $vgpr59
	s_and_saveexec_b64 s[10:11], s[0:1]
	s_xor_b64 s[0:1], exec, s[10:11]
; %bb.419:                              ;   in Loop: Header=BB322_168 Depth=1
	v_bfe_u32 v59, v62, 16, 1
	v_add3_u32 v59, v62, v59, s17
                                        ; implicit-def: $vgpr62
; %bb.420:                              ;   in Loop: Header=BB322_168 Depth=1
	s_andn2_saveexec_b64 s[10:11], s[0:1]
; %bb.421:                              ;   in Loop: Header=BB322_168 Depth=1
	v_or_b32_e32 v59, 0x10000, v62
	v_cmp_eq_u32_sdwa s[0:1], v62, v15 src0_sel:WORD_0 src1_sel:DWORD
	s_nop 1
	v_cndmask_b32_e64 v59, v59, v62, s[0:1]
; %bb.422:                              ;   in Loop: Header=BB322_168 Depth=1
	s_or_b64 exec, exec, s[10:11]
	v_bfe_u32 v62, v3, 16, 8
	v_cvt_f32_fp8_sdwa v62, v62 src0_sel:BYTE_0
	s_nop 0
	v_mul_f32_e32 v62, s14, v62
	v_and_b32_e32 v63, 0x7f800000, v62
	v_cmp_ne_u32_e64 s[0:1], s16, v63
                                        ; implicit-def: $vgpr63
	s_and_saveexec_b64 s[10:11], s[0:1]
	s_xor_b64 s[0:1], exec, s[10:11]
; %bb.423:                              ;   in Loop: Header=BB322_168 Depth=1
	v_bfe_u32 v63, v62, 16, 1
	v_add3_u32 v63, v62, v63, s17
                                        ; implicit-def: $vgpr62
; %bb.424:                              ;   in Loop: Header=BB322_168 Depth=1
	s_andn2_saveexec_b64 s[10:11], s[0:1]
; %bb.425:                              ;   in Loop: Header=BB322_168 Depth=1
	v_or_b32_e32 v63, 0x10000, v62
	v_cmp_eq_u32_sdwa s[0:1], v62, v15 src0_sel:WORD_0 src1_sel:DWORD
	s_nop 1
	v_cndmask_b32_e64 v63, v63, v62, s[0:1]
; %bb.426:                              ;   in Loop: Header=BB322_168 Depth=1
	s_or_b64 exec, exec, s[10:11]
	v_lshrrev_b32_e32 v3, 24, v3
	v_cvt_f32_fp8_sdwa v3, v3 src0_sel:BYTE_0
                                        ; implicit-def: $vgpr64
	s_nop 0
	v_mul_f32_e32 v3, s14, v3
	v_and_b32_e32 v62, 0x7f800000, v3
	v_cmp_ne_u32_e64 s[0:1], s16, v62
	s_and_saveexec_b64 s[10:11], s[0:1]
	s_xor_b64 s[0:1], exec, s[10:11]
; %bb.427:                              ;   in Loop: Header=BB322_168 Depth=1
	v_bfe_u32 v62, v3, 16, 1
	v_add3_u32 v64, v3, v62, s17
                                        ; implicit-def: $vgpr3
; %bb.428:                              ;   in Loop: Header=BB322_168 Depth=1
	s_andn2_saveexec_b64 s[10:11], s[0:1]
; %bb.429:                              ;   in Loop: Header=BB322_168 Depth=1
	v_or_b32_e32 v62, 0x10000, v3
	v_cmp_eq_u32_sdwa s[0:1], v3, v15 src0_sel:WORD_0 src1_sel:DWORD
	s_nop 1
	v_cndmask_b32_e64 v64, v62, v3, s[0:1]
; %bb.430:                              ;   in Loop: Header=BB322_168 Depth=1
	s_or_b64 exec, exec, s[10:11]
	v_lshrrev_b32_e32 v59, 16, v59
	v_lshrrev_b32_e32 v61, 16, v61
	v_lshrrev_b32_e32 v62, 16, v2
	v_lshrrev_b32_e32 v60, 16, v60
	v_lshrrev_b32_e32 v3, 16, v58
	v_lshrrev_b32_e32 v2, 16, v57
	v_lshrrev_b32_e32 v58, 16, v63
	v_lshrrev_b32_e32 v57, 16, v64
	s_and_saveexec_b64 s[0:1], vcc
	s_cbranch_execz .LBB322_432
; %bb.431:                              ;   in Loop: Header=BB322_168 Depth=1
	v_cmp_gt_i32_e32 vcc, s21, v27
	s_nop 1
	v_cndmask_b32_e32 v2, 0, v2, vcc
	v_cmp_gt_i32_e32 vcc, s21, v33
	s_nop 1
	v_cndmask_b32_e32 v3, 0, v3, vcc
	;; [unrolled: 3-line block ×8, first 2 shown]
.LBB322_432:                            ;   in Loop: Header=BB322_168 Depth=1
	s_or_b64 exec, exec, s[0:1]
	v_lshlrev_b32_e32 v2, 16, v2
	v_mul_f32_e32 v27, v35, v2
	v_and_b32_e32 v2, 0x7f800000, v27
	v_cmp_ne_u32_e32 vcc, s16, v2
                                        ; implicit-def: $vgpr2
	s_and_saveexec_b64 s[0:1], vcc
	s_xor_b64 s[0:1], exec, s[0:1]
; %bb.433:                              ;   in Loop: Header=BB322_168 Depth=1
	v_bfe_u32 v2, v27, 16, 1
	v_add3_u32 v2, v27, v2, s17
                                        ; implicit-def: $vgpr27
; %bb.434:                              ;   in Loop: Header=BB322_168 Depth=1
	s_andn2_saveexec_b64 s[0:1], s[0:1]
; %bb.435:                              ;   in Loop: Header=BB322_168 Depth=1
	v_or_b32_e32 v2, 0x10000, v27
	v_cmp_eq_u32_sdwa vcc, v27, v15 src0_sel:WORD_0 src1_sel:DWORD
	s_nop 1
	v_cndmask_b32_e32 v2, v2, v27, vcc
; %bb.436:                              ;   in Loop: Header=BB322_168 Depth=1
	s_or_b64 exec, exec, s[0:1]
	v_lshlrev_b32_e32 v3, 16, v3
	v_mul_f32_e32 v27, v36, v3
	v_and_b32_e32 v3, 0x7f800000, v27
	v_cmp_ne_u32_e32 vcc, s16, v3
                                        ; implicit-def: $vgpr3
	s_and_saveexec_b64 s[0:1], vcc
	s_xor_b64 s[0:1], exec, s[0:1]
; %bb.437:                              ;   in Loop: Header=BB322_168 Depth=1
	v_bfe_u32 v3, v27, 16, 1
	v_add3_u32 v3, v27, v3, s17
                                        ; implicit-def: $vgpr27
; %bb.438:                              ;   in Loop: Header=BB322_168 Depth=1
	s_andn2_saveexec_b64 s[0:1], s[0:1]
; %bb.439:                              ;   in Loop: Header=BB322_168 Depth=1
	v_or_b32_e32 v3, 0x10000, v27
	v_cmp_eq_u32_sdwa vcc, v27, v15 src0_sel:WORD_0 src1_sel:DWORD
	s_nop 1
	v_cndmask_b32_e32 v3, v3, v27, vcc
; %bb.440:                              ;   in Loop: Header=BB322_168 Depth=1
	s_or_b64 exec, exec, s[0:1]
	v_lshlrev_b32_e32 v27, 16, v60
	v_mul_f32_e32 v28, v37, v27
	v_and_b32_e32 v27, 0x7f800000, v28
	v_cmp_ne_u32_e32 vcc, s16, v27
                                        ; implicit-def: $vgpr27
	s_and_saveexec_b64 s[0:1], vcc
	s_xor_b64 s[0:1], exec, s[0:1]
; %bb.441:                              ;   in Loop: Header=BB322_168 Depth=1
	v_bfe_u32 v27, v28, 16, 1
	v_add3_u32 v27, v28, v27, s17
                                        ; implicit-def: $vgpr28
; %bb.442:                              ;   in Loop: Header=BB322_168 Depth=1
	s_andn2_saveexec_b64 s[0:1], s[0:1]
; %bb.443:                              ;   in Loop: Header=BB322_168 Depth=1
	v_or_b32_e32 v27, 0x10000, v28
	v_cmp_eq_u32_sdwa vcc, v28, v15 src0_sel:WORD_0 src1_sel:DWORD
	s_nop 1
	v_cndmask_b32_e32 v27, v27, v28, vcc
; %bb.444:                              ;   in Loop: Header=BB322_168 Depth=1
	s_or_b64 exec, exec, s[0:1]
	v_lshlrev_b32_e32 v28, 16, v62
	v_mul_f32_e32 v29, v38, v28
	v_and_b32_e32 v28, 0x7f800000, v29
	v_cmp_ne_u32_e32 vcc, s16, v28
                                        ; implicit-def: $vgpr28
	s_and_saveexec_b64 s[0:1], vcc
	s_xor_b64 s[0:1], exec, s[0:1]
; %bb.445:                              ;   in Loop: Header=BB322_168 Depth=1
	v_bfe_u32 v28, v29, 16, 1
	v_add3_u32 v28, v29, v28, s17
                                        ; implicit-def: $vgpr29
; %bb.446:                              ;   in Loop: Header=BB322_168 Depth=1
	s_andn2_saveexec_b64 s[0:1], s[0:1]
; %bb.447:                              ;   in Loop: Header=BB322_168 Depth=1
	v_or_b32_e32 v28, 0x10000, v29
	v_cmp_eq_u32_sdwa vcc, v29, v15 src0_sel:WORD_0 src1_sel:DWORD
	s_nop 1
	v_cndmask_b32_e32 v28, v28, v29, vcc
; %bb.448:                              ;   in Loop: Header=BB322_168 Depth=1
	s_or_b64 exec, exec, s[0:1]
	v_lshlrev_b32_e32 v29, 16, v61
	v_mul_f32_e32 v30, v39, v29
	v_and_b32_e32 v29, 0x7f800000, v30
	v_cmp_ne_u32_e32 vcc, s16, v29
                                        ; implicit-def: $vgpr29
	s_and_saveexec_b64 s[0:1], vcc
	s_xor_b64 s[0:1], exec, s[0:1]
; %bb.449:                              ;   in Loop: Header=BB322_168 Depth=1
	v_bfe_u32 v29, v30, 16, 1
	v_add3_u32 v29, v30, v29, s17
                                        ; implicit-def: $vgpr30
; %bb.450:                              ;   in Loop: Header=BB322_168 Depth=1
	s_andn2_saveexec_b64 s[0:1], s[0:1]
; %bb.451:                              ;   in Loop: Header=BB322_168 Depth=1
	v_or_b32_e32 v29, 0x10000, v30
	v_cmp_eq_u32_sdwa vcc, v30, v15 src0_sel:WORD_0 src1_sel:DWORD
	s_nop 1
	v_cndmask_b32_e32 v29, v29, v30, vcc
; %bb.452:                              ;   in Loop: Header=BB322_168 Depth=1
	s_or_b64 exec, exec, s[0:1]
	v_lshlrev_b32_e32 v30, 16, v59
	v_mul_f32_e32 v31, v40, v30
	v_and_b32_e32 v30, 0x7f800000, v31
	v_cmp_ne_u32_e32 vcc, s16, v30
                                        ; implicit-def: $vgpr30
	s_and_saveexec_b64 s[0:1], vcc
	s_xor_b64 s[0:1], exec, s[0:1]
; %bb.453:                              ;   in Loop: Header=BB322_168 Depth=1
	v_bfe_u32 v30, v31, 16, 1
	v_add3_u32 v30, v31, v30, s17
                                        ; implicit-def: $vgpr31
; %bb.454:                              ;   in Loop: Header=BB322_168 Depth=1
	s_andn2_saveexec_b64 s[0:1], s[0:1]
; %bb.455:                              ;   in Loop: Header=BB322_168 Depth=1
	v_or_b32_e32 v30, 0x10000, v31
	v_cmp_eq_u32_sdwa vcc, v31, v15 src0_sel:WORD_0 src1_sel:DWORD
	s_nop 1
	v_cndmask_b32_e32 v30, v30, v31, vcc
; %bb.456:                              ;   in Loop: Header=BB322_168 Depth=1
	s_or_b64 exec, exec, s[0:1]
	v_lshlrev_b32_e32 v31, 16, v58
	v_mul_f32_e32 v32, v41, v31
	v_and_b32_e32 v31, 0x7f800000, v32
	v_cmp_ne_u32_e32 vcc, s16, v31
                                        ; implicit-def: $vgpr31
	s_and_saveexec_b64 s[0:1], vcc
	s_xor_b64 s[0:1], exec, s[0:1]
; %bb.457:                              ;   in Loop: Header=BB322_168 Depth=1
	v_bfe_u32 v31, v32, 16, 1
	v_add3_u32 v31, v32, v31, s17
                                        ; implicit-def: $vgpr32
; %bb.458:                              ;   in Loop: Header=BB322_168 Depth=1
	s_andn2_saveexec_b64 s[0:1], s[0:1]
; %bb.459:                              ;   in Loop: Header=BB322_168 Depth=1
	v_or_b32_e32 v31, 0x10000, v32
	v_cmp_eq_u32_sdwa vcc, v32, v15 src0_sel:WORD_0 src1_sel:DWORD
	s_nop 1
	v_cndmask_b32_e32 v31, v31, v32, vcc
; %bb.460:                              ;   in Loop: Header=BB322_168 Depth=1
	s_or_b64 exec, exec, s[0:1]
	v_lshlrev_b32_e32 v32, 16, v57
	v_mul_f32_e32 v33, v42, v32
	v_and_b32_e32 v32, 0x7f800000, v33
	v_cmp_ne_u32_e32 vcc, s16, v32
                                        ; implicit-def: $vgpr32
	s_and_saveexec_b64 s[0:1], vcc
	s_xor_b64 s[0:1], exec, s[0:1]
; %bb.461:                              ;   in Loop: Header=BB322_168 Depth=1
	v_bfe_u32 v32, v33, 16, 1
	v_add3_u32 v32, v33, v32, s17
                                        ; implicit-def: $vgpr33
; %bb.462:                              ;   in Loop: Header=BB322_168 Depth=1
	s_andn2_saveexec_b64 s[0:1], s[0:1]
	s_cbranch_execz .LBB322_167
; %bb.463:                              ;   in Loop: Header=BB322_168 Depth=1
	v_or_b32_e32 v32, 0x10000, v33
	v_cmp_eq_u32_sdwa vcc, v33, v15 src0_sel:WORD_0 src1_sel:DWORD
	s_nop 1
	v_cndmask_b32_e32 v32, v32, v33, vcc
	s_branch .LBB322_167
.LBB322_464:
	s_or_b64 exec, exec, s[2:3]
.LBB322_465:
	s_or_b64 exec, exec, s[8:9]
	ds_bpermute_b32 v2, v21, v12
	ds_bpermute_b32 v3, v21, v13
	;; [unrolled: 1-line block ×4, first 2 shown]
	v_and_b32_e32 v1, 0x3c1, v0
	v_cmp_eq_u32_e32 vcc, 64, v1
	s_waitcnt lgkmcnt(2)
	v_pk_add_f32 v[4:5], v[12:13], v[2:3]
	s_waitcnt lgkmcnt(0)
	v_pk_add_f32 v[2:3], v[10:11], v[6:7]
	s_barrier
	s_and_saveexec_b64 s[0:1], vcc
	s_cbranch_execz .LBB322_467
; %bb.466:
	v_mov_b32_e32 v1, 0x110
	v_lshl_add_u32 v1, v20, 1, v1
	ds_write2_b32 v1, v4, v5 offset1:32
	ds_write2_b32 v1, v2, v3 offset0:64 offset1:96
.LBB322_467:
	s_or_b64 exec, exec, s[0:1]
	s_waitcnt lgkmcnt(0)
	s_barrier
	s_and_saveexec_b64 s[0:1], s[6:7]
	s_cbranch_execz .LBB322_474
; %bb.468:
	v_cmp_eq_u32_e32 vcc, 0, v22
	v_lshrrev_b32_e32 v1, 1, v0
	s_and_saveexec_b64 s[2:3], vcc
	s_cbranch_execnz .LBB322_494
; %bb.469:
	s_or_b64 exec, exec, s[2:3]
	s_and_saveexec_b64 s[2:3], vcc
	s_cbranch_execnz .LBB322_495
.LBB322_470:
	s_or_b64 exec, exec, s[2:3]
	s_and_saveexec_b64 s[2:3], vcc
	s_cbranch_execnz .LBB322_496
.LBB322_471:
	s_or_b64 exec, exec, s[2:3]
	s_and_saveexec_b64 s[2:3], vcc
	s_cbranch_execz .LBB322_473
.LBB322_472:
	v_mov_b32_e32 v6, 0x110
	v_lshl_add_u32 v1, v1, 2, v6
	ds_read_b32 v1, v1 offset:384
	s_waitcnt lgkmcnt(0)
	v_add_f32_e32 v3, v3, v1
.LBB322_473:
	s_or_b64 exec, exec, s[2:3]
.LBB322_474:
	s_or_b64 exec, exec, s[0:1]
	s_barrier
	s_and_saveexec_b64 s[0:1], s[6:7]
	s_cbranch_execz .LBB322_493
; %bb.475:
	v_cmp_eq_u32_e32 vcc, 0, v22
	s_and_b64 exec, exec, vcc
	s_cbranch_execz .LBB322_493
; %bb.476:
	s_mov_b32 s0, 0x7f800000
	v_and_b32_e32 v1, 0x7f800000, v4
	v_cmp_ne_u32_e32 vcc, s0, v1
                                        ; implicit-def: $vgpr6
	s_and_saveexec_b64 s[0:1], vcc
	s_xor_b64 s[0:1], exec, s[0:1]
; %bb.477:
	v_bfe_u32 v1, v4, 16, 1
	s_movk_i32 s2, 0x7fff
	v_add3_u32 v6, v4, v1, s2
; %bb.478:
	s_andn2_saveexec_b64 s[0:1], s[0:1]
; %bb.479:
	v_mov_b32_e32 v1, 0
	v_or_b32_e32 v6, 0x10000, v4
	v_cmp_eq_u32_sdwa vcc, v4, v1 src0_sel:WORD_0 src1_sel:DWORD
	s_nop 1
	v_cndmask_b32_e32 v6, v6, v4, vcc
; %bb.480:
	s_or_b64 exec, exec, s[0:1]
	s_mul_i32 s0, s20, s12
	s_mul_i32 s0, s0, s5
	s_lshl_b32 s0, s0, 7
	s_ashr_i32 s1, s0, 31
	s_lshl_b64 s[0:1], s[0:1], 1
	s_add_u32 s2, s24, s0
	s_mul_i32 s0, s12, s22
	s_addc_u32 s3, s25, s1
	s_ashr_i32 s1, s0, 31
	s_lshl_b64 s[0:1], s[0:1], 1
	s_add_u32 s2, s2, s0
	s_addc_u32 s3, s3, s1
	s_lshl_b32 s0, s4, 7
	s_ashr_i32 s1, s0, 31
	s_lshl_b64 s[0:1], s[0:1], 1
	s_add_u32 s0, s2, s0
	s_mov_b32 s2, 0x7f800000
	v_and_b32_e32 v4, 0x7f800000, v5
	s_addc_u32 s1, s3, s1
	v_and_b32_e32 v0, 0x3fe, v0
	v_mov_b32_e32 v1, 0
	v_cmp_ne_u32_e32 vcc, s2, v4
	global_store_short_d16_hi v0, v6, s[0:1]
                                        ; implicit-def: $vgpr4
	s_and_saveexec_b64 s[2:3], vcc
	s_xor_b64 s[2:3], exec, s[2:3]
; %bb.481:
	v_bfe_u32 v4, v5, 16, 1
	s_movk_i32 s4, 0x7fff
	v_add3_u32 v4, v5, v4, s4
; %bb.482:
	s_or_saveexec_b64 s[2:3], s[2:3]
	v_lshl_add_u64 v[6:7], s[0:1], 0, v[0:1]
	s_xor_b64 exec, exec, s[2:3]
; %bb.483:
	v_mov_b32_e32 v0, 0
	v_or_b32_e32 v1, 0x10000, v5
	v_cmp_eq_u32_sdwa vcc, v5, v0 src0_sel:WORD_0 src1_sel:DWORD
	s_nop 1
	v_cndmask_b32_e32 v4, v1, v5, vcc
; %bb.484:
	s_or_b64 exec, exec, s[2:3]
	s_mov_b32 s0, 0x7f800000
	v_and_b32_e32 v0, 0x7f800000, v2
	v_cmp_ne_u32_e32 vcc, s0, v0
	global_store_short_d16_hi v[6:7], v4, off offset:64
                                        ; implicit-def: $vgpr0
	s_and_saveexec_b64 s[0:1], vcc
	s_xor_b64 s[0:1], exec, s[0:1]
; %bb.485:
	v_bfe_u32 v0, v2, 16, 1
	s_movk_i32 s2, 0x7fff
	v_add3_u32 v0, v2, v0, s2
; %bb.486:
	s_andn2_saveexec_b64 s[0:1], s[0:1]
; %bb.487:
	v_mov_b32_e32 v0, 0
	v_or_b32_e32 v1, 0x10000, v2
	v_cmp_eq_u32_sdwa vcc, v2, v0 src0_sel:WORD_0 src1_sel:DWORD
	s_nop 1
	v_cndmask_b32_e32 v0, v1, v2, vcc
; %bb.488:
	s_or_b64 exec, exec, s[0:1]
	global_store_short_d16_hi v[6:7], v0, off offset:128
	s_mov_b32 s0, 0x7f800000
	v_and_b32_e32 v0, 0x7f800000, v3
	v_cmp_ne_u32_e32 vcc, s0, v0
                                        ; implicit-def: $vgpr4
	s_and_saveexec_b64 s[0:1], vcc
	s_xor_b64 s[0:1], exec, s[0:1]
; %bb.489:
	v_bfe_u32 v0, v3, 16, 1
	s_movk_i32 s2, 0x7fff
	v_add3_u32 v4, v3, v0, s2
                                        ; implicit-def: $vgpr0_vgpr1_vgpr2_vgpr3
; %bb.490:
	s_andn2_saveexec_b64 s[0:1], s[0:1]
; %bb.491:
	v_mov_b32_e32 v0, 0
	v_or_b32_e32 v1, 0x10000, v3
	v_cmp_eq_u32_sdwa vcc, v3, v0 src0_sel:WORD_0 src1_sel:DWORD
	s_nop 1
	v_cndmask_b32_e32 v4, v1, v3, vcc
; %bb.492:
	s_or_b64 exec, exec, s[0:1]
	global_store_short_d16_hi v[6:7], v4, off offset:192
.LBB322_493:
	s_endpgm
.LBB322_494:
	v_mov_b32_e32 v6, 0x110
	v_lshl_add_u32 v6, v1, 2, v6
	ds_read_b32 v6, v6
	s_waitcnt lgkmcnt(0)
	v_add_f32_e32 v4, v4, v6
	s_or_b64 exec, exec, s[2:3]
	s_and_saveexec_b64 s[2:3], vcc
	s_cbranch_execz .LBB322_470
.LBB322_495:
	v_mov_b32_e32 v6, 0x110
	v_lshl_add_u32 v6, v1, 2, v6
	ds_read_b32 v6, v6 offset:128
	s_waitcnt lgkmcnt(0)
	v_add_f32_e32 v5, v5, v6
	s_or_b64 exec, exec, s[2:3]
	s_and_saveexec_b64 s[2:3], vcc
	s_cbranch_execz .LBB322_471
.LBB322_496:
	v_mov_b32_e32 v6, 0x110
	v_lshl_add_u32 v6, v1, 2, v6
	ds_read_b32 v6, v6 offset:256
	s_waitcnt lgkmcnt(0)
	v_add_f32_e32 v2, v2, v6
	s_or_b64 exec, exec, s[2:3]
	s_and_saveexec_b64 s[2:3], vcc
	s_cbranch_execnz .LBB322_472
	s_branch .LBB322_473
	.section	.rodata,"a",@progbits
	.p2align	6, 0x0
	.amdhsa_kernel _ZN4vllm25paged_attention_v1_kernelI14__hip_bfloat16hLi128ELi16ELi128ELNS_18Fp8KVCacheDataTypeE1ELb0EEEvPT_PKS3_PKT0_S9_ifPKiSB_iPKfiiiSD_SD_iiiii
		.amdhsa_group_segment_fixed_size 272
		.amdhsa_private_segment_fixed_size 0
		.amdhsa_kernarg_size 384
		.amdhsa_user_sgpr_count 2
		.amdhsa_user_sgpr_dispatch_ptr 0
		.amdhsa_user_sgpr_queue_ptr 0
		.amdhsa_user_sgpr_kernarg_segment_ptr 1
		.amdhsa_user_sgpr_dispatch_id 0
		.amdhsa_user_sgpr_kernarg_preload_length 0
		.amdhsa_user_sgpr_kernarg_preload_offset 0
		.amdhsa_user_sgpr_private_segment_size 0
		.amdhsa_uses_dynamic_stack 0
		.amdhsa_enable_private_segment 0
		.amdhsa_system_sgpr_workgroup_id_x 1
		.amdhsa_system_sgpr_workgroup_id_y 1
		.amdhsa_system_sgpr_workgroup_id_z 1
		.amdhsa_system_sgpr_workgroup_info 0
		.amdhsa_system_vgpr_workitem_id 0
		.amdhsa_next_free_vgpr 82
		.amdhsa_next_free_sgpr 42
		.amdhsa_accum_offset 84
		.amdhsa_reserve_vcc 1
		.amdhsa_float_round_mode_32 0
		.amdhsa_float_round_mode_16_64 0
		.amdhsa_float_denorm_mode_32 3
		.amdhsa_float_denorm_mode_16_64 3
		.amdhsa_dx10_clamp 1
		.amdhsa_ieee_mode 1
		.amdhsa_fp16_overflow 0
		.amdhsa_tg_split 0
		.amdhsa_exception_fp_ieee_invalid_op 0
		.amdhsa_exception_fp_denorm_src 0
		.amdhsa_exception_fp_ieee_div_zero 0
		.amdhsa_exception_fp_ieee_overflow 0
		.amdhsa_exception_fp_ieee_underflow 0
		.amdhsa_exception_fp_ieee_inexact 0
		.amdhsa_exception_int_div_zero 0
	.end_amdhsa_kernel
	.section	.text._ZN4vllm25paged_attention_v1_kernelI14__hip_bfloat16hLi128ELi16ELi128ELNS_18Fp8KVCacheDataTypeE1ELb0EEEvPT_PKS3_PKT0_S9_ifPKiSB_iPKfiiiSD_SD_iiiii,"axG",@progbits,_ZN4vllm25paged_attention_v1_kernelI14__hip_bfloat16hLi128ELi16ELi128ELNS_18Fp8KVCacheDataTypeE1ELb0EEEvPT_PKS3_PKT0_S9_ifPKiSB_iPKfiiiSD_SD_iiiii,comdat
.Lfunc_end322:
	.size	_ZN4vllm25paged_attention_v1_kernelI14__hip_bfloat16hLi128ELi16ELi128ELNS_18Fp8KVCacheDataTypeE1ELb0EEEvPT_PKS3_PKT0_S9_ifPKiSB_iPKfiiiSD_SD_iiiii, .Lfunc_end322-_ZN4vllm25paged_attention_v1_kernelI14__hip_bfloat16hLi128ELi16ELi128ELNS_18Fp8KVCacheDataTypeE1ELb0EEEvPT_PKS3_PKT0_S9_ifPKiSB_iPKfiiiSD_SD_iiiii
                                        ; -- End function
	.section	.AMDGPU.csdata,"",@progbits
; Kernel info:
; codeLenInByte = 14984
; NumSgprs: 48
; NumVgprs: 82
; NumAgprs: 0
; TotalNumVgprs: 82
; ScratchSize: 0
; MemoryBound: 0
; FloatMode: 240
; IeeeMode: 1
; LDSByteSize: 272 bytes/workgroup (compile time only)
; SGPRBlocks: 5
; VGPRBlocks: 10
; NumSGPRsForWavesPerEU: 48
; NumVGPRsForWavesPerEU: 82
; AccumOffset: 84
; Occupancy: 5
; WaveLimiterHint : 1
; COMPUTE_PGM_RSRC2:SCRATCH_EN: 0
; COMPUTE_PGM_RSRC2:USER_SGPR: 2
; COMPUTE_PGM_RSRC2:TRAP_HANDLER: 0
; COMPUTE_PGM_RSRC2:TGID_X_EN: 1
; COMPUTE_PGM_RSRC2:TGID_Y_EN: 1
; COMPUTE_PGM_RSRC2:TGID_Z_EN: 1
; COMPUTE_PGM_RSRC2:TIDIG_COMP_CNT: 0
; COMPUTE_PGM_RSRC3_GFX90A:ACCUM_OFFSET: 20
; COMPUTE_PGM_RSRC3_GFX90A:TG_SPLIT: 0
	.section	.text._ZN4vllm25paged_attention_v1_kernelI14__hip_bfloat16hLi192ELi16ELi128ELNS_18Fp8KVCacheDataTypeE1ELb0EEEvPT_PKS3_PKT0_S9_ifPKiSB_iPKfiiiSD_SD_iiiii,"axG",@progbits,_ZN4vllm25paged_attention_v1_kernelI14__hip_bfloat16hLi192ELi16ELi128ELNS_18Fp8KVCacheDataTypeE1ELb0EEEvPT_PKS3_PKT0_S9_ifPKiSB_iPKfiiiSD_SD_iiiii,comdat
	.protected	_ZN4vllm25paged_attention_v1_kernelI14__hip_bfloat16hLi192ELi16ELi128ELNS_18Fp8KVCacheDataTypeE1ELb0EEEvPT_PKS3_PKT0_S9_ifPKiSB_iPKfiiiSD_SD_iiiii ; -- Begin function _ZN4vllm25paged_attention_v1_kernelI14__hip_bfloat16hLi192ELi16ELi128ELNS_18Fp8KVCacheDataTypeE1ELb0EEEvPT_PKS3_PKT0_S9_ifPKiSB_iPKfiiiSD_SD_iiiii
	.globl	_ZN4vllm25paged_attention_v1_kernelI14__hip_bfloat16hLi192ELi16ELi128ELNS_18Fp8KVCacheDataTypeE1ELb0EEEvPT_PKS3_PKT0_S9_ifPKiSB_iPKfiiiSD_SD_iiiii
	.p2align	8
	.type	_ZN4vllm25paged_attention_v1_kernelI14__hip_bfloat16hLi192ELi16ELi128ELNS_18Fp8KVCacheDataTypeE1ELb0EEEvPT_PKS3_PKT0_S9_ifPKiSB_iPKfiiiSD_SD_iiiii,@function
_ZN4vllm25paged_attention_v1_kernelI14__hip_bfloat16hLi192ELi16ELi128ELNS_18Fp8KVCacheDataTypeE1ELb0EEEvPT_PKS3_PKT0_S9_ifPKiSB_iPKfiiiSD_SD_iiiii: ; @_ZN4vllm25paged_attention_v1_kernelI14__hip_bfloat16hLi192ELi16ELi128ELNS_18Fp8KVCacheDataTypeE1ELb0EEEvPT_PKS3_PKT0_S9_ifPKiSB_iPKfiiiSD_SD_iiiii
; %bb.0:
	s_load_dword s5, s[0:1], 0x80
	s_load_dwordx2 s[6:7], s[0:1], 0x30
	s_load_dwordx2 s[28:29], s[0:1], 0x20
	s_mov_b32 s16, s3
	s_ashr_i32 s17, s3, 31
	s_lshl_b64 s[8:9], s[16:17], 2
	s_waitcnt lgkmcnt(0)
	s_add_u32 s6, s6, s8
	s_addc_u32 s7, s7, s9
	s_abs_i32 s3, s28
	v_cvt_f32_u32_e32 v1, s3
	s_sub_i32 s10, 0, s3
	s_abs_i32 s9, s5
	s_xor_b32 s8, s5, s28
	v_rcp_iflag_f32_e32 v1, v1
	s_ashr_i32 s8, s8, 31
	s_mov_b32 s28, 0
	v_mul_f32_e32 v1, 0x4f7ffffe, v1
	v_cvt_u32_f32_e32 v1, v1
	s_nop 0
	v_readfirstlane_b32 s11, v1
	s_mul_i32 s10, s10, s11
	s_mul_hi_u32 s10, s11, s10
	s_add_i32 s11, s11, s10
	s_mul_hi_u32 s10, s9, s11
	s_mul_i32 s11, s10, s3
	s_sub_i32 s9, s9, s11
	s_add_i32 s11, s10, 1
	s_sub_i32 s12, s9, s3
	s_cmp_ge_u32 s9, s3
	s_cselect_b32 s10, s11, s10
	s_cselect_b32 s9, s12, s9
	s_add_i32 s11, s10, 1
	s_cmp_ge_u32 s9, s3
	s_cselect_b32 s3, s11, s10
	s_xor_b32 s3, s3, s8
	s_sub_i32 s12, s3, s8
	s_abs_i32 s10, s12
	v_cvt_f32_u32_e32 v1, s10
	s_load_dwordx2 s[8:9], s[0:1], 0x40
	s_sub_i32 s3, 0, s10
	s_abs_i32 s11, s2
	v_rcp_iflag_f32_e32 v1, v1
	s_nop 0
	v_mul_f32_e32 v1, 0x4f7ffffe, v1
	v_cvt_u32_f32_e32 v1, v1
	s_nop 0
	v_readfirstlane_b32 s13, v1
	s_mul_i32 s3, s3, s13
	s_mul_hi_u32 s3, s13, s3
	s_add_i32 s13, s13, s3
	s_waitcnt lgkmcnt(0)
	s_cmp_eq_u64 s[8:9], 0
	s_mul_hi_u32 s20, s11, s13
	s_cbranch_scc1 .LBB323_2
; %bb.1:
	s_ashr_i32 s3, s2, 31
	s_lshl_b64 s[14:15], s[2:3], 2
	s_add_u32 s8, s8, s14
	s_addc_u32 s9, s9, s15
	s_load_dword s28, s[8:9], 0x0
.LBB323_2:
	s_load_dword s17, s[6:7], 0x0
	s_ashr_i32 s7, s12, 31
	s_load_dwordx4 s[12:15], s[0:1], 0x48
	s_movk_i32 s8, 0x60
	s_ashr_i32 s6, s2, 31
	v_and_b32_e32 v6, 3, v0
	s_mul_i32 s18, s2, 0xc0
	v_cmp_gt_u32_e32 vcc, s8, v0
	s_and_saveexec_b64 s[2:3], vcc
	s_cbranch_execz .LBB323_4
; %bb.3:
	s_load_dwordx2 s[22:23], s[0:1], 0x8
	s_waitcnt lgkmcnt(0)
	s_mul_i32 s24, s16, s12
	s_ashr_i32 s25, s24, 31
	s_lshl_b64 s[24:25], s[24:25], 1
	v_lshlrev_b32_e32 v1, 2, v0
	s_add_u32 s9, s22, s24
	s_addc_u32 s12, s23, s25
	s_ashr_i32 s19, s18, 31
	s_lshl_b64 s[22:23], s[18:19], 1
	s_add_u32 s22, s9, s22
	s_addc_u32 s23, s12, s23
	global_load_dword v1, v1, s[22:23]
	v_and_b32_e32 v2, 0x3fc, v0
	v_mad_u32_u24 v2, v6, s8, v2
	s_waitcnt vmcnt(0)
	ds_write_b32 v2, v1
.LBB323_4:
	s_or_b64 exec, exec, s[2:3]
	s_waitcnt lgkmcnt(0)
	s_add_i32 s3, s17, 15
	s_ashr_i32 s8, s3, 31
	s_lshr_b32 s8, s8, 28
	s_add_i32 s3, s3, s8
	s_ashr_i32 s19, s3, 4
	s_xor_b32 s3, s6, s7
	s_mul_i32 s6, s20, s10
	s_sub_i32 s6, s11, s6
	s_add_i32 s7, s20, 1
	s_sub_i32 s8, s6, s10
	s_load_dwordx2 s[22:23], s[0:1], 0x28
	s_load_dword s2, s[0:1], 0x38
	s_cmp_ge_u32 s6, s10
	s_cselect_b32 s7, s7, s20
	s_cselect_b32 s6, s8, s6
	s_add_i32 s8, s7, 1
	s_cmp_ge_u32 s6, s10
	s_cselect_b32 s6, s8, s7
	v_lshrrev_b32_e32 v1, 6, v0
	s_xor_b32 s6, s6, s3
	s_waitcnt lgkmcnt(0)
	s_mul_i32 s24, s16, s2
	s_sub_i32 s33, s6, s3
	s_ashr_i32 s25, s24, 31
	v_cmp_gt_i32_e64 s[6:7], s19, v1
	v_cmp_le_i32_e32 vcc, s19, v1
	v_mbcnt_lo_u32_b32 v7, -1, 0
	s_barrier
	s_waitcnt lgkmcnt(0)
                                        ; implicit-def: $sgpr15
                                        ; implicit-def: $vgpr10
                                        ; implicit-def: $vgpr11
	s_and_saveexec_b64 s[2:3], vcc
	s_xor_b64 s[2:3], exec, s[2:3]
; %bb.5:
	v_mbcnt_hi_u32_b32 v10, -1, v7
	v_and_b32_e32 v2, 64, v10
	v_add_u32_e32 v11, 64, v2
	s_mov_b32 s15, 0xff7fffff
                                        ; implicit-def: $vgpr6
                                        ; implicit-def: $vgpr7
; %bb.6:
	s_or_saveexec_b64 s[30:31], s[2:3]
	s_load_dwordx2 s[20:21], s[0:1], 0x0
	s_load_dwordx2 s[26:27], s[0:1], 0x18
	s_load_dword s12, s[0:1], 0x88
	s_load_dwordx4 s[8:11], s[0:1], 0x58
	v_mov_b32_e32 v62, s15
	s_mul_i32 s33, s33, s14
	v_lshrrev_b32_e32 v20, 4, v0
	s_xor_b64 exec, exec, s[30:31]
	s_cbranch_execz .LBB323_204
; %bb.7:
	v_mul_u32_u24_e32 v4, 0x60, v6
	ds_read_b128 v[8:11], v4
	ds_read_b128 v[26:29], v4 offset:16
	ds_read_b128 v[34:37], v4 offset:32
	;; [unrolled: 1-line block ×3, first 2 shown]
	s_load_dwordx2 s[0:1], s[0:1], 0x10
	s_ashr_i32 s2, s33, 31
	v_bfe_u32 v62, v0, 2, 4
	s_waitcnt lgkmcnt(0)
	v_lshlrev_b32_e32 v12, 16, v8
	v_and_b32_e32 v13, 0xffff0000, v8
	v_lshlrev_b32_e32 v14, 16, v9
	v_and_b32_e32 v15, 0xffff0000, v9
	;; [unrolled: 2-line block ×4, first 2 shown]
	ds_read_b128 v[8:11], v4 offset:64
	ds_read_b128 v[58:61], v4 offset:80
	s_add_u32 s0, s0, s33
	v_lshlrev_b32_e32 v2, 4, v62
	s_addc_u32 s1, s1, s2
	s_waitcnt lgkmcnt(1)
	v_lshlrev_b32_e32 v49, 16, v10
	v_and_b32_e32 v50, 0xffff0000, v10
	v_mbcnt_hi_u32_b32 v10, -1, v7
	v_and_b32_e32 v7, 64, v10
	v_lshlrev_b32_e32 v51, 16, v11
	v_and_b32_e32 v52, 0xffff0000, v11
	v_add_u32_e32 v11, 64, v7
	v_xor_b32_e32 v7, 2, v10
	v_mov_b32_e32 v3, 0
	v_cmp_lt_i32_e32 vcc, v7, v11
	v_lshl_add_u64 v[4:5], s[0:1], 0, v[2:3]
	v_lshlrev_b32_e32 v2, 1, v6
	v_cndmask_b32_e32 v7, v10, v7, vcc
	v_cmp_eq_u32_e32 vcc, 0, v6
	v_xor_b32_e32 v6, 1, v10
	v_cmp_lt_i32_e64 s[0:1], v6, v11
	s_load_dword s35, s[8:9], 0x0
	s_sub_i32 s36, 1, s17
	v_cndmask_b32_e64 v6, v10, v6, s[0:1]
	v_lshlrev_b32_e32 v63, 2, v6
	v_lshlrev_b32_e32 v6, 2, v62
	s_lshl_b64 s[0:1], s[24:25], 2
	v_lshl_or_b32 v6, v1, 6, v6
	s_add_u32 s0, s22, s0
	s_waitcnt lgkmcnt(0)
	v_lshlrev_b32_e32 v53, 16, v58
	v_and_b32_e32 v54, 0xffff0000, v58
	v_lshlrev_b32_e32 v55, 16, v59
	v_and_b32_e32 v56, 0xffff0000, v59
	v_lshlrev_b32_e32 v57, 16, v60
	v_and_b32_e32 v58, 0xffff0000, v60
	v_lshlrev_b32_e32 v59, 16, v61
	v_and_b32_e32 v60, 0xffff0000, v61
	v_lshlrev_b32_e32 v61, 2, v7
	v_add_u32_e32 v65, 0x190, v6
	v_and_b32_e32 v6, 60, v20
	v_mov_b32_e32 v7, v3
	s_addc_u32 s1, s23, s1
	s_mov_b32 s34, s13
	v_lshlrev_b32_e32 v21, 16, v26
	v_and_b32_e32 v22, 0xffff0000, v26
	v_lshlrev_b32_e32 v23, 16, v27
	v_and_b32_e32 v24, 0xffff0000, v27
	v_lshlrev_b32_e32 v25, 16, v28
	v_and_b32_e32 v26, 0xffff0000, v28
	v_lshlrev_b32_e32 v27, 16, v29
	v_and_b32_e32 v28, 0xffff0000, v29
	v_lshlrev_b32_e32 v29, 16, v34
	v_and_b32_e32 v30, 0xffff0000, v34
	v_lshlrev_b32_e32 v31, 16, v35
	v_and_b32_e32 v32, 0xffff0000, v35
	v_lshlrev_b32_e32 v33, 16, v36
	v_and_b32_e32 v34, 0xffff0000, v36
	v_lshlrev_b32_e32 v35, 16, v37
	v_and_b32_e32 v36, 0xffff0000, v37
	v_lshlrev_b32_e32 v37, 16, v42
	v_and_b32_e32 v38, 0xffff0000, v42
	v_lshlrev_b32_e32 v39, 16, v43
	v_and_b32_e32 v40, 0xffff0000, v43
	v_lshlrev_b32_e32 v41, 16, v44
	v_and_b32_e32 v42, 0xffff0000, v44
	v_lshlrev_b32_e32 v43, 16, v45
	v_and_b32_e32 v44, 0xffff0000, v45
	v_lshlrev_b32_e32 v45, 16, v8
	v_and_b32_e32 v46, 0xffff0000, v8
	v_lshlrev_b32_e32 v47, 16, v9
	v_and_b32_e32 v48, 0xffff0000, v9
	v_cmp_neq_f32_e64 s[2:3], s28, 0
	v_lshl_or_b32 v64, v1, 4, v62
	v_lshl_add_u64 v[6:7], s[0:1], 0, v[6:7]
	s_mov_b64 s[8:9], 0
	s_mov_b32 s37, 0xffff
	s_mov_b32 s38, 0x7f800000
	s_movk_i32 s39, 0x7fff
	v_mov_b32_e32 v62, 0xff7fffff
	v_mov_b32_e32 v66, v1
	s_branch .LBB323_9
.LBB323_8:                              ;   in Loop: Header=BB323_9 Depth=1
	s_or_b64 exec, exec, s[14:15]
	v_add_u32_e32 v66, 2, v66
	v_cmp_le_i32_e64 s[0:1], s19, v66
	v_add_u32_e32 v64, 32, v64
	v_add_u32_e32 v65, 0x80, v65
	s_or_b64 s[8:9], s[0:1], s[8:9]
	v_lshl_add_u64 v[6:7], v[6:7], 0, 8
	s_andn2_b64 exec, exec, s[8:9]
	s_cbranch_execz .LBB323_203
.LBB323_9:                              ; =>This Inner Loop Header: Depth=1
	global_load_dword v8, v[6:7], off
	s_waitcnt vmcnt(0) lgkmcnt(0)
	v_mad_i64_i32 v[8:9], s[0:1], v8, s34, v[4:5]
	v_lshl_add_u64 v[8:9], v[8:9], 0, v[2:3]
	global_load_ushort v68, v[8:9], off
	s_waitcnt vmcnt(0)
	v_and_b32_sdwa v67, s37, v68 dst_sel:DWORD dst_unused:UNUSED_PAD src0_sel:DWORD src1_sel:BYTE_0
	v_cvt_f32_fp8_sdwa v67, v67 src0_sel:BYTE_0
	s_nop 0
	v_mul_f32_e32 v69, s35, v67
	v_and_b32_e32 v67, 0x7f800000, v69
	v_cmp_ne_u32_e64 s[0:1], s38, v67
                                        ; implicit-def: $vgpr67
	s_and_saveexec_b64 s[14:15], s[0:1]
	s_xor_b64 s[0:1], exec, s[14:15]
; %bb.10:                               ;   in Loop: Header=BB323_9 Depth=1
	v_bfe_u32 v67, v69, 16, 1
	v_add3_u32 v67, v69, v67, s39
                                        ; implicit-def: $vgpr69
; %bb.11:                               ;   in Loop: Header=BB323_9 Depth=1
	s_andn2_saveexec_b64 s[14:15], s[0:1]
; %bb.12:                               ;   in Loop: Header=BB323_9 Depth=1
	v_or_b32_e32 v67, 0x10000, v69
	v_cmp_eq_u32_sdwa s[0:1], v69, v3 src0_sel:WORD_0 src1_sel:DWORD
	s_nop 1
	v_cndmask_b32_e64 v67, v67, v69, s[0:1]
; %bb.13:                               ;   in Loop: Header=BB323_9 Depth=1
	s_or_b64 exec, exec, s[14:15]
	v_lshrrev_b16_e32 v68, 8, v68
	v_cvt_f32_fp8_sdwa v68, v68 src0_sel:BYTE_0
	s_nop 0
	v_mul_f32_e32 v69, s35, v68
	v_and_b32_e32 v68, 0x7f800000, v69
	v_cmp_ne_u32_e64 s[0:1], s38, v68
                                        ; implicit-def: $vgpr68
	s_and_saveexec_b64 s[14:15], s[0:1]
	s_xor_b64 s[0:1], exec, s[14:15]
; %bb.14:                               ;   in Loop: Header=BB323_9 Depth=1
	v_bfe_u32 v68, v69, 16, 1
	v_add3_u32 v68, v69, v68, s39
                                        ; implicit-def: $vgpr69
; %bb.15:                               ;   in Loop: Header=BB323_9 Depth=1
	s_andn2_saveexec_b64 s[14:15], s[0:1]
; %bb.16:                               ;   in Loop: Header=BB323_9 Depth=1
	v_or_b32_e32 v68, 0x10000, v69
	v_cmp_eq_u32_sdwa s[0:1], v69, v3 src0_sel:WORD_0 src1_sel:DWORD
	s_nop 1
	v_cndmask_b32_e64 v68, v68, v69, s[0:1]
; %bb.17:                               ;   in Loop: Header=BB323_9 Depth=1
	s_or_b64 exec, exec, s[14:15]
	global_load_ushort v70, v[8:9], off offset:8
	s_waitcnt vmcnt(0)
	v_and_b32_sdwa v69, s37, v70 dst_sel:DWORD dst_unused:UNUSED_PAD src0_sel:DWORD src1_sel:BYTE_0
	v_cvt_f32_fp8_sdwa v69, v69 src0_sel:BYTE_0
	s_nop 0
	v_mul_f32_e32 v71, s35, v69
	v_and_b32_e32 v69, 0x7f800000, v71
	v_cmp_ne_u32_e64 s[0:1], s38, v69
                                        ; implicit-def: $vgpr69
	s_and_saveexec_b64 s[14:15], s[0:1]
	s_xor_b64 s[0:1], exec, s[14:15]
; %bb.18:                               ;   in Loop: Header=BB323_9 Depth=1
	v_bfe_u32 v69, v71, 16, 1
	v_add3_u32 v69, v71, v69, s39
                                        ; implicit-def: $vgpr71
; %bb.19:                               ;   in Loop: Header=BB323_9 Depth=1
	s_andn2_saveexec_b64 s[14:15], s[0:1]
; %bb.20:                               ;   in Loop: Header=BB323_9 Depth=1
	v_or_b32_e32 v69, 0x10000, v71
	v_cmp_eq_u32_sdwa s[0:1], v71, v3 src0_sel:WORD_0 src1_sel:DWORD
	s_nop 1
	v_cndmask_b32_e64 v69, v69, v71, s[0:1]
; %bb.21:                               ;   in Loop: Header=BB323_9 Depth=1
	s_or_b64 exec, exec, s[14:15]
	v_lshrrev_b16_e32 v70, 8, v70
	v_cvt_f32_fp8_sdwa v70, v70 src0_sel:BYTE_0
	s_nop 0
	v_mul_f32_e32 v71, s35, v70
	v_and_b32_e32 v70, 0x7f800000, v71
	v_cmp_ne_u32_e64 s[0:1], s38, v70
                                        ; implicit-def: $vgpr70
	s_and_saveexec_b64 s[14:15], s[0:1]
	s_xor_b64 s[0:1], exec, s[14:15]
; %bb.22:                               ;   in Loop: Header=BB323_9 Depth=1
	v_bfe_u32 v70, v71, 16, 1
	v_add3_u32 v70, v71, v70, s39
                                        ; implicit-def: $vgpr71
; %bb.23:                               ;   in Loop: Header=BB323_9 Depth=1
	s_andn2_saveexec_b64 s[14:15], s[0:1]
; %bb.24:                               ;   in Loop: Header=BB323_9 Depth=1
	v_or_b32_e32 v70, 0x10000, v71
	v_cmp_eq_u32_sdwa s[0:1], v71, v3 src0_sel:WORD_0 src1_sel:DWORD
	s_nop 1
	v_cndmask_b32_e64 v70, v70, v71, s[0:1]
; %bb.25:                               ;   in Loop: Header=BB323_9 Depth=1
	s_or_b64 exec, exec, s[14:15]
	global_load_ushort v72, v[8:9], off offset:256
	s_waitcnt vmcnt(0)
	v_and_b32_sdwa v71, s37, v72 dst_sel:DWORD dst_unused:UNUSED_PAD src0_sel:DWORD src1_sel:BYTE_0
	v_cvt_f32_fp8_sdwa v71, v71 src0_sel:BYTE_0
	s_nop 0
	v_mul_f32_e32 v73, s35, v71
	v_and_b32_e32 v71, 0x7f800000, v73
	v_cmp_ne_u32_e64 s[0:1], s38, v71
                                        ; implicit-def: $vgpr71
	s_and_saveexec_b64 s[14:15], s[0:1]
	s_xor_b64 s[0:1], exec, s[14:15]
; %bb.26:                               ;   in Loop: Header=BB323_9 Depth=1
	v_bfe_u32 v71, v73, 16, 1
	v_add3_u32 v71, v73, v71, s39
                                        ; implicit-def: $vgpr73
; %bb.27:                               ;   in Loop: Header=BB323_9 Depth=1
	s_andn2_saveexec_b64 s[14:15], s[0:1]
; %bb.28:                               ;   in Loop: Header=BB323_9 Depth=1
	v_or_b32_e32 v71, 0x10000, v73
	v_cmp_eq_u32_sdwa s[0:1], v73, v3 src0_sel:WORD_0 src1_sel:DWORD
	s_nop 1
	v_cndmask_b32_e64 v71, v71, v73, s[0:1]
; %bb.29:                               ;   in Loop: Header=BB323_9 Depth=1
	s_or_b64 exec, exec, s[14:15]
	v_lshrrev_b16_e32 v72, 8, v72
	v_cvt_f32_fp8_sdwa v72, v72 src0_sel:BYTE_0
	s_nop 0
	v_mul_f32_e32 v73, s35, v72
	v_and_b32_e32 v72, 0x7f800000, v73
	v_cmp_ne_u32_e64 s[0:1], s38, v72
                                        ; implicit-def: $vgpr72
	s_and_saveexec_b64 s[14:15], s[0:1]
	s_xor_b64 s[0:1], exec, s[14:15]
; %bb.30:                               ;   in Loop: Header=BB323_9 Depth=1
	v_bfe_u32 v72, v73, 16, 1
	v_add3_u32 v72, v73, v72, s39
                                        ; implicit-def: $vgpr73
; %bb.31:                               ;   in Loop: Header=BB323_9 Depth=1
	s_andn2_saveexec_b64 s[14:15], s[0:1]
; %bb.32:                               ;   in Loop: Header=BB323_9 Depth=1
	v_or_b32_e32 v72, 0x10000, v73
	v_cmp_eq_u32_sdwa s[0:1], v73, v3 src0_sel:WORD_0 src1_sel:DWORD
	s_nop 1
	v_cndmask_b32_e64 v72, v72, v73, s[0:1]
; %bb.33:                               ;   in Loop: Header=BB323_9 Depth=1
	s_or_b64 exec, exec, s[14:15]
	global_load_ushort v74, v[8:9], off offset:264
	s_waitcnt vmcnt(0)
	v_and_b32_sdwa v73, s37, v74 dst_sel:DWORD dst_unused:UNUSED_PAD src0_sel:DWORD src1_sel:BYTE_0
	v_cvt_f32_fp8_sdwa v73, v73 src0_sel:BYTE_0
	s_nop 0
	v_mul_f32_e32 v75, s35, v73
	v_and_b32_e32 v73, 0x7f800000, v75
	v_cmp_ne_u32_e64 s[0:1], s38, v73
                                        ; implicit-def: $vgpr73
	s_and_saveexec_b64 s[14:15], s[0:1]
	s_xor_b64 s[0:1], exec, s[14:15]
; %bb.34:                               ;   in Loop: Header=BB323_9 Depth=1
	v_bfe_u32 v73, v75, 16, 1
	v_add3_u32 v73, v75, v73, s39
                                        ; implicit-def: $vgpr75
; %bb.35:                               ;   in Loop: Header=BB323_9 Depth=1
	s_andn2_saveexec_b64 s[14:15], s[0:1]
; %bb.36:                               ;   in Loop: Header=BB323_9 Depth=1
	v_or_b32_e32 v73, 0x10000, v75
	v_cmp_eq_u32_sdwa s[0:1], v75, v3 src0_sel:WORD_0 src1_sel:DWORD
	s_nop 1
	v_cndmask_b32_e64 v73, v73, v75, s[0:1]
; %bb.37:                               ;   in Loop: Header=BB323_9 Depth=1
	s_or_b64 exec, exec, s[14:15]
	v_lshrrev_b16_e32 v74, 8, v74
	v_cvt_f32_fp8_sdwa v74, v74 src0_sel:BYTE_0
	s_nop 0
	v_mul_f32_e32 v75, s35, v74
	v_and_b32_e32 v74, 0x7f800000, v75
	v_cmp_ne_u32_e64 s[0:1], s38, v74
                                        ; implicit-def: $vgpr74
	s_and_saveexec_b64 s[14:15], s[0:1]
	s_xor_b64 s[0:1], exec, s[14:15]
; %bb.38:                               ;   in Loop: Header=BB323_9 Depth=1
	v_bfe_u32 v74, v75, 16, 1
	v_add3_u32 v74, v75, v74, s39
                                        ; implicit-def: $vgpr75
; %bb.39:                               ;   in Loop: Header=BB323_9 Depth=1
	s_andn2_saveexec_b64 s[14:15], s[0:1]
; %bb.40:                               ;   in Loop: Header=BB323_9 Depth=1
	v_or_b32_e32 v74, 0x10000, v75
	v_cmp_eq_u32_sdwa s[0:1], v75, v3 src0_sel:WORD_0 src1_sel:DWORD
	s_nop 1
	v_cndmask_b32_e64 v74, v74, v75, s[0:1]
; %bb.41:                               ;   in Loop: Header=BB323_9 Depth=1
	s_or_b64 exec, exec, s[14:15]
	global_load_ushort v76, v[8:9], off offset:512
	s_waitcnt vmcnt(0)
	v_and_b32_sdwa v75, s37, v76 dst_sel:DWORD dst_unused:UNUSED_PAD src0_sel:DWORD src1_sel:BYTE_0
	v_cvt_f32_fp8_sdwa v75, v75 src0_sel:BYTE_0
	s_nop 0
	v_mul_f32_e32 v77, s35, v75
	v_and_b32_e32 v75, 0x7f800000, v77
	v_cmp_ne_u32_e64 s[0:1], s38, v75
                                        ; implicit-def: $vgpr75
	s_and_saveexec_b64 s[14:15], s[0:1]
	s_xor_b64 s[0:1], exec, s[14:15]
; %bb.42:                               ;   in Loop: Header=BB323_9 Depth=1
	v_bfe_u32 v75, v77, 16, 1
	v_add3_u32 v75, v77, v75, s39
                                        ; implicit-def: $vgpr77
; %bb.43:                               ;   in Loop: Header=BB323_9 Depth=1
	s_andn2_saveexec_b64 s[14:15], s[0:1]
; %bb.44:                               ;   in Loop: Header=BB323_9 Depth=1
	v_or_b32_e32 v75, 0x10000, v77
	v_cmp_eq_u32_sdwa s[0:1], v77, v3 src0_sel:WORD_0 src1_sel:DWORD
	s_nop 1
	v_cndmask_b32_e64 v75, v75, v77, s[0:1]
; %bb.45:                               ;   in Loop: Header=BB323_9 Depth=1
	s_or_b64 exec, exec, s[14:15]
	v_lshrrev_b16_e32 v76, 8, v76
	v_cvt_f32_fp8_sdwa v76, v76 src0_sel:BYTE_0
	s_nop 0
	v_mul_f32_e32 v77, s35, v76
	v_and_b32_e32 v76, 0x7f800000, v77
	v_cmp_ne_u32_e64 s[0:1], s38, v76
                                        ; implicit-def: $vgpr76
	s_and_saveexec_b64 s[14:15], s[0:1]
	s_xor_b64 s[0:1], exec, s[14:15]
; %bb.46:                               ;   in Loop: Header=BB323_9 Depth=1
	v_bfe_u32 v76, v77, 16, 1
	v_add3_u32 v76, v77, v76, s39
                                        ; implicit-def: $vgpr77
; %bb.47:                               ;   in Loop: Header=BB323_9 Depth=1
	s_andn2_saveexec_b64 s[14:15], s[0:1]
; %bb.48:                               ;   in Loop: Header=BB323_9 Depth=1
	v_or_b32_e32 v76, 0x10000, v77
	v_cmp_eq_u32_sdwa s[0:1], v77, v3 src0_sel:WORD_0 src1_sel:DWORD
	s_nop 1
	v_cndmask_b32_e64 v76, v76, v77, s[0:1]
; %bb.49:                               ;   in Loop: Header=BB323_9 Depth=1
	s_or_b64 exec, exec, s[14:15]
	global_load_ushort v78, v[8:9], off offset:520
	s_waitcnt vmcnt(0)
	v_and_b32_sdwa v77, s37, v78 dst_sel:DWORD dst_unused:UNUSED_PAD src0_sel:DWORD src1_sel:BYTE_0
	v_cvt_f32_fp8_sdwa v77, v77 src0_sel:BYTE_0
	s_nop 0
	v_mul_f32_e32 v79, s35, v77
	v_and_b32_e32 v77, 0x7f800000, v79
	v_cmp_ne_u32_e64 s[0:1], s38, v77
                                        ; implicit-def: $vgpr77
	s_and_saveexec_b64 s[14:15], s[0:1]
	s_xor_b64 s[0:1], exec, s[14:15]
; %bb.50:                               ;   in Loop: Header=BB323_9 Depth=1
	v_bfe_u32 v77, v79, 16, 1
	v_add3_u32 v77, v79, v77, s39
                                        ; implicit-def: $vgpr79
; %bb.51:                               ;   in Loop: Header=BB323_9 Depth=1
	s_andn2_saveexec_b64 s[14:15], s[0:1]
; %bb.52:                               ;   in Loop: Header=BB323_9 Depth=1
	v_or_b32_e32 v77, 0x10000, v79
	v_cmp_eq_u32_sdwa s[0:1], v79, v3 src0_sel:WORD_0 src1_sel:DWORD
	s_nop 1
	v_cndmask_b32_e64 v77, v77, v79, s[0:1]
; %bb.53:                               ;   in Loop: Header=BB323_9 Depth=1
	s_or_b64 exec, exec, s[14:15]
	v_lshrrev_b16_e32 v78, 8, v78
	v_cvt_f32_fp8_sdwa v78, v78 src0_sel:BYTE_0
	s_nop 0
	v_mul_f32_e32 v79, s35, v78
	v_and_b32_e32 v78, 0x7f800000, v79
	v_cmp_ne_u32_e64 s[0:1], s38, v78
                                        ; implicit-def: $vgpr78
	s_and_saveexec_b64 s[14:15], s[0:1]
	s_xor_b64 s[0:1], exec, s[14:15]
; %bb.54:                               ;   in Loop: Header=BB323_9 Depth=1
	v_bfe_u32 v78, v79, 16, 1
	v_add3_u32 v78, v79, v78, s39
                                        ; implicit-def: $vgpr79
; %bb.55:                               ;   in Loop: Header=BB323_9 Depth=1
	s_andn2_saveexec_b64 s[14:15], s[0:1]
; %bb.56:                               ;   in Loop: Header=BB323_9 Depth=1
	v_or_b32_e32 v78, 0x10000, v79
	v_cmp_eq_u32_sdwa s[0:1], v79, v3 src0_sel:WORD_0 src1_sel:DWORD
	s_nop 1
	v_cndmask_b32_e64 v78, v78, v79, s[0:1]
; %bb.57:                               ;   in Loop: Header=BB323_9 Depth=1
	s_or_b64 exec, exec, s[14:15]
	global_load_ushort v80, v[8:9], off offset:768
	s_waitcnt vmcnt(0)
	v_and_b32_sdwa v79, s37, v80 dst_sel:DWORD dst_unused:UNUSED_PAD src0_sel:DWORD src1_sel:BYTE_0
	v_cvt_f32_fp8_sdwa v79, v79 src0_sel:BYTE_0
	s_nop 0
	v_mul_f32_e32 v81, s35, v79
	v_and_b32_e32 v79, 0x7f800000, v81
	v_cmp_ne_u32_e64 s[0:1], s38, v79
                                        ; implicit-def: $vgpr79
	s_and_saveexec_b64 s[14:15], s[0:1]
	s_xor_b64 s[0:1], exec, s[14:15]
; %bb.58:                               ;   in Loop: Header=BB323_9 Depth=1
	v_bfe_u32 v79, v81, 16, 1
	v_add3_u32 v79, v81, v79, s39
                                        ; implicit-def: $vgpr81
; %bb.59:                               ;   in Loop: Header=BB323_9 Depth=1
	s_andn2_saveexec_b64 s[14:15], s[0:1]
; %bb.60:                               ;   in Loop: Header=BB323_9 Depth=1
	v_or_b32_e32 v79, 0x10000, v81
	v_cmp_eq_u32_sdwa s[0:1], v81, v3 src0_sel:WORD_0 src1_sel:DWORD
	s_nop 1
	v_cndmask_b32_e64 v79, v79, v81, s[0:1]
; %bb.61:                               ;   in Loop: Header=BB323_9 Depth=1
	s_or_b64 exec, exec, s[14:15]
	v_lshrrev_b16_e32 v80, 8, v80
	v_cvt_f32_fp8_sdwa v80, v80 src0_sel:BYTE_0
	s_nop 0
	v_mul_f32_e32 v81, s35, v80
	v_and_b32_e32 v80, 0x7f800000, v81
	v_cmp_ne_u32_e64 s[0:1], s38, v80
                                        ; implicit-def: $vgpr80
	s_and_saveexec_b64 s[14:15], s[0:1]
	s_xor_b64 s[0:1], exec, s[14:15]
; %bb.62:                               ;   in Loop: Header=BB323_9 Depth=1
	v_bfe_u32 v80, v81, 16, 1
	v_add3_u32 v80, v81, v80, s39
                                        ; implicit-def: $vgpr81
; %bb.63:                               ;   in Loop: Header=BB323_9 Depth=1
	s_andn2_saveexec_b64 s[14:15], s[0:1]
; %bb.64:                               ;   in Loop: Header=BB323_9 Depth=1
	v_or_b32_e32 v80, 0x10000, v81
	v_cmp_eq_u32_sdwa s[0:1], v81, v3 src0_sel:WORD_0 src1_sel:DWORD
	s_nop 1
	v_cndmask_b32_e64 v80, v80, v81, s[0:1]
; %bb.65:                               ;   in Loop: Header=BB323_9 Depth=1
	s_or_b64 exec, exec, s[14:15]
	global_load_ushort v82, v[8:9], off offset:776
	s_waitcnt vmcnt(0)
	v_and_b32_sdwa v81, s37, v82 dst_sel:DWORD dst_unused:UNUSED_PAD src0_sel:DWORD src1_sel:BYTE_0
	v_cvt_f32_fp8_sdwa v81, v81 src0_sel:BYTE_0
	s_nop 0
	v_mul_f32_e32 v83, s35, v81
	v_and_b32_e32 v81, 0x7f800000, v83
	v_cmp_ne_u32_e64 s[0:1], s38, v81
                                        ; implicit-def: $vgpr81
	s_and_saveexec_b64 s[14:15], s[0:1]
	s_xor_b64 s[0:1], exec, s[14:15]
; %bb.66:                               ;   in Loop: Header=BB323_9 Depth=1
	v_bfe_u32 v81, v83, 16, 1
	v_add3_u32 v81, v83, v81, s39
                                        ; implicit-def: $vgpr83
; %bb.67:                               ;   in Loop: Header=BB323_9 Depth=1
	s_andn2_saveexec_b64 s[14:15], s[0:1]
; %bb.68:                               ;   in Loop: Header=BB323_9 Depth=1
	v_or_b32_e32 v81, 0x10000, v83
	v_cmp_eq_u32_sdwa s[0:1], v83, v3 src0_sel:WORD_0 src1_sel:DWORD
	s_nop 1
	v_cndmask_b32_e64 v81, v81, v83, s[0:1]
; %bb.69:                               ;   in Loop: Header=BB323_9 Depth=1
	s_or_b64 exec, exec, s[14:15]
	v_lshrrev_b16_e32 v82, 8, v82
	v_cvt_f32_fp8_sdwa v82, v82 src0_sel:BYTE_0
	s_nop 0
	v_mul_f32_e32 v83, s35, v82
	v_and_b32_e32 v82, 0x7f800000, v83
	v_cmp_ne_u32_e64 s[0:1], s38, v82
                                        ; implicit-def: $vgpr82
	s_and_saveexec_b64 s[14:15], s[0:1]
	s_xor_b64 s[0:1], exec, s[14:15]
; %bb.70:                               ;   in Loop: Header=BB323_9 Depth=1
	v_bfe_u32 v82, v83, 16, 1
	v_add3_u32 v82, v83, v82, s39
                                        ; implicit-def: $vgpr83
; %bb.71:                               ;   in Loop: Header=BB323_9 Depth=1
	s_andn2_saveexec_b64 s[14:15], s[0:1]
; %bb.72:                               ;   in Loop: Header=BB323_9 Depth=1
	v_or_b32_e32 v82, 0x10000, v83
	v_cmp_eq_u32_sdwa s[0:1], v83, v3 src0_sel:WORD_0 src1_sel:DWORD
	s_nop 1
	v_cndmask_b32_e64 v82, v82, v83, s[0:1]
; %bb.73:                               ;   in Loop: Header=BB323_9 Depth=1
	s_or_b64 exec, exec, s[14:15]
	global_load_ushort v84, v[8:9], off offset:1024
	s_waitcnt vmcnt(0)
	v_and_b32_sdwa v83, s37, v84 dst_sel:DWORD dst_unused:UNUSED_PAD src0_sel:DWORD src1_sel:BYTE_0
	v_cvt_f32_fp8_sdwa v83, v83 src0_sel:BYTE_0
	s_nop 0
	v_mul_f32_e32 v85, s35, v83
	v_and_b32_e32 v83, 0x7f800000, v85
	v_cmp_ne_u32_e64 s[0:1], s38, v83
                                        ; implicit-def: $vgpr83
	s_and_saveexec_b64 s[14:15], s[0:1]
	s_xor_b64 s[0:1], exec, s[14:15]
; %bb.74:                               ;   in Loop: Header=BB323_9 Depth=1
	v_bfe_u32 v83, v85, 16, 1
	v_add3_u32 v83, v85, v83, s39
                                        ; implicit-def: $vgpr85
; %bb.75:                               ;   in Loop: Header=BB323_9 Depth=1
	s_andn2_saveexec_b64 s[14:15], s[0:1]
; %bb.76:                               ;   in Loop: Header=BB323_9 Depth=1
	v_or_b32_e32 v83, 0x10000, v85
	v_cmp_eq_u32_sdwa s[0:1], v85, v3 src0_sel:WORD_0 src1_sel:DWORD
	s_nop 1
	v_cndmask_b32_e64 v83, v83, v85, s[0:1]
; %bb.77:                               ;   in Loop: Header=BB323_9 Depth=1
	s_or_b64 exec, exec, s[14:15]
	v_lshrrev_b16_e32 v84, 8, v84
	v_cvt_f32_fp8_sdwa v84, v84 src0_sel:BYTE_0
	s_nop 0
	v_mul_f32_e32 v85, s35, v84
	v_and_b32_e32 v84, 0x7f800000, v85
	v_cmp_ne_u32_e64 s[0:1], s38, v84
                                        ; implicit-def: $vgpr84
	s_and_saveexec_b64 s[14:15], s[0:1]
	s_xor_b64 s[0:1], exec, s[14:15]
; %bb.78:                               ;   in Loop: Header=BB323_9 Depth=1
	v_bfe_u32 v84, v85, 16, 1
	v_add3_u32 v84, v85, v84, s39
                                        ; implicit-def: $vgpr85
; %bb.79:                               ;   in Loop: Header=BB323_9 Depth=1
	s_andn2_saveexec_b64 s[14:15], s[0:1]
; %bb.80:                               ;   in Loop: Header=BB323_9 Depth=1
	v_or_b32_e32 v84, 0x10000, v85
	v_cmp_eq_u32_sdwa s[0:1], v85, v3 src0_sel:WORD_0 src1_sel:DWORD
	s_nop 1
	v_cndmask_b32_e64 v84, v84, v85, s[0:1]
; %bb.81:                               ;   in Loop: Header=BB323_9 Depth=1
	s_or_b64 exec, exec, s[14:15]
	global_load_ushort v86, v[8:9], off offset:1032
	s_waitcnt vmcnt(0)
	v_and_b32_sdwa v85, s37, v86 dst_sel:DWORD dst_unused:UNUSED_PAD src0_sel:DWORD src1_sel:BYTE_0
	v_cvt_f32_fp8_sdwa v85, v85 src0_sel:BYTE_0
	s_nop 0
	v_mul_f32_e32 v87, s35, v85
	v_and_b32_e32 v85, 0x7f800000, v87
	v_cmp_ne_u32_e64 s[0:1], s38, v85
                                        ; implicit-def: $vgpr85
	s_and_saveexec_b64 s[14:15], s[0:1]
	s_xor_b64 s[0:1], exec, s[14:15]
; %bb.82:                               ;   in Loop: Header=BB323_9 Depth=1
	v_bfe_u32 v85, v87, 16, 1
	v_add3_u32 v85, v87, v85, s39
                                        ; implicit-def: $vgpr87
; %bb.83:                               ;   in Loop: Header=BB323_9 Depth=1
	s_andn2_saveexec_b64 s[14:15], s[0:1]
; %bb.84:                               ;   in Loop: Header=BB323_9 Depth=1
	v_or_b32_e32 v85, 0x10000, v87
	v_cmp_eq_u32_sdwa s[0:1], v87, v3 src0_sel:WORD_0 src1_sel:DWORD
	s_nop 1
	v_cndmask_b32_e64 v85, v85, v87, s[0:1]
; %bb.85:                               ;   in Loop: Header=BB323_9 Depth=1
	s_or_b64 exec, exec, s[14:15]
	v_lshrrev_b16_e32 v86, 8, v86
	v_cvt_f32_fp8_sdwa v86, v86 src0_sel:BYTE_0
	s_nop 0
	v_mul_f32_e32 v87, s35, v86
	v_and_b32_e32 v86, 0x7f800000, v87
	v_cmp_ne_u32_e64 s[0:1], s38, v86
                                        ; implicit-def: $vgpr86
	s_and_saveexec_b64 s[14:15], s[0:1]
	s_xor_b64 s[0:1], exec, s[14:15]
; %bb.86:                               ;   in Loop: Header=BB323_9 Depth=1
	v_bfe_u32 v86, v87, 16, 1
	v_add3_u32 v86, v87, v86, s39
                                        ; implicit-def: $vgpr87
; %bb.87:                               ;   in Loop: Header=BB323_9 Depth=1
	s_andn2_saveexec_b64 s[14:15], s[0:1]
; %bb.88:                               ;   in Loop: Header=BB323_9 Depth=1
	v_or_b32_e32 v86, 0x10000, v87
	v_cmp_eq_u32_sdwa s[0:1], v87, v3 src0_sel:WORD_0 src1_sel:DWORD
	s_nop 1
	v_cndmask_b32_e64 v86, v86, v87, s[0:1]
; %bb.89:                               ;   in Loop: Header=BB323_9 Depth=1
	s_or_b64 exec, exec, s[14:15]
	global_load_ushort v88, v[8:9], off offset:1280
	s_waitcnt vmcnt(0)
	v_and_b32_sdwa v87, s37, v88 dst_sel:DWORD dst_unused:UNUSED_PAD src0_sel:DWORD src1_sel:BYTE_0
	v_cvt_f32_fp8_sdwa v87, v87 src0_sel:BYTE_0
	s_nop 0
	v_mul_f32_e32 v89, s35, v87
	v_and_b32_e32 v87, 0x7f800000, v89
	v_cmp_ne_u32_e64 s[0:1], s38, v87
                                        ; implicit-def: $vgpr87
	s_and_saveexec_b64 s[14:15], s[0:1]
	s_xor_b64 s[0:1], exec, s[14:15]
; %bb.90:                               ;   in Loop: Header=BB323_9 Depth=1
	v_bfe_u32 v87, v89, 16, 1
	v_add3_u32 v87, v89, v87, s39
                                        ; implicit-def: $vgpr89
; %bb.91:                               ;   in Loop: Header=BB323_9 Depth=1
	s_andn2_saveexec_b64 s[14:15], s[0:1]
; %bb.92:                               ;   in Loop: Header=BB323_9 Depth=1
	v_or_b32_e32 v87, 0x10000, v89
	v_cmp_eq_u32_sdwa s[0:1], v89, v3 src0_sel:WORD_0 src1_sel:DWORD
	s_nop 1
	v_cndmask_b32_e64 v87, v87, v89, s[0:1]
; %bb.93:                               ;   in Loop: Header=BB323_9 Depth=1
	s_or_b64 exec, exec, s[14:15]
	v_lshrrev_b16_e32 v88, 8, v88
	v_cvt_f32_fp8_sdwa v88, v88 src0_sel:BYTE_0
	s_nop 0
	v_mul_f32_e32 v89, s35, v88
	v_and_b32_e32 v88, 0x7f800000, v89
	v_cmp_ne_u32_e64 s[0:1], s38, v88
                                        ; implicit-def: $vgpr88
	s_and_saveexec_b64 s[14:15], s[0:1]
	s_xor_b64 s[0:1], exec, s[14:15]
; %bb.94:                               ;   in Loop: Header=BB323_9 Depth=1
	v_bfe_u32 v88, v89, 16, 1
	v_add3_u32 v88, v89, v88, s39
                                        ; implicit-def: $vgpr89
; %bb.95:                               ;   in Loop: Header=BB323_9 Depth=1
	s_andn2_saveexec_b64 s[14:15], s[0:1]
; %bb.96:                               ;   in Loop: Header=BB323_9 Depth=1
	v_or_b32_e32 v88, 0x10000, v89
	v_cmp_eq_u32_sdwa s[0:1], v89, v3 src0_sel:WORD_0 src1_sel:DWORD
	s_nop 1
	v_cndmask_b32_e64 v88, v88, v89, s[0:1]
; %bb.97:                               ;   in Loop: Header=BB323_9 Depth=1
	s_or_b64 exec, exec, s[14:15]
	global_load_ushort v90, v[8:9], off offset:1288
	s_waitcnt vmcnt(0)
	v_and_b32_sdwa v89, s37, v90 dst_sel:DWORD dst_unused:UNUSED_PAD src0_sel:DWORD src1_sel:BYTE_0
	v_cvt_f32_fp8_sdwa v89, v89 src0_sel:BYTE_0
	s_nop 0
	v_mul_f32_e32 v91, s35, v89
	v_and_b32_e32 v89, 0x7f800000, v91
	v_cmp_ne_u32_e64 s[0:1], s38, v89
                                        ; implicit-def: $vgpr89
	s_and_saveexec_b64 s[14:15], s[0:1]
	s_xor_b64 s[0:1], exec, s[14:15]
; %bb.98:                               ;   in Loop: Header=BB323_9 Depth=1
	v_bfe_u32 v89, v91, 16, 1
	v_add3_u32 v89, v91, v89, s39
                                        ; implicit-def: $vgpr91
; %bb.99:                               ;   in Loop: Header=BB323_9 Depth=1
	s_andn2_saveexec_b64 s[14:15], s[0:1]
; %bb.100:                              ;   in Loop: Header=BB323_9 Depth=1
	v_or_b32_e32 v89, 0x10000, v91
	v_cmp_eq_u32_sdwa s[0:1], v91, v3 src0_sel:WORD_0 src1_sel:DWORD
	s_nop 1
	v_cndmask_b32_e64 v89, v89, v91, s[0:1]
; %bb.101:                              ;   in Loop: Header=BB323_9 Depth=1
	s_or_b64 exec, exec, s[14:15]
	v_lshrrev_b16_e32 v90, 8, v90
	v_cvt_f32_fp8_sdwa v90, v90 src0_sel:BYTE_0
	s_nop 0
	v_mul_f32_e32 v91, s35, v90
	v_and_b32_e32 v90, 0x7f800000, v91
	v_cmp_ne_u32_e64 s[0:1], s38, v90
                                        ; implicit-def: $vgpr90
	s_and_saveexec_b64 s[14:15], s[0:1]
	s_xor_b64 s[0:1], exec, s[14:15]
; %bb.102:                              ;   in Loop: Header=BB323_9 Depth=1
	v_bfe_u32 v90, v91, 16, 1
	v_add3_u32 v90, v91, v90, s39
                                        ; implicit-def: $vgpr91
; %bb.103:                              ;   in Loop: Header=BB323_9 Depth=1
	s_andn2_saveexec_b64 s[14:15], s[0:1]
; %bb.104:                              ;   in Loop: Header=BB323_9 Depth=1
	v_or_b32_e32 v90, 0x10000, v91
	v_cmp_eq_u32_sdwa s[0:1], v91, v3 src0_sel:WORD_0 src1_sel:DWORD
	s_nop 1
	v_cndmask_b32_e64 v90, v90, v91, s[0:1]
; %bb.105:                              ;   in Loop: Header=BB323_9 Depth=1
	s_or_b64 exec, exec, s[14:15]
	global_load_ushort v92, v[8:9], off offset:1536
	s_waitcnt vmcnt(0)
	v_and_b32_sdwa v91, s37, v92 dst_sel:DWORD dst_unused:UNUSED_PAD src0_sel:DWORD src1_sel:BYTE_0
	v_cvt_f32_fp8_sdwa v91, v91 src0_sel:BYTE_0
	s_nop 0
	v_mul_f32_e32 v93, s35, v91
	v_and_b32_e32 v91, 0x7f800000, v93
	v_cmp_ne_u32_e64 s[0:1], s38, v91
                                        ; implicit-def: $vgpr91
	s_and_saveexec_b64 s[14:15], s[0:1]
	s_xor_b64 s[0:1], exec, s[14:15]
; %bb.106:                              ;   in Loop: Header=BB323_9 Depth=1
	v_bfe_u32 v91, v93, 16, 1
	v_add3_u32 v91, v93, v91, s39
                                        ; implicit-def: $vgpr93
; %bb.107:                              ;   in Loop: Header=BB323_9 Depth=1
	s_andn2_saveexec_b64 s[14:15], s[0:1]
; %bb.108:                              ;   in Loop: Header=BB323_9 Depth=1
	v_or_b32_e32 v91, 0x10000, v93
	v_cmp_eq_u32_sdwa s[0:1], v93, v3 src0_sel:WORD_0 src1_sel:DWORD
	s_nop 1
	v_cndmask_b32_e64 v91, v91, v93, s[0:1]
; %bb.109:                              ;   in Loop: Header=BB323_9 Depth=1
	s_or_b64 exec, exec, s[14:15]
	v_lshrrev_b16_e32 v92, 8, v92
	v_cvt_f32_fp8_sdwa v92, v92 src0_sel:BYTE_0
	s_nop 0
	v_mul_f32_e32 v93, s35, v92
	v_and_b32_e32 v92, 0x7f800000, v93
	v_cmp_ne_u32_e64 s[0:1], s38, v92
                                        ; implicit-def: $vgpr92
	s_and_saveexec_b64 s[14:15], s[0:1]
	s_xor_b64 s[0:1], exec, s[14:15]
; %bb.110:                              ;   in Loop: Header=BB323_9 Depth=1
	v_bfe_u32 v92, v93, 16, 1
	v_add3_u32 v92, v93, v92, s39
                                        ; implicit-def: $vgpr93
; %bb.111:                              ;   in Loop: Header=BB323_9 Depth=1
	s_andn2_saveexec_b64 s[14:15], s[0:1]
; %bb.112:                              ;   in Loop: Header=BB323_9 Depth=1
	v_or_b32_e32 v92, 0x10000, v93
	v_cmp_eq_u32_sdwa s[0:1], v93, v3 src0_sel:WORD_0 src1_sel:DWORD
	s_nop 1
	v_cndmask_b32_e64 v92, v92, v93, s[0:1]
; %bb.113:                              ;   in Loop: Header=BB323_9 Depth=1
	s_or_b64 exec, exec, s[14:15]
	global_load_ushort v94, v[8:9], off offset:1544
	s_waitcnt vmcnt(0)
	v_and_b32_sdwa v93, s37, v94 dst_sel:DWORD dst_unused:UNUSED_PAD src0_sel:DWORD src1_sel:BYTE_0
	v_cvt_f32_fp8_sdwa v93, v93 src0_sel:BYTE_0
	s_nop 0
	v_mul_f32_e32 v95, s35, v93
	v_and_b32_e32 v93, 0x7f800000, v95
	v_cmp_ne_u32_e64 s[0:1], s38, v93
                                        ; implicit-def: $vgpr93
	s_and_saveexec_b64 s[14:15], s[0:1]
	s_xor_b64 s[0:1], exec, s[14:15]
; %bb.114:                              ;   in Loop: Header=BB323_9 Depth=1
	v_bfe_u32 v93, v95, 16, 1
	v_add3_u32 v93, v95, v93, s39
                                        ; implicit-def: $vgpr95
; %bb.115:                              ;   in Loop: Header=BB323_9 Depth=1
	s_andn2_saveexec_b64 s[14:15], s[0:1]
; %bb.116:                              ;   in Loop: Header=BB323_9 Depth=1
	v_or_b32_e32 v93, 0x10000, v95
	v_cmp_eq_u32_sdwa s[0:1], v95, v3 src0_sel:WORD_0 src1_sel:DWORD
	s_nop 1
	v_cndmask_b32_e64 v93, v93, v95, s[0:1]
; %bb.117:                              ;   in Loop: Header=BB323_9 Depth=1
	s_or_b64 exec, exec, s[14:15]
	v_lshrrev_b16_e32 v94, 8, v94
	v_cvt_f32_fp8_sdwa v94, v94 src0_sel:BYTE_0
	s_nop 0
	v_mul_f32_e32 v95, s35, v94
	v_and_b32_e32 v94, 0x7f800000, v95
	v_cmp_ne_u32_e64 s[0:1], s38, v94
                                        ; implicit-def: $vgpr94
	s_and_saveexec_b64 s[14:15], s[0:1]
	s_xor_b64 s[0:1], exec, s[14:15]
; %bb.118:                              ;   in Loop: Header=BB323_9 Depth=1
	v_bfe_u32 v94, v95, 16, 1
	v_add3_u32 v94, v95, v94, s39
                                        ; implicit-def: $vgpr95
; %bb.119:                              ;   in Loop: Header=BB323_9 Depth=1
	s_andn2_saveexec_b64 s[14:15], s[0:1]
; %bb.120:                              ;   in Loop: Header=BB323_9 Depth=1
	v_or_b32_e32 v94, 0x10000, v95
	v_cmp_eq_u32_sdwa s[0:1], v95, v3 src0_sel:WORD_0 src1_sel:DWORD
	s_nop 1
	v_cndmask_b32_e64 v94, v94, v95, s[0:1]
; %bb.121:                              ;   in Loop: Header=BB323_9 Depth=1
	s_or_b64 exec, exec, s[14:15]
	global_load_ushort v96, v[8:9], off offset:1792
	s_waitcnt vmcnt(0)
	v_and_b32_sdwa v95, s37, v96 dst_sel:DWORD dst_unused:UNUSED_PAD src0_sel:DWORD src1_sel:BYTE_0
	v_cvt_f32_fp8_sdwa v95, v95 src0_sel:BYTE_0
	s_nop 0
	v_mul_f32_e32 v97, s35, v95
	v_and_b32_e32 v95, 0x7f800000, v97
	v_cmp_ne_u32_e64 s[0:1], s38, v95
                                        ; implicit-def: $vgpr95
	s_and_saveexec_b64 s[14:15], s[0:1]
	s_xor_b64 s[0:1], exec, s[14:15]
; %bb.122:                              ;   in Loop: Header=BB323_9 Depth=1
	v_bfe_u32 v95, v97, 16, 1
	v_add3_u32 v95, v97, v95, s39
                                        ; implicit-def: $vgpr97
; %bb.123:                              ;   in Loop: Header=BB323_9 Depth=1
	s_andn2_saveexec_b64 s[14:15], s[0:1]
; %bb.124:                              ;   in Loop: Header=BB323_9 Depth=1
	v_or_b32_e32 v95, 0x10000, v97
	v_cmp_eq_u32_sdwa s[0:1], v97, v3 src0_sel:WORD_0 src1_sel:DWORD
	s_nop 1
	v_cndmask_b32_e64 v95, v95, v97, s[0:1]
; %bb.125:                              ;   in Loop: Header=BB323_9 Depth=1
	s_or_b64 exec, exec, s[14:15]
	v_lshrrev_b16_e32 v96, 8, v96
	v_cvt_f32_fp8_sdwa v96, v96 src0_sel:BYTE_0
	s_nop 0
	v_mul_f32_e32 v97, s35, v96
	v_and_b32_e32 v96, 0x7f800000, v97
	v_cmp_ne_u32_e64 s[0:1], s38, v96
                                        ; implicit-def: $vgpr96
	s_and_saveexec_b64 s[14:15], s[0:1]
	s_xor_b64 s[0:1], exec, s[14:15]
; %bb.126:                              ;   in Loop: Header=BB323_9 Depth=1
	v_bfe_u32 v96, v97, 16, 1
	v_add3_u32 v96, v97, v96, s39
                                        ; implicit-def: $vgpr97
; %bb.127:                              ;   in Loop: Header=BB323_9 Depth=1
	s_andn2_saveexec_b64 s[14:15], s[0:1]
; %bb.128:                              ;   in Loop: Header=BB323_9 Depth=1
	v_or_b32_e32 v96, 0x10000, v97
	v_cmp_eq_u32_sdwa s[0:1], v97, v3 src0_sel:WORD_0 src1_sel:DWORD
	s_nop 1
	v_cndmask_b32_e64 v96, v96, v97, s[0:1]
; %bb.129:                              ;   in Loop: Header=BB323_9 Depth=1
	s_or_b64 exec, exec, s[14:15]
	global_load_ushort v98, v[8:9], off offset:1800
	s_waitcnt vmcnt(0)
	v_and_b32_sdwa v97, s37, v98 dst_sel:DWORD dst_unused:UNUSED_PAD src0_sel:DWORD src1_sel:BYTE_0
	v_cvt_f32_fp8_sdwa v97, v97 src0_sel:BYTE_0
	s_nop 0
	v_mul_f32_e32 v99, s35, v97
	v_and_b32_e32 v97, 0x7f800000, v99
	v_cmp_ne_u32_e64 s[0:1], s38, v97
                                        ; implicit-def: $vgpr97
	s_and_saveexec_b64 s[14:15], s[0:1]
	s_xor_b64 s[0:1], exec, s[14:15]
; %bb.130:                              ;   in Loop: Header=BB323_9 Depth=1
	v_bfe_u32 v97, v99, 16, 1
	v_add3_u32 v97, v99, v97, s39
                                        ; implicit-def: $vgpr99
; %bb.131:                              ;   in Loop: Header=BB323_9 Depth=1
	s_andn2_saveexec_b64 s[14:15], s[0:1]
; %bb.132:                              ;   in Loop: Header=BB323_9 Depth=1
	v_or_b32_e32 v97, 0x10000, v99
	v_cmp_eq_u32_sdwa s[0:1], v99, v3 src0_sel:WORD_0 src1_sel:DWORD
	s_nop 1
	v_cndmask_b32_e64 v97, v97, v99, s[0:1]
; %bb.133:                              ;   in Loop: Header=BB323_9 Depth=1
	s_or_b64 exec, exec, s[14:15]
	v_lshrrev_b16_e32 v98, 8, v98
	v_cvt_f32_fp8_sdwa v98, v98 src0_sel:BYTE_0
	s_nop 0
	v_mul_f32_e32 v99, s35, v98
	v_and_b32_e32 v98, 0x7f800000, v99
	v_cmp_ne_u32_e64 s[0:1], s38, v98
                                        ; implicit-def: $vgpr98
	s_and_saveexec_b64 s[14:15], s[0:1]
	s_xor_b64 s[0:1], exec, s[14:15]
; %bb.134:                              ;   in Loop: Header=BB323_9 Depth=1
	v_bfe_u32 v98, v99, 16, 1
	v_add3_u32 v98, v99, v98, s39
                                        ; implicit-def: $vgpr99
; %bb.135:                              ;   in Loop: Header=BB323_9 Depth=1
	s_andn2_saveexec_b64 s[14:15], s[0:1]
; %bb.136:                              ;   in Loop: Header=BB323_9 Depth=1
	v_or_b32_e32 v98, 0x10000, v99
	v_cmp_eq_u32_sdwa s[0:1], v99, v3 src0_sel:WORD_0 src1_sel:DWORD
	s_nop 1
	v_cndmask_b32_e64 v98, v98, v99, s[0:1]
; %bb.137:                              ;   in Loop: Header=BB323_9 Depth=1
	s_or_b64 exec, exec, s[14:15]
	global_load_ushort v100, v[8:9], off offset:2048
	s_waitcnt vmcnt(0)
	v_and_b32_sdwa v99, s37, v100 dst_sel:DWORD dst_unused:UNUSED_PAD src0_sel:DWORD src1_sel:BYTE_0
	v_cvt_f32_fp8_sdwa v99, v99 src0_sel:BYTE_0
	s_nop 0
	v_mul_f32_e32 v101, s35, v99
	v_and_b32_e32 v99, 0x7f800000, v101
	v_cmp_ne_u32_e64 s[0:1], s38, v99
                                        ; implicit-def: $vgpr99
	s_and_saveexec_b64 s[14:15], s[0:1]
	s_xor_b64 s[0:1], exec, s[14:15]
; %bb.138:                              ;   in Loop: Header=BB323_9 Depth=1
	v_bfe_u32 v99, v101, 16, 1
	v_add3_u32 v99, v101, v99, s39
                                        ; implicit-def: $vgpr101
; %bb.139:                              ;   in Loop: Header=BB323_9 Depth=1
	s_andn2_saveexec_b64 s[14:15], s[0:1]
; %bb.140:                              ;   in Loop: Header=BB323_9 Depth=1
	v_or_b32_e32 v99, 0x10000, v101
	v_cmp_eq_u32_sdwa s[0:1], v101, v3 src0_sel:WORD_0 src1_sel:DWORD
	s_nop 1
	v_cndmask_b32_e64 v99, v99, v101, s[0:1]
; %bb.141:                              ;   in Loop: Header=BB323_9 Depth=1
	s_or_b64 exec, exec, s[14:15]
	v_lshrrev_b16_e32 v100, 8, v100
	v_cvt_f32_fp8_sdwa v100, v100 src0_sel:BYTE_0
	s_nop 0
	v_mul_f32_e32 v101, s35, v100
	v_and_b32_e32 v100, 0x7f800000, v101
	v_cmp_ne_u32_e64 s[0:1], s38, v100
                                        ; implicit-def: $vgpr100
	s_and_saveexec_b64 s[14:15], s[0:1]
	s_xor_b64 s[0:1], exec, s[14:15]
; %bb.142:                              ;   in Loop: Header=BB323_9 Depth=1
	v_bfe_u32 v100, v101, 16, 1
	v_add3_u32 v100, v101, v100, s39
                                        ; implicit-def: $vgpr101
; %bb.143:                              ;   in Loop: Header=BB323_9 Depth=1
	s_andn2_saveexec_b64 s[14:15], s[0:1]
; %bb.144:                              ;   in Loop: Header=BB323_9 Depth=1
	v_or_b32_e32 v100, 0x10000, v101
	v_cmp_eq_u32_sdwa s[0:1], v101, v3 src0_sel:WORD_0 src1_sel:DWORD
	s_nop 1
	v_cndmask_b32_e64 v100, v100, v101, s[0:1]
; %bb.145:                              ;   in Loop: Header=BB323_9 Depth=1
	s_or_b64 exec, exec, s[14:15]
	global_load_ushort v102, v[8:9], off offset:2056
	s_waitcnt vmcnt(0)
	v_and_b32_sdwa v101, s37, v102 dst_sel:DWORD dst_unused:UNUSED_PAD src0_sel:DWORD src1_sel:BYTE_0
	v_cvt_f32_fp8_sdwa v101, v101 src0_sel:BYTE_0
	s_nop 0
	v_mul_f32_e32 v103, s35, v101
	v_and_b32_e32 v101, 0x7f800000, v103
	v_cmp_ne_u32_e64 s[0:1], s38, v101
                                        ; implicit-def: $vgpr101
	s_and_saveexec_b64 s[14:15], s[0:1]
	s_xor_b64 s[0:1], exec, s[14:15]
; %bb.146:                              ;   in Loop: Header=BB323_9 Depth=1
	v_bfe_u32 v101, v103, 16, 1
	v_add3_u32 v101, v103, v101, s39
                                        ; implicit-def: $vgpr103
; %bb.147:                              ;   in Loop: Header=BB323_9 Depth=1
	s_andn2_saveexec_b64 s[14:15], s[0:1]
; %bb.148:                              ;   in Loop: Header=BB323_9 Depth=1
	v_or_b32_e32 v101, 0x10000, v103
	v_cmp_eq_u32_sdwa s[0:1], v103, v3 src0_sel:WORD_0 src1_sel:DWORD
	s_nop 1
	v_cndmask_b32_e64 v101, v101, v103, s[0:1]
; %bb.149:                              ;   in Loop: Header=BB323_9 Depth=1
	s_or_b64 exec, exec, s[14:15]
	v_lshrrev_b16_e32 v102, 8, v102
	v_cvt_f32_fp8_sdwa v102, v102 src0_sel:BYTE_0
	s_nop 0
	v_mul_f32_e32 v103, s35, v102
	v_and_b32_e32 v102, 0x7f800000, v103
	v_cmp_ne_u32_e64 s[0:1], s38, v102
                                        ; implicit-def: $vgpr102
	s_and_saveexec_b64 s[14:15], s[0:1]
	s_xor_b64 s[0:1], exec, s[14:15]
; %bb.150:                              ;   in Loop: Header=BB323_9 Depth=1
	v_bfe_u32 v102, v103, 16, 1
	v_add3_u32 v102, v103, v102, s39
                                        ; implicit-def: $vgpr103
; %bb.151:                              ;   in Loop: Header=BB323_9 Depth=1
	s_andn2_saveexec_b64 s[14:15], s[0:1]
; %bb.152:                              ;   in Loop: Header=BB323_9 Depth=1
	v_or_b32_e32 v102, 0x10000, v103
	v_cmp_eq_u32_sdwa s[0:1], v103, v3 src0_sel:WORD_0 src1_sel:DWORD
	s_nop 1
	v_cndmask_b32_e64 v102, v102, v103, s[0:1]
; %bb.153:                              ;   in Loop: Header=BB323_9 Depth=1
	s_or_b64 exec, exec, s[14:15]
	global_load_ushort v104, v[8:9], off offset:2304
	s_waitcnt vmcnt(0)
	v_and_b32_sdwa v103, s37, v104 dst_sel:DWORD dst_unused:UNUSED_PAD src0_sel:DWORD src1_sel:BYTE_0
	v_cvt_f32_fp8_sdwa v103, v103 src0_sel:BYTE_0
	s_nop 0
	v_mul_f32_e32 v105, s35, v103
	v_and_b32_e32 v103, 0x7f800000, v105
	v_cmp_ne_u32_e64 s[0:1], s38, v103
                                        ; implicit-def: $vgpr103
	s_and_saveexec_b64 s[14:15], s[0:1]
	s_xor_b64 s[0:1], exec, s[14:15]
; %bb.154:                              ;   in Loop: Header=BB323_9 Depth=1
	v_bfe_u32 v103, v105, 16, 1
	v_add3_u32 v103, v105, v103, s39
                                        ; implicit-def: $vgpr105
; %bb.155:                              ;   in Loop: Header=BB323_9 Depth=1
	s_andn2_saveexec_b64 s[14:15], s[0:1]
; %bb.156:                              ;   in Loop: Header=BB323_9 Depth=1
	v_or_b32_e32 v103, 0x10000, v105
	v_cmp_eq_u32_sdwa s[0:1], v105, v3 src0_sel:WORD_0 src1_sel:DWORD
	s_nop 1
	v_cndmask_b32_e64 v103, v103, v105, s[0:1]
; %bb.157:                              ;   in Loop: Header=BB323_9 Depth=1
	s_or_b64 exec, exec, s[14:15]
	v_lshrrev_b16_e32 v104, 8, v104
	v_cvt_f32_fp8_sdwa v104, v104 src0_sel:BYTE_0
	s_nop 0
	v_mul_f32_e32 v105, s35, v104
	v_and_b32_e32 v104, 0x7f800000, v105
	v_cmp_ne_u32_e64 s[0:1], s38, v104
                                        ; implicit-def: $vgpr104
	s_and_saveexec_b64 s[14:15], s[0:1]
	s_xor_b64 s[0:1], exec, s[14:15]
; %bb.158:                              ;   in Loop: Header=BB323_9 Depth=1
	v_bfe_u32 v104, v105, 16, 1
	v_add3_u32 v104, v105, v104, s39
                                        ; implicit-def: $vgpr105
; %bb.159:                              ;   in Loop: Header=BB323_9 Depth=1
	s_andn2_saveexec_b64 s[14:15], s[0:1]
; %bb.160:                              ;   in Loop: Header=BB323_9 Depth=1
	v_or_b32_e32 v104, 0x10000, v105
	v_cmp_eq_u32_sdwa s[0:1], v105, v3 src0_sel:WORD_0 src1_sel:DWORD
	s_nop 1
	v_cndmask_b32_e64 v104, v104, v105, s[0:1]
; %bb.161:                              ;   in Loop: Header=BB323_9 Depth=1
	s_or_b64 exec, exec, s[14:15]
	global_load_ushort v106, v[8:9], off offset:2312
	s_waitcnt vmcnt(0)
	v_and_b32_sdwa v105, s37, v106 dst_sel:DWORD dst_unused:UNUSED_PAD src0_sel:DWORD src1_sel:BYTE_0
	v_cvt_f32_fp8_sdwa v105, v105 src0_sel:BYTE_0
	s_nop 0
	v_mul_f32_e32 v107, s35, v105
	v_and_b32_e32 v105, 0x7f800000, v107
	v_cmp_ne_u32_e64 s[0:1], s38, v105
                                        ; implicit-def: $vgpr105
	s_and_saveexec_b64 s[14:15], s[0:1]
	s_xor_b64 s[0:1], exec, s[14:15]
; %bb.162:                              ;   in Loop: Header=BB323_9 Depth=1
	v_bfe_u32 v105, v107, 16, 1
	v_add3_u32 v105, v107, v105, s39
                                        ; implicit-def: $vgpr107
; %bb.163:                              ;   in Loop: Header=BB323_9 Depth=1
	s_andn2_saveexec_b64 s[14:15], s[0:1]
; %bb.164:                              ;   in Loop: Header=BB323_9 Depth=1
	v_or_b32_e32 v105, 0x10000, v107
	v_cmp_eq_u32_sdwa s[0:1], v107, v3 src0_sel:WORD_0 src1_sel:DWORD
	s_nop 1
	v_cndmask_b32_e64 v105, v105, v107, s[0:1]
; %bb.165:                              ;   in Loop: Header=BB323_9 Depth=1
	s_or_b64 exec, exec, s[14:15]
	v_lshrrev_b16_e32 v106, 8, v106
	v_cvt_f32_fp8_sdwa v106, v106 src0_sel:BYTE_0
	s_nop 0
	v_mul_f32_e32 v107, s35, v106
	v_and_b32_e32 v106, 0x7f800000, v107
	v_cmp_ne_u32_e64 s[0:1], s38, v106
                                        ; implicit-def: $vgpr106
	s_and_saveexec_b64 s[14:15], s[0:1]
	s_xor_b64 s[0:1], exec, s[14:15]
; %bb.166:                              ;   in Loop: Header=BB323_9 Depth=1
	v_bfe_u32 v106, v107, 16, 1
	v_add3_u32 v106, v107, v106, s39
                                        ; implicit-def: $vgpr107
; %bb.167:                              ;   in Loop: Header=BB323_9 Depth=1
	s_andn2_saveexec_b64 s[14:15], s[0:1]
; %bb.168:                              ;   in Loop: Header=BB323_9 Depth=1
	v_or_b32_e32 v106, 0x10000, v107
	v_cmp_eq_u32_sdwa s[0:1], v107, v3 src0_sel:WORD_0 src1_sel:DWORD
	s_nop 1
	v_cndmask_b32_e64 v106, v106, v107, s[0:1]
; %bb.169:                              ;   in Loop: Header=BB323_9 Depth=1
	s_or_b64 exec, exec, s[14:15]
	global_load_ushort v108, v[8:9], off offset:2560
	s_waitcnt vmcnt(0)
	v_and_b32_sdwa v107, s37, v108 dst_sel:DWORD dst_unused:UNUSED_PAD src0_sel:DWORD src1_sel:BYTE_0
	v_cvt_f32_fp8_sdwa v107, v107 src0_sel:BYTE_0
	s_nop 0
	v_mul_f32_e32 v109, s35, v107
	v_and_b32_e32 v107, 0x7f800000, v109
	v_cmp_ne_u32_e64 s[0:1], s38, v107
                                        ; implicit-def: $vgpr107
	s_and_saveexec_b64 s[14:15], s[0:1]
	s_xor_b64 s[0:1], exec, s[14:15]
; %bb.170:                              ;   in Loop: Header=BB323_9 Depth=1
	v_bfe_u32 v107, v109, 16, 1
	v_add3_u32 v107, v109, v107, s39
                                        ; implicit-def: $vgpr109
; %bb.171:                              ;   in Loop: Header=BB323_9 Depth=1
	s_andn2_saveexec_b64 s[14:15], s[0:1]
; %bb.172:                              ;   in Loop: Header=BB323_9 Depth=1
	v_or_b32_e32 v107, 0x10000, v109
	v_cmp_eq_u32_sdwa s[0:1], v109, v3 src0_sel:WORD_0 src1_sel:DWORD
	s_nop 1
	v_cndmask_b32_e64 v107, v107, v109, s[0:1]
; %bb.173:                              ;   in Loop: Header=BB323_9 Depth=1
	s_or_b64 exec, exec, s[14:15]
	v_lshrrev_b16_e32 v108, 8, v108
	v_cvt_f32_fp8_sdwa v108, v108 src0_sel:BYTE_0
	s_nop 0
	v_mul_f32_e32 v109, s35, v108
	v_and_b32_e32 v108, 0x7f800000, v109
	v_cmp_ne_u32_e64 s[0:1], s38, v108
                                        ; implicit-def: $vgpr108
	s_and_saveexec_b64 s[14:15], s[0:1]
	s_xor_b64 s[0:1], exec, s[14:15]
; %bb.174:                              ;   in Loop: Header=BB323_9 Depth=1
	v_bfe_u32 v108, v109, 16, 1
	v_add3_u32 v108, v109, v108, s39
                                        ; implicit-def: $vgpr109
; %bb.175:                              ;   in Loop: Header=BB323_9 Depth=1
	s_andn2_saveexec_b64 s[14:15], s[0:1]
; %bb.176:                              ;   in Loop: Header=BB323_9 Depth=1
	v_or_b32_e32 v108, 0x10000, v109
	v_cmp_eq_u32_sdwa s[0:1], v109, v3 src0_sel:WORD_0 src1_sel:DWORD
	s_nop 1
	v_cndmask_b32_e64 v108, v108, v109, s[0:1]
; %bb.177:                              ;   in Loop: Header=BB323_9 Depth=1
	s_or_b64 exec, exec, s[14:15]
	global_load_ushort v110, v[8:9], off offset:2568
	s_waitcnt vmcnt(0)
	v_and_b32_sdwa v109, s37, v110 dst_sel:DWORD dst_unused:UNUSED_PAD src0_sel:DWORD src1_sel:BYTE_0
	v_cvt_f32_fp8_sdwa v109, v109 src0_sel:BYTE_0
	s_nop 0
	v_mul_f32_e32 v111, s35, v109
	v_and_b32_e32 v109, 0x7f800000, v111
	v_cmp_ne_u32_e64 s[0:1], s38, v109
                                        ; implicit-def: $vgpr109
	s_and_saveexec_b64 s[14:15], s[0:1]
	s_xor_b64 s[0:1], exec, s[14:15]
; %bb.178:                              ;   in Loop: Header=BB323_9 Depth=1
	v_bfe_u32 v109, v111, 16, 1
	v_add3_u32 v109, v111, v109, s39
                                        ; implicit-def: $vgpr111
; %bb.179:                              ;   in Loop: Header=BB323_9 Depth=1
	s_andn2_saveexec_b64 s[14:15], s[0:1]
; %bb.180:                              ;   in Loop: Header=BB323_9 Depth=1
	v_or_b32_e32 v109, 0x10000, v111
	v_cmp_eq_u32_sdwa s[0:1], v111, v3 src0_sel:WORD_0 src1_sel:DWORD
	s_nop 1
	v_cndmask_b32_e64 v109, v109, v111, s[0:1]
; %bb.181:                              ;   in Loop: Header=BB323_9 Depth=1
	s_or_b64 exec, exec, s[14:15]
	v_lshrrev_b16_e32 v110, 8, v110
	v_cvt_f32_fp8_sdwa v110, v110 src0_sel:BYTE_0
	s_nop 0
	v_mul_f32_e32 v111, s35, v110
	v_and_b32_e32 v110, 0x7f800000, v111
	v_cmp_ne_u32_e64 s[0:1], s38, v110
                                        ; implicit-def: $vgpr110
	s_and_saveexec_b64 s[14:15], s[0:1]
	s_xor_b64 s[0:1], exec, s[14:15]
; %bb.182:                              ;   in Loop: Header=BB323_9 Depth=1
	v_bfe_u32 v110, v111, 16, 1
	v_add3_u32 v110, v111, v110, s39
                                        ; implicit-def: $vgpr111
; %bb.183:                              ;   in Loop: Header=BB323_9 Depth=1
	s_andn2_saveexec_b64 s[14:15], s[0:1]
; %bb.184:                              ;   in Loop: Header=BB323_9 Depth=1
	v_or_b32_e32 v110, 0x10000, v111
	v_cmp_eq_u32_sdwa s[0:1], v111, v3 src0_sel:WORD_0 src1_sel:DWORD
	s_nop 1
	v_cndmask_b32_e64 v110, v110, v111, s[0:1]
; %bb.185:                              ;   in Loop: Header=BB323_9 Depth=1
	s_or_b64 exec, exec, s[14:15]
	global_load_ushort v112, v[8:9], off offset:2816
	s_waitcnt vmcnt(0)
	v_and_b32_sdwa v111, s37, v112 dst_sel:DWORD dst_unused:UNUSED_PAD src0_sel:DWORD src1_sel:BYTE_0
	v_cvt_f32_fp8_sdwa v111, v111 src0_sel:BYTE_0
	s_nop 0
	v_mul_f32_e32 v113, s35, v111
	v_and_b32_e32 v111, 0x7f800000, v113
	v_cmp_ne_u32_e64 s[0:1], s38, v111
                                        ; implicit-def: $vgpr111
	s_and_saveexec_b64 s[14:15], s[0:1]
	s_xor_b64 s[0:1], exec, s[14:15]
; %bb.186:                              ;   in Loop: Header=BB323_9 Depth=1
	v_bfe_u32 v111, v113, 16, 1
	v_add3_u32 v111, v113, v111, s39
                                        ; implicit-def: $vgpr113
; %bb.187:                              ;   in Loop: Header=BB323_9 Depth=1
	s_andn2_saveexec_b64 s[14:15], s[0:1]
; %bb.188:                              ;   in Loop: Header=BB323_9 Depth=1
	v_or_b32_e32 v111, 0x10000, v113
	v_cmp_eq_u32_sdwa s[0:1], v113, v3 src0_sel:WORD_0 src1_sel:DWORD
	s_nop 1
	v_cndmask_b32_e64 v111, v111, v113, s[0:1]
; %bb.189:                              ;   in Loop: Header=BB323_9 Depth=1
	s_or_b64 exec, exec, s[14:15]
	v_lshrrev_b16_e32 v112, 8, v112
	v_cvt_f32_fp8_sdwa v112, v112 src0_sel:BYTE_0
	s_nop 0
	v_mul_f32_e32 v113, s35, v112
	v_and_b32_e32 v112, 0x7f800000, v113
	v_cmp_ne_u32_e64 s[0:1], s38, v112
                                        ; implicit-def: $vgpr112
	s_and_saveexec_b64 s[14:15], s[0:1]
	s_xor_b64 s[0:1], exec, s[14:15]
; %bb.190:                              ;   in Loop: Header=BB323_9 Depth=1
	v_bfe_u32 v112, v113, 16, 1
	v_add3_u32 v112, v113, v112, s39
                                        ; implicit-def: $vgpr113
; %bb.191:                              ;   in Loop: Header=BB323_9 Depth=1
	s_andn2_saveexec_b64 s[14:15], s[0:1]
; %bb.192:                              ;   in Loop: Header=BB323_9 Depth=1
	v_or_b32_e32 v112, 0x10000, v113
	v_cmp_eq_u32_sdwa s[0:1], v113, v3 src0_sel:WORD_0 src1_sel:DWORD
	s_nop 1
	v_cndmask_b32_e64 v112, v112, v113, s[0:1]
; %bb.193:                              ;   in Loop: Header=BB323_9 Depth=1
	s_or_b64 exec, exec, s[14:15]
	global_load_ushort v8, v[8:9], off offset:2824
	s_waitcnt vmcnt(0)
	v_and_b32_sdwa v9, s37, v8 dst_sel:DWORD dst_unused:UNUSED_PAD src0_sel:DWORD src1_sel:BYTE_0
	v_cvt_f32_fp8_sdwa v9, v9 src0_sel:BYTE_0
	s_nop 0
	v_mul_f32_e32 v113, s35, v9
	v_and_b32_e32 v9, 0x7f800000, v113
	v_cmp_ne_u32_e64 s[0:1], s38, v9
                                        ; implicit-def: $vgpr9
	s_and_saveexec_b64 s[14:15], s[0:1]
	s_xor_b64 s[0:1], exec, s[14:15]
; %bb.194:                              ;   in Loop: Header=BB323_9 Depth=1
	v_bfe_u32 v9, v113, 16, 1
	v_add3_u32 v9, v113, v9, s39
                                        ; implicit-def: $vgpr113
; %bb.195:                              ;   in Loop: Header=BB323_9 Depth=1
	s_andn2_saveexec_b64 s[14:15], s[0:1]
; %bb.196:                              ;   in Loop: Header=BB323_9 Depth=1
	v_or_b32_e32 v9, 0x10000, v113
	v_cmp_eq_u32_sdwa s[0:1], v113, v3 src0_sel:WORD_0 src1_sel:DWORD
	s_nop 1
	v_cndmask_b32_e64 v9, v9, v113, s[0:1]
; %bb.197:                              ;   in Loop: Header=BB323_9 Depth=1
	s_or_b64 exec, exec, s[14:15]
	v_lshrrev_b16_e32 v8, 8, v8
	v_cvt_f32_fp8_sdwa v8, v8 src0_sel:BYTE_0
	s_nop 0
	v_mul_f32_e32 v113, s35, v8
	v_and_b32_e32 v8, 0x7f800000, v113
	v_cmp_ne_u32_e64 s[0:1], s38, v8
                                        ; implicit-def: $vgpr8
	s_and_saveexec_b64 s[14:15], s[0:1]
	s_xor_b64 s[0:1], exec, s[14:15]
; %bb.198:                              ;   in Loop: Header=BB323_9 Depth=1
	v_bfe_u32 v8, v113, 16, 1
	v_add3_u32 v8, v113, v8, s39
                                        ; implicit-def: $vgpr113
; %bb.199:                              ;   in Loop: Header=BB323_9 Depth=1
	s_andn2_saveexec_b64 s[14:15], s[0:1]
; %bb.200:                              ;   in Loop: Header=BB323_9 Depth=1
	v_or_b32_e32 v8, 0x10000, v113
	v_cmp_eq_u32_sdwa s[0:1], v113, v3 src0_sel:WORD_0 src1_sel:DWORD
	s_nop 1
	v_cndmask_b32_e64 v8, v8, v113, s[0:1]
; %bb.201:                              ;   in Loop: Header=BB323_9 Depth=1
	s_or_b64 exec, exec, s[14:15]
	v_and_b32_e32 v69, 0xffff0000, v69
	v_and_b32_e32 v70, 0xffff0000, v70
	;; [unrolled: 1-line block ×3, first 2 shown]
	v_mul_f32_e32 v69, v14, v69
	v_and_b32_e32 v68, 0xffff0000, v68
	v_fmac_f32_e32 v69, v12, v67
	v_mul_f32_e32 v67, v15, v70
	v_and_b32_e32 v72, 0xffff0000, v72
	v_and_b32_e32 v71, 0xffff0000, v71
	v_fmac_f32_e32 v67, v13, v68
	v_and_b32_e32 v74, 0xffff0000, v74
	v_and_b32_e32 v73, 0xffff0000, v73
	v_fmac_f32_e32 v69, v16, v71
	v_fmac_f32_e32 v67, v17, v72
	v_and_b32_e32 v76, 0xffff0000, v76
	v_and_b32_e32 v75, 0xffff0000, v75
	v_fmac_f32_e32 v69, v18, v73
	v_fmac_f32_e32 v67, v19, v74
	v_and_b32_e32 v78, 0xffff0000, v78
	v_and_b32_e32 v77, 0xffff0000, v77
	v_fmac_f32_e32 v69, v21, v75
	v_fmac_f32_e32 v67, v22, v76
	v_and_b32_e32 v80, 0xffff0000, v80
	v_and_b32_e32 v79, 0xffff0000, v79
	v_fmac_f32_e32 v69, v23, v77
	v_fmac_f32_e32 v67, v24, v78
	v_and_b32_e32 v82, 0xffff0000, v82
	v_and_b32_e32 v81, 0xffff0000, v81
	v_fmac_f32_e32 v69, v25, v79
	v_fmac_f32_e32 v67, v26, v80
	v_and_b32_e32 v84, 0xffff0000, v84
	v_and_b32_e32 v83, 0xffff0000, v83
	v_fmac_f32_e32 v69, v27, v81
	v_fmac_f32_e32 v67, v28, v82
	v_and_b32_e32 v86, 0xffff0000, v86
	v_and_b32_e32 v85, 0xffff0000, v85
	v_fmac_f32_e32 v69, v29, v83
	v_fmac_f32_e32 v67, v30, v84
	v_and_b32_e32 v88, 0xffff0000, v88
	v_and_b32_e32 v87, 0xffff0000, v87
	v_fmac_f32_e32 v69, v31, v85
	v_fmac_f32_e32 v67, v32, v86
	v_and_b32_e32 v90, 0xffff0000, v90
	v_and_b32_e32 v89, 0xffff0000, v89
	v_fmac_f32_e32 v69, v33, v87
	v_fmac_f32_e32 v67, v34, v88
	v_and_b32_e32 v92, 0xffff0000, v92
	v_and_b32_e32 v91, 0xffff0000, v91
	v_fmac_f32_e32 v69, v35, v89
	v_fmac_f32_e32 v67, v36, v90
	v_and_b32_e32 v94, 0xffff0000, v94
	v_and_b32_e32 v93, 0xffff0000, v93
	v_fmac_f32_e32 v69, v37, v91
	v_fmac_f32_e32 v67, v38, v92
	v_and_b32_e32 v96, 0xffff0000, v96
	v_and_b32_e32 v95, 0xffff0000, v95
	v_fmac_f32_e32 v69, v39, v93
	v_fmac_f32_e32 v67, v40, v94
	v_and_b32_e32 v98, 0xffff0000, v98
	v_and_b32_e32 v97, 0xffff0000, v97
	v_fmac_f32_e32 v69, v41, v95
	v_fmac_f32_e32 v67, v42, v96
	v_and_b32_e32 v100, 0xffff0000, v100
	v_and_b32_e32 v99, 0xffff0000, v99
	v_fmac_f32_e32 v69, v43, v97
	v_fmac_f32_e32 v67, v44, v98
	v_and_b32_e32 v102, 0xffff0000, v102
	v_and_b32_e32 v101, 0xffff0000, v101
	v_fmac_f32_e32 v69, v45, v99
	v_fmac_f32_e32 v67, v46, v100
	v_and_b32_e32 v104, 0xffff0000, v104
	v_and_b32_e32 v103, 0xffff0000, v103
	v_fmac_f32_e32 v69, v47, v101
	v_fmac_f32_e32 v67, v48, v102
	v_and_b32_e32 v106, 0xffff0000, v106
	v_and_b32_e32 v105, 0xffff0000, v105
	v_fmac_f32_e32 v69, v49, v103
	v_fmac_f32_e32 v67, v50, v104
	v_and_b32_e32 v108, 0xffff0000, v108
	v_and_b32_e32 v107, 0xffff0000, v107
	v_fmac_f32_e32 v69, v51, v105
	v_fmac_f32_e32 v67, v52, v106
	v_and_b32_e32 v110, 0xffff0000, v110
	v_and_b32_e32 v109, 0xffff0000, v109
	v_fmac_f32_e32 v69, v53, v107
	v_fmac_f32_e32 v67, v54, v108
	v_and_b32_e32 v112, 0xffff0000, v112
	v_and_b32_e32 v111, 0xffff0000, v111
	v_fmac_f32_e32 v69, v55, v109
	v_fmac_f32_e32 v67, v56, v110
	v_and_b32_e32 v9, 0xffff0000, v9
	v_and_b32_e32 v8, 0xffff0000, v8
	v_fmac_f32_e32 v69, v57, v111
	v_fmac_f32_e32 v67, v58, v112
	v_fmac_f32_e32 v69, v59, v9
	;; [unrolled: 1-line block ×3, first 2 shown]
	v_add_f32_e32 v8, v69, v67
	ds_bpermute_b32 v9, v61, v8
	s_waitcnt lgkmcnt(0)
	v_add_f32_e32 v8, v8, v9
	ds_bpermute_b32 v9, v63, v8
	s_and_saveexec_b64 s[14:15], vcc
	s_cbranch_execz .LBB323_8
; %bb.202:                              ;   in Loop: Header=BB323_9 Depth=1
	v_add_u32_e32 v67, s36, v64
	v_cvt_f32_i32_e32 v67, v67
	s_waitcnt lgkmcnt(0)
	v_add_f32_e32 v8, v8, v9
	v_cmp_gt_i32_e64 s[0:1], s17, v64
	v_max_f32_e32 v9, v62, v62
	v_mul_f32_e32 v67, s28, v67
	v_cndmask_b32_e64 v67, 0, v67, s[2:3]
	v_fmac_f32_e32 v67, s29, v8
	v_cndmask_b32_e64 v8, 0, v67, s[0:1]
	ds_write_b32 v65, v8
	v_max_f32_e32 v8, v9, v67
	v_cndmask_b32_e64 v62, v62, v8, s[0:1]
	s_branch .LBB323_8
.LBB323_203:
	s_or_b64 exec, exec, s[8:9]
.LBB323_204:
	s_or_b64 exec, exec, s[30:31]
	v_xor_b32_e32 v2, 32, v10
	v_cmp_lt_i32_e32 vcc, v2, v11
	v_xor_b32_e32 v5, 16, v10
	v_max_f32_e32 v4, v62, v62
	v_cndmask_b32_e32 v2, v10, v2, vcc
	v_lshlrev_b32_e32 v2, 2, v2
	ds_bpermute_b32 v3, v2, v62
	v_cmp_lt_i32_e32 vcc, v5, v11
	v_xor_b32_e32 v6, 8, v10
	v_xor_b32_e32 v7, 4, v10
	v_and_b32_e32 v22, 63, v0
	s_waitcnt lgkmcnt(0)
	v_max_f32_e32 v3, v3, v3
	v_max_f32_e32 v4, v4, v3
	v_cndmask_b32_e32 v3, v10, v5, vcc
	v_lshlrev_b32_e32 v3, 2, v3
	ds_bpermute_b32 v5, v3, v4
	v_cmp_lt_i32_e32 vcc, v6, v11
	s_waitcnt lgkmcnt(0)
	v_max_f32_e32 v5, v5, v5
	v_max_f32_e32 v4, v4, v5
	v_cndmask_b32_e32 v5, v10, v6, vcc
	v_lshlrev_b32_e32 v6, 2, v5
	ds_bpermute_b32 v5, v6, v4
	v_cmp_lt_i32_e32 vcc, v7, v11
	s_waitcnt lgkmcnt(0)
	v_max_f32_e32 v5, v5, v5
	v_max_f32_e32 v5, v4, v5
	v_cndmask_b32_e32 v4, v10, v7, vcc
	v_lshlrev_b32_e32 v7, 2, v4
	ds_bpermute_b32 v8, v7, v5
	v_cmp_eq_u32_e32 vcc, 0, v22
	v_lshlrev_b32_e32 v4, 2, v1
	s_and_saveexec_b64 s[0:1], vcc
	s_cbranch_execz .LBB323_206
; %bb.205:
	s_waitcnt lgkmcnt(0)
	v_max_f32_e32 v8, v8, v8
	v_max_f32_e32 v5, v5, v5
	;; [unrolled: 1-line block ×3, first 2 shown]
	ds_write_b32 v4, v5 offset:384
.LBB323_206:
	s_or_b64 exec, exec, s[0:1]
	v_cmp_gt_u32_e64 s[0:1], 2, v22
	s_waitcnt lgkmcnt(0)
	v_mov_b32_e32 v8, 0xff7fffff
	v_lshlrev_b32_e32 v5, 2, v22
	s_barrier
	s_and_saveexec_b64 s[2:3], s[0:1]
	s_cbranch_execz .LBB323_208
; %bb.207:
	ds_read_b32 v8, v5 offset:384
.LBB323_208:
	s_or_b64 exec, exec, s[2:3]
	v_xor_b32_e32 v9, 1, v10
	v_cmp_lt_i32_e64 s[2:3], v9, v11
	v_lshlrev_b32_e32 v12, 2, v10
	s_nop 0
	v_cndmask_b32_e64 v9, v10, v9, s[2:3]
	v_lshlrev_b32_e32 v23, 2, v9
	s_waitcnt lgkmcnt(0)
	ds_bpermute_b32 v9, v23, v8
	v_max_f32_e32 v8, v8, v8
	s_lshl_b32 s2, s19, 4
	s_min_i32 s30, s2, s17
	v_cmp_gt_i32_e64 s[2:3], s30, v0
	s_waitcnt lgkmcnt(0)
	v_max_f32_e32 v9, v9, v9
	v_max_f32_e32 v9, v8, v9
	v_and_b32_e32 v8, 0xffffff00, v12
	ds_bpermute_b32 v12, v8, v9
	v_mov_b32_e32 v9, 0
	s_and_saveexec_b64 s[14:15], s[2:3]
	s_cbranch_execz .LBB323_212
; %bb.209:
	v_mov_b32_e32 v9, 0x190
	v_lshl_add_u32 v13, v0, 2, v9
	s_mov_b64 s[28:29], 0
	v_mov_b32_e32 v9, 0
	v_mov_b32_e32 v14, v0
.LBB323_210:                            ; =>This Inner Loop Header: Depth=1
	ds_read_b32 v15, v13
	v_add_u32_e32 v14, 0x80, v14
	v_cmp_le_i32_e64 s[8:9], s30, v14
	s_or_b64 s[28:29], s[8:9], s[28:29]
	s_waitcnt lgkmcnt(0)
	v_sub_f32_e32 v15, v15, v12
	v_mul_f32_e32 v15, 0x3fb8aa3b, v15
	v_exp_f32_e32 v15, v15
	ds_write_b32 v13, v15
	v_add_f32_e32 v9, v9, v15
	v_add_u32_e32 v13, 0x200, v13
	s_andn2_b64 exec, exec, s[28:29]
	s_cbranch_execnz .LBB323_210
; %bb.211:
	s_or_b64 exec, exec, s[28:29]
.LBB323_212:
	s_or_b64 exec, exec, s[14:15]
	ds_bpermute_b32 v2, v2, v9
	s_waitcnt lgkmcnt(0)
	v_add_f32_e32 v2, v9, v2
	ds_bpermute_b32 v3, v3, v2
	s_waitcnt lgkmcnt(0)
	v_add_f32_e32 v2, v2, v3
	ds_bpermute_b32 v3, v6, v2
	v_xor_b32_e32 v6, 2, v10
	v_cmp_lt_i32_e64 s[8:9], v6, v11
	s_waitcnt lgkmcnt(0)
	v_add_f32_e32 v2, v2, v3
	ds_bpermute_b32 v3, v7, v2
	v_cndmask_b32_e64 v6, v10, v6, s[8:9]
	s_waitcnt lgkmcnt(0)
	v_add_f32_e32 v2, v2, v3
	v_lshlrev_b32_e32 v3, 2, v6
	ds_bpermute_b32 v3, v3, v2
	s_waitcnt lgkmcnt(0)
	v_add_f32_e32 v2, v2, v3
	ds_bpermute_b32 v3, v23, v2
	s_waitcnt lgkmcnt(0)
	v_add_f32_e32 v2, v2, v3
	s_and_saveexec_b64 s[8:9], vcc
	s_cbranch_execz .LBB323_214
; %bb.213:
	ds_write_b32 v4, v2 offset:392
.LBB323_214:
	s_or_b64 exec, exec, s[8:9]
	s_waitcnt lgkmcnt(0)
	s_barrier
	s_and_saveexec_b64 s[8:9], s[0:1]
	s_cbranch_execz .LBB323_216
; %bb.215:
	ds_read_b32 v2, v5 offset:392
.LBB323_216:
	s_or_b64 exec, exec, s[8:9]
	s_waitcnt lgkmcnt(0)
	ds_bpermute_b32 v3, v23, v2
	s_waitcnt lgkmcnt(0)
	v_add_f32_e32 v2, v2, v3
	ds_bpermute_b32 v2, v8, v2
	s_and_saveexec_b64 s[0:1], s[2:3]
	s_cbranch_execz .LBB323_229
; %bb.217:
	s_waitcnt lgkmcnt(0)
	v_add_f32_e32 v2, 0x358637bd, v2
	v_div_scale_f32 v3, s[2:3], v2, v2, 1.0
	v_rcp_f32_e32 v4, v3
	v_div_scale_f32 v5, vcc, 1.0, v2, 1.0
	s_movk_i32 s2, 0x7f
	v_fma_f32 v6, -v3, v4, 1.0
	v_fmac_f32_e32 v4, v6, v4
	v_mul_f32_e32 v6, v5, v4
	v_fma_f32 v7, -v3, v6, v5
	v_fmac_f32_e32 v6, v7, v4
	v_fma_f32 v3, -v3, v6, v5
	v_div_fmas_f32 v3, v3, v4, v6
	v_xad_u32 v4, v0, -1, s30
	v_div_fixup_f32 v2, v3, v2, 1.0
	v_cmp_lt_u32_e32 vcc, s2, v4
	s_mov_b64 s[8:9], -1
	v_mov_b32_e32 v3, v0
	s_and_saveexec_b64 s[2:3], vcc
	s_cbranch_execz .LBB323_226
; %bb.218:
	v_lshrrev_b32_e32 v4, 7, v4
	v_add_u32_e32 v6, -1, v4
	v_lshrrev_b32_e32 v5, 1, v6
	v_mov_b32_e32 v3, v2
	v_add_u32_e32 v5, 1, v5
	v_cmp_lt_u32_e32 vcc, 13, v6
	v_mov_b32_e32 v8, 0
	s_and_saveexec_b64 s[8:9], vcc
	s_cbranch_execz .LBB323_222
; %bb.219:
	v_mov_b32_e32 v7, 0x190
	v_and_b32_e32 v6, -8, v5
	v_lshl_add_u32 v7, v0, 2, v7
	s_mov_b32 s28, 0
	s_mov_b64 s[14:15], 0
.LBB323_220:                            ; =>This Inner Loop Header: Depth=1
	ds_read2st64_b32 v[8:9], v7 offset1:2
	ds_read2st64_b32 v[10:11], v7 offset0:4 offset1:6
	ds_read2st64_b32 v[12:13], v7 offset0:8 offset1:10
	;; [unrolled: 1-line block ×3, first 2 shown]
	v_add_u32_e32 v6, -8, v6
	s_waitcnt lgkmcnt(3)
	v_pk_mul_f32 v[8:9], v[2:3], v[8:9]
	s_waitcnt lgkmcnt(2)
	v_pk_mul_f32 v[10:11], v[2:3], v[10:11]
	ds_write2st64_b32 v7, v8, v9 offset1:2
	ds_write2st64_b32 v7, v10, v11 offset0:4 offset1:6
	ds_read2st64_b32 v[10:11], v7 offset0:16 offset1:18
	s_waitcnt lgkmcnt(4)
	v_pk_mul_f32 v[8:9], v[2:3], v[12:13]
	ds_write2st64_b32 v7, v8, v9 offset0:8 offset1:10
	s_waitcnt lgkmcnt(4)
	v_pk_mul_f32 v[8:9], v[2:3], v[14:15]
	ds_write2st64_b32 v7, v8, v9 offset0:12 offset1:14
	ds_read2st64_b32 v[8:9], v7 offset0:20 offset1:22
	s_waitcnt lgkmcnt(3)
	v_pk_mul_f32 v[10:11], v[2:3], v[10:11]
	ds_read2st64_b32 v[12:13], v7 offset0:24 offset1:26
	ds_write2st64_b32 v7, v10, v11 offset0:16 offset1:18
	ds_read2st64_b32 v[10:11], v7 offset0:28 offset1:30
	s_waitcnt lgkmcnt(3)
	v_pk_mul_f32 v[8:9], v[2:3], v[8:9]
	ds_write2st64_b32 v7, v8, v9 offset0:20 offset1:22
	s_waitcnt lgkmcnt(3)
	v_pk_mul_f32 v[8:9], v[2:3], v[12:13]
	ds_write2st64_b32 v7, v8, v9 offset0:24 offset1:26
	s_waitcnt lgkmcnt(2)
	v_pk_mul_f32 v[8:9], v[2:3], v[10:11]
	s_add_i32 s28, s28, 16
	v_cmp_eq_u32_e32 vcc, 0, v6
	ds_write2st64_b32 v7, v8, v9 offset0:28 offset1:30
	v_add_u32_e32 v7, 0x2000, v7
	s_or_b64 s[14:15], vcc, s[14:15]
	v_mov_b32_e32 v8, s28
	s_andn2_b64 exec, exec, s[14:15]
	s_cbranch_execnz .LBB323_220
; %bb.221:
	s_or_b64 exec, exec, s[14:15]
.LBB323_222:
	s_or_b64 exec, exec, s[8:9]
	v_and_b32_e32 v5, 7, v5
	v_cmp_ne_u32_e32 vcc, 0, v5
	s_and_saveexec_b64 s[8:9], vcc
	s_cbranch_execz .LBB323_225
; %bb.223:
	v_lshlrev_b32_e32 v6, 9, v8
	v_lshlrev_b32_e32 v7, 2, v0
	s_movk_i32 s14, 0x190
	v_add3_u32 v6, v6, v7, s14
	s_mov_b64 s[14:15], 0
.LBB323_224:                            ; =>This Inner Loop Header: Depth=1
	ds_read2st64_b32 v[8:9], v6 offset1:2
	v_add_u32_e32 v5, -1, v5
	v_cmp_eq_u32_e32 vcc, 0, v5
	s_or_b64 s[14:15], vcc, s[14:15]
	s_waitcnt lgkmcnt(0)
	v_pk_mul_f32 v[8:9], v[2:3], v[8:9]
	ds_write2st64_b32 v6, v8, v9 offset1:2
	v_add_u32_e32 v6, 0x400, v6
	s_andn2_b64 exec, exec, s[14:15]
	s_cbranch_execnz .LBB323_224
.LBB323_225:
	s_or_b64 exec, exec, s[8:9]
	v_add_u32_e32 v4, 1, v4
	v_and_b32_e32 v5, 0x3fffffe, v4
	v_cmp_ne_u32_e32 vcc, v4, v5
	v_lshl_add_u32 v3, v5, 7, v0
	s_orn2_b64 s[8:9], vcc, exec
.LBB323_226:
	s_or_b64 exec, exec, s[2:3]
	s_and_b64 exec, exec, s[8:9]
	s_cbranch_execz .LBB323_229
; %bb.227:
	v_mov_b32_e32 v4, 0x190
	v_lshl_add_u32 v4, v3, 2, v4
	s_mov_b64 s[2:3], 0
.LBB323_228:                            ; =>This Inner Loop Header: Depth=1
	ds_read_b32 v5, v4
	v_add_u32_e32 v3, 0x80, v3
	v_cmp_le_i32_e32 vcc, s30, v3
	s_or_b64 s[2:3], vcc, s[2:3]
	s_waitcnt lgkmcnt(0)
	v_mul_f32_e32 v5, v2, v5
	ds_write_b32 v4, v5
	v_add_u32_e32 v4, 0x200, v4
	s_andn2_b64 exec, exec, s[2:3]
	s_cbranch_execnz .LBB323_228
.LBB323_229:
	s_or_b64 exec, exec, s[0:1]
	v_mov_b32_e32 v11, 0
	v_and_b32_e32 v24, 1, v0
	v_mov_b32_e32 v10, 0
	v_mov_b32_e32 v13, 0
	;; [unrolled: 1-line block ×5, first 2 shown]
	s_waitcnt lgkmcnt(0)
	s_barrier
	s_and_saveexec_b64 s[2:3], s[6:7]
	s_cbranch_execz .LBB323_661
; %bb.230:
	s_ashr_i32 s1, s33, 31
	v_lshlrev_b32_e32 v2, 3, v0
	s_add_u32 s0, s26, s33
	s_addc_u32 s1, s27, s1
	s_load_dword s10, s[10:11], 0x0
	v_and_b32_e32 v16, 0x1f8, v2
	v_mov_b32_e32 v17, 0
	v_and_b32_e32 v3, 8, v2
	s_add_i32 s11, s19, -1
	v_lshl_add_u64 v[18:19], s[0:1], 0, v[16:17]
	v_lshlrev_b32_e32 v2, 4, v1
	s_lshl_b64 s[0:1], s[24:25], 2
	v_or3_b32 v25, v2, v3, 7
	v_lshlrev_b32_e32 v2, 5, v24
	s_add_u32 s0, s22, s0
	v_lshl_or_b32 v2, v1, 6, v2
	v_and_b32_e32 v16, 60, v20
	s_addc_u32 s1, s23, s1
	v_add_u32_e32 v26, 0x190, v2
	v_lshl_add_u64 v[20:21], s[0:1], 0, v[16:17]
	s_mov_b64 s[6:7], 0
	s_mov_b32 s14, 0x7f800000
	s_movk_i32 s15, 0x7fff
	v_mov_b32_e32 v14, 0
	v_mov_b32_e32 v15, 0
	;; [unrolled: 1-line block ×6, first 2 shown]
	s_branch .LBB323_232
.LBB323_231:                            ;   in Loop: Header=BB323_232 Depth=1
	s_or_b64 exec, exec, s[0:1]
	v_and_b32_e32 v41, 0xffff0000, v9
	v_and_b32_e32 v40, 0xffff0000, v7
	v_and_b32_e32 v7, 0xffff0000, v8
	v_and_b32_e32 v6, 0xffff0000, v6
	v_and_b32_e32 v37, 0xffff0000, v36
	v_and_b32_e32 v36, 0xffff0000, v27
	v_and_b32_e32 v39, 0xffff0000, v28
	v_and_b32_e32 v38, 0xffff0000, v16
	v_pk_add_f32 v[6:7], v[6:7], v[40:41]
	v_pk_add_f32 v[8:9], v[38:39], v[36:37]
	v_add_f32_e32 v6, v6, v7
	v_add_f32_e32 v6, v6, v8
	v_add_f32_e32 v6, v6, v9
	v_and_b32_e32 v37, 0xffff0000, v48
	v_and_b32_e32 v36, 0xffff0000, v46
	v_and_b32_e32 v39, 0xffff0000, v47
	v_and_b32_e32 v38, 0xffff0000, v45
	v_add_f32_e32 v14, v14, v6
	v_and_b32_e32 v7, 0xffff0000, v52
	v_and_b32_e32 v6, 0xffff0000, v50
	v_and_b32_e32 v9, 0xffff0000, v51
	v_and_b32_e32 v8, 0xffff0000, v49
	v_pk_add_f32 v[36:37], v[38:39], v[36:37]
	v_pk_add_f32 v[6:7], v[8:9], v[6:7]
	v_add_f32_e32 v8, v36, v37
	v_add_f32_e32 v6, v8, v6
	v_add_f32_e32 v6, v6, v7
	v_and_b32_e32 v37, 0xffff0000, v56
	v_and_b32_e32 v36, 0xffff0000, v54
	v_and_b32_e32 v39, 0xffff0000, v55
	v_and_b32_e32 v38, 0xffff0000, v53
	v_add_f32_e32 v15, v15, v6
	v_and_b32_e32 v7, 0xffff0000, v60
	v_and_b32_e32 v6, 0xffff0000, v58
	v_and_b32_e32 v9, 0xffff0000, v59
	v_and_b32_e32 v8, 0xffff0000, v57
	;; [unrolled: 14-line block ×5, first 2 shown]
	v_pk_add_f32 v[2:3], v[2:3], v[8:9]
	v_pk_add_f32 v[4:5], v[6:7], v[4:5]
	v_add_f32_e32 v2, v2, v3
	v_add_f32_e32 v2, v2, v4
	v_add_u32_e32 v1, 2, v1
	v_add_f32_e32 v2, v2, v5
	v_cmp_le_i32_e32 vcc, s19, v1
	v_add_f32_e32 v11, v11, v2
	v_add_u32_e32 v25, 32, v25
	v_add_u32_e32 v26, 0x80, v26
	s_or_b64 s[6:7], vcc, s[6:7]
	v_lshl_add_u64 v[20:21], v[20:21], 0, 8
	s_andn2_b64 exec, exec, s[6:7]
	s_cbranch_execz .LBB323_660
.LBB323_232:                            ; =>This Inner Loop Header: Depth=1
	global_load_dword v29, v[20:21], off
	ds_read2_b64 v[6:9], v26 offset1:1
	ds_read2_b64 v[2:5], v26 offset0:2 offset1:3
                                        ; implicit-def: $vgpr37
	s_waitcnt lgkmcnt(0)
	v_and_b32_e32 v16, 0x7f800000, v6
	v_cmp_ne_u32_e32 vcc, s14, v16
	s_and_saveexec_b64 s[0:1], vcc
	s_xor_b64 s[0:1], exec, s[0:1]
; %bb.233:                              ;   in Loop: Header=BB323_232 Depth=1
	v_bfe_u32 v16, v6, 16, 1
	v_add3_u32 v37, v6, v16, s15
; %bb.234:                              ;   in Loop: Header=BB323_232 Depth=1
	s_andn2_saveexec_b64 s[0:1], s[0:1]
; %bb.235:                              ;   in Loop: Header=BB323_232 Depth=1
	v_or_b32_e32 v16, 0x10000, v6
	v_cmp_eq_u32_sdwa vcc, v6, v17 src0_sel:WORD_0 src1_sel:DWORD
	s_nop 1
	v_cndmask_b32_e32 v37, v16, v6, vcc
; %bb.236:                              ;   in Loop: Header=BB323_232 Depth=1
	s_or_b64 exec, exec, s[0:1]
	v_and_b32_e32 v6, 0x7f800000, v7
	v_cmp_ne_u32_e32 vcc, s14, v6
                                        ; implicit-def: $vgpr38
	s_and_saveexec_b64 s[0:1], vcc
	s_xor_b64 s[0:1], exec, s[0:1]
; %bb.237:                              ;   in Loop: Header=BB323_232 Depth=1
	v_bfe_u32 v6, v7, 16, 1
	v_add3_u32 v38, v7, v6, s15
; %bb.238:                              ;   in Loop: Header=BB323_232 Depth=1
	s_andn2_saveexec_b64 s[0:1], s[0:1]
; %bb.239:                              ;   in Loop: Header=BB323_232 Depth=1
	v_or_b32_e32 v6, 0x10000, v7
	v_cmp_eq_u32_sdwa vcc, v7, v17 src0_sel:WORD_0 src1_sel:DWORD
	s_nop 1
	v_cndmask_b32_e32 v38, v6, v7, vcc
; %bb.240:                              ;   in Loop: Header=BB323_232 Depth=1
	s_or_b64 exec, exec, s[0:1]
	v_and_b32_e32 v6, 0x7f800000, v8
	v_cmp_ne_u32_e32 vcc, s14, v6
                                        ; implicit-def: $vgpr39
	s_and_saveexec_b64 s[0:1], vcc
	s_xor_b64 s[0:1], exec, s[0:1]
; %bb.241:                              ;   in Loop: Header=BB323_232 Depth=1
	v_bfe_u32 v6, v8, 16, 1
	v_add3_u32 v39, v8, v6, s15
; %bb.242:                              ;   in Loop: Header=BB323_232 Depth=1
	s_andn2_saveexec_b64 s[0:1], s[0:1]
; %bb.243:                              ;   in Loop: Header=BB323_232 Depth=1
	v_or_b32_e32 v6, 0x10000, v8
	v_cmp_eq_u32_sdwa vcc, v8, v17 src0_sel:WORD_0 src1_sel:DWORD
	s_nop 1
	v_cndmask_b32_e32 v39, v6, v8, vcc
; %bb.244:                              ;   in Loop: Header=BB323_232 Depth=1
	s_or_b64 exec, exec, s[0:1]
	v_and_b32_e32 v6, 0x7f800000, v9
	v_cmp_ne_u32_e32 vcc, s14, v6
                                        ; implicit-def: $vgpr40
	s_and_saveexec_b64 s[0:1], vcc
	s_xor_b64 s[0:1], exec, s[0:1]
; %bb.245:                              ;   in Loop: Header=BB323_232 Depth=1
	v_bfe_u32 v6, v9, 16, 1
	v_add3_u32 v40, v9, v6, s15
                                        ; implicit-def: $vgpr6_vgpr7_vgpr8_vgpr9
; %bb.246:                              ;   in Loop: Header=BB323_232 Depth=1
	s_andn2_saveexec_b64 s[0:1], s[0:1]
; %bb.247:                              ;   in Loop: Header=BB323_232 Depth=1
	v_or_b32_e32 v6, 0x10000, v9
	v_cmp_eq_u32_sdwa vcc, v9, v17 src0_sel:WORD_0 src1_sel:DWORD
	s_nop 1
	v_cndmask_b32_e32 v40, v6, v9, vcc
; %bb.248:                              ;   in Loop: Header=BB323_232 Depth=1
	s_or_b64 exec, exec, s[0:1]
	v_and_b32_e32 v6, 0x7f800000, v2
	v_cmp_ne_u32_e32 vcc, s14, v6
                                        ; implicit-def: $vgpr16
	s_and_saveexec_b64 s[0:1], vcc
	s_xor_b64 s[0:1], exec, s[0:1]
; %bb.249:                              ;   in Loop: Header=BB323_232 Depth=1
	v_bfe_u32 v6, v2, 16, 1
	v_add3_u32 v16, v2, v6, s15
; %bb.250:                              ;   in Loop: Header=BB323_232 Depth=1
	s_andn2_saveexec_b64 s[0:1], s[0:1]
; %bb.251:                              ;   in Loop: Header=BB323_232 Depth=1
	v_or_b32_e32 v6, 0x10000, v2
	v_cmp_eq_u32_sdwa vcc, v2, v17 src0_sel:WORD_0 src1_sel:DWORD
	s_nop 1
	v_cndmask_b32_e32 v16, v6, v2, vcc
; %bb.252:                              ;   in Loop: Header=BB323_232 Depth=1
	s_or_b64 exec, exec, s[0:1]
	v_and_b32_e32 v2, 0x7f800000, v3
	v_cmp_ne_u32_e32 vcc, s14, v2
                                        ; implicit-def: $vgpr27
	s_and_saveexec_b64 s[0:1], vcc
	s_xor_b64 s[0:1], exec, s[0:1]
; %bb.253:                              ;   in Loop: Header=BB323_232 Depth=1
	v_bfe_u32 v2, v3, 16, 1
	v_add3_u32 v27, v3, v2, s15
; %bb.254:                              ;   in Loop: Header=BB323_232 Depth=1
	s_andn2_saveexec_b64 s[0:1], s[0:1]
; %bb.255:                              ;   in Loop: Header=BB323_232 Depth=1
	v_or_b32_e32 v2, 0x10000, v3
	v_cmp_eq_u32_sdwa vcc, v3, v17 src0_sel:WORD_0 src1_sel:DWORD
	s_nop 1
	v_cndmask_b32_e32 v27, v2, v3, vcc
; %bb.256:                              ;   in Loop: Header=BB323_232 Depth=1
	s_or_b64 exec, exec, s[0:1]
	v_and_b32_e32 v2, 0x7f800000, v4
	v_cmp_ne_u32_e32 vcc, s14, v2
                                        ; implicit-def: $vgpr28
	s_and_saveexec_b64 s[0:1], vcc
	s_xor_b64 s[0:1], exec, s[0:1]
; %bb.257:                              ;   in Loop: Header=BB323_232 Depth=1
	v_bfe_u32 v2, v4, 16, 1
	v_add3_u32 v28, v4, v2, s15
; %bb.258:                              ;   in Loop: Header=BB323_232 Depth=1
	s_andn2_saveexec_b64 s[0:1], s[0:1]
; %bb.259:                              ;   in Loop: Header=BB323_232 Depth=1
	v_or_b32_e32 v2, 0x10000, v4
	v_cmp_eq_u32_sdwa vcc, v4, v17 src0_sel:WORD_0 src1_sel:DWORD
	s_nop 1
	v_cndmask_b32_e32 v28, v2, v4, vcc
; %bb.260:                              ;   in Loop: Header=BB323_232 Depth=1
	s_or_b64 exec, exec, s[0:1]
	v_and_b32_e32 v2, 0x7f800000, v5
	v_cmp_ne_u32_e32 vcc, s14, v2
                                        ; implicit-def: $vgpr36
	s_and_saveexec_b64 s[0:1], vcc
	s_xor_b64 s[0:1], exec, s[0:1]
; %bb.261:                              ;   in Loop: Header=BB323_232 Depth=1
	v_bfe_u32 v2, v5, 16, 1
	v_add3_u32 v36, v5, v2, s15
                                        ; implicit-def: $vgpr2_vgpr3_vgpr4_vgpr5
; %bb.262:                              ;   in Loop: Header=BB323_232 Depth=1
	s_andn2_saveexec_b64 s[0:1], s[0:1]
; %bb.263:                              ;   in Loop: Header=BB323_232 Depth=1
	v_or_b32_e32 v2, 0x10000, v5
	v_cmp_eq_u32_sdwa vcc, v5, v17 src0_sel:WORD_0 src1_sel:DWORD
	s_nop 1
	v_cndmask_b32_e32 v36, v2, v5, vcc
; %bb.264:                              ;   in Loop: Header=BB323_232 Depth=1
	s_or_b64 exec, exec, s[0:1]
	s_waitcnt vmcnt(0)
	v_mad_i64_i32 v[2:3], s[0:1], v29, s13, v[18:19]
	global_load_dwordx2 v[4:5], v[2:3], off
	s_waitcnt vmcnt(0)
	v_and_b32_e32 v6, 0xff, v4
	v_cvt_f32_fp8_sdwa v6, v6 src0_sel:BYTE_0
	s_nop 0
	v_mul_f32_e32 v7, s10, v6
	v_and_b32_e32 v6, 0x7f800000, v7
	v_cmp_ne_u32_e32 vcc, s14, v6
                                        ; implicit-def: $vgpr6
	s_and_saveexec_b64 s[0:1], vcc
	s_xor_b64 s[0:1], exec, s[0:1]
; %bb.265:                              ;   in Loop: Header=BB323_232 Depth=1
	v_bfe_u32 v6, v7, 16, 1
	v_add3_u32 v6, v7, v6, s15
                                        ; implicit-def: $vgpr7
; %bb.266:                              ;   in Loop: Header=BB323_232 Depth=1
	s_andn2_saveexec_b64 s[0:1], s[0:1]
; %bb.267:                              ;   in Loop: Header=BB323_232 Depth=1
	v_or_b32_e32 v6, 0x10000, v7
	v_cmp_eq_u32_sdwa vcc, v7, v17 src0_sel:WORD_0 src1_sel:DWORD
	s_nop 1
	v_cndmask_b32_e32 v6, v6, v7, vcc
; %bb.268:                              ;   in Loop: Header=BB323_232 Depth=1
	s_or_b64 exec, exec, s[0:1]
	v_bfe_u32 v7, v4, 8, 8
	v_cvt_f32_fp8_sdwa v7, v7 src0_sel:BYTE_0
	s_nop 0
	v_mul_f32_e32 v8, s10, v7
	v_and_b32_e32 v7, 0x7f800000, v8
	v_cmp_ne_u32_e32 vcc, s14, v7
                                        ; implicit-def: $vgpr7
	s_and_saveexec_b64 s[0:1], vcc
	s_xor_b64 s[0:1], exec, s[0:1]
; %bb.269:                              ;   in Loop: Header=BB323_232 Depth=1
	v_bfe_u32 v7, v8, 16, 1
	v_add3_u32 v7, v8, v7, s15
                                        ; implicit-def: $vgpr8
; %bb.270:                              ;   in Loop: Header=BB323_232 Depth=1
	s_andn2_saveexec_b64 s[0:1], s[0:1]
; %bb.271:                              ;   in Loop: Header=BB323_232 Depth=1
	v_or_b32_e32 v7, 0x10000, v8
	v_cmp_eq_u32_sdwa vcc, v8, v17 src0_sel:WORD_0 src1_sel:DWORD
	s_nop 1
	v_cndmask_b32_e32 v7, v7, v8, vcc
; %bb.272:                              ;   in Loop: Header=BB323_232 Depth=1
	s_or_b64 exec, exec, s[0:1]
	v_bfe_u32 v8, v4, 16, 8
	v_cvt_f32_fp8_sdwa v8, v8 src0_sel:BYTE_0
	s_nop 0
	v_mul_f32_e32 v9, s10, v8
	v_and_b32_e32 v8, 0x7f800000, v9
	v_cmp_ne_u32_e32 vcc, s14, v8
                                        ; implicit-def: $vgpr8
	s_and_saveexec_b64 s[0:1], vcc
	s_xor_b64 s[0:1], exec, s[0:1]
; %bb.273:                              ;   in Loop: Header=BB323_232 Depth=1
	v_bfe_u32 v8, v9, 16, 1
	v_add3_u32 v8, v9, v8, s15
                                        ; implicit-def: $vgpr9
; %bb.274:                              ;   in Loop: Header=BB323_232 Depth=1
	s_andn2_saveexec_b64 s[0:1], s[0:1]
; %bb.275:                              ;   in Loop: Header=BB323_232 Depth=1
	v_or_b32_e32 v8, 0x10000, v9
	v_cmp_eq_u32_sdwa vcc, v9, v17 src0_sel:WORD_0 src1_sel:DWORD
	s_nop 1
	v_cndmask_b32_e32 v8, v8, v9, vcc
; %bb.276:                              ;   in Loop: Header=BB323_232 Depth=1
	s_or_b64 exec, exec, s[0:1]
	v_lshrrev_b32_e32 v4, 24, v4
	v_cvt_f32_fp8_sdwa v4, v4 src0_sel:BYTE_0
	s_nop 0
	v_mul_f32_e32 v9, s10, v4
	v_and_b32_e32 v4, 0x7f800000, v9
	v_cmp_ne_u32_e32 vcc, s14, v4
                                        ; implicit-def: $vgpr4
	s_and_saveexec_b64 s[0:1], vcc
	s_xor_b64 s[0:1], exec, s[0:1]
; %bb.277:                              ;   in Loop: Header=BB323_232 Depth=1
	v_bfe_u32 v4, v9, 16, 1
	v_add3_u32 v4, v9, v4, s15
                                        ; implicit-def: $vgpr9
; %bb.278:                              ;   in Loop: Header=BB323_232 Depth=1
	s_andn2_saveexec_b64 s[0:1], s[0:1]
; %bb.279:                              ;   in Loop: Header=BB323_232 Depth=1
	v_or_b32_e32 v4, 0x10000, v9
	v_cmp_eq_u32_sdwa vcc, v9, v17 src0_sel:WORD_0 src1_sel:DWORD
	s_nop 1
	v_cndmask_b32_e32 v4, v4, v9, vcc
; %bb.280:                              ;   in Loop: Header=BB323_232 Depth=1
	s_or_b64 exec, exec, s[0:1]
	v_and_b32_e32 v9, 0xff, v5
	v_cvt_f32_fp8_sdwa v9, v9 src0_sel:BYTE_0
	s_nop 0
	v_mul_f32_e32 v29, s10, v9
	v_and_b32_e32 v9, 0x7f800000, v29
	v_cmp_ne_u32_e32 vcc, s14, v9
                                        ; implicit-def: $vgpr9
	s_and_saveexec_b64 s[0:1], vcc
	s_xor_b64 s[0:1], exec, s[0:1]
; %bb.281:                              ;   in Loop: Header=BB323_232 Depth=1
	v_bfe_u32 v9, v29, 16, 1
	v_add3_u32 v9, v29, v9, s15
                                        ; implicit-def: $vgpr29
; %bb.282:                              ;   in Loop: Header=BB323_232 Depth=1
	s_andn2_saveexec_b64 s[0:1], s[0:1]
; %bb.283:                              ;   in Loop: Header=BB323_232 Depth=1
	v_or_b32_e32 v9, 0x10000, v29
	v_cmp_eq_u32_sdwa vcc, v29, v17 src0_sel:WORD_0 src1_sel:DWORD
	s_nop 1
	v_cndmask_b32_e32 v9, v9, v29, vcc
; %bb.284:                              ;   in Loop: Header=BB323_232 Depth=1
	s_or_b64 exec, exec, s[0:1]
	v_bfe_u32 v29, v5, 8, 8
	v_cvt_f32_fp8_sdwa v29, v29 src0_sel:BYTE_0
	s_nop 0
	v_mul_f32_e32 v29, s10, v29
	v_and_b32_e32 v30, 0x7f800000, v29
	v_cmp_ne_u32_e32 vcc, s14, v30
                                        ; implicit-def: $vgpr30
	s_and_saveexec_b64 s[0:1], vcc
	s_xor_b64 s[0:1], exec, s[0:1]
; %bb.285:                              ;   in Loop: Header=BB323_232 Depth=1
	v_bfe_u32 v30, v29, 16, 1
	v_add3_u32 v30, v29, v30, s15
                                        ; implicit-def: $vgpr29
; %bb.286:                              ;   in Loop: Header=BB323_232 Depth=1
	s_andn2_saveexec_b64 s[0:1], s[0:1]
; %bb.287:                              ;   in Loop: Header=BB323_232 Depth=1
	v_or_b32_e32 v30, 0x10000, v29
	v_cmp_eq_u32_sdwa vcc, v29, v17 src0_sel:WORD_0 src1_sel:DWORD
	s_nop 1
	v_cndmask_b32_e32 v30, v30, v29, vcc
; %bb.288:                              ;   in Loop: Header=BB323_232 Depth=1
	s_or_b64 exec, exec, s[0:1]
	v_bfe_u32 v29, v5, 16, 8
	v_cvt_f32_fp8_sdwa v29, v29 src0_sel:BYTE_0
	s_nop 0
	v_mul_f32_e32 v29, s10, v29
	v_and_b32_e32 v31, 0x7f800000, v29
	v_cmp_ne_u32_e32 vcc, s14, v31
                                        ; implicit-def: $vgpr31
	s_and_saveexec_b64 s[0:1], vcc
	s_xor_b64 s[0:1], exec, s[0:1]
; %bb.289:                              ;   in Loop: Header=BB323_232 Depth=1
	v_bfe_u32 v31, v29, 16, 1
	v_add3_u32 v31, v29, v31, s15
                                        ; implicit-def: $vgpr29
; %bb.290:                              ;   in Loop: Header=BB323_232 Depth=1
	s_andn2_saveexec_b64 s[0:1], s[0:1]
; %bb.291:                              ;   in Loop: Header=BB323_232 Depth=1
	v_or_b32_e32 v31, 0x10000, v29
	v_cmp_eq_u32_sdwa vcc, v29, v17 src0_sel:WORD_0 src1_sel:DWORD
	s_nop 1
	v_cndmask_b32_e32 v31, v31, v29, vcc
; %bb.292:                              ;   in Loop: Header=BB323_232 Depth=1
	s_or_b64 exec, exec, s[0:1]
	v_lshrrev_b32_e32 v5, 24, v5
	v_cvt_f32_fp8_sdwa v5, v5 src0_sel:BYTE_0
                                        ; implicit-def: $vgpr32
	s_nop 0
	v_mul_f32_e32 v5, s10, v5
	v_and_b32_e32 v29, 0x7f800000, v5
	v_cmp_ne_u32_e32 vcc, s14, v29
	s_and_saveexec_b64 s[0:1], vcc
	s_xor_b64 s[0:1], exec, s[0:1]
; %bb.293:                              ;   in Loop: Header=BB323_232 Depth=1
	v_bfe_u32 v29, v5, 16, 1
	v_add3_u32 v32, v5, v29, s15
                                        ; implicit-def: $vgpr5
; %bb.294:                              ;   in Loop: Header=BB323_232 Depth=1
	s_andn2_saveexec_b64 s[0:1], s[0:1]
; %bb.295:                              ;   in Loop: Header=BB323_232 Depth=1
	v_or_b32_e32 v29, 0x10000, v5
	v_cmp_eq_u32_sdwa vcc, v5, v17 src0_sel:WORD_0 src1_sel:DWORD
	s_nop 1
	v_cndmask_b32_e32 v32, v29, v5, vcc
; %bb.296:                              ;   in Loop: Header=BB323_232 Depth=1
	s_or_b64 exec, exec, s[0:1]
	v_cmp_eq_u32_e32 vcc, s11, v1
	v_add_u32_e32 v29, -7, v25
	v_lshrrev_b32_e32 v43, 16, v30
	v_lshrrev_b32_e32 v42, 16, v9
	;; [unrolled: 1-line block ×8, first 2 shown]
	v_add_u32_e32 v35, -6, v25
	v_add_u32_e32 v34, -5, v25
	;; [unrolled: 1-line block ×6, first 2 shown]
	s_and_saveexec_b64 s[8:9], vcc
	s_cbranch_execz .LBB323_298
; %bb.297:                              ;   in Loop: Header=BB323_232 Depth=1
	v_cmp_gt_i32_e64 s[0:1], s17, v29
	s_nop 1
	v_cndmask_b32_e64 v6, 0, v6, s[0:1]
	v_cmp_gt_i32_e64 s[0:1], s17, v35
	s_nop 1
	v_cndmask_b32_e64 v7, 0, v7, s[0:1]
	;; [unrolled: 3-line block ×8, first 2 shown]
.LBB323_298:                            ;   in Loop: Header=BB323_232 Depth=1
	s_or_b64 exec, exec, s[8:9]
	v_and_b32_e32 v37, 0xffff0000, v37
	v_lshlrev_b32_e32 v6, 16, v6
	v_mul_f32_e32 v41, v37, v6
	v_and_b32_e32 v6, 0x7f800000, v41
	v_cmp_ne_u32_e64 s[0:1], s14, v6
                                        ; implicit-def: $vgpr6
	s_and_saveexec_b64 s[8:9], s[0:1]
	s_xor_b64 s[0:1], exec, s[8:9]
; %bb.299:                              ;   in Loop: Header=BB323_232 Depth=1
	v_bfe_u32 v6, v41, 16, 1
	v_add3_u32 v6, v41, v6, s15
                                        ; implicit-def: $vgpr41
; %bb.300:                              ;   in Loop: Header=BB323_232 Depth=1
	s_andn2_saveexec_b64 s[8:9], s[0:1]
; %bb.301:                              ;   in Loop: Header=BB323_232 Depth=1
	v_or_b32_e32 v6, 0x10000, v41
	v_cmp_eq_u32_sdwa s[0:1], v41, v17 src0_sel:WORD_0 src1_sel:DWORD
	s_nop 1
	v_cndmask_b32_e64 v6, v6, v41, s[0:1]
; %bb.302:                              ;   in Loop: Header=BB323_232 Depth=1
	s_or_b64 exec, exec, s[8:9]
	v_and_b32_e32 v38, 0xffff0000, v38
	v_lshlrev_b32_e32 v7, 16, v7
	v_mul_f32_e32 v41, v38, v7
	v_and_b32_e32 v7, 0x7f800000, v41
	v_cmp_ne_u32_e64 s[0:1], s14, v7
                                        ; implicit-def: $vgpr7
	s_and_saveexec_b64 s[8:9], s[0:1]
	s_xor_b64 s[0:1], exec, s[8:9]
; %bb.303:                              ;   in Loop: Header=BB323_232 Depth=1
	v_bfe_u32 v7, v41, 16, 1
	v_add3_u32 v7, v41, v7, s15
                                        ; implicit-def: $vgpr41
; %bb.304:                              ;   in Loop: Header=BB323_232 Depth=1
	s_andn2_saveexec_b64 s[8:9], s[0:1]
; %bb.305:                              ;   in Loop: Header=BB323_232 Depth=1
	v_or_b32_e32 v7, 0x10000, v41
	v_cmp_eq_u32_sdwa s[0:1], v41, v17 src0_sel:WORD_0 src1_sel:DWORD
	s_nop 1
	v_cndmask_b32_e64 v7, v7, v41, s[0:1]
; %bb.306:                              ;   in Loop: Header=BB323_232 Depth=1
	s_or_b64 exec, exec, s[8:9]
	v_and_b32_e32 v39, 0xffff0000, v39
	v_lshlrev_b32_e32 v8, 16, v8
	v_mul_f32_e32 v41, v39, v8
	v_and_b32_e32 v8, 0x7f800000, v41
	v_cmp_ne_u32_e64 s[0:1], s14, v8
                                        ; implicit-def: $vgpr8
	s_and_saveexec_b64 s[8:9], s[0:1]
	s_xor_b64 s[0:1], exec, s[8:9]
; %bb.307:                              ;   in Loop: Header=BB323_232 Depth=1
	v_bfe_u32 v8, v41, 16, 1
	v_add3_u32 v8, v41, v8, s15
                                        ; implicit-def: $vgpr41
; %bb.308:                              ;   in Loop: Header=BB323_232 Depth=1
	s_andn2_saveexec_b64 s[8:9], s[0:1]
; %bb.309:                              ;   in Loop: Header=BB323_232 Depth=1
	v_or_b32_e32 v8, 0x10000, v41
	v_cmp_eq_u32_sdwa s[0:1], v41, v17 src0_sel:WORD_0 src1_sel:DWORD
	s_nop 1
	v_cndmask_b32_e64 v8, v8, v41, s[0:1]
; %bb.310:                              ;   in Loop: Header=BB323_232 Depth=1
	s_or_b64 exec, exec, s[8:9]
	v_and_b32_e32 v40, 0xffff0000, v40
	v_lshlrev_b32_e32 v9, 16, v9
	v_mul_f32_e32 v41, v40, v9
	v_and_b32_e32 v9, 0x7f800000, v41
	v_cmp_ne_u32_e64 s[0:1], s14, v9
                                        ; implicit-def: $vgpr9
	s_and_saveexec_b64 s[8:9], s[0:1]
	s_xor_b64 s[0:1], exec, s[8:9]
; %bb.311:                              ;   in Loop: Header=BB323_232 Depth=1
	v_bfe_u32 v9, v41, 16, 1
	v_add3_u32 v9, v41, v9, s15
                                        ; implicit-def: $vgpr41
; %bb.312:                              ;   in Loop: Header=BB323_232 Depth=1
	s_andn2_saveexec_b64 s[8:9], s[0:1]
; %bb.313:                              ;   in Loop: Header=BB323_232 Depth=1
	v_or_b32_e32 v9, 0x10000, v41
	v_cmp_eq_u32_sdwa s[0:1], v41, v17 src0_sel:WORD_0 src1_sel:DWORD
	s_nop 1
	v_cndmask_b32_e64 v9, v9, v41, s[0:1]
; %bb.314:                              ;   in Loop: Header=BB323_232 Depth=1
	s_or_b64 exec, exec, s[8:9]
	v_and_b32_e32 v41, 0xffff0000, v16
	v_lshlrev_b32_e32 v16, 16, v42
	v_mul_f32_e32 v42, v41, v16
	v_and_b32_e32 v16, 0x7f800000, v42
	v_cmp_ne_u32_e64 s[0:1], s14, v16
                                        ; implicit-def: $vgpr16
	s_and_saveexec_b64 s[8:9], s[0:1]
	s_xor_b64 s[0:1], exec, s[8:9]
; %bb.315:                              ;   in Loop: Header=BB323_232 Depth=1
	v_bfe_u32 v16, v42, 16, 1
	v_add3_u32 v16, v42, v16, s15
                                        ; implicit-def: $vgpr42
; %bb.316:                              ;   in Loop: Header=BB323_232 Depth=1
	s_andn2_saveexec_b64 s[8:9], s[0:1]
; %bb.317:                              ;   in Loop: Header=BB323_232 Depth=1
	v_or_b32_e32 v16, 0x10000, v42
	v_cmp_eq_u32_sdwa s[0:1], v42, v17 src0_sel:WORD_0 src1_sel:DWORD
	s_nop 1
	v_cndmask_b32_e64 v16, v16, v42, s[0:1]
; %bb.318:                              ;   in Loop: Header=BB323_232 Depth=1
	s_or_b64 exec, exec, s[8:9]
	v_and_b32_e32 v42, 0xffff0000, v27
	v_lshlrev_b32_e32 v27, 16, v43
	v_mul_f32_e32 v43, v42, v27
	v_and_b32_e32 v27, 0x7f800000, v43
	v_cmp_ne_u32_e64 s[0:1], s14, v27
                                        ; implicit-def: $vgpr27
	s_and_saveexec_b64 s[8:9], s[0:1]
	s_xor_b64 s[0:1], exec, s[8:9]
; %bb.319:                              ;   in Loop: Header=BB323_232 Depth=1
	v_bfe_u32 v27, v43, 16, 1
	v_add3_u32 v27, v43, v27, s15
                                        ; implicit-def: $vgpr43
; %bb.320:                              ;   in Loop: Header=BB323_232 Depth=1
	s_andn2_saveexec_b64 s[8:9], s[0:1]
; %bb.321:                              ;   in Loop: Header=BB323_232 Depth=1
	v_or_b32_e32 v27, 0x10000, v43
	v_cmp_eq_u32_sdwa s[0:1], v43, v17 src0_sel:WORD_0 src1_sel:DWORD
	s_nop 1
	v_cndmask_b32_e64 v27, v27, v43, s[0:1]
; %bb.322:                              ;   in Loop: Header=BB323_232 Depth=1
	s_or_b64 exec, exec, s[8:9]
	v_and_b32_e32 v43, 0xffff0000, v28
	v_lshlrev_b32_e32 v5, 16, v5
	v_mul_f32_e32 v5, v43, v5
	v_and_b32_e32 v28, 0x7f800000, v5
	v_cmp_ne_u32_e64 s[0:1], s14, v28
                                        ; implicit-def: $vgpr28
	s_and_saveexec_b64 s[8:9], s[0:1]
	s_xor_b64 s[0:1], exec, s[8:9]
; %bb.323:                              ;   in Loop: Header=BB323_232 Depth=1
	v_bfe_u32 v28, v5, 16, 1
	v_add3_u32 v28, v5, v28, s15
                                        ; implicit-def: $vgpr5
; %bb.324:                              ;   in Loop: Header=BB323_232 Depth=1
	s_andn2_saveexec_b64 s[8:9], s[0:1]
; %bb.325:                              ;   in Loop: Header=BB323_232 Depth=1
	v_or_b32_e32 v28, 0x10000, v5
	v_cmp_eq_u32_sdwa s[0:1], v5, v17 src0_sel:WORD_0 src1_sel:DWORD
	s_nop 1
	v_cndmask_b32_e64 v28, v28, v5, s[0:1]
; %bb.326:                              ;   in Loop: Header=BB323_232 Depth=1
	s_or_b64 exec, exec, s[8:9]
	v_and_b32_e32 v44, 0xffff0000, v36
	v_lshlrev_b32_e32 v4, 16, v4
	v_mul_f32_e32 v4, v44, v4
	v_and_b32_e32 v5, 0x7f800000, v4
	v_cmp_ne_u32_e64 s[0:1], s14, v5
                                        ; implicit-def: $vgpr36
	s_and_saveexec_b64 s[8:9], s[0:1]
	s_xor_b64 s[0:1], exec, s[8:9]
; %bb.327:                              ;   in Loop: Header=BB323_232 Depth=1
	v_bfe_u32 v5, v4, 16, 1
	v_add3_u32 v36, v4, v5, s15
                                        ; implicit-def: $vgpr4
; %bb.328:                              ;   in Loop: Header=BB323_232 Depth=1
	s_andn2_saveexec_b64 s[8:9], s[0:1]
; %bb.329:                              ;   in Loop: Header=BB323_232 Depth=1
	v_or_b32_e32 v5, 0x10000, v4
	v_cmp_eq_u32_sdwa s[0:1], v4, v17 src0_sel:WORD_0 src1_sel:DWORD
	s_nop 1
	v_cndmask_b32_e64 v36, v5, v4, s[0:1]
; %bb.330:                              ;   in Loop: Header=BB323_232 Depth=1
	s_or_b64 exec, exec, s[8:9]
	global_load_dwordx2 v[4:5], v[2:3], off offset:512
	s_waitcnt vmcnt(0)
	v_and_b32_e32 v45, 0xff, v4
	v_cvt_f32_fp8_sdwa v45, v45 src0_sel:BYTE_0
	s_nop 0
	v_mul_f32_e32 v46, s10, v45
	v_and_b32_e32 v45, 0x7f800000, v46
	v_cmp_ne_u32_e64 s[0:1], s14, v45
                                        ; implicit-def: $vgpr45
	s_and_saveexec_b64 s[8:9], s[0:1]
	s_xor_b64 s[0:1], exec, s[8:9]
; %bb.331:                              ;   in Loop: Header=BB323_232 Depth=1
	v_bfe_u32 v45, v46, 16, 1
	v_add3_u32 v45, v46, v45, s15
                                        ; implicit-def: $vgpr46
; %bb.332:                              ;   in Loop: Header=BB323_232 Depth=1
	s_andn2_saveexec_b64 s[8:9], s[0:1]
; %bb.333:                              ;   in Loop: Header=BB323_232 Depth=1
	v_or_b32_e32 v45, 0x10000, v46
	v_cmp_eq_u32_sdwa s[0:1], v46, v17 src0_sel:WORD_0 src1_sel:DWORD
	s_nop 1
	v_cndmask_b32_e64 v45, v45, v46, s[0:1]
; %bb.334:                              ;   in Loop: Header=BB323_232 Depth=1
	s_or_b64 exec, exec, s[8:9]
	v_bfe_u32 v46, v4, 8, 8
	v_cvt_f32_fp8_sdwa v46, v46 src0_sel:BYTE_0
	s_nop 0
	v_mul_f32_e32 v47, s10, v46
	v_and_b32_e32 v46, 0x7f800000, v47
	v_cmp_ne_u32_e64 s[0:1], s14, v46
                                        ; implicit-def: $vgpr46
	s_and_saveexec_b64 s[8:9], s[0:1]
	s_xor_b64 s[0:1], exec, s[8:9]
; %bb.335:                              ;   in Loop: Header=BB323_232 Depth=1
	v_bfe_u32 v46, v47, 16, 1
	v_add3_u32 v46, v47, v46, s15
                                        ; implicit-def: $vgpr47
; %bb.336:                              ;   in Loop: Header=BB323_232 Depth=1
	s_andn2_saveexec_b64 s[8:9], s[0:1]
; %bb.337:                              ;   in Loop: Header=BB323_232 Depth=1
	v_or_b32_e32 v46, 0x10000, v47
	v_cmp_eq_u32_sdwa s[0:1], v47, v17 src0_sel:WORD_0 src1_sel:DWORD
	s_nop 1
	v_cndmask_b32_e64 v46, v46, v47, s[0:1]
; %bb.338:                              ;   in Loop: Header=BB323_232 Depth=1
	s_or_b64 exec, exec, s[8:9]
	v_bfe_u32 v47, v4, 16, 8
	v_cvt_f32_fp8_sdwa v47, v47 src0_sel:BYTE_0
	s_nop 0
	v_mul_f32_e32 v48, s10, v47
	v_and_b32_e32 v47, 0x7f800000, v48
	v_cmp_ne_u32_e64 s[0:1], s14, v47
                                        ; implicit-def: $vgpr47
	s_and_saveexec_b64 s[8:9], s[0:1]
	s_xor_b64 s[0:1], exec, s[8:9]
; %bb.339:                              ;   in Loop: Header=BB323_232 Depth=1
	v_bfe_u32 v47, v48, 16, 1
	v_add3_u32 v47, v48, v47, s15
                                        ; implicit-def: $vgpr48
; %bb.340:                              ;   in Loop: Header=BB323_232 Depth=1
	s_andn2_saveexec_b64 s[8:9], s[0:1]
; %bb.341:                              ;   in Loop: Header=BB323_232 Depth=1
	v_or_b32_e32 v47, 0x10000, v48
	v_cmp_eq_u32_sdwa s[0:1], v48, v17 src0_sel:WORD_0 src1_sel:DWORD
	s_nop 1
	v_cndmask_b32_e64 v47, v47, v48, s[0:1]
; %bb.342:                              ;   in Loop: Header=BB323_232 Depth=1
	s_or_b64 exec, exec, s[8:9]
	v_lshrrev_b32_e32 v4, 24, v4
	v_cvt_f32_fp8_sdwa v4, v4 src0_sel:BYTE_0
	s_nop 0
	v_mul_f32_e32 v48, s10, v4
	v_and_b32_e32 v4, 0x7f800000, v48
	v_cmp_ne_u32_e64 s[0:1], s14, v4
                                        ; implicit-def: $vgpr4
	s_and_saveexec_b64 s[8:9], s[0:1]
	s_xor_b64 s[0:1], exec, s[8:9]
; %bb.343:                              ;   in Loop: Header=BB323_232 Depth=1
	v_bfe_u32 v4, v48, 16, 1
	v_add3_u32 v4, v48, v4, s15
                                        ; implicit-def: $vgpr48
; %bb.344:                              ;   in Loop: Header=BB323_232 Depth=1
	s_andn2_saveexec_b64 s[8:9], s[0:1]
; %bb.345:                              ;   in Loop: Header=BB323_232 Depth=1
	v_or_b32_e32 v4, 0x10000, v48
	v_cmp_eq_u32_sdwa s[0:1], v48, v17 src0_sel:WORD_0 src1_sel:DWORD
	s_nop 1
	v_cndmask_b32_e64 v4, v4, v48, s[0:1]
; %bb.346:                              ;   in Loop: Header=BB323_232 Depth=1
	s_or_b64 exec, exec, s[8:9]
	v_and_b32_e32 v48, 0xff, v5
	v_cvt_f32_fp8_sdwa v48, v48 src0_sel:BYTE_0
	s_nop 0
	v_mul_f32_e32 v49, s10, v48
	v_and_b32_e32 v48, 0x7f800000, v49
	v_cmp_ne_u32_e64 s[0:1], s14, v48
                                        ; implicit-def: $vgpr48
	s_and_saveexec_b64 s[8:9], s[0:1]
	s_xor_b64 s[0:1], exec, s[8:9]
; %bb.347:                              ;   in Loop: Header=BB323_232 Depth=1
	v_bfe_u32 v48, v49, 16, 1
	v_add3_u32 v48, v49, v48, s15
                                        ; implicit-def: $vgpr49
; %bb.348:                              ;   in Loop: Header=BB323_232 Depth=1
	s_andn2_saveexec_b64 s[8:9], s[0:1]
; %bb.349:                              ;   in Loop: Header=BB323_232 Depth=1
	v_or_b32_e32 v48, 0x10000, v49
	v_cmp_eq_u32_sdwa s[0:1], v49, v17 src0_sel:WORD_0 src1_sel:DWORD
	s_nop 1
	v_cndmask_b32_e64 v48, v48, v49, s[0:1]
; %bb.350:                              ;   in Loop: Header=BB323_232 Depth=1
	s_or_b64 exec, exec, s[8:9]
	v_bfe_u32 v49, v5, 8, 8
	v_cvt_f32_fp8_sdwa v49, v49 src0_sel:BYTE_0
	s_nop 0
	v_mul_f32_e32 v50, s10, v49
	v_and_b32_e32 v49, 0x7f800000, v50
	v_cmp_ne_u32_e64 s[0:1], s14, v49
                                        ; implicit-def: $vgpr49
	s_and_saveexec_b64 s[8:9], s[0:1]
	s_xor_b64 s[0:1], exec, s[8:9]
; %bb.351:                              ;   in Loop: Header=BB323_232 Depth=1
	v_bfe_u32 v49, v50, 16, 1
	v_add3_u32 v49, v50, v49, s15
                                        ; implicit-def: $vgpr50
; %bb.352:                              ;   in Loop: Header=BB323_232 Depth=1
	s_andn2_saveexec_b64 s[8:9], s[0:1]
; %bb.353:                              ;   in Loop: Header=BB323_232 Depth=1
	v_or_b32_e32 v49, 0x10000, v50
	v_cmp_eq_u32_sdwa s[0:1], v50, v17 src0_sel:WORD_0 src1_sel:DWORD
	s_nop 1
	v_cndmask_b32_e64 v49, v49, v50, s[0:1]
; %bb.354:                              ;   in Loop: Header=BB323_232 Depth=1
	s_or_b64 exec, exec, s[8:9]
	v_bfe_u32 v50, v5, 16, 8
	v_cvt_f32_fp8_sdwa v50, v50 src0_sel:BYTE_0
	s_nop 0
	v_mul_f32_e32 v50, s10, v50
	v_and_b32_e32 v51, 0x7f800000, v50
	v_cmp_ne_u32_e64 s[0:1], s14, v51
                                        ; implicit-def: $vgpr51
	s_and_saveexec_b64 s[8:9], s[0:1]
	s_xor_b64 s[0:1], exec, s[8:9]
; %bb.355:                              ;   in Loop: Header=BB323_232 Depth=1
	v_bfe_u32 v51, v50, 16, 1
	v_add3_u32 v51, v50, v51, s15
                                        ; implicit-def: $vgpr50
; %bb.356:                              ;   in Loop: Header=BB323_232 Depth=1
	s_andn2_saveexec_b64 s[8:9], s[0:1]
; %bb.357:                              ;   in Loop: Header=BB323_232 Depth=1
	v_or_b32_e32 v51, 0x10000, v50
	v_cmp_eq_u32_sdwa s[0:1], v50, v17 src0_sel:WORD_0 src1_sel:DWORD
	s_nop 1
	v_cndmask_b32_e64 v51, v51, v50, s[0:1]
; %bb.358:                              ;   in Loop: Header=BB323_232 Depth=1
	s_or_b64 exec, exec, s[8:9]
	v_lshrrev_b32_e32 v5, 24, v5
	v_cvt_f32_fp8_sdwa v5, v5 src0_sel:BYTE_0
                                        ; implicit-def: $vgpr52
	s_nop 0
	v_mul_f32_e32 v5, s10, v5
	v_and_b32_e32 v50, 0x7f800000, v5
	v_cmp_ne_u32_e64 s[0:1], s14, v50
	s_and_saveexec_b64 s[8:9], s[0:1]
	s_xor_b64 s[0:1], exec, s[8:9]
; %bb.359:                              ;   in Loop: Header=BB323_232 Depth=1
	v_bfe_u32 v50, v5, 16, 1
	v_add3_u32 v52, v5, v50, s15
                                        ; implicit-def: $vgpr5
; %bb.360:                              ;   in Loop: Header=BB323_232 Depth=1
	s_andn2_saveexec_b64 s[8:9], s[0:1]
; %bb.361:                              ;   in Loop: Header=BB323_232 Depth=1
	v_or_b32_e32 v50, 0x10000, v5
	v_cmp_eq_u32_sdwa s[0:1], v5, v17 src0_sel:WORD_0 src1_sel:DWORD
	s_nop 1
	v_cndmask_b32_e64 v52, v50, v5, s[0:1]
; %bb.362:                              ;   in Loop: Header=BB323_232 Depth=1
	s_or_b64 exec, exec, s[8:9]
	v_lshrrev_b32_e32 v50, 16, v49
	v_lshrrev_b32_e32 v49, 16, v48
	;; [unrolled: 1-line block ×8, first 2 shown]
	s_and_saveexec_b64 s[8:9], vcc
	s_cbranch_execz .LBB323_364
; %bb.363:                              ;   in Loop: Header=BB323_232 Depth=1
	v_cmp_gt_i32_e64 s[0:1], s17, v29
	s_nop 1
	v_cndmask_b32_e64 v45, 0, v45, s[0:1]
	v_cmp_gt_i32_e64 s[0:1], s17, v35
	s_nop 1
	v_cndmask_b32_e64 v46, 0, v46, s[0:1]
	;; [unrolled: 3-line block ×8, first 2 shown]
.LBB323_364:                            ;   in Loop: Header=BB323_232 Depth=1
	s_or_b64 exec, exec, s[8:9]
	v_lshlrev_b32_e32 v45, 16, v45
	v_mul_f32_e32 v51, v37, v45
	v_and_b32_e32 v45, 0x7f800000, v51
	v_cmp_ne_u32_e64 s[0:1], s14, v45
                                        ; implicit-def: $vgpr45
	s_and_saveexec_b64 s[8:9], s[0:1]
	s_xor_b64 s[0:1], exec, s[8:9]
; %bb.365:                              ;   in Loop: Header=BB323_232 Depth=1
	v_bfe_u32 v45, v51, 16, 1
	v_add3_u32 v45, v51, v45, s15
                                        ; implicit-def: $vgpr51
; %bb.366:                              ;   in Loop: Header=BB323_232 Depth=1
	s_andn2_saveexec_b64 s[8:9], s[0:1]
; %bb.367:                              ;   in Loop: Header=BB323_232 Depth=1
	v_or_b32_e32 v45, 0x10000, v51
	v_cmp_eq_u32_sdwa s[0:1], v51, v17 src0_sel:WORD_0 src1_sel:DWORD
	s_nop 1
	v_cndmask_b32_e64 v45, v45, v51, s[0:1]
; %bb.368:                              ;   in Loop: Header=BB323_232 Depth=1
	s_or_b64 exec, exec, s[8:9]
	v_lshlrev_b32_e32 v46, 16, v46
	v_mul_f32_e32 v51, v38, v46
	v_and_b32_e32 v46, 0x7f800000, v51
	v_cmp_ne_u32_e64 s[0:1], s14, v46
                                        ; implicit-def: $vgpr46
	s_and_saveexec_b64 s[8:9], s[0:1]
	s_xor_b64 s[0:1], exec, s[8:9]
; %bb.369:                              ;   in Loop: Header=BB323_232 Depth=1
	v_bfe_u32 v46, v51, 16, 1
	v_add3_u32 v46, v51, v46, s15
                                        ; implicit-def: $vgpr51
; %bb.370:                              ;   in Loop: Header=BB323_232 Depth=1
	s_andn2_saveexec_b64 s[8:9], s[0:1]
; %bb.371:                              ;   in Loop: Header=BB323_232 Depth=1
	v_or_b32_e32 v46, 0x10000, v51
	v_cmp_eq_u32_sdwa s[0:1], v51, v17 src0_sel:WORD_0 src1_sel:DWORD
	s_nop 1
	v_cndmask_b32_e64 v46, v46, v51, s[0:1]
; %bb.372:                              ;   in Loop: Header=BB323_232 Depth=1
	s_or_b64 exec, exec, s[8:9]
	v_lshlrev_b32_e32 v47, 16, v47
	v_mul_f32_e32 v51, v39, v47
	v_and_b32_e32 v47, 0x7f800000, v51
	v_cmp_ne_u32_e64 s[0:1], s14, v47
                                        ; implicit-def: $vgpr47
	s_and_saveexec_b64 s[8:9], s[0:1]
	s_xor_b64 s[0:1], exec, s[8:9]
; %bb.373:                              ;   in Loop: Header=BB323_232 Depth=1
	v_bfe_u32 v47, v51, 16, 1
	v_add3_u32 v47, v51, v47, s15
                                        ; implicit-def: $vgpr51
; %bb.374:                              ;   in Loop: Header=BB323_232 Depth=1
	s_andn2_saveexec_b64 s[8:9], s[0:1]
; %bb.375:                              ;   in Loop: Header=BB323_232 Depth=1
	v_or_b32_e32 v47, 0x10000, v51
	v_cmp_eq_u32_sdwa s[0:1], v51, v17 src0_sel:WORD_0 src1_sel:DWORD
	s_nop 1
	v_cndmask_b32_e64 v47, v47, v51, s[0:1]
; %bb.376:                              ;   in Loop: Header=BB323_232 Depth=1
	s_or_b64 exec, exec, s[8:9]
	v_lshlrev_b32_e32 v48, 16, v48
	v_mul_f32_e32 v51, v40, v48
	v_and_b32_e32 v48, 0x7f800000, v51
	v_cmp_ne_u32_e64 s[0:1], s14, v48
                                        ; implicit-def: $vgpr48
	s_and_saveexec_b64 s[8:9], s[0:1]
	s_xor_b64 s[0:1], exec, s[8:9]
; %bb.377:                              ;   in Loop: Header=BB323_232 Depth=1
	v_bfe_u32 v48, v51, 16, 1
	v_add3_u32 v48, v51, v48, s15
                                        ; implicit-def: $vgpr51
; %bb.378:                              ;   in Loop: Header=BB323_232 Depth=1
	s_andn2_saveexec_b64 s[8:9], s[0:1]
; %bb.379:                              ;   in Loop: Header=BB323_232 Depth=1
	v_or_b32_e32 v48, 0x10000, v51
	v_cmp_eq_u32_sdwa s[0:1], v51, v17 src0_sel:WORD_0 src1_sel:DWORD
	s_nop 1
	v_cndmask_b32_e64 v48, v48, v51, s[0:1]
; %bb.380:                              ;   in Loop: Header=BB323_232 Depth=1
	s_or_b64 exec, exec, s[8:9]
	v_lshlrev_b32_e32 v49, 16, v49
	v_mul_f32_e32 v51, v41, v49
	v_and_b32_e32 v49, 0x7f800000, v51
	v_cmp_ne_u32_e64 s[0:1], s14, v49
                                        ; implicit-def: $vgpr49
	s_and_saveexec_b64 s[8:9], s[0:1]
	s_xor_b64 s[0:1], exec, s[8:9]
; %bb.381:                              ;   in Loop: Header=BB323_232 Depth=1
	v_bfe_u32 v49, v51, 16, 1
	v_add3_u32 v49, v51, v49, s15
                                        ; implicit-def: $vgpr51
; %bb.382:                              ;   in Loop: Header=BB323_232 Depth=1
	s_andn2_saveexec_b64 s[8:9], s[0:1]
; %bb.383:                              ;   in Loop: Header=BB323_232 Depth=1
	v_or_b32_e32 v49, 0x10000, v51
	v_cmp_eq_u32_sdwa s[0:1], v51, v17 src0_sel:WORD_0 src1_sel:DWORD
	s_nop 1
	v_cndmask_b32_e64 v49, v49, v51, s[0:1]
; %bb.384:                              ;   in Loop: Header=BB323_232 Depth=1
	s_or_b64 exec, exec, s[8:9]
	v_lshlrev_b32_e32 v50, 16, v50
	v_mul_f32_e32 v51, v42, v50
	v_and_b32_e32 v50, 0x7f800000, v51
	v_cmp_ne_u32_e64 s[0:1], s14, v50
                                        ; implicit-def: $vgpr50
	s_and_saveexec_b64 s[8:9], s[0:1]
	s_xor_b64 s[0:1], exec, s[8:9]
; %bb.385:                              ;   in Loop: Header=BB323_232 Depth=1
	v_bfe_u32 v50, v51, 16, 1
	v_add3_u32 v50, v51, v50, s15
                                        ; implicit-def: $vgpr51
; %bb.386:                              ;   in Loop: Header=BB323_232 Depth=1
	s_andn2_saveexec_b64 s[8:9], s[0:1]
; %bb.387:                              ;   in Loop: Header=BB323_232 Depth=1
	v_or_b32_e32 v50, 0x10000, v51
	v_cmp_eq_u32_sdwa s[0:1], v51, v17 src0_sel:WORD_0 src1_sel:DWORD
	s_nop 1
	v_cndmask_b32_e64 v50, v50, v51, s[0:1]
; %bb.388:                              ;   in Loop: Header=BB323_232 Depth=1
	s_or_b64 exec, exec, s[8:9]
	v_lshlrev_b32_e32 v5, 16, v5
	v_mul_f32_e32 v5, v43, v5
	v_and_b32_e32 v51, 0x7f800000, v5
	v_cmp_ne_u32_e64 s[0:1], s14, v51
                                        ; implicit-def: $vgpr51
	s_and_saveexec_b64 s[8:9], s[0:1]
	s_xor_b64 s[0:1], exec, s[8:9]
; %bb.389:                              ;   in Loop: Header=BB323_232 Depth=1
	v_bfe_u32 v51, v5, 16, 1
	v_add3_u32 v51, v5, v51, s15
                                        ; implicit-def: $vgpr5
; %bb.390:                              ;   in Loop: Header=BB323_232 Depth=1
	s_andn2_saveexec_b64 s[8:9], s[0:1]
; %bb.391:                              ;   in Loop: Header=BB323_232 Depth=1
	v_or_b32_e32 v51, 0x10000, v5
	v_cmp_eq_u32_sdwa s[0:1], v5, v17 src0_sel:WORD_0 src1_sel:DWORD
	s_nop 1
	v_cndmask_b32_e64 v51, v51, v5, s[0:1]
; %bb.392:                              ;   in Loop: Header=BB323_232 Depth=1
	s_or_b64 exec, exec, s[8:9]
	v_lshlrev_b32_e32 v4, 16, v4
	v_mul_f32_e32 v4, v44, v4
	v_and_b32_e32 v5, 0x7f800000, v4
	v_cmp_ne_u32_e64 s[0:1], s14, v5
                                        ; implicit-def: $vgpr52
	s_and_saveexec_b64 s[8:9], s[0:1]
	s_xor_b64 s[0:1], exec, s[8:9]
; %bb.393:                              ;   in Loop: Header=BB323_232 Depth=1
	v_bfe_u32 v5, v4, 16, 1
	v_add3_u32 v52, v4, v5, s15
                                        ; implicit-def: $vgpr4
; %bb.394:                              ;   in Loop: Header=BB323_232 Depth=1
	s_andn2_saveexec_b64 s[8:9], s[0:1]
; %bb.395:                              ;   in Loop: Header=BB323_232 Depth=1
	v_or_b32_e32 v5, 0x10000, v4
	v_cmp_eq_u32_sdwa s[0:1], v4, v17 src0_sel:WORD_0 src1_sel:DWORD
	s_nop 1
	v_cndmask_b32_e64 v52, v5, v4, s[0:1]
; %bb.396:                              ;   in Loop: Header=BB323_232 Depth=1
	s_or_b64 exec, exec, s[8:9]
	global_load_dwordx2 v[4:5], v[2:3], off offset:1024
	s_waitcnt vmcnt(0)
	v_and_b32_e32 v53, 0xff, v4
	v_cvt_f32_fp8_sdwa v53, v53 src0_sel:BYTE_0
	s_nop 0
	v_mul_f32_e32 v54, s10, v53
	v_and_b32_e32 v53, 0x7f800000, v54
	v_cmp_ne_u32_e64 s[0:1], s14, v53
                                        ; implicit-def: $vgpr53
	s_and_saveexec_b64 s[8:9], s[0:1]
	s_xor_b64 s[0:1], exec, s[8:9]
; %bb.397:                              ;   in Loop: Header=BB323_232 Depth=1
	v_bfe_u32 v53, v54, 16, 1
	v_add3_u32 v53, v54, v53, s15
                                        ; implicit-def: $vgpr54
; %bb.398:                              ;   in Loop: Header=BB323_232 Depth=1
	s_andn2_saveexec_b64 s[8:9], s[0:1]
; %bb.399:                              ;   in Loop: Header=BB323_232 Depth=1
	v_or_b32_e32 v53, 0x10000, v54
	v_cmp_eq_u32_sdwa s[0:1], v54, v17 src0_sel:WORD_0 src1_sel:DWORD
	s_nop 1
	v_cndmask_b32_e64 v53, v53, v54, s[0:1]
; %bb.400:                              ;   in Loop: Header=BB323_232 Depth=1
	s_or_b64 exec, exec, s[8:9]
	v_bfe_u32 v54, v4, 8, 8
	v_cvt_f32_fp8_sdwa v54, v54 src0_sel:BYTE_0
	s_nop 0
	v_mul_f32_e32 v55, s10, v54
	v_and_b32_e32 v54, 0x7f800000, v55
	v_cmp_ne_u32_e64 s[0:1], s14, v54
                                        ; implicit-def: $vgpr54
	s_and_saveexec_b64 s[8:9], s[0:1]
	s_xor_b64 s[0:1], exec, s[8:9]
; %bb.401:                              ;   in Loop: Header=BB323_232 Depth=1
	v_bfe_u32 v54, v55, 16, 1
	v_add3_u32 v54, v55, v54, s15
                                        ; implicit-def: $vgpr55
; %bb.402:                              ;   in Loop: Header=BB323_232 Depth=1
	s_andn2_saveexec_b64 s[8:9], s[0:1]
; %bb.403:                              ;   in Loop: Header=BB323_232 Depth=1
	v_or_b32_e32 v54, 0x10000, v55
	v_cmp_eq_u32_sdwa s[0:1], v55, v17 src0_sel:WORD_0 src1_sel:DWORD
	s_nop 1
	v_cndmask_b32_e64 v54, v54, v55, s[0:1]
; %bb.404:                              ;   in Loop: Header=BB323_232 Depth=1
	s_or_b64 exec, exec, s[8:9]
	v_bfe_u32 v55, v4, 16, 8
	v_cvt_f32_fp8_sdwa v55, v55 src0_sel:BYTE_0
	s_nop 0
	v_mul_f32_e32 v56, s10, v55
	v_and_b32_e32 v55, 0x7f800000, v56
	v_cmp_ne_u32_e64 s[0:1], s14, v55
                                        ; implicit-def: $vgpr55
	s_and_saveexec_b64 s[8:9], s[0:1]
	s_xor_b64 s[0:1], exec, s[8:9]
; %bb.405:                              ;   in Loop: Header=BB323_232 Depth=1
	v_bfe_u32 v55, v56, 16, 1
	v_add3_u32 v55, v56, v55, s15
                                        ; implicit-def: $vgpr56
; %bb.406:                              ;   in Loop: Header=BB323_232 Depth=1
	s_andn2_saveexec_b64 s[8:9], s[0:1]
; %bb.407:                              ;   in Loop: Header=BB323_232 Depth=1
	v_or_b32_e32 v55, 0x10000, v56
	v_cmp_eq_u32_sdwa s[0:1], v56, v17 src0_sel:WORD_0 src1_sel:DWORD
	s_nop 1
	v_cndmask_b32_e64 v55, v55, v56, s[0:1]
; %bb.408:                              ;   in Loop: Header=BB323_232 Depth=1
	s_or_b64 exec, exec, s[8:9]
	v_lshrrev_b32_e32 v4, 24, v4
	v_cvt_f32_fp8_sdwa v4, v4 src0_sel:BYTE_0
	s_nop 0
	v_mul_f32_e32 v56, s10, v4
	v_and_b32_e32 v4, 0x7f800000, v56
	v_cmp_ne_u32_e64 s[0:1], s14, v4
                                        ; implicit-def: $vgpr4
	s_and_saveexec_b64 s[8:9], s[0:1]
	s_xor_b64 s[0:1], exec, s[8:9]
; %bb.409:                              ;   in Loop: Header=BB323_232 Depth=1
	v_bfe_u32 v4, v56, 16, 1
	v_add3_u32 v4, v56, v4, s15
                                        ; implicit-def: $vgpr56
; %bb.410:                              ;   in Loop: Header=BB323_232 Depth=1
	s_andn2_saveexec_b64 s[8:9], s[0:1]
; %bb.411:                              ;   in Loop: Header=BB323_232 Depth=1
	v_or_b32_e32 v4, 0x10000, v56
	v_cmp_eq_u32_sdwa s[0:1], v56, v17 src0_sel:WORD_0 src1_sel:DWORD
	s_nop 1
	v_cndmask_b32_e64 v4, v4, v56, s[0:1]
; %bb.412:                              ;   in Loop: Header=BB323_232 Depth=1
	s_or_b64 exec, exec, s[8:9]
	v_and_b32_e32 v56, 0xff, v5
	v_cvt_f32_fp8_sdwa v56, v56 src0_sel:BYTE_0
	s_nop 0
	v_mul_f32_e32 v57, s10, v56
	v_and_b32_e32 v56, 0x7f800000, v57
	v_cmp_ne_u32_e64 s[0:1], s14, v56
                                        ; implicit-def: $vgpr56
	s_and_saveexec_b64 s[8:9], s[0:1]
	s_xor_b64 s[0:1], exec, s[8:9]
; %bb.413:                              ;   in Loop: Header=BB323_232 Depth=1
	v_bfe_u32 v56, v57, 16, 1
	v_add3_u32 v56, v57, v56, s15
                                        ; implicit-def: $vgpr57
; %bb.414:                              ;   in Loop: Header=BB323_232 Depth=1
	s_andn2_saveexec_b64 s[8:9], s[0:1]
; %bb.415:                              ;   in Loop: Header=BB323_232 Depth=1
	v_or_b32_e32 v56, 0x10000, v57
	v_cmp_eq_u32_sdwa s[0:1], v57, v17 src0_sel:WORD_0 src1_sel:DWORD
	s_nop 1
	v_cndmask_b32_e64 v56, v56, v57, s[0:1]
; %bb.416:                              ;   in Loop: Header=BB323_232 Depth=1
	s_or_b64 exec, exec, s[8:9]
	v_bfe_u32 v57, v5, 8, 8
	v_cvt_f32_fp8_sdwa v57, v57 src0_sel:BYTE_0
	s_nop 0
	v_mul_f32_e32 v58, s10, v57
	v_and_b32_e32 v57, 0x7f800000, v58
	v_cmp_ne_u32_e64 s[0:1], s14, v57
                                        ; implicit-def: $vgpr57
	s_and_saveexec_b64 s[8:9], s[0:1]
	s_xor_b64 s[0:1], exec, s[8:9]
; %bb.417:                              ;   in Loop: Header=BB323_232 Depth=1
	v_bfe_u32 v57, v58, 16, 1
	v_add3_u32 v57, v58, v57, s15
                                        ; implicit-def: $vgpr58
; %bb.418:                              ;   in Loop: Header=BB323_232 Depth=1
	s_andn2_saveexec_b64 s[8:9], s[0:1]
; %bb.419:                              ;   in Loop: Header=BB323_232 Depth=1
	v_or_b32_e32 v57, 0x10000, v58
	v_cmp_eq_u32_sdwa s[0:1], v58, v17 src0_sel:WORD_0 src1_sel:DWORD
	s_nop 1
	v_cndmask_b32_e64 v57, v57, v58, s[0:1]
; %bb.420:                              ;   in Loop: Header=BB323_232 Depth=1
	s_or_b64 exec, exec, s[8:9]
	v_bfe_u32 v58, v5, 16, 8
	v_cvt_f32_fp8_sdwa v58, v58 src0_sel:BYTE_0
	s_nop 0
	v_mul_f32_e32 v58, s10, v58
	v_and_b32_e32 v59, 0x7f800000, v58
	v_cmp_ne_u32_e64 s[0:1], s14, v59
                                        ; implicit-def: $vgpr59
	s_and_saveexec_b64 s[8:9], s[0:1]
	s_xor_b64 s[0:1], exec, s[8:9]
; %bb.421:                              ;   in Loop: Header=BB323_232 Depth=1
	v_bfe_u32 v59, v58, 16, 1
	v_add3_u32 v59, v58, v59, s15
                                        ; implicit-def: $vgpr58
; %bb.422:                              ;   in Loop: Header=BB323_232 Depth=1
	s_andn2_saveexec_b64 s[8:9], s[0:1]
; %bb.423:                              ;   in Loop: Header=BB323_232 Depth=1
	v_or_b32_e32 v59, 0x10000, v58
	v_cmp_eq_u32_sdwa s[0:1], v58, v17 src0_sel:WORD_0 src1_sel:DWORD
	s_nop 1
	v_cndmask_b32_e64 v59, v59, v58, s[0:1]
; %bb.424:                              ;   in Loop: Header=BB323_232 Depth=1
	s_or_b64 exec, exec, s[8:9]
	v_lshrrev_b32_e32 v5, 24, v5
	v_cvt_f32_fp8_sdwa v5, v5 src0_sel:BYTE_0
                                        ; implicit-def: $vgpr60
	s_nop 0
	v_mul_f32_e32 v5, s10, v5
	v_and_b32_e32 v58, 0x7f800000, v5
	v_cmp_ne_u32_e64 s[0:1], s14, v58
	s_and_saveexec_b64 s[8:9], s[0:1]
	s_xor_b64 s[0:1], exec, s[8:9]
; %bb.425:                              ;   in Loop: Header=BB323_232 Depth=1
	v_bfe_u32 v58, v5, 16, 1
	v_add3_u32 v60, v5, v58, s15
                                        ; implicit-def: $vgpr5
; %bb.426:                              ;   in Loop: Header=BB323_232 Depth=1
	s_andn2_saveexec_b64 s[8:9], s[0:1]
; %bb.427:                              ;   in Loop: Header=BB323_232 Depth=1
	v_or_b32_e32 v58, 0x10000, v5
	v_cmp_eq_u32_sdwa s[0:1], v5, v17 src0_sel:WORD_0 src1_sel:DWORD
	s_nop 1
	v_cndmask_b32_e64 v60, v58, v5, s[0:1]
; %bb.428:                              ;   in Loop: Header=BB323_232 Depth=1
	s_or_b64 exec, exec, s[8:9]
	v_lshrrev_b32_e32 v58, 16, v57
	v_lshrrev_b32_e32 v57, 16, v56
	;; [unrolled: 1-line block ×8, first 2 shown]
	s_and_saveexec_b64 s[8:9], vcc
	s_cbranch_execz .LBB323_430
; %bb.429:                              ;   in Loop: Header=BB323_232 Depth=1
	v_cmp_gt_i32_e64 s[0:1], s17, v29
	s_nop 1
	v_cndmask_b32_e64 v53, 0, v53, s[0:1]
	v_cmp_gt_i32_e64 s[0:1], s17, v35
	s_nop 1
	v_cndmask_b32_e64 v54, 0, v54, s[0:1]
	;; [unrolled: 3-line block ×8, first 2 shown]
.LBB323_430:                            ;   in Loop: Header=BB323_232 Depth=1
	s_or_b64 exec, exec, s[8:9]
	v_lshlrev_b32_e32 v53, 16, v53
	v_mul_f32_e32 v59, v37, v53
	v_and_b32_e32 v53, 0x7f800000, v59
	v_cmp_ne_u32_e64 s[0:1], s14, v53
                                        ; implicit-def: $vgpr53
	s_and_saveexec_b64 s[8:9], s[0:1]
	s_xor_b64 s[0:1], exec, s[8:9]
; %bb.431:                              ;   in Loop: Header=BB323_232 Depth=1
	v_bfe_u32 v53, v59, 16, 1
	v_add3_u32 v53, v59, v53, s15
                                        ; implicit-def: $vgpr59
; %bb.432:                              ;   in Loop: Header=BB323_232 Depth=1
	s_andn2_saveexec_b64 s[8:9], s[0:1]
; %bb.433:                              ;   in Loop: Header=BB323_232 Depth=1
	v_or_b32_e32 v53, 0x10000, v59
	v_cmp_eq_u32_sdwa s[0:1], v59, v17 src0_sel:WORD_0 src1_sel:DWORD
	s_nop 1
	v_cndmask_b32_e64 v53, v53, v59, s[0:1]
; %bb.434:                              ;   in Loop: Header=BB323_232 Depth=1
	s_or_b64 exec, exec, s[8:9]
	v_lshlrev_b32_e32 v54, 16, v54
	v_mul_f32_e32 v59, v38, v54
	v_and_b32_e32 v54, 0x7f800000, v59
	v_cmp_ne_u32_e64 s[0:1], s14, v54
                                        ; implicit-def: $vgpr54
	s_and_saveexec_b64 s[8:9], s[0:1]
	s_xor_b64 s[0:1], exec, s[8:9]
; %bb.435:                              ;   in Loop: Header=BB323_232 Depth=1
	v_bfe_u32 v54, v59, 16, 1
	v_add3_u32 v54, v59, v54, s15
                                        ; implicit-def: $vgpr59
; %bb.436:                              ;   in Loop: Header=BB323_232 Depth=1
	s_andn2_saveexec_b64 s[8:9], s[0:1]
; %bb.437:                              ;   in Loop: Header=BB323_232 Depth=1
	v_or_b32_e32 v54, 0x10000, v59
	v_cmp_eq_u32_sdwa s[0:1], v59, v17 src0_sel:WORD_0 src1_sel:DWORD
	s_nop 1
	v_cndmask_b32_e64 v54, v54, v59, s[0:1]
; %bb.438:                              ;   in Loop: Header=BB323_232 Depth=1
	s_or_b64 exec, exec, s[8:9]
	v_lshlrev_b32_e32 v55, 16, v55
	v_mul_f32_e32 v59, v39, v55
	v_and_b32_e32 v55, 0x7f800000, v59
	v_cmp_ne_u32_e64 s[0:1], s14, v55
                                        ; implicit-def: $vgpr55
	s_and_saveexec_b64 s[8:9], s[0:1]
	s_xor_b64 s[0:1], exec, s[8:9]
; %bb.439:                              ;   in Loop: Header=BB323_232 Depth=1
	v_bfe_u32 v55, v59, 16, 1
	v_add3_u32 v55, v59, v55, s15
                                        ; implicit-def: $vgpr59
; %bb.440:                              ;   in Loop: Header=BB323_232 Depth=1
	s_andn2_saveexec_b64 s[8:9], s[0:1]
; %bb.441:                              ;   in Loop: Header=BB323_232 Depth=1
	v_or_b32_e32 v55, 0x10000, v59
	v_cmp_eq_u32_sdwa s[0:1], v59, v17 src0_sel:WORD_0 src1_sel:DWORD
	s_nop 1
	v_cndmask_b32_e64 v55, v55, v59, s[0:1]
; %bb.442:                              ;   in Loop: Header=BB323_232 Depth=1
	s_or_b64 exec, exec, s[8:9]
	v_lshlrev_b32_e32 v56, 16, v56
	v_mul_f32_e32 v59, v40, v56
	v_and_b32_e32 v56, 0x7f800000, v59
	v_cmp_ne_u32_e64 s[0:1], s14, v56
                                        ; implicit-def: $vgpr56
	s_and_saveexec_b64 s[8:9], s[0:1]
	s_xor_b64 s[0:1], exec, s[8:9]
; %bb.443:                              ;   in Loop: Header=BB323_232 Depth=1
	v_bfe_u32 v56, v59, 16, 1
	v_add3_u32 v56, v59, v56, s15
                                        ; implicit-def: $vgpr59
; %bb.444:                              ;   in Loop: Header=BB323_232 Depth=1
	s_andn2_saveexec_b64 s[8:9], s[0:1]
; %bb.445:                              ;   in Loop: Header=BB323_232 Depth=1
	v_or_b32_e32 v56, 0x10000, v59
	v_cmp_eq_u32_sdwa s[0:1], v59, v17 src0_sel:WORD_0 src1_sel:DWORD
	s_nop 1
	v_cndmask_b32_e64 v56, v56, v59, s[0:1]
; %bb.446:                              ;   in Loop: Header=BB323_232 Depth=1
	s_or_b64 exec, exec, s[8:9]
	v_lshlrev_b32_e32 v57, 16, v57
	v_mul_f32_e32 v59, v41, v57
	v_and_b32_e32 v57, 0x7f800000, v59
	v_cmp_ne_u32_e64 s[0:1], s14, v57
                                        ; implicit-def: $vgpr57
	s_and_saveexec_b64 s[8:9], s[0:1]
	s_xor_b64 s[0:1], exec, s[8:9]
; %bb.447:                              ;   in Loop: Header=BB323_232 Depth=1
	v_bfe_u32 v57, v59, 16, 1
	v_add3_u32 v57, v59, v57, s15
                                        ; implicit-def: $vgpr59
; %bb.448:                              ;   in Loop: Header=BB323_232 Depth=1
	s_andn2_saveexec_b64 s[8:9], s[0:1]
; %bb.449:                              ;   in Loop: Header=BB323_232 Depth=1
	v_or_b32_e32 v57, 0x10000, v59
	v_cmp_eq_u32_sdwa s[0:1], v59, v17 src0_sel:WORD_0 src1_sel:DWORD
	s_nop 1
	v_cndmask_b32_e64 v57, v57, v59, s[0:1]
; %bb.450:                              ;   in Loop: Header=BB323_232 Depth=1
	s_or_b64 exec, exec, s[8:9]
	v_lshlrev_b32_e32 v58, 16, v58
	v_mul_f32_e32 v59, v42, v58
	v_and_b32_e32 v58, 0x7f800000, v59
	v_cmp_ne_u32_e64 s[0:1], s14, v58
                                        ; implicit-def: $vgpr58
	s_and_saveexec_b64 s[8:9], s[0:1]
	s_xor_b64 s[0:1], exec, s[8:9]
; %bb.451:                              ;   in Loop: Header=BB323_232 Depth=1
	v_bfe_u32 v58, v59, 16, 1
	v_add3_u32 v58, v59, v58, s15
                                        ; implicit-def: $vgpr59
; %bb.452:                              ;   in Loop: Header=BB323_232 Depth=1
	s_andn2_saveexec_b64 s[8:9], s[0:1]
; %bb.453:                              ;   in Loop: Header=BB323_232 Depth=1
	v_or_b32_e32 v58, 0x10000, v59
	v_cmp_eq_u32_sdwa s[0:1], v59, v17 src0_sel:WORD_0 src1_sel:DWORD
	s_nop 1
	v_cndmask_b32_e64 v58, v58, v59, s[0:1]
; %bb.454:                              ;   in Loop: Header=BB323_232 Depth=1
	s_or_b64 exec, exec, s[8:9]
	v_lshlrev_b32_e32 v5, 16, v5
	v_mul_f32_e32 v5, v43, v5
	v_and_b32_e32 v59, 0x7f800000, v5
	v_cmp_ne_u32_e64 s[0:1], s14, v59
                                        ; implicit-def: $vgpr59
	s_and_saveexec_b64 s[8:9], s[0:1]
	s_xor_b64 s[0:1], exec, s[8:9]
; %bb.455:                              ;   in Loop: Header=BB323_232 Depth=1
	v_bfe_u32 v59, v5, 16, 1
	v_add3_u32 v59, v5, v59, s15
                                        ; implicit-def: $vgpr5
; %bb.456:                              ;   in Loop: Header=BB323_232 Depth=1
	s_andn2_saveexec_b64 s[8:9], s[0:1]
; %bb.457:                              ;   in Loop: Header=BB323_232 Depth=1
	v_or_b32_e32 v59, 0x10000, v5
	v_cmp_eq_u32_sdwa s[0:1], v5, v17 src0_sel:WORD_0 src1_sel:DWORD
	s_nop 1
	v_cndmask_b32_e64 v59, v59, v5, s[0:1]
; %bb.458:                              ;   in Loop: Header=BB323_232 Depth=1
	s_or_b64 exec, exec, s[8:9]
	v_lshlrev_b32_e32 v4, 16, v4
	v_mul_f32_e32 v4, v44, v4
	v_and_b32_e32 v5, 0x7f800000, v4
	v_cmp_ne_u32_e64 s[0:1], s14, v5
                                        ; implicit-def: $vgpr60
	s_and_saveexec_b64 s[8:9], s[0:1]
	s_xor_b64 s[0:1], exec, s[8:9]
; %bb.459:                              ;   in Loop: Header=BB323_232 Depth=1
	v_bfe_u32 v5, v4, 16, 1
	v_add3_u32 v60, v4, v5, s15
                                        ; implicit-def: $vgpr4
; %bb.460:                              ;   in Loop: Header=BB323_232 Depth=1
	s_andn2_saveexec_b64 s[8:9], s[0:1]
; %bb.461:                              ;   in Loop: Header=BB323_232 Depth=1
	v_or_b32_e32 v5, 0x10000, v4
	v_cmp_eq_u32_sdwa s[0:1], v4, v17 src0_sel:WORD_0 src1_sel:DWORD
	s_nop 1
	v_cndmask_b32_e64 v60, v5, v4, s[0:1]
; %bb.462:                              ;   in Loop: Header=BB323_232 Depth=1
	s_or_b64 exec, exec, s[8:9]
	global_load_dwordx2 v[4:5], v[2:3], off offset:1536
	s_waitcnt vmcnt(0)
	v_and_b32_e32 v61, 0xff, v4
	v_cvt_f32_fp8_sdwa v61, v61 src0_sel:BYTE_0
	s_nop 0
	v_mul_f32_e32 v62, s10, v61
	v_and_b32_e32 v61, 0x7f800000, v62
	v_cmp_ne_u32_e64 s[0:1], s14, v61
                                        ; implicit-def: $vgpr61
	s_and_saveexec_b64 s[8:9], s[0:1]
	s_xor_b64 s[0:1], exec, s[8:9]
; %bb.463:                              ;   in Loop: Header=BB323_232 Depth=1
	v_bfe_u32 v61, v62, 16, 1
	v_add3_u32 v61, v62, v61, s15
                                        ; implicit-def: $vgpr62
; %bb.464:                              ;   in Loop: Header=BB323_232 Depth=1
	s_andn2_saveexec_b64 s[8:9], s[0:1]
; %bb.465:                              ;   in Loop: Header=BB323_232 Depth=1
	v_or_b32_e32 v61, 0x10000, v62
	v_cmp_eq_u32_sdwa s[0:1], v62, v17 src0_sel:WORD_0 src1_sel:DWORD
	s_nop 1
	v_cndmask_b32_e64 v61, v61, v62, s[0:1]
; %bb.466:                              ;   in Loop: Header=BB323_232 Depth=1
	s_or_b64 exec, exec, s[8:9]
	v_bfe_u32 v62, v4, 8, 8
	v_cvt_f32_fp8_sdwa v62, v62 src0_sel:BYTE_0
	s_nop 0
	v_mul_f32_e32 v63, s10, v62
	v_and_b32_e32 v62, 0x7f800000, v63
	v_cmp_ne_u32_e64 s[0:1], s14, v62
                                        ; implicit-def: $vgpr62
	s_and_saveexec_b64 s[8:9], s[0:1]
	s_xor_b64 s[0:1], exec, s[8:9]
; %bb.467:                              ;   in Loop: Header=BB323_232 Depth=1
	v_bfe_u32 v62, v63, 16, 1
	v_add3_u32 v62, v63, v62, s15
                                        ; implicit-def: $vgpr63
; %bb.468:                              ;   in Loop: Header=BB323_232 Depth=1
	s_andn2_saveexec_b64 s[8:9], s[0:1]
; %bb.469:                              ;   in Loop: Header=BB323_232 Depth=1
	v_or_b32_e32 v62, 0x10000, v63
	v_cmp_eq_u32_sdwa s[0:1], v63, v17 src0_sel:WORD_0 src1_sel:DWORD
	s_nop 1
	v_cndmask_b32_e64 v62, v62, v63, s[0:1]
; %bb.470:                              ;   in Loop: Header=BB323_232 Depth=1
	s_or_b64 exec, exec, s[8:9]
	v_bfe_u32 v63, v4, 16, 8
	v_cvt_f32_fp8_sdwa v63, v63 src0_sel:BYTE_0
	s_nop 0
	v_mul_f32_e32 v64, s10, v63
	v_and_b32_e32 v63, 0x7f800000, v64
	v_cmp_ne_u32_e64 s[0:1], s14, v63
                                        ; implicit-def: $vgpr63
	s_and_saveexec_b64 s[8:9], s[0:1]
	s_xor_b64 s[0:1], exec, s[8:9]
; %bb.471:                              ;   in Loop: Header=BB323_232 Depth=1
	v_bfe_u32 v63, v64, 16, 1
	v_add3_u32 v63, v64, v63, s15
                                        ; implicit-def: $vgpr64
; %bb.472:                              ;   in Loop: Header=BB323_232 Depth=1
	s_andn2_saveexec_b64 s[8:9], s[0:1]
; %bb.473:                              ;   in Loop: Header=BB323_232 Depth=1
	v_or_b32_e32 v63, 0x10000, v64
	v_cmp_eq_u32_sdwa s[0:1], v64, v17 src0_sel:WORD_0 src1_sel:DWORD
	s_nop 1
	v_cndmask_b32_e64 v63, v63, v64, s[0:1]
; %bb.474:                              ;   in Loop: Header=BB323_232 Depth=1
	s_or_b64 exec, exec, s[8:9]
	v_lshrrev_b32_e32 v4, 24, v4
	v_cvt_f32_fp8_sdwa v4, v4 src0_sel:BYTE_0
	s_nop 0
	v_mul_f32_e32 v64, s10, v4
	v_and_b32_e32 v4, 0x7f800000, v64
	v_cmp_ne_u32_e64 s[0:1], s14, v4
                                        ; implicit-def: $vgpr4
	s_and_saveexec_b64 s[8:9], s[0:1]
	s_xor_b64 s[0:1], exec, s[8:9]
; %bb.475:                              ;   in Loop: Header=BB323_232 Depth=1
	v_bfe_u32 v4, v64, 16, 1
	v_add3_u32 v4, v64, v4, s15
                                        ; implicit-def: $vgpr64
; %bb.476:                              ;   in Loop: Header=BB323_232 Depth=1
	s_andn2_saveexec_b64 s[8:9], s[0:1]
; %bb.477:                              ;   in Loop: Header=BB323_232 Depth=1
	v_or_b32_e32 v4, 0x10000, v64
	v_cmp_eq_u32_sdwa s[0:1], v64, v17 src0_sel:WORD_0 src1_sel:DWORD
	s_nop 1
	v_cndmask_b32_e64 v4, v4, v64, s[0:1]
; %bb.478:                              ;   in Loop: Header=BB323_232 Depth=1
	s_or_b64 exec, exec, s[8:9]
	v_and_b32_e32 v64, 0xff, v5
	v_cvt_f32_fp8_sdwa v64, v64 src0_sel:BYTE_0
	s_nop 0
	v_mul_f32_e32 v65, s10, v64
	v_and_b32_e32 v64, 0x7f800000, v65
	v_cmp_ne_u32_e64 s[0:1], s14, v64
                                        ; implicit-def: $vgpr64
	s_and_saveexec_b64 s[8:9], s[0:1]
	s_xor_b64 s[0:1], exec, s[8:9]
; %bb.479:                              ;   in Loop: Header=BB323_232 Depth=1
	v_bfe_u32 v64, v65, 16, 1
	v_add3_u32 v64, v65, v64, s15
                                        ; implicit-def: $vgpr65
; %bb.480:                              ;   in Loop: Header=BB323_232 Depth=1
	s_andn2_saveexec_b64 s[8:9], s[0:1]
; %bb.481:                              ;   in Loop: Header=BB323_232 Depth=1
	v_or_b32_e32 v64, 0x10000, v65
	v_cmp_eq_u32_sdwa s[0:1], v65, v17 src0_sel:WORD_0 src1_sel:DWORD
	s_nop 1
	v_cndmask_b32_e64 v64, v64, v65, s[0:1]
; %bb.482:                              ;   in Loop: Header=BB323_232 Depth=1
	s_or_b64 exec, exec, s[8:9]
	v_bfe_u32 v65, v5, 8, 8
	v_cvt_f32_fp8_sdwa v65, v65 src0_sel:BYTE_0
	s_nop 0
	v_mul_f32_e32 v66, s10, v65
	v_and_b32_e32 v65, 0x7f800000, v66
	v_cmp_ne_u32_e64 s[0:1], s14, v65
                                        ; implicit-def: $vgpr65
	s_and_saveexec_b64 s[8:9], s[0:1]
	s_xor_b64 s[0:1], exec, s[8:9]
; %bb.483:                              ;   in Loop: Header=BB323_232 Depth=1
	v_bfe_u32 v65, v66, 16, 1
	v_add3_u32 v65, v66, v65, s15
                                        ; implicit-def: $vgpr66
; %bb.484:                              ;   in Loop: Header=BB323_232 Depth=1
	s_andn2_saveexec_b64 s[8:9], s[0:1]
; %bb.485:                              ;   in Loop: Header=BB323_232 Depth=1
	v_or_b32_e32 v65, 0x10000, v66
	v_cmp_eq_u32_sdwa s[0:1], v66, v17 src0_sel:WORD_0 src1_sel:DWORD
	s_nop 1
	v_cndmask_b32_e64 v65, v65, v66, s[0:1]
; %bb.486:                              ;   in Loop: Header=BB323_232 Depth=1
	s_or_b64 exec, exec, s[8:9]
	v_bfe_u32 v66, v5, 16, 8
	v_cvt_f32_fp8_sdwa v66, v66 src0_sel:BYTE_0
	s_nop 0
	v_mul_f32_e32 v66, s10, v66
	v_and_b32_e32 v67, 0x7f800000, v66
	v_cmp_ne_u32_e64 s[0:1], s14, v67
                                        ; implicit-def: $vgpr67
	s_and_saveexec_b64 s[8:9], s[0:1]
	s_xor_b64 s[0:1], exec, s[8:9]
; %bb.487:                              ;   in Loop: Header=BB323_232 Depth=1
	v_bfe_u32 v67, v66, 16, 1
	v_add3_u32 v67, v66, v67, s15
                                        ; implicit-def: $vgpr66
; %bb.488:                              ;   in Loop: Header=BB323_232 Depth=1
	s_andn2_saveexec_b64 s[8:9], s[0:1]
; %bb.489:                              ;   in Loop: Header=BB323_232 Depth=1
	v_or_b32_e32 v67, 0x10000, v66
	v_cmp_eq_u32_sdwa s[0:1], v66, v17 src0_sel:WORD_0 src1_sel:DWORD
	s_nop 1
	v_cndmask_b32_e64 v67, v67, v66, s[0:1]
; %bb.490:                              ;   in Loop: Header=BB323_232 Depth=1
	s_or_b64 exec, exec, s[8:9]
	v_lshrrev_b32_e32 v5, 24, v5
	v_cvt_f32_fp8_sdwa v5, v5 src0_sel:BYTE_0
                                        ; implicit-def: $vgpr68
	s_nop 0
	v_mul_f32_e32 v5, s10, v5
	v_and_b32_e32 v66, 0x7f800000, v5
	v_cmp_ne_u32_e64 s[0:1], s14, v66
	s_and_saveexec_b64 s[8:9], s[0:1]
	s_xor_b64 s[0:1], exec, s[8:9]
; %bb.491:                              ;   in Loop: Header=BB323_232 Depth=1
	v_bfe_u32 v66, v5, 16, 1
	v_add3_u32 v68, v5, v66, s15
                                        ; implicit-def: $vgpr5
; %bb.492:                              ;   in Loop: Header=BB323_232 Depth=1
	s_andn2_saveexec_b64 s[8:9], s[0:1]
; %bb.493:                              ;   in Loop: Header=BB323_232 Depth=1
	v_or_b32_e32 v66, 0x10000, v5
	v_cmp_eq_u32_sdwa s[0:1], v5, v17 src0_sel:WORD_0 src1_sel:DWORD
	s_nop 1
	v_cndmask_b32_e64 v68, v66, v5, s[0:1]
; %bb.494:                              ;   in Loop: Header=BB323_232 Depth=1
	s_or_b64 exec, exec, s[8:9]
	v_lshrrev_b32_e32 v66, 16, v65
	v_lshrrev_b32_e32 v65, 16, v64
	;; [unrolled: 1-line block ×8, first 2 shown]
	s_and_saveexec_b64 s[8:9], vcc
	s_cbranch_execz .LBB323_496
; %bb.495:                              ;   in Loop: Header=BB323_232 Depth=1
	v_cmp_gt_i32_e64 s[0:1], s17, v29
	s_nop 1
	v_cndmask_b32_e64 v61, 0, v61, s[0:1]
	v_cmp_gt_i32_e64 s[0:1], s17, v35
	s_nop 1
	v_cndmask_b32_e64 v62, 0, v62, s[0:1]
	;; [unrolled: 3-line block ×8, first 2 shown]
.LBB323_496:                            ;   in Loop: Header=BB323_232 Depth=1
	s_or_b64 exec, exec, s[8:9]
	v_lshlrev_b32_e32 v61, 16, v61
	v_mul_f32_e32 v67, v37, v61
	v_and_b32_e32 v61, 0x7f800000, v67
	v_cmp_ne_u32_e64 s[0:1], s14, v61
                                        ; implicit-def: $vgpr61
	s_and_saveexec_b64 s[8:9], s[0:1]
	s_xor_b64 s[0:1], exec, s[8:9]
; %bb.497:                              ;   in Loop: Header=BB323_232 Depth=1
	v_bfe_u32 v61, v67, 16, 1
	v_add3_u32 v61, v67, v61, s15
                                        ; implicit-def: $vgpr67
; %bb.498:                              ;   in Loop: Header=BB323_232 Depth=1
	s_andn2_saveexec_b64 s[8:9], s[0:1]
; %bb.499:                              ;   in Loop: Header=BB323_232 Depth=1
	v_or_b32_e32 v61, 0x10000, v67
	v_cmp_eq_u32_sdwa s[0:1], v67, v17 src0_sel:WORD_0 src1_sel:DWORD
	s_nop 1
	v_cndmask_b32_e64 v61, v61, v67, s[0:1]
; %bb.500:                              ;   in Loop: Header=BB323_232 Depth=1
	s_or_b64 exec, exec, s[8:9]
	v_lshlrev_b32_e32 v62, 16, v62
	v_mul_f32_e32 v67, v38, v62
	v_and_b32_e32 v62, 0x7f800000, v67
	v_cmp_ne_u32_e64 s[0:1], s14, v62
                                        ; implicit-def: $vgpr62
	s_and_saveexec_b64 s[8:9], s[0:1]
	s_xor_b64 s[0:1], exec, s[8:9]
; %bb.501:                              ;   in Loop: Header=BB323_232 Depth=1
	v_bfe_u32 v62, v67, 16, 1
	v_add3_u32 v62, v67, v62, s15
                                        ; implicit-def: $vgpr67
; %bb.502:                              ;   in Loop: Header=BB323_232 Depth=1
	s_andn2_saveexec_b64 s[8:9], s[0:1]
; %bb.503:                              ;   in Loop: Header=BB323_232 Depth=1
	v_or_b32_e32 v62, 0x10000, v67
	v_cmp_eq_u32_sdwa s[0:1], v67, v17 src0_sel:WORD_0 src1_sel:DWORD
	s_nop 1
	v_cndmask_b32_e64 v62, v62, v67, s[0:1]
; %bb.504:                              ;   in Loop: Header=BB323_232 Depth=1
	s_or_b64 exec, exec, s[8:9]
	v_lshlrev_b32_e32 v63, 16, v63
	v_mul_f32_e32 v67, v39, v63
	v_and_b32_e32 v63, 0x7f800000, v67
	v_cmp_ne_u32_e64 s[0:1], s14, v63
                                        ; implicit-def: $vgpr63
	s_and_saveexec_b64 s[8:9], s[0:1]
	s_xor_b64 s[0:1], exec, s[8:9]
; %bb.505:                              ;   in Loop: Header=BB323_232 Depth=1
	v_bfe_u32 v63, v67, 16, 1
	v_add3_u32 v63, v67, v63, s15
                                        ; implicit-def: $vgpr67
; %bb.506:                              ;   in Loop: Header=BB323_232 Depth=1
	s_andn2_saveexec_b64 s[8:9], s[0:1]
; %bb.507:                              ;   in Loop: Header=BB323_232 Depth=1
	v_or_b32_e32 v63, 0x10000, v67
	v_cmp_eq_u32_sdwa s[0:1], v67, v17 src0_sel:WORD_0 src1_sel:DWORD
	s_nop 1
	v_cndmask_b32_e64 v63, v63, v67, s[0:1]
; %bb.508:                              ;   in Loop: Header=BB323_232 Depth=1
	s_or_b64 exec, exec, s[8:9]
	v_lshlrev_b32_e32 v64, 16, v64
	v_mul_f32_e32 v67, v40, v64
	v_and_b32_e32 v64, 0x7f800000, v67
	v_cmp_ne_u32_e64 s[0:1], s14, v64
                                        ; implicit-def: $vgpr64
	s_and_saveexec_b64 s[8:9], s[0:1]
	s_xor_b64 s[0:1], exec, s[8:9]
; %bb.509:                              ;   in Loop: Header=BB323_232 Depth=1
	v_bfe_u32 v64, v67, 16, 1
	v_add3_u32 v64, v67, v64, s15
                                        ; implicit-def: $vgpr67
; %bb.510:                              ;   in Loop: Header=BB323_232 Depth=1
	s_andn2_saveexec_b64 s[8:9], s[0:1]
; %bb.511:                              ;   in Loop: Header=BB323_232 Depth=1
	v_or_b32_e32 v64, 0x10000, v67
	v_cmp_eq_u32_sdwa s[0:1], v67, v17 src0_sel:WORD_0 src1_sel:DWORD
	s_nop 1
	v_cndmask_b32_e64 v64, v64, v67, s[0:1]
; %bb.512:                              ;   in Loop: Header=BB323_232 Depth=1
	s_or_b64 exec, exec, s[8:9]
	v_lshlrev_b32_e32 v65, 16, v65
	v_mul_f32_e32 v67, v41, v65
	v_and_b32_e32 v65, 0x7f800000, v67
	v_cmp_ne_u32_e64 s[0:1], s14, v65
                                        ; implicit-def: $vgpr65
	s_and_saveexec_b64 s[8:9], s[0:1]
	s_xor_b64 s[0:1], exec, s[8:9]
; %bb.513:                              ;   in Loop: Header=BB323_232 Depth=1
	v_bfe_u32 v65, v67, 16, 1
	v_add3_u32 v65, v67, v65, s15
                                        ; implicit-def: $vgpr67
; %bb.514:                              ;   in Loop: Header=BB323_232 Depth=1
	s_andn2_saveexec_b64 s[8:9], s[0:1]
; %bb.515:                              ;   in Loop: Header=BB323_232 Depth=1
	v_or_b32_e32 v65, 0x10000, v67
	v_cmp_eq_u32_sdwa s[0:1], v67, v17 src0_sel:WORD_0 src1_sel:DWORD
	s_nop 1
	v_cndmask_b32_e64 v65, v65, v67, s[0:1]
; %bb.516:                              ;   in Loop: Header=BB323_232 Depth=1
	s_or_b64 exec, exec, s[8:9]
	v_lshlrev_b32_e32 v66, 16, v66
	v_mul_f32_e32 v67, v42, v66
	v_and_b32_e32 v66, 0x7f800000, v67
	v_cmp_ne_u32_e64 s[0:1], s14, v66
                                        ; implicit-def: $vgpr66
	s_and_saveexec_b64 s[8:9], s[0:1]
	s_xor_b64 s[0:1], exec, s[8:9]
; %bb.517:                              ;   in Loop: Header=BB323_232 Depth=1
	v_bfe_u32 v66, v67, 16, 1
	v_add3_u32 v66, v67, v66, s15
                                        ; implicit-def: $vgpr67
; %bb.518:                              ;   in Loop: Header=BB323_232 Depth=1
	s_andn2_saveexec_b64 s[8:9], s[0:1]
; %bb.519:                              ;   in Loop: Header=BB323_232 Depth=1
	v_or_b32_e32 v66, 0x10000, v67
	v_cmp_eq_u32_sdwa s[0:1], v67, v17 src0_sel:WORD_0 src1_sel:DWORD
	s_nop 1
	v_cndmask_b32_e64 v66, v66, v67, s[0:1]
; %bb.520:                              ;   in Loop: Header=BB323_232 Depth=1
	s_or_b64 exec, exec, s[8:9]
	v_lshlrev_b32_e32 v5, 16, v5
	v_mul_f32_e32 v5, v43, v5
	v_and_b32_e32 v67, 0x7f800000, v5
	v_cmp_ne_u32_e64 s[0:1], s14, v67
                                        ; implicit-def: $vgpr67
	s_and_saveexec_b64 s[8:9], s[0:1]
	s_xor_b64 s[0:1], exec, s[8:9]
; %bb.521:                              ;   in Loop: Header=BB323_232 Depth=1
	v_bfe_u32 v67, v5, 16, 1
	v_add3_u32 v67, v5, v67, s15
                                        ; implicit-def: $vgpr5
; %bb.522:                              ;   in Loop: Header=BB323_232 Depth=1
	s_andn2_saveexec_b64 s[8:9], s[0:1]
; %bb.523:                              ;   in Loop: Header=BB323_232 Depth=1
	v_or_b32_e32 v67, 0x10000, v5
	v_cmp_eq_u32_sdwa s[0:1], v5, v17 src0_sel:WORD_0 src1_sel:DWORD
	s_nop 1
	v_cndmask_b32_e64 v67, v67, v5, s[0:1]
; %bb.524:                              ;   in Loop: Header=BB323_232 Depth=1
	s_or_b64 exec, exec, s[8:9]
	v_lshlrev_b32_e32 v4, 16, v4
	v_mul_f32_e32 v4, v44, v4
	v_and_b32_e32 v5, 0x7f800000, v4
	v_cmp_ne_u32_e64 s[0:1], s14, v5
                                        ; implicit-def: $vgpr68
	s_and_saveexec_b64 s[8:9], s[0:1]
	s_xor_b64 s[0:1], exec, s[8:9]
; %bb.525:                              ;   in Loop: Header=BB323_232 Depth=1
	v_bfe_u32 v5, v4, 16, 1
	v_add3_u32 v68, v4, v5, s15
                                        ; implicit-def: $vgpr4
; %bb.526:                              ;   in Loop: Header=BB323_232 Depth=1
	s_andn2_saveexec_b64 s[8:9], s[0:1]
; %bb.527:                              ;   in Loop: Header=BB323_232 Depth=1
	v_or_b32_e32 v5, 0x10000, v4
	v_cmp_eq_u32_sdwa s[0:1], v4, v17 src0_sel:WORD_0 src1_sel:DWORD
	s_nop 1
	v_cndmask_b32_e64 v68, v5, v4, s[0:1]
; %bb.528:                              ;   in Loop: Header=BB323_232 Depth=1
	s_or_b64 exec, exec, s[8:9]
	global_load_dwordx2 v[4:5], v[2:3], off offset:2048
	s_waitcnt vmcnt(0)
	v_and_b32_e32 v69, 0xff, v4
	v_cvt_f32_fp8_sdwa v69, v69 src0_sel:BYTE_0
	s_nop 0
	v_mul_f32_e32 v70, s10, v69
	v_and_b32_e32 v69, 0x7f800000, v70
	v_cmp_ne_u32_e64 s[0:1], s14, v69
                                        ; implicit-def: $vgpr69
	s_and_saveexec_b64 s[8:9], s[0:1]
	s_xor_b64 s[0:1], exec, s[8:9]
; %bb.529:                              ;   in Loop: Header=BB323_232 Depth=1
	v_bfe_u32 v69, v70, 16, 1
	v_add3_u32 v69, v70, v69, s15
                                        ; implicit-def: $vgpr70
; %bb.530:                              ;   in Loop: Header=BB323_232 Depth=1
	s_andn2_saveexec_b64 s[8:9], s[0:1]
; %bb.531:                              ;   in Loop: Header=BB323_232 Depth=1
	v_or_b32_e32 v69, 0x10000, v70
	v_cmp_eq_u32_sdwa s[0:1], v70, v17 src0_sel:WORD_0 src1_sel:DWORD
	s_nop 1
	v_cndmask_b32_e64 v69, v69, v70, s[0:1]
; %bb.532:                              ;   in Loop: Header=BB323_232 Depth=1
	s_or_b64 exec, exec, s[8:9]
	v_bfe_u32 v70, v4, 8, 8
	v_cvt_f32_fp8_sdwa v70, v70 src0_sel:BYTE_0
	s_nop 0
	v_mul_f32_e32 v71, s10, v70
	v_and_b32_e32 v70, 0x7f800000, v71
	v_cmp_ne_u32_e64 s[0:1], s14, v70
                                        ; implicit-def: $vgpr70
	s_and_saveexec_b64 s[8:9], s[0:1]
	s_xor_b64 s[0:1], exec, s[8:9]
; %bb.533:                              ;   in Loop: Header=BB323_232 Depth=1
	v_bfe_u32 v70, v71, 16, 1
	v_add3_u32 v70, v71, v70, s15
                                        ; implicit-def: $vgpr71
; %bb.534:                              ;   in Loop: Header=BB323_232 Depth=1
	s_andn2_saveexec_b64 s[8:9], s[0:1]
; %bb.535:                              ;   in Loop: Header=BB323_232 Depth=1
	v_or_b32_e32 v70, 0x10000, v71
	v_cmp_eq_u32_sdwa s[0:1], v71, v17 src0_sel:WORD_0 src1_sel:DWORD
	s_nop 1
	v_cndmask_b32_e64 v70, v70, v71, s[0:1]
; %bb.536:                              ;   in Loop: Header=BB323_232 Depth=1
	s_or_b64 exec, exec, s[8:9]
	v_bfe_u32 v71, v4, 16, 8
	v_cvt_f32_fp8_sdwa v71, v71 src0_sel:BYTE_0
	s_nop 0
	v_mul_f32_e32 v72, s10, v71
	v_and_b32_e32 v71, 0x7f800000, v72
	v_cmp_ne_u32_e64 s[0:1], s14, v71
                                        ; implicit-def: $vgpr71
	s_and_saveexec_b64 s[8:9], s[0:1]
	s_xor_b64 s[0:1], exec, s[8:9]
; %bb.537:                              ;   in Loop: Header=BB323_232 Depth=1
	v_bfe_u32 v71, v72, 16, 1
	v_add3_u32 v71, v72, v71, s15
                                        ; implicit-def: $vgpr72
; %bb.538:                              ;   in Loop: Header=BB323_232 Depth=1
	s_andn2_saveexec_b64 s[8:9], s[0:1]
; %bb.539:                              ;   in Loop: Header=BB323_232 Depth=1
	v_or_b32_e32 v71, 0x10000, v72
	v_cmp_eq_u32_sdwa s[0:1], v72, v17 src0_sel:WORD_0 src1_sel:DWORD
	s_nop 1
	v_cndmask_b32_e64 v71, v71, v72, s[0:1]
; %bb.540:                              ;   in Loop: Header=BB323_232 Depth=1
	s_or_b64 exec, exec, s[8:9]
	v_lshrrev_b32_e32 v4, 24, v4
	v_cvt_f32_fp8_sdwa v4, v4 src0_sel:BYTE_0
	s_nop 0
	v_mul_f32_e32 v72, s10, v4
	v_and_b32_e32 v4, 0x7f800000, v72
	v_cmp_ne_u32_e64 s[0:1], s14, v4
                                        ; implicit-def: $vgpr4
	s_and_saveexec_b64 s[8:9], s[0:1]
	s_xor_b64 s[0:1], exec, s[8:9]
; %bb.541:                              ;   in Loop: Header=BB323_232 Depth=1
	v_bfe_u32 v4, v72, 16, 1
	v_add3_u32 v4, v72, v4, s15
                                        ; implicit-def: $vgpr72
; %bb.542:                              ;   in Loop: Header=BB323_232 Depth=1
	s_andn2_saveexec_b64 s[8:9], s[0:1]
; %bb.543:                              ;   in Loop: Header=BB323_232 Depth=1
	v_or_b32_e32 v4, 0x10000, v72
	v_cmp_eq_u32_sdwa s[0:1], v72, v17 src0_sel:WORD_0 src1_sel:DWORD
	s_nop 1
	v_cndmask_b32_e64 v4, v4, v72, s[0:1]
; %bb.544:                              ;   in Loop: Header=BB323_232 Depth=1
	s_or_b64 exec, exec, s[8:9]
	v_and_b32_e32 v72, 0xff, v5
	v_cvt_f32_fp8_sdwa v72, v72 src0_sel:BYTE_0
	s_nop 0
	v_mul_f32_e32 v72, s10, v72
	v_and_b32_e32 v73, 0x7f800000, v72
	v_cmp_ne_u32_e64 s[0:1], s14, v73
                                        ; implicit-def: $vgpr73
	s_and_saveexec_b64 s[8:9], s[0:1]
	s_xor_b64 s[0:1], exec, s[8:9]
; %bb.545:                              ;   in Loop: Header=BB323_232 Depth=1
	v_bfe_u32 v73, v72, 16, 1
	v_add3_u32 v73, v72, v73, s15
                                        ; implicit-def: $vgpr72
; %bb.546:                              ;   in Loop: Header=BB323_232 Depth=1
	s_andn2_saveexec_b64 s[8:9], s[0:1]
; %bb.547:                              ;   in Loop: Header=BB323_232 Depth=1
	v_or_b32_e32 v73, 0x10000, v72
	v_cmp_eq_u32_sdwa s[0:1], v72, v17 src0_sel:WORD_0 src1_sel:DWORD
	s_nop 1
	v_cndmask_b32_e64 v73, v73, v72, s[0:1]
; %bb.548:                              ;   in Loop: Header=BB323_232 Depth=1
	s_or_b64 exec, exec, s[8:9]
	v_bfe_u32 v72, v5, 8, 8
	v_cvt_f32_fp8_sdwa v72, v72 src0_sel:BYTE_0
	s_nop 0
	v_mul_f32_e32 v74, s10, v72
	v_and_b32_e32 v72, 0x7f800000, v74
	v_cmp_ne_u32_e64 s[0:1], s14, v72
                                        ; implicit-def: $vgpr72
	s_and_saveexec_b64 s[8:9], s[0:1]
	s_xor_b64 s[0:1], exec, s[8:9]
; %bb.549:                              ;   in Loop: Header=BB323_232 Depth=1
	v_bfe_u32 v72, v74, 16, 1
	v_add3_u32 v72, v74, v72, s15
                                        ; implicit-def: $vgpr74
; %bb.550:                              ;   in Loop: Header=BB323_232 Depth=1
	s_andn2_saveexec_b64 s[8:9], s[0:1]
; %bb.551:                              ;   in Loop: Header=BB323_232 Depth=1
	v_or_b32_e32 v72, 0x10000, v74
	v_cmp_eq_u32_sdwa s[0:1], v74, v17 src0_sel:WORD_0 src1_sel:DWORD
	s_nop 1
	v_cndmask_b32_e64 v72, v72, v74, s[0:1]
; %bb.552:                              ;   in Loop: Header=BB323_232 Depth=1
	s_or_b64 exec, exec, s[8:9]
	v_bfe_u32 v74, v5, 16, 8
	v_cvt_f32_fp8_sdwa v74, v74 src0_sel:BYTE_0
	s_nop 0
	v_mul_f32_e32 v75, s10, v74
	v_and_b32_e32 v74, 0x7f800000, v75
	v_cmp_ne_u32_e64 s[0:1], s14, v74
                                        ; implicit-def: $vgpr74
	s_and_saveexec_b64 s[8:9], s[0:1]
	s_xor_b64 s[0:1], exec, s[8:9]
; %bb.553:                              ;   in Loop: Header=BB323_232 Depth=1
	v_bfe_u32 v74, v75, 16, 1
	v_add3_u32 v74, v75, v74, s15
                                        ; implicit-def: $vgpr75
; %bb.554:                              ;   in Loop: Header=BB323_232 Depth=1
	s_andn2_saveexec_b64 s[8:9], s[0:1]
; %bb.555:                              ;   in Loop: Header=BB323_232 Depth=1
	v_or_b32_e32 v74, 0x10000, v75
	v_cmp_eq_u32_sdwa s[0:1], v75, v17 src0_sel:WORD_0 src1_sel:DWORD
	s_nop 1
	v_cndmask_b32_e64 v74, v74, v75, s[0:1]
; %bb.556:                              ;   in Loop: Header=BB323_232 Depth=1
	s_or_b64 exec, exec, s[8:9]
	v_lshrrev_b32_e32 v5, 24, v5
	v_cvt_f32_fp8_sdwa v5, v5 src0_sel:BYTE_0
                                        ; implicit-def: $vgpr77
	s_nop 0
	v_mul_f32_e32 v5, s10, v5
	v_and_b32_e32 v75, 0x7f800000, v5
	v_cmp_ne_u32_e64 s[0:1], s14, v75
	s_and_saveexec_b64 s[8:9], s[0:1]
	s_xor_b64 s[0:1], exec, s[8:9]
; %bb.557:                              ;   in Loop: Header=BB323_232 Depth=1
	v_bfe_u32 v75, v5, 16, 1
	v_add3_u32 v77, v5, v75, s15
                                        ; implicit-def: $vgpr5
; %bb.558:                              ;   in Loop: Header=BB323_232 Depth=1
	s_andn2_saveexec_b64 s[8:9], s[0:1]
; %bb.559:                              ;   in Loop: Header=BB323_232 Depth=1
	v_or_b32_e32 v75, 0x10000, v5
	v_cmp_eq_u32_sdwa s[0:1], v5, v17 src0_sel:WORD_0 src1_sel:DWORD
	s_nop 1
	v_cndmask_b32_e64 v77, v75, v5, s[0:1]
; %bb.560:                              ;   in Loop: Header=BB323_232 Depth=1
	s_or_b64 exec, exec, s[8:9]
	v_lshrrev_b32_e32 v72, 16, v72
	v_lshrrev_b32_e32 v75, 16, v73
	;; [unrolled: 1-line block ×8, first 2 shown]
	s_and_saveexec_b64 s[8:9], vcc
	s_cbranch_execz .LBB323_562
; %bb.561:                              ;   in Loop: Header=BB323_232 Depth=1
	v_cmp_gt_i32_e64 s[0:1], s17, v29
	s_nop 1
	v_cndmask_b32_e64 v4, 0, v4, s[0:1]
	v_cmp_gt_i32_e64 s[0:1], s17, v35
	s_nop 1
	v_cndmask_b32_e64 v5, 0, v5, s[0:1]
	;; [unrolled: 3-line block ×8, first 2 shown]
.LBB323_562:                            ;   in Loop: Header=BB323_232 Depth=1
	s_or_b64 exec, exec, s[8:9]
	v_lshlrev_b32_e32 v4, 16, v4
	v_mul_f32_e32 v69, v37, v4
	v_and_b32_e32 v4, 0x7f800000, v69
	v_cmp_ne_u32_e64 s[0:1], s14, v4
                                        ; implicit-def: $vgpr4
	s_and_saveexec_b64 s[8:9], s[0:1]
	s_xor_b64 s[0:1], exec, s[8:9]
; %bb.563:                              ;   in Loop: Header=BB323_232 Depth=1
	v_bfe_u32 v4, v69, 16, 1
	v_add3_u32 v4, v69, v4, s15
                                        ; implicit-def: $vgpr69
; %bb.564:                              ;   in Loop: Header=BB323_232 Depth=1
	s_andn2_saveexec_b64 s[8:9], s[0:1]
; %bb.565:                              ;   in Loop: Header=BB323_232 Depth=1
	v_or_b32_e32 v4, 0x10000, v69
	v_cmp_eq_u32_sdwa s[0:1], v69, v17 src0_sel:WORD_0 src1_sel:DWORD
	s_nop 1
	v_cndmask_b32_e64 v4, v4, v69, s[0:1]
; %bb.566:                              ;   in Loop: Header=BB323_232 Depth=1
	s_or_b64 exec, exec, s[8:9]
	v_lshlrev_b32_e32 v5, 16, v5
	v_mul_f32_e32 v69, v38, v5
	v_and_b32_e32 v5, 0x7f800000, v69
	v_cmp_ne_u32_e64 s[0:1], s14, v5
                                        ; implicit-def: $vgpr5
	s_and_saveexec_b64 s[8:9], s[0:1]
	s_xor_b64 s[0:1], exec, s[8:9]
; %bb.567:                              ;   in Loop: Header=BB323_232 Depth=1
	v_bfe_u32 v5, v69, 16, 1
	v_add3_u32 v5, v69, v5, s15
                                        ; implicit-def: $vgpr69
; %bb.568:                              ;   in Loop: Header=BB323_232 Depth=1
	s_andn2_saveexec_b64 s[8:9], s[0:1]
; %bb.569:                              ;   in Loop: Header=BB323_232 Depth=1
	v_or_b32_e32 v5, 0x10000, v69
	v_cmp_eq_u32_sdwa s[0:1], v69, v17 src0_sel:WORD_0 src1_sel:DWORD
	s_nop 1
	v_cndmask_b32_e64 v5, v5, v69, s[0:1]
; %bb.570:                              ;   in Loop: Header=BB323_232 Depth=1
	s_or_b64 exec, exec, s[8:9]
	v_lshlrev_b32_e32 v69, 16, v71
	v_mul_f32_e32 v70, v39, v69
	v_and_b32_e32 v69, 0x7f800000, v70
	v_cmp_ne_u32_e64 s[0:1], s14, v69
                                        ; implicit-def: $vgpr69
	s_and_saveexec_b64 s[8:9], s[0:1]
	s_xor_b64 s[0:1], exec, s[8:9]
; %bb.571:                              ;   in Loop: Header=BB323_232 Depth=1
	v_bfe_u32 v69, v70, 16, 1
	v_add3_u32 v69, v70, v69, s15
                                        ; implicit-def: $vgpr70
; %bb.572:                              ;   in Loop: Header=BB323_232 Depth=1
	s_andn2_saveexec_b64 s[8:9], s[0:1]
; %bb.573:                              ;   in Loop: Header=BB323_232 Depth=1
	v_or_b32_e32 v69, 0x10000, v70
	v_cmp_eq_u32_sdwa s[0:1], v70, v17 src0_sel:WORD_0 src1_sel:DWORD
	s_nop 1
	v_cndmask_b32_e64 v69, v69, v70, s[0:1]
; %bb.574:                              ;   in Loop: Header=BB323_232 Depth=1
	s_or_b64 exec, exec, s[8:9]
	v_lshlrev_b32_e32 v70, 16, v76
	v_mul_f32_e32 v71, v40, v70
	v_and_b32_e32 v70, 0x7f800000, v71
	v_cmp_ne_u32_e64 s[0:1], s14, v70
                                        ; implicit-def: $vgpr70
	s_and_saveexec_b64 s[8:9], s[0:1]
	s_xor_b64 s[0:1], exec, s[8:9]
; %bb.575:                              ;   in Loop: Header=BB323_232 Depth=1
	v_bfe_u32 v70, v71, 16, 1
	v_add3_u32 v70, v71, v70, s15
                                        ; implicit-def: $vgpr71
; %bb.576:                              ;   in Loop: Header=BB323_232 Depth=1
	s_andn2_saveexec_b64 s[8:9], s[0:1]
; %bb.577:                              ;   in Loop: Header=BB323_232 Depth=1
	v_or_b32_e32 v70, 0x10000, v71
	v_cmp_eq_u32_sdwa s[0:1], v71, v17 src0_sel:WORD_0 src1_sel:DWORD
	s_nop 1
	v_cndmask_b32_e64 v70, v70, v71, s[0:1]
; %bb.578:                              ;   in Loop: Header=BB323_232 Depth=1
	s_or_b64 exec, exec, s[8:9]
	v_lshlrev_b32_e32 v71, 16, v75
	v_mul_f32_e32 v75, v41, v71
	v_and_b32_e32 v71, 0x7f800000, v75
	v_cmp_ne_u32_e64 s[0:1], s14, v71
                                        ; implicit-def: $vgpr71
	s_and_saveexec_b64 s[8:9], s[0:1]
	s_xor_b64 s[0:1], exec, s[8:9]
; %bb.579:                              ;   in Loop: Header=BB323_232 Depth=1
	v_bfe_u32 v71, v75, 16, 1
	v_add3_u32 v71, v75, v71, s15
                                        ; implicit-def: $vgpr75
; %bb.580:                              ;   in Loop: Header=BB323_232 Depth=1
	s_andn2_saveexec_b64 s[8:9], s[0:1]
; %bb.581:                              ;   in Loop: Header=BB323_232 Depth=1
	v_or_b32_e32 v71, 0x10000, v75
	v_cmp_eq_u32_sdwa s[0:1], v75, v17 src0_sel:WORD_0 src1_sel:DWORD
	s_nop 1
	v_cndmask_b32_e64 v71, v71, v75, s[0:1]
; %bb.582:                              ;   in Loop: Header=BB323_232 Depth=1
	s_or_b64 exec, exec, s[8:9]
	v_lshlrev_b32_e32 v72, 16, v72
	v_mul_f32_e32 v75, v42, v72
	v_and_b32_e32 v72, 0x7f800000, v75
	v_cmp_ne_u32_e64 s[0:1], s14, v72
                                        ; implicit-def: $vgpr72
	s_and_saveexec_b64 s[8:9], s[0:1]
	s_xor_b64 s[0:1], exec, s[8:9]
; %bb.583:                              ;   in Loop: Header=BB323_232 Depth=1
	v_bfe_u32 v72, v75, 16, 1
	v_add3_u32 v72, v75, v72, s15
                                        ; implicit-def: $vgpr75
; %bb.584:                              ;   in Loop: Header=BB323_232 Depth=1
	s_andn2_saveexec_b64 s[8:9], s[0:1]
; %bb.585:                              ;   in Loop: Header=BB323_232 Depth=1
	v_or_b32_e32 v72, 0x10000, v75
	v_cmp_eq_u32_sdwa s[0:1], v75, v17 src0_sel:WORD_0 src1_sel:DWORD
	s_nop 1
	v_cndmask_b32_e64 v72, v72, v75, s[0:1]
; %bb.586:                              ;   in Loop: Header=BB323_232 Depth=1
	s_or_b64 exec, exec, s[8:9]
	v_lshlrev_b32_e32 v73, 16, v73
	v_mul_f32_e32 v75, v43, v73
	v_and_b32_e32 v73, 0x7f800000, v75
	v_cmp_ne_u32_e64 s[0:1], s14, v73
                                        ; implicit-def: $vgpr73
	s_and_saveexec_b64 s[8:9], s[0:1]
	s_xor_b64 s[0:1], exec, s[8:9]
; %bb.587:                              ;   in Loop: Header=BB323_232 Depth=1
	v_bfe_u32 v73, v75, 16, 1
	v_add3_u32 v73, v75, v73, s15
                                        ; implicit-def: $vgpr75
; %bb.588:                              ;   in Loop: Header=BB323_232 Depth=1
	s_andn2_saveexec_b64 s[8:9], s[0:1]
; %bb.589:                              ;   in Loop: Header=BB323_232 Depth=1
	v_or_b32_e32 v73, 0x10000, v75
	v_cmp_eq_u32_sdwa s[0:1], v75, v17 src0_sel:WORD_0 src1_sel:DWORD
	s_nop 1
	v_cndmask_b32_e64 v73, v73, v75, s[0:1]
; %bb.590:                              ;   in Loop: Header=BB323_232 Depth=1
	s_or_b64 exec, exec, s[8:9]
	v_lshlrev_b32_e32 v74, 16, v74
	v_mul_f32_e32 v75, v44, v74
	v_and_b32_e32 v74, 0x7f800000, v75
	v_cmp_ne_u32_e64 s[0:1], s14, v74
                                        ; implicit-def: $vgpr74
	s_and_saveexec_b64 s[8:9], s[0:1]
	s_xor_b64 s[0:1], exec, s[8:9]
; %bb.591:                              ;   in Loop: Header=BB323_232 Depth=1
	v_bfe_u32 v74, v75, 16, 1
	v_add3_u32 v74, v75, v74, s15
                                        ; implicit-def: $vgpr75
; %bb.592:                              ;   in Loop: Header=BB323_232 Depth=1
	s_andn2_saveexec_b64 s[8:9], s[0:1]
; %bb.593:                              ;   in Loop: Header=BB323_232 Depth=1
	v_or_b32_e32 v74, 0x10000, v75
	v_cmp_eq_u32_sdwa s[0:1], v75, v17 src0_sel:WORD_0 src1_sel:DWORD
	s_nop 1
	v_cndmask_b32_e64 v74, v74, v75, s[0:1]
; %bb.594:                              ;   in Loop: Header=BB323_232 Depth=1
	s_or_b64 exec, exec, s[8:9]
	global_load_dwordx2 v[2:3], v[2:3], off offset:2560
	s_waitcnt vmcnt(0)
	v_and_b32_e32 v75, 0xff, v2
	v_cvt_f32_fp8_sdwa v75, v75 src0_sel:BYTE_0
	s_nop 0
	v_mul_f32_e32 v76, s10, v75
	v_and_b32_e32 v75, 0x7f800000, v76
	v_cmp_ne_u32_e64 s[0:1], s14, v75
                                        ; implicit-def: $vgpr75
	s_and_saveexec_b64 s[8:9], s[0:1]
	s_xor_b64 s[0:1], exec, s[8:9]
; %bb.595:                              ;   in Loop: Header=BB323_232 Depth=1
	v_bfe_u32 v75, v76, 16, 1
	v_add3_u32 v75, v76, v75, s15
                                        ; implicit-def: $vgpr76
; %bb.596:                              ;   in Loop: Header=BB323_232 Depth=1
	s_andn2_saveexec_b64 s[8:9], s[0:1]
; %bb.597:                              ;   in Loop: Header=BB323_232 Depth=1
	v_or_b32_e32 v75, 0x10000, v76
	v_cmp_eq_u32_sdwa s[0:1], v76, v17 src0_sel:WORD_0 src1_sel:DWORD
	s_nop 1
	v_cndmask_b32_e64 v75, v75, v76, s[0:1]
; %bb.598:                              ;   in Loop: Header=BB323_232 Depth=1
	s_or_b64 exec, exec, s[8:9]
	v_bfe_u32 v76, v2, 8, 8
	v_cvt_f32_fp8_sdwa v76, v76 src0_sel:BYTE_0
	s_nop 0
	v_mul_f32_e32 v77, s10, v76
	v_and_b32_e32 v76, 0x7f800000, v77
	v_cmp_ne_u32_e64 s[0:1], s14, v76
                                        ; implicit-def: $vgpr76
	s_and_saveexec_b64 s[8:9], s[0:1]
	s_xor_b64 s[0:1], exec, s[8:9]
; %bb.599:                              ;   in Loop: Header=BB323_232 Depth=1
	v_bfe_u32 v76, v77, 16, 1
	v_add3_u32 v76, v77, v76, s15
                                        ; implicit-def: $vgpr77
; %bb.600:                              ;   in Loop: Header=BB323_232 Depth=1
	s_andn2_saveexec_b64 s[8:9], s[0:1]
; %bb.601:                              ;   in Loop: Header=BB323_232 Depth=1
	v_or_b32_e32 v76, 0x10000, v77
	v_cmp_eq_u32_sdwa s[0:1], v77, v17 src0_sel:WORD_0 src1_sel:DWORD
	s_nop 1
	v_cndmask_b32_e64 v76, v76, v77, s[0:1]
; %bb.602:                              ;   in Loop: Header=BB323_232 Depth=1
	s_or_b64 exec, exec, s[8:9]
	v_bfe_u32 v77, v2, 16, 8
	v_cvt_f32_fp8_sdwa v77, v77 src0_sel:BYTE_0
	s_nop 0
	v_mul_f32_e32 v77, s10, v77
	v_and_b32_e32 v78, 0x7f800000, v77
	v_cmp_ne_u32_e64 s[0:1], s14, v78
                                        ; implicit-def: $vgpr78
	s_and_saveexec_b64 s[8:9], s[0:1]
	s_xor_b64 s[0:1], exec, s[8:9]
; %bb.603:                              ;   in Loop: Header=BB323_232 Depth=1
	v_bfe_u32 v78, v77, 16, 1
	v_add3_u32 v78, v77, v78, s15
                                        ; implicit-def: $vgpr77
; %bb.604:                              ;   in Loop: Header=BB323_232 Depth=1
	s_andn2_saveexec_b64 s[8:9], s[0:1]
; %bb.605:                              ;   in Loop: Header=BB323_232 Depth=1
	v_or_b32_e32 v78, 0x10000, v77
	v_cmp_eq_u32_sdwa s[0:1], v77, v17 src0_sel:WORD_0 src1_sel:DWORD
	s_nop 1
	v_cndmask_b32_e64 v78, v78, v77, s[0:1]
; %bb.606:                              ;   in Loop: Header=BB323_232 Depth=1
	s_or_b64 exec, exec, s[8:9]
	v_lshrrev_b32_e32 v2, 24, v2
	v_cvt_f32_fp8_sdwa v2, v2 src0_sel:BYTE_0
	s_nop 0
	v_mul_f32_e32 v77, s10, v2
	v_and_b32_e32 v2, 0x7f800000, v77
	v_cmp_ne_u32_e64 s[0:1], s14, v2
                                        ; implicit-def: $vgpr2
	s_and_saveexec_b64 s[8:9], s[0:1]
	s_xor_b64 s[0:1], exec, s[8:9]
; %bb.607:                              ;   in Loop: Header=BB323_232 Depth=1
	v_bfe_u32 v2, v77, 16, 1
	v_add3_u32 v2, v77, v2, s15
                                        ; implicit-def: $vgpr77
; %bb.608:                              ;   in Loop: Header=BB323_232 Depth=1
	s_andn2_saveexec_b64 s[8:9], s[0:1]
; %bb.609:                              ;   in Loop: Header=BB323_232 Depth=1
	v_or_b32_e32 v2, 0x10000, v77
	v_cmp_eq_u32_sdwa s[0:1], v77, v17 src0_sel:WORD_0 src1_sel:DWORD
	s_nop 1
	v_cndmask_b32_e64 v2, v2, v77, s[0:1]
; %bb.610:                              ;   in Loop: Header=BB323_232 Depth=1
	s_or_b64 exec, exec, s[8:9]
	v_and_b32_e32 v77, 0xff, v3
	v_cvt_f32_fp8_sdwa v77, v77 src0_sel:BYTE_0
	s_nop 0
	v_mul_f32_e32 v77, s10, v77
	v_and_b32_e32 v79, 0x7f800000, v77
	v_cmp_ne_u32_e64 s[0:1], s14, v79
                                        ; implicit-def: $vgpr79
	s_and_saveexec_b64 s[8:9], s[0:1]
	s_xor_b64 s[0:1], exec, s[8:9]
; %bb.611:                              ;   in Loop: Header=BB323_232 Depth=1
	v_bfe_u32 v79, v77, 16, 1
	v_add3_u32 v79, v77, v79, s15
                                        ; implicit-def: $vgpr77
; %bb.612:                              ;   in Loop: Header=BB323_232 Depth=1
	s_andn2_saveexec_b64 s[8:9], s[0:1]
; %bb.613:                              ;   in Loop: Header=BB323_232 Depth=1
	v_or_b32_e32 v79, 0x10000, v77
	v_cmp_eq_u32_sdwa s[0:1], v77, v17 src0_sel:WORD_0 src1_sel:DWORD
	s_nop 1
	v_cndmask_b32_e64 v79, v79, v77, s[0:1]
; %bb.614:                              ;   in Loop: Header=BB323_232 Depth=1
	s_or_b64 exec, exec, s[8:9]
	v_bfe_u32 v77, v3, 8, 8
	v_cvt_f32_fp8_sdwa v77, v77 src0_sel:BYTE_0
	s_nop 0
	v_mul_f32_e32 v80, s10, v77
	v_and_b32_e32 v77, 0x7f800000, v80
	v_cmp_ne_u32_e64 s[0:1], s14, v77
                                        ; implicit-def: $vgpr77
	s_and_saveexec_b64 s[8:9], s[0:1]
	s_xor_b64 s[0:1], exec, s[8:9]
; %bb.615:                              ;   in Loop: Header=BB323_232 Depth=1
	v_bfe_u32 v77, v80, 16, 1
	v_add3_u32 v77, v80, v77, s15
                                        ; implicit-def: $vgpr80
; %bb.616:                              ;   in Loop: Header=BB323_232 Depth=1
	s_andn2_saveexec_b64 s[8:9], s[0:1]
; %bb.617:                              ;   in Loop: Header=BB323_232 Depth=1
	v_or_b32_e32 v77, 0x10000, v80
	v_cmp_eq_u32_sdwa s[0:1], v80, v17 src0_sel:WORD_0 src1_sel:DWORD
	s_nop 1
	v_cndmask_b32_e64 v77, v77, v80, s[0:1]
; %bb.618:                              ;   in Loop: Header=BB323_232 Depth=1
	s_or_b64 exec, exec, s[8:9]
	v_bfe_u32 v80, v3, 16, 8
	v_cvt_f32_fp8_sdwa v80, v80 src0_sel:BYTE_0
	s_nop 0
	v_mul_f32_e32 v80, s10, v80
	v_and_b32_e32 v81, 0x7f800000, v80
	v_cmp_ne_u32_e64 s[0:1], s14, v81
                                        ; implicit-def: $vgpr81
	s_and_saveexec_b64 s[8:9], s[0:1]
	s_xor_b64 s[0:1], exec, s[8:9]
; %bb.619:                              ;   in Loop: Header=BB323_232 Depth=1
	v_bfe_u32 v81, v80, 16, 1
	v_add3_u32 v81, v80, v81, s15
                                        ; implicit-def: $vgpr80
; %bb.620:                              ;   in Loop: Header=BB323_232 Depth=1
	s_andn2_saveexec_b64 s[8:9], s[0:1]
; %bb.621:                              ;   in Loop: Header=BB323_232 Depth=1
	v_or_b32_e32 v81, 0x10000, v80
	v_cmp_eq_u32_sdwa s[0:1], v80, v17 src0_sel:WORD_0 src1_sel:DWORD
	s_nop 1
	v_cndmask_b32_e64 v81, v81, v80, s[0:1]
; %bb.622:                              ;   in Loop: Header=BB323_232 Depth=1
	s_or_b64 exec, exec, s[8:9]
	v_lshrrev_b32_e32 v3, 24, v3
	v_cvt_f32_fp8_sdwa v3, v3 src0_sel:BYTE_0
                                        ; implicit-def: $vgpr82
	s_nop 0
	v_mul_f32_e32 v3, s10, v3
	v_and_b32_e32 v80, 0x7f800000, v3
	v_cmp_ne_u32_e64 s[0:1], s14, v80
	s_and_saveexec_b64 s[8:9], s[0:1]
	s_xor_b64 s[0:1], exec, s[8:9]
; %bb.623:                              ;   in Loop: Header=BB323_232 Depth=1
	v_bfe_u32 v80, v3, 16, 1
	v_add3_u32 v82, v3, v80, s15
                                        ; implicit-def: $vgpr3
; %bb.624:                              ;   in Loop: Header=BB323_232 Depth=1
	s_andn2_saveexec_b64 s[8:9], s[0:1]
; %bb.625:                              ;   in Loop: Header=BB323_232 Depth=1
	v_or_b32_e32 v80, 0x10000, v3
	v_cmp_eq_u32_sdwa s[0:1], v3, v17 src0_sel:WORD_0 src1_sel:DWORD
	s_nop 1
	v_cndmask_b32_e64 v82, v80, v3, s[0:1]
; %bb.626:                              ;   in Loop: Header=BB323_232 Depth=1
	s_or_b64 exec, exec, s[8:9]
	v_lshrrev_b32_e32 v77, 16, v77
	v_lshrrev_b32_e32 v79, 16, v79
	v_lshrrev_b32_e32 v80, 16, v2
	v_lshrrev_b32_e32 v78, 16, v78
	v_lshrrev_b32_e32 v3, 16, v76
	v_lshrrev_b32_e32 v2, 16, v75
	v_lshrrev_b32_e32 v76, 16, v81
	v_lshrrev_b32_e32 v75, 16, v82
	s_and_saveexec_b64 s[0:1], vcc
	s_cbranch_execz .LBB323_628
; %bb.627:                              ;   in Loop: Header=BB323_232 Depth=1
	v_cmp_gt_i32_e32 vcc, s17, v29
	s_nop 1
	v_cndmask_b32_e32 v2, 0, v2, vcc
	v_cmp_gt_i32_e32 vcc, s17, v35
	s_nop 1
	v_cndmask_b32_e32 v3, 0, v3, vcc
	;; [unrolled: 3-line block ×8, first 2 shown]
.LBB323_628:                            ;   in Loop: Header=BB323_232 Depth=1
	s_or_b64 exec, exec, s[0:1]
	v_lshlrev_b32_e32 v2, 16, v2
	v_mul_f32_e32 v29, v37, v2
	v_and_b32_e32 v2, 0x7f800000, v29
	v_cmp_ne_u32_e32 vcc, s14, v2
                                        ; implicit-def: $vgpr2
	s_and_saveexec_b64 s[0:1], vcc
	s_xor_b64 s[0:1], exec, s[0:1]
; %bb.629:                              ;   in Loop: Header=BB323_232 Depth=1
	v_bfe_u32 v2, v29, 16, 1
	v_add3_u32 v2, v29, v2, s15
                                        ; implicit-def: $vgpr29
; %bb.630:                              ;   in Loop: Header=BB323_232 Depth=1
	s_andn2_saveexec_b64 s[0:1], s[0:1]
; %bb.631:                              ;   in Loop: Header=BB323_232 Depth=1
	v_or_b32_e32 v2, 0x10000, v29
	v_cmp_eq_u32_sdwa vcc, v29, v17 src0_sel:WORD_0 src1_sel:DWORD
	s_nop 1
	v_cndmask_b32_e32 v2, v2, v29, vcc
; %bb.632:                              ;   in Loop: Header=BB323_232 Depth=1
	s_or_b64 exec, exec, s[0:1]
	v_lshlrev_b32_e32 v3, 16, v3
	v_mul_f32_e32 v29, v38, v3
	v_and_b32_e32 v3, 0x7f800000, v29
	v_cmp_ne_u32_e32 vcc, s14, v3
                                        ; implicit-def: $vgpr3
	s_and_saveexec_b64 s[0:1], vcc
	s_xor_b64 s[0:1], exec, s[0:1]
; %bb.633:                              ;   in Loop: Header=BB323_232 Depth=1
	v_bfe_u32 v3, v29, 16, 1
	v_add3_u32 v3, v29, v3, s15
                                        ; implicit-def: $vgpr29
; %bb.634:                              ;   in Loop: Header=BB323_232 Depth=1
	s_andn2_saveexec_b64 s[0:1], s[0:1]
; %bb.635:                              ;   in Loop: Header=BB323_232 Depth=1
	v_or_b32_e32 v3, 0x10000, v29
	v_cmp_eq_u32_sdwa vcc, v29, v17 src0_sel:WORD_0 src1_sel:DWORD
	s_nop 1
	v_cndmask_b32_e32 v3, v3, v29, vcc
; %bb.636:                              ;   in Loop: Header=BB323_232 Depth=1
	s_or_b64 exec, exec, s[0:1]
	v_lshlrev_b32_e32 v29, 16, v78
	v_mul_f32_e32 v30, v39, v29
	v_and_b32_e32 v29, 0x7f800000, v30
	v_cmp_ne_u32_e32 vcc, s14, v29
                                        ; implicit-def: $vgpr29
	s_and_saveexec_b64 s[0:1], vcc
	s_xor_b64 s[0:1], exec, s[0:1]
; %bb.637:                              ;   in Loop: Header=BB323_232 Depth=1
	v_bfe_u32 v29, v30, 16, 1
	v_add3_u32 v29, v30, v29, s15
                                        ; implicit-def: $vgpr30
; %bb.638:                              ;   in Loop: Header=BB323_232 Depth=1
	s_andn2_saveexec_b64 s[0:1], s[0:1]
; %bb.639:                              ;   in Loop: Header=BB323_232 Depth=1
	v_or_b32_e32 v29, 0x10000, v30
	v_cmp_eq_u32_sdwa vcc, v30, v17 src0_sel:WORD_0 src1_sel:DWORD
	s_nop 1
	v_cndmask_b32_e32 v29, v29, v30, vcc
; %bb.640:                              ;   in Loop: Header=BB323_232 Depth=1
	s_or_b64 exec, exec, s[0:1]
	v_lshlrev_b32_e32 v30, 16, v80
	v_mul_f32_e32 v31, v40, v30
	v_and_b32_e32 v30, 0x7f800000, v31
	v_cmp_ne_u32_e32 vcc, s14, v30
                                        ; implicit-def: $vgpr30
	s_and_saveexec_b64 s[0:1], vcc
	s_xor_b64 s[0:1], exec, s[0:1]
; %bb.641:                              ;   in Loop: Header=BB323_232 Depth=1
	v_bfe_u32 v30, v31, 16, 1
	v_add3_u32 v30, v31, v30, s15
                                        ; implicit-def: $vgpr31
; %bb.642:                              ;   in Loop: Header=BB323_232 Depth=1
	s_andn2_saveexec_b64 s[0:1], s[0:1]
; %bb.643:                              ;   in Loop: Header=BB323_232 Depth=1
	v_or_b32_e32 v30, 0x10000, v31
	v_cmp_eq_u32_sdwa vcc, v31, v17 src0_sel:WORD_0 src1_sel:DWORD
	s_nop 1
	v_cndmask_b32_e32 v30, v30, v31, vcc
; %bb.644:                              ;   in Loop: Header=BB323_232 Depth=1
	s_or_b64 exec, exec, s[0:1]
	v_lshlrev_b32_e32 v31, 16, v79
	v_mul_f32_e32 v32, v41, v31
	v_and_b32_e32 v31, 0x7f800000, v32
	v_cmp_ne_u32_e32 vcc, s14, v31
                                        ; implicit-def: $vgpr31
	s_and_saveexec_b64 s[0:1], vcc
	s_xor_b64 s[0:1], exec, s[0:1]
; %bb.645:                              ;   in Loop: Header=BB323_232 Depth=1
	v_bfe_u32 v31, v32, 16, 1
	v_add3_u32 v31, v32, v31, s15
                                        ; implicit-def: $vgpr32
; %bb.646:                              ;   in Loop: Header=BB323_232 Depth=1
	s_andn2_saveexec_b64 s[0:1], s[0:1]
; %bb.647:                              ;   in Loop: Header=BB323_232 Depth=1
	v_or_b32_e32 v31, 0x10000, v32
	v_cmp_eq_u32_sdwa vcc, v32, v17 src0_sel:WORD_0 src1_sel:DWORD
	s_nop 1
	v_cndmask_b32_e32 v31, v31, v32, vcc
; %bb.648:                              ;   in Loop: Header=BB323_232 Depth=1
	s_or_b64 exec, exec, s[0:1]
	v_lshlrev_b32_e32 v32, 16, v77
	v_mul_f32_e32 v33, v42, v32
	v_and_b32_e32 v32, 0x7f800000, v33
	v_cmp_ne_u32_e32 vcc, s14, v32
                                        ; implicit-def: $vgpr32
	s_and_saveexec_b64 s[0:1], vcc
	s_xor_b64 s[0:1], exec, s[0:1]
; %bb.649:                              ;   in Loop: Header=BB323_232 Depth=1
	v_bfe_u32 v32, v33, 16, 1
	v_add3_u32 v32, v33, v32, s15
                                        ; implicit-def: $vgpr33
; %bb.650:                              ;   in Loop: Header=BB323_232 Depth=1
	s_andn2_saveexec_b64 s[0:1], s[0:1]
; %bb.651:                              ;   in Loop: Header=BB323_232 Depth=1
	v_or_b32_e32 v32, 0x10000, v33
	v_cmp_eq_u32_sdwa vcc, v33, v17 src0_sel:WORD_0 src1_sel:DWORD
	s_nop 1
	v_cndmask_b32_e32 v32, v32, v33, vcc
; %bb.652:                              ;   in Loop: Header=BB323_232 Depth=1
	s_or_b64 exec, exec, s[0:1]
	v_lshlrev_b32_e32 v33, 16, v76
	v_mul_f32_e32 v34, v43, v33
	v_and_b32_e32 v33, 0x7f800000, v34
	v_cmp_ne_u32_e32 vcc, s14, v33
                                        ; implicit-def: $vgpr33
	s_and_saveexec_b64 s[0:1], vcc
	s_xor_b64 s[0:1], exec, s[0:1]
; %bb.653:                              ;   in Loop: Header=BB323_232 Depth=1
	v_bfe_u32 v33, v34, 16, 1
	v_add3_u32 v33, v34, v33, s15
                                        ; implicit-def: $vgpr34
; %bb.654:                              ;   in Loop: Header=BB323_232 Depth=1
	s_andn2_saveexec_b64 s[0:1], s[0:1]
; %bb.655:                              ;   in Loop: Header=BB323_232 Depth=1
	v_or_b32_e32 v33, 0x10000, v34
	v_cmp_eq_u32_sdwa vcc, v34, v17 src0_sel:WORD_0 src1_sel:DWORD
	s_nop 1
	v_cndmask_b32_e32 v33, v33, v34, vcc
; %bb.656:                              ;   in Loop: Header=BB323_232 Depth=1
	s_or_b64 exec, exec, s[0:1]
	v_lshlrev_b32_e32 v34, 16, v75
	v_mul_f32_e32 v35, v44, v34
	v_and_b32_e32 v34, 0x7f800000, v35
	v_cmp_ne_u32_e32 vcc, s14, v34
                                        ; implicit-def: $vgpr34
	s_and_saveexec_b64 s[0:1], vcc
	s_xor_b64 s[0:1], exec, s[0:1]
; %bb.657:                              ;   in Loop: Header=BB323_232 Depth=1
	v_bfe_u32 v34, v35, 16, 1
	v_add3_u32 v34, v35, v34, s15
                                        ; implicit-def: $vgpr35
; %bb.658:                              ;   in Loop: Header=BB323_232 Depth=1
	s_andn2_saveexec_b64 s[0:1], s[0:1]
	s_cbranch_execz .LBB323_231
; %bb.659:                              ;   in Loop: Header=BB323_232 Depth=1
	v_or_b32_e32 v34, 0x10000, v35
	v_cmp_eq_u32_sdwa vcc, v35, v17 src0_sel:WORD_0 src1_sel:DWORD
	s_nop 1
	v_cndmask_b32_e32 v34, v34, v35, vcc
	s_branch .LBB323_231
.LBB323_660:
	s_or_b64 exec, exec, s[6:7]
.LBB323_661:
	s_or_b64 exec, exec, s[2:3]
	ds_bpermute_b32 v2, v23, v14
	ds_bpermute_b32 v3, v23, v15
	;; [unrolled: 1-line block ×6, first 2 shown]
	v_and_b32_e32 v1, 0x3c1, v0
	s_waitcnt lgkmcnt(4)
	v_pk_add_f32 v[6:7], v[14:15], v[2:3]
	s_waitcnt lgkmcnt(2)
	v_pk_add_f32 v[2:3], v[12:13], v[4:5]
	v_cmp_eq_u32_e32 vcc, 64, v1
	s_waitcnt lgkmcnt(0)
	v_pk_add_f32 v[4:5], v[10:11], v[8:9]
	s_barrier
	s_and_saveexec_b64 s[0:1], vcc
	s_cbranch_execz .LBB323_663
; %bb.662:
	v_mov_b32_e32 v1, 0x190
	v_lshl_add_u32 v1, v22, 1, v1
	ds_write2_b32 v1, v6, v7 offset1:32
	ds_write2_b32 v1, v2, v3 offset0:64 offset1:96
	ds_write2_b32 v1, v4, v5 offset0:128 offset1:160
.LBB323_663:
	s_or_b64 exec, exec, s[0:1]
	v_cmp_gt_u32_e32 vcc, 64, v0
	s_waitcnt lgkmcnt(0)
	s_barrier
	s_and_saveexec_b64 s[2:3], vcc
	s_cbranch_execz .LBB323_672
; %bb.664:
	v_cmp_eq_u32_e64 s[0:1], 0, v24
	v_lshrrev_b32_e32 v1, 1, v0
	s_and_saveexec_b64 s[6:7], s[0:1]
	s_cbranch_execnz .LBB323_700
; %bb.665:
	s_or_b64 exec, exec, s[6:7]
	s_and_saveexec_b64 s[6:7], s[0:1]
	s_cbranch_execnz .LBB323_701
.LBB323_666:
	s_or_b64 exec, exec, s[6:7]
	s_and_saveexec_b64 s[6:7], s[0:1]
	s_cbranch_execnz .LBB323_702
.LBB323_667:
	s_or_b64 exec, exec, s[6:7]
	s_and_saveexec_b64 s[6:7], s[0:1]
	s_cbranch_execnz .LBB323_703
.LBB323_668:
	s_or_b64 exec, exec, s[6:7]
	s_and_saveexec_b64 s[6:7], s[0:1]
	s_cbranch_execnz .LBB323_704
.LBB323_669:
	s_or_b64 exec, exec, s[6:7]
	s_and_saveexec_b64 s[6:7], s[0:1]
	s_cbranch_execz .LBB323_671
.LBB323_670:
	v_mov_b32_e32 v8, 0x190
	v_lshl_add_u32 v1, v1, 2, v8
	ds_read_b32 v1, v1 offset:640
	s_waitcnt lgkmcnt(0)
	v_add_f32_e32 v5, v5, v1
.LBB323_671:
	s_or_b64 exec, exec, s[6:7]
.LBB323_672:
	s_or_b64 exec, exec, s[2:3]
	s_barrier
	s_and_saveexec_b64 s[0:1], vcc
	s_cbranch_execz .LBB323_699
; %bb.673:
	v_cmp_eq_u32_e32 vcc, 0, v24
	s_and_b64 exec, exec, vcc
	s_cbranch_execz .LBB323_699
; %bb.674:
	s_mov_b32 s0, 0x7f800000
	v_and_b32_e32 v1, 0x7f800000, v6
	v_cmp_ne_u32_e32 vcc, s0, v1
                                        ; implicit-def: $vgpr8
	s_and_saveexec_b64 s[0:1], vcc
	s_xor_b64 s[0:1], exec, s[0:1]
; %bb.675:
	v_bfe_u32 v1, v6, 16, 1
	s_movk_i32 s2, 0x7fff
	v_add3_u32 v8, v6, v1, s2
; %bb.676:
	s_andn2_saveexec_b64 s[0:1], s[0:1]
; %bb.677:
	v_mov_b32_e32 v1, 0
	v_or_b32_e32 v8, 0x10000, v6
	v_cmp_eq_u32_sdwa vcc, v6, v1 src0_sel:WORD_0 src1_sel:DWORD
	s_nop 1
	v_cndmask_b32_e32 v8, v8, v6, vcc
; %bb.678:
	s_or_b64 exec, exec, s[0:1]
	s_mul_i32 s0, s16, s12
	s_mul_i32 s0, s0, s5
	s_mulk_i32 s0, 0xc0
	s_ashr_i32 s1, s0, 31
	s_lshl_b64 s[0:1], s[0:1], 1
	s_add_u32 s2, s20, s0
	s_mul_i32 s0, s12, s18
	s_addc_u32 s3, s21, s1
	s_ashr_i32 s1, s0, 31
	s_lshl_b64 s[0:1], s[0:1], 1
	s_add_u32 s2, s2, s0
	s_mul_i32 s0, s4, 0xc0
	s_addc_u32 s3, s3, s1
	s_ashr_i32 s1, s0, 31
	s_lshl_b64 s[0:1], s[0:1], 1
	s_add_u32 s0, s2, s0
	s_mov_b32 s2, 0x7f800000
	v_and_b32_e32 v6, 0x7f800000, v7
	s_addc_u32 s1, s3, s1
	v_and_b32_e32 v0, 0x3fe, v0
	v_mov_b32_e32 v1, 0
	v_cmp_ne_u32_e32 vcc, s2, v6
	global_store_short_d16_hi v0, v8, s[0:1]
                                        ; implicit-def: $vgpr6
	s_and_saveexec_b64 s[2:3], vcc
	s_xor_b64 s[2:3], exec, s[2:3]
; %bb.679:
	v_bfe_u32 v6, v7, 16, 1
	s_movk_i32 s4, 0x7fff
	v_add3_u32 v6, v7, v6, s4
; %bb.680:
	s_or_saveexec_b64 s[2:3], s[2:3]
	v_lshl_add_u64 v[8:9], s[0:1], 0, v[0:1]
	s_xor_b64 exec, exec, s[2:3]
; %bb.681:
	v_mov_b32_e32 v0, 0
	v_or_b32_e32 v1, 0x10000, v7
	v_cmp_eq_u32_sdwa vcc, v7, v0 src0_sel:WORD_0 src1_sel:DWORD
	s_nop 1
	v_cndmask_b32_e32 v6, v1, v7, vcc
; %bb.682:
	s_or_b64 exec, exec, s[2:3]
	s_mov_b32 s0, 0x7f800000
	v_and_b32_e32 v0, 0x7f800000, v2
	v_cmp_ne_u32_e32 vcc, s0, v0
	global_store_short_d16_hi v[8:9], v6, off offset:64
                                        ; implicit-def: $vgpr0
	s_and_saveexec_b64 s[0:1], vcc
	s_xor_b64 s[0:1], exec, s[0:1]
; %bb.683:
	v_bfe_u32 v0, v2, 16, 1
	s_movk_i32 s2, 0x7fff
	v_add3_u32 v0, v2, v0, s2
; %bb.684:
	s_andn2_saveexec_b64 s[0:1], s[0:1]
; %bb.685:
	v_mov_b32_e32 v0, 0
	v_or_b32_e32 v1, 0x10000, v2
	v_cmp_eq_u32_sdwa vcc, v2, v0 src0_sel:WORD_0 src1_sel:DWORD
	s_nop 1
	v_cndmask_b32_e32 v0, v1, v2, vcc
; %bb.686:
	s_or_b64 exec, exec, s[0:1]
	global_store_short_d16_hi v[8:9], v0, off offset:128
	s_mov_b32 s0, 0x7f800000
	v_and_b32_e32 v0, 0x7f800000, v3
	v_cmp_ne_u32_e32 vcc, s0, v0
                                        ; implicit-def: $vgpr0
	s_and_saveexec_b64 s[0:1], vcc
	s_xor_b64 s[0:1], exec, s[0:1]
; %bb.687:
	v_bfe_u32 v0, v3, 16, 1
	s_movk_i32 s2, 0x7fff
	v_add3_u32 v0, v3, v0, s2
; %bb.688:
	s_andn2_saveexec_b64 s[0:1], s[0:1]
; %bb.689:
	v_mov_b32_e32 v0, 0
	v_or_b32_e32 v1, 0x10000, v3
	v_cmp_eq_u32_sdwa vcc, v3, v0 src0_sel:WORD_0 src1_sel:DWORD
	s_nop 1
	v_cndmask_b32_e32 v0, v1, v3, vcc
; %bb.690:
	s_or_b64 exec, exec, s[0:1]
	global_store_short_d16_hi v[8:9], v0, off offset:192
	s_mov_b32 s0, 0x7f800000
	v_and_b32_e32 v0, 0x7f800000, v4
	v_cmp_ne_u32_e32 vcc, s0, v0
	;; [unrolled: 21-line block ×3, first 2 shown]
                                        ; implicit-def: $vgpr6
	s_and_saveexec_b64 s[0:1], vcc
	s_xor_b64 s[0:1], exec, s[0:1]
; %bb.695:
	v_bfe_u32 v0, v5, 16, 1
	s_movk_i32 s2, 0x7fff
	v_add3_u32 v6, v5, v0, s2
                                        ; implicit-def: $vgpr0_vgpr1_vgpr2_vgpr3_vgpr4_vgpr5
; %bb.696:
	s_andn2_saveexec_b64 s[0:1], s[0:1]
; %bb.697:
	v_mov_b32_e32 v0, 0
	v_or_b32_e32 v1, 0x10000, v5
	v_cmp_eq_u32_sdwa vcc, v5, v0 src0_sel:WORD_0 src1_sel:DWORD
	s_nop 1
	v_cndmask_b32_e32 v6, v1, v5, vcc
; %bb.698:
	s_or_b64 exec, exec, s[0:1]
	global_store_short_d16_hi v[8:9], v6, off offset:320
.LBB323_699:
	s_endpgm
.LBB323_700:
	v_mov_b32_e32 v8, 0x190
	v_lshl_add_u32 v8, v1, 2, v8
	ds_read_b32 v8, v8
	s_waitcnt lgkmcnt(0)
	v_add_f32_e32 v6, v6, v8
	s_or_b64 exec, exec, s[6:7]
	s_and_saveexec_b64 s[6:7], s[0:1]
	s_cbranch_execz .LBB323_666
.LBB323_701:
	v_mov_b32_e32 v8, 0x190
	v_lshl_add_u32 v8, v1, 2, v8
	ds_read_b32 v8, v8 offset:128
	s_waitcnt lgkmcnt(0)
	v_add_f32_e32 v7, v7, v8
	s_or_b64 exec, exec, s[6:7]
	s_and_saveexec_b64 s[6:7], s[0:1]
	s_cbranch_execz .LBB323_667
.LBB323_702:
	v_mov_b32_e32 v8, 0x190
	v_lshl_add_u32 v8, v1, 2, v8
	ds_read_b32 v8, v8 offset:256
	s_waitcnt lgkmcnt(0)
	v_add_f32_e32 v2, v2, v8
	s_or_b64 exec, exec, s[6:7]
	s_and_saveexec_b64 s[6:7], s[0:1]
	s_cbranch_execz .LBB323_668
.LBB323_703:
	v_mov_b32_e32 v8, 0x190
	v_lshl_add_u32 v8, v1, 2, v8
	ds_read_b32 v8, v8 offset:384
	s_waitcnt lgkmcnt(0)
	v_add_f32_e32 v3, v3, v8
	s_or_b64 exec, exec, s[6:7]
	s_and_saveexec_b64 s[6:7], s[0:1]
	s_cbranch_execz .LBB323_669
.LBB323_704:
	v_mov_b32_e32 v8, 0x190
	v_lshl_add_u32 v8, v1, 2, v8
	ds_read_b32 v8, v8 offset:512
	s_waitcnt lgkmcnt(0)
	v_add_f32_e32 v4, v4, v8
	s_or_b64 exec, exec, s[6:7]
	s_and_saveexec_b64 s[6:7], s[0:1]
	s_cbranch_execnz .LBB323_670
	s_branch .LBB323_671
	.section	.rodata,"a",@progbits
	.p2align	6, 0x0
	.amdhsa_kernel _ZN4vllm25paged_attention_v1_kernelI14__hip_bfloat16hLi192ELi16ELi128ELNS_18Fp8KVCacheDataTypeE1ELb0EEEvPT_PKS3_PKT0_S9_ifPKiSB_iPKfiiiSD_SD_iiiii
		.amdhsa_group_segment_fixed_size 400
		.amdhsa_private_segment_fixed_size 0
		.amdhsa_kernarg_size 384
		.amdhsa_user_sgpr_count 2
		.amdhsa_user_sgpr_dispatch_ptr 0
		.amdhsa_user_sgpr_queue_ptr 0
		.amdhsa_user_sgpr_kernarg_segment_ptr 1
		.amdhsa_user_sgpr_dispatch_id 0
		.amdhsa_user_sgpr_kernarg_preload_length 0
		.amdhsa_user_sgpr_kernarg_preload_offset 0
		.amdhsa_user_sgpr_private_segment_size 0
		.amdhsa_uses_dynamic_stack 0
		.amdhsa_enable_private_segment 0
		.amdhsa_system_sgpr_workgroup_id_x 1
		.amdhsa_system_sgpr_workgroup_id_y 1
		.amdhsa_system_sgpr_workgroup_id_z 1
		.amdhsa_system_sgpr_workgroup_info 0
		.amdhsa_system_vgpr_workitem_id 0
		.amdhsa_next_free_vgpr 114
		.amdhsa_next_free_sgpr 40
		.amdhsa_accum_offset 116
		.amdhsa_reserve_vcc 1
		.amdhsa_float_round_mode_32 0
		.amdhsa_float_round_mode_16_64 0
		.amdhsa_float_denorm_mode_32 3
		.amdhsa_float_denorm_mode_16_64 3
		.amdhsa_dx10_clamp 1
		.amdhsa_ieee_mode 1
		.amdhsa_fp16_overflow 0
		.amdhsa_tg_split 0
		.amdhsa_exception_fp_ieee_invalid_op 0
		.amdhsa_exception_fp_denorm_src 0
		.amdhsa_exception_fp_ieee_div_zero 0
		.amdhsa_exception_fp_ieee_overflow 0
		.amdhsa_exception_fp_ieee_underflow 0
		.amdhsa_exception_fp_ieee_inexact 0
		.amdhsa_exception_int_div_zero 0
	.end_amdhsa_kernel
	.section	.text._ZN4vllm25paged_attention_v1_kernelI14__hip_bfloat16hLi192ELi16ELi128ELNS_18Fp8KVCacheDataTypeE1ELb0EEEvPT_PKS3_PKT0_S9_ifPKiSB_iPKfiiiSD_SD_iiiii,"axG",@progbits,_ZN4vllm25paged_attention_v1_kernelI14__hip_bfloat16hLi192ELi16ELi128ELNS_18Fp8KVCacheDataTypeE1ELb0EEEvPT_PKS3_PKT0_S9_ifPKiSB_iPKfiiiSD_SD_iiiii,comdat
.Lfunc_end323:
	.size	_ZN4vllm25paged_attention_v1_kernelI14__hip_bfloat16hLi192ELi16ELi128ELNS_18Fp8KVCacheDataTypeE1ELb0EEEvPT_PKS3_PKT0_S9_ifPKiSB_iPKfiiiSD_SD_iiiii, .Lfunc_end323-_ZN4vllm25paged_attention_v1_kernelI14__hip_bfloat16hLi192ELi16ELi128ELNS_18Fp8KVCacheDataTypeE1ELb0EEEvPT_PKS3_PKT0_S9_ifPKiSB_iPKfiiiSD_SD_iiiii
                                        ; -- End function
	.section	.AMDGPU.csdata,"",@progbits
; Kernel info:
; codeLenInByte = 20892
; NumSgprs: 46
; NumVgprs: 114
; NumAgprs: 0
; TotalNumVgprs: 114
; ScratchSize: 0
; MemoryBound: 0
; FloatMode: 240
; IeeeMode: 1
; LDSByteSize: 400 bytes/workgroup (compile time only)
; SGPRBlocks: 5
; VGPRBlocks: 14
; NumSGPRsForWavesPerEU: 46
; NumVGPRsForWavesPerEU: 114
; AccumOffset: 116
; Occupancy: 4
; WaveLimiterHint : 1
; COMPUTE_PGM_RSRC2:SCRATCH_EN: 0
; COMPUTE_PGM_RSRC2:USER_SGPR: 2
; COMPUTE_PGM_RSRC2:TRAP_HANDLER: 0
; COMPUTE_PGM_RSRC2:TGID_X_EN: 1
; COMPUTE_PGM_RSRC2:TGID_Y_EN: 1
; COMPUTE_PGM_RSRC2:TGID_Z_EN: 1
; COMPUTE_PGM_RSRC2:TIDIG_COMP_CNT: 0
; COMPUTE_PGM_RSRC3_GFX90A:ACCUM_OFFSET: 28
; COMPUTE_PGM_RSRC3_GFX90A:TG_SPLIT: 0
	.text
	.p2align	2                               ; -- Begin function _ZN4vllm22paged_attention_kernelI14__hip_bfloat16hLi256ELi16ELi128ELNS_18Fp8KVCacheDataTypeE1ELb0ELi0EEEvPfS3_PT_PKS4_PKT0_SA_ifPKiSC_iPKfiiiSE_SE_iiiii
	.type	_ZN4vllm22paged_attention_kernelI14__hip_bfloat16hLi256ELi16ELi128ELNS_18Fp8KVCacheDataTypeE1ELb0ELi0EEEvPfS3_PT_PKS4_PKT0_SA_ifPKiSC_iPKfiiiSE_SE_iiiii,@function
_ZN4vllm22paged_attention_kernelI14__hip_bfloat16hLi256ELi16ELi128ELNS_18Fp8KVCacheDataTypeE1ELb0ELi0EEEvPfS3_PT_PKS4_PKT0_SA_ifPKiSC_iPKfiiiSE_SE_iiiii: ; @_ZN4vllm22paged_attention_kernelI14__hip_bfloat16hLi256ELi16ELi128ELNS_18Fp8KVCacheDataTypeE1ELb0ELi0EEEvPfS3_PT_PKS4_PKT0_SA_ifPKiSC_iPKfiiiSE_SE_iiiii
; %bb.0:
	s_waitcnt vmcnt(0) expcnt(0) lgkmcnt(0)
	scratch_store_dword off, v40, s32 offset:188 ; 4-byte Folded Spill
	scratch_store_dword off, v41, s32 offset:184 ; 4-byte Folded Spill
	;; [unrolled: 1-line block ×47, first 2 shown]
	scratch_store_dword off, a63, s32       ; 4-byte Folded Spill
	s_mov_b32 s10, s13
	s_ashr_i32 s11, s13, 31
	scratch_store_dwordx2 off, v[0:1], s32 offset:284 ; 8-byte Folded Spill
	v_lshl_add_u64 v[0:1], s[10:11], 2, v[12:13]
	flat_load_dword v27, v[0:1]
	v_sub_u32_e32 v0, 0, v8
	v_max_i32_e32 v0, v8, v0
	v_cvt_f32_u32_e32 v1, v0
	scratch_store_dword off, v9, s32 offset:276 ; 4-byte Folded Spill
	s_load_dword s0, s[8:9], 0x10
	s_load_dword s2, s[8:9], 0x0
	v_mov_b32_e32 v29, v7
	v_rcp_iflag_f32_e32 v1, v1
	v_sub_u32_e32 v7, 0, v0
	s_waitcnt lgkmcnt(0)
	s_lshr_b32 s0, s0, 16
	s_cmp_lg_u32 s0, 0
	v_mul_f32_e32 v1, 0x4f7ffffe, v1
	v_cvt_u32_f32_e32 v1, v1
	s_cselect_b64 s[0:1], -1, 0
	s_cmp_lg_u64 s[0:1], 0
	s_addc_u32 s11, s2, 0
	v_mul_lo_u32 v7, v7, v1
	v_mul_hi_u32 v7, v1, v7
	s_abs_i32 s0, s11
	v_add_u32_e32 v1, v1, v7
	v_mul_hi_u32 v1, s0, v1
	v_mul_lo_u32 v7, v1, v0
	v_sub_u32_e32 v7, s0, v7
	v_mov_b32_e32 v28, v6
	v_xor_b32_e32 v6, s11, v8
	v_add_u32_e32 v8, 1, v1
	v_cmp_ge_u32_e32 vcc, v7, v0
	v_ashrrev_i32_e32 v6, 31, v6
	v_mov_b32_e32 v25, v16
	v_cndmask_b32_e32 v1, v1, v8, vcc
	v_sub_u32_e32 v8, v7, v0
	v_cndmask_b32_e32 v7, v7, v8, vcc
	v_add_u32_e32 v8, 1, v1
	v_cmp_ge_u32_e32 vcc, v7, v0
	v_mov_b32_e32 v24, v15
	v_accvgpr_write_b32 a18, v20
	v_cndmask_b32_e32 v0, v1, v8, vcc
	v_xor_b32_e32 v0, v0, v6
	v_sub_u32_e32 v0, v0, v6
	v_sub_u32_e32 v1, 0, v0
	v_max_i32_e32 v1, v0, v1
	v_cvt_f32_u32_e32 v6, v1
	v_sub_u32_e32 v7, 0, v1
	s_abs_i32 s2, s12
	v_accvgpr_write_b32 a19, v21
	v_rcp_iflag_f32_e32 v6, v6
	v_accvgpr_write_b32 a4, v18
	s_mov_b32 s16, s15
	v_cmp_ne_u64_e32 vcc, 0, v[24:25]
	v_mul_f32_e32 v6, 0x4f7ffffe, v6
	v_cvt_u32_f32_e32 v6, v6
	v_mul_lo_u32 v7, v7, v6
	v_mul_hi_u32 v7, v6, v7
	v_add_u32_e32 v6, v6, v7
	v_mad_u64_u32 v[12:13], s[0:1], s2, v6, 0
	v_mov_b32_e32 v6, 0
	scratch_store_dword off, v6, s32 offset:272 ; 4-byte Folded Spill
	s_and_saveexec_b64 s[0:1], vcc
	s_cbranch_execz .LBB324_2
; %bb.1:
	s_ashr_i32 s13, s12, 31
	v_lshl_add_u64 v[6:7], s[12:13], 2, v[24:25]
	flat_load_dword v6, v[6:7]
	s_waitcnt vmcnt(0) lgkmcnt(0)
	scratch_store_dword off, v6, s32 offset:272 ; 4-byte Folded Spill
.LBB324_2:
	s_or_b64 exec, exec, s[0:1]
	v_and_b32_e32 v15, 0x3ff, v31
	s_movk_i32 s0, 0x80
	s_ashr_i32 s3, s12, 31
	v_ashrrev_i32_e32 v6, 31, v0
	v_and_b32_e32 v0, 3, v15
	s_lshl_b32 s12, s12, 8
	v_cmp_gt_u32_e32 vcc, s0, v15
	s_and_saveexec_b64 s[0:1], vcc
	s_cbranch_execz .LBB324_4
; %bb.3:
	v_mul_lo_u32 v8, s10, v17
	v_ashrrev_i32_e32 v9, 31, v8
	v_lshl_add_u64 v[2:3], v[8:9], 1, v[2:3]
	s_ashr_i32 s13, s12, 31
	v_lshl_add_u64 v[2:3], s[12:13], 1, v[2:3]
	v_lshlrev_b32_e32 v8, 2, v15
	v_mov_b32_e32 v9, 0
	v_lshl_add_u64 v[2:3], v[2:3], 0, v[8:9]
	flat_load_dword v2, v[2:3]
	v_and_b32_e32 v3, 0x3fc, v15
	v_lshl_add_u32 v3, v0, 7, v3
	s_waitcnt vmcnt(0) lgkmcnt(0)
	ds_write_b32 v3, v2
.LBB324_4:
	s_or_b64 exec, exec, s[0:1]
	s_waitcnt vmcnt(0)
	v_add_u32_e32 v2, 15, v27
	v_ashrrev_i32_e32 v3, 31, v2
	v_lshrrev_b32_e32 v3, 28, v3
	v_add_u32_e32 v2, v2, v3
	v_mul_lo_u32 v3, v13, v1
	v_sub_u32_e32 v3, s2, v3
	v_ashrrev_i32_e32 v8, 4, v2
	v_xor_b32_e32 v2, s3, v6
	v_add_u32_e32 v6, 1, v13
	v_cmp_ge_u32_e32 vcc, v3, v1
	v_sub_u32_e32 v7, v3, v1
	v_lshrrev_b32_e32 v9, 6, v15
	v_cndmask_b32_e32 v6, v13, v6, vcc
	v_cndmask_b32_e32 v3, v3, v7, vcc
	v_add_u32_e32 v7, 1, v6
	v_cmp_ge_u32_e32 vcc, v3, v1
	v_mul_lo_u32 v34, s10, v14
	v_ashrrev_i32_e32 v35, 31, v34
	v_cndmask_b32_e32 v1, v6, v7, vcc
	v_xor_b32_e32 v1, v1, v2
	v_sub_u32_e32 v2, v1, v2
	v_cmp_lt_i32_e64 s[0:1], v9, v8
	v_accvgpr_write_b32 a5, v9
	v_cmp_ge_i32_e32 vcc, v9, v8
	v_mbcnt_lo_u32_b32 v1, -1, 0
	s_waitcnt lgkmcnt(0)
	s_barrier
	scratch_store_dword off, v8, s32 offset:192 ; 4-byte Folded Spill
                                        ; implicit-def: $sgpr4
                                        ; implicit-def: $vgpr16
                                        ; implicit-def: $vgpr17
	s_and_saveexec_b64 s[2:3], vcc
	s_xor_b64 s[2:3], exec, s[2:3]
; %bb.5:
	v_mbcnt_hi_u32_b32 v16, -1, v1
	v_and_b32_e32 v0, 64, v16
	v_add_u32_e32 v17, 64, v0
                                        ; implicit-def: $vgpr0
	s_mov_b32 s4, 0xff7fffff
                                        ; kill: killed $vgpr0
                                        ; implicit-def: $vgpr0
                                        ; kill: killed $vgpr0
                                        ; implicit-def: $agpr18
                                        ; implicit-def: $vgpr4
                                        ; implicit-def: $vgpr0
                                        ; implicit-def: $vgpr1
; %bb.6:
	s_or_saveexec_b64 s[6:7], s[2:3]
	s_load_dword s15, s[8:9], 0x14
	s_load_dword s13, s[8:9], 0x8
	v_mul_lo_u32 v36, v2, v19
	v_mov_b32_e32 v3, s4
	v_ashrrev_i32_e32 v37, 31, v36
	v_lshrrev_b32_e32 v25, 4, v15
	scratch_store_dword off, v15, s32 offset:280 ; 4-byte Folded Spill
	s_xor_b64 exec, exec, s[6:7]
	s_cbranch_execz .LBB324_268
; %bb.7:
	scratch_store_dwordx2 off, v[28:29], s32 offset:320 ; 8-byte Folded Spill
	scratch_store_dwordx2 off, v[22:23], s32 offset:328 ; 8-byte Folded Spill
	v_lshlrev_b32_e32 v2, 7, v0
	ds_read_b128 v[6:9], v2
	ds_read_b128 v[28:31], v2 offset:16
	v_mov_b32_e32 v22, v15
	ds_read_b128 v[14:17], v2 offset:32
	ds_read_b128 v[18:21], v2 offset:48
	v_mbcnt_hi_u32_b32 v1, -1, v1
	s_waitcnt lgkmcnt(0)
	v_lshlrev_b32_e32 v3, 16, v6
	scratch_store_dword off, v3, s32 offset:200 ; 4-byte Folded Spill
	v_and_b32_e32 v3, 0xffff0000, v6
	scratch_store_dword off, v3, s32 offset:204 ; 4-byte Folded Spill
	v_lshlrev_b32_e32 v3, 16, v7
	scratch_store_dword off, v3, s32 offset:208 ; 4-byte Folded Spill
	v_and_b32_e32 v3, 0xffff0000, v7
	scratch_store_dword off, v3, s32 offset:212 ; 4-byte Folded Spill
	;; [unrolled: 4-line block ×9, first 2 shown]
	v_lshlrev_b32_e32 v3, 16, v15
	v_accvgpr_write_b32 a40, v3
	v_and_b32_e32 v3, 0xffff0000, v15
	v_accvgpr_write_b32 a41, v3
	v_lshlrev_b32_e32 v3, 16, v16
	v_accvgpr_write_b32 a42, v3
	v_and_b32_e32 v3, 0xffff0000, v16
	v_accvgpr_write_b32 a43, v3
	;; [unrolled: 4-line block ×4, first 2 shown]
	v_lshlrev_b32_e32 v3, 16, v19
	v_accvgpr_write_b32 a48, v3
	v_and_b32_e32 v3, 0xffff0000, v19
	ds_read_b128 v[6:9], v2 offset:64
	ds_read_b128 v[12:15], v2 offset:80
	v_accvgpr_write_b32 a49, v3
	v_lshlrev_b32_e32 v3, 16, v20
	v_accvgpr_write_b32 a50, v3
	v_and_b32_e32 v3, 0xffff0000, v20
	v_accvgpr_write_b32 a51, v3
	v_lshlrev_b32_e32 v3, 16, v21
	v_accvgpr_write_b32 a52, v3
	v_and_b32_e32 v3, 0xffff0000, v21
	v_accvgpr_write_b32 a53, v3
	s_waitcnt lgkmcnt(1)
	v_lshlrev_b32_e32 v3, 16, v6
	v_accvgpr_write_b32 a54, v3
	v_and_b32_e32 v3, 0xffff0000, v6
	v_accvgpr_write_b32 a55, v3
	v_lshlrev_b32_e32 v3, 16, v7
	v_accvgpr_write_b32 a56, v3
	v_and_b32_e32 v3, 0xffff0000, v7
	v_accvgpr_write_b32 a57, v3
	;; [unrolled: 4-line block ×4, first 2 shown]
	s_waitcnt lgkmcnt(0)
	v_lshlrev_b32_e32 v3, 16, v12
	v_accvgpr_write_b32 a62, v3
	v_and_b32_e32 v3, 0xffff0000, v12
	v_accvgpr_write_b32 a63, v3
	v_lshlrev_b32_e32 v3, 16, v13
	v_accvgpr_write_b32 a0, v3
	v_and_b32_e32 v3, 0xffff0000, v13
	v_accvgpr_write_b32 a1, v3
	;; [unrolled: 4-line block ×3, first 2 shown]
	v_lshlrev_b32_e32 v3, 16, v15
	v_accvgpr_write_b32 a17, v3
	v_and_b32_e32 v3, 0xffff0000, v15
	ds_read_b128 v[6:9], v2 offset:96
	ds_read_b128 v[12:15], v2 offset:112
	v_accvgpr_write_b32 a21, v3
	v_cmp_eq_u32_e32 vcc, 0, v0
	s_ashr_i32 s17, s16, 31
	s_waitcnt lgkmcnt(1)
	v_lshlrev_b32_e32 v2, 16, v6
	v_accvgpr_write_b32 a20, v2
	v_and_b32_e32 v2, 0xffff0000, v6
	v_accvgpr_write_b32 a14, v2
	v_lshlrev_b32_e32 v2, 16, v7
	v_accvgpr_write_b32 a12, v2
	v_and_b32_e32 v2, 0xffff0000, v7
	v_accvgpr_write_b32 a13, v2
	v_lshlrev_b32_e32 v2, 16, v8
	v_accvgpr_write_b32 a10, v2
	v_and_b32_e32 v2, 0xffff0000, v8
	v_accvgpr_write_b32 a11, v2
	v_lshlrev_b32_e32 v2, 16, v9
	v_accvgpr_write_b32 a8, v2
	v_and_b32_e32 v2, 0xffff0000, v9
	v_accvgpr_write_b32 a9, v2
	s_waitcnt lgkmcnt(0)
	v_lshlrev_b32_e32 v2, 16, v12
	v_accvgpr_write_b32 a6, v2
	v_and_b32_e32 v2, 0xffff0000, v12
	v_accvgpr_write_b32 a7, v2
	v_lshlrev_b32_e32 v2, 16, v13
	v_accvgpr_write_b32 a3, v2
	v_and_b32_e32 v2, 0xffff0000, v13
	v_accvgpr_write_b32 a22, v2
	;; [unrolled: 4-line block ×3, first 2 shown]
	v_lshlrev_b32_e32 v2, 16, v15
	v_accvgpr_write_b32 a25, v2
	v_and_b32_e32 v2, 0xffff0000, v15
	v_bfe_u32 v6, v22, 2, 4
	v_accvgpr_write_b32 a26, v2
	v_lshl_add_u64 v[2:3], v[4:5], 0, v[36:37]
	v_lshlrev_b32_e32 v4, 4, v6
	v_mov_b32_e32 v5, 0
	v_lshl_add_u64 v[2:3], v[2:3], 0, v[4:5]
	v_accvgpr_write_b32 a29, v3
	v_lshlrev_b32_e32 v4, 1, v0
	v_and_b32_e32 v0, 64, v1
	v_accvgpr_write_b32 a28, v2
	v_add_u32_e32 v2, 64, v0
	v_xor_b32_e32 v0, 2, v1
	v_cmp_lt_i32_e64 s[2:3], v0, v2
	scratch_store_dword off, v1, s32 offset:304 ; 4-byte Folded Spill
	s_lshl_b64 s[4:5], s[16:17], 2
	v_cndmask_b32_e64 v0, v1, v0, s[2:3]
	v_lshlrev_b32_e32 v0, 2, v0
	v_accvgpr_write_b32 a27, v0
	v_xor_b32_e32 v0, 1, v1
	v_cmp_lt_i32_e64 s[2:3], v0, v2
	s_getpc_b64 s[8:9]
	s_add_u32 s8, s8, llvm.amdgcn.dynlds.offset.table@rel32@lo+4
	s_addc_u32 s9, s9, llvm.amdgcn.dynlds.offset.table@rel32@hi+12
	v_cndmask_b32_e64 v0, v1, v0, s[2:3]
	v_lshlrev_b32_e32 v0, 2, v0
	v_accvgpr_write_b32 a30, v0
	scratch_load_dword v0, off, s32 offset:272 ; 4-byte Folded Reload
	v_mov_b32_e32 v1, v5
	s_add_u32 s8, s4, s8
	v_accvgpr_read_b32 v29, a5
	s_addc_u32 s9, s5, s9
	v_lshl_or_b32 v54, v29, 4, v6
	s_mov_b64 s[18:19], 0
	s_mov_b32 s17, 0xffff
	s_mov_b32 s22, 0x7f800000
	s_movk_i32 s23, 0x7fff
	scratch_store_dwordx2 off, v[36:37], s32 offset:292 ; 8-byte Folded Spill
	scratch_store_dword off, v2, s32 offset:300 ; 4-byte Folded Spill
	scratch_store_dword off, v25, s32 offset:308 ; 4-byte Folded Spill
	scratch_store_dwordx2 off, v[34:35], s32 offset:312 ; 8-byte Folded Spill
	scratch_store_dwordx2 off, v[10:11], s32 offset:336 ; 8-byte Folded Spill
	s_waitcnt vmcnt(5)
	v_cmp_neq_f32_e64 s[2:3], 0, v0
	v_and_b32_e32 v0, 60, v25
	v_lshl_add_u64 v[0:1], v[34:35], 2, v[0:1]
	v_lshl_add_u64 v[14:15], v[10:11], 0, v[0:1]
	v_lshlrev_b32_e32 v0, 2, v6
	v_lshl_or_b32 v55, v29, 6, v0
	v_mov_b32_e32 v0, 0xff7fffff
	scratch_store_dword off, v0, s32 offset:196 ; 4-byte Folded Spill
	s_branch .LBB324_9
.LBB324_8:                              ;   in Loop: Header=BB324_9 Depth=1
	s_or_b64 exec, exec, s[20:21]
	scratch_load_dword v0, off, s32 offset:192 ; 4-byte Folded Reload
	v_add_u32_e32 v29, 2, v29
	v_lshl_add_u64 v[14:15], v[14:15], 0, 8
	v_add_u32_e32 v54, 32, v54
	v_add_u32_e32 v55, 0x80, v55
	s_waitcnt vmcnt(0)
	v_cmp_ge_i32_e64 s[4:5], v29, v0
	s_or_b64 s[18:19], s[4:5], s[18:19]
	s_andn2_b64 exec, exec, s[18:19]
	s_cbranch_execz .LBB324_267
.LBB324_9:                              ; =>This Inner Loop Header: Depth=1
	flat_load_dword v0, v[14:15]
	v_accvgpr_read_b32 v6, a28
	v_accvgpr_read_b32 v2, a4
	;; [unrolled: 1-line block ×3, first 2 shown]
                                        ; implicit-def: $vgpr9
	s_waitcnt vmcnt(0) lgkmcnt(0)
	v_mad_i64_i32 v[0:1], s[4:5], v0, v2, v[6:7]
	v_lshl_add_u64 v[16:17], v[0:1], 0, v[4:5]
	flat_load_ushort v0, v[16:17]
	v_accvgpr_read_b32 v2, a18
	v_accvgpr_read_b32 v3, a19
	flat_load_dword v44, v[2:3]
	s_waitcnt vmcnt(0) lgkmcnt(0)
	v_and_b32_sdwa v1, s17, v0 dst_sel:DWORD dst_unused:UNUSED_PAD src0_sel:DWORD src1_sel:BYTE_0
	v_cvt_f32_fp8_sdwa v1, v1 src0_sel:BYTE_0
	s_nop 0
	v_mul_f32_e32 v1, v44, v1
	v_and_b32_e32 v2, 0x7f800000, v1
	v_cmp_ne_u32_e64 s[4:5], s22, v2
	s_and_saveexec_b64 s[20:21], s[4:5]
	s_xor_b64 s[4:5], exec, s[20:21]
; %bb.10:                               ;   in Loop: Header=BB324_9 Depth=1
	v_bfe_u32 v2, v1, 16, 1
	v_add3_u32 v9, v1, v2, s23
                                        ; implicit-def: $vgpr1
; %bb.11:                               ;   in Loop: Header=BB324_9 Depth=1
	s_andn2_saveexec_b64 s[20:21], s[4:5]
; %bb.12:                               ;   in Loop: Header=BB324_9 Depth=1
	v_or_b32_e32 v2, 0x10000, v1
	v_cmp_eq_u32_sdwa s[4:5], v1, v5 src0_sel:WORD_0 src1_sel:DWORD
	s_nop 1
	v_cndmask_b32_e64 v9, v2, v1, s[4:5]
; %bb.13:                               ;   in Loop: Header=BB324_9 Depth=1
	s_or_b64 exec, exec, s[20:21]
	v_lshrrev_b16_e32 v0, 8, v0
	v_cvt_f32_fp8_sdwa v0, v0 src0_sel:BYTE_0
                                        ; implicit-def: $vgpr60
	s_nop 0
	v_mul_f32_e32 v0, v44, v0
	v_and_b32_e32 v1, 0x7f800000, v0
	v_cmp_ne_u32_e64 s[4:5], s22, v1
	s_and_saveexec_b64 s[20:21], s[4:5]
	s_xor_b64 s[4:5], exec, s[20:21]
; %bb.14:                               ;   in Loop: Header=BB324_9 Depth=1
	v_bfe_u32 v1, v0, 16, 1
	v_add3_u32 v60, v0, v1, s23
                                        ; implicit-def: $vgpr0
; %bb.15:                               ;   in Loop: Header=BB324_9 Depth=1
	s_andn2_saveexec_b64 s[20:21], s[4:5]
; %bb.16:                               ;   in Loop: Header=BB324_9 Depth=1
	v_or_b32_e32 v1, 0x10000, v0
	v_cmp_eq_u32_sdwa s[4:5], v0, v5 src0_sel:WORD_0 src1_sel:DWORD
	s_nop 1
	v_cndmask_b32_e64 v60, v1, v0, s[4:5]
; %bb.17:                               ;   in Loop: Header=BB324_9 Depth=1
	s_or_b64 exec, exec, s[20:21]
	flat_load_ushort v0, v[16:17] offset:8
                                        ; implicit-def: $agpr31
	s_waitcnt vmcnt(0) lgkmcnt(0)
	v_and_b32_sdwa v1, s17, v0 dst_sel:DWORD dst_unused:UNUSED_PAD src0_sel:DWORD src1_sel:BYTE_0
	v_cvt_f32_fp8_sdwa v1, v1 src0_sel:BYTE_0
	s_nop 0
	v_mul_f32_e32 v1, v44, v1
	v_and_b32_e32 v2, 0x7f800000, v1
	v_cmp_ne_u32_e64 s[4:5], s22, v2
	s_and_saveexec_b64 s[20:21], s[4:5]
	s_xor_b64 s[4:5], exec, s[20:21]
; %bb.18:                               ;   in Loop: Header=BB324_9 Depth=1
	v_bfe_u32 v2, v1, 16, 1
	v_add3_u32 v1, v1, v2, s23
	v_accvgpr_write_b32 a31, v1
                                        ; implicit-def: $vgpr1
; %bb.19:                               ;   in Loop: Header=BB324_9 Depth=1
	s_andn2_saveexec_b64 s[20:21], s[4:5]
; %bb.20:                               ;   in Loop: Header=BB324_9 Depth=1
	v_or_b32_e32 v2, 0x10000, v1
	v_cmp_eq_u32_sdwa s[4:5], v1, v5 src0_sel:WORD_0 src1_sel:DWORD
	s_nop 1
	v_cndmask_b32_e64 v1, v2, v1, s[4:5]
	v_accvgpr_write_b32 a31, v1
; %bb.21:                               ;   in Loop: Header=BB324_9 Depth=1
	s_or_b64 exec, exec, s[20:21]
	v_lshrrev_b16_e32 v0, 8, v0
	v_cvt_f32_fp8_sdwa v0, v0 src0_sel:BYTE_0
                                        ; implicit-def: $agpr32
	s_nop 0
	v_mul_f32_e32 v0, v44, v0
	v_and_b32_e32 v1, 0x7f800000, v0
	v_cmp_ne_u32_e64 s[4:5], s22, v1
	s_and_saveexec_b64 s[20:21], s[4:5]
	s_xor_b64 s[4:5], exec, s[20:21]
; %bb.22:                               ;   in Loop: Header=BB324_9 Depth=1
	v_bfe_u32 v1, v0, 16, 1
	v_add3_u32 v0, v0, v1, s23
	v_accvgpr_write_b32 a32, v0
                                        ; implicit-def: $vgpr0
; %bb.23:                               ;   in Loop: Header=BB324_9 Depth=1
	s_andn2_saveexec_b64 s[20:21], s[4:5]
; %bb.24:                               ;   in Loop: Header=BB324_9 Depth=1
	v_or_b32_e32 v1, 0x10000, v0
	v_cmp_eq_u32_sdwa s[4:5], v0, v5 src0_sel:WORD_0 src1_sel:DWORD
	s_nop 1
	v_cndmask_b32_e64 v0, v1, v0, s[4:5]
	v_accvgpr_write_b32 a32, v0
; %bb.25:                               ;   in Loop: Header=BB324_9 Depth=1
	s_or_b64 exec, exec, s[20:21]
	flat_load_ushort v0, v[16:17] offset:256
                                        ; implicit-def: $agpr33
	s_waitcnt vmcnt(0) lgkmcnt(0)
	v_and_b32_sdwa v1, s17, v0 dst_sel:DWORD dst_unused:UNUSED_PAD src0_sel:DWORD src1_sel:BYTE_0
	v_cvt_f32_fp8_sdwa v1, v1 src0_sel:BYTE_0
	s_nop 0
	v_mul_f32_e32 v1, v44, v1
	v_and_b32_e32 v2, 0x7f800000, v1
	v_cmp_ne_u32_e64 s[4:5], s22, v2
	s_and_saveexec_b64 s[20:21], s[4:5]
	s_xor_b64 s[4:5], exec, s[20:21]
; %bb.26:                               ;   in Loop: Header=BB324_9 Depth=1
	v_bfe_u32 v2, v1, 16, 1
	v_add3_u32 v1, v1, v2, s23
	v_accvgpr_write_b32 a33, v1
                                        ; implicit-def: $vgpr1
; %bb.27:                               ;   in Loop: Header=BB324_9 Depth=1
	s_andn2_saveexec_b64 s[20:21], s[4:5]
; %bb.28:                               ;   in Loop: Header=BB324_9 Depth=1
	v_or_b32_e32 v2, 0x10000, v1
	v_cmp_eq_u32_sdwa s[4:5], v1, v5 src0_sel:WORD_0 src1_sel:DWORD
	s_nop 1
	v_cndmask_b32_e64 v1, v2, v1, s[4:5]
	v_accvgpr_write_b32 a33, v1
; %bb.29:                               ;   in Loop: Header=BB324_9 Depth=1
	s_or_b64 exec, exec, s[20:21]
	v_lshrrev_b16_e32 v0, 8, v0
	v_cvt_f32_fp8_sdwa v0, v0 src0_sel:BYTE_0
                                        ; implicit-def: $agpr34
	s_nop 0
	v_mul_f32_e32 v0, v44, v0
	v_and_b32_e32 v1, 0x7f800000, v0
	v_cmp_ne_u32_e64 s[4:5], s22, v1
	s_and_saveexec_b64 s[20:21], s[4:5]
	s_xor_b64 s[4:5], exec, s[20:21]
; %bb.30:                               ;   in Loop: Header=BB324_9 Depth=1
	v_bfe_u32 v1, v0, 16, 1
	v_add3_u32 v0, v0, v1, s23
	v_accvgpr_write_b32 a34, v0
                                        ; implicit-def: $vgpr0
; %bb.31:                               ;   in Loop: Header=BB324_9 Depth=1
	s_andn2_saveexec_b64 s[20:21], s[4:5]
; %bb.32:                               ;   in Loop: Header=BB324_9 Depth=1
	v_or_b32_e32 v1, 0x10000, v0
	v_cmp_eq_u32_sdwa s[4:5], v0, v5 src0_sel:WORD_0 src1_sel:DWORD
	s_nop 1
	v_cndmask_b32_e64 v0, v1, v0, s[4:5]
	v_accvgpr_write_b32 a34, v0
; %bb.33:                               ;   in Loop: Header=BB324_9 Depth=1
	s_or_b64 exec, exec, s[20:21]
	flat_load_ushort v0, v[16:17] offset:264
                                        ; implicit-def: $agpr15
	s_waitcnt vmcnt(0) lgkmcnt(0)
	v_and_b32_sdwa v1, s17, v0 dst_sel:DWORD dst_unused:UNUSED_PAD src0_sel:DWORD src1_sel:BYTE_0
	v_cvt_f32_fp8_sdwa v1, v1 src0_sel:BYTE_0
	s_nop 0
	v_mul_f32_e32 v1, v44, v1
	v_and_b32_e32 v2, 0x7f800000, v1
	v_cmp_ne_u32_e64 s[4:5], s22, v2
	s_and_saveexec_b64 s[20:21], s[4:5]
	s_xor_b64 s[4:5], exec, s[20:21]
; %bb.34:                               ;   in Loop: Header=BB324_9 Depth=1
	v_bfe_u32 v2, v1, 16, 1
	v_add3_u32 v1, v1, v2, s23
	v_accvgpr_write_b32 a15, v1
                                        ; implicit-def: $vgpr1
; %bb.35:                               ;   in Loop: Header=BB324_9 Depth=1
	s_andn2_saveexec_b64 s[20:21], s[4:5]
; %bb.36:                               ;   in Loop: Header=BB324_9 Depth=1
	v_or_b32_e32 v2, 0x10000, v1
	v_cmp_eq_u32_sdwa s[4:5], v1, v5 src0_sel:WORD_0 src1_sel:DWORD
	s_nop 1
	v_cndmask_b32_e64 v1, v2, v1, s[4:5]
	v_accvgpr_write_b32 a15, v1
; %bb.37:                               ;   in Loop: Header=BB324_9 Depth=1
	s_or_b64 exec, exec, s[20:21]
	v_lshrrev_b16_e32 v0, 8, v0
	v_cvt_f32_fp8_sdwa v0, v0 src0_sel:BYTE_0
                                        ; implicit-def: $agpr35
	s_nop 0
	v_mul_f32_e32 v0, v44, v0
	v_and_b32_e32 v1, 0x7f800000, v0
	v_cmp_ne_u32_e64 s[4:5], s22, v1
	s_and_saveexec_b64 s[20:21], s[4:5]
	s_xor_b64 s[4:5], exec, s[20:21]
; %bb.38:                               ;   in Loop: Header=BB324_9 Depth=1
	v_bfe_u32 v1, v0, 16, 1
	v_add3_u32 v0, v0, v1, s23
	v_accvgpr_write_b32 a35, v0
                                        ; implicit-def: $vgpr0
; %bb.39:                               ;   in Loop: Header=BB324_9 Depth=1
	s_andn2_saveexec_b64 s[20:21], s[4:5]
; %bb.40:                               ;   in Loop: Header=BB324_9 Depth=1
	v_or_b32_e32 v1, 0x10000, v0
	v_cmp_eq_u32_sdwa s[4:5], v0, v5 src0_sel:WORD_0 src1_sel:DWORD
	s_nop 1
	v_cndmask_b32_e64 v0, v1, v0, s[4:5]
	v_accvgpr_write_b32 a35, v0
; %bb.41:                               ;   in Loop: Header=BB324_9 Depth=1
	s_or_b64 exec, exec, s[20:21]
	flat_load_ushort v0, v[16:17] offset:512
                                        ; implicit-def: $agpr36
	s_waitcnt vmcnt(0) lgkmcnt(0)
	v_and_b32_sdwa v1, s17, v0 dst_sel:DWORD dst_unused:UNUSED_PAD src0_sel:DWORD src1_sel:BYTE_0
	v_cvt_f32_fp8_sdwa v1, v1 src0_sel:BYTE_0
	s_nop 0
	v_mul_f32_e32 v1, v44, v1
	v_and_b32_e32 v2, 0x7f800000, v1
	v_cmp_ne_u32_e64 s[4:5], s22, v2
	s_and_saveexec_b64 s[20:21], s[4:5]
	s_xor_b64 s[4:5], exec, s[20:21]
; %bb.42:                               ;   in Loop: Header=BB324_9 Depth=1
	v_bfe_u32 v2, v1, 16, 1
	v_add3_u32 v1, v1, v2, s23
	v_accvgpr_write_b32 a36, v1
                                        ; implicit-def: $vgpr1
; %bb.43:                               ;   in Loop: Header=BB324_9 Depth=1
	s_andn2_saveexec_b64 s[20:21], s[4:5]
; %bb.44:                               ;   in Loop: Header=BB324_9 Depth=1
	v_or_b32_e32 v2, 0x10000, v1
	v_cmp_eq_u32_sdwa s[4:5], v1, v5 src0_sel:WORD_0 src1_sel:DWORD
	s_nop 1
	v_cndmask_b32_e64 v1, v2, v1, s[4:5]
	v_accvgpr_write_b32 a36, v1
; %bb.45:                               ;   in Loop: Header=BB324_9 Depth=1
	s_or_b64 exec, exec, s[20:21]
	v_lshrrev_b16_e32 v0, 8, v0
	v_cvt_f32_fp8_sdwa v0, v0 src0_sel:BYTE_0
                                        ; implicit-def: $agpr37
	s_nop 0
	v_mul_f32_e32 v0, v44, v0
	v_and_b32_e32 v1, 0x7f800000, v0
	v_cmp_ne_u32_e64 s[4:5], s22, v1
	s_and_saveexec_b64 s[20:21], s[4:5]
	s_xor_b64 s[4:5], exec, s[20:21]
; %bb.46:                               ;   in Loop: Header=BB324_9 Depth=1
	v_bfe_u32 v1, v0, 16, 1
	v_add3_u32 v0, v0, v1, s23
	v_accvgpr_write_b32 a37, v0
                                        ; implicit-def: $vgpr0
; %bb.47:                               ;   in Loop: Header=BB324_9 Depth=1
	s_andn2_saveexec_b64 s[20:21], s[4:5]
; %bb.48:                               ;   in Loop: Header=BB324_9 Depth=1
	v_or_b32_e32 v1, 0x10000, v0
	v_cmp_eq_u32_sdwa s[4:5], v0, v5 src0_sel:WORD_0 src1_sel:DWORD
	s_nop 1
	v_cndmask_b32_e64 v0, v1, v0, s[4:5]
	v_accvgpr_write_b32 a37, v0
; %bb.49:                               ;   in Loop: Header=BB324_9 Depth=1
	s_or_b64 exec, exec, s[20:21]
	flat_load_ushort v0, v[16:17] offset:520
                                        ; implicit-def: $agpr38
	s_waitcnt vmcnt(0) lgkmcnt(0)
	v_and_b32_sdwa v1, s17, v0 dst_sel:DWORD dst_unused:UNUSED_PAD src0_sel:DWORD src1_sel:BYTE_0
	v_cvt_f32_fp8_sdwa v1, v1 src0_sel:BYTE_0
	s_nop 0
	v_mul_f32_e32 v1, v44, v1
	v_and_b32_e32 v2, 0x7f800000, v1
	v_cmp_ne_u32_e64 s[4:5], s22, v2
	s_and_saveexec_b64 s[20:21], s[4:5]
	s_xor_b64 s[4:5], exec, s[20:21]
; %bb.50:                               ;   in Loop: Header=BB324_9 Depth=1
	v_bfe_u32 v2, v1, 16, 1
	v_add3_u32 v1, v1, v2, s23
	v_accvgpr_write_b32 a38, v1
                                        ; implicit-def: $vgpr1
; %bb.51:                               ;   in Loop: Header=BB324_9 Depth=1
	s_andn2_saveexec_b64 s[20:21], s[4:5]
; %bb.52:                               ;   in Loop: Header=BB324_9 Depth=1
	v_or_b32_e32 v2, 0x10000, v1
	v_cmp_eq_u32_sdwa s[4:5], v1, v5 src0_sel:WORD_0 src1_sel:DWORD
	s_nop 1
	v_cndmask_b32_e64 v1, v2, v1, s[4:5]
	v_accvgpr_write_b32 a38, v1
; %bb.53:                               ;   in Loop: Header=BB324_9 Depth=1
	s_or_b64 exec, exec, s[20:21]
	v_lshrrev_b16_e32 v0, 8, v0
	v_cvt_f32_fp8_sdwa v0, v0 src0_sel:BYTE_0
                                        ; implicit-def: $agpr39
	s_nop 0
	v_mul_f32_e32 v0, v44, v0
	v_and_b32_e32 v1, 0x7f800000, v0
	v_cmp_ne_u32_e64 s[4:5], s22, v1
	s_and_saveexec_b64 s[20:21], s[4:5]
	s_xor_b64 s[4:5], exec, s[20:21]
; %bb.54:                               ;   in Loop: Header=BB324_9 Depth=1
	v_bfe_u32 v1, v0, 16, 1
	v_add3_u32 v0, v0, v1, s23
	v_accvgpr_write_b32 a39, v0
                                        ; implicit-def: $vgpr0
; %bb.55:                               ;   in Loop: Header=BB324_9 Depth=1
	s_andn2_saveexec_b64 s[20:21], s[4:5]
; %bb.56:                               ;   in Loop: Header=BB324_9 Depth=1
	v_or_b32_e32 v1, 0x10000, v0
	v_cmp_eq_u32_sdwa s[4:5], v0, v5 src0_sel:WORD_0 src1_sel:DWORD
	s_nop 1
	v_cndmask_b32_e64 v0, v1, v0, s[4:5]
	v_accvgpr_write_b32 a39, v0
; %bb.57:                               ;   in Loop: Header=BB324_9 Depth=1
	s_or_b64 exec, exec, s[20:21]
	flat_load_ushort v0, v[16:17] offset:768
                                        ; implicit-def: $vgpr61
	s_waitcnt vmcnt(0) lgkmcnt(0)
	v_and_b32_sdwa v1, s17, v0 dst_sel:DWORD dst_unused:UNUSED_PAD src0_sel:DWORD src1_sel:BYTE_0
	v_cvt_f32_fp8_sdwa v1, v1 src0_sel:BYTE_0
	s_nop 0
	v_mul_f32_e32 v1, v44, v1
	v_and_b32_e32 v2, 0x7f800000, v1
	v_cmp_ne_u32_e64 s[4:5], s22, v2
	s_and_saveexec_b64 s[20:21], s[4:5]
	s_xor_b64 s[4:5], exec, s[20:21]
; %bb.58:                               ;   in Loop: Header=BB324_9 Depth=1
	v_bfe_u32 v2, v1, 16, 1
	v_add3_u32 v61, v1, v2, s23
                                        ; implicit-def: $vgpr1
; %bb.59:                               ;   in Loop: Header=BB324_9 Depth=1
	s_andn2_saveexec_b64 s[20:21], s[4:5]
; %bb.60:                               ;   in Loop: Header=BB324_9 Depth=1
	v_or_b32_e32 v2, 0x10000, v1
	v_cmp_eq_u32_sdwa s[4:5], v1, v5 src0_sel:WORD_0 src1_sel:DWORD
	s_nop 1
	v_cndmask_b32_e64 v61, v2, v1, s[4:5]
; %bb.61:                               ;   in Loop: Header=BB324_9 Depth=1
	s_or_b64 exec, exec, s[20:21]
	v_lshrrev_b16_e32 v0, 8, v0
	v_cvt_f32_fp8_sdwa v0, v0 src0_sel:BYTE_0
                                        ; implicit-def: $vgpr62
	s_nop 0
	v_mul_f32_e32 v0, v44, v0
	v_and_b32_e32 v1, 0x7f800000, v0
	v_cmp_ne_u32_e64 s[4:5], s22, v1
	s_and_saveexec_b64 s[20:21], s[4:5]
	s_xor_b64 s[4:5], exec, s[20:21]
; %bb.62:                               ;   in Loop: Header=BB324_9 Depth=1
	v_bfe_u32 v1, v0, 16, 1
	v_add3_u32 v62, v0, v1, s23
                                        ; implicit-def: $vgpr0
; %bb.63:                               ;   in Loop: Header=BB324_9 Depth=1
	s_andn2_saveexec_b64 s[20:21], s[4:5]
; %bb.64:                               ;   in Loop: Header=BB324_9 Depth=1
	v_or_b32_e32 v1, 0x10000, v0
	v_cmp_eq_u32_sdwa s[4:5], v0, v5 src0_sel:WORD_0 src1_sel:DWORD
	s_nop 1
	v_cndmask_b32_e64 v62, v1, v0, s[4:5]
; %bb.65:                               ;   in Loop: Header=BB324_9 Depth=1
	s_or_b64 exec, exec, s[20:21]
	flat_load_ushort v0, v[16:17] offset:776
                                        ; implicit-def: $vgpr63
	s_waitcnt vmcnt(0) lgkmcnt(0)
	v_and_b32_sdwa v1, s17, v0 dst_sel:DWORD dst_unused:UNUSED_PAD src0_sel:DWORD src1_sel:BYTE_0
	v_cvt_f32_fp8_sdwa v1, v1 src0_sel:BYTE_0
	s_nop 0
	v_mul_f32_e32 v1, v44, v1
	v_and_b32_e32 v2, 0x7f800000, v1
	v_cmp_ne_u32_e64 s[4:5], s22, v2
	s_and_saveexec_b64 s[20:21], s[4:5]
	s_xor_b64 s[4:5], exec, s[20:21]
; %bb.66:                               ;   in Loop: Header=BB324_9 Depth=1
	v_bfe_u32 v2, v1, 16, 1
	v_add3_u32 v63, v1, v2, s23
                                        ; implicit-def: $vgpr1
; %bb.67:                               ;   in Loop: Header=BB324_9 Depth=1
	s_andn2_saveexec_b64 s[20:21], s[4:5]
; %bb.68:                               ;   in Loop: Header=BB324_9 Depth=1
	v_or_b32_e32 v2, 0x10000, v1
	v_cmp_eq_u32_sdwa s[4:5], v1, v5 src0_sel:WORD_0 src1_sel:DWORD
	s_nop 1
	v_cndmask_b32_e64 v63, v2, v1, s[4:5]
; %bb.69:                               ;   in Loop: Header=BB324_9 Depth=1
	s_or_b64 exec, exec, s[20:21]
	v_lshrrev_b16_e32 v0, 8, v0
	v_cvt_f32_fp8_sdwa v0, v0 src0_sel:BYTE_0
                                        ; implicit-def: $vgpr8
	s_nop 0
	v_mul_f32_e32 v0, v44, v0
	v_and_b32_e32 v1, 0x7f800000, v0
	v_cmp_ne_u32_e64 s[4:5], s22, v1
	s_and_saveexec_b64 s[20:21], s[4:5]
	s_xor_b64 s[4:5], exec, s[20:21]
; %bb.70:                               ;   in Loop: Header=BB324_9 Depth=1
	v_bfe_u32 v1, v0, 16, 1
	v_add3_u32 v8, v0, v1, s23
                                        ; implicit-def: $vgpr0
; %bb.71:                               ;   in Loop: Header=BB324_9 Depth=1
	s_andn2_saveexec_b64 s[20:21], s[4:5]
; %bb.72:                               ;   in Loop: Header=BB324_9 Depth=1
	v_or_b32_e32 v1, 0x10000, v0
	v_cmp_eq_u32_sdwa s[4:5], v0, v5 src0_sel:WORD_0 src1_sel:DWORD
	s_nop 1
	v_cndmask_b32_e64 v8, v1, v0, s[4:5]
; %bb.73:                               ;   in Loop: Header=BB324_9 Depth=1
	s_or_b64 exec, exec, s[20:21]
	flat_load_ushort v0, v[16:17] offset:1024
	s_waitcnt vmcnt(0) lgkmcnt(0)
	v_and_b32_sdwa v1, s17, v0 dst_sel:DWORD dst_unused:UNUSED_PAD src0_sel:DWORD src1_sel:BYTE_0
	v_cvt_f32_fp8_sdwa v1, v1 src0_sel:BYTE_0
	s_nop 0
	v_mul_f32_e32 v1, v44, v1
	v_and_b32_e32 v2, 0x7f800000, v1
	v_cmp_ne_u32_e64 s[4:5], s22, v2
                                        ; implicit-def: $vgpr2
	s_and_saveexec_b64 s[20:21], s[4:5]
	s_xor_b64 s[4:5], exec, s[20:21]
; %bb.74:                               ;   in Loop: Header=BB324_9 Depth=1
	v_bfe_u32 v2, v1, 16, 1
	v_add3_u32 v2, v1, v2, s23
                                        ; implicit-def: $vgpr1
; %bb.75:                               ;   in Loop: Header=BB324_9 Depth=1
	s_andn2_saveexec_b64 s[20:21], s[4:5]
; %bb.76:                               ;   in Loop: Header=BB324_9 Depth=1
	v_or_b32_e32 v2, 0x10000, v1
	v_cmp_eq_u32_sdwa s[4:5], v1, v5 src0_sel:WORD_0 src1_sel:DWORD
	s_nop 1
	v_cndmask_b32_e64 v2, v2, v1, s[4:5]
; %bb.77:                               ;   in Loop: Header=BB324_9 Depth=1
	s_or_b64 exec, exec, s[20:21]
	v_lshrrev_b16_e32 v0, 8, v0
	v_cvt_f32_fp8_sdwa v0, v0 src0_sel:BYTE_0
                                        ; implicit-def: $vgpr3
	s_nop 0
	v_mul_f32_e32 v0, v44, v0
	v_and_b32_e32 v1, 0x7f800000, v0
	v_cmp_ne_u32_e64 s[4:5], s22, v1
	s_and_saveexec_b64 s[20:21], s[4:5]
	s_xor_b64 s[4:5], exec, s[20:21]
; %bb.78:                               ;   in Loop: Header=BB324_9 Depth=1
	v_bfe_u32 v1, v0, 16, 1
	v_add3_u32 v3, v0, v1, s23
                                        ; implicit-def: $vgpr0
; %bb.79:                               ;   in Loop: Header=BB324_9 Depth=1
	s_andn2_saveexec_b64 s[20:21], s[4:5]
; %bb.80:                               ;   in Loop: Header=BB324_9 Depth=1
	v_or_b32_e32 v1, 0x10000, v0
	v_cmp_eq_u32_sdwa s[4:5], v0, v5 src0_sel:WORD_0 src1_sel:DWORD
	s_nop 1
	v_cndmask_b32_e64 v3, v1, v0, s[4:5]
; %bb.81:                               ;   in Loop: Header=BB324_9 Depth=1
	s_or_b64 exec, exec, s[20:21]
	flat_load_ushort v0, v[16:17] offset:1032
                                        ; implicit-def: $vgpr24
	s_waitcnt vmcnt(0) lgkmcnt(0)
	v_and_b32_sdwa v1, s17, v0 dst_sel:DWORD dst_unused:UNUSED_PAD src0_sel:DWORD src1_sel:BYTE_0
	v_cvt_f32_fp8_sdwa v1, v1 src0_sel:BYTE_0
	s_nop 0
	v_mul_f32_e32 v1, v44, v1
	v_and_b32_e32 v6, 0x7f800000, v1
	v_cmp_ne_u32_e64 s[4:5], s22, v6
	s_and_saveexec_b64 s[20:21], s[4:5]
	s_xor_b64 s[4:5], exec, s[20:21]
; %bb.82:                               ;   in Loop: Header=BB324_9 Depth=1
	v_bfe_u32 v6, v1, 16, 1
	v_add3_u32 v24, v1, v6, s23
                                        ; implicit-def: $vgpr1
; %bb.83:                               ;   in Loop: Header=BB324_9 Depth=1
	s_andn2_saveexec_b64 s[20:21], s[4:5]
; %bb.84:                               ;   in Loop: Header=BB324_9 Depth=1
	v_or_b32_e32 v6, 0x10000, v1
	v_cmp_eq_u32_sdwa s[4:5], v1, v5 src0_sel:WORD_0 src1_sel:DWORD
	s_nop 1
	v_cndmask_b32_e64 v24, v6, v1, s[4:5]
; %bb.85:                               ;   in Loop: Header=BB324_9 Depth=1
	s_or_b64 exec, exec, s[20:21]
	v_lshrrev_b16_e32 v0, 8, v0
	v_cvt_f32_fp8_sdwa v0, v0 src0_sel:BYTE_0
                                        ; implicit-def: $vgpr25
	s_nop 0
	v_mul_f32_e32 v0, v44, v0
	v_and_b32_e32 v1, 0x7f800000, v0
	v_cmp_ne_u32_e64 s[4:5], s22, v1
	s_and_saveexec_b64 s[20:21], s[4:5]
	s_xor_b64 s[4:5], exec, s[20:21]
; %bb.86:                               ;   in Loop: Header=BB324_9 Depth=1
	v_bfe_u32 v1, v0, 16, 1
	v_add3_u32 v25, v0, v1, s23
                                        ; implicit-def: $vgpr0
; %bb.87:                               ;   in Loop: Header=BB324_9 Depth=1
	s_andn2_saveexec_b64 s[20:21], s[4:5]
; %bb.88:                               ;   in Loop: Header=BB324_9 Depth=1
	v_or_b32_e32 v1, 0x10000, v0
	v_cmp_eq_u32_sdwa s[4:5], v0, v5 src0_sel:WORD_0 src1_sel:DWORD
	s_nop 1
	v_cndmask_b32_e64 v25, v1, v0, s[4:5]
; %bb.89:                               ;   in Loop: Header=BB324_9 Depth=1
	s_or_b64 exec, exec, s[20:21]
	flat_load_ushort v0, v[16:17] offset:1280
                                        ; implicit-def: $vgpr22
	s_waitcnt vmcnt(0) lgkmcnt(0)
	v_and_b32_sdwa v1, s17, v0 dst_sel:DWORD dst_unused:UNUSED_PAD src0_sel:DWORD src1_sel:BYTE_0
	v_cvt_f32_fp8_sdwa v1, v1 src0_sel:BYTE_0
	s_nop 0
	v_mul_f32_e32 v1, v44, v1
	v_and_b32_e32 v6, 0x7f800000, v1
	v_cmp_ne_u32_e64 s[4:5], s22, v6
	s_and_saveexec_b64 s[20:21], s[4:5]
	s_xor_b64 s[4:5], exec, s[20:21]
; %bb.90:                               ;   in Loop: Header=BB324_9 Depth=1
	v_bfe_u32 v6, v1, 16, 1
	v_add3_u32 v22, v1, v6, s23
                                        ; implicit-def: $vgpr1
; %bb.91:                               ;   in Loop: Header=BB324_9 Depth=1
	s_andn2_saveexec_b64 s[20:21], s[4:5]
; %bb.92:                               ;   in Loop: Header=BB324_9 Depth=1
	v_or_b32_e32 v6, 0x10000, v1
	v_cmp_eq_u32_sdwa s[4:5], v1, v5 src0_sel:WORD_0 src1_sel:DWORD
	s_nop 1
	v_cndmask_b32_e64 v22, v6, v1, s[4:5]
; %bb.93:                               ;   in Loop: Header=BB324_9 Depth=1
	s_or_b64 exec, exec, s[20:21]
	v_lshrrev_b16_e32 v0, 8, v0
	v_cvt_f32_fp8_sdwa v0, v0 src0_sel:BYTE_0
                                        ; implicit-def: $vgpr23
	s_nop 0
	v_mul_f32_e32 v0, v44, v0
	v_and_b32_e32 v1, 0x7f800000, v0
	v_cmp_ne_u32_e64 s[4:5], s22, v1
	s_and_saveexec_b64 s[20:21], s[4:5]
	s_xor_b64 s[4:5], exec, s[20:21]
; %bb.94:                               ;   in Loop: Header=BB324_9 Depth=1
	v_bfe_u32 v1, v0, 16, 1
	v_add3_u32 v23, v0, v1, s23
                                        ; implicit-def: $vgpr0
; %bb.95:                               ;   in Loop: Header=BB324_9 Depth=1
	s_andn2_saveexec_b64 s[20:21], s[4:5]
; %bb.96:                               ;   in Loop: Header=BB324_9 Depth=1
	v_or_b32_e32 v1, 0x10000, v0
	v_cmp_eq_u32_sdwa s[4:5], v0, v5 src0_sel:WORD_0 src1_sel:DWORD
	s_nop 1
	v_cndmask_b32_e64 v23, v1, v0, s[4:5]
; %bb.97:                               ;   in Loop: Header=BB324_9 Depth=1
	s_or_b64 exec, exec, s[20:21]
	flat_load_ushort v0, v[16:17] offset:1288
	s_waitcnt vmcnt(0) lgkmcnt(0)
	v_and_b32_sdwa v1, s17, v0 dst_sel:DWORD dst_unused:UNUSED_PAD src0_sel:DWORD src1_sel:BYTE_0
	v_cvt_f32_fp8_sdwa v1, v1 src0_sel:BYTE_0
	s_nop 0
	v_mul_f32_e32 v1, v44, v1
	v_and_b32_e32 v6, 0x7f800000, v1
	v_cmp_ne_u32_e64 s[4:5], s22, v6
                                        ; implicit-def: $vgpr6
	s_and_saveexec_b64 s[20:21], s[4:5]
	s_xor_b64 s[4:5], exec, s[20:21]
; %bb.98:                               ;   in Loop: Header=BB324_9 Depth=1
	v_bfe_u32 v6, v1, 16, 1
	v_add3_u32 v6, v1, v6, s23
                                        ; implicit-def: $vgpr1
; %bb.99:                               ;   in Loop: Header=BB324_9 Depth=1
	s_andn2_saveexec_b64 s[20:21], s[4:5]
; %bb.100:                              ;   in Loop: Header=BB324_9 Depth=1
	v_or_b32_e32 v6, 0x10000, v1
	v_cmp_eq_u32_sdwa s[4:5], v1, v5 src0_sel:WORD_0 src1_sel:DWORD
	s_nop 1
	v_cndmask_b32_e64 v6, v6, v1, s[4:5]
; %bb.101:                              ;   in Loop: Header=BB324_9 Depth=1
	s_or_b64 exec, exec, s[20:21]
	v_lshrrev_b16_e32 v0, 8, v0
	v_cvt_f32_fp8_sdwa v0, v0 src0_sel:BYTE_0
                                        ; implicit-def: $vgpr7
	s_nop 0
	v_mul_f32_e32 v0, v44, v0
	v_and_b32_e32 v1, 0x7f800000, v0
	v_cmp_ne_u32_e64 s[4:5], s22, v1
	s_and_saveexec_b64 s[20:21], s[4:5]
	s_xor_b64 s[4:5], exec, s[20:21]
; %bb.102:                              ;   in Loop: Header=BB324_9 Depth=1
	v_bfe_u32 v1, v0, 16, 1
	v_add3_u32 v7, v0, v1, s23
                                        ; implicit-def: $vgpr0
; %bb.103:                              ;   in Loop: Header=BB324_9 Depth=1
	s_andn2_saveexec_b64 s[20:21], s[4:5]
; %bb.104:                              ;   in Loop: Header=BB324_9 Depth=1
	v_or_b32_e32 v1, 0x10000, v0
	v_cmp_eq_u32_sdwa s[4:5], v0, v5 src0_sel:WORD_0 src1_sel:DWORD
	s_nop 1
	v_cndmask_b32_e64 v7, v1, v0, s[4:5]
; %bb.105:                              ;   in Loop: Header=BB324_9 Depth=1
	s_or_b64 exec, exec, s[20:21]
	flat_load_ushort v0, v[16:17] offset:1536
	s_waitcnt vmcnt(0) lgkmcnt(0)
	v_and_b32_sdwa v1, s17, v0 dst_sel:DWORD dst_unused:UNUSED_PAD src0_sel:DWORD src1_sel:BYTE_0
	v_cvt_f32_fp8_sdwa v1, v1 src0_sel:BYTE_0
	s_nop 0
	v_mul_f32_e32 v1, v44, v1
	v_and_b32_e32 v10, 0x7f800000, v1
	v_cmp_ne_u32_e64 s[4:5], s22, v10
                                        ; implicit-def: $vgpr10
	s_and_saveexec_b64 s[20:21], s[4:5]
	s_xor_b64 s[4:5], exec, s[20:21]
; %bb.106:                              ;   in Loop: Header=BB324_9 Depth=1
	v_bfe_u32 v10, v1, 16, 1
	v_add3_u32 v10, v1, v10, s23
                                        ; implicit-def: $vgpr1
; %bb.107:                              ;   in Loop: Header=BB324_9 Depth=1
	s_andn2_saveexec_b64 s[20:21], s[4:5]
; %bb.108:                              ;   in Loop: Header=BB324_9 Depth=1
	v_or_b32_e32 v10, 0x10000, v1
	v_cmp_eq_u32_sdwa s[4:5], v1, v5 src0_sel:WORD_0 src1_sel:DWORD
	s_nop 1
	v_cndmask_b32_e64 v10, v10, v1, s[4:5]
; %bb.109:                              ;   in Loop: Header=BB324_9 Depth=1
	s_or_b64 exec, exec, s[20:21]
	v_lshrrev_b16_e32 v0, 8, v0
	v_cvt_f32_fp8_sdwa v0, v0 src0_sel:BYTE_0
                                        ; implicit-def: $vgpr11
	s_nop 0
	v_mul_f32_e32 v0, v44, v0
	v_and_b32_e32 v1, 0x7f800000, v0
	v_cmp_ne_u32_e64 s[4:5], s22, v1
	s_and_saveexec_b64 s[20:21], s[4:5]
	s_xor_b64 s[4:5], exec, s[20:21]
; %bb.110:                              ;   in Loop: Header=BB324_9 Depth=1
	v_bfe_u32 v1, v0, 16, 1
	v_add3_u32 v11, v0, v1, s23
                                        ; implicit-def: $vgpr0
; %bb.111:                              ;   in Loop: Header=BB324_9 Depth=1
	s_andn2_saveexec_b64 s[20:21], s[4:5]
; %bb.112:                              ;   in Loop: Header=BB324_9 Depth=1
	v_or_b32_e32 v1, 0x10000, v0
	v_cmp_eq_u32_sdwa s[4:5], v0, v5 src0_sel:WORD_0 src1_sel:DWORD
	s_nop 1
	v_cndmask_b32_e64 v11, v1, v0, s[4:5]
; %bb.113:                              ;   in Loop: Header=BB324_9 Depth=1
	s_or_b64 exec, exec, s[20:21]
	flat_load_ushort v0, v[16:17] offset:1544
                                        ; implicit-def: $vgpr26
	s_waitcnt vmcnt(0) lgkmcnt(0)
	v_and_b32_sdwa v1, s17, v0 dst_sel:DWORD dst_unused:UNUSED_PAD src0_sel:DWORD src1_sel:BYTE_0
	v_cvt_f32_fp8_sdwa v1, v1 src0_sel:BYTE_0
	s_nop 0
	v_mul_f32_e32 v1, v44, v1
	v_and_b32_e32 v12, 0x7f800000, v1
	v_cmp_ne_u32_e64 s[4:5], s22, v12
	s_and_saveexec_b64 s[20:21], s[4:5]
	s_xor_b64 s[4:5], exec, s[20:21]
; %bb.114:                              ;   in Loop: Header=BB324_9 Depth=1
	v_bfe_u32 v12, v1, 16, 1
	v_add3_u32 v26, v1, v12, s23
                                        ; implicit-def: $vgpr1
; %bb.115:                              ;   in Loop: Header=BB324_9 Depth=1
	s_andn2_saveexec_b64 s[20:21], s[4:5]
; %bb.116:                              ;   in Loop: Header=BB324_9 Depth=1
	v_or_b32_e32 v12, 0x10000, v1
	v_cmp_eq_u32_sdwa s[4:5], v1, v5 src0_sel:WORD_0 src1_sel:DWORD
	s_nop 1
	v_cndmask_b32_e64 v26, v12, v1, s[4:5]
; %bb.117:                              ;   in Loop: Header=BB324_9 Depth=1
	s_or_b64 exec, exec, s[20:21]
	v_lshrrev_b16_e32 v0, 8, v0
	v_cvt_f32_fp8_sdwa v0, v0 src0_sel:BYTE_0
                                        ; implicit-def: $vgpr19
	s_nop 0
	v_mul_f32_e32 v0, v44, v0
	v_and_b32_e32 v1, 0x7f800000, v0
	v_cmp_ne_u32_e64 s[4:5], s22, v1
	s_and_saveexec_b64 s[20:21], s[4:5]
	s_xor_b64 s[4:5], exec, s[20:21]
; %bb.118:                              ;   in Loop: Header=BB324_9 Depth=1
	v_bfe_u32 v1, v0, 16, 1
	v_add3_u32 v19, v0, v1, s23
                                        ; implicit-def: $vgpr0
; %bb.119:                              ;   in Loop: Header=BB324_9 Depth=1
	s_andn2_saveexec_b64 s[20:21], s[4:5]
; %bb.120:                              ;   in Loop: Header=BB324_9 Depth=1
	v_or_b32_e32 v1, 0x10000, v0
	v_cmp_eq_u32_sdwa s[4:5], v0, v5 src0_sel:WORD_0 src1_sel:DWORD
	s_nop 1
	v_cndmask_b32_e64 v19, v1, v0, s[4:5]
; %bb.121:                              ;   in Loop: Header=BB324_9 Depth=1
	s_or_b64 exec, exec, s[20:21]
	flat_load_ushort v0, v[16:17] offset:1792
                                        ; implicit-def: $vgpr28
	s_waitcnt vmcnt(0) lgkmcnt(0)
	v_and_b32_sdwa v1, s17, v0 dst_sel:DWORD dst_unused:UNUSED_PAD src0_sel:DWORD src1_sel:BYTE_0
	v_cvt_f32_fp8_sdwa v1, v1 src0_sel:BYTE_0
	s_nop 0
	v_mul_f32_e32 v1, v44, v1
	v_and_b32_e32 v12, 0x7f800000, v1
	v_cmp_ne_u32_e64 s[4:5], s22, v12
	s_and_saveexec_b64 s[20:21], s[4:5]
	s_xor_b64 s[4:5], exec, s[20:21]
; %bb.122:                              ;   in Loop: Header=BB324_9 Depth=1
	v_bfe_u32 v12, v1, 16, 1
	v_add3_u32 v28, v1, v12, s23
                                        ; implicit-def: $vgpr1
; %bb.123:                              ;   in Loop: Header=BB324_9 Depth=1
	s_andn2_saveexec_b64 s[20:21], s[4:5]
; %bb.124:                              ;   in Loop: Header=BB324_9 Depth=1
	v_or_b32_e32 v12, 0x10000, v1
	v_cmp_eq_u32_sdwa s[4:5], v1, v5 src0_sel:WORD_0 src1_sel:DWORD
	s_nop 1
	v_cndmask_b32_e64 v28, v12, v1, s[4:5]
; %bb.125:                              ;   in Loop: Header=BB324_9 Depth=1
	s_or_b64 exec, exec, s[20:21]
	v_lshrrev_b16_e32 v0, 8, v0
	v_cvt_f32_fp8_sdwa v0, v0 src0_sel:BYTE_0
                                        ; implicit-def: $vgpr30
	s_nop 0
	v_mul_f32_e32 v0, v44, v0
	v_and_b32_e32 v1, 0x7f800000, v0
	v_cmp_ne_u32_e64 s[4:5], s22, v1
	s_and_saveexec_b64 s[20:21], s[4:5]
	s_xor_b64 s[4:5], exec, s[20:21]
; %bb.126:                              ;   in Loop: Header=BB324_9 Depth=1
	v_bfe_u32 v1, v0, 16, 1
	v_add3_u32 v30, v0, v1, s23
                                        ; implicit-def: $vgpr0
; %bb.127:                              ;   in Loop: Header=BB324_9 Depth=1
	s_andn2_saveexec_b64 s[20:21], s[4:5]
; %bb.128:                              ;   in Loop: Header=BB324_9 Depth=1
	v_or_b32_e32 v1, 0x10000, v0
	v_cmp_eq_u32_sdwa s[4:5], v0, v5 src0_sel:WORD_0 src1_sel:DWORD
	s_nop 1
	v_cndmask_b32_e64 v30, v1, v0, s[4:5]
; %bb.129:                              ;   in Loop: Header=BB324_9 Depth=1
	s_or_b64 exec, exec, s[20:21]
	flat_load_ushort v0, v[16:17] offset:1800
                                        ; implicit-def: $vgpr31
	s_waitcnt vmcnt(0) lgkmcnt(0)
	v_and_b32_sdwa v1, s17, v0 dst_sel:DWORD dst_unused:UNUSED_PAD src0_sel:DWORD src1_sel:BYTE_0
	v_cvt_f32_fp8_sdwa v1, v1 src0_sel:BYTE_0
	s_nop 0
	v_mul_f32_e32 v1, v44, v1
	v_and_b32_e32 v12, 0x7f800000, v1
	v_cmp_ne_u32_e64 s[4:5], s22, v12
	s_and_saveexec_b64 s[20:21], s[4:5]
	s_xor_b64 s[4:5], exec, s[20:21]
; %bb.130:                              ;   in Loop: Header=BB324_9 Depth=1
	v_bfe_u32 v12, v1, 16, 1
	v_add3_u32 v31, v1, v12, s23
                                        ; implicit-def: $vgpr1
; %bb.131:                              ;   in Loop: Header=BB324_9 Depth=1
	s_andn2_saveexec_b64 s[20:21], s[4:5]
; %bb.132:                              ;   in Loop: Header=BB324_9 Depth=1
	v_or_b32_e32 v12, 0x10000, v1
	v_cmp_eq_u32_sdwa s[4:5], v1, v5 src0_sel:WORD_0 src1_sel:DWORD
	s_nop 1
	v_cndmask_b32_e64 v31, v12, v1, s[4:5]
; %bb.133:                              ;   in Loop: Header=BB324_9 Depth=1
	s_or_b64 exec, exec, s[20:21]
	v_lshrrev_b16_e32 v0, 8, v0
	v_cvt_f32_fp8_sdwa v0, v0 src0_sel:BYTE_0
                                        ; implicit-def: $vgpr32
	s_nop 0
	v_mul_f32_e32 v0, v44, v0
	v_and_b32_e32 v1, 0x7f800000, v0
	v_cmp_ne_u32_e64 s[4:5], s22, v1
	s_and_saveexec_b64 s[20:21], s[4:5]
	s_xor_b64 s[4:5], exec, s[20:21]
; %bb.134:                              ;   in Loop: Header=BB324_9 Depth=1
	v_bfe_u32 v1, v0, 16, 1
	v_add3_u32 v32, v0, v1, s23
                                        ; implicit-def: $vgpr0
; %bb.135:                              ;   in Loop: Header=BB324_9 Depth=1
	s_andn2_saveexec_b64 s[20:21], s[4:5]
; %bb.136:                              ;   in Loop: Header=BB324_9 Depth=1
	v_or_b32_e32 v1, 0x10000, v0
	v_cmp_eq_u32_sdwa s[4:5], v0, v5 src0_sel:WORD_0 src1_sel:DWORD
	s_nop 1
	v_cndmask_b32_e64 v32, v1, v0, s[4:5]
; %bb.137:                              ;   in Loop: Header=BB324_9 Depth=1
	s_or_b64 exec, exec, s[20:21]
	flat_load_ushort v0, v[16:17] offset:2048
                                        ; implicit-def: $vgpr33
	s_waitcnt vmcnt(0) lgkmcnt(0)
	v_and_b32_sdwa v1, s17, v0 dst_sel:DWORD dst_unused:UNUSED_PAD src0_sel:DWORD src1_sel:BYTE_0
	v_cvt_f32_fp8_sdwa v1, v1 src0_sel:BYTE_0
	s_nop 0
	v_mul_f32_e32 v1, v44, v1
	v_and_b32_e32 v12, 0x7f800000, v1
	v_cmp_ne_u32_e64 s[4:5], s22, v12
	s_and_saveexec_b64 s[20:21], s[4:5]
	s_xor_b64 s[4:5], exec, s[20:21]
; %bb.138:                              ;   in Loop: Header=BB324_9 Depth=1
	v_bfe_u32 v12, v1, 16, 1
	v_add3_u32 v33, v1, v12, s23
                                        ; implicit-def: $vgpr1
; %bb.139:                              ;   in Loop: Header=BB324_9 Depth=1
	s_andn2_saveexec_b64 s[20:21], s[4:5]
; %bb.140:                              ;   in Loop: Header=BB324_9 Depth=1
	v_or_b32_e32 v12, 0x10000, v1
	v_cmp_eq_u32_sdwa s[4:5], v1, v5 src0_sel:WORD_0 src1_sel:DWORD
	s_nop 1
	v_cndmask_b32_e64 v33, v12, v1, s[4:5]
; %bb.141:                              ;   in Loop: Header=BB324_9 Depth=1
	s_or_b64 exec, exec, s[20:21]
	v_lshrrev_b16_e32 v0, 8, v0
	v_cvt_f32_fp8_sdwa v0, v0 src0_sel:BYTE_0
                                        ; implicit-def: $vgpr18
	s_nop 0
	v_mul_f32_e32 v0, v44, v0
	v_and_b32_e32 v1, 0x7f800000, v0
	v_cmp_ne_u32_e64 s[4:5], s22, v1
	s_and_saveexec_b64 s[20:21], s[4:5]
	s_xor_b64 s[4:5], exec, s[20:21]
; %bb.142:                              ;   in Loop: Header=BB324_9 Depth=1
	v_bfe_u32 v1, v0, 16, 1
	v_add3_u32 v18, v0, v1, s23
                                        ; implicit-def: $vgpr0
; %bb.143:                              ;   in Loop: Header=BB324_9 Depth=1
	s_andn2_saveexec_b64 s[20:21], s[4:5]
; %bb.144:                              ;   in Loop: Header=BB324_9 Depth=1
	v_or_b32_e32 v1, 0x10000, v0
	v_cmp_eq_u32_sdwa s[4:5], v0, v5 src0_sel:WORD_0 src1_sel:DWORD
	s_nop 1
	v_cndmask_b32_e64 v18, v1, v0, s[4:5]
; %bb.145:                              ;   in Loop: Header=BB324_9 Depth=1
	s_or_b64 exec, exec, s[20:21]
	flat_load_ushort v0, v[16:17] offset:2056
                                        ; implicit-def: $vgpr34
	s_waitcnt vmcnt(0) lgkmcnt(0)
	v_and_b32_sdwa v1, s17, v0 dst_sel:DWORD dst_unused:UNUSED_PAD src0_sel:DWORD src1_sel:BYTE_0
	v_cvt_f32_fp8_sdwa v1, v1 src0_sel:BYTE_0
	s_nop 0
	v_mul_f32_e32 v1, v44, v1
	v_and_b32_e32 v12, 0x7f800000, v1
	v_cmp_ne_u32_e64 s[4:5], s22, v12
	s_and_saveexec_b64 s[20:21], s[4:5]
	s_xor_b64 s[4:5], exec, s[20:21]
; %bb.146:                              ;   in Loop: Header=BB324_9 Depth=1
	v_bfe_u32 v12, v1, 16, 1
	v_add3_u32 v34, v1, v12, s23
                                        ; implicit-def: $vgpr1
; %bb.147:                              ;   in Loop: Header=BB324_9 Depth=1
	s_andn2_saveexec_b64 s[20:21], s[4:5]
; %bb.148:                              ;   in Loop: Header=BB324_9 Depth=1
	v_or_b32_e32 v12, 0x10000, v1
	v_cmp_eq_u32_sdwa s[4:5], v1, v5 src0_sel:WORD_0 src1_sel:DWORD
	s_nop 1
	v_cndmask_b32_e64 v34, v12, v1, s[4:5]
; %bb.149:                              ;   in Loop: Header=BB324_9 Depth=1
	s_or_b64 exec, exec, s[20:21]
	v_lshrrev_b16_e32 v0, 8, v0
	v_cvt_f32_fp8_sdwa v0, v0 src0_sel:BYTE_0
                                        ; implicit-def: $vgpr40
	s_nop 0
	v_mul_f32_e32 v0, v44, v0
	v_and_b32_e32 v1, 0x7f800000, v0
	v_cmp_ne_u32_e64 s[4:5], s22, v1
	s_and_saveexec_b64 s[20:21], s[4:5]
	s_xor_b64 s[4:5], exec, s[20:21]
; %bb.150:                              ;   in Loop: Header=BB324_9 Depth=1
	v_bfe_u32 v1, v0, 16, 1
	v_add3_u32 v40, v0, v1, s23
                                        ; implicit-def: $vgpr0
; %bb.151:                              ;   in Loop: Header=BB324_9 Depth=1
	s_andn2_saveexec_b64 s[20:21], s[4:5]
; %bb.152:                              ;   in Loop: Header=BB324_9 Depth=1
	v_or_b32_e32 v1, 0x10000, v0
	v_cmp_eq_u32_sdwa s[4:5], v0, v5 src0_sel:WORD_0 src1_sel:DWORD
	s_nop 1
	v_cndmask_b32_e64 v40, v1, v0, s[4:5]
; %bb.153:                              ;   in Loop: Header=BB324_9 Depth=1
	s_or_b64 exec, exec, s[20:21]
	flat_load_ushort v0, v[16:17] offset:2304
                                        ; implicit-def: $vgpr36
	s_waitcnt vmcnt(0) lgkmcnt(0)
	v_and_b32_sdwa v1, s17, v0 dst_sel:DWORD dst_unused:UNUSED_PAD src0_sel:DWORD src1_sel:BYTE_0
	v_cvt_f32_fp8_sdwa v1, v1 src0_sel:BYTE_0
	s_nop 0
	v_mul_f32_e32 v1, v44, v1
	v_and_b32_e32 v12, 0x7f800000, v1
	v_cmp_ne_u32_e64 s[4:5], s22, v12
	s_and_saveexec_b64 s[20:21], s[4:5]
	s_xor_b64 s[4:5], exec, s[20:21]
; %bb.154:                              ;   in Loop: Header=BB324_9 Depth=1
	v_bfe_u32 v12, v1, 16, 1
	v_add3_u32 v36, v1, v12, s23
                                        ; implicit-def: $vgpr1
; %bb.155:                              ;   in Loop: Header=BB324_9 Depth=1
	s_andn2_saveexec_b64 s[20:21], s[4:5]
; %bb.156:                              ;   in Loop: Header=BB324_9 Depth=1
	v_or_b32_e32 v12, 0x10000, v1
	v_cmp_eq_u32_sdwa s[4:5], v1, v5 src0_sel:WORD_0 src1_sel:DWORD
	s_nop 1
	v_cndmask_b32_e64 v36, v12, v1, s[4:5]
; %bb.157:                              ;   in Loop: Header=BB324_9 Depth=1
	s_or_b64 exec, exec, s[20:21]
	v_lshrrev_b16_e32 v0, 8, v0
	v_cvt_f32_fp8_sdwa v0, v0 src0_sel:BYTE_0
                                        ; implicit-def: $vgpr37
	s_nop 0
	v_mul_f32_e32 v0, v44, v0
	v_and_b32_e32 v1, 0x7f800000, v0
	v_cmp_ne_u32_e64 s[4:5], s22, v1
	s_and_saveexec_b64 s[20:21], s[4:5]
	s_xor_b64 s[4:5], exec, s[20:21]
; %bb.158:                              ;   in Loop: Header=BB324_9 Depth=1
	v_bfe_u32 v1, v0, 16, 1
	v_add3_u32 v37, v0, v1, s23
                                        ; implicit-def: $vgpr0
; %bb.159:                              ;   in Loop: Header=BB324_9 Depth=1
	s_andn2_saveexec_b64 s[20:21], s[4:5]
; %bb.160:                              ;   in Loop: Header=BB324_9 Depth=1
	v_or_b32_e32 v1, 0x10000, v0
	v_cmp_eq_u32_sdwa s[4:5], v0, v5 src0_sel:WORD_0 src1_sel:DWORD
	s_nop 1
	v_cndmask_b32_e64 v37, v1, v0, s[4:5]
; %bb.161:                              ;   in Loop: Header=BB324_9 Depth=1
	s_or_b64 exec, exec, s[20:21]
	flat_load_ushort v0, v[16:17] offset:2312
                                        ; implicit-def: $vgpr38
	s_waitcnt vmcnt(0) lgkmcnt(0)
	v_and_b32_sdwa v1, s17, v0 dst_sel:DWORD dst_unused:UNUSED_PAD src0_sel:DWORD src1_sel:BYTE_0
	v_cvt_f32_fp8_sdwa v1, v1 src0_sel:BYTE_0
	s_nop 0
	v_mul_f32_e32 v1, v44, v1
	v_and_b32_e32 v12, 0x7f800000, v1
	v_cmp_ne_u32_e64 s[4:5], s22, v12
	s_and_saveexec_b64 s[20:21], s[4:5]
	s_xor_b64 s[4:5], exec, s[20:21]
; %bb.162:                              ;   in Loop: Header=BB324_9 Depth=1
	v_bfe_u32 v12, v1, 16, 1
	v_add3_u32 v38, v1, v12, s23
                                        ; implicit-def: $vgpr1
; %bb.163:                              ;   in Loop: Header=BB324_9 Depth=1
	s_andn2_saveexec_b64 s[20:21], s[4:5]
; %bb.164:                              ;   in Loop: Header=BB324_9 Depth=1
	v_or_b32_e32 v12, 0x10000, v1
	v_cmp_eq_u32_sdwa s[4:5], v1, v5 src0_sel:WORD_0 src1_sel:DWORD
	s_nop 1
	v_cndmask_b32_e64 v38, v12, v1, s[4:5]
; %bb.165:                              ;   in Loop: Header=BB324_9 Depth=1
	s_or_b64 exec, exec, s[20:21]
	v_lshrrev_b16_e32 v0, 8, v0
	v_cvt_f32_fp8_sdwa v0, v0 src0_sel:BYTE_0
                                        ; implicit-def: $vgpr39
	s_nop 0
	v_mul_f32_e32 v0, v44, v0
	v_and_b32_e32 v1, 0x7f800000, v0
	v_cmp_ne_u32_e64 s[4:5], s22, v1
	s_and_saveexec_b64 s[20:21], s[4:5]
	s_xor_b64 s[4:5], exec, s[20:21]
; %bb.166:                              ;   in Loop: Header=BB324_9 Depth=1
	v_bfe_u32 v1, v0, 16, 1
	v_add3_u32 v39, v0, v1, s23
                                        ; implicit-def: $vgpr0
; %bb.167:                              ;   in Loop: Header=BB324_9 Depth=1
	s_andn2_saveexec_b64 s[20:21], s[4:5]
; %bb.168:                              ;   in Loop: Header=BB324_9 Depth=1
	v_or_b32_e32 v1, 0x10000, v0
	v_cmp_eq_u32_sdwa s[4:5], v0, v5 src0_sel:WORD_0 src1_sel:DWORD
	s_nop 1
	v_cndmask_b32_e64 v39, v1, v0, s[4:5]
; %bb.169:                              ;   in Loop: Header=BB324_9 Depth=1
	s_or_b64 exec, exec, s[20:21]
	flat_load_ushort v0, v[16:17] offset:2560
                                        ; implicit-def: $vgpr48
	s_waitcnt vmcnt(0) lgkmcnt(0)
	v_and_b32_sdwa v1, s17, v0 dst_sel:DWORD dst_unused:UNUSED_PAD src0_sel:DWORD src1_sel:BYTE_0
	v_cvt_f32_fp8_sdwa v1, v1 src0_sel:BYTE_0
	s_nop 0
	v_mul_f32_e32 v1, v44, v1
	v_and_b32_e32 v12, 0x7f800000, v1
	v_cmp_ne_u32_e64 s[4:5], s22, v12
	s_and_saveexec_b64 s[20:21], s[4:5]
	s_xor_b64 s[4:5], exec, s[20:21]
; %bb.170:                              ;   in Loop: Header=BB324_9 Depth=1
	v_bfe_u32 v12, v1, 16, 1
	v_add3_u32 v48, v1, v12, s23
                                        ; implicit-def: $vgpr1
; %bb.171:                              ;   in Loop: Header=BB324_9 Depth=1
	s_andn2_saveexec_b64 s[20:21], s[4:5]
; %bb.172:                              ;   in Loop: Header=BB324_9 Depth=1
	v_or_b32_e32 v12, 0x10000, v1
	v_cmp_eq_u32_sdwa s[4:5], v1, v5 src0_sel:WORD_0 src1_sel:DWORD
	s_nop 1
	v_cndmask_b32_e64 v48, v12, v1, s[4:5]
; %bb.173:                              ;   in Loop: Header=BB324_9 Depth=1
	s_or_b64 exec, exec, s[20:21]
	v_lshrrev_b16_e32 v0, 8, v0
	v_cvt_f32_fp8_sdwa v0, v0 src0_sel:BYTE_0
                                        ; implicit-def: $vgpr49
	s_nop 0
	v_mul_f32_e32 v0, v44, v0
	v_and_b32_e32 v1, 0x7f800000, v0
	v_cmp_ne_u32_e64 s[4:5], s22, v1
	s_and_saveexec_b64 s[20:21], s[4:5]
	s_xor_b64 s[4:5], exec, s[20:21]
; %bb.174:                              ;   in Loop: Header=BB324_9 Depth=1
	v_bfe_u32 v1, v0, 16, 1
	v_add3_u32 v49, v0, v1, s23
                                        ; implicit-def: $vgpr0
; %bb.175:                              ;   in Loop: Header=BB324_9 Depth=1
	s_andn2_saveexec_b64 s[20:21], s[4:5]
; %bb.176:                              ;   in Loop: Header=BB324_9 Depth=1
	v_or_b32_e32 v1, 0x10000, v0
	v_cmp_eq_u32_sdwa s[4:5], v0, v5 src0_sel:WORD_0 src1_sel:DWORD
	s_nop 1
	v_cndmask_b32_e64 v49, v1, v0, s[4:5]
; %bb.177:                              ;   in Loop: Header=BB324_9 Depth=1
	s_or_b64 exec, exec, s[20:21]
	flat_load_ushort v0, v[16:17] offset:2568
                                        ; implicit-def: $vgpr50
	s_waitcnt vmcnt(0) lgkmcnt(0)
	v_and_b32_sdwa v1, s17, v0 dst_sel:DWORD dst_unused:UNUSED_PAD src0_sel:DWORD src1_sel:BYTE_0
	v_cvt_f32_fp8_sdwa v1, v1 src0_sel:BYTE_0
	s_nop 0
	v_mul_f32_e32 v1, v44, v1
	v_and_b32_e32 v12, 0x7f800000, v1
	v_cmp_ne_u32_e64 s[4:5], s22, v12
	s_and_saveexec_b64 s[20:21], s[4:5]
	s_xor_b64 s[4:5], exec, s[20:21]
; %bb.178:                              ;   in Loop: Header=BB324_9 Depth=1
	v_bfe_u32 v12, v1, 16, 1
	v_add3_u32 v50, v1, v12, s23
                                        ; implicit-def: $vgpr1
; %bb.179:                              ;   in Loop: Header=BB324_9 Depth=1
	s_andn2_saveexec_b64 s[20:21], s[4:5]
; %bb.180:                              ;   in Loop: Header=BB324_9 Depth=1
	v_or_b32_e32 v12, 0x10000, v1
	v_cmp_eq_u32_sdwa s[4:5], v1, v5 src0_sel:WORD_0 src1_sel:DWORD
	s_nop 1
	v_cndmask_b32_e64 v50, v12, v1, s[4:5]
; %bb.181:                              ;   in Loop: Header=BB324_9 Depth=1
	s_or_b64 exec, exec, s[20:21]
	v_lshrrev_b16_e32 v0, 8, v0
	v_cvt_f32_fp8_sdwa v0, v0 src0_sel:BYTE_0
                                        ; implicit-def: $vgpr52
	s_nop 0
	v_mul_f32_e32 v0, v44, v0
	v_and_b32_e32 v1, 0x7f800000, v0
	v_cmp_ne_u32_e64 s[4:5], s22, v1
	s_and_saveexec_b64 s[20:21], s[4:5]
	s_xor_b64 s[4:5], exec, s[20:21]
; %bb.182:                              ;   in Loop: Header=BB324_9 Depth=1
	v_bfe_u32 v1, v0, 16, 1
	v_add3_u32 v52, v0, v1, s23
                                        ; implicit-def: $vgpr0
; %bb.183:                              ;   in Loop: Header=BB324_9 Depth=1
	s_andn2_saveexec_b64 s[20:21], s[4:5]
; %bb.184:                              ;   in Loop: Header=BB324_9 Depth=1
	v_or_b32_e32 v1, 0x10000, v0
	v_cmp_eq_u32_sdwa s[4:5], v0, v5 src0_sel:WORD_0 src1_sel:DWORD
	s_nop 1
	v_cndmask_b32_e64 v52, v1, v0, s[4:5]
; %bb.185:                              ;   in Loop: Header=BB324_9 Depth=1
	s_or_b64 exec, exec, s[20:21]
	flat_load_ushort v0, v[16:17] offset:2816
                                        ; implicit-def: $vgpr53
	s_waitcnt vmcnt(0) lgkmcnt(0)
	v_and_b32_sdwa v1, s17, v0 dst_sel:DWORD dst_unused:UNUSED_PAD src0_sel:DWORD src1_sel:BYTE_0
	v_cvt_f32_fp8_sdwa v1, v1 src0_sel:BYTE_0
	s_nop 0
	v_mul_f32_e32 v1, v44, v1
	v_and_b32_e32 v12, 0x7f800000, v1
	v_cmp_ne_u32_e64 s[4:5], s22, v12
	s_and_saveexec_b64 s[20:21], s[4:5]
	s_xor_b64 s[4:5], exec, s[20:21]
; %bb.186:                              ;   in Loop: Header=BB324_9 Depth=1
	v_bfe_u32 v12, v1, 16, 1
	v_add3_u32 v53, v1, v12, s23
                                        ; implicit-def: $vgpr1
; %bb.187:                              ;   in Loop: Header=BB324_9 Depth=1
	s_andn2_saveexec_b64 s[20:21], s[4:5]
; %bb.188:                              ;   in Loop: Header=BB324_9 Depth=1
	v_or_b32_e32 v12, 0x10000, v1
	v_cmp_eq_u32_sdwa s[4:5], v1, v5 src0_sel:WORD_0 src1_sel:DWORD
	s_nop 1
	v_cndmask_b32_e64 v53, v12, v1, s[4:5]
; %bb.189:                              ;   in Loop: Header=BB324_9 Depth=1
	s_or_b64 exec, exec, s[20:21]
	v_lshrrev_b16_e32 v0, 8, v0
	v_cvt_f32_fp8_sdwa v0, v0 src0_sel:BYTE_0
	s_nop 0
	v_mul_f32_e32 v1, v44, v0
	v_and_b32_e32 v0, 0x7f800000, v1
	v_cmp_ne_u32_e64 s[4:5], s22, v0
                                        ; implicit-def: $vgpr0
	s_and_saveexec_b64 s[20:21], s[4:5]
	s_xor_b64 s[4:5], exec, s[20:21]
; %bb.190:                              ;   in Loop: Header=BB324_9 Depth=1
	v_bfe_u32 v0, v1, 16, 1
	v_add3_u32 v0, v1, v0, s23
                                        ; implicit-def: $vgpr1
; %bb.191:                              ;   in Loop: Header=BB324_9 Depth=1
	s_andn2_saveexec_b64 s[20:21], s[4:5]
; %bb.192:                              ;   in Loop: Header=BB324_9 Depth=1
	v_or_b32_e32 v0, 0x10000, v1
	v_cmp_eq_u32_sdwa s[4:5], v1, v5 src0_sel:WORD_0 src1_sel:DWORD
	s_nop 1
	v_cndmask_b32_e64 v0, v0, v1, s[4:5]
; %bb.193:                              ;   in Loop: Header=BB324_9 Depth=1
	s_or_b64 exec, exec, s[20:21]
	flat_load_ushort v12, v[16:17] offset:2824
	s_waitcnt vmcnt(0) lgkmcnt(0)
	v_and_b32_sdwa v1, s17, v12 dst_sel:DWORD dst_unused:UNUSED_PAD src0_sel:DWORD src1_sel:BYTE_0
	v_cvt_f32_fp8_sdwa v1, v1 src0_sel:BYTE_0
	s_nop 0
	v_mul_f32_e32 v13, v44, v1
	v_and_b32_e32 v1, 0x7f800000, v13
	v_cmp_ne_u32_e64 s[4:5], s22, v1
                                        ; implicit-def: $vgpr1
	s_and_saveexec_b64 s[20:21], s[4:5]
	s_xor_b64 s[4:5], exec, s[20:21]
; %bb.194:                              ;   in Loop: Header=BB324_9 Depth=1
	v_bfe_u32 v1, v13, 16, 1
	v_add3_u32 v1, v13, v1, s23
                                        ; implicit-def: $vgpr13
; %bb.195:                              ;   in Loop: Header=BB324_9 Depth=1
	s_andn2_saveexec_b64 s[20:21], s[4:5]
; %bb.196:                              ;   in Loop: Header=BB324_9 Depth=1
	v_or_b32_e32 v1, 0x10000, v13
	v_cmp_eq_u32_sdwa s[4:5], v13, v5 src0_sel:WORD_0 src1_sel:DWORD
	s_nop 1
	v_cndmask_b32_e64 v1, v1, v13, s[4:5]
; %bb.197:                              ;   in Loop: Header=BB324_9 Depth=1
	s_or_b64 exec, exec, s[20:21]
	v_lshrrev_b16_e32 v12, 8, v12
	v_cvt_f32_fp8_sdwa v12, v12 src0_sel:BYTE_0
	s_nop 0
	v_mul_f32_e32 v13, v44, v12
	v_and_b32_e32 v12, 0x7f800000, v13
	v_cmp_ne_u32_e64 s[4:5], s22, v12
                                        ; implicit-def: $vgpr12
	s_and_saveexec_b64 s[20:21], s[4:5]
	s_xor_b64 s[4:5], exec, s[20:21]
; %bb.198:                              ;   in Loop: Header=BB324_9 Depth=1
	v_bfe_u32 v12, v13, 16, 1
	v_add3_u32 v12, v13, v12, s23
                                        ; implicit-def: $vgpr13
; %bb.199:                              ;   in Loop: Header=BB324_9 Depth=1
	s_andn2_saveexec_b64 s[20:21], s[4:5]
; %bb.200:                              ;   in Loop: Header=BB324_9 Depth=1
	v_or_b32_e32 v12, 0x10000, v13
	v_cmp_eq_u32_sdwa s[4:5], v13, v5 src0_sel:WORD_0 src1_sel:DWORD
	s_nop 1
	v_cndmask_b32_e64 v12, v12, v13, s[4:5]
; %bb.201:                              ;   in Loop: Header=BB324_9 Depth=1
	s_or_b64 exec, exec, s[20:21]
	flat_load_ushort v20, v[16:17] offset:3072
	s_waitcnt vmcnt(0) lgkmcnt(0)
	v_and_b32_sdwa v13, s17, v20 dst_sel:DWORD dst_unused:UNUSED_PAD src0_sel:DWORD src1_sel:BYTE_0
	v_cvt_f32_fp8_sdwa v13, v13 src0_sel:BYTE_0
	s_nop 0
	v_mul_f32_e32 v21, v44, v13
	v_and_b32_e32 v13, 0x7f800000, v21
	v_cmp_ne_u32_e64 s[4:5], s22, v13
                                        ; implicit-def: $vgpr13
	s_and_saveexec_b64 s[20:21], s[4:5]
	s_xor_b64 s[4:5], exec, s[20:21]
; %bb.202:                              ;   in Loop: Header=BB324_9 Depth=1
	v_bfe_u32 v13, v21, 16, 1
	v_add3_u32 v13, v21, v13, s23
                                        ; implicit-def: $vgpr21
; %bb.203:                              ;   in Loop: Header=BB324_9 Depth=1
	s_andn2_saveexec_b64 s[20:21], s[4:5]
; %bb.204:                              ;   in Loop: Header=BB324_9 Depth=1
	v_or_b32_e32 v13, 0x10000, v21
	v_cmp_eq_u32_sdwa s[4:5], v21, v5 src0_sel:WORD_0 src1_sel:DWORD
	s_nop 1
	v_cndmask_b32_e64 v13, v13, v21, s[4:5]
; %bb.205:                              ;   in Loop: Header=BB324_9 Depth=1
	s_or_b64 exec, exec, s[20:21]
	v_lshrrev_b16_e32 v20, 8, v20
	v_cvt_f32_fp8_sdwa v20, v20 src0_sel:BYTE_0
                                        ; implicit-def: $vgpr51
	s_nop 0
	v_mul_f32_e32 v20, v44, v20
	v_and_b32_e32 v21, 0x7f800000, v20
	v_cmp_ne_u32_e64 s[4:5], s22, v21
	s_and_saveexec_b64 s[20:21], s[4:5]
	s_xor_b64 s[4:5], exec, s[20:21]
; %bb.206:                              ;   in Loop: Header=BB324_9 Depth=1
	v_bfe_u32 v21, v20, 16, 1
	v_add3_u32 v51, v20, v21, s23
                                        ; implicit-def: $vgpr20
; %bb.207:                              ;   in Loop: Header=BB324_9 Depth=1
	s_andn2_saveexec_b64 s[20:21], s[4:5]
; %bb.208:                              ;   in Loop: Header=BB324_9 Depth=1
	v_or_b32_e32 v21, 0x10000, v20
	v_cmp_eq_u32_sdwa s[4:5], v20, v5 src0_sel:WORD_0 src1_sel:DWORD
	s_nop 1
	v_cndmask_b32_e64 v51, v21, v20, s[4:5]
; %bb.209:                              ;   in Loop: Header=BB324_9 Depth=1
	s_or_b64 exec, exec, s[20:21]
	flat_load_ushort v20, v[16:17] offset:3080
	s_waitcnt vmcnt(0) lgkmcnt(0)
	v_and_b32_sdwa v21, s17, v20 dst_sel:DWORD dst_unused:UNUSED_PAD src0_sel:DWORD src1_sel:BYTE_0
	v_cvt_f32_fp8_sdwa v21, v21 src0_sel:BYTE_0
	s_nop 0
	v_mul_f32_e32 v35, v44, v21
	v_and_b32_e32 v21, 0x7f800000, v35
	v_cmp_ne_u32_e64 s[4:5], s22, v21
                                        ; implicit-def: $vgpr21
	s_and_saveexec_b64 s[20:21], s[4:5]
	s_xor_b64 s[4:5], exec, s[20:21]
; %bb.210:                              ;   in Loop: Header=BB324_9 Depth=1
	v_bfe_u32 v21, v35, 16, 1
	v_add3_u32 v21, v35, v21, s23
                                        ; implicit-def: $vgpr35
; %bb.211:                              ;   in Loop: Header=BB324_9 Depth=1
	s_andn2_saveexec_b64 s[20:21], s[4:5]
; %bb.212:                              ;   in Loop: Header=BB324_9 Depth=1
	v_or_b32_e32 v21, 0x10000, v35
	v_cmp_eq_u32_sdwa s[4:5], v35, v5 src0_sel:WORD_0 src1_sel:DWORD
	s_nop 1
	v_cndmask_b32_e64 v21, v21, v35, s[4:5]
; %bb.213:                              ;   in Loop: Header=BB324_9 Depth=1
	s_or_b64 exec, exec, s[20:21]
	v_lshrrev_b16_e32 v20, 8, v20
	v_cvt_f32_fp8_sdwa v20, v20 src0_sel:BYTE_0
	s_nop 0
	v_mul_f32_e32 v35, v44, v20
	v_and_b32_e32 v20, 0x7f800000, v35
	v_cmp_ne_u32_e64 s[4:5], s22, v20
                                        ; implicit-def: $vgpr20
	s_and_saveexec_b64 s[20:21], s[4:5]
	s_xor_b64 s[4:5], exec, s[20:21]
; %bb.214:                              ;   in Loop: Header=BB324_9 Depth=1
	v_bfe_u32 v20, v35, 16, 1
	v_add3_u32 v20, v35, v20, s23
                                        ; implicit-def: $vgpr35
; %bb.215:                              ;   in Loop: Header=BB324_9 Depth=1
	s_andn2_saveexec_b64 s[20:21], s[4:5]
; %bb.216:                              ;   in Loop: Header=BB324_9 Depth=1
	v_or_b32_e32 v20, 0x10000, v35
	v_cmp_eq_u32_sdwa s[4:5], v35, v5 src0_sel:WORD_0 src1_sel:DWORD
	s_nop 1
	v_cndmask_b32_e64 v20, v20, v35, s[4:5]
; %bb.217:                              ;   in Loop: Header=BB324_9 Depth=1
	s_or_b64 exec, exec, s[20:21]
	flat_load_ushort v35, v[16:17] offset:3328
	s_waitcnt vmcnt(0) lgkmcnt(0)
	v_and_b32_sdwa v41, s17, v35 dst_sel:DWORD dst_unused:UNUSED_PAD src0_sel:DWORD src1_sel:BYTE_0
	v_cvt_f32_fp8_sdwa v41, v41 src0_sel:BYTE_0
	s_nop 0
	v_mul_f32_e32 v42, v44, v41
	v_and_b32_e32 v41, 0x7f800000, v42
	v_cmp_ne_u32_e64 s[4:5], s22, v41
                                        ; implicit-def: $vgpr41
	s_and_saveexec_b64 s[20:21], s[4:5]
	s_xor_b64 s[4:5], exec, s[20:21]
; %bb.218:                              ;   in Loop: Header=BB324_9 Depth=1
	v_bfe_u32 v41, v42, 16, 1
	v_add3_u32 v41, v42, v41, s23
                                        ; implicit-def: $vgpr42
; %bb.219:                              ;   in Loop: Header=BB324_9 Depth=1
	s_andn2_saveexec_b64 s[20:21], s[4:5]
; %bb.220:                              ;   in Loop: Header=BB324_9 Depth=1
	v_or_b32_e32 v41, 0x10000, v42
	v_cmp_eq_u32_sdwa s[4:5], v42, v5 src0_sel:WORD_0 src1_sel:DWORD
	s_nop 1
	v_cndmask_b32_e64 v41, v41, v42, s[4:5]
; %bb.221:                              ;   in Loop: Header=BB324_9 Depth=1
	s_or_b64 exec, exec, s[20:21]
	v_lshrrev_b16_e32 v35, 8, v35
	v_cvt_f32_fp8_sdwa v35, v35 src0_sel:BYTE_0
	s_nop 0
	v_mul_f32_e32 v35, v44, v35
	v_and_b32_e32 v42, 0x7f800000, v35
	v_cmp_ne_u32_e64 s[4:5], s22, v42
                                        ; implicit-def: $vgpr42
	s_and_saveexec_b64 s[20:21], s[4:5]
	s_xor_b64 s[4:5], exec, s[20:21]
; %bb.222:                              ;   in Loop: Header=BB324_9 Depth=1
	v_bfe_u32 v42, v35, 16, 1
	v_add3_u32 v42, v35, v42, s23
                                        ; implicit-def: $vgpr35
; %bb.223:                              ;   in Loop: Header=BB324_9 Depth=1
	s_andn2_saveexec_b64 s[20:21], s[4:5]
; %bb.224:                              ;   in Loop: Header=BB324_9 Depth=1
	v_or_b32_e32 v42, 0x10000, v35
	v_cmp_eq_u32_sdwa s[4:5], v35, v5 src0_sel:WORD_0 src1_sel:DWORD
	s_nop 1
	v_cndmask_b32_e64 v42, v42, v35, s[4:5]
; %bb.225:                              ;   in Loop: Header=BB324_9 Depth=1
	s_or_b64 exec, exec, s[20:21]
	flat_load_ushort v35, v[16:17] offset:3336
	s_waitcnt vmcnt(0) lgkmcnt(0)
	v_and_b32_sdwa v43, s17, v35 dst_sel:DWORD dst_unused:UNUSED_PAD src0_sel:DWORD src1_sel:BYTE_0
	v_cvt_f32_fp8_sdwa v43, v43 src0_sel:BYTE_0
	s_nop 0
	v_mul_f32_e32 v45, v44, v43
	v_and_b32_e32 v43, 0x7f800000, v45
	v_cmp_ne_u32_e64 s[4:5], s22, v43
                                        ; implicit-def: $vgpr43
	s_and_saveexec_b64 s[20:21], s[4:5]
	s_xor_b64 s[4:5], exec, s[20:21]
; %bb.226:                              ;   in Loop: Header=BB324_9 Depth=1
	v_bfe_u32 v43, v45, 16, 1
	v_add3_u32 v43, v45, v43, s23
                                        ; implicit-def: $vgpr45
; %bb.227:                              ;   in Loop: Header=BB324_9 Depth=1
	s_andn2_saveexec_b64 s[20:21], s[4:5]
; %bb.228:                              ;   in Loop: Header=BB324_9 Depth=1
	v_or_b32_e32 v43, 0x10000, v45
	v_cmp_eq_u32_sdwa s[4:5], v45, v5 src0_sel:WORD_0 src1_sel:DWORD
	s_nop 1
	v_cndmask_b32_e64 v43, v43, v45, s[4:5]
; %bb.229:                              ;   in Loop: Header=BB324_9 Depth=1
	s_or_b64 exec, exec, s[20:21]
	v_lshrrev_b16_e32 v35, 8, v35
	v_cvt_f32_fp8_sdwa v35, v35 src0_sel:BYTE_0
	s_nop 0
	v_mul_f32_e32 v35, v44, v35
	v_and_b32_e32 v45, 0x7f800000, v35
	v_cmp_ne_u32_e64 s[4:5], s22, v45
                                        ; implicit-def: $vgpr45
	s_and_saveexec_b64 s[20:21], s[4:5]
	s_xor_b64 s[4:5], exec, s[20:21]
; %bb.230:                              ;   in Loop: Header=BB324_9 Depth=1
	v_bfe_u32 v45, v35, 16, 1
	v_add3_u32 v45, v35, v45, s23
                                        ; implicit-def: $vgpr35
; %bb.231:                              ;   in Loop: Header=BB324_9 Depth=1
	s_andn2_saveexec_b64 s[20:21], s[4:5]
; %bb.232:                              ;   in Loop: Header=BB324_9 Depth=1
	v_or_b32_e32 v45, 0x10000, v35
	v_cmp_eq_u32_sdwa s[4:5], v35, v5 src0_sel:WORD_0 src1_sel:DWORD
	s_nop 1
	v_cndmask_b32_e64 v45, v45, v35, s[4:5]
; %bb.233:                              ;   in Loop: Header=BB324_9 Depth=1
	s_or_b64 exec, exec, s[20:21]
	flat_load_ushort v35, v[16:17] offset:3584
	s_waitcnt vmcnt(0) lgkmcnt(0)
	v_and_b32_sdwa v46, s17, v35 dst_sel:DWORD dst_unused:UNUSED_PAD src0_sel:DWORD src1_sel:BYTE_0
	v_cvt_f32_fp8_sdwa v46, v46 src0_sel:BYTE_0
	s_nop 0
	v_mul_f32_e32 v47, v44, v46
	v_and_b32_e32 v46, 0x7f800000, v47
	v_cmp_ne_u32_e64 s[4:5], s22, v46
                                        ; implicit-def: $vgpr46
	s_and_saveexec_b64 s[20:21], s[4:5]
	s_xor_b64 s[4:5], exec, s[20:21]
; %bb.234:                              ;   in Loop: Header=BB324_9 Depth=1
	v_bfe_u32 v46, v47, 16, 1
	v_add3_u32 v46, v47, v46, s23
                                        ; implicit-def: $vgpr47
; %bb.235:                              ;   in Loop: Header=BB324_9 Depth=1
	s_andn2_saveexec_b64 s[20:21], s[4:5]
; %bb.236:                              ;   in Loop: Header=BB324_9 Depth=1
	v_or_b32_e32 v46, 0x10000, v47
	v_cmp_eq_u32_sdwa s[4:5], v47, v5 src0_sel:WORD_0 src1_sel:DWORD
	s_nop 1
	v_cndmask_b32_e64 v46, v46, v47, s[4:5]
; %bb.237:                              ;   in Loop: Header=BB324_9 Depth=1
	s_or_b64 exec, exec, s[20:21]
	v_lshrrev_b16_e32 v35, 8, v35
	v_cvt_f32_fp8_sdwa v35, v35 src0_sel:BYTE_0
	s_nop 0
	v_mul_f32_e32 v35, v44, v35
	v_and_b32_e32 v47, 0x7f800000, v35
	v_cmp_ne_u32_e64 s[4:5], s22, v47
                                        ; implicit-def: $vgpr47
	s_and_saveexec_b64 s[20:21], s[4:5]
	s_xor_b64 s[4:5], exec, s[20:21]
; %bb.238:                              ;   in Loop: Header=BB324_9 Depth=1
	v_bfe_u32 v47, v35, 16, 1
	v_add3_u32 v47, v35, v47, s23
                                        ; implicit-def: $vgpr35
; %bb.239:                              ;   in Loop: Header=BB324_9 Depth=1
	s_andn2_saveexec_b64 s[20:21], s[4:5]
; %bb.240:                              ;   in Loop: Header=BB324_9 Depth=1
	v_or_b32_e32 v47, 0x10000, v35
	v_cmp_eq_u32_sdwa s[4:5], v35, v5 src0_sel:WORD_0 src1_sel:DWORD
	s_nop 1
	v_cndmask_b32_e64 v47, v47, v35, s[4:5]
; %bb.241:                              ;   in Loop: Header=BB324_9 Depth=1
	s_or_b64 exec, exec, s[20:21]
	flat_load_ushort v35, v[16:17] offset:3592
	s_waitcnt vmcnt(0) lgkmcnt(0)
	v_and_b32_sdwa v56, s17, v35 dst_sel:DWORD dst_unused:UNUSED_PAD src0_sel:DWORD src1_sel:BYTE_0
	v_cvt_f32_fp8_sdwa v56, v56 src0_sel:BYTE_0
	s_nop 0
	v_mul_f32_e32 v57, v44, v56
	v_and_b32_e32 v56, 0x7f800000, v57
	v_cmp_ne_u32_e64 s[4:5], s22, v56
                                        ; implicit-def: $vgpr56
	s_and_saveexec_b64 s[20:21], s[4:5]
	s_xor_b64 s[4:5], exec, s[20:21]
; %bb.242:                              ;   in Loop: Header=BB324_9 Depth=1
	v_bfe_u32 v56, v57, 16, 1
	v_add3_u32 v56, v57, v56, s23
                                        ; implicit-def: $vgpr57
; %bb.243:                              ;   in Loop: Header=BB324_9 Depth=1
	s_andn2_saveexec_b64 s[20:21], s[4:5]
; %bb.244:                              ;   in Loop: Header=BB324_9 Depth=1
	v_or_b32_e32 v56, 0x10000, v57
	v_cmp_eq_u32_sdwa s[4:5], v57, v5 src0_sel:WORD_0 src1_sel:DWORD
	s_nop 1
	v_cndmask_b32_e64 v56, v56, v57, s[4:5]
; %bb.245:                              ;   in Loop: Header=BB324_9 Depth=1
	s_or_b64 exec, exec, s[20:21]
	v_lshrrev_b16_e32 v35, 8, v35
	v_cvt_f32_fp8_sdwa v35, v35 src0_sel:BYTE_0
	s_nop 0
	v_mul_f32_e32 v35, v44, v35
	v_and_b32_e32 v57, 0x7f800000, v35
	v_cmp_ne_u32_e64 s[4:5], s22, v57
                                        ; implicit-def: $vgpr57
	s_and_saveexec_b64 s[20:21], s[4:5]
	s_xor_b64 s[4:5], exec, s[20:21]
; %bb.246:                              ;   in Loop: Header=BB324_9 Depth=1
	v_bfe_u32 v57, v35, 16, 1
	v_add3_u32 v57, v35, v57, s23
                                        ; implicit-def: $vgpr35
; %bb.247:                              ;   in Loop: Header=BB324_9 Depth=1
	s_andn2_saveexec_b64 s[20:21], s[4:5]
; %bb.248:                              ;   in Loop: Header=BB324_9 Depth=1
	v_or_b32_e32 v57, 0x10000, v35
	v_cmp_eq_u32_sdwa s[4:5], v35, v5 src0_sel:WORD_0 src1_sel:DWORD
	s_nop 1
	v_cndmask_b32_e64 v57, v57, v35, s[4:5]
; %bb.249:                              ;   in Loop: Header=BB324_9 Depth=1
	s_or_b64 exec, exec, s[20:21]
	flat_load_ushort v35, v[16:17] offset:3840
	s_waitcnt vmcnt(0) lgkmcnt(0)
	v_and_b32_sdwa v58, s17, v35 dst_sel:DWORD dst_unused:UNUSED_PAD src0_sel:DWORD src1_sel:BYTE_0
	v_cvt_f32_fp8_sdwa v58, v58 src0_sel:BYTE_0
	s_nop 0
	v_mul_f32_e32 v59, v44, v58
	v_and_b32_e32 v58, 0x7f800000, v59
	v_cmp_ne_u32_e64 s[4:5], s22, v58
                                        ; implicit-def: $vgpr58
	s_and_saveexec_b64 s[20:21], s[4:5]
	s_xor_b64 s[4:5], exec, s[20:21]
; %bb.250:                              ;   in Loop: Header=BB324_9 Depth=1
	v_bfe_u32 v58, v59, 16, 1
	v_add3_u32 v58, v59, v58, s23
                                        ; implicit-def: $vgpr59
; %bb.251:                              ;   in Loop: Header=BB324_9 Depth=1
	s_andn2_saveexec_b64 s[20:21], s[4:5]
; %bb.252:                              ;   in Loop: Header=BB324_9 Depth=1
	v_or_b32_e32 v58, 0x10000, v59
	v_cmp_eq_u32_sdwa s[4:5], v59, v5 src0_sel:WORD_0 src1_sel:DWORD
	s_nop 1
	v_cndmask_b32_e64 v58, v58, v59, s[4:5]
; %bb.253:                              ;   in Loop: Header=BB324_9 Depth=1
	s_or_b64 exec, exec, s[20:21]
	v_lshrrev_b16_e32 v35, 8, v35
	v_cvt_f32_fp8_sdwa v35, v35 src0_sel:BYTE_0
	s_nop 0
	v_mul_f32_e32 v59, v44, v35
	v_and_b32_e32 v35, 0x7f800000, v59
	v_cmp_ne_u32_e64 s[4:5], s22, v35
                                        ; implicit-def: $vgpr35
	s_and_saveexec_b64 s[20:21], s[4:5]
	s_xor_b64 s[4:5], exec, s[20:21]
; %bb.254:                              ;   in Loop: Header=BB324_9 Depth=1
	v_bfe_u32 v35, v59, 16, 1
	v_add3_u32 v35, v59, v35, s23
                                        ; implicit-def: $vgpr59
; %bb.255:                              ;   in Loop: Header=BB324_9 Depth=1
	s_andn2_saveexec_b64 s[20:21], s[4:5]
; %bb.256:                              ;   in Loop: Header=BB324_9 Depth=1
	v_or_b32_e32 v35, 0x10000, v59
	v_cmp_eq_u32_sdwa s[4:5], v59, v5 src0_sel:WORD_0 src1_sel:DWORD
	s_nop 1
	v_cndmask_b32_e64 v35, v35, v59, s[4:5]
; %bb.257:                              ;   in Loop: Header=BB324_9 Depth=1
	s_or_b64 exec, exec, s[20:21]
	flat_load_ushort v17, v[16:17] offset:3848
	s_waitcnt vmcnt(0) lgkmcnt(0)
	v_and_b32_sdwa v16, s17, v17 dst_sel:DWORD dst_unused:UNUSED_PAD src0_sel:DWORD src1_sel:BYTE_0
	v_cvt_f32_fp8_sdwa v16, v16 src0_sel:BYTE_0
	s_nop 0
	v_mul_f32_e32 v59, v44, v16
	v_and_b32_e32 v16, 0x7f800000, v59
	v_cmp_ne_u32_e64 s[4:5], s22, v16
                                        ; implicit-def: $vgpr16
	s_and_saveexec_b64 s[20:21], s[4:5]
	s_xor_b64 s[4:5], exec, s[20:21]
; %bb.258:                              ;   in Loop: Header=BB324_9 Depth=1
	v_bfe_u32 v16, v59, 16, 1
	v_add3_u32 v16, v59, v16, s23
                                        ; implicit-def: $vgpr59
; %bb.259:                              ;   in Loop: Header=BB324_9 Depth=1
	s_andn2_saveexec_b64 s[20:21], s[4:5]
; %bb.260:                              ;   in Loop: Header=BB324_9 Depth=1
	v_or_b32_e32 v16, 0x10000, v59
	v_cmp_eq_u32_sdwa s[4:5], v59, v5 src0_sel:WORD_0 src1_sel:DWORD
	s_nop 1
	v_cndmask_b32_e64 v16, v16, v59, s[4:5]
; %bb.261:                              ;   in Loop: Header=BB324_9 Depth=1
	s_or_b64 exec, exec, s[20:21]
	v_lshrrev_b16_e32 v17, 8, v17
	v_cvt_f32_fp8_sdwa v17, v17 src0_sel:BYTE_0
	s_nop 0
	v_mul_f32_e32 v44, v44, v17
	v_and_b32_e32 v17, 0x7f800000, v44
	v_cmp_ne_u32_e64 s[4:5], s22, v17
                                        ; implicit-def: $vgpr17
	s_and_saveexec_b64 s[20:21], s[4:5]
	s_xor_b64 s[4:5], exec, s[20:21]
; %bb.262:                              ;   in Loop: Header=BB324_9 Depth=1
	v_bfe_u32 v17, v44, 16, 1
	v_add3_u32 v17, v44, v17, s23
                                        ; implicit-def: $vgpr44
; %bb.263:                              ;   in Loop: Header=BB324_9 Depth=1
	s_andn2_saveexec_b64 s[20:21], s[4:5]
; %bb.264:                              ;   in Loop: Header=BB324_9 Depth=1
	v_or_b32_e32 v17, 0x10000, v44
	v_cmp_eq_u32_sdwa s[4:5], v44, v5 src0_sel:WORD_0 src1_sel:DWORD
	s_nop 1
	v_cndmask_b32_e64 v17, v17, v44, s[4:5]
; %bb.265:                              ;   in Loop: Header=BB324_9 Depth=1
	s_or_b64 exec, exec, s[20:21]
	v_and_b32_e32 v59, 0xffff0000, v9
	scratch_load_dword v9, off, s32 offset:208 ; 4-byte Folded Reload
	v_accvgpr_read_b32 v44, a31
	v_and_b32_e32 v44, 0xffff0000, v44
	v_and_b32_e32 v60, 0xffff0000, v60
	v_and_b32_e32 v8, 0xffff0000, v8
	v_and_b32_e32 v2, 0xffff0000, v2
	v_and_b32_e32 v0, 0xffff0000, v0
	s_waitcnt vmcnt(0)
	v_mul_f32_e32 v44, v9, v44
	scratch_load_dword v9, off, s32 offset:200 ; 4-byte Folded Reload
	s_waitcnt vmcnt(0)
	v_fmac_f32_e32 v44, v9, v59
	v_accvgpr_read_b32 v9, a32
	v_and_b32_e32 v59, 0xffff0000, v9
	scratch_load_dword v9, off, s32 offset:212 ; 4-byte Folded Reload
	s_waitcnt vmcnt(0)
	v_mul_f32_e32 v59, v9, v59
	scratch_load_dword v9, off, s32 offset:204 ; 4-byte Folded Reload
	s_waitcnt vmcnt(0)
	v_fmac_f32_e32 v59, v9, v60
	v_accvgpr_read_b32 v9, a33
	v_and_b32_e32 v60, 0xffff0000, v9
	scratch_load_dword v9, off, s32 offset:216 ; 4-byte Folded Reload
	s_waitcnt vmcnt(0)
	v_fmac_f32_e32 v44, v9, v60
	v_accvgpr_read_b32 v9, a34
	v_and_b32_e32 v60, 0xffff0000, v9
	;; [unrolled: 5-line block ×7, first 2 shown]
	scratch_load_dword v9, off, s32 offset:240 ; 4-byte Folded Reload
	s_waitcnt vmcnt(0)
	v_fmac_f32_e32 v44, v9, v60
	scratch_load_dword v60, off, s32 offset:244 ; 4-byte Folded Reload
	v_accvgpr_read_b32 v9, a39
	v_and_b32_e32 v9, 0xffff0000, v9
	s_waitcnt vmcnt(0)
	v_fmac_f32_e32 v59, v60, v9
	scratch_load_dword v60, off, s32 offset:248 ; 4-byte Folded Reload
	v_and_b32_e32 v9, 0xffff0000, v61
	s_waitcnt vmcnt(0)
	v_fmac_f32_e32 v44, v60, v9
	scratch_load_dword v60, off, s32 offset:252 ; 4-byte Folded Reload
	v_and_b32_e32 v9, 0xffff0000, v62
	s_waitcnt vmcnt(0)
	v_fmac_f32_e32 v59, v60, v9
	scratch_load_dword v60, off, s32 offset:256 ; 4-byte Folded Reload
	v_and_b32_e32 v9, 0xffff0000, v63
	s_waitcnt vmcnt(0)
	v_fmac_f32_e32 v44, v60, v9
	scratch_load_dword v9, off, s32 offset:260 ; 4-byte Folded Reload
	s_waitcnt vmcnt(0)
	v_fmac_f32_e32 v59, v9, v8
	scratch_load_dword v8, off, s32 offset:264 ; 4-byte Folded Reload
	s_waitcnt vmcnt(0)
	v_fmac_f32_e32 v44, v8, v2
	v_and_b32_e32 v2, 0xffff0000, v3
	scratch_load_dword v3, off, s32 offset:268 ; 4-byte Folded Reload
	s_waitcnt vmcnt(0)
	v_fmac_f32_e32 v59, v3, v2
	v_and_b32_e32 v2, 0xffff0000, v24
	v_accvgpr_read_b32 v3, a40
	v_fmac_f32_e32 v44, v3, v2
	v_and_b32_e32 v2, 0xffff0000, v25
	v_accvgpr_read_b32 v3, a41
	;; [unrolled: 3-line block ×27, first 2 shown]
	v_fmac_f32_e32 v44, v3, v2
	v_accvgpr_read_b32 v2, a16
	v_fmac_f32_e32 v59, v2, v0
	v_and_b32_e32 v0, 0xffff0000, v1
	v_accvgpr_read_b32 v1, a17
	v_fmac_f32_e32 v44, v1, v0
	v_and_b32_e32 v0, 0xffff0000, v12
	v_accvgpr_read_b32 v1, a21
	v_fmac_f32_e32 v59, v1, v0
	v_and_b32_e32 v0, 0xffff0000, v13
	v_accvgpr_read_b32 v1, a20
	v_fmac_f32_e32 v44, v1, v0
	v_and_b32_e32 v0, 0xffff0000, v51
	v_accvgpr_read_b32 v1, a14
	v_fmac_f32_e32 v59, v1, v0
	v_and_b32_e32 v0, 0xffff0000, v21
	v_accvgpr_read_b32 v1, a12
	v_fmac_f32_e32 v44, v1, v0
	v_and_b32_e32 v0, 0xffff0000, v20
	v_accvgpr_read_b32 v1, a13
	v_fmac_f32_e32 v59, v1, v0
	v_and_b32_e32 v0, 0xffff0000, v41
	v_accvgpr_read_b32 v1, a10
	v_fmac_f32_e32 v44, v1, v0
	v_and_b32_e32 v0, 0xffff0000, v42
	v_accvgpr_read_b32 v1, a11
	v_fmac_f32_e32 v59, v1, v0
	v_and_b32_e32 v0, 0xffff0000, v43
	v_accvgpr_read_b32 v1, a8
	v_fmac_f32_e32 v44, v1, v0
	v_and_b32_e32 v0, 0xffff0000, v45
	v_accvgpr_read_b32 v1, a9
	v_fmac_f32_e32 v59, v1, v0
	v_and_b32_e32 v0, 0xffff0000, v46
	v_accvgpr_read_b32 v1, a6
	v_fmac_f32_e32 v44, v1, v0
	v_and_b32_e32 v0, 0xffff0000, v47
	v_accvgpr_read_b32 v1, a7
	v_fmac_f32_e32 v59, v1, v0
	v_and_b32_e32 v0, 0xffff0000, v56
	v_accvgpr_read_b32 v1, a3
	v_fmac_f32_e32 v44, v1, v0
	v_and_b32_e32 v0, 0xffff0000, v57
	v_accvgpr_read_b32 v1, a22
	v_fmac_f32_e32 v59, v1, v0
	v_and_b32_e32 v0, 0xffff0000, v58
	v_accvgpr_read_b32 v1, a23
	v_fmac_f32_e32 v44, v1, v0
	v_and_b32_e32 v0, 0xffff0000, v35
	v_accvgpr_read_b32 v1, a24
	v_fmac_f32_e32 v59, v1, v0
	v_and_b32_e32 v0, 0xffff0000, v16
	v_accvgpr_read_b32 v1, a25
	v_fmac_f32_e32 v44, v1, v0
	v_and_b32_e32 v0, 0xffff0000, v17
	v_accvgpr_read_b32 v1, a26
	v_fmac_f32_e32 v59, v1, v0
	v_add_f32_e32 v0, v44, v59
	v_accvgpr_read_b32 v1, a27
	ds_bpermute_b32 v1, v1, v0
	s_waitcnt lgkmcnt(0)
	v_add_f32_e32 v0, v0, v1
	v_accvgpr_read_b32 v1, a30
	ds_bpermute_b32 v1, v1, v0
	s_and_saveexec_b64 s[20:21], vcc
	s_cbranch_execz .LBB324_8
; %bb.266:                              ;   in Loop: Header=BB324_9 Depth=1
	s_waitcnt lgkmcnt(0)
	v_add_f32_e32 v0, v0, v1
	scratch_load_dword v1, off, s32 offset:272 ; 4-byte Folded Reload
	scratch_load_dword v3, off, s32 offset:276 ; 4-byte Folded Reload
	v_sub_u32_e32 v2, 1, v27
	v_add_u32_e32 v2, v2, v54
	v_cvt_f32_i32_e32 v2, v2
	s_load_dword s4, s[8:9], 0x0
	s_waitcnt vmcnt(1)
	v_mul_f32_e32 v1, v1, v2
	v_cndmask_b32_e64 v1, 0, v1, s[2:3]
	s_waitcnt lgkmcnt(0)
	v_add_u32_e32 v2, s4, v55
	s_waitcnt vmcnt(0)
	v_fmac_f32_e32 v1, v0, v3
	v_cmp_lt_i32_e64 s[4:5], v54, v27
	s_nop 1
	v_cndmask_b32_e64 v0, 0, v1, s[4:5]
	ds_write_b32 v2, v0
	scratch_load_dword v2, off, s32 offset:196 ; 4-byte Folded Reload
	s_waitcnt vmcnt(0)
	v_max_f32_e32 v0, v2, v2
	v_max_f32_e32 v0, v0, v1
	v_cndmask_b32_e64 v2, v2, v0, s[4:5]
	scratch_store_dword off, v2, s32 offset:196 ; 4-byte Folded Spill
	s_branch .LBB324_8
.LBB324_267:
	s_or_b64 exec, exec, s[18:19]
	scratch_load_dword v15, off, s32 offset:280 ; 4-byte Folded Reload
	scratch_load_dwordx2 v[10:11], off, s32 offset:336 ; 8-byte Folded Reload
	scratch_load_dwordx2 v[22:23], off, s32 offset:328 ; 8-byte Folded Reload
	;; [unrolled: 1-line block ×4, first 2 shown]
	scratch_load_dword v25, off, s32 offset:308 ; 4-byte Folded Reload
	scratch_load_dwordx2 v[36:37], off, s32 offset:292 ; 8-byte Folded Reload
	scratch_load_dword v16, off, s32 offset:304 ; 4-byte Folded Reload
	scratch_load_dword v17, off, s32 offset:300 ; 4-byte Folded Reload
	;; [unrolled: 1-line block ×3, first 2 shown]
.LBB324_268:
	s_or_b64 exec, exec, s[6:7]
	s_waitcnt vmcnt(2)
	v_xor_b32_e32 v0, 32, v16
	s_waitcnt vmcnt(1)
	v_cmp_lt_i32_e32 vcc, v0, v17
	s_waitcnt vmcnt(0)
	v_max_f32_e32 v2, v3, v3
	v_xor_b32_e32 v4, 8, v16
	v_cndmask_b32_e32 v0, v16, v0, vcc
	s_waitcnt lgkmcnt(0)
	v_lshlrev_b32_e32 v1, 2, v0
	ds_bpermute_b32 v0, v1, v3
	v_xor_b32_e32 v3, 16, v16
	v_cmp_lt_i32_e32 vcc, v3, v17
	v_and_b32_e32 v18, 63, v15
	s_lshr_b32 s15, s15, 16
	s_waitcnt lgkmcnt(0)
	v_max_f32_e32 v0, v0, v0
	v_max_f32_e32 v0, v2, v0
	v_cndmask_b32_e32 v2, v16, v3, vcc
	v_lshlrev_b32_e32 v2, 2, v2
	ds_bpermute_b32 v3, v2, v0
	v_cmp_lt_i32_e32 vcc, v4, v17
	s_waitcnt lgkmcnt(0)
	v_max_f32_e32 v3, v3, v3
	v_max_f32_e32 v0, v0, v3
	v_cndmask_b32_e32 v3, v16, v4, vcc
	v_lshlrev_b32_e32 v5, 2, v3
	ds_bpermute_b32 v3, v5, v0
	v_xor_b32_e32 v4, 4, v16
	v_cmp_lt_i32_e32 vcc, v4, v17
	s_waitcnt lgkmcnt(0)
	v_max_f32_e32 v3, v3, v3
	v_max_f32_e32 v0, v0, v3
	v_cndmask_b32_e32 v3, v16, v4, vcc
	v_lshlrev_b32_e32 v6, 2, v3
	ds_bpermute_b32 v4, v6, v0
	v_accvgpr_read_b32 v3, a5
	v_cmp_eq_u32_e32 vcc, 0, v18
	v_lshlrev_b32_e32 v3, 2, v3
	s_and_saveexec_b64 s[2:3], vcc
	s_cbranch_execz .LBB324_270
; %bb.269:
	s_waitcnt lgkmcnt(0)
	v_max_f32_e32 v4, v4, v4
	v_max_f32_e32 v0, v0, v0
	;; [unrolled: 1-line block ×3, first 2 shown]
	ds_write_b32 v3, v0 offset:512
.LBB324_270:
	s_or_b64 exec, exec, s[2:3]
	v_cmp_gt_u32_e64 s[2:3], 2, v18
	v_mov_b32_e32 v0, 0xff7fffff
	s_waitcnt lgkmcnt(0)
	v_lshlrev_b32_e32 v4, 2, v18
	s_barrier
	s_and_saveexec_b64 s[4:5], s[2:3]
	s_cbranch_execz .LBB324_272
; %bb.271:
	ds_read_b32 v0, v4 offset:512
.LBB324_272:
	s_or_b64 exec, exec, s[4:5]
	v_xor_b32_e32 v7, 1, v16
	v_cmp_lt_i32_e64 s[4:5], v7, v17
	v_lshlrev_b32_e32 v8, 2, v16
	v_mov_b32_e32 v9, 0
	v_cndmask_b32_e64 v7, v16, v7, s[4:5]
	v_lshlrev_b32_e32 v19, 2, v7
	s_waitcnt lgkmcnt(0)
	ds_bpermute_b32 v7, v19, v0
	v_max_f32_e32 v0, v0, v0
	s_waitcnt lgkmcnt(0)
	v_max_f32_e32 v7, v7, v7
	v_max_f32_e32 v0, v0, v7
	v_and_b32_e32 v7, 0xffffff00, v8
	ds_bpermute_b32 v8, v7, v0
	scratch_load_dword v0, off, s32 offset:192 ; 4-byte Folded Reload
	s_waitcnt vmcnt(0)
	v_lshlrev_b32_e32 v0, 4, v0
	v_min_i32_e32 v0, v0, v27
	v_cmp_lt_i32_e64 s[4:5], v15, v0
	s_and_saveexec_b64 s[8:9], s[4:5]
	s_cbranch_execz .LBB324_276
; %bb.273:
	s_ashr_i32 s17, s16, 31
	s_lshl_b64 s[6:7], s[16:17], 2
	s_getpc_b64 s[18:19]
	s_add_u32 s18, s18, llvm.amdgcn.dynlds.offset.table@rel32@lo+4
	s_addc_u32 s19, s19, llvm.amdgcn.dynlds.offset.table@rel32@hi+12
	s_add_u32 s6, s6, s18
	s_addc_u32 s7, s7, s19
	s_load_dword s6, s[6:7], 0x0
	s_mov_b64 s[18:19], 0
	v_mov_b32_e32 v9, 0
	v_mov_b32_e32 v14, v15
	s_waitcnt lgkmcnt(0)
	v_lshl_add_u32 v13, v15, 2, s6
.LBB324_274:                            ; =>This Inner Loop Header: Depth=1
	ds_read_b32 v12, v13
	v_add_u32_e32 v14, 0x80, v14
	v_cmp_ge_i32_e64 s[6:7], v14, v0
	s_or_b64 s[18:19], s[6:7], s[18:19]
	s_waitcnt lgkmcnt(0)
	v_sub_f32_e32 v12, v12, v8
	v_mul_f32_e32 v12, 0x3fb8aa3b, v12
	v_exp_f32_e32 v12, v12
	ds_write_b32 v13, v12
	v_add_f32_e32 v9, v9, v12
	v_add_u32_e32 v13, 0x200, v13
	s_andn2_b64 exec, exec, s[18:19]
	s_cbranch_execnz .LBB324_274
; %bb.275:
	s_or_b64 exec, exec, s[18:19]
.LBB324_276:
	s_or_b64 exec, exec, s[8:9]
	ds_bpermute_b32 v1, v1, v9
	s_waitcnt lgkmcnt(0)
	v_add_f32_e32 v1, v9, v1
	ds_bpermute_b32 v2, v2, v1
	s_waitcnt lgkmcnt(0)
	v_add_f32_e32 v1, v1, v2
	ds_bpermute_b32 v2, v5, v1
	v_xor_b32_e32 v5, 2, v16
	v_cmp_lt_i32_e64 s[6:7], v5, v17
	s_waitcnt lgkmcnt(0)
	v_add_f32_e32 v1, v1, v2
	ds_bpermute_b32 v2, v6, v1
	v_cndmask_b32_e64 v5, v16, v5, s[6:7]
	s_waitcnt lgkmcnt(0)
	v_add_f32_e32 v1, v1, v2
	v_lshlrev_b32_e32 v2, 2, v5
	ds_bpermute_b32 v2, v2, v1
	s_waitcnt lgkmcnt(0)
	v_add_f32_e32 v1, v1, v2
	ds_bpermute_b32 v2, v19, v1
	s_waitcnt lgkmcnt(0)
	v_add_f32_e32 v1, v1, v2
	s_and_saveexec_b64 s[6:7], vcc
	s_cbranch_execz .LBB324_278
; %bb.277:
	ds_write_b32 v3, v1 offset:520
.LBB324_278:
	s_or_b64 exec, exec, s[6:7]
	s_waitcnt lgkmcnt(0)
	s_barrier
	s_and_saveexec_b64 s[6:7], s[2:3]
	s_cbranch_execz .LBB324_280
; %bb.279:
	ds_read_b32 v1, v4 offset:520
.LBB324_280:
	s_or_b64 exec, exec, s[6:7]
	s_waitcnt lgkmcnt(0)
	ds_bpermute_b32 v2, v19, v1
	s_waitcnt lgkmcnt(0)
	v_add_f32_e32 v1, v1, v2
	ds_bpermute_b32 v1, v7, v1
	s_and_saveexec_b64 s[2:3], s[4:5]
	s_cbranch_execz .LBB324_293
; %bb.281:
	s_waitcnt lgkmcnt(0)
	v_add_f32_e32 v1, 0x358637bd, v1
	v_div_scale_f32 v2, s[4:5], v1, v1, 1.0
	v_rcp_f32_e32 v3, v2
	v_div_scale_f32 v4, vcc, 1.0, v1, 1.0
	s_movk_i32 s4, 0x7f
	v_fma_f32 v5, -v2, v3, 1.0
	v_fmac_f32_e32 v3, v5, v3
	v_mul_f32_e32 v5, v4, v3
	v_fma_f32 v6, -v2, v5, v4
	v_fmac_f32_e32 v5, v6, v3
	v_fma_f32 v2, -v2, v5, v4
	v_div_fmas_f32 v2, v2, v3, v5
	v_div_fixup_f32 v4, v2, v1, 1.0
	v_xad_u32 v2, v15, -1, v0
	v_cmp_lt_u32_e32 vcc, s4, v2
	s_mov_b64 s[6:7], -1
	v_mov_b32_e32 v1, v15
	s_and_saveexec_b64 s[4:5], vcc
	s_cbranch_execz .LBB324_290
; %bb.282:
	v_lshrrev_b32_e32 v1, 7, v2
	v_add_u32_e32 v3, -1, v1
	v_lshrrev_b32_e32 v2, 1, v3
	v_mov_b32_e32 v5, v4
	v_add_u32_e32 v2, 1, v2
	v_cmp_lt_u32_e32 vcc, 13, v3
	v_mov_b32_e32 v7, 0
	s_and_saveexec_b64 s[6:7], vcc
	s_cbranch_execz .LBB324_286
; %bb.283:
	s_ashr_i32 s17, s16, 31
	s_lshl_b64 s[8:9], s[16:17], 2
	s_getpc_b64 s[18:19]
	s_add_u32 s18, s18, llvm.amdgcn.dynlds.offset.table@rel32@lo+4
	s_addc_u32 s19, s19, llvm.amdgcn.dynlds.offset.table@rel32@hi+12
	s_add_u32 s8, s8, s18
	s_addc_u32 s9, s9, s19
	s_load_dword s8, s[8:9], 0x0
	v_and_b32_e32 v3, -8, v2
	s_mov_b32 s17, 0
	s_waitcnt lgkmcnt(0)
	v_lshl_add_u32 v6, v15, 2, s8
	s_mov_b64 s[8:9], 0
.LBB324_284:                            ; =>This Inner Loop Header: Depth=1
	ds_read2st64_b32 v[8:9], v6 offset1:2
	ds_read2st64_b32 v[16:17], v6 offset0:4 offset1:6
	ds_read2st64_b32 v[12:13], v6 offset0:8 offset1:10
	ds_read2st64_b32 v[14:15], v6 offset0:12 offset1:14
	v_add_u32_e32 v3, -8, v3
	s_waitcnt lgkmcnt(3)
	v_pk_mul_f32 v[8:9], v[4:5], v[8:9]
	s_waitcnt lgkmcnt(2)
	v_pk_mul_f32 v[16:17], v[4:5], v[16:17]
	ds_write2st64_b32 v6, v8, v9 offset1:2
	ds_write2st64_b32 v6, v16, v17 offset0:4 offset1:6
	s_waitcnt lgkmcnt(3)
	v_pk_mul_f32 v[8:9], v[4:5], v[12:13]
	ds_read2st64_b32 v[12:13], v6 offset0:16 offset1:18
	ds_write2st64_b32 v6, v8, v9 offset0:8 offset1:10
	s_waitcnt lgkmcnt(4)
	v_pk_mul_f32 v[8:9], v[4:5], v[14:15]
	ds_write2st64_b32 v6, v8, v9 offset0:12 offset1:14
	ds_read2st64_b32 v[8:9], v6 offset0:20 offset1:22
	s_waitcnt lgkmcnt(3)
	v_pk_mul_f32 v[14:15], v[4:5], v[12:13]
	ds_read2st64_b32 v[12:13], v6 offset0:24 offset1:26
	ds_write2st64_b32 v6, v14, v15 offset0:16 offset1:18
	ds_read2st64_b32 v[14:15], v6 offset0:28 offset1:30
	s_waitcnt lgkmcnt(3)
	v_pk_mul_f32 v[8:9], v[4:5], v[8:9]
	ds_write2st64_b32 v6, v8, v9 offset0:20 offset1:22
	s_waitcnt lgkmcnt(3)
	v_pk_mul_f32 v[8:9], v[4:5], v[12:13]
	ds_write2st64_b32 v6, v8, v9 offset0:24 offset1:26
	s_waitcnt lgkmcnt(2)
	v_pk_mul_f32 v[8:9], v[4:5], v[14:15]
	s_add_i32 s17, s17, 16
	v_cmp_eq_u32_e32 vcc, 0, v3
	ds_write2st64_b32 v6, v8, v9 offset0:28 offset1:30
	v_add_u32_e32 v6, 0x2000, v6
	s_or_b64 s[8:9], vcc, s[8:9]
	v_mov_b32_e32 v7, s17
	s_andn2_b64 exec, exec, s[8:9]
	s_cbranch_execnz .LBB324_284
; %bb.285:
	s_or_b64 exec, exec, s[8:9]
	scratch_load_dword v15, off, s32 offset:280 ; 4-byte Folded Reload
.LBB324_286:
	s_or_b64 exec, exec, s[6:7]
	v_and_b32_e32 v2, 7, v2
	v_cmp_ne_u32_e32 vcc, 0, v2
	s_and_saveexec_b64 s[6:7], vcc
	s_cbranch_execz .LBB324_289
; %bb.287:
	s_ashr_i32 s17, s16, 31
	s_lshl_b64 s[8:9], s[16:17], 2
	s_getpc_b64 s[18:19]
	s_add_u32 s18, s18, llvm.amdgcn.dynlds.offset.table@rel32@lo+4
	s_addc_u32 s19, s19, llvm.amdgcn.dynlds.offset.table@rel32@hi+12
	s_add_u32 s8, s8, s18
	s_addc_u32 s9, s9, s19
	s_load_dword s8, s[8:9], 0x0
	v_lshlrev_b32_e32 v3, 9, v7
	s_waitcnt vmcnt(0)
	v_lshlrev_b32_e32 v6, 2, v15
	s_waitcnt lgkmcnt(0)
	v_add3_u32 v3, v3, v6, s8
	s_mov_b64 s[8:9], 0
.LBB324_288:                            ; =>This Inner Loop Header: Depth=1
	ds_read2st64_b32 v[6:7], v3 offset1:2
	v_add_u32_e32 v2, -1, v2
	v_cmp_eq_u32_e32 vcc, 0, v2
	s_or_b64 s[8:9], vcc, s[8:9]
	s_waitcnt lgkmcnt(0)
	v_pk_mul_f32 v[6:7], v[4:5], v[6:7]
	ds_write2st64_b32 v3, v6, v7 offset1:2
	v_add_u32_e32 v3, 0x400, v3
	s_andn2_b64 exec, exec, s[8:9]
	s_cbranch_execnz .LBB324_288
.LBB324_289:
	s_or_b64 exec, exec, s[6:7]
	v_add_u32_e32 v2, 1, v1
	v_and_b32_e32 v3, 0x3fffffe, v2
	v_cmp_ne_u32_e32 vcc, v2, v3
	s_waitcnt vmcnt(0)
	v_lshl_add_u32 v1, v3, 7, v15
	s_orn2_b64 s[6:7], vcc, exec
.LBB324_290:
	s_or_b64 exec, exec, s[4:5]
	s_and_b64 exec, exec, s[6:7]
	s_cbranch_execz .LBB324_293
; %bb.291:
	s_ashr_i32 s17, s16, 31
	s_lshl_b64 s[4:5], s[16:17], 2
	s_getpc_b64 s[6:7]
	s_add_u32 s6, s6, llvm.amdgcn.dynlds.offset.table@rel32@lo+4
	s_addc_u32 s7, s7, llvm.amdgcn.dynlds.offset.table@rel32@hi+12
	s_add_u32 s4, s4, s6
	s_addc_u32 s5, s5, s7
	s_load_dword s4, s[4:5], 0x0
	s_waitcnt lgkmcnt(0)
	v_lshl_add_u32 v2, v1, 2, s4
	s_mov_b64 s[4:5], 0
.LBB324_292:                            ; =>This Inner Loop Header: Depth=1
	ds_read_b32 v3, v2
	v_add_u32_e32 v1, 0x80, v1
	v_cmp_ge_i32_e32 vcc, v1, v0
	s_or_b64 s[4:5], vcc, s[4:5]
	s_waitcnt lgkmcnt(0)
	v_mul_f32_e32 v3, v4, v3
	ds_write_b32 v2, v3
	v_add_u32_e32 v2, 0x200, v2
	s_andn2_b64 exec, exec, s[4:5]
	s_cbranch_execnz .LBB324_292
.LBB324_293:
	s_or_b64 exec, exec, s[2:3]
	v_mov_b32_e32 v13, 0
	v_and_b32_e32 v24, 1, v15
	v_mov_b32_e32 v12, 0
	v_mov_b32_e32 v15, 0
	;; [unrolled: 1-line block ×7, first 2 shown]
	s_waitcnt lgkmcnt(0)
	s_barrier
	s_and_saveexec_b64 s[2:3], s[0:1]
	s_cbranch_execz .LBB324_857
; %bb.294:
	flat_load_dword v32, v[22:23]
	scratch_load_dword v0, off, s32 offset:280 ; 4-byte Folded Reload
	scratch_load_dword v4, off, s32 offset:192 ; 4-byte Folded Reload
	s_ashr_i32 s17, s16, 31
	s_lshl_b64 s[0:1], s[16:17], 2
	v_mov_b32_e32 v23, 0
	s_getpc_b64 s[4:5]
	s_add_u32 s4, s4, llvm.amdgcn.dynlds.offset.table@rel32@lo+4
	s_addc_u32 s5, s5, llvm.amdgcn.dynlds.offset.table@rel32@hi+12
	s_add_u32 s0, s0, s4
	s_addc_u32 s1, s1, s5
	s_load_dword s0, s[0:1], 0x0
	v_accvgpr_write_b32 a7, v19
	v_accvgpr_write_b32 a6, v18
	;; [unrolled: 1-line block ×3, first 2 shown]
	s_mov_b64 s[4:5], 0
	s_mov_b32 s8, 0x7f800000
	s_movk_i32 s9, 0x7fff
	v_mov_b32_e32 v20, 0
	v_mov_b32_e32 v21, 0
	;; [unrolled: 1-line block ×8, first 2 shown]
	s_waitcnt vmcnt(0)
	v_lshlrev_b32_e32 v2, 3, v0
	v_lshl_add_u64 v[0:1], v[28:29], 0, v[36:37]
	v_and_b32_e32 v22, 0x1f8, v2
	v_lshl_add_u64 v[0:1], v[0:1], 0, v[22:23]
	v_accvgpr_write_b32 a11, v1
	v_and_b32_e32 v22, 60, v25
	v_accvgpr_write_b32 a10, v0
	v_lshl_add_u64 v[0:1], v[34:35], 2, v[22:23]
	v_lshl_add_u64 v[10:11], v[10:11], 0, v[0:1]
	v_accvgpr_read_b32 v1, a5
	v_and_b32_e32 v3, 8, v2
	v_lshlrev_b32_e32 v0, 4, v1
	v_or3_b32 v22, v0, v3, 7
	v_lshlrev_b32_e32 v0, 5, v24
	v_add_u32_e32 v4, -1, v4
	v_lshl_or_b32 v0, v1, 6, v0
	v_accvgpr_write_b32 a9, v4
	s_waitcnt lgkmcnt(0)
	v_add_u32_e32 v34, s0, v0
	s_branch .LBB324_296
.LBB324_295:                            ;   in Loop: Header=BB324_296 Depth=1
	s_or_b64 exec, exec, s[0:1]
	v_accvgpr_read_b32 v19, a15
	v_and_b32_e32 v31, 0xffff0000, v19
	v_accvgpr_read_b32 v19, a13
	v_and_b32_e32 v30, 0xffff0000, v19
	;; [unrolled: 2-line block ×4, first 2 shown]
	v_accvgpr_read_b32 v19, a19
	v_pk_add_f32 v[30:31], v[42:43], v[30:31]
	v_and_b32_e32 v43, 0xffff0000, v19
	v_accvgpr_read_b32 v19, a17
	v_and_b32_e32 v42, 0xffff0000, v19
	v_accvgpr_read_b32 v19, a18
	;; [unrolled: 2-line block ×4, first 2 shown]
	v_pk_add_f32 v[42:43], v[44:45], v[42:43]
	v_add_f32_e32 v19, v30, v31
	v_and_b32_e32 v31, 0xffff0000, v26
	v_accvgpr_read_b32 v26, a28
	v_add_f32_e32 v19, v19, v42
	v_and_b32_e32 v30, 0xffff0000, v26
	v_accvgpr_read_b32 v26, a29
	;; [unrolled: 3-line block ×3, first 2 shown]
	v_and_b32_e32 v42, 0xffff0000, v26
	v_accvgpr_read_b32 v26, a34
	v_pk_add_f32 v[30:31], v[42:43], v[30:31]
	v_and_b32_e32 v43, 0xffff0000, v26
	v_accvgpr_read_b32 v26, a32
	v_and_b32_e32 v42, 0xffff0000, v26
	v_accvgpr_read_b32 v26, a33
	;; [unrolled: 2-line block ×3, first 2 shown]
	v_and_b32_e32 v44, 0xffff0000, v26
	v_pk_add_f32 v[42:43], v[44:45], v[42:43]
	v_add_f32_e32 v26, v30, v31
	v_add_f32_e32 v26, v26, v42
	v_accvgpr_read_b32 v30, a38
	v_accvgpr_read_b32 v33, a37
	v_add_f32_e32 v26, v26, v43
	v_and_b32_e32 v31, 0xffff0000, v30
	v_accvgpr_read_b32 v30, a36
	v_and_b32_e32 v43, 0xffff0000, v33
	v_accvgpr_read_b32 v33, a35
	v_and_b32_e32 v30, 0xffff0000, v30
	v_and_b32_e32 v42, 0xffff0000, v33
	v_add_f32_e32 v20, v20, v19
	v_accvgpr_read_b32 v19, a42
	v_pk_add_f32 v[30:31], v[42:43], v[30:31]
	v_and_b32_e32 v43, 0xffff0000, v19
	v_accvgpr_read_b32 v19, a40
	v_and_b32_e32 v42, 0xffff0000, v19
	v_accvgpr_read_b32 v19, a41
	;; [unrolled: 2-line block ×3, first 2 shown]
	v_and_b32_e32 v44, 0xffff0000, v19
	v_pk_add_f32 v[42:43], v[44:45], v[42:43]
	v_add_f32_e32 v19, v30, v31
	v_add_f32_e32 v19, v19, v42
	;; [unrolled: 1-line block ×4, first 2 shown]
	v_and_b32_e32 v19, 0xffff0000, v8
	v_accvgpr_read_b32 v8, a43
	v_and_b32_e32 v31, 0xffff0000, v25
	v_and_b32_e32 v30, 0xffff0000, v28
	;; [unrolled: 1-line block ×7, first 2 shown]
	v_pk_add_f32 v[24:25], v[24:25], v[30:31]
	v_pk_add_f32 v[6:7], v[6:7], v[18:19]
	v_add_f32_e32 v8, v24, v25
	v_add_f32_e32 v6, v8, v6
	v_add_f32_e32 v6, v6, v7
	v_and_b32_e32 v25, 0xffff0000, v37
	v_and_b32_e32 v24, 0xffff0000, v29
	v_and_b32_e32 v29, 0xffff0000, v36
	v_and_b32_e32 v28, 0xffff0000, v9
	v_add_f32_e32 v17, v17, v6
	v_and_b32_e32 v7, 0xffff0000, v56
	v_and_b32_e32 v6, 0xffff0000, v46
	v_and_b32_e32 v19, 0xffff0000, v47
	v_and_b32_e32 v18, 0xffff0000, v38
	v_pk_add_f32 v[8:9], v[28:29], v[24:25]
	v_pk_add_f32 v[6:7], v[18:19], v[6:7]
	v_add_f32_e32 v8, v8, v9
	v_add_f32_e32 v6, v8, v6
	v_add_f32_e32 v6, v6, v7
	v_and_b32_e32 v19, 0xffff0000, v60
	v_and_b32_e32 v18, 0xffff0000, v58
	v_and_b32_e32 v25, 0xffff0000, v59
	v_and_b32_e32 v24, 0xffff0000, v57
	v_add_f32_e32 v14, v14, v6
	v_and_b32_e32 v7, 0xffff0000, v49
	v_and_b32_e32 v6, 0xffff0000, v39
	v_and_b32_e32 v9, 0xffff0000, v48
	v_and_b32_e32 v8, 0xffff0000, v61
	v_pk_add_f32 v[18:19], v[24:25], v[18:19]
	v_pk_add_f32 v[6:7], v[8:9], v[6:7]
	v_add_f32_e32 v8, v18, v19
	v_add_f32_e32 v6, v8, v6
	v_add_f32_e32 v6, v6, v7
	v_and_b32_e32 v19, 0xffff0000, v51
	v_and_b32_e32 v18, 0xffff0000, v5
	v_and_b32_e32 v5, 0xffff0000, v50
	v_and_b32_e32 v4, 0xffff0000, v4
	v_add_f32_e32 v15, v15, v6
	v_and_b32_e32 v7, 0xffff0000, v63
	v_and_b32_e32 v6, 0xffff0000, v53
	v_and_b32_e32 v9, 0xffff0000, v62
	v_and_b32_e32 v8, 0xffff0000, v52
	v_pk_add_f32 v[4:5], v[4:5], v[18:19]
	v_pk_add_f32 v[6:7], v[8:9], v[6:7]
	v_add_f32_e32 v4, v4, v5
	v_add_f32_e32 v4, v4, v6
	v_add_f32_e32 v4, v4, v7
	v_and_b32_e32 v7, 0xffff0000, v35
	v_and_b32_e32 v6, 0xffff0000, v3
	v_and_b32_e32 v3, 0xffff0000, v54
	v_and_b32_e32 v2, 0xffff0000, v2
	v_add_f32_e32 v12, v12, v4
	v_and_b32_e32 v5, 0xffff0000, v0
	v_and_b32_e32 v4, 0xffff0000, v40
	v_and_b32_e32 v1, 0xffff0000, v1
	v_and_b32_e32 v0, 0xffff0000, v55
	v_pk_add_f32 v[2:3], v[2:3], v[6:7]
	v_pk_add_f32 v[0:1], v[0:1], v[4:5]
	v_add_f32_e32 v2, v2, v3
	v_add_f32_e32 v0, v2, v0
	;; [unrolled: 1-line block ×4, first 2 shown]
	scratch_load_dword v0, off, s32 offset:192 ; 4-byte Folded Reload
	v_accvgpr_read_b32 v1, a5
	v_add_u32_e32 v1, 2, v1
	v_add_f32_e32 v21, v21, v26
	v_lshl_add_u64 v[10:11], v[10:11], 0, 8
	v_add_u32_e32 v22, 32, v22
	v_accvgpr_write_b32 a5, v1
	v_add_u32_e32 v34, 0x80, v34
	s_waitcnt vmcnt(0)
	v_cmp_ge_i32_e32 vcc, v1, v0
	s_or_b64 s[4:5], vcc, s[4:5]
	s_andn2_b64 exec, exec, s[4:5]
	s_cbranch_execz .LBB324_856
.LBB324_296:                            ; =>This Inner Loop Header: Depth=1
	flat_load_dword v26, v[10:11]
	ds_read2_b64 v[6:9], v34 offset1:1
	ds_read2_b64 v[2:5], v34 offset0:2 offset1:3
                                        ; implicit-def: $vgpr25
	s_waitcnt lgkmcnt(0)
	v_and_b32_e32 v0, 0x7f800000, v6
	v_cmp_ne_u32_e32 vcc, s8, v0
	s_and_saveexec_b64 s[0:1], vcc
	s_xor_b64 s[0:1], exec, s[0:1]
; %bb.297:                              ;   in Loop: Header=BB324_296 Depth=1
	v_bfe_u32 v0, v6, 16, 1
	v_add3_u32 v25, v6, v0, s9
; %bb.298:                              ;   in Loop: Header=BB324_296 Depth=1
	s_andn2_saveexec_b64 s[0:1], s[0:1]
; %bb.299:                              ;   in Loop: Header=BB324_296 Depth=1
	v_or_b32_e32 v0, 0x10000, v6
	v_cmp_eq_u32_sdwa vcc, v6, v23 src0_sel:WORD_0 src1_sel:DWORD
	s_nop 1
	v_cndmask_b32_e32 v25, v0, v6, vcc
; %bb.300:                              ;   in Loop: Header=BB324_296 Depth=1
	s_or_b64 exec, exec, s[0:1]
	v_and_b32_e32 v0, 0x7f800000, v7
	v_cmp_ne_u32_e32 vcc, s8, v0
                                        ; implicit-def: $vgpr24
	s_and_saveexec_b64 s[0:1], vcc
	s_xor_b64 s[0:1], exec, s[0:1]
; %bb.301:                              ;   in Loop: Header=BB324_296 Depth=1
	v_bfe_u32 v0, v7, 16, 1
	v_add3_u32 v24, v7, v0, s9
; %bb.302:                              ;   in Loop: Header=BB324_296 Depth=1
	s_andn2_saveexec_b64 s[0:1], s[0:1]
; %bb.303:                              ;   in Loop: Header=BB324_296 Depth=1
	v_or_b32_e32 v0, 0x10000, v7
	v_cmp_eq_u32_sdwa vcc, v7, v23 src0_sel:WORD_0 src1_sel:DWORD
	s_nop 1
	v_cndmask_b32_e32 v24, v0, v7, vcc
; %bb.304:                              ;   in Loop: Header=BB324_296 Depth=1
	s_or_b64 exec, exec, s[0:1]
	v_and_b32_e32 v0, 0x7f800000, v8
	v_cmp_ne_u32_e32 vcc, s8, v0
                                        ; implicit-def: $vgpr19
	s_and_saveexec_b64 s[0:1], vcc
	s_xor_b64 s[0:1], exec, s[0:1]
; %bb.305:                              ;   in Loop: Header=BB324_296 Depth=1
	v_bfe_u32 v0, v8, 16, 1
	v_add3_u32 v19, v8, v0, s9
; %bb.306:                              ;   in Loop: Header=BB324_296 Depth=1
	s_andn2_saveexec_b64 s[0:1], s[0:1]
; %bb.307:                              ;   in Loop: Header=BB324_296 Depth=1
	v_or_b32_e32 v0, 0x10000, v8
	v_cmp_eq_u32_sdwa vcc, v8, v23 src0_sel:WORD_0 src1_sel:DWORD
	s_nop 1
	v_cndmask_b32_e32 v19, v0, v8, vcc
; %bb.308:                              ;   in Loop: Header=BB324_296 Depth=1
	s_or_b64 exec, exec, s[0:1]
	v_and_b32_e32 v0, 0x7f800000, v9
	v_cmp_ne_u32_e32 vcc, s8, v0
                                        ; implicit-def: $vgpr18
	s_and_saveexec_b64 s[0:1], vcc
	s_xor_b64 s[0:1], exec, s[0:1]
; %bb.309:                              ;   in Loop: Header=BB324_296 Depth=1
	v_bfe_u32 v0, v9, 16, 1
	v_add3_u32 v18, v9, v0, s9
                                        ; implicit-def: $vgpr6_vgpr7_vgpr8_vgpr9
; %bb.310:                              ;   in Loop: Header=BB324_296 Depth=1
	s_andn2_saveexec_b64 s[0:1], s[0:1]
; %bb.311:                              ;   in Loop: Header=BB324_296 Depth=1
	v_or_b32_e32 v0, 0x10000, v9
	v_cmp_eq_u32_sdwa vcc, v9, v23 src0_sel:WORD_0 src1_sel:DWORD
	s_nop 1
	v_cndmask_b32_e32 v18, v0, v9, vcc
; %bb.312:                              ;   in Loop: Header=BB324_296 Depth=1
	s_or_b64 exec, exec, s[0:1]
	v_and_b32_e32 v0, 0x7f800000, v2
	v_cmp_ne_u32_e32 vcc, s8, v0
                                        ; implicit-def: $vgpr7
	s_and_saveexec_b64 s[0:1], vcc
	s_xor_b64 s[0:1], exec, s[0:1]
; %bb.313:                              ;   in Loop: Header=BB324_296 Depth=1
	v_bfe_u32 v0, v2, 16, 1
	v_add3_u32 v7, v2, v0, s9
; %bb.314:                              ;   in Loop: Header=BB324_296 Depth=1
	s_andn2_saveexec_b64 s[0:1], s[0:1]
; %bb.315:                              ;   in Loop: Header=BB324_296 Depth=1
	v_or_b32_e32 v0, 0x10000, v2
	v_cmp_eq_u32_sdwa vcc, v2, v23 src0_sel:WORD_0 src1_sel:DWORD
	s_nop 1
	v_cndmask_b32_e32 v7, v0, v2, vcc
; %bb.316:                              ;   in Loop: Header=BB324_296 Depth=1
	s_or_b64 exec, exec, s[0:1]
	v_and_b32_e32 v0, 0x7f800000, v3
	v_cmp_ne_u32_e32 vcc, s8, v0
                                        ; implicit-def: $vgpr6
	s_and_saveexec_b64 s[0:1], vcc
	s_xor_b64 s[0:1], exec, s[0:1]
; %bb.317:                              ;   in Loop: Header=BB324_296 Depth=1
	v_bfe_u32 v0, v3, 16, 1
	v_add3_u32 v6, v3, v0, s9
; %bb.318:                              ;   in Loop: Header=BB324_296 Depth=1
	s_andn2_saveexec_b64 s[0:1], s[0:1]
; %bb.319:                              ;   in Loop: Header=BB324_296 Depth=1
	v_or_b32_e32 v0, 0x10000, v3
	v_cmp_eq_u32_sdwa vcc, v3, v23 src0_sel:WORD_0 src1_sel:DWORD
	s_nop 1
	v_cndmask_b32_e32 v6, v0, v3, vcc
; %bb.320:                              ;   in Loop: Header=BB324_296 Depth=1
	s_or_b64 exec, exec, s[0:1]
	v_and_b32_e32 v0, 0x7f800000, v4
	v_cmp_ne_u32_e32 vcc, s8, v0
                                        ; implicit-def: $vgpr1
	s_and_saveexec_b64 s[0:1], vcc
	s_xor_b64 s[0:1], exec, s[0:1]
; %bb.321:                              ;   in Loop: Header=BB324_296 Depth=1
	v_bfe_u32 v0, v4, 16, 1
	v_add3_u32 v1, v4, v0, s9
; %bb.322:                              ;   in Loop: Header=BB324_296 Depth=1
	s_andn2_saveexec_b64 s[0:1], s[0:1]
; %bb.323:                              ;   in Loop: Header=BB324_296 Depth=1
	v_or_b32_e32 v0, 0x10000, v4
	v_cmp_eq_u32_sdwa vcc, v4, v23 src0_sel:WORD_0 src1_sel:DWORD
	s_nop 1
	v_cndmask_b32_e32 v1, v0, v4, vcc
; %bb.324:                              ;   in Loop: Header=BB324_296 Depth=1
	s_or_b64 exec, exec, s[0:1]
	v_and_b32_e32 v0, 0x7f800000, v5
	v_cmp_ne_u32_e32 vcc, s8, v0
                                        ; implicit-def: $vgpr0
	s_and_saveexec_b64 s[0:1], vcc
	s_xor_b64 s[0:1], exec, s[0:1]
; %bb.325:                              ;   in Loop: Header=BB324_296 Depth=1
	v_bfe_u32 v0, v5, 16, 1
	v_add3_u32 v0, v5, v0, s9
                                        ; implicit-def: $vgpr2_vgpr3_vgpr4_vgpr5
; %bb.326:                              ;   in Loop: Header=BB324_296 Depth=1
	s_andn2_saveexec_b64 s[0:1], s[0:1]
; %bb.327:                              ;   in Loop: Header=BB324_296 Depth=1
	v_or_b32_e32 v0, 0x10000, v5
	v_cmp_eq_u32_sdwa vcc, v5, v23 src0_sel:WORD_0 src1_sel:DWORD
	s_nop 1
	v_cndmask_b32_e32 v0, v0, v5, vcc
; %bb.328:                              ;   in Loop: Header=BB324_296 Depth=1
	s_or_b64 exec, exec, s[0:1]
	v_accvgpr_read_b32 v4, a10
	v_accvgpr_read_b32 v2, a4
	;; [unrolled: 1-line block ×3, first 2 shown]
	s_waitcnt vmcnt(0)
	v_mad_i64_i32 v[2:3], s[0:1], v26, v2, v[4:5]
	flat_load_dwordx2 v[4:5], v[2:3]
	s_waitcnt vmcnt(0) lgkmcnt(0)
	v_and_b32_e32 v8, 0xff, v4
	v_cvt_f32_fp8_sdwa v8, v8 src0_sel:BYTE_0
	s_nop 0
	v_mul_f32_e32 v9, v32, v8
	v_and_b32_e32 v8, 0x7f800000, v9
	v_cmp_ne_u32_e32 vcc, s8, v8
                                        ; implicit-def: $vgpr8
	s_and_saveexec_b64 s[0:1], vcc
	s_xor_b64 s[0:1], exec, s[0:1]
; %bb.329:                              ;   in Loop: Header=BB324_296 Depth=1
	v_bfe_u32 v8, v9, 16, 1
	v_add3_u32 v8, v9, v8, s9
                                        ; implicit-def: $vgpr9
; %bb.330:                              ;   in Loop: Header=BB324_296 Depth=1
	s_andn2_saveexec_b64 s[0:1], s[0:1]
; %bb.331:                              ;   in Loop: Header=BB324_296 Depth=1
	v_or_b32_e32 v8, 0x10000, v9
	v_cmp_eq_u32_sdwa vcc, v9, v23 src0_sel:WORD_0 src1_sel:DWORD
	s_nop 1
	v_cndmask_b32_e32 v8, v8, v9, vcc
; %bb.332:                              ;   in Loop: Header=BB324_296 Depth=1
	s_or_b64 exec, exec, s[0:1]
	v_bfe_u32 v9, v4, 8, 8
	v_cvt_f32_fp8_sdwa v9, v9 src0_sel:BYTE_0
	s_nop 0
	v_mul_f32_e32 v26, v32, v9
	v_and_b32_e32 v9, 0x7f800000, v26
	v_cmp_ne_u32_e32 vcc, s8, v9
                                        ; implicit-def: $vgpr9
	s_and_saveexec_b64 s[0:1], vcc
	s_xor_b64 s[0:1], exec, s[0:1]
; %bb.333:                              ;   in Loop: Header=BB324_296 Depth=1
	v_bfe_u32 v9, v26, 16, 1
	v_add3_u32 v9, v26, v9, s9
                                        ; implicit-def: $vgpr26
; %bb.334:                              ;   in Loop: Header=BB324_296 Depth=1
	s_andn2_saveexec_b64 s[0:1], s[0:1]
; %bb.335:                              ;   in Loop: Header=BB324_296 Depth=1
	v_or_b32_e32 v9, 0x10000, v26
	v_cmp_eq_u32_sdwa vcc, v26, v23 src0_sel:WORD_0 src1_sel:DWORD
	s_nop 1
	v_cndmask_b32_e32 v9, v9, v26, vcc
; %bb.336:                              ;   in Loop: Header=BB324_296 Depth=1
	s_or_b64 exec, exec, s[0:1]
	v_bfe_u32 v26, v4, 16, 8
	v_cvt_f32_fp8_sdwa v26, v26 src0_sel:BYTE_0
	s_nop 0
	v_mul_f32_e32 v26, v32, v26
	v_and_b32_e32 v28, 0x7f800000, v26
	v_cmp_ne_u32_e32 vcc, s8, v28
                                        ; implicit-def: $vgpr28
	s_and_saveexec_b64 s[0:1], vcc
	s_xor_b64 s[0:1], exec, s[0:1]
; %bb.337:                              ;   in Loop: Header=BB324_296 Depth=1
	v_bfe_u32 v28, v26, 16, 1
	v_add3_u32 v28, v26, v28, s9
                                        ; implicit-def: $vgpr26
; %bb.338:                              ;   in Loop: Header=BB324_296 Depth=1
	s_andn2_saveexec_b64 s[0:1], s[0:1]
; %bb.339:                              ;   in Loop: Header=BB324_296 Depth=1
	v_or_b32_e32 v28, 0x10000, v26
	v_cmp_eq_u32_sdwa vcc, v26, v23 src0_sel:WORD_0 src1_sel:DWORD
	s_nop 1
	v_cndmask_b32_e32 v28, v28, v26, vcc
; %bb.340:                              ;   in Loop: Header=BB324_296 Depth=1
	s_or_b64 exec, exec, s[0:1]
	v_lshrrev_b32_e32 v4, 24, v4
	v_cvt_f32_fp8_sdwa v4, v4 src0_sel:BYTE_0
	s_nop 0
	v_mul_f32_e32 v26, v32, v4
	v_and_b32_e32 v4, 0x7f800000, v26
	v_cmp_ne_u32_e32 vcc, s8, v4
                                        ; implicit-def: $vgpr4
	s_and_saveexec_b64 s[0:1], vcc
	s_xor_b64 s[0:1], exec, s[0:1]
; %bb.341:                              ;   in Loop: Header=BB324_296 Depth=1
	v_bfe_u32 v4, v26, 16, 1
	v_add3_u32 v4, v26, v4, s9
                                        ; implicit-def: $vgpr26
; %bb.342:                              ;   in Loop: Header=BB324_296 Depth=1
	s_andn2_saveexec_b64 s[0:1], s[0:1]
; %bb.343:                              ;   in Loop: Header=BB324_296 Depth=1
	v_or_b32_e32 v4, 0x10000, v26
	v_cmp_eq_u32_sdwa vcc, v26, v23 src0_sel:WORD_0 src1_sel:DWORD
	s_nop 1
	v_cndmask_b32_e32 v4, v4, v26, vcc
; %bb.344:                              ;   in Loop: Header=BB324_296 Depth=1
	s_or_b64 exec, exec, s[0:1]
	v_and_b32_e32 v26, 0xff, v5
	v_cvt_f32_fp8_sdwa v26, v26 src0_sel:BYTE_0
	s_nop 0
	v_mul_f32_e32 v26, v32, v26
	v_and_b32_e32 v29, 0x7f800000, v26
	v_cmp_ne_u32_e32 vcc, s8, v29
                                        ; implicit-def: $vgpr29
	s_and_saveexec_b64 s[0:1], vcc
	s_xor_b64 s[0:1], exec, s[0:1]
; %bb.345:                              ;   in Loop: Header=BB324_296 Depth=1
	v_bfe_u32 v29, v26, 16, 1
	v_add3_u32 v29, v26, v29, s9
                                        ; implicit-def: $vgpr26
; %bb.346:                              ;   in Loop: Header=BB324_296 Depth=1
	s_andn2_saveexec_b64 s[0:1], s[0:1]
; %bb.347:                              ;   in Loop: Header=BB324_296 Depth=1
	v_or_b32_e32 v29, 0x10000, v26
	v_cmp_eq_u32_sdwa vcc, v26, v23 src0_sel:WORD_0 src1_sel:DWORD
	s_nop 1
	v_cndmask_b32_e32 v29, v29, v26, vcc
; %bb.348:                              ;   in Loop: Header=BB324_296 Depth=1
	s_or_b64 exec, exec, s[0:1]
	v_bfe_u32 v26, v5, 8, 8
	v_cvt_f32_fp8_sdwa v26, v26 src0_sel:BYTE_0
	s_nop 0
	v_mul_f32_e32 v30, v32, v26
	v_and_b32_e32 v26, 0x7f800000, v30
	v_cmp_ne_u32_e32 vcc, s8, v26
                                        ; implicit-def: $vgpr26
	s_and_saveexec_b64 s[0:1], vcc
	s_xor_b64 s[0:1], exec, s[0:1]
; %bb.349:                              ;   in Loop: Header=BB324_296 Depth=1
	v_bfe_u32 v26, v30, 16, 1
	v_add3_u32 v26, v30, v26, s9
                                        ; implicit-def: $vgpr30
; %bb.350:                              ;   in Loop: Header=BB324_296 Depth=1
	s_andn2_saveexec_b64 s[0:1], s[0:1]
; %bb.351:                              ;   in Loop: Header=BB324_296 Depth=1
	v_or_b32_e32 v26, 0x10000, v30
	v_cmp_eq_u32_sdwa vcc, v30, v23 src0_sel:WORD_0 src1_sel:DWORD
	s_nop 1
	v_cndmask_b32_e32 v26, v26, v30, vcc
; %bb.352:                              ;   in Loop: Header=BB324_296 Depth=1
	s_or_b64 exec, exec, s[0:1]
	v_bfe_u32 v30, v5, 16, 8
	v_cvt_f32_fp8_sdwa v30, v30 src0_sel:BYTE_0
	s_nop 0
	v_mul_f32_e32 v30, v32, v30
	v_and_b32_e32 v31, 0x7f800000, v30
	v_cmp_ne_u32_e32 vcc, s8, v31
                                        ; implicit-def: $vgpr31
	s_and_saveexec_b64 s[0:1], vcc
	s_xor_b64 s[0:1], exec, s[0:1]
; %bb.353:                              ;   in Loop: Header=BB324_296 Depth=1
	v_bfe_u32 v31, v30, 16, 1
	v_add3_u32 v31, v30, v31, s9
                                        ; implicit-def: $vgpr30
; %bb.354:                              ;   in Loop: Header=BB324_296 Depth=1
	s_andn2_saveexec_b64 s[0:1], s[0:1]
; %bb.355:                              ;   in Loop: Header=BB324_296 Depth=1
	v_or_b32_e32 v31, 0x10000, v30
	v_cmp_eq_u32_sdwa vcc, v30, v23 src0_sel:WORD_0 src1_sel:DWORD
	s_nop 1
	v_cndmask_b32_e32 v31, v31, v30, vcc
; %bb.356:                              ;   in Loop: Header=BB324_296 Depth=1
	s_or_b64 exec, exec, s[0:1]
	v_lshrrev_b32_e32 v5, 24, v5
	v_cvt_f32_fp8_sdwa v5, v5 src0_sel:BYTE_0
                                        ; implicit-def: $vgpr33
	s_nop 0
	v_mul_f32_e32 v5, v32, v5
	v_and_b32_e32 v30, 0x7f800000, v5
	v_cmp_ne_u32_e32 vcc, s8, v30
	s_and_saveexec_b64 s[0:1], vcc
	s_xor_b64 s[0:1], exec, s[0:1]
; %bb.357:                              ;   in Loop: Header=BB324_296 Depth=1
	v_bfe_u32 v30, v5, 16, 1
	v_add3_u32 v33, v5, v30, s9
                                        ; implicit-def: $vgpr5
; %bb.358:                              ;   in Loop: Header=BB324_296 Depth=1
	s_andn2_saveexec_b64 s[0:1], s[0:1]
; %bb.359:                              ;   in Loop: Header=BB324_296 Depth=1
	v_or_b32_e32 v30, 0x10000, v5
	v_cmp_eq_u32_sdwa vcc, v5, v23 src0_sel:WORD_0 src1_sel:DWORD
	s_nop 1
	v_cndmask_b32_e32 v33, v30, v5, vcc
; %bb.360:                              ;   in Loop: Header=BB324_296 Depth=1
	s_or_b64 exec, exec, s[0:1]
	v_accvgpr_read_b32 v5, a5
	v_accvgpr_read_b32 v30, a9
	v_cmp_eq_u32_e32 vcc, v30, v5
	v_add_u32_e32 v5, -7, v22
	v_accvgpr_write_b32 a20, v5
	v_lshrrev_b32_e32 v5, 16, v31
	v_add_u32_e32 v31, -6, v22
	v_accvgpr_write_b32 a26, v31
	v_add_u32_e32 v31, -5, v22
	v_accvgpr_write_b32 a25, v31
	;; [unrolled: 2-line block ×5, first 2 shown]
	v_add_u32_e32 v31, -1, v22
	v_lshrrev_b32_e32 v26, 16, v26
	v_lshrrev_b32_e32 v29, 16, v29
	;; [unrolled: 1-line block ×7, first 2 shown]
	v_accvgpr_write_b32 a21, v31
	s_and_saveexec_b64 s[6:7], vcc
	s_cbranch_execz .LBB324_362
; %bb.361:                              ;   in Loop: Header=BB324_296 Depth=1
	v_accvgpr_read_b32 v31, a20
	v_cmp_lt_i32_e64 s[0:1], v31, v27
	v_accvgpr_read_b32 v31, a26
	s_nop 0
	v_cndmask_b32_e64 v8, 0, v8, s[0:1]
	v_cmp_lt_i32_e64 s[0:1], v31, v27
	v_accvgpr_read_b32 v31, a25
	s_nop 0
	v_cndmask_b32_e64 v9, 0, v9, s[0:1]
	;; [unrolled: 4-line block ×6, first 2 shown]
	v_cmp_lt_i32_e64 s[0:1], v31, v27
	s_nop 1
	v_cndmask_b32_e64 v5, 0, v5, s[0:1]
	v_cmp_lt_i32_e64 s[0:1], v22, v27
	s_nop 1
	v_cndmask_b32_e64 v4, 0, v4, s[0:1]
.LBB324_362:                            ;   in Loop: Header=BB324_296 Depth=1
	s_or_b64 exec, exec, s[6:7]
	v_and_b32_e32 v54, 0xffff0000, v25
	v_lshlrev_b32_e32 v8, 16, v8
	v_mul_f32_e32 v8, v54, v8
	v_and_b32_e32 v25, 0x7f800000, v8
	v_cmp_ne_u32_e64 s[0:1], s8, v25
                                        ; implicit-def: $agpr12
	s_and_saveexec_b64 s[6:7], s[0:1]
	s_xor_b64 s[0:1], exec, s[6:7]
; %bb.363:                              ;   in Loop: Header=BB324_296 Depth=1
	v_bfe_u32 v25, v8, 16, 1
	v_add3_u32 v8, v8, v25, s9
	v_accvgpr_write_b32 a12, v8
                                        ; implicit-def: $vgpr8
; %bb.364:                              ;   in Loop: Header=BB324_296 Depth=1
	s_andn2_saveexec_b64 s[6:7], s[0:1]
; %bb.365:                              ;   in Loop: Header=BB324_296 Depth=1
	v_or_b32_e32 v25, 0x10000, v8
	v_cmp_eq_u32_sdwa s[0:1], v8, v23 src0_sel:WORD_0 src1_sel:DWORD
	s_nop 1
	v_cndmask_b32_e64 v8, v25, v8, s[0:1]
	v_accvgpr_write_b32 a12, v8
; %bb.366:                              ;   in Loop: Header=BB324_296 Depth=1
	s_or_b64 exec, exec, s[6:7]
	v_and_b32_e32 v55, 0xffff0000, v24
	v_lshlrev_b32_e32 v8, 16, v9
	v_mul_f32_e32 v8, v55, v8
	v_and_b32_e32 v9, 0x7f800000, v8
	v_cmp_ne_u32_e64 s[0:1], s8, v9
                                        ; implicit-def: $agpr13
	s_and_saveexec_b64 s[6:7], s[0:1]
	s_xor_b64 s[0:1], exec, s[6:7]
; %bb.367:                              ;   in Loop: Header=BB324_296 Depth=1
	v_bfe_u32 v9, v8, 16, 1
	v_add3_u32 v8, v8, v9, s9
	v_accvgpr_write_b32 a13, v8
                                        ; implicit-def: $vgpr8
; %bb.368:                              ;   in Loop: Header=BB324_296 Depth=1
	s_andn2_saveexec_b64 s[6:7], s[0:1]
; %bb.369:                              ;   in Loop: Header=BB324_296 Depth=1
	v_or_b32_e32 v9, 0x10000, v8
	v_cmp_eq_u32_sdwa s[0:1], v8, v23 src0_sel:WORD_0 src1_sel:DWORD
	s_nop 1
	v_cndmask_b32_e64 v8, v9, v8, s[0:1]
	v_accvgpr_write_b32 a13, v8
; %bb.370:                              ;   in Loop: Header=BB324_296 Depth=1
	s_or_b64 exec, exec, s[6:7]
	v_and_b32_e32 v40, 0xffff0000, v19
	v_lshlrev_b32_e32 v8, 16, v28
	v_mul_f32_e32 v8, v40, v8
	v_and_b32_e32 v9, 0x7f800000, v8
	v_cmp_ne_u32_e64 s[0:1], s8, v9
                                        ; implicit-def: $agpr14
	s_and_saveexec_b64 s[6:7], s[0:1]
	s_xor_b64 s[0:1], exec, s[6:7]
; %bb.371:                              ;   in Loop: Header=BB324_296 Depth=1
	v_bfe_u32 v9, v8, 16, 1
	v_add3_u32 v8, v8, v9, s9
	v_accvgpr_write_b32 a14, v8
                                        ; implicit-def: $vgpr8
; %bb.372:                              ;   in Loop: Header=BB324_296 Depth=1
	s_andn2_saveexec_b64 s[6:7], s[0:1]
; %bb.373:                              ;   in Loop: Header=BB324_296 Depth=1
	v_or_b32_e32 v9, 0x10000, v8
	v_cmp_eq_u32_sdwa s[0:1], v8, v23 src0_sel:WORD_0 src1_sel:DWORD
	s_nop 1
	v_cndmask_b32_e64 v8, v9, v8, s[0:1]
	v_accvgpr_write_b32 a14, v8
; %bb.374:                              ;   in Loop: Header=BB324_296 Depth=1
	s_or_b64 exec, exec, s[6:7]
	v_and_b32_e32 v41, 0xffff0000, v18
	v_lshlrev_b32_e32 v8, 16, v30
	v_mul_f32_e32 v8, v41, v8
	v_and_b32_e32 v9, 0x7f800000, v8
	v_cmp_ne_u32_e64 s[0:1], s8, v9
                                        ; implicit-def: $agpr15
	s_and_saveexec_b64 s[6:7], s[0:1]
	s_xor_b64 s[0:1], exec, s[6:7]
; %bb.375:                              ;   in Loop: Header=BB324_296 Depth=1
	v_bfe_u32 v9, v8, 16, 1
	v_add3_u32 v8, v8, v9, s9
	v_accvgpr_write_b32 a15, v8
                                        ; implicit-def: $vgpr8
; %bb.376:                              ;   in Loop: Header=BB324_296 Depth=1
	s_andn2_saveexec_b64 s[6:7], s[0:1]
; %bb.377:                              ;   in Loop: Header=BB324_296 Depth=1
	v_or_b32_e32 v9, 0x10000, v8
	v_cmp_eq_u32_sdwa s[0:1], v8, v23 src0_sel:WORD_0 src1_sel:DWORD
	s_nop 1
	v_cndmask_b32_e64 v8, v9, v8, s[0:1]
	v_accvgpr_write_b32 a15, v8
; %bb.378:                              ;   in Loop: Header=BB324_296 Depth=1
	s_or_b64 exec, exec, s[6:7]
	v_and_b32_e32 v42, 0xffff0000, v7
	v_lshlrev_b32_e32 v7, 16, v29
	v_mul_f32_e32 v7, v42, v7
	v_and_b32_e32 v8, 0x7f800000, v7
	v_cmp_ne_u32_e64 s[0:1], s8, v8
                                        ; implicit-def: $agpr16
	s_and_saveexec_b64 s[6:7], s[0:1]
	s_xor_b64 s[0:1], exec, s[6:7]
; %bb.379:                              ;   in Loop: Header=BB324_296 Depth=1
	v_bfe_u32 v8, v7, 16, 1
	v_add3_u32 v7, v7, v8, s9
	v_accvgpr_write_b32 a16, v7
                                        ; implicit-def: $vgpr7
; %bb.380:                              ;   in Loop: Header=BB324_296 Depth=1
	s_andn2_saveexec_b64 s[6:7], s[0:1]
; %bb.381:                              ;   in Loop: Header=BB324_296 Depth=1
	v_or_b32_e32 v8, 0x10000, v7
	v_cmp_eq_u32_sdwa s[0:1], v7, v23 src0_sel:WORD_0 src1_sel:DWORD
	s_nop 1
	v_cndmask_b32_e64 v7, v8, v7, s[0:1]
	v_accvgpr_write_b32 a16, v7
; %bb.382:                              ;   in Loop: Header=BB324_296 Depth=1
	s_or_b64 exec, exec, s[6:7]
	v_and_b32_e32 v43, 0xffff0000, v6
	v_lshlrev_b32_e32 v6, 16, v26
	v_mul_f32_e32 v6, v43, v6
	v_and_b32_e32 v7, 0x7f800000, v6
	v_cmp_ne_u32_e64 s[0:1], s8, v7
                                        ; implicit-def: $agpr17
	s_and_saveexec_b64 s[6:7], s[0:1]
	s_xor_b64 s[0:1], exec, s[6:7]
; %bb.383:                              ;   in Loop: Header=BB324_296 Depth=1
	v_bfe_u32 v7, v6, 16, 1
	v_add3_u32 v6, v6, v7, s9
	v_accvgpr_write_b32 a17, v6
                                        ; implicit-def: $vgpr6
; %bb.384:                              ;   in Loop: Header=BB324_296 Depth=1
	s_andn2_saveexec_b64 s[6:7], s[0:1]
; %bb.385:                              ;   in Loop: Header=BB324_296 Depth=1
	v_or_b32_e32 v7, 0x10000, v6
	v_cmp_eq_u32_sdwa s[0:1], v6, v23 src0_sel:WORD_0 src1_sel:DWORD
	s_nop 1
	v_cndmask_b32_e64 v6, v7, v6, s[0:1]
	v_accvgpr_write_b32 a17, v6
; %bb.386:                              ;   in Loop: Header=BB324_296 Depth=1
	s_or_b64 exec, exec, s[6:7]
	v_and_b32_e32 v44, 0xffff0000, v1
	v_lshlrev_b32_e32 v1, 16, v5
	v_mul_f32_e32 v1, v44, v1
	v_and_b32_e32 v5, 0x7f800000, v1
	v_cmp_ne_u32_e64 s[0:1], s8, v5
                                        ; implicit-def: $agpr18
	s_and_saveexec_b64 s[6:7], s[0:1]
	s_xor_b64 s[0:1], exec, s[6:7]
; %bb.387:                              ;   in Loop: Header=BB324_296 Depth=1
	v_bfe_u32 v5, v1, 16, 1
	v_add3_u32 v1, v1, v5, s9
	v_accvgpr_write_b32 a18, v1
                                        ; implicit-def: $vgpr1
; %bb.388:                              ;   in Loop: Header=BB324_296 Depth=1
	s_andn2_saveexec_b64 s[6:7], s[0:1]
; %bb.389:                              ;   in Loop: Header=BB324_296 Depth=1
	v_or_b32_e32 v5, 0x10000, v1
	v_cmp_eq_u32_sdwa s[0:1], v1, v23 src0_sel:WORD_0 src1_sel:DWORD
	s_nop 1
	v_cndmask_b32_e64 v1, v5, v1, s[0:1]
	v_accvgpr_write_b32 a18, v1
; %bb.390:                              ;   in Loop: Header=BB324_296 Depth=1
	s_or_b64 exec, exec, s[6:7]
	v_and_b32_e32 v45, 0xffff0000, v0
	v_lshlrev_b32_e32 v0, 16, v4
	v_mul_f32_e32 v0, v45, v0
	v_and_b32_e32 v1, 0x7f800000, v0
	v_cmp_ne_u32_e64 s[0:1], s8, v1
                                        ; implicit-def: $agpr19
	s_and_saveexec_b64 s[6:7], s[0:1]
	s_xor_b64 s[0:1], exec, s[6:7]
; %bb.391:                              ;   in Loop: Header=BB324_296 Depth=1
	v_bfe_u32 v1, v0, 16, 1
	v_add3_u32 v0, v0, v1, s9
	v_accvgpr_write_b32 a19, v0
                                        ; implicit-def: $vgpr0
; %bb.392:                              ;   in Loop: Header=BB324_296 Depth=1
	s_andn2_saveexec_b64 s[6:7], s[0:1]
; %bb.393:                              ;   in Loop: Header=BB324_296 Depth=1
	v_or_b32_e32 v1, 0x10000, v0
	v_cmp_eq_u32_sdwa s[0:1], v0, v23 src0_sel:WORD_0 src1_sel:DWORD
	s_nop 1
	v_cndmask_b32_e64 v0, v1, v0, s[0:1]
	v_accvgpr_write_b32 a19, v0
; %bb.394:                              ;   in Loop: Header=BB324_296 Depth=1
	s_or_b64 exec, exec, s[6:7]
	flat_load_dwordx2 v[4:5], v[2:3] offset:512
	s_waitcnt vmcnt(0) lgkmcnt(0)
	v_and_b32_e32 v0, 0xff, v4
	v_cvt_f32_fp8_sdwa v0, v0 src0_sel:BYTE_0
	s_nop 0
	v_mul_f32_e32 v1, v32, v0
	v_and_b32_e32 v0, 0x7f800000, v1
	v_cmp_ne_u32_e64 s[0:1], s8, v0
                                        ; implicit-def: $vgpr0
	s_and_saveexec_b64 s[6:7], s[0:1]
	s_xor_b64 s[0:1], exec, s[6:7]
; %bb.395:                              ;   in Loop: Header=BB324_296 Depth=1
	v_bfe_u32 v0, v1, 16, 1
	v_add3_u32 v0, v1, v0, s9
                                        ; implicit-def: $vgpr1
; %bb.396:                              ;   in Loop: Header=BB324_296 Depth=1
	s_andn2_saveexec_b64 s[6:7], s[0:1]
; %bb.397:                              ;   in Loop: Header=BB324_296 Depth=1
	v_or_b32_e32 v0, 0x10000, v1
	v_cmp_eq_u32_sdwa s[0:1], v1, v23 src0_sel:WORD_0 src1_sel:DWORD
	s_nop 1
	v_cndmask_b32_e64 v0, v0, v1, s[0:1]
; %bb.398:                              ;   in Loop: Header=BB324_296 Depth=1
	s_or_b64 exec, exec, s[6:7]
	v_bfe_u32 v1, v4, 8, 8
	v_cvt_f32_fp8_sdwa v1, v1 src0_sel:BYTE_0
	s_nop 0
	v_mul_f32_e32 v6, v32, v1
	v_and_b32_e32 v1, 0x7f800000, v6
	v_cmp_ne_u32_e64 s[0:1], s8, v1
                                        ; implicit-def: $vgpr1
	s_and_saveexec_b64 s[6:7], s[0:1]
	s_xor_b64 s[0:1], exec, s[6:7]
; %bb.399:                              ;   in Loop: Header=BB324_296 Depth=1
	v_bfe_u32 v1, v6, 16, 1
	v_add3_u32 v1, v6, v1, s9
                                        ; implicit-def: $vgpr6
; %bb.400:                              ;   in Loop: Header=BB324_296 Depth=1
	s_andn2_saveexec_b64 s[6:7], s[0:1]
; %bb.401:                              ;   in Loop: Header=BB324_296 Depth=1
	v_or_b32_e32 v1, 0x10000, v6
	v_cmp_eq_u32_sdwa s[0:1], v6, v23 src0_sel:WORD_0 src1_sel:DWORD
	s_nop 1
	v_cndmask_b32_e64 v1, v1, v6, s[0:1]
; %bb.402:                              ;   in Loop: Header=BB324_296 Depth=1
	s_or_b64 exec, exec, s[6:7]
	v_bfe_u32 v6, v4, 16, 8
	v_cvt_f32_fp8_sdwa v6, v6 src0_sel:BYTE_0
	s_nop 0
	v_mul_f32_e32 v7, v32, v6
	v_and_b32_e32 v6, 0x7f800000, v7
	v_cmp_ne_u32_e64 s[0:1], s8, v6
                                        ; implicit-def: $vgpr6
	s_and_saveexec_b64 s[6:7], s[0:1]
	s_xor_b64 s[0:1], exec, s[6:7]
; %bb.403:                              ;   in Loop: Header=BB324_296 Depth=1
	v_bfe_u32 v6, v7, 16, 1
	v_add3_u32 v6, v7, v6, s9
                                        ; implicit-def: $vgpr7
; %bb.404:                              ;   in Loop: Header=BB324_296 Depth=1
	s_andn2_saveexec_b64 s[6:7], s[0:1]
; %bb.405:                              ;   in Loop: Header=BB324_296 Depth=1
	v_or_b32_e32 v6, 0x10000, v7
	v_cmp_eq_u32_sdwa s[0:1], v7, v23 src0_sel:WORD_0 src1_sel:DWORD
	s_nop 1
	v_cndmask_b32_e64 v6, v6, v7, s[0:1]
; %bb.406:                              ;   in Loop: Header=BB324_296 Depth=1
	s_or_b64 exec, exec, s[6:7]
	v_lshrrev_b32_e32 v4, 24, v4
	v_cvt_f32_fp8_sdwa v4, v4 src0_sel:BYTE_0
	s_nop 0
	v_mul_f32_e32 v4, v32, v4
	v_and_b32_e32 v7, 0x7f800000, v4
	v_cmp_ne_u32_e64 s[0:1], s8, v7
                                        ; implicit-def: $vgpr7
	s_and_saveexec_b64 s[6:7], s[0:1]
	s_xor_b64 s[0:1], exec, s[6:7]
; %bb.407:                              ;   in Loop: Header=BB324_296 Depth=1
	v_bfe_u32 v7, v4, 16, 1
	v_add3_u32 v7, v4, v7, s9
                                        ; implicit-def: $vgpr4
; %bb.408:                              ;   in Loop: Header=BB324_296 Depth=1
	s_andn2_saveexec_b64 s[6:7], s[0:1]
; %bb.409:                              ;   in Loop: Header=BB324_296 Depth=1
	v_or_b32_e32 v7, 0x10000, v4
	v_cmp_eq_u32_sdwa s[0:1], v4, v23 src0_sel:WORD_0 src1_sel:DWORD
	s_nop 1
	v_cndmask_b32_e64 v7, v7, v4, s[0:1]
; %bb.410:                              ;   in Loop: Header=BB324_296 Depth=1
	s_or_b64 exec, exec, s[6:7]
	v_and_b32_e32 v4, 0xff, v5
	v_cvt_f32_fp8_sdwa v4, v4 src0_sel:BYTE_0
	s_nop 0
	v_mul_f32_e32 v4, v32, v4
	v_and_b32_e32 v8, 0x7f800000, v4
	v_cmp_ne_u32_e64 s[0:1], s8, v8
                                        ; implicit-def: $vgpr8
	s_and_saveexec_b64 s[6:7], s[0:1]
	s_xor_b64 s[0:1], exec, s[6:7]
; %bb.411:                              ;   in Loop: Header=BB324_296 Depth=1
	v_bfe_u32 v8, v4, 16, 1
	v_add3_u32 v8, v4, v8, s9
                                        ; implicit-def: $vgpr4
; %bb.412:                              ;   in Loop: Header=BB324_296 Depth=1
	s_andn2_saveexec_b64 s[6:7], s[0:1]
; %bb.413:                              ;   in Loop: Header=BB324_296 Depth=1
	v_or_b32_e32 v8, 0x10000, v4
	v_cmp_eq_u32_sdwa s[0:1], v4, v23 src0_sel:WORD_0 src1_sel:DWORD
	s_nop 1
	v_cndmask_b32_e64 v8, v8, v4, s[0:1]
; %bb.414:                              ;   in Loop: Header=BB324_296 Depth=1
	s_or_b64 exec, exec, s[6:7]
	v_bfe_u32 v4, v5, 8, 8
	v_cvt_f32_fp8_sdwa v4, v4 src0_sel:BYTE_0
	s_nop 0
	v_mul_f32_e32 v9, v32, v4
	v_and_b32_e32 v4, 0x7f800000, v9
	v_cmp_ne_u32_e64 s[0:1], s8, v4
                                        ; implicit-def: $vgpr4
	s_and_saveexec_b64 s[6:7], s[0:1]
	s_xor_b64 s[0:1], exec, s[6:7]
; %bb.415:                              ;   in Loop: Header=BB324_296 Depth=1
	v_bfe_u32 v4, v9, 16, 1
	v_add3_u32 v4, v9, v4, s9
                                        ; implicit-def: $vgpr9
; %bb.416:                              ;   in Loop: Header=BB324_296 Depth=1
	s_andn2_saveexec_b64 s[6:7], s[0:1]
; %bb.417:                              ;   in Loop: Header=BB324_296 Depth=1
	v_or_b32_e32 v4, 0x10000, v9
	v_cmp_eq_u32_sdwa s[0:1], v9, v23 src0_sel:WORD_0 src1_sel:DWORD
	s_nop 1
	v_cndmask_b32_e64 v4, v4, v9, s[0:1]
; %bb.418:                              ;   in Loop: Header=BB324_296 Depth=1
	s_or_b64 exec, exec, s[6:7]
	v_bfe_u32 v9, v5, 16, 8
	v_cvt_f32_fp8_sdwa v9, v9 src0_sel:BYTE_0
	s_nop 0
	v_mul_f32_e32 v18, v32, v9
	v_and_b32_e32 v9, 0x7f800000, v18
	v_cmp_ne_u32_e64 s[0:1], s8, v9
                                        ; implicit-def: $vgpr9
	s_and_saveexec_b64 s[6:7], s[0:1]
	s_xor_b64 s[0:1], exec, s[6:7]
; %bb.419:                              ;   in Loop: Header=BB324_296 Depth=1
	v_bfe_u32 v9, v18, 16, 1
	v_add3_u32 v9, v18, v9, s9
                                        ; implicit-def: $vgpr18
; %bb.420:                              ;   in Loop: Header=BB324_296 Depth=1
	s_andn2_saveexec_b64 s[6:7], s[0:1]
; %bb.421:                              ;   in Loop: Header=BB324_296 Depth=1
	v_or_b32_e32 v9, 0x10000, v18
	v_cmp_eq_u32_sdwa s[0:1], v18, v23 src0_sel:WORD_0 src1_sel:DWORD
	s_nop 1
	v_cndmask_b32_e64 v9, v9, v18, s[0:1]
; %bb.422:                              ;   in Loop: Header=BB324_296 Depth=1
	s_or_b64 exec, exec, s[6:7]
	v_lshrrev_b32_e32 v5, 24, v5
	v_cvt_f32_fp8_sdwa v5, v5 src0_sel:BYTE_0
                                        ; implicit-def: $vgpr19
	s_nop 0
	v_mul_f32_e32 v5, v32, v5
	v_and_b32_e32 v18, 0x7f800000, v5
	v_cmp_ne_u32_e64 s[0:1], s8, v18
	s_and_saveexec_b64 s[6:7], s[0:1]
	s_xor_b64 s[0:1], exec, s[6:7]
; %bb.423:                              ;   in Loop: Header=BB324_296 Depth=1
	v_bfe_u32 v18, v5, 16, 1
	v_add3_u32 v19, v5, v18, s9
                                        ; implicit-def: $vgpr5
; %bb.424:                              ;   in Loop: Header=BB324_296 Depth=1
	s_andn2_saveexec_b64 s[6:7], s[0:1]
; %bb.425:                              ;   in Loop: Header=BB324_296 Depth=1
	v_or_b32_e32 v18, 0x10000, v5
	v_cmp_eq_u32_sdwa s[0:1], v5, v23 src0_sel:WORD_0 src1_sel:DWORD
	s_nop 1
	v_cndmask_b32_e64 v19, v18, v5, s[0:1]
; %bb.426:                              ;   in Loop: Header=BB324_296 Depth=1
	s_or_b64 exec, exec, s[6:7]
	v_lshrrev_b32_e32 v4, 16, v4
	v_lshrrev_b32_e32 v5, 16, v8
	;; [unrolled: 1-line block ×8, first 2 shown]
	s_and_saveexec_b64 s[6:7], vcc
	s_cbranch_execz .LBB324_428
; %bb.427:                              ;   in Loop: Header=BB324_296 Depth=1
	v_accvgpr_read_b32 v9, a20
	v_cmp_lt_i32_e64 s[0:1], v9, v27
	v_accvgpr_read_b32 v9, a26
	s_nop 0
	v_cndmask_b32_e64 v18, 0, v18, s[0:1]
	v_cmp_lt_i32_e64 s[0:1], v9, v27
	v_accvgpr_read_b32 v9, a25
	s_nop 0
	v_cndmask_b32_e64 v8, 0, v8, s[0:1]
	;; [unrolled: 4-line block ×6, first 2 shown]
	v_cmp_lt_i32_e64 s[0:1], v9, v27
	s_nop 1
	v_cndmask_b32_e64 v1, 0, v1, s[0:1]
	v_cmp_lt_i32_e64 s[0:1], v22, v27
	s_nop 1
	v_cndmask_b32_e64 v0, 0, v0, s[0:1]
.LBB324_428:                            ;   in Loop: Header=BB324_296 Depth=1
	s_or_b64 exec, exec, s[6:7]
	v_lshlrev_b32_e32 v9, 16, v18
	v_mul_f32_e32 v9, v54, v9
	v_and_b32_e32 v18, 0x7f800000, v9
	v_cmp_ne_u32_e64 s[0:1], s8, v18
                                        ; implicit-def: $agpr27
	s_and_saveexec_b64 s[6:7], s[0:1]
	s_xor_b64 s[0:1], exec, s[6:7]
; %bb.429:                              ;   in Loop: Header=BB324_296 Depth=1
	v_bfe_u32 v18, v9, 16, 1
	v_add3_u32 v9, v9, v18, s9
	v_accvgpr_write_b32 a27, v9
                                        ; implicit-def: $vgpr9
; %bb.430:                              ;   in Loop: Header=BB324_296 Depth=1
	s_andn2_saveexec_b64 s[6:7], s[0:1]
; %bb.431:                              ;   in Loop: Header=BB324_296 Depth=1
	v_or_b32_e32 v18, 0x10000, v9
	v_cmp_eq_u32_sdwa s[0:1], v9, v23 src0_sel:WORD_0 src1_sel:DWORD
	s_nop 1
	v_cndmask_b32_e64 v9, v18, v9, s[0:1]
	v_accvgpr_write_b32 a27, v9
; %bb.432:                              ;   in Loop: Header=BB324_296 Depth=1
	s_or_b64 exec, exec, s[6:7]
	v_lshlrev_b32_e32 v8, 16, v8
	v_mul_f32_e32 v8, v55, v8
	v_and_b32_e32 v9, 0x7f800000, v8
	v_cmp_ne_u32_e64 s[0:1], s8, v9
                                        ; implicit-def: $agpr28
	s_and_saveexec_b64 s[6:7], s[0:1]
	s_xor_b64 s[0:1], exec, s[6:7]
; %bb.433:                              ;   in Loop: Header=BB324_296 Depth=1
	v_bfe_u32 v9, v8, 16, 1
	v_add3_u32 v8, v8, v9, s9
	v_accvgpr_write_b32 a28, v8
                                        ; implicit-def: $vgpr8
; %bb.434:                              ;   in Loop: Header=BB324_296 Depth=1
	s_andn2_saveexec_b64 s[6:7], s[0:1]
; %bb.435:                              ;   in Loop: Header=BB324_296 Depth=1
	v_or_b32_e32 v9, 0x10000, v8
	v_cmp_eq_u32_sdwa s[0:1], v8, v23 src0_sel:WORD_0 src1_sel:DWORD
	s_nop 1
	v_cndmask_b32_e64 v8, v9, v8, s[0:1]
	v_accvgpr_write_b32 a28, v8
; %bb.436:                              ;   in Loop: Header=BB324_296 Depth=1
	s_or_b64 exec, exec, s[6:7]
	v_lshlrev_b32_e32 v6, 16, v6
	v_mul_f32_e32 v6, v40, v6
	v_and_b32_e32 v8, 0x7f800000, v6
	v_cmp_ne_u32_e64 s[0:1], s8, v8
                                        ; implicit-def: $agpr29
	s_and_saveexec_b64 s[6:7], s[0:1]
	s_xor_b64 s[0:1], exec, s[6:7]
; %bb.437:                              ;   in Loop: Header=BB324_296 Depth=1
	v_bfe_u32 v8, v6, 16, 1
	v_add3_u32 v6, v6, v8, s9
	v_accvgpr_write_b32 a29, v6
                                        ; implicit-def: $vgpr6
; %bb.438:                              ;   in Loop: Header=BB324_296 Depth=1
	s_andn2_saveexec_b64 s[6:7], s[0:1]
; %bb.439:                              ;   in Loop: Header=BB324_296 Depth=1
	v_or_b32_e32 v8, 0x10000, v6
	v_cmp_eq_u32_sdwa s[0:1], v6, v23 src0_sel:WORD_0 src1_sel:DWORD
	s_nop 1
	v_cndmask_b32_e64 v6, v8, v6, s[0:1]
	v_accvgpr_write_b32 a29, v6
; %bb.440:                              ;   in Loop: Header=BB324_296 Depth=1
	s_or_b64 exec, exec, s[6:7]
	v_lshlrev_b32_e32 v6, 16, v7
	v_mul_f32_e32 v6, v41, v6
	v_and_b32_e32 v7, 0x7f800000, v6
	v_cmp_ne_u32_e64 s[0:1], s8, v7
                                        ; implicit-def: $agpr30
	s_and_saveexec_b64 s[6:7], s[0:1]
	s_xor_b64 s[0:1], exec, s[6:7]
; %bb.441:                              ;   in Loop: Header=BB324_296 Depth=1
	v_bfe_u32 v7, v6, 16, 1
	v_add3_u32 v6, v6, v7, s9
	v_accvgpr_write_b32 a30, v6
                                        ; implicit-def: $vgpr6
; %bb.442:                              ;   in Loop: Header=BB324_296 Depth=1
	s_andn2_saveexec_b64 s[6:7], s[0:1]
; %bb.443:                              ;   in Loop: Header=BB324_296 Depth=1
	v_or_b32_e32 v7, 0x10000, v6
	v_cmp_eq_u32_sdwa s[0:1], v6, v23 src0_sel:WORD_0 src1_sel:DWORD
	s_nop 1
	v_cndmask_b32_e64 v6, v7, v6, s[0:1]
	v_accvgpr_write_b32 a30, v6
; %bb.444:                              ;   in Loop: Header=BB324_296 Depth=1
	s_or_b64 exec, exec, s[6:7]
	v_lshlrev_b32_e32 v5, 16, v5
	v_mul_f32_e32 v5, v42, v5
	v_and_b32_e32 v6, 0x7f800000, v5
	v_cmp_ne_u32_e64 s[0:1], s8, v6
                                        ; implicit-def: $agpr31
	s_and_saveexec_b64 s[6:7], s[0:1]
	s_xor_b64 s[0:1], exec, s[6:7]
; %bb.445:                              ;   in Loop: Header=BB324_296 Depth=1
	v_bfe_u32 v6, v5, 16, 1
	v_add3_u32 v5, v5, v6, s9
	v_accvgpr_write_b32 a31, v5
                                        ; implicit-def: $vgpr5
; %bb.446:                              ;   in Loop: Header=BB324_296 Depth=1
	s_andn2_saveexec_b64 s[6:7], s[0:1]
; %bb.447:                              ;   in Loop: Header=BB324_296 Depth=1
	v_or_b32_e32 v6, 0x10000, v5
	v_cmp_eq_u32_sdwa s[0:1], v5, v23 src0_sel:WORD_0 src1_sel:DWORD
	s_nop 1
	v_cndmask_b32_e64 v5, v6, v5, s[0:1]
	v_accvgpr_write_b32 a31, v5
; %bb.448:                              ;   in Loop: Header=BB324_296 Depth=1
	s_or_b64 exec, exec, s[6:7]
	v_lshlrev_b32_e32 v4, 16, v4
	v_mul_f32_e32 v4, v43, v4
	v_and_b32_e32 v5, 0x7f800000, v4
	v_cmp_ne_u32_e64 s[0:1], s8, v5
                                        ; implicit-def: $agpr32
	s_and_saveexec_b64 s[6:7], s[0:1]
	s_xor_b64 s[0:1], exec, s[6:7]
; %bb.449:                              ;   in Loop: Header=BB324_296 Depth=1
	v_bfe_u32 v5, v4, 16, 1
	v_add3_u32 v4, v4, v5, s9
	v_accvgpr_write_b32 a32, v4
                                        ; implicit-def: $vgpr4
; %bb.450:                              ;   in Loop: Header=BB324_296 Depth=1
	s_andn2_saveexec_b64 s[6:7], s[0:1]
; %bb.451:                              ;   in Loop: Header=BB324_296 Depth=1
	v_or_b32_e32 v5, 0x10000, v4
	v_cmp_eq_u32_sdwa s[0:1], v4, v23 src0_sel:WORD_0 src1_sel:DWORD
	s_nop 1
	v_cndmask_b32_e64 v4, v5, v4, s[0:1]
	v_accvgpr_write_b32 a32, v4
; %bb.452:                              ;   in Loop: Header=BB324_296 Depth=1
	s_or_b64 exec, exec, s[6:7]
	v_lshlrev_b32_e32 v1, 16, v1
	v_mul_f32_e32 v1, v44, v1
	v_and_b32_e32 v4, 0x7f800000, v1
	v_cmp_ne_u32_e64 s[0:1], s8, v4
                                        ; implicit-def: $agpr33
	s_and_saveexec_b64 s[6:7], s[0:1]
	s_xor_b64 s[0:1], exec, s[6:7]
; %bb.453:                              ;   in Loop: Header=BB324_296 Depth=1
	v_bfe_u32 v4, v1, 16, 1
	v_add3_u32 v1, v1, v4, s9
	v_accvgpr_write_b32 a33, v1
                                        ; implicit-def: $vgpr1
; %bb.454:                              ;   in Loop: Header=BB324_296 Depth=1
	s_andn2_saveexec_b64 s[6:7], s[0:1]
; %bb.455:                              ;   in Loop: Header=BB324_296 Depth=1
	v_or_b32_e32 v4, 0x10000, v1
	v_cmp_eq_u32_sdwa s[0:1], v1, v23 src0_sel:WORD_0 src1_sel:DWORD
	s_nop 1
	v_cndmask_b32_e64 v1, v4, v1, s[0:1]
	v_accvgpr_write_b32 a33, v1
; %bb.456:                              ;   in Loop: Header=BB324_296 Depth=1
	s_or_b64 exec, exec, s[6:7]
	v_lshlrev_b32_e32 v0, 16, v0
	v_mul_f32_e32 v0, v45, v0
	v_and_b32_e32 v1, 0x7f800000, v0
	v_cmp_ne_u32_e64 s[0:1], s8, v1
                                        ; implicit-def: $agpr34
	s_and_saveexec_b64 s[6:7], s[0:1]
	s_xor_b64 s[0:1], exec, s[6:7]
; %bb.457:                              ;   in Loop: Header=BB324_296 Depth=1
	v_bfe_u32 v1, v0, 16, 1
	v_add3_u32 v0, v0, v1, s9
	v_accvgpr_write_b32 a34, v0
                                        ; implicit-def: $vgpr0
; %bb.458:                              ;   in Loop: Header=BB324_296 Depth=1
	s_andn2_saveexec_b64 s[6:7], s[0:1]
; %bb.459:                              ;   in Loop: Header=BB324_296 Depth=1
	v_or_b32_e32 v1, 0x10000, v0
	v_cmp_eq_u32_sdwa s[0:1], v0, v23 src0_sel:WORD_0 src1_sel:DWORD
	s_nop 1
	v_cndmask_b32_e64 v0, v1, v0, s[0:1]
	v_accvgpr_write_b32 a34, v0
; %bb.460:                              ;   in Loop: Header=BB324_296 Depth=1
	s_or_b64 exec, exec, s[6:7]
	flat_load_dwordx2 v[4:5], v[2:3] offset:1024
	s_waitcnt vmcnt(0) lgkmcnt(0)
	v_and_b32_e32 v0, 0xff, v4
	v_cvt_f32_fp8_sdwa v0, v0 src0_sel:BYTE_0
	s_nop 0
	v_mul_f32_e32 v1, v32, v0
	v_and_b32_e32 v0, 0x7f800000, v1
	v_cmp_ne_u32_e64 s[0:1], s8, v0
                                        ; implicit-def: $vgpr0
	s_and_saveexec_b64 s[6:7], s[0:1]
	s_xor_b64 s[0:1], exec, s[6:7]
; %bb.461:                              ;   in Loop: Header=BB324_296 Depth=1
	v_bfe_u32 v0, v1, 16, 1
	v_add3_u32 v0, v1, v0, s9
                                        ; implicit-def: $vgpr1
; %bb.462:                              ;   in Loop: Header=BB324_296 Depth=1
	s_andn2_saveexec_b64 s[6:7], s[0:1]
; %bb.463:                              ;   in Loop: Header=BB324_296 Depth=1
	v_or_b32_e32 v0, 0x10000, v1
	v_cmp_eq_u32_sdwa s[0:1], v1, v23 src0_sel:WORD_0 src1_sel:DWORD
	s_nop 1
	v_cndmask_b32_e64 v0, v0, v1, s[0:1]
; %bb.464:                              ;   in Loop: Header=BB324_296 Depth=1
	s_or_b64 exec, exec, s[6:7]
	v_bfe_u32 v1, v4, 8, 8
	v_cvt_f32_fp8_sdwa v1, v1 src0_sel:BYTE_0
	s_nop 0
	v_mul_f32_e32 v6, v32, v1
	v_and_b32_e32 v1, 0x7f800000, v6
	v_cmp_ne_u32_e64 s[0:1], s8, v1
                                        ; implicit-def: $vgpr1
	s_and_saveexec_b64 s[6:7], s[0:1]
	s_xor_b64 s[0:1], exec, s[6:7]
; %bb.465:                              ;   in Loop: Header=BB324_296 Depth=1
	v_bfe_u32 v1, v6, 16, 1
	v_add3_u32 v1, v6, v1, s9
                                        ; implicit-def: $vgpr6
; %bb.466:                              ;   in Loop: Header=BB324_296 Depth=1
	s_andn2_saveexec_b64 s[6:7], s[0:1]
; %bb.467:                              ;   in Loop: Header=BB324_296 Depth=1
	v_or_b32_e32 v1, 0x10000, v6
	v_cmp_eq_u32_sdwa s[0:1], v6, v23 src0_sel:WORD_0 src1_sel:DWORD
	s_nop 1
	v_cndmask_b32_e64 v1, v1, v6, s[0:1]
; %bb.468:                              ;   in Loop: Header=BB324_296 Depth=1
	s_or_b64 exec, exec, s[6:7]
	v_bfe_u32 v6, v4, 16, 8
	v_cvt_f32_fp8_sdwa v6, v6 src0_sel:BYTE_0
	s_nop 0
	v_mul_f32_e32 v6, v32, v6
	v_and_b32_e32 v7, 0x7f800000, v6
	v_cmp_ne_u32_e64 s[0:1], s8, v7
                                        ; implicit-def: $vgpr7
	s_and_saveexec_b64 s[6:7], s[0:1]
	s_xor_b64 s[0:1], exec, s[6:7]
; %bb.469:                              ;   in Loop: Header=BB324_296 Depth=1
	v_bfe_u32 v7, v6, 16, 1
	v_add3_u32 v7, v6, v7, s9
                                        ; implicit-def: $vgpr6
; %bb.470:                              ;   in Loop: Header=BB324_296 Depth=1
	s_andn2_saveexec_b64 s[6:7], s[0:1]
; %bb.471:                              ;   in Loop: Header=BB324_296 Depth=1
	v_or_b32_e32 v7, 0x10000, v6
	v_cmp_eq_u32_sdwa s[0:1], v6, v23 src0_sel:WORD_0 src1_sel:DWORD
	s_nop 1
	v_cndmask_b32_e64 v7, v7, v6, s[0:1]
; %bb.472:                              ;   in Loop: Header=BB324_296 Depth=1
	s_or_b64 exec, exec, s[6:7]
	v_lshrrev_b32_e32 v4, 24, v4
	v_cvt_f32_fp8_sdwa v4, v4 src0_sel:BYTE_0
	s_nop 0
	v_mul_f32_e32 v6, v32, v4
	v_and_b32_e32 v4, 0x7f800000, v6
	v_cmp_ne_u32_e64 s[0:1], s8, v4
                                        ; implicit-def: $vgpr4
	s_and_saveexec_b64 s[6:7], s[0:1]
	s_xor_b64 s[0:1], exec, s[6:7]
; %bb.473:                              ;   in Loop: Header=BB324_296 Depth=1
	v_bfe_u32 v4, v6, 16, 1
	v_add3_u32 v4, v6, v4, s9
                                        ; implicit-def: $vgpr6
; %bb.474:                              ;   in Loop: Header=BB324_296 Depth=1
	s_andn2_saveexec_b64 s[6:7], s[0:1]
; %bb.475:                              ;   in Loop: Header=BB324_296 Depth=1
	v_or_b32_e32 v4, 0x10000, v6
	v_cmp_eq_u32_sdwa s[0:1], v6, v23 src0_sel:WORD_0 src1_sel:DWORD
	s_nop 1
	v_cndmask_b32_e64 v4, v4, v6, s[0:1]
; %bb.476:                              ;   in Loop: Header=BB324_296 Depth=1
	s_or_b64 exec, exec, s[6:7]
	v_and_b32_e32 v6, 0xff, v5
	v_cvt_f32_fp8_sdwa v6, v6 src0_sel:BYTE_0
	s_nop 0
	v_mul_f32_e32 v6, v32, v6
	v_and_b32_e32 v8, 0x7f800000, v6
	v_cmp_ne_u32_e64 s[0:1], s8, v8
                                        ; implicit-def: $vgpr8
	s_and_saveexec_b64 s[6:7], s[0:1]
	s_xor_b64 s[0:1], exec, s[6:7]
; %bb.477:                              ;   in Loop: Header=BB324_296 Depth=1
	v_bfe_u32 v8, v6, 16, 1
	v_add3_u32 v8, v6, v8, s9
                                        ; implicit-def: $vgpr6
; %bb.478:                              ;   in Loop: Header=BB324_296 Depth=1
	s_andn2_saveexec_b64 s[6:7], s[0:1]
; %bb.479:                              ;   in Loop: Header=BB324_296 Depth=1
	v_or_b32_e32 v8, 0x10000, v6
	v_cmp_eq_u32_sdwa s[0:1], v6, v23 src0_sel:WORD_0 src1_sel:DWORD
	s_nop 1
	v_cndmask_b32_e64 v8, v8, v6, s[0:1]
; %bb.480:                              ;   in Loop: Header=BB324_296 Depth=1
	s_or_b64 exec, exec, s[6:7]
	v_bfe_u32 v6, v5, 8, 8
	v_cvt_f32_fp8_sdwa v6, v6 src0_sel:BYTE_0
	s_nop 0
	v_mul_f32_e32 v9, v32, v6
	v_and_b32_e32 v6, 0x7f800000, v9
	v_cmp_ne_u32_e64 s[0:1], s8, v6
                                        ; implicit-def: $vgpr6
	s_and_saveexec_b64 s[6:7], s[0:1]
	s_xor_b64 s[0:1], exec, s[6:7]
; %bb.481:                              ;   in Loop: Header=BB324_296 Depth=1
	v_bfe_u32 v6, v9, 16, 1
	v_add3_u32 v6, v9, v6, s9
                                        ; implicit-def: $vgpr9
; %bb.482:                              ;   in Loop: Header=BB324_296 Depth=1
	s_andn2_saveexec_b64 s[6:7], s[0:1]
; %bb.483:                              ;   in Loop: Header=BB324_296 Depth=1
	v_or_b32_e32 v6, 0x10000, v9
	v_cmp_eq_u32_sdwa s[0:1], v9, v23 src0_sel:WORD_0 src1_sel:DWORD
	s_nop 1
	v_cndmask_b32_e64 v6, v6, v9, s[0:1]
; %bb.484:                              ;   in Loop: Header=BB324_296 Depth=1
	s_or_b64 exec, exec, s[6:7]
	v_bfe_u32 v9, v5, 16, 8
	v_cvt_f32_fp8_sdwa v9, v9 src0_sel:BYTE_0
	s_nop 0
	v_mul_f32_e32 v9, v32, v9
	v_and_b32_e32 v18, 0x7f800000, v9
	v_cmp_ne_u32_e64 s[0:1], s8, v18
                                        ; implicit-def: $vgpr18
	s_and_saveexec_b64 s[6:7], s[0:1]
	s_xor_b64 s[0:1], exec, s[6:7]
; %bb.485:                              ;   in Loop: Header=BB324_296 Depth=1
	v_bfe_u32 v18, v9, 16, 1
	v_add3_u32 v18, v9, v18, s9
                                        ; implicit-def: $vgpr9
; %bb.486:                              ;   in Loop: Header=BB324_296 Depth=1
	s_andn2_saveexec_b64 s[6:7], s[0:1]
; %bb.487:                              ;   in Loop: Header=BB324_296 Depth=1
	v_or_b32_e32 v18, 0x10000, v9
	v_cmp_eq_u32_sdwa s[0:1], v9, v23 src0_sel:WORD_0 src1_sel:DWORD
	s_nop 1
	v_cndmask_b32_e64 v18, v18, v9, s[0:1]
; %bb.488:                              ;   in Loop: Header=BB324_296 Depth=1
	s_or_b64 exec, exec, s[6:7]
	v_lshrrev_b32_e32 v5, 24, v5
	v_cvt_f32_fp8_sdwa v5, v5 src0_sel:BYTE_0
                                        ; implicit-def: $vgpr19
	s_nop 0
	v_mul_f32_e32 v5, v32, v5
	v_and_b32_e32 v9, 0x7f800000, v5
	v_cmp_ne_u32_e64 s[0:1], s8, v9
	s_and_saveexec_b64 s[6:7], s[0:1]
	s_xor_b64 s[0:1], exec, s[6:7]
; %bb.489:                              ;   in Loop: Header=BB324_296 Depth=1
	v_bfe_u32 v9, v5, 16, 1
	v_add3_u32 v19, v5, v9, s9
                                        ; implicit-def: $vgpr5
; %bb.490:                              ;   in Loop: Header=BB324_296 Depth=1
	s_andn2_saveexec_b64 s[6:7], s[0:1]
; %bb.491:                              ;   in Loop: Header=BB324_296 Depth=1
	v_or_b32_e32 v9, 0x10000, v5
	v_cmp_eq_u32_sdwa s[0:1], v5, v23 src0_sel:WORD_0 src1_sel:DWORD
	s_nop 1
	v_cndmask_b32_e64 v19, v9, v5, s[0:1]
; %bb.492:                              ;   in Loop: Header=BB324_296 Depth=1
	s_or_b64 exec, exec, s[6:7]
	v_lshrrev_b32_e32 v6, 16, v6
	v_lshrrev_b32_e32 v8, 16, v8
	;; [unrolled: 1-line block ×8, first 2 shown]
	s_and_saveexec_b64 s[6:7], vcc
	s_cbranch_execz .LBB324_494
; %bb.493:                              ;   in Loop: Header=BB324_296 Depth=1
	v_accvgpr_read_b32 v18, a20
	v_cmp_lt_i32_e64 s[0:1], v18, v27
	v_accvgpr_read_b32 v18, a26
	s_nop 0
	v_cndmask_b32_e64 v0, 0, v0, s[0:1]
	v_cmp_lt_i32_e64 s[0:1], v18, v27
	v_accvgpr_read_b32 v18, a25
	s_nop 0
	v_cndmask_b32_e64 v1, 0, v1, s[0:1]
	;; [unrolled: 4-line block ×6, first 2 shown]
	v_cmp_lt_i32_e64 s[0:1], v18, v27
	s_nop 1
	v_cndmask_b32_e64 v5, 0, v5, s[0:1]
	v_cmp_lt_i32_e64 s[0:1], v22, v27
	s_nop 1
	v_cndmask_b32_e64 v4, 0, v4, s[0:1]
.LBB324_494:                            ;   in Loop: Header=BB324_296 Depth=1
	s_or_b64 exec, exec, s[6:7]
	v_lshlrev_b32_e32 v0, 16, v0
	v_mul_f32_e32 v0, v54, v0
	v_and_b32_e32 v18, 0x7f800000, v0
	v_cmp_ne_u32_e64 s[0:1], s8, v18
                                        ; implicit-def: $agpr35
	s_and_saveexec_b64 s[6:7], s[0:1]
	s_xor_b64 s[0:1], exec, s[6:7]
; %bb.495:                              ;   in Loop: Header=BB324_296 Depth=1
	v_bfe_u32 v18, v0, 16, 1
	v_add3_u32 v0, v0, v18, s9
	v_accvgpr_write_b32 a35, v0
                                        ; implicit-def: $vgpr0
; %bb.496:                              ;   in Loop: Header=BB324_296 Depth=1
	s_andn2_saveexec_b64 s[6:7], s[0:1]
; %bb.497:                              ;   in Loop: Header=BB324_296 Depth=1
	v_or_b32_e32 v18, 0x10000, v0
	v_cmp_eq_u32_sdwa s[0:1], v0, v23 src0_sel:WORD_0 src1_sel:DWORD
	s_nop 1
	v_cndmask_b32_e64 v0, v18, v0, s[0:1]
	v_accvgpr_write_b32 a35, v0
; %bb.498:                              ;   in Loop: Header=BB324_296 Depth=1
	s_or_b64 exec, exec, s[6:7]
	v_lshlrev_b32_e32 v0, 16, v1
	v_mul_f32_e32 v0, v55, v0
	v_and_b32_e32 v1, 0x7f800000, v0
	v_cmp_ne_u32_e64 s[0:1], s8, v1
                                        ; implicit-def: $agpr36
	s_and_saveexec_b64 s[6:7], s[0:1]
	s_xor_b64 s[0:1], exec, s[6:7]
; %bb.499:                              ;   in Loop: Header=BB324_296 Depth=1
	v_bfe_u32 v1, v0, 16, 1
	v_add3_u32 v0, v0, v1, s9
	v_accvgpr_write_b32 a36, v0
                                        ; implicit-def: $vgpr0
; %bb.500:                              ;   in Loop: Header=BB324_296 Depth=1
	s_andn2_saveexec_b64 s[6:7], s[0:1]
; %bb.501:                              ;   in Loop: Header=BB324_296 Depth=1
	v_or_b32_e32 v1, 0x10000, v0
	v_cmp_eq_u32_sdwa s[0:1], v0, v23 src0_sel:WORD_0 src1_sel:DWORD
	s_nop 1
	v_cndmask_b32_e64 v0, v1, v0, s[0:1]
	v_accvgpr_write_b32 a36, v0
; %bb.502:                              ;   in Loop: Header=BB324_296 Depth=1
	s_or_b64 exec, exec, s[6:7]
	v_lshlrev_b32_e32 v0, 16, v7
	v_mul_f32_e32 v0, v40, v0
	v_and_b32_e32 v1, 0x7f800000, v0
	v_cmp_ne_u32_e64 s[0:1], s8, v1
                                        ; implicit-def: $agpr37
	s_and_saveexec_b64 s[6:7], s[0:1]
	s_xor_b64 s[0:1], exec, s[6:7]
; %bb.503:                              ;   in Loop: Header=BB324_296 Depth=1
	v_bfe_u32 v1, v0, 16, 1
	v_add3_u32 v0, v0, v1, s9
	v_accvgpr_write_b32 a37, v0
                                        ; implicit-def: $vgpr0
; %bb.504:                              ;   in Loop: Header=BB324_296 Depth=1
	s_andn2_saveexec_b64 s[6:7], s[0:1]
; %bb.505:                              ;   in Loop: Header=BB324_296 Depth=1
	v_or_b32_e32 v1, 0x10000, v0
	v_cmp_eq_u32_sdwa s[0:1], v0, v23 src0_sel:WORD_0 src1_sel:DWORD
	s_nop 1
	v_cndmask_b32_e64 v0, v1, v0, s[0:1]
	v_accvgpr_write_b32 a37, v0
; %bb.506:                              ;   in Loop: Header=BB324_296 Depth=1
	s_or_b64 exec, exec, s[6:7]
	v_lshlrev_b32_e32 v0, 16, v9
	v_mul_f32_e32 v0, v41, v0
	v_and_b32_e32 v1, 0x7f800000, v0
	v_cmp_ne_u32_e64 s[0:1], s8, v1
                                        ; implicit-def: $agpr38
	s_and_saveexec_b64 s[6:7], s[0:1]
	s_xor_b64 s[0:1], exec, s[6:7]
; %bb.507:                              ;   in Loop: Header=BB324_296 Depth=1
	v_bfe_u32 v1, v0, 16, 1
	v_add3_u32 v0, v0, v1, s9
	v_accvgpr_write_b32 a38, v0
                                        ; implicit-def: $vgpr0
; %bb.508:                              ;   in Loop: Header=BB324_296 Depth=1
	s_andn2_saveexec_b64 s[6:7], s[0:1]
; %bb.509:                              ;   in Loop: Header=BB324_296 Depth=1
	v_or_b32_e32 v1, 0x10000, v0
	v_cmp_eq_u32_sdwa s[0:1], v0, v23 src0_sel:WORD_0 src1_sel:DWORD
	s_nop 1
	v_cndmask_b32_e64 v0, v1, v0, s[0:1]
	v_accvgpr_write_b32 a38, v0
; %bb.510:                              ;   in Loop: Header=BB324_296 Depth=1
	s_or_b64 exec, exec, s[6:7]
	v_lshlrev_b32_e32 v0, 16, v8
	v_mul_f32_e32 v0, v42, v0
	v_and_b32_e32 v1, 0x7f800000, v0
	v_cmp_ne_u32_e64 s[0:1], s8, v1
                                        ; implicit-def: $agpr39
	s_and_saveexec_b64 s[6:7], s[0:1]
	s_xor_b64 s[0:1], exec, s[6:7]
; %bb.511:                              ;   in Loop: Header=BB324_296 Depth=1
	v_bfe_u32 v1, v0, 16, 1
	v_add3_u32 v0, v0, v1, s9
	v_accvgpr_write_b32 a39, v0
                                        ; implicit-def: $vgpr0
; %bb.512:                              ;   in Loop: Header=BB324_296 Depth=1
	s_andn2_saveexec_b64 s[6:7], s[0:1]
; %bb.513:                              ;   in Loop: Header=BB324_296 Depth=1
	v_or_b32_e32 v1, 0x10000, v0
	v_cmp_eq_u32_sdwa s[0:1], v0, v23 src0_sel:WORD_0 src1_sel:DWORD
	s_nop 1
	v_cndmask_b32_e64 v0, v1, v0, s[0:1]
	v_accvgpr_write_b32 a39, v0
; %bb.514:                              ;   in Loop: Header=BB324_296 Depth=1
	s_or_b64 exec, exec, s[6:7]
	v_lshlrev_b32_e32 v0, 16, v6
	v_mul_f32_e32 v0, v43, v0
	v_and_b32_e32 v1, 0x7f800000, v0
	v_cmp_ne_u32_e64 s[0:1], s8, v1
                                        ; implicit-def: $agpr40
	s_and_saveexec_b64 s[6:7], s[0:1]
	s_xor_b64 s[0:1], exec, s[6:7]
; %bb.515:                              ;   in Loop: Header=BB324_296 Depth=1
	v_bfe_u32 v1, v0, 16, 1
	v_add3_u32 v0, v0, v1, s9
	v_accvgpr_write_b32 a40, v0
                                        ; implicit-def: $vgpr0
; %bb.516:                              ;   in Loop: Header=BB324_296 Depth=1
	s_andn2_saveexec_b64 s[6:7], s[0:1]
; %bb.517:                              ;   in Loop: Header=BB324_296 Depth=1
	v_or_b32_e32 v1, 0x10000, v0
	v_cmp_eq_u32_sdwa s[0:1], v0, v23 src0_sel:WORD_0 src1_sel:DWORD
	s_nop 1
	v_cndmask_b32_e64 v0, v1, v0, s[0:1]
	v_accvgpr_write_b32 a40, v0
; %bb.518:                              ;   in Loop: Header=BB324_296 Depth=1
	s_or_b64 exec, exec, s[6:7]
	v_lshlrev_b32_e32 v0, 16, v5
	v_mul_f32_e32 v0, v44, v0
	v_and_b32_e32 v1, 0x7f800000, v0
	v_cmp_ne_u32_e64 s[0:1], s8, v1
                                        ; implicit-def: $agpr41
	s_and_saveexec_b64 s[6:7], s[0:1]
	s_xor_b64 s[0:1], exec, s[6:7]
; %bb.519:                              ;   in Loop: Header=BB324_296 Depth=1
	v_bfe_u32 v1, v0, 16, 1
	v_add3_u32 v0, v0, v1, s9
	v_accvgpr_write_b32 a41, v0
                                        ; implicit-def: $vgpr0
; %bb.520:                              ;   in Loop: Header=BB324_296 Depth=1
	s_andn2_saveexec_b64 s[6:7], s[0:1]
; %bb.521:                              ;   in Loop: Header=BB324_296 Depth=1
	v_or_b32_e32 v1, 0x10000, v0
	v_cmp_eq_u32_sdwa s[0:1], v0, v23 src0_sel:WORD_0 src1_sel:DWORD
	s_nop 1
	v_cndmask_b32_e64 v0, v1, v0, s[0:1]
	v_accvgpr_write_b32 a41, v0
; %bb.522:                              ;   in Loop: Header=BB324_296 Depth=1
	s_or_b64 exec, exec, s[6:7]
	v_lshlrev_b32_e32 v0, 16, v4
	v_mul_f32_e32 v0, v45, v0
	v_and_b32_e32 v1, 0x7f800000, v0
	v_cmp_ne_u32_e64 s[0:1], s8, v1
                                        ; implicit-def: $agpr42
	s_and_saveexec_b64 s[6:7], s[0:1]
	s_xor_b64 s[0:1], exec, s[6:7]
; %bb.523:                              ;   in Loop: Header=BB324_296 Depth=1
	v_bfe_u32 v1, v0, 16, 1
	v_add3_u32 v0, v0, v1, s9
	v_accvgpr_write_b32 a42, v0
                                        ; implicit-def: $vgpr0
; %bb.524:                              ;   in Loop: Header=BB324_296 Depth=1
	s_andn2_saveexec_b64 s[6:7], s[0:1]
; %bb.525:                              ;   in Loop: Header=BB324_296 Depth=1
	v_or_b32_e32 v1, 0x10000, v0
	v_cmp_eq_u32_sdwa s[0:1], v0, v23 src0_sel:WORD_0 src1_sel:DWORD
	s_nop 1
	v_cndmask_b32_e64 v0, v1, v0, s[0:1]
	v_accvgpr_write_b32 a42, v0
; %bb.526:                              ;   in Loop: Header=BB324_296 Depth=1
	s_or_b64 exec, exec, s[6:7]
	flat_load_dwordx2 v[4:5], v[2:3] offset:1536
                                        ; implicit-def: $vgpr6
	s_waitcnt vmcnt(0) lgkmcnt(0)
	v_and_b32_e32 v0, 0xff, v4
	v_cvt_f32_fp8_sdwa v0, v0 src0_sel:BYTE_0
	s_nop 0
	v_mul_f32_e32 v0, v32, v0
	v_and_b32_e32 v1, 0x7f800000, v0
	v_cmp_ne_u32_e64 s[0:1], s8, v1
	s_and_saveexec_b64 s[6:7], s[0:1]
	s_xor_b64 s[0:1], exec, s[6:7]
; %bb.527:                              ;   in Loop: Header=BB324_296 Depth=1
	v_bfe_u32 v1, v0, 16, 1
	v_add3_u32 v6, v0, v1, s9
                                        ; implicit-def: $vgpr0
; %bb.528:                              ;   in Loop: Header=BB324_296 Depth=1
	s_andn2_saveexec_b64 s[6:7], s[0:1]
; %bb.529:                              ;   in Loop: Header=BB324_296 Depth=1
	v_or_b32_e32 v1, 0x10000, v0
	v_cmp_eq_u32_sdwa s[0:1], v0, v23 src0_sel:WORD_0 src1_sel:DWORD
	s_nop 1
	v_cndmask_b32_e64 v6, v1, v0, s[0:1]
; %bb.530:                              ;   in Loop: Header=BB324_296 Depth=1
	s_or_b64 exec, exec, s[6:7]
	v_bfe_u32 v0, v4, 8, 8
	v_cvt_f32_fp8_sdwa v0, v0 src0_sel:BYTE_0
                                        ; implicit-def: $vgpr7
	s_nop 0
	v_mul_f32_e32 v0, v32, v0
	v_and_b32_e32 v1, 0x7f800000, v0
	v_cmp_ne_u32_e64 s[0:1], s8, v1
	s_and_saveexec_b64 s[6:7], s[0:1]
	s_xor_b64 s[0:1], exec, s[6:7]
; %bb.531:                              ;   in Loop: Header=BB324_296 Depth=1
	v_bfe_u32 v1, v0, 16, 1
	v_add3_u32 v7, v0, v1, s9
                                        ; implicit-def: $vgpr0
; %bb.532:                              ;   in Loop: Header=BB324_296 Depth=1
	s_andn2_saveexec_b64 s[6:7], s[0:1]
; %bb.533:                              ;   in Loop: Header=BB324_296 Depth=1
	v_or_b32_e32 v1, 0x10000, v0
	v_cmp_eq_u32_sdwa s[0:1], v0, v23 src0_sel:WORD_0 src1_sel:DWORD
	s_nop 1
	v_cndmask_b32_e64 v7, v1, v0, s[0:1]
; %bb.534:                              ;   in Loop: Header=BB324_296 Depth=1
	s_or_b64 exec, exec, s[6:7]
	v_bfe_u32 v0, v4, 16, 8
	v_cvt_f32_fp8_sdwa v0, v0 src0_sel:BYTE_0
	s_nop 0
	v_mul_f32_e32 v0, v32, v0
	v_and_b32_e32 v1, 0x7f800000, v0
	v_cmp_ne_u32_e64 s[0:1], s8, v1
                                        ; implicit-def: $vgpr1
	s_and_saveexec_b64 s[6:7], s[0:1]
	s_xor_b64 s[0:1], exec, s[6:7]
; %bb.535:                              ;   in Loop: Header=BB324_296 Depth=1
	v_bfe_u32 v1, v0, 16, 1
	v_add3_u32 v1, v0, v1, s9
                                        ; implicit-def: $vgpr0
; %bb.536:                              ;   in Loop: Header=BB324_296 Depth=1
	s_andn2_saveexec_b64 s[6:7], s[0:1]
; %bb.537:                              ;   in Loop: Header=BB324_296 Depth=1
	v_or_b32_e32 v1, 0x10000, v0
	v_cmp_eq_u32_sdwa s[0:1], v0, v23 src0_sel:WORD_0 src1_sel:DWORD
	s_nop 1
	v_cndmask_b32_e64 v1, v1, v0, s[0:1]
; %bb.538:                              ;   in Loop: Header=BB324_296 Depth=1
	s_or_b64 exec, exec, s[6:7]
	v_lshrrev_b32_e32 v0, 24, v4
	v_cvt_f32_fp8_sdwa v0, v0 src0_sel:BYTE_0
	s_nop 0
	v_mul_f32_e32 v4, v32, v0
	v_and_b32_e32 v0, 0x7f800000, v4
	v_cmp_ne_u32_e64 s[0:1], s8, v0
                                        ; implicit-def: $vgpr0
	s_and_saveexec_b64 s[6:7], s[0:1]
	s_xor_b64 s[0:1], exec, s[6:7]
; %bb.539:                              ;   in Loop: Header=BB324_296 Depth=1
	v_bfe_u32 v0, v4, 16, 1
	v_add3_u32 v0, v4, v0, s9
                                        ; implicit-def: $vgpr4
; %bb.540:                              ;   in Loop: Header=BB324_296 Depth=1
	s_andn2_saveexec_b64 s[6:7], s[0:1]
; %bb.541:                              ;   in Loop: Header=BB324_296 Depth=1
	v_or_b32_e32 v0, 0x10000, v4
	v_cmp_eq_u32_sdwa s[0:1], v4, v23 src0_sel:WORD_0 src1_sel:DWORD
	s_nop 1
	v_cndmask_b32_e64 v0, v0, v4, s[0:1]
; %bb.542:                              ;   in Loop: Header=BB324_296 Depth=1
	s_or_b64 exec, exec, s[6:7]
	v_and_b32_e32 v4, 0xff, v5
	v_cvt_f32_fp8_sdwa v4, v4 src0_sel:BYTE_0
	s_nop 0
	v_mul_f32_e32 v8, v32, v4
	v_and_b32_e32 v4, 0x7f800000, v8
	v_cmp_ne_u32_e64 s[0:1], s8, v4
                                        ; implicit-def: $vgpr4
	s_and_saveexec_b64 s[6:7], s[0:1]
	s_xor_b64 s[0:1], exec, s[6:7]
; %bb.543:                              ;   in Loop: Header=BB324_296 Depth=1
	v_bfe_u32 v4, v8, 16, 1
	v_add3_u32 v4, v8, v4, s9
                                        ; implicit-def: $vgpr8
; %bb.544:                              ;   in Loop: Header=BB324_296 Depth=1
	s_andn2_saveexec_b64 s[6:7], s[0:1]
; %bb.545:                              ;   in Loop: Header=BB324_296 Depth=1
	v_or_b32_e32 v4, 0x10000, v8
	v_cmp_eq_u32_sdwa s[0:1], v8, v23 src0_sel:WORD_0 src1_sel:DWORD
	s_nop 1
	v_cndmask_b32_e64 v4, v4, v8, s[0:1]
; %bb.546:                              ;   in Loop: Header=BB324_296 Depth=1
	s_or_b64 exec, exec, s[6:7]
	v_bfe_u32 v8, v5, 8, 8
	v_cvt_f32_fp8_sdwa v8, v8 src0_sel:BYTE_0
	s_nop 0
	v_mul_f32_e32 v9, v32, v8
	v_and_b32_e32 v8, 0x7f800000, v9
	v_cmp_ne_u32_e64 s[0:1], s8, v8
                                        ; implicit-def: $vgpr8
	s_and_saveexec_b64 s[6:7], s[0:1]
	s_xor_b64 s[0:1], exec, s[6:7]
; %bb.547:                              ;   in Loop: Header=BB324_296 Depth=1
	v_bfe_u32 v8, v9, 16, 1
	v_add3_u32 v8, v9, v8, s9
                                        ; implicit-def: $vgpr9
; %bb.548:                              ;   in Loop: Header=BB324_296 Depth=1
	s_andn2_saveexec_b64 s[6:7], s[0:1]
; %bb.549:                              ;   in Loop: Header=BB324_296 Depth=1
	v_or_b32_e32 v8, 0x10000, v9
	v_cmp_eq_u32_sdwa s[0:1], v9, v23 src0_sel:WORD_0 src1_sel:DWORD
	s_nop 1
	v_cndmask_b32_e64 v8, v8, v9, s[0:1]
; %bb.550:                              ;   in Loop: Header=BB324_296 Depth=1
	s_or_b64 exec, exec, s[6:7]
	v_bfe_u32 v9, v5, 16, 8
	v_cvt_f32_fp8_sdwa v9, v9 src0_sel:BYTE_0
	s_nop 0
	v_mul_f32_e32 v9, v32, v9
	v_and_b32_e32 v18, 0x7f800000, v9
	v_cmp_ne_u32_e64 s[0:1], s8, v18
                                        ; implicit-def: $vgpr18
	s_and_saveexec_b64 s[6:7], s[0:1]
	s_xor_b64 s[0:1], exec, s[6:7]
; %bb.551:                              ;   in Loop: Header=BB324_296 Depth=1
	v_bfe_u32 v18, v9, 16, 1
	v_add3_u32 v18, v9, v18, s9
                                        ; implicit-def: $vgpr9
; %bb.552:                              ;   in Loop: Header=BB324_296 Depth=1
	s_andn2_saveexec_b64 s[6:7], s[0:1]
; %bb.553:                              ;   in Loop: Header=BB324_296 Depth=1
	v_or_b32_e32 v18, 0x10000, v9
	v_cmp_eq_u32_sdwa s[0:1], v9, v23 src0_sel:WORD_0 src1_sel:DWORD
	s_nop 1
	v_cndmask_b32_e64 v18, v18, v9, s[0:1]
; %bb.554:                              ;   in Loop: Header=BB324_296 Depth=1
	s_or_b64 exec, exec, s[6:7]
	v_lshrrev_b32_e32 v5, 24, v5
	v_cvt_f32_fp8_sdwa v5, v5 src0_sel:BYTE_0
                                        ; implicit-def: $vgpr19
	s_nop 0
	v_mul_f32_e32 v5, v32, v5
	v_and_b32_e32 v9, 0x7f800000, v5
	v_cmp_ne_u32_e64 s[0:1], s8, v9
	s_and_saveexec_b64 s[6:7], s[0:1]
	s_xor_b64 s[0:1], exec, s[6:7]
; %bb.555:                              ;   in Loop: Header=BB324_296 Depth=1
	v_bfe_u32 v9, v5, 16, 1
	v_add3_u32 v19, v5, v9, s9
                                        ; implicit-def: $vgpr5
; %bb.556:                              ;   in Loop: Header=BB324_296 Depth=1
	s_andn2_saveexec_b64 s[6:7], s[0:1]
; %bb.557:                              ;   in Loop: Header=BB324_296 Depth=1
	v_or_b32_e32 v9, 0x10000, v5
	v_cmp_eq_u32_sdwa s[0:1], v5, v23 src0_sel:WORD_0 src1_sel:DWORD
	s_nop 1
	v_cndmask_b32_e64 v19, v9, v5, s[0:1]
; %bb.558:                              ;   in Loop: Header=BB324_296 Depth=1
	s_or_b64 exec, exec, s[6:7]
	v_lshrrev_b32_e32 v8, 16, v8
	v_lshrrev_b32_e32 v9, 16, v4
	;; [unrolled: 1-line block ×8, first 2 shown]
	s_and_saveexec_b64 s[6:7], vcc
	s_cbranch_execz .LBB324_560
; %bb.559:                              ;   in Loop: Header=BB324_296 Depth=1
	v_accvgpr_read_b32 v18, a20
	v_cmp_lt_i32_e64 s[0:1], v18, v27
	v_accvgpr_read_b32 v18, a26
	s_nop 0
	v_cndmask_b32_e64 v6, 0, v6, s[0:1]
	v_cmp_lt_i32_e64 s[0:1], v18, v27
	v_accvgpr_read_b32 v18, a25
	s_nop 0
	v_cndmask_b32_e64 v7, 0, v7, s[0:1]
	v_cmp_lt_i32_e64 s[0:1], v18, v27
	v_accvgpr_read_b32 v18, a24
	s_nop 0
	v_cndmask_b32_e64 v1, 0, v1, s[0:1]
	v_cmp_lt_i32_e64 s[0:1], v18, v27
	v_accvgpr_read_b32 v18, a23
	s_nop 0
	v_cndmask_b32_e64 v0, 0, v0, s[0:1]
	v_cmp_lt_i32_e64 s[0:1], v18, v27
	v_accvgpr_read_b32 v18, a22
	s_nop 0
	v_cndmask_b32_e64 v9, 0, v9, s[0:1]
	v_cmp_lt_i32_e64 s[0:1], v18, v27
	v_accvgpr_read_b32 v18, a21
	s_nop 0
	v_cndmask_b32_e64 v8, 0, v8, s[0:1]
	v_cmp_lt_i32_e64 s[0:1], v18, v27
	s_nop 1
	v_cndmask_b32_e64 v5, 0, v5, s[0:1]
	v_cmp_lt_i32_e64 s[0:1], v22, v27
	s_nop 1
	v_cndmask_b32_e64 v4, 0, v4, s[0:1]
.LBB324_560:                            ;   in Loop: Header=BB324_296 Depth=1
	s_or_b64 exec, exec, s[6:7]
	v_lshlrev_b32_e32 v6, 16, v6
	v_mul_f32_e32 v6, v54, v6
	v_and_b32_e32 v18, 0x7f800000, v6
	v_cmp_ne_u32_e64 s[0:1], s8, v18
                                        ; implicit-def: $agpr43
	s_and_saveexec_b64 s[6:7], s[0:1]
	s_xor_b64 s[0:1], exec, s[6:7]
; %bb.561:                              ;   in Loop: Header=BB324_296 Depth=1
	v_bfe_u32 v18, v6, 16, 1
	v_add3_u32 v6, v6, v18, s9
	v_accvgpr_write_b32 a43, v6
                                        ; implicit-def: $vgpr6
; %bb.562:                              ;   in Loop: Header=BB324_296 Depth=1
	s_andn2_saveexec_b64 s[6:7], s[0:1]
; %bb.563:                              ;   in Loop: Header=BB324_296 Depth=1
	v_or_b32_e32 v18, 0x10000, v6
	v_cmp_eq_u32_sdwa s[0:1], v6, v23 src0_sel:WORD_0 src1_sel:DWORD
	s_nop 1
	v_cndmask_b32_e64 v6, v18, v6, s[0:1]
	v_accvgpr_write_b32 a43, v6
; %bb.564:                              ;   in Loop: Header=BB324_296 Depth=1
	s_or_b64 exec, exec, s[6:7]
	v_lshlrev_b32_e32 v6, 16, v7
	v_mul_f32_e32 v6, v55, v6
	v_and_b32_e32 v7, 0x7f800000, v6
	v_cmp_ne_u32_e64 s[0:1], s8, v7
                                        ; implicit-def: $vgpr28
	s_and_saveexec_b64 s[6:7], s[0:1]
	s_xor_b64 s[0:1], exec, s[6:7]
; %bb.565:                              ;   in Loop: Header=BB324_296 Depth=1
	v_bfe_u32 v7, v6, 16, 1
	v_add3_u32 v28, v6, v7, s9
                                        ; implicit-def: $vgpr6
; %bb.566:                              ;   in Loop: Header=BB324_296 Depth=1
	s_andn2_saveexec_b64 s[6:7], s[0:1]
; %bb.567:                              ;   in Loop: Header=BB324_296 Depth=1
	v_or_b32_e32 v7, 0x10000, v6
	v_cmp_eq_u32_sdwa s[0:1], v6, v23 src0_sel:WORD_0 src1_sel:DWORD
	s_nop 1
	v_cndmask_b32_e64 v28, v7, v6, s[0:1]
; %bb.568:                              ;   in Loop: Header=BB324_296 Depth=1
	s_or_b64 exec, exec, s[6:7]
	v_lshlrev_b32_e32 v1, 16, v1
	v_mul_f32_e32 v1, v40, v1
	v_and_b32_e32 v6, 0x7f800000, v1
	v_cmp_ne_u32_e64 s[0:1], s8, v6
                                        ; implicit-def: $vgpr24
	s_and_saveexec_b64 s[6:7], s[0:1]
	s_xor_b64 s[0:1], exec, s[6:7]
; %bb.569:                              ;   in Loop: Header=BB324_296 Depth=1
	v_bfe_u32 v6, v1, 16, 1
	v_add3_u32 v24, v1, v6, s9
                                        ; implicit-def: $vgpr1
; %bb.570:                              ;   in Loop: Header=BB324_296 Depth=1
	s_andn2_saveexec_b64 s[6:7], s[0:1]
; %bb.571:                              ;   in Loop: Header=BB324_296 Depth=1
	v_or_b32_e32 v6, 0x10000, v1
	v_cmp_eq_u32_sdwa s[0:1], v1, v23 src0_sel:WORD_0 src1_sel:DWORD
	s_nop 1
	v_cndmask_b32_e64 v24, v6, v1, s[0:1]
; %bb.572:                              ;   in Loop: Header=BB324_296 Depth=1
	s_or_b64 exec, exec, s[6:7]
	v_lshlrev_b32_e32 v0, 16, v0
	v_mul_f32_e32 v0, v41, v0
	v_and_b32_e32 v1, 0x7f800000, v0
	v_cmp_ne_u32_e64 s[0:1], s8, v1
                                        ; implicit-def: $vgpr25
	s_and_saveexec_b64 s[6:7], s[0:1]
	s_xor_b64 s[0:1], exec, s[6:7]
; %bb.573:                              ;   in Loop: Header=BB324_296 Depth=1
	v_bfe_u32 v1, v0, 16, 1
	v_add3_u32 v25, v0, v1, s9
                                        ; implicit-def: $vgpr0
; %bb.574:                              ;   in Loop: Header=BB324_296 Depth=1
	s_andn2_saveexec_b64 s[6:7], s[0:1]
; %bb.575:                              ;   in Loop: Header=BB324_296 Depth=1
	v_or_b32_e32 v1, 0x10000, v0
	v_cmp_eq_u32_sdwa s[0:1], v0, v23 src0_sel:WORD_0 src1_sel:DWORD
	s_nop 1
	v_cndmask_b32_e64 v25, v1, v0, s[0:1]
; %bb.576:                              ;   in Loop: Header=BB324_296 Depth=1
	s_or_b64 exec, exec, s[6:7]
	v_lshlrev_b32_e32 v0, 16, v9
	v_mul_f32_e32 v0, v42, v0
	v_and_b32_e32 v1, 0x7f800000, v0
	v_cmp_ne_u32_e64 s[0:1], s8, v1
                                        ; implicit-def: $vgpr6
	s_and_saveexec_b64 s[6:7], s[0:1]
	s_xor_b64 s[0:1], exec, s[6:7]
; %bb.577:                              ;   in Loop: Header=BB324_296 Depth=1
	v_bfe_u32 v1, v0, 16, 1
	v_add3_u32 v6, v0, v1, s9
                                        ; implicit-def: $vgpr0
; %bb.578:                              ;   in Loop: Header=BB324_296 Depth=1
	s_andn2_saveexec_b64 s[6:7], s[0:1]
; %bb.579:                              ;   in Loop: Header=BB324_296 Depth=1
	v_or_b32_e32 v1, 0x10000, v0
	v_cmp_eq_u32_sdwa s[0:1], v0, v23 src0_sel:WORD_0 src1_sel:DWORD
	s_nop 1
	v_cndmask_b32_e64 v6, v1, v0, s[0:1]
; %bb.580:                              ;   in Loop: Header=BB324_296 Depth=1
	s_or_b64 exec, exec, s[6:7]
	v_lshlrev_b32_e32 v0, 16, v8
	v_mul_f32_e32 v0, v43, v0
	v_and_b32_e32 v1, 0x7f800000, v0
	v_cmp_ne_u32_e64 s[0:1], s8, v1
                                        ; implicit-def: $vgpr18
	s_and_saveexec_b64 s[6:7], s[0:1]
	s_xor_b64 s[0:1], exec, s[6:7]
; %bb.581:                              ;   in Loop: Header=BB324_296 Depth=1
	v_bfe_u32 v1, v0, 16, 1
	v_add3_u32 v18, v0, v1, s9
                                        ; implicit-def: $vgpr0
; %bb.582:                              ;   in Loop: Header=BB324_296 Depth=1
	s_andn2_saveexec_b64 s[6:7], s[0:1]
; %bb.583:                              ;   in Loop: Header=BB324_296 Depth=1
	v_or_b32_e32 v1, 0x10000, v0
	v_cmp_eq_u32_sdwa s[0:1], v0, v23 src0_sel:WORD_0 src1_sel:DWORD
	s_nop 1
	v_cndmask_b32_e64 v18, v1, v0, s[0:1]
; %bb.584:                              ;   in Loop: Header=BB324_296 Depth=1
	s_or_b64 exec, exec, s[6:7]
	v_lshlrev_b32_e32 v0, 16, v5
	v_mul_f32_e32 v0, v44, v0
	v_and_b32_e32 v1, 0x7f800000, v0
	v_cmp_ne_u32_e64 s[0:1], s8, v1
                                        ; implicit-def: $vgpr7
	s_and_saveexec_b64 s[6:7], s[0:1]
	s_xor_b64 s[0:1], exec, s[6:7]
; %bb.585:                              ;   in Loop: Header=BB324_296 Depth=1
	v_bfe_u32 v1, v0, 16, 1
	v_add3_u32 v7, v0, v1, s9
                                        ; implicit-def: $vgpr0
; %bb.586:                              ;   in Loop: Header=BB324_296 Depth=1
	s_andn2_saveexec_b64 s[6:7], s[0:1]
; %bb.587:                              ;   in Loop: Header=BB324_296 Depth=1
	v_or_b32_e32 v1, 0x10000, v0
	v_cmp_eq_u32_sdwa s[0:1], v0, v23 src0_sel:WORD_0 src1_sel:DWORD
	s_nop 1
	v_cndmask_b32_e64 v7, v1, v0, s[0:1]
; %bb.588:                              ;   in Loop: Header=BB324_296 Depth=1
	s_or_b64 exec, exec, s[6:7]
	v_lshlrev_b32_e32 v0, 16, v4
	v_mul_f32_e32 v0, v45, v0
	v_and_b32_e32 v1, 0x7f800000, v0
	v_cmp_ne_u32_e64 s[0:1], s8, v1
                                        ; implicit-def: $vgpr8
	s_and_saveexec_b64 s[6:7], s[0:1]
	s_xor_b64 s[0:1], exec, s[6:7]
; %bb.589:                              ;   in Loop: Header=BB324_296 Depth=1
	v_bfe_u32 v1, v0, 16, 1
	v_add3_u32 v8, v0, v1, s9
                                        ; implicit-def: $vgpr0
; %bb.590:                              ;   in Loop: Header=BB324_296 Depth=1
	s_andn2_saveexec_b64 s[6:7], s[0:1]
; %bb.591:                              ;   in Loop: Header=BB324_296 Depth=1
	v_or_b32_e32 v1, 0x10000, v0
	v_cmp_eq_u32_sdwa s[0:1], v0, v23 src0_sel:WORD_0 src1_sel:DWORD
	s_nop 1
	v_cndmask_b32_e64 v8, v1, v0, s[0:1]
; %bb.592:                              ;   in Loop: Header=BB324_296 Depth=1
	s_or_b64 exec, exec, s[6:7]
	flat_load_dwordx2 v[4:5], v[2:3] offset:2048
                                        ; implicit-def: $vgpr9
	s_waitcnt vmcnt(0) lgkmcnt(0)
	v_and_b32_e32 v0, 0xff, v4
	v_cvt_f32_fp8_sdwa v0, v0 src0_sel:BYTE_0
	s_nop 0
	v_mul_f32_e32 v0, v32, v0
	v_and_b32_e32 v1, 0x7f800000, v0
	v_cmp_ne_u32_e64 s[0:1], s8, v1
	s_and_saveexec_b64 s[6:7], s[0:1]
	s_xor_b64 s[0:1], exec, s[6:7]
; %bb.593:                              ;   in Loop: Header=BB324_296 Depth=1
	v_bfe_u32 v1, v0, 16, 1
	v_add3_u32 v9, v0, v1, s9
                                        ; implicit-def: $vgpr0
; %bb.594:                              ;   in Loop: Header=BB324_296 Depth=1
	s_andn2_saveexec_b64 s[6:7], s[0:1]
; %bb.595:                              ;   in Loop: Header=BB324_296 Depth=1
	v_or_b32_e32 v1, 0x10000, v0
	v_cmp_eq_u32_sdwa s[0:1], v0, v23 src0_sel:WORD_0 src1_sel:DWORD
	s_nop 1
	v_cndmask_b32_e64 v9, v1, v0, s[0:1]
; %bb.596:                              ;   in Loop: Header=BB324_296 Depth=1
	s_or_b64 exec, exec, s[6:7]
	v_bfe_u32 v0, v4, 8, 8
	v_cvt_f32_fp8_sdwa v0, v0 src0_sel:BYTE_0
                                        ; implicit-def: $vgpr19
	s_nop 0
	v_mul_f32_e32 v0, v32, v0
	v_and_b32_e32 v1, 0x7f800000, v0
	v_cmp_ne_u32_e64 s[0:1], s8, v1
	s_and_saveexec_b64 s[6:7], s[0:1]
	s_xor_b64 s[0:1], exec, s[6:7]
; %bb.597:                              ;   in Loop: Header=BB324_296 Depth=1
	v_bfe_u32 v1, v0, 16, 1
	v_add3_u32 v19, v0, v1, s9
                                        ; implicit-def: $vgpr0
; %bb.598:                              ;   in Loop: Header=BB324_296 Depth=1
	s_andn2_saveexec_b64 s[6:7], s[0:1]
; %bb.599:                              ;   in Loop: Header=BB324_296 Depth=1
	v_or_b32_e32 v1, 0x10000, v0
	v_cmp_eq_u32_sdwa s[0:1], v0, v23 src0_sel:WORD_0 src1_sel:DWORD
	s_nop 1
	v_cndmask_b32_e64 v19, v1, v0, s[0:1]
; %bb.600:                              ;   in Loop: Header=BB324_296 Depth=1
	s_or_b64 exec, exec, s[6:7]
	v_bfe_u32 v0, v4, 16, 8
	v_cvt_f32_fp8_sdwa v0, v0 src0_sel:BYTE_0
	s_nop 0
	v_mul_f32_e32 v0, v32, v0
	v_and_b32_e32 v1, 0x7f800000, v0
	v_cmp_ne_u32_e64 s[0:1], s8, v1
                                        ; implicit-def: $vgpr1
	s_and_saveexec_b64 s[6:7], s[0:1]
	s_xor_b64 s[0:1], exec, s[6:7]
; %bb.601:                              ;   in Loop: Header=BB324_296 Depth=1
	v_bfe_u32 v1, v0, 16, 1
	v_add3_u32 v1, v0, v1, s9
                                        ; implicit-def: $vgpr0
; %bb.602:                              ;   in Loop: Header=BB324_296 Depth=1
	s_andn2_saveexec_b64 s[6:7], s[0:1]
; %bb.603:                              ;   in Loop: Header=BB324_296 Depth=1
	v_or_b32_e32 v1, 0x10000, v0
	v_cmp_eq_u32_sdwa s[0:1], v0, v23 src0_sel:WORD_0 src1_sel:DWORD
	s_nop 1
	v_cndmask_b32_e64 v1, v1, v0, s[0:1]
; %bb.604:                              ;   in Loop: Header=BB324_296 Depth=1
	s_or_b64 exec, exec, s[6:7]
	v_lshrrev_b32_e32 v0, 24, v4
	v_cvt_f32_fp8_sdwa v0, v0 src0_sel:BYTE_0
	s_nop 0
	v_mul_f32_e32 v4, v32, v0
	v_and_b32_e32 v0, 0x7f800000, v4
	v_cmp_ne_u32_e64 s[0:1], s8, v0
                                        ; implicit-def: $vgpr0
	s_and_saveexec_b64 s[6:7], s[0:1]
	s_xor_b64 s[0:1], exec, s[6:7]
; %bb.605:                              ;   in Loop: Header=BB324_296 Depth=1
	v_bfe_u32 v0, v4, 16, 1
	v_add3_u32 v0, v4, v0, s9
                                        ; implicit-def: $vgpr4
; %bb.606:                              ;   in Loop: Header=BB324_296 Depth=1
	s_andn2_saveexec_b64 s[6:7], s[0:1]
; %bb.607:                              ;   in Loop: Header=BB324_296 Depth=1
	v_or_b32_e32 v0, 0x10000, v4
	v_cmp_eq_u32_sdwa s[0:1], v4, v23 src0_sel:WORD_0 src1_sel:DWORD
	s_nop 1
	v_cndmask_b32_e64 v0, v0, v4, s[0:1]
; %bb.608:                              ;   in Loop: Header=BB324_296 Depth=1
	s_or_b64 exec, exec, s[6:7]
	v_and_b32_e32 v4, 0xff, v5
	v_cvt_f32_fp8_sdwa v4, v4 src0_sel:BYTE_0
	s_nop 0
	v_mul_f32_e32 v26, v32, v4
	v_and_b32_e32 v4, 0x7f800000, v26
	v_cmp_ne_u32_e64 s[0:1], s8, v4
                                        ; implicit-def: $vgpr4
	s_and_saveexec_b64 s[6:7], s[0:1]
	s_xor_b64 s[0:1], exec, s[6:7]
; %bb.609:                              ;   in Loop: Header=BB324_296 Depth=1
	v_bfe_u32 v4, v26, 16, 1
	v_add3_u32 v4, v26, v4, s9
                                        ; implicit-def: $vgpr26
; %bb.610:                              ;   in Loop: Header=BB324_296 Depth=1
	s_andn2_saveexec_b64 s[6:7], s[0:1]
; %bb.611:                              ;   in Loop: Header=BB324_296 Depth=1
	v_or_b32_e32 v4, 0x10000, v26
	v_cmp_eq_u32_sdwa s[0:1], v26, v23 src0_sel:WORD_0 src1_sel:DWORD
	s_nop 1
	v_cndmask_b32_e64 v4, v4, v26, s[0:1]
; %bb.612:                              ;   in Loop: Header=BB324_296 Depth=1
	s_or_b64 exec, exec, s[6:7]
	v_bfe_u32 v26, v5, 8, 8
	v_cvt_f32_fp8_sdwa v26, v26 src0_sel:BYTE_0
	s_nop 0
	v_mul_f32_e32 v29, v32, v26
	v_and_b32_e32 v26, 0x7f800000, v29
	v_cmp_ne_u32_e64 s[0:1], s8, v26
                                        ; implicit-def: $vgpr26
	s_and_saveexec_b64 s[6:7], s[0:1]
	s_xor_b64 s[0:1], exec, s[6:7]
; %bb.613:                              ;   in Loop: Header=BB324_296 Depth=1
	v_bfe_u32 v26, v29, 16, 1
	v_add3_u32 v26, v29, v26, s9
                                        ; implicit-def: $vgpr29
; %bb.614:                              ;   in Loop: Header=BB324_296 Depth=1
	s_andn2_saveexec_b64 s[6:7], s[0:1]
; %bb.615:                              ;   in Loop: Header=BB324_296 Depth=1
	v_or_b32_e32 v26, 0x10000, v29
	v_cmp_eq_u32_sdwa s[0:1], v29, v23 src0_sel:WORD_0 src1_sel:DWORD
	s_nop 1
	v_cndmask_b32_e64 v26, v26, v29, s[0:1]
; %bb.616:                              ;   in Loop: Header=BB324_296 Depth=1
	s_or_b64 exec, exec, s[6:7]
	v_bfe_u32 v29, v5, 16, 8
	v_cvt_f32_fp8_sdwa v29, v29 src0_sel:BYTE_0
	s_nop 0
	v_mul_f32_e32 v30, v32, v29
	v_and_b32_e32 v29, 0x7f800000, v30
	v_cmp_ne_u32_e64 s[0:1], s8, v29
                                        ; implicit-def: $vgpr29
	s_and_saveexec_b64 s[6:7], s[0:1]
	s_xor_b64 s[0:1], exec, s[6:7]
; %bb.617:                              ;   in Loop: Header=BB324_296 Depth=1
	v_bfe_u32 v29, v30, 16, 1
	v_add3_u32 v29, v30, v29, s9
                                        ; implicit-def: $vgpr30
; %bb.618:                              ;   in Loop: Header=BB324_296 Depth=1
	s_andn2_saveexec_b64 s[6:7], s[0:1]
; %bb.619:                              ;   in Loop: Header=BB324_296 Depth=1
	v_or_b32_e32 v29, 0x10000, v30
	v_cmp_eq_u32_sdwa s[0:1], v30, v23 src0_sel:WORD_0 src1_sel:DWORD
	s_nop 1
	v_cndmask_b32_e64 v29, v29, v30, s[0:1]
; %bb.620:                              ;   in Loop: Header=BB324_296 Depth=1
	s_or_b64 exec, exec, s[6:7]
	v_lshrrev_b32_e32 v5, 24, v5
	v_cvt_f32_fp8_sdwa v5, v5 src0_sel:BYTE_0
	s_nop 0
	v_mul_f32_e32 v5, v32, v5
	v_and_b32_e32 v30, 0x7f800000, v5
	v_cmp_ne_u32_e64 s[0:1], s8, v30
                                        ; implicit-def: $vgpr30
	s_and_saveexec_b64 s[6:7], s[0:1]
	s_xor_b64 s[0:1], exec, s[6:7]
; %bb.621:                              ;   in Loop: Header=BB324_296 Depth=1
	v_bfe_u32 v30, v5, 16, 1
	v_add3_u32 v30, v5, v30, s9
                                        ; implicit-def: $vgpr5
; %bb.622:                              ;   in Loop: Header=BB324_296 Depth=1
	s_andn2_saveexec_b64 s[6:7], s[0:1]
; %bb.623:                              ;   in Loop: Header=BB324_296 Depth=1
	v_or_b32_e32 v30, 0x10000, v5
	v_cmp_eq_u32_sdwa s[0:1], v5, v23 src0_sel:WORD_0 src1_sel:DWORD
	s_nop 1
	v_cndmask_b32_e64 v30, v30, v5, s[0:1]
; %bb.624:                              ;   in Loop: Header=BB324_296 Depth=1
	s_or_b64 exec, exec, s[6:7]
	v_lshrrev_b32_e32 v31, 16, v26
	v_lshrrev_b32_e32 v35, 16, v4
	;; [unrolled: 1-line block ×8, first 2 shown]
	s_and_saveexec_b64 s[6:7], vcc
	s_cbranch_execz .LBB324_626
; %bb.625:                              ;   in Loop: Header=BB324_296 Depth=1
	v_accvgpr_read_b32 v26, a20
	v_cmp_lt_i32_e64 s[0:1], v26, v27
	v_accvgpr_read_b32 v26, a26
	s_nop 0
	v_cndmask_b32_e64 v9, 0, v9, s[0:1]
	v_cmp_lt_i32_e64 s[0:1], v26, v27
	v_accvgpr_read_b32 v26, a25
	s_nop 0
	v_cndmask_b32_e64 v19, 0, v19, s[0:1]
	;; [unrolled: 4-line block ×6, first 2 shown]
	v_cmp_lt_i32_e64 s[0:1], v26, v27
	s_nop 1
	v_cndmask_b32_e64 v5, 0, v5, s[0:1]
	v_cmp_lt_i32_e64 s[0:1], v22, v27
	s_nop 1
	v_cndmask_b32_e64 v4, 0, v4, s[0:1]
.LBB324_626:                            ;   in Loop: Header=BB324_296 Depth=1
	s_or_b64 exec, exec, s[6:7]
	v_lshlrev_b32_e32 v9, 16, v9
	v_mul_f32_e32 v26, v54, v9
	v_and_b32_e32 v9, 0x7f800000, v26
	v_cmp_ne_u32_e64 s[0:1], s8, v9
                                        ; implicit-def: $vgpr9
	s_and_saveexec_b64 s[6:7], s[0:1]
	s_xor_b64 s[0:1], exec, s[6:7]
; %bb.627:                              ;   in Loop: Header=BB324_296 Depth=1
	v_bfe_u32 v9, v26, 16, 1
	v_add3_u32 v9, v26, v9, s9
                                        ; implicit-def: $vgpr26
; %bb.628:                              ;   in Loop: Header=BB324_296 Depth=1
	s_andn2_saveexec_b64 s[6:7], s[0:1]
; %bb.629:                              ;   in Loop: Header=BB324_296 Depth=1
	v_or_b32_e32 v9, 0x10000, v26
	v_cmp_eq_u32_sdwa s[0:1], v26, v23 src0_sel:WORD_0 src1_sel:DWORD
	s_nop 1
	v_cndmask_b32_e64 v9, v9, v26, s[0:1]
; %bb.630:                              ;   in Loop: Header=BB324_296 Depth=1
	s_or_b64 exec, exec, s[6:7]
	v_lshlrev_b32_e32 v19, 16, v19
	v_mul_f32_e32 v19, v55, v19
	v_and_b32_e32 v26, 0x7f800000, v19
	v_cmp_ne_u32_e64 s[0:1], s8, v26
                                        ; implicit-def: $vgpr29
	s_and_saveexec_b64 s[6:7], s[0:1]
	s_xor_b64 s[0:1], exec, s[6:7]
; %bb.631:                              ;   in Loop: Header=BB324_296 Depth=1
	v_bfe_u32 v26, v19, 16, 1
	v_add3_u32 v29, v19, v26, s9
                                        ; implicit-def: $vgpr19
; %bb.632:                              ;   in Loop: Header=BB324_296 Depth=1
	s_andn2_saveexec_b64 s[6:7], s[0:1]
; %bb.633:                              ;   in Loop: Header=BB324_296 Depth=1
	v_or_b32_e32 v26, 0x10000, v19
	v_cmp_eq_u32_sdwa s[0:1], v19, v23 src0_sel:WORD_0 src1_sel:DWORD
	s_nop 1
	v_cndmask_b32_e64 v29, v26, v19, s[0:1]
; %bb.634:                              ;   in Loop: Header=BB324_296 Depth=1
	s_or_b64 exec, exec, s[6:7]
	v_lshlrev_b32_e32 v1, 16, v1
	v_mul_f32_e32 v1, v40, v1
	v_and_b32_e32 v19, 0x7f800000, v1
	v_cmp_ne_u32_e64 s[0:1], s8, v19
                                        ; implicit-def: $vgpr36
	s_and_saveexec_b64 s[6:7], s[0:1]
	s_xor_b64 s[0:1], exec, s[6:7]
; %bb.635:                              ;   in Loop: Header=BB324_296 Depth=1
	v_bfe_u32 v19, v1, 16, 1
	v_add3_u32 v36, v1, v19, s9
                                        ; implicit-def: $vgpr1
; %bb.636:                              ;   in Loop: Header=BB324_296 Depth=1
	s_andn2_saveexec_b64 s[6:7], s[0:1]
; %bb.637:                              ;   in Loop: Header=BB324_296 Depth=1
	v_or_b32_e32 v19, 0x10000, v1
	v_cmp_eq_u32_sdwa s[0:1], v1, v23 src0_sel:WORD_0 src1_sel:DWORD
	s_nop 1
	v_cndmask_b32_e64 v36, v19, v1, s[0:1]
; %bb.638:                              ;   in Loop: Header=BB324_296 Depth=1
	s_or_b64 exec, exec, s[6:7]
	v_lshlrev_b32_e32 v0, 16, v0
	v_mul_f32_e32 v0, v41, v0
	v_and_b32_e32 v1, 0x7f800000, v0
	v_cmp_ne_u32_e64 s[0:1], s8, v1
                                        ; implicit-def: $vgpr37
	s_and_saveexec_b64 s[6:7], s[0:1]
	s_xor_b64 s[0:1], exec, s[6:7]
; %bb.639:                              ;   in Loop: Header=BB324_296 Depth=1
	v_bfe_u32 v1, v0, 16, 1
	v_add3_u32 v37, v0, v1, s9
                                        ; implicit-def: $vgpr0
; %bb.640:                              ;   in Loop: Header=BB324_296 Depth=1
	s_andn2_saveexec_b64 s[6:7], s[0:1]
; %bb.641:                              ;   in Loop: Header=BB324_296 Depth=1
	v_or_b32_e32 v1, 0x10000, v0
	v_cmp_eq_u32_sdwa s[0:1], v0, v23 src0_sel:WORD_0 src1_sel:DWORD
	s_nop 1
	v_cndmask_b32_e64 v37, v1, v0, s[0:1]
; %bb.642:                              ;   in Loop: Header=BB324_296 Depth=1
	s_or_b64 exec, exec, s[6:7]
	v_lshlrev_b32_e32 v0, 16, v35
	v_mul_f32_e32 v0, v42, v0
	v_and_b32_e32 v1, 0x7f800000, v0
	v_cmp_ne_u32_e64 s[0:1], s8, v1
                                        ; implicit-def: $vgpr38
	s_and_saveexec_b64 s[6:7], s[0:1]
	s_xor_b64 s[0:1], exec, s[6:7]
; %bb.643:                              ;   in Loop: Header=BB324_296 Depth=1
	v_bfe_u32 v1, v0, 16, 1
	v_add3_u32 v38, v0, v1, s9
                                        ; implicit-def: $vgpr0
; %bb.644:                              ;   in Loop: Header=BB324_296 Depth=1
	s_andn2_saveexec_b64 s[6:7], s[0:1]
; %bb.645:                              ;   in Loop: Header=BB324_296 Depth=1
	v_or_b32_e32 v1, 0x10000, v0
	v_cmp_eq_u32_sdwa s[0:1], v0, v23 src0_sel:WORD_0 src1_sel:DWORD
	s_nop 1
	v_cndmask_b32_e64 v38, v1, v0, s[0:1]
; %bb.646:                              ;   in Loop: Header=BB324_296 Depth=1
	s_or_b64 exec, exec, s[6:7]
	v_lshlrev_b32_e32 v0, 16, v31
	v_mul_f32_e32 v0, v43, v0
	v_and_b32_e32 v1, 0x7f800000, v0
	v_cmp_ne_u32_e64 s[0:1], s8, v1
                                        ; implicit-def: $vgpr46
	s_and_saveexec_b64 s[6:7], s[0:1]
	s_xor_b64 s[0:1], exec, s[6:7]
; %bb.647:                              ;   in Loop: Header=BB324_296 Depth=1
	v_bfe_u32 v1, v0, 16, 1
	v_add3_u32 v46, v0, v1, s9
                                        ; implicit-def: $vgpr0
; %bb.648:                              ;   in Loop: Header=BB324_296 Depth=1
	s_andn2_saveexec_b64 s[6:7], s[0:1]
; %bb.649:                              ;   in Loop: Header=BB324_296 Depth=1
	v_or_b32_e32 v1, 0x10000, v0
	v_cmp_eq_u32_sdwa s[0:1], v0, v23 src0_sel:WORD_0 src1_sel:DWORD
	s_nop 1
	v_cndmask_b32_e64 v46, v1, v0, s[0:1]
; %bb.650:                              ;   in Loop: Header=BB324_296 Depth=1
	s_or_b64 exec, exec, s[6:7]
	v_lshlrev_b32_e32 v0, 16, v5
	v_mul_f32_e32 v0, v44, v0
	v_and_b32_e32 v1, 0x7f800000, v0
	v_cmp_ne_u32_e64 s[0:1], s8, v1
                                        ; implicit-def: $vgpr47
	s_and_saveexec_b64 s[6:7], s[0:1]
	s_xor_b64 s[0:1], exec, s[6:7]
; %bb.651:                              ;   in Loop: Header=BB324_296 Depth=1
	v_bfe_u32 v1, v0, 16, 1
	v_add3_u32 v47, v0, v1, s9
                                        ; implicit-def: $vgpr0
; %bb.652:                              ;   in Loop: Header=BB324_296 Depth=1
	s_andn2_saveexec_b64 s[6:7], s[0:1]
; %bb.653:                              ;   in Loop: Header=BB324_296 Depth=1
	v_or_b32_e32 v1, 0x10000, v0
	v_cmp_eq_u32_sdwa s[0:1], v0, v23 src0_sel:WORD_0 src1_sel:DWORD
	s_nop 1
	v_cndmask_b32_e64 v47, v1, v0, s[0:1]
; %bb.654:                              ;   in Loop: Header=BB324_296 Depth=1
	s_or_b64 exec, exec, s[6:7]
	v_lshlrev_b32_e32 v0, 16, v4
	v_mul_f32_e32 v0, v45, v0
	v_and_b32_e32 v1, 0x7f800000, v0
	v_cmp_ne_u32_e64 s[0:1], s8, v1
                                        ; implicit-def: $vgpr56
	s_and_saveexec_b64 s[6:7], s[0:1]
	s_xor_b64 s[0:1], exec, s[6:7]
; %bb.655:                              ;   in Loop: Header=BB324_296 Depth=1
	v_bfe_u32 v1, v0, 16, 1
	v_add3_u32 v56, v0, v1, s9
                                        ; implicit-def: $vgpr0
; %bb.656:                              ;   in Loop: Header=BB324_296 Depth=1
	s_andn2_saveexec_b64 s[6:7], s[0:1]
; %bb.657:                              ;   in Loop: Header=BB324_296 Depth=1
	v_or_b32_e32 v1, 0x10000, v0
	v_cmp_eq_u32_sdwa s[0:1], v0, v23 src0_sel:WORD_0 src1_sel:DWORD
	s_nop 1
	v_cndmask_b32_e64 v56, v1, v0, s[0:1]
; %bb.658:                              ;   in Loop: Header=BB324_296 Depth=1
	s_or_b64 exec, exec, s[6:7]
	flat_load_dwordx2 v[4:5], v[2:3] offset:2560
                                        ; implicit-def: $vgpr31
	s_waitcnt vmcnt(0) lgkmcnt(0)
	v_and_b32_e32 v0, 0xff, v4
	v_cvt_f32_fp8_sdwa v0, v0 src0_sel:BYTE_0
	s_nop 0
	v_mul_f32_e32 v0, v32, v0
	v_and_b32_e32 v1, 0x7f800000, v0
	v_cmp_ne_u32_e64 s[0:1], s8, v1
	s_and_saveexec_b64 s[6:7], s[0:1]
	s_xor_b64 s[0:1], exec, s[6:7]
; %bb.659:                              ;   in Loop: Header=BB324_296 Depth=1
	v_bfe_u32 v1, v0, 16, 1
	v_add3_u32 v31, v0, v1, s9
                                        ; implicit-def: $vgpr0
; %bb.660:                              ;   in Loop: Header=BB324_296 Depth=1
	s_andn2_saveexec_b64 s[6:7], s[0:1]
; %bb.661:                              ;   in Loop: Header=BB324_296 Depth=1
	v_or_b32_e32 v1, 0x10000, v0
	v_cmp_eq_u32_sdwa s[0:1], v0, v23 src0_sel:WORD_0 src1_sel:DWORD
	s_nop 1
	v_cndmask_b32_e64 v31, v1, v0, s[0:1]
; %bb.662:                              ;   in Loop: Header=BB324_296 Depth=1
	s_or_b64 exec, exec, s[6:7]
	v_bfe_u32 v0, v4, 8, 8
	v_cvt_f32_fp8_sdwa v0, v0 src0_sel:BYTE_0
                                        ; implicit-def: $vgpr19
	s_nop 0
	v_mul_f32_e32 v0, v32, v0
	v_and_b32_e32 v1, 0x7f800000, v0
	v_cmp_ne_u32_e64 s[0:1], s8, v1
	s_and_saveexec_b64 s[6:7], s[0:1]
	s_xor_b64 s[0:1], exec, s[6:7]
; %bb.663:                              ;   in Loop: Header=BB324_296 Depth=1
	v_bfe_u32 v1, v0, 16, 1
	v_add3_u32 v19, v0, v1, s9
                                        ; implicit-def: $vgpr0
; %bb.664:                              ;   in Loop: Header=BB324_296 Depth=1
	s_andn2_saveexec_b64 s[6:7], s[0:1]
; %bb.665:                              ;   in Loop: Header=BB324_296 Depth=1
	v_or_b32_e32 v1, 0x10000, v0
	v_cmp_eq_u32_sdwa s[0:1], v0, v23 src0_sel:WORD_0 src1_sel:DWORD
	s_nop 1
	v_cndmask_b32_e64 v19, v1, v0, s[0:1]
; %bb.666:                              ;   in Loop: Header=BB324_296 Depth=1
	s_or_b64 exec, exec, s[6:7]
	v_bfe_u32 v0, v4, 16, 8
	v_cvt_f32_fp8_sdwa v0, v0 src0_sel:BYTE_0
	s_nop 0
	v_mul_f32_e32 v0, v32, v0
	v_and_b32_e32 v1, 0x7f800000, v0
	v_cmp_ne_u32_e64 s[0:1], s8, v1
                                        ; implicit-def: $vgpr1
	s_and_saveexec_b64 s[6:7], s[0:1]
	s_xor_b64 s[0:1], exec, s[6:7]
; %bb.667:                              ;   in Loop: Header=BB324_296 Depth=1
	v_bfe_u32 v1, v0, 16, 1
	v_add3_u32 v1, v0, v1, s9
                                        ; implicit-def: $vgpr0
; %bb.668:                              ;   in Loop: Header=BB324_296 Depth=1
	s_andn2_saveexec_b64 s[6:7], s[0:1]
; %bb.669:                              ;   in Loop: Header=BB324_296 Depth=1
	v_or_b32_e32 v1, 0x10000, v0
	v_cmp_eq_u32_sdwa s[0:1], v0, v23 src0_sel:WORD_0 src1_sel:DWORD
	s_nop 1
	v_cndmask_b32_e64 v1, v1, v0, s[0:1]
; %bb.670:                              ;   in Loop: Header=BB324_296 Depth=1
	s_or_b64 exec, exec, s[6:7]
	v_lshrrev_b32_e32 v0, 24, v4
	v_cvt_f32_fp8_sdwa v0, v0 src0_sel:BYTE_0
	s_nop 0
	v_mul_f32_e32 v4, v32, v0
	v_and_b32_e32 v0, 0x7f800000, v4
	v_cmp_ne_u32_e64 s[0:1], s8, v0
                                        ; implicit-def: $vgpr0
	s_and_saveexec_b64 s[6:7], s[0:1]
	s_xor_b64 s[0:1], exec, s[6:7]
; %bb.671:                              ;   in Loop: Header=BB324_296 Depth=1
	v_bfe_u32 v0, v4, 16, 1
	v_add3_u32 v0, v4, v0, s9
                                        ; implicit-def: $vgpr4
; %bb.672:                              ;   in Loop: Header=BB324_296 Depth=1
	s_andn2_saveexec_b64 s[6:7], s[0:1]
; %bb.673:                              ;   in Loop: Header=BB324_296 Depth=1
	v_or_b32_e32 v0, 0x10000, v4
	v_cmp_eq_u32_sdwa s[0:1], v4, v23 src0_sel:WORD_0 src1_sel:DWORD
	s_nop 1
	v_cndmask_b32_e64 v0, v0, v4, s[0:1]
; %bb.674:                              ;   in Loop: Header=BB324_296 Depth=1
	s_or_b64 exec, exec, s[6:7]
	v_and_b32_e32 v4, 0xff, v5
	v_cvt_f32_fp8_sdwa v4, v4 src0_sel:BYTE_0
	s_nop 0
	v_mul_f32_e32 v26, v32, v4
	v_and_b32_e32 v4, 0x7f800000, v26
	v_cmp_ne_u32_e64 s[0:1], s8, v4
                                        ; implicit-def: $vgpr4
	s_and_saveexec_b64 s[6:7], s[0:1]
	s_xor_b64 s[0:1], exec, s[6:7]
; %bb.675:                              ;   in Loop: Header=BB324_296 Depth=1
	v_bfe_u32 v4, v26, 16, 1
	v_add3_u32 v4, v26, v4, s9
                                        ; implicit-def: $vgpr26
; %bb.676:                              ;   in Loop: Header=BB324_296 Depth=1
	s_andn2_saveexec_b64 s[6:7], s[0:1]
; %bb.677:                              ;   in Loop: Header=BB324_296 Depth=1
	v_or_b32_e32 v4, 0x10000, v26
	v_cmp_eq_u32_sdwa s[0:1], v26, v23 src0_sel:WORD_0 src1_sel:DWORD
	s_nop 1
	v_cndmask_b32_e64 v4, v4, v26, s[0:1]
; %bb.678:                              ;   in Loop: Header=BB324_296 Depth=1
	s_or_b64 exec, exec, s[6:7]
	v_bfe_u32 v26, v5, 8, 8
	v_cvt_f32_fp8_sdwa v26, v26 src0_sel:BYTE_0
	s_nop 0
	v_mul_f32_e32 v30, v32, v26
	v_and_b32_e32 v26, 0x7f800000, v30
	v_cmp_ne_u32_e64 s[0:1], s8, v26
                                        ; implicit-def: $vgpr26
	s_and_saveexec_b64 s[6:7], s[0:1]
	s_xor_b64 s[0:1], exec, s[6:7]
; %bb.679:                              ;   in Loop: Header=BB324_296 Depth=1
	v_bfe_u32 v26, v30, 16, 1
	v_add3_u32 v26, v30, v26, s9
                                        ; implicit-def: $vgpr30
; %bb.680:                              ;   in Loop: Header=BB324_296 Depth=1
	s_andn2_saveexec_b64 s[6:7], s[0:1]
; %bb.681:                              ;   in Loop: Header=BB324_296 Depth=1
	v_or_b32_e32 v26, 0x10000, v30
	v_cmp_eq_u32_sdwa s[0:1], v30, v23 src0_sel:WORD_0 src1_sel:DWORD
	s_nop 1
	v_cndmask_b32_e64 v26, v26, v30, s[0:1]
; %bb.682:                              ;   in Loop: Header=BB324_296 Depth=1
	s_or_b64 exec, exec, s[6:7]
	v_bfe_u32 v30, v5, 16, 8
	v_cvt_f32_fp8_sdwa v30, v30 src0_sel:BYTE_0
                                        ; implicit-def: $vgpr48
	s_nop 0
	v_mul_f32_e32 v30, v32, v30
	v_and_b32_e32 v33, 0x7f800000, v30
	v_cmp_ne_u32_e64 s[0:1], s8, v33
	s_and_saveexec_b64 s[6:7], s[0:1]
	s_xor_b64 s[0:1], exec, s[6:7]
; %bb.683:                              ;   in Loop: Header=BB324_296 Depth=1
	v_bfe_u32 v33, v30, 16, 1
	v_add3_u32 v48, v30, v33, s9
                                        ; implicit-def: $vgpr30
; %bb.684:                              ;   in Loop: Header=BB324_296 Depth=1
	s_andn2_saveexec_b64 s[6:7], s[0:1]
; %bb.685:                              ;   in Loop: Header=BB324_296 Depth=1
	v_or_b32_e32 v33, 0x10000, v30
	v_cmp_eq_u32_sdwa s[0:1], v30, v23 src0_sel:WORD_0 src1_sel:DWORD
	s_nop 1
	v_cndmask_b32_e64 v48, v33, v30, s[0:1]
; %bb.686:                              ;   in Loop: Header=BB324_296 Depth=1
	s_or_b64 exec, exec, s[6:7]
	v_lshrrev_b32_e32 v5, 24, v5
	v_cvt_f32_fp8_sdwa v5, v5 src0_sel:BYTE_0
	s_nop 0
	v_mul_f32_e32 v5, v32, v5
	v_and_b32_e32 v30, 0x7f800000, v5
	v_cmp_ne_u32_e64 s[0:1], s8, v30
                                        ; implicit-def: $vgpr30
	s_and_saveexec_b64 s[6:7], s[0:1]
	s_xor_b64 s[0:1], exec, s[6:7]
; %bb.687:                              ;   in Loop: Header=BB324_296 Depth=1
	v_bfe_u32 v30, v5, 16, 1
	v_add3_u32 v30, v5, v30, s9
                                        ; implicit-def: $vgpr5
; %bb.688:                              ;   in Loop: Header=BB324_296 Depth=1
	s_andn2_saveexec_b64 s[6:7], s[0:1]
; %bb.689:                              ;   in Loop: Header=BB324_296 Depth=1
	v_or_b32_e32 v30, 0x10000, v5
	v_cmp_eq_u32_sdwa s[0:1], v5, v23 src0_sel:WORD_0 src1_sel:DWORD
	s_nop 1
	v_cndmask_b32_e64 v30, v30, v5, s[0:1]
; %bb.690:                              ;   in Loop: Header=BB324_296 Depth=1
	s_or_b64 exec, exec, s[6:7]
	v_lshrrev_b32_e32 v35, 16, v26
	v_lshrrev_b32_e32 v39, 16, v4
	;; [unrolled: 1-line block ×8, first 2 shown]
	s_and_saveexec_b64 s[6:7], vcc
	s_cbranch_execz .LBB324_692
; %bb.691:                              ;   in Loop: Header=BB324_296 Depth=1
	v_accvgpr_read_b32 v30, a20
	v_cmp_lt_i32_e64 s[0:1], v30, v27
	v_accvgpr_read_b32 v30, a26
	s_nop 0
	v_cndmask_b32_e64 v26, 0, v26, s[0:1]
	v_cmp_lt_i32_e64 s[0:1], v30, v27
	v_accvgpr_read_b32 v30, a25
	s_nop 0
	v_cndmask_b32_e64 v19, 0, v19, s[0:1]
	v_cmp_lt_i32_e64 s[0:1], v30, v27
	v_accvgpr_read_b32 v30, a24
	s_nop 0
	v_cndmask_b32_e64 v1, 0, v1, s[0:1]
	v_cmp_lt_i32_e64 s[0:1], v30, v27
	v_accvgpr_read_b32 v30, a23
	s_nop 0
	v_cndmask_b32_e64 v0, 0, v0, s[0:1]
	v_cmp_lt_i32_e64 s[0:1], v30, v27
	v_accvgpr_read_b32 v30, a22
	s_nop 0
	v_cndmask_b32_e64 v39, 0, v39, s[0:1]
	v_cmp_lt_i32_e64 s[0:1], v30, v27
	v_accvgpr_read_b32 v30, a21
	s_nop 0
	v_cndmask_b32_e64 v35, 0, v35, s[0:1]
	v_cmp_lt_i32_e64 s[0:1], v30, v27
	s_nop 1
	v_cndmask_b32_e64 v5, 0, v5, s[0:1]
	v_cmp_lt_i32_e64 s[0:1], v22, v27
	s_nop 1
	v_cndmask_b32_e64 v4, 0, v4, s[0:1]
.LBB324_692:                            ;   in Loop: Header=BB324_296 Depth=1
	s_or_b64 exec, exec, s[6:7]
	v_lshlrev_b32_e32 v26, 16, v26
	v_mul_f32_e32 v26, v54, v26
	v_and_b32_e32 v30, 0x7f800000, v26
	v_cmp_ne_u32_e64 s[0:1], s8, v30
                                        ; implicit-def: $vgpr57
	s_and_saveexec_b64 s[6:7], s[0:1]
	s_xor_b64 s[0:1], exec, s[6:7]
; %bb.693:                              ;   in Loop: Header=BB324_296 Depth=1
	v_bfe_u32 v30, v26, 16, 1
	v_add3_u32 v57, v26, v30, s9
                                        ; implicit-def: $vgpr26
; %bb.694:                              ;   in Loop: Header=BB324_296 Depth=1
	s_andn2_saveexec_b64 s[6:7], s[0:1]
; %bb.695:                              ;   in Loop: Header=BB324_296 Depth=1
	v_or_b32_e32 v30, 0x10000, v26
	v_cmp_eq_u32_sdwa s[0:1], v26, v23 src0_sel:WORD_0 src1_sel:DWORD
	s_nop 1
	v_cndmask_b32_e64 v57, v30, v26, s[0:1]
; %bb.696:                              ;   in Loop: Header=BB324_296 Depth=1
	s_or_b64 exec, exec, s[6:7]
	v_lshlrev_b32_e32 v19, 16, v19
	v_mul_f32_e32 v19, v55, v19
	v_and_b32_e32 v26, 0x7f800000, v19
	v_cmp_ne_u32_e64 s[0:1], s8, v26
                                        ; implicit-def: $vgpr58
	s_and_saveexec_b64 s[6:7], s[0:1]
	s_xor_b64 s[0:1], exec, s[6:7]
; %bb.697:                              ;   in Loop: Header=BB324_296 Depth=1
	v_bfe_u32 v26, v19, 16, 1
	v_add3_u32 v58, v19, v26, s9
                                        ; implicit-def: $vgpr19
; %bb.698:                              ;   in Loop: Header=BB324_296 Depth=1
	s_andn2_saveexec_b64 s[6:7], s[0:1]
; %bb.699:                              ;   in Loop: Header=BB324_296 Depth=1
	v_or_b32_e32 v26, 0x10000, v19
	v_cmp_eq_u32_sdwa s[0:1], v19, v23 src0_sel:WORD_0 src1_sel:DWORD
	s_nop 1
	v_cndmask_b32_e64 v58, v26, v19, s[0:1]
; %bb.700:                              ;   in Loop: Header=BB324_296 Depth=1
	s_or_b64 exec, exec, s[6:7]
	v_lshlrev_b32_e32 v1, 16, v1
	v_mul_f32_e32 v1, v40, v1
	v_and_b32_e32 v19, 0x7f800000, v1
	v_cmp_ne_u32_e64 s[0:1], s8, v19
                                        ; implicit-def: $vgpr59
	s_and_saveexec_b64 s[6:7], s[0:1]
	s_xor_b64 s[0:1], exec, s[6:7]
; %bb.701:                              ;   in Loop: Header=BB324_296 Depth=1
	v_bfe_u32 v19, v1, 16, 1
	v_add3_u32 v59, v1, v19, s9
                                        ; implicit-def: $vgpr1
; %bb.702:                              ;   in Loop: Header=BB324_296 Depth=1
	s_andn2_saveexec_b64 s[6:7], s[0:1]
; %bb.703:                              ;   in Loop: Header=BB324_296 Depth=1
	v_or_b32_e32 v19, 0x10000, v1
	v_cmp_eq_u32_sdwa s[0:1], v1, v23 src0_sel:WORD_0 src1_sel:DWORD
	s_nop 1
	v_cndmask_b32_e64 v59, v19, v1, s[0:1]
; %bb.704:                              ;   in Loop: Header=BB324_296 Depth=1
	s_or_b64 exec, exec, s[6:7]
	v_lshlrev_b32_e32 v0, 16, v0
	v_mul_f32_e32 v0, v41, v0
	v_and_b32_e32 v1, 0x7f800000, v0
	v_cmp_ne_u32_e64 s[0:1], s8, v1
                                        ; implicit-def: $vgpr60
	s_and_saveexec_b64 s[6:7], s[0:1]
	s_xor_b64 s[0:1], exec, s[6:7]
; %bb.705:                              ;   in Loop: Header=BB324_296 Depth=1
	v_bfe_u32 v1, v0, 16, 1
	v_add3_u32 v60, v0, v1, s9
                                        ; implicit-def: $vgpr0
; %bb.706:                              ;   in Loop: Header=BB324_296 Depth=1
	s_andn2_saveexec_b64 s[6:7], s[0:1]
; %bb.707:                              ;   in Loop: Header=BB324_296 Depth=1
	v_or_b32_e32 v1, 0x10000, v0
	v_cmp_eq_u32_sdwa s[0:1], v0, v23 src0_sel:WORD_0 src1_sel:DWORD
	s_nop 1
	v_cndmask_b32_e64 v60, v1, v0, s[0:1]
; %bb.708:                              ;   in Loop: Header=BB324_296 Depth=1
	s_or_b64 exec, exec, s[6:7]
	v_lshlrev_b32_e32 v0, 16, v39
	v_mul_f32_e32 v0, v42, v0
	v_and_b32_e32 v1, 0x7f800000, v0
	v_cmp_ne_u32_e64 s[0:1], s8, v1
                                        ; implicit-def: $vgpr61
	s_and_saveexec_b64 s[6:7], s[0:1]
	s_xor_b64 s[0:1], exec, s[6:7]
; %bb.709:                              ;   in Loop: Header=BB324_296 Depth=1
	v_bfe_u32 v1, v0, 16, 1
	v_add3_u32 v61, v0, v1, s9
                                        ; implicit-def: $vgpr0
; %bb.710:                              ;   in Loop: Header=BB324_296 Depth=1
	s_andn2_saveexec_b64 s[6:7], s[0:1]
; %bb.711:                              ;   in Loop: Header=BB324_296 Depth=1
	v_or_b32_e32 v1, 0x10000, v0
	v_cmp_eq_u32_sdwa s[0:1], v0, v23 src0_sel:WORD_0 src1_sel:DWORD
	s_nop 1
	v_cndmask_b32_e64 v61, v1, v0, s[0:1]
; %bb.712:                              ;   in Loop: Header=BB324_296 Depth=1
	s_or_b64 exec, exec, s[6:7]
	v_lshlrev_b32_e32 v0, 16, v35
	v_mul_f32_e32 v0, v43, v0
	v_and_b32_e32 v1, 0x7f800000, v0
	v_cmp_ne_u32_e64 s[0:1], s8, v1
                                        ; implicit-def: $vgpr39
	s_and_saveexec_b64 s[6:7], s[0:1]
	s_xor_b64 s[0:1], exec, s[6:7]
; %bb.713:                              ;   in Loop: Header=BB324_296 Depth=1
	v_bfe_u32 v1, v0, 16, 1
	v_add3_u32 v39, v0, v1, s9
                                        ; implicit-def: $vgpr0
; %bb.714:                              ;   in Loop: Header=BB324_296 Depth=1
	s_andn2_saveexec_b64 s[6:7], s[0:1]
; %bb.715:                              ;   in Loop: Header=BB324_296 Depth=1
	v_or_b32_e32 v1, 0x10000, v0
	v_cmp_eq_u32_sdwa s[0:1], v0, v23 src0_sel:WORD_0 src1_sel:DWORD
	s_nop 1
	v_cndmask_b32_e64 v39, v1, v0, s[0:1]
; %bb.716:                              ;   in Loop: Header=BB324_296 Depth=1
	s_or_b64 exec, exec, s[6:7]
	v_lshlrev_b32_e32 v0, 16, v5
	v_mul_f32_e32 v0, v44, v0
	v_and_b32_e32 v1, 0x7f800000, v0
	v_cmp_ne_u32_e64 s[0:1], s8, v1
                                        ; implicit-def: $vgpr48
	s_and_saveexec_b64 s[6:7], s[0:1]
	s_xor_b64 s[0:1], exec, s[6:7]
; %bb.717:                              ;   in Loop: Header=BB324_296 Depth=1
	v_bfe_u32 v1, v0, 16, 1
	v_add3_u32 v48, v0, v1, s9
                                        ; implicit-def: $vgpr0
; %bb.718:                              ;   in Loop: Header=BB324_296 Depth=1
	s_andn2_saveexec_b64 s[6:7], s[0:1]
; %bb.719:                              ;   in Loop: Header=BB324_296 Depth=1
	v_or_b32_e32 v1, 0x10000, v0
	v_cmp_eq_u32_sdwa s[0:1], v0, v23 src0_sel:WORD_0 src1_sel:DWORD
	s_nop 1
	v_cndmask_b32_e64 v48, v1, v0, s[0:1]
; %bb.720:                              ;   in Loop: Header=BB324_296 Depth=1
	s_or_b64 exec, exec, s[6:7]
	v_lshlrev_b32_e32 v0, 16, v4
	v_mul_f32_e32 v0, v45, v0
	v_and_b32_e32 v1, 0x7f800000, v0
	v_cmp_ne_u32_e64 s[0:1], s8, v1
                                        ; implicit-def: $vgpr49
	s_and_saveexec_b64 s[6:7], s[0:1]
	s_xor_b64 s[0:1], exec, s[6:7]
; %bb.721:                              ;   in Loop: Header=BB324_296 Depth=1
	v_bfe_u32 v1, v0, 16, 1
	v_add3_u32 v49, v0, v1, s9
                                        ; implicit-def: $vgpr0
; %bb.722:                              ;   in Loop: Header=BB324_296 Depth=1
	s_andn2_saveexec_b64 s[6:7], s[0:1]
; %bb.723:                              ;   in Loop: Header=BB324_296 Depth=1
	v_or_b32_e32 v1, 0x10000, v0
	v_cmp_eq_u32_sdwa s[0:1], v0, v23 src0_sel:WORD_0 src1_sel:DWORD
	s_nop 1
	v_cndmask_b32_e64 v49, v1, v0, s[0:1]
; %bb.724:                              ;   in Loop: Header=BB324_296 Depth=1
	s_or_b64 exec, exec, s[6:7]
	flat_load_dwordx2 v[4:5], v[2:3] offset:3072
                                        ; implicit-def: $vgpr31
	s_waitcnt vmcnt(0) lgkmcnt(0)
	v_and_b32_e32 v0, 0xff, v4
	v_cvt_f32_fp8_sdwa v0, v0 src0_sel:BYTE_0
	s_nop 0
	v_mul_f32_e32 v0, v32, v0
	v_and_b32_e32 v1, 0x7f800000, v0
	v_cmp_ne_u32_e64 s[0:1], s8, v1
	s_and_saveexec_b64 s[6:7], s[0:1]
	s_xor_b64 s[0:1], exec, s[6:7]
; %bb.725:                              ;   in Loop: Header=BB324_296 Depth=1
	v_bfe_u32 v1, v0, 16, 1
	v_add3_u32 v31, v0, v1, s9
                                        ; implicit-def: $vgpr0
; %bb.726:                              ;   in Loop: Header=BB324_296 Depth=1
	s_andn2_saveexec_b64 s[6:7], s[0:1]
; %bb.727:                              ;   in Loop: Header=BB324_296 Depth=1
	v_or_b32_e32 v1, 0x10000, v0
	v_cmp_eq_u32_sdwa s[0:1], v0, v23 src0_sel:WORD_0 src1_sel:DWORD
	s_nop 1
	v_cndmask_b32_e64 v31, v1, v0, s[0:1]
; %bb.728:                              ;   in Loop: Header=BB324_296 Depth=1
	s_or_b64 exec, exec, s[6:7]
	v_bfe_u32 v0, v4, 8, 8
	v_cvt_f32_fp8_sdwa v0, v0 src0_sel:BYTE_0
                                        ; implicit-def: $vgpr19
	s_nop 0
	v_mul_f32_e32 v0, v32, v0
	v_and_b32_e32 v1, 0x7f800000, v0
	v_cmp_ne_u32_e64 s[0:1], s8, v1
	s_and_saveexec_b64 s[6:7], s[0:1]
	s_xor_b64 s[0:1], exec, s[6:7]
; %bb.729:                              ;   in Loop: Header=BB324_296 Depth=1
	v_bfe_u32 v1, v0, 16, 1
	v_add3_u32 v19, v0, v1, s9
                                        ; implicit-def: $vgpr0
; %bb.730:                              ;   in Loop: Header=BB324_296 Depth=1
	s_andn2_saveexec_b64 s[6:7], s[0:1]
; %bb.731:                              ;   in Loop: Header=BB324_296 Depth=1
	v_or_b32_e32 v1, 0x10000, v0
	v_cmp_eq_u32_sdwa s[0:1], v0, v23 src0_sel:WORD_0 src1_sel:DWORD
	s_nop 1
	v_cndmask_b32_e64 v19, v1, v0, s[0:1]
; %bb.732:                              ;   in Loop: Header=BB324_296 Depth=1
	s_or_b64 exec, exec, s[6:7]
	v_bfe_u32 v0, v4, 16, 8
	v_cvt_f32_fp8_sdwa v0, v0 src0_sel:BYTE_0
	s_nop 0
	v_mul_f32_e32 v0, v32, v0
	v_and_b32_e32 v1, 0x7f800000, v0
	v_cmp_ne_u32_e64 s[0:1], s8, v1
                                        ; implicit-def: $vgpr1
	s_and_saveexec_b64 s[6:7], s[0:1]
	s_xor_b64 s[0:1], exec, s[6:7]
; %bb.733:                              ;   in Loop: Header=BB324_296 Depth=1
	v_bfe_u32 v1, v0, 16, 1
	v_add3_u32 v1, v0, v1, s9
                                        ; implicit-def: $vgpr0
; %bb.734:                              ;   in Loop: Header=BB324_296 Depth=1
	s_andn2_saveexec_b64 s[6:7], s[0:1]
; %bb.735:                              ;   in Loop: Header=BB324_296 Depth=1
	v_or_b32_e32 v1, 0x10000, v0
	v_cmp_eq_u32_sdwa s[0:1], v0, v23 src0_sel:WORD_0 src1_sel:DWORD
	s_nop 1
	v_cndmask_b32_e64 v1, v1, v0, s[0:1]
; %bb.736:                              ;   in Loop: Header=BB324_296 Depth=1
	s_or_b64 exec, exec, s[6:7]
	v_lshrrev_b32_e32 v0, 24, v4
	v_cvt_f32_fp8_sdwa v0, v0 src0_sel:BYTE_0
	s_nop 0
	v_mul_f32_e32 v4, v32, v0
	v_and_b32_e32 v0, 0x7f800000, v4
	v_cmp_ne_u32_e64 s[0:1], s8, v0
                                        ; implicit-def: $vgpr0
	s_and_saveexec_b64 s[6:7], s[0:1]
	s_xor_b64 s[0:1], exec, s[6:7]
; %bb.737:                              ;   in Loop: Header=BB324_296 Depth=1
	v_bfe_u32 v0, v4, 16, 1
	v_add3_u32 v0, v4, v0, s9
                                        ; implicit-def: $vgpr4
; %bb.738:                              ;   in Loop: Header=BB324_296 Depth=1
	s_andn2_saveexec_b64 s[6:7], s[0:1]
; %bb.739:                              ;   in Loop: Header=BB324_296 Depth=1
	v_or_b32_e32 v0, 0x10000, v4
	v_cmp_eq_u32_sdwa s[0:1], v4, v23 src0_sel:WORD_0 src1_sel:DWORD
	s_nop 1
	v_cndmask_b32_e64 v0, v0, v4, s[0:1]
; %bb.740:                              ;   in Loop: Header=BB324_296 Depth=1
	s_or_b64 exec, exec, s[6:7]
	v_and_b32_e32 v4, 0xff, v5
	v_cvt_f32_fp8_sdwa v4, v4 src0_sel:BYTE_0
	s_nop 0
	v_mul_f32_e32 v26, v32, v4
	v_and_b32_e32 v4, 0x7f800000, v26
	v_cmp_ne_u32_e64 s[0:1], s8, v4
                                        ; implicit-def: $vgpr4
	s_and_saveexec_b64 s[6:7], s[0:1]
	s_xor_b64 s[0:1], exec, s[6:7]
; %bb.741:                              ;   in Loop: Header=BB324_296 Depth=1
	v_bfe_u32 v4, v26, 16, 1
	v_add3_u32 v4, v26, v4, s9
                                        ; implicit-def: $vgpr26
; %bb.742:                              ;   in Loop: Header=BB324_296 Depth=1
	s_andn2_saveexec_b64 s[6:7], s[0:1]
; %bb.743:                              ;   in Loop: Header=BB324_296 Depth=1
	v_or_b32_e32 v4, 0x10000, v26
	v_cmp_eq_u32_sdwa s[0:1], v26, v23 src0_sel:WORD_0 src1_sel:DWORD
	s_nop 1
	v_cndmask_b32_e64 v4, v4, v26, s[0:1]
; %bb.744:                              ;   in Loop: Header=BB324_296 Depth=1
	s_or_b64 exec, exec, s[6:7]
	v_bfe_u32 v26, v5, 8, 8
	v_cvt_f32_fp8_sdwa v26, v26 src0_sel:BYTE_0
	s_nop 0
	v_mul_f32_e32 v30, v32, v26
	v_and_b32_e32 v26, 0x7f800000, v30
	v_cmp_ne_u32_e64 s[0:1], s8, v26
                                        ; implicit-def: $vgpr26
	s_and_saveexec_b64 s[6:7], s[0:1]
	s_xor_b64 s[0:1], exec, s[6:7]
; %bb.745:                              ;   in Loop: Header=BB324_296 Depth=1
	v_bfe_u32 v26, v30, 16, 1
	v_add3_u32 v26, v30, v26, s9
                                        ; implicit-def: $vgpr30
; %bb.746:                              ;   in Loop: Header=BB324_296 Depth=1
	s_andn2_saveexec_b64 s[6:7], s[0:1]
; %bb.747:                              ;   in Loop: Header=BB324_296 Depth=1
	v_or_b32_e32 v26, 0x10000, v30
	v_cmp_eq_u32_sdwa s[0:1], v30, v23 src0_sel:WORD_0 src1_sel:DWORD
	s_nop 1
	v_cndmask_b32_e64 v26, v26, v30, s[0:1]
; %bb.748:                              ;   in Loop: Header=BB324_296 Depth=1
	s_or_b64 exec, exec, s[6:7]
	v_bfe_u32 v30, v5, 16, 8
	v_cvt_f32_fp8_sdwa v30, v30 src0_sel:BYTE_0
                                        ; implicit-def: $vgpr35
	s_nop 0
	v_mul_f32_e32 v30, v32, v30
	v_and_b32_e32 v33, 0x7f800000, v30
	v_cmp_ne_u32_e64 s[0:1], s8, v33
	s_and_saveexec_b64 s[6:7], s[0:1]
	s_xor_b64 s[0:1], exec, s[6:7]
; %bb.749:                              ;   in Loop: Header=BB324_296 Depth=1
	v_bfe_u32 v33, v30, 16, 1
	v_add3_u32 v35, v30, v33, s9
                                        ; implicit-def: $vgpr30
; %bb.750:                              ;   in Loop: Header=BB324_296 Depth=1
	s_andn2_saveexec_b64 s[6:7], s[0:1]
; %bb.751:                              ;   in Loop: Header=BB324_296 Depth=1
	v_or_b32_e32 v33, 0x10000, v30
	v_cmp_eq_u32_sdwa s[0:1], v30, v23 src0_sel:WORD_0 src1_sel:DWORD
	s_nop 1
	v_cndmask_b32_e64 v35, v33, v30, s[0:1]
; %bb.752:                              ;   in Loop: Header=BB324_296 Depth=1
	s_or_b64 exec, exec, s[6:7]
	v_lshrrev_b32_e32 v5, 24, v5
	v_cvt_f32_fp8_sdwa v5, v5 src0_sel:BYTE_0
	s_nop 0
	v_mul_f32_e32 v5, v32, v5
	v_and_b32_e32 v30, 0x7f800000, v5
	v_cmp_ne_u32_e64 s[0:1], s8, v30
                                        ; implicit-def: $vgpr30
	s_and_saveexec_b64 s[6:7], s[0:1]
	s_xor_b64 s[0:1], exec, s[6:7]
; %bb.753:                              ;   in Loop: Header=BB324_296 Depth=1
	v_bfe_u32 v30, v5, 16, 1
	v_add3_u32 v30, v5, v30, s9
                                        ; implicit-def: $vgpr5
; %bb.754:                              ;   in Loop: Header=BB324_296 Depth=1
	s_andn2_saveexec_b64 s[6:7], s[0:1]
; %bb.755:                              ;   in Loop: Header=BB324_296 Depth=1
	v_or_b32_e32 v30, 0x10000, v5
	v_cmp_eq_u32_sdwa s[0:1], v5, v23 src0_sel:WORD_0 src1_sel:DWORD
	s_nop 1
	v_cndmask_b32_e64 v30, v30, v5, s[0:1]
; %bb.756:                              ;   in Loop: Header=BB324_296 Depth=1
	s_or_b64 exec, exec, s[6:7]
	v_lshrrev_b32_e32 v53, 16, v26
	v_lshrrev_b32_e32 v52, 16, v4
	;; [unrolled: 1-line block ×8, first 2 shown]
	s_and_saveexec_b64 s[6:7], vcc
	s_cbranch_execz .LBB324_758
; %bb.757:                              ;   in Loop: Header=BB324_296 Depth=1
	v_accvgpr_read_b32 v19, a20
	v_cmp_lt_i32_e64 s[0:1], v19, v27
	v_accvgpr_read_b32 v19, a26
	s_nop 0
	v_cndmask_b32_e64 v4, 0, v4, s[0:1]
	v_cmp_lt_i32_e64 s[0:1], v19, v27
	v_accvgpr_read_b32 v19, a25
	s_nop 0
	v_cndmask_b32_e64 v5, 0, v5, s[0:1]
	;; [unrolled: 4-line block ×6, first 2 shown]
	v_cmp_lt_i32_e64 s[0:1], v19, v27
	s_nop 1
	v_cndmask_b32_e64 v31, 0, v31, s[0:1]
	v_cmp_lt_i32_e64 s[0:1], v22, v27
	s_nop 1
	v_cndmask_b32_e64 v35, 0, v35, s[0:1]
.LBB324_758:                            ;   in Loop: Header=BB324_296 Depth=1
	s_or_b64 exec, exec, s[6:7]
	v_lshlrev_b32_e32 v4, 16, v4
	v_mul_f32_e32 v19, v54, v4
	v_and_b32_e32 v4, 0x7f800000, v19
	v_cmp_ne_u32_e64 s[0:1], s8, v4
                                        ; implicit-def: $vgpr4
	s_and_saveexec_b64 s[6:7], s[0:1]
	s_xor_b64 s[0:1], exec, s[6:7]
; %bb.759:                              ;   in Loop: Header=BB324_296 Depth=1
	v_bfe_u32 v4, v19, 16, 1
	v_add3_u32 v4, v19, v4, s9
                                        ; implicit-def: $vgpr19
; %bb.760:                              ;   in Loop: Header=BB324_296 Depth=1
	s_andn2_saveexec_b64 s[6:7], s[0:1]
; %bb.761:                              ;   in Loop: Header=BB324_296 Depth=1
	v_or_b32_e32 v4, 0x10000, v19
	v_cmp_eq_u32_sdwa s[0:1], v19, v23 src0_sel:WORD_0 src1_sel:DWORD
	s_nop 1
	v_cndmask_b32_e64 v4, v4, v19, s[0:1]
; %bb.762:                              ;   in Loop: Header=BB324_296 Depth=1
	s_or_b64 exec, exec, s[6:7]
	v_lshlrev_b32_e32 v5, 16, v5
	v_mul_f32_e32 v19, v55, v5
	v_and_b32_e32 v5, 0x7f800000, v19
	v_cmp_ne_u32_e64 s[0:1], s8, v5
                                        ; implicit-def: $vgpr5
	s_and_saveexec_b64 s[6:7], s[0:1]
	s_xor_b64 s[0:1], exec, s[6:7]
; %bb.763:                              ;   in Loop: Header=BB324_296 Depth=1
	v_bfe_u32 v5, v19, 16, 1
	v_add3_u32 v5, v19, v5, s9
                                        ; implicit-def: $vgpr19
; %bb.764:                              ;   in Loop: Header=BB324_296 Depth=1
	s_andn2_saveexec_b64 s[6:7], s[0:1]
; %bb.765:                              ;   in Loop: Header=BB324_296 Depth=1
	v_or_b32_e32 v5, 0x10000, v19
	v_cmp_eq_u32_sdwa s[0:1], v19, v23 src0_sel:WORD_0 src1_sel:DWORD
	s_nop 1
	v_cndmask_b32_e64 v5, v5, v19, s[0:1]
; %bb.766:                              ;   in Loop: Header=BB324_296 Depth=1
	s_or_b64 exec, exec, s[6:7]
	v_lshlrev_b32_e32 v1, 16, v1
	v_mul_f32_e32 v1, v40, v1
	v_and_b32_e32 v19, 0x7f800000, v1
	v_cmp_ne_u32_e64 s[0:1], s8, v19
                                        ; implicit-def: $vgpr50
	s_and_saveexec_b64 s[6:7], s[0:1]
	s_xor_b64 s[0:1], exec, s[6:7]
; %bb.767:                              ;   in Loop: Header=BB324_296 Depth=1
	v_bfe_u32 v19, v1, 16, 1
	v_add3_u32 v50, v1, v19, s9
                                        ; implicit-def: $vgpr1
; %bb.768:                              ;   in Loop: Header=BB324_296 Depth=1
	s_andn2_saveexec_b64 s[6:7], s[0:1]
; %bb.769:                              ;   in Loop: Header=BB324_296 Depth=1
	v_or_b32_e32 v19, 0x10000, v1
	v_cmp_eq_u32_sdwa s[0:1], v1, v23 src0_sel:WORD_0 src1_sel:DWORD
	s_nop 1
	v_cndmask_b32_e64 v50, v19, v1, s[0:1]
; %bb.770:                              ;   in Loop: Header=BB324_296 Depth=1
	s_or_b64 exec, exec, s[6:7]
	v_lshlrev_b32_e32 v0, 16, v0
	v_mul_f32_e32 v0, v41, v0
	v_and_b32_e32 v1, 0x7f800000, v0
	v_cmp_ne_u32_e64 s[0:1], s8, v1
                                        ; implicit-def: $vgpr51
	s_and_saveexec_b64 s[6:7], s[0:1]
	s_xor_b64 s[0:1], exec, s[6:7]
; %bb.771:                              ;   in Loop: Header=BB324_296 Depth=1
	v_bfe_u32 v1, v0, 16, 1
	v_add3_u32 v51, v0, v1, s9
                                        ; implicit-def: $vgpr0
; %bb.772:                              ;   in Loop: Header=BB324_296 Depth=1
	s_andn2_saveexec_b64 s[6:7], s[0:1]
; %bb.773:                              ;   in Loop: Header=BB324_296 Depth=1
	v_or_b32_e32 v1, 0x10000, v0
	v_cmp_eq_u32_sdwa s[0:1], v0, v23 src0_sel:WORD_0 src1_sel:DWORD
	s_nop 1
	v_cndmask_b32_e64 v51, v1, v0, s[0:1]
; %bb.774:                              ;   in Loop: Header=BB324_296 Depth=1
	s_or_b64 exec, exec, s[6:7]
	v_lshlrev_b32_e32 v0, 16, v52
	v_mul_f32_e32 v0, v42, v0
	v_and_b32_e32 v1, 0x7f800000, v0
	v_cmp_ne_u32_e64 s[0:1], s8, v1
                                        ; implicit-def: $vgpr52
	s_and_saveexec_b64 s[6:7], s[0:1]
	s_xor_b64 s[0:1], exec, s[6:7]
; %bb.775:                              ;   in Loop: Header=BB324_296 Depth=1
	v_bfe_u32 v1, v0, 16, 1
	v_add3_u32 v52, v0, v1, s9
                                        ; implicit-def: $vgpr0
; %bb.776:                              ;   in Loop: Header=BB324_296 Depth=1
	s_andn2_saveexec_b64 s[6:7], s[0:1]
; %bb.777:                              ;   in Loop: Header=BB324_296 Depth=1
	v_or_b32_e32 v1, 0x10000, v0
	v_cmp_eq_u32_sdwa s[0:1], v0, v23 src0_sel:WORD_0 src1_sel:DWORD
	s_nop 1
	v_cndmask_b32_e64 v52, v1, v0, s[0:1]
; %bb.778:                              ;   in Loop: Header=BB324_296 Depth=1
	s_or_b64 exec, exec, s[6:7]
	v_lshlrev_b32_e32 v0, 16, v53
	v_mul_f32_e32 v0, v43, v0
	v_and_b32_e32 v1, 0x7f800000, v0
	v_cmp_ne_u32_e64 s[0:1], s8, v1
                                        ; implicit-def: $vgpr53
	s_and_saveexec_b64 s[6:7], s[0:1]
	s_xor_b64 s[0:1], exec, s[6:7]
; %bb.779:                              ;   in Loop: Header=BB324_296 Depth=1
	v_bfe_u32 v1, v0, 16, 1
	v_add3_u32 v53, v0, v1, s9
                                        ; implicit-def: $vgpr0
; %bb.780:                              ;   in Loop: Header=BB324_296 Depth=1
	s_andn2_saveexec_b64 s[6:7], s[0:1]
; %bb.781:                              ;   in Loop: Header=BB324_296 Depth=1
	v_or_b32_e32 v1, 0x10000, v0
	v_cmp_eq_u32_sdwa s[0:1], v0, v23 src0_sel:WORD_0 src1_sel:DWORD
	s_nop 1
	v_cndmask_b32_e64 v53, v1, v0, s[0:1]
; %bb.782:                              ;   in Loop: Header=BB324_296 Depth=1
	s_or_b64 exec, exec, s[6:7]
	v_lshlrev_b32_e32 v0, 16, v31
	v_mul_f32_e32 v0, v44, v0
	v_and_b32_e32 v1, 0x7f800000, v0
	v_cmp_ne_u32_e64 s[0:1], s8, v1
                                        ; implicit-def: $vgpr62
	s_and_saveexec_b64 s[6:7], s[0:1]
	s_xor_b64 s[0:1], exec, s[6:7]
; %bb.783:                              ;   in Loop: Header=BB324_296 Depth=1
	v_bfe_u32 v1, v0, 16, 1
	v_add3_u32 v62, v0, v1, s9
                                        ; implicit-def: $vgpr0
; %bb.784:                              ;   in Loop: Header=BB324_296 Depth=1
	s_andn2_saveexec_b64 s[6:7], s[0:1]
; %bb.785:                              ;   in Loop: Header=BB324_296 Depth=1
	v_or_b32_e32 v1, 0x10000, v0
	v_cmp_eq_u32_sdwa s[0:1], v0, v23 src0_sel:WORD_0 src1_sel:DWORD
	s_nop 1
	v_cndmask_b32_e64 v62, v1, v0, s[0:1]
; %bb.786:                              ;   in Loop: Header=BB324_296 Depth=1
	s_or_b64 exec, exec, s[6:7]
	v_lshlrev_b32_e32 v0, 16, v35
	v_mul_f32_e32 v0, v45, v0
	v_and_b32_e32 v1, 0x7f800000, v0
	v_cmp_ne_u32_e64 s[0:1], s8, v1
                                        ; implicit-def: $vgpr63
	s_and_saveexec_b64 s[6:7], s[0:1]
	s_xor_b64 s[0:1], exec, s[6:7]
; %bb.787:                              ;   in Loop: Header=BB324_296 Depth=1
	v_bfe_u32 v1, v0, 16, 1
	v_add3_u32 v63, v0, v1, s9
                                        ; implicit-def: $vgpr0
; %bb.788:                              ;   in Loop: Header=BB324_296 Depth=1
	s_andn2_saveexec_b64 s[6:7], s[0:1]
; %bb.789:                              ;   in Loop: Header=BB324_296 Depth=1
	v_or_b32_e32 v1, 0x10000, v0
	v_cmp_eq_u32_sdwa s[0:1], v0, v23 src0_sel:WORD_0 src1_sel:DWORD
	s_nop 1
	v_cndmask_b32_e64 v63, v1, v0, s[0:1]
; %bb.790:                              ;   in Loop: Header=BB324_296 Depth=1
	s_or_b64 exec, exec, s[6:7]
	flat_load_dwordx2 v[2:3], v[2:3] offset:3584
                                        ; implicit-def: $vgpr31
	s_waitcnt vmcnt(0) lgkmcnt(0)
	v_and_b32_e32 v0, 0xff, v2
	v_cvt_f32_fp8_sdwa v0, v0 src0_sel:BYTE_0
	s_nop 0
	v_mul_f32_e32 v0, v32, v0
	v_and_b32_e32 v1, 0x7f800000, v0
	v_cmp_ne_u32_e64 s[0:1], s8, v1
	s_and_saveexec_b64 s[6:7], s[0:1]
	s_xor_b64 s[0:1], exec, s[6:7]
; %bb.791:                              ;   in Loop: Header=BB324_296 Depth=1
	v_bfe_u32 v1, v0, 16, 1
	v_add3_u32 v31, v0, v1, s9
                                        ; implicit-def: $vgpr0
; %bb.792:                              ;   in Loop: Header=BB324_296 Depth=1
	s_andn2_saveexec_b64 s[6:7], s[0:1]
; %bb.793:                              ;   in Loop: Header=BB324_296 Depth=1
	v_or_b32_e32 v1, 0x10000, v0
	v_cmp_eq_u32_sdwa s[0:1], v0, v23 src0_sel:WORD_0 src1_sel:DWORD
	s_nop 1
	v_cndmask_b32_e64 v31, v1, v0, s[0:1]
; %bb.794:                              ;   in Loop: Header=BB324_296 Depth=1
	s_or_b64 exec, exec, s[6:7]
	v_bfe_u32 v0, v2, 8, 8
	v_cvt_f32_fp8_sdwa v0, v0 src0_sel:BYTE_0
                                        ; implicit-def: $vgpr19
	s_nop 0
	v_mul_f32_e32 v0, v32, v0
	v_and_b32_e32 v1, 0x7f800000, v0
	v_cmp_ne_u32_e64 s[0:1], s8, v1
	s_and_saveexec_b64 s[6:7], s[0:1]
	s_xor_b64 s[0:1], exec, s[6:7]
; %bb.795:                              ;   in Loop: Header=BB324_296 Depth=1
	v_bfe_u32 v1, v0, 16, 1
	v_add3_u32 v19, v0, v1, s9
                                        ; implicit-def: $vgpr0
; %bb.796:                              ;   in Loop: Header=BB324_296 Depth=1
	s_andn2_saveexec_b64 s[6:7], s[0:1]
; %bb.797:                              ;   in Loop: Header=BB324_296 Depth=1
	v_or_b32_e32 v1, 0x10000, v0
	v_cmp_eq_u32_sdwa s[0:1], v0, v23 src0_sel:WORD_0 src1_sel:DWORD
	s_nop 1
	v_cndmask_b32_e64 v19, v1, v0, s[0:1]
; %bb.798:                              ;   in Loop: Header=BB324_296 Depth=1
	s_or_b64 exec, exec, s[6:7]
	v_bfe_u32 v0, v2, 16, 8
	v_cvt_f32_fp8_sdwa v0, v0 src0_sel:BYTE_0
                                        ; implicit-def: $vgpr35
	s_nop 0
	v_mul_f32_e32 v0, v32, v0
	v_and_b32_e32 v1, 0x7f800000, v0
	v_cmp_ne_u32_e64 s[0:1], s8, v1
	s_and_saveexec_b64 s[6:7], s[0:1]
	s_xor_b64 s[0:1], exec, s[6:7]
; %bb.799:                              ;   in Loop: Header=BB324_296 Depth=1
	v_bfe_u32 v1, v0, 16, 1
	v_add3_u32 v35, v0, v1, s9
                                        ; implicit-def: $vgpr0
; %bb.800:                              ;   in Loop: Header=BB324_296 Depth=1
	s_andn2_saveexec_b64 s[6:7], s[0:1]
; %bb.801:                              ;   in Loop: Header=BB324_296 Depth=1
	v_or_b32_e32 v1, 0x10000, v0
	v_cmp_eq_u32_sdwa s[0:1], v0, v23 src0_sel:WORD_0 src1_sel:DWORD
	s_nop 1
	v_cndmask_b32_e64 v35, v1, v0, s[0:1]
; %bb.802:                              ;   in Loop: Header=BB324_296 Depth=1
	s_or_b64 exec, exec, s[6:7]
	v_lshrrev_b32_e32 v0, 24, v2
	v_cvt_f32_fp8_sdwa v0, v0 src0_sel:BYTE_0
                                        ; implicit-def: $vgpr2
	s_nop 0
	v_mul_f32_e32 v0, v32, v0
	v_and_b32_e32 v1, 0x7f800000, v0
	v_cmp_ne_u32_e64 s[0:1], s8, v1
	s_and_saveexec_b64 s[6:7], s[0:1]
	s_xor_b64 s[0:1], exec, s[6:7]
; %bb.803:                              ;   in Loop: Header=BB324_296 Depth=1
	v_bfe_u32 v1, v0, 16, 1
	v_add3_u32 v2, v0, v1, s9
                                        ; implicit-def: $vgpr0
; %bb.804:                              ;   in Loop: Header=BB324_296 Depth=1
	s_andn2_saveexec_b64 s[6:7], s[0:1]
; %bb.805:                              ;   in Loop: Header=BB324_296 Depth=1
	v_or_b32_e32 v1, 0x10000, v0
	v_cmp_eq_u32_sdwa s[0:1], v0, v23 src0_sel:WORD_0 src1_sel:DWORD
	s_nop 1
	v_cndmask_b32_e64 v2, v1, v0, s[0:1]
; %bb.806:                              ;   in Loop: Header=BB324_296 Depth=1
	s_or_b64 exec, exec, s[6:7]
	v_and_b32_e32 v0, 0xff, v3
	v_cvt_f32_fp8_sdwa v0, v0 src0_sel:BYTE_0
	s_nop 0
	v_mul_f32_e32 v1, v32, v0
	v_and_b32_e32 v0, 0x7f800000, v1
	v_cmp_ne_u32_e64 s[0:1], s8, v0
                                        ; implicit-def: $vgpr0
	s_and_saveexec_b64 s[6:7], s[0:1]
	s_xor_b64 s[0:1], exec, s[6:7]
; %bb.807:                              ;   in Loop: Header=BB324_296 Depth=1
	v_bfe_u32 v0, v1, 16, 1
	v_add3_u32 v0, v1, v0, s9
                                        ; implicit-def: $vgpr1
; %bb.808:                              ;   in Loop: Header=BB324_296 Depth=1
	s_andn2_saveexec_b64 s[6:7], s[0:1]
; %bb.809:                              ;   in Loop: Header=BB324_296 Depth=1
	v_or_b32_e32 v0, 0x10000, v1
	v_cmp_eq_u32_sdwa s[0:1], v1, v23 src0_sel:WORD_0 src1_sel:DWORD
	s_nop 1
	v_cndmask_b32_e64 v0, v0, v1, s[0:1]
; %bb.810:                              ;   in Loop: Header=BB324_296 Depth=1
	s_or_b64 exec, exec, s[6:7]
	v_bfe_u32 v1, v3, 8, 8
	v_cvt_f32_fp8_sdwa v1, v1 src0_sel:BYTE_0
	s_nop 0
	v_mul_f32_e32 v26, v32, v1
	v_and_b32_e32 v1, 0x7f800000, v26
	v_cmp_ne_u32_e64 s[0:1], s8, v1
                                        ; implicit-def: $vgpr1
	s_and_saveexec_b64 s[6:7], s[0:1]
	s_xor_b64 s[0:1], exec, s[6:7]
; %bb.811:                              ;   in Loop: Header=BB324_296 Depth=1
	v_bfe_u32 v1, v26, 16, 1
	v_add3_u32 v1, v26, v1, s9
                                        ; implicit-def: $vgpr26
; %bb.812:                              ;   in Loop: Header=BB324_296 Depth=1
	s_andn2_saveexec_b64 s[6:7], s[0:1]
; %bb.813:                              ;   in Loop: Header=BB324_296 Depth=1
	v_or_b32_e32 v1, 0x10000, v26
	v_cmp_eq_u32_sdwa s[0:1], v26, v23 src0_sel:WORD_0 src1_sel:DWORD
	s_nop 1
	v_cndmask_b32_e64 v1, v1, v26, s[0:1]
; %bb.814:                              ;   in Loop: Header=BB324_296 Depth=1
	s_or_b64 exec, exec, s[6:7]
	v_bfe_u32 v26, v3, 16, 8
	v_cvt_f32_fp8_sdwa v26, v26 src0_sel:BYTE_0
	s_nop 0
	v_mul_f32_e32 v26, v32, v26
	v_and_b32_e32 v30, 0x7f800000, v26
	v_cmp_ne_u32_e64 s[0:1], s8, v30
                                        ; implicit-def: $vgpr30
	s_and_saveexec_b64 s[6:7], s[0:1]
	s_xor_b64 s[0:1], exec, s[6:7]
; %bb.815:                              ;   in Loop: Header=BB324_296 Depth=1
	v_bfe_u32 v30, v26, 16, 1
	v_add3_u32 v30, v26, v30, s9
                                        ; implicit-def: $vgpr26
; %bb.816:                              ;   in Loop: Header=BB324_296 Depth=1
	s_andn2_saveexec_b64 s[6:7], s[0:1]
; %bb.817:                              ;   in Loop: Header=BB324_296 Depth=1
	v_or_b32_e32 v30, 0x10000, v26
	v_cmp_eq_u32_sdwa s[0:1], v26, v23 src0_sel:WORD_0 src1_sel:DWORD
	s_nop 1
	v_cndmask_b32_e64 v30, v30, v26, s[0:1]
; %bb.818:                              ;   in Loop: Header=BB324_296 Depth=1
	s_or_b64 exec, exec, s[6:7]
	v_lshrrev_b32_e32 v3, 24, v3
	v_cvt_f32_fp8_sdwa v3, v3 src0_sel:BYTE_0
                                        ; implicit-def: $vgpr33
	s_nop 0
	v_mul_f32_e32 v3, v32, v3
	v_and_b32_e32 v26, 0x7f800000, v3
	v_cmp_ne_u32_e64 s[0:1], s8, v26
	s_and_saveexec_b64 s[6:7], s[0:1]
	s_xor_b64 s[0:1], exec, s[6:7]
; %bb.819:                              ;   in Loop: Header=BB324_296 Depth=1
	v_bfe_u32 v26, v3, 16, 1
	v_add3_u32 v33, v3, v26, s9
                                        ; implicit-def: $vgpr3
; %bb.820:                              ;   in Loop: Header=BB324_296 Depth=1
	s_andn2_saveexec_b64 s[6:7], s[0:1]
; %bb.821:                              ;   in Loop: Header=BB324_296 Depth=1
	v_or_b32_e32 v26, 0x10000, v3
	v_cmp_eq_u32_sdwa s[0:1], v3, v23 src0_sel:WORD_0 src1_sel:DWORD
	s_nop 1
	v_cndmask_b32_e64 v33, v26, v3, s[0:1]
; %bb.822:                              ;   in Loop: Header=BB324_296 Depth=1
	s_or_b64 exec, exec, s[6:7]
	v_lshrrev_b32_e32 v1, 16, v1
	v_lshrrev_b32_e32 v0, 16, v0
	;; [unrolled: 1-line block ×8, first 2 shown]
	s_and_saveexec_b64 s[0:1], vcc
	s_cbranch_execz .LBB324_824
; %bb.823:                              ;   in Loop: Header=BB324_296 Depth=1
	v_accvgpr_read_b32 v30, a20
	v_cmp_lt_i32_e32 vcc, v30, v27
	v_accvgpr_read_b32 v30, a26
	s_nop 0
	v_cndmask_b32_e32 v2, 0, v2, vcc
	v_cmp_lt_i32_e32 vcc, v30, v27
	v_accvgpr_read_b32 v30, a25
	s_nop 0
	v_cndmask_b32_e32 v3, 0, v3, vcc
	;; [unrolled: 4-line block ×6, first 2 shown]
	v_cmp_lt_i32_e32 vcc, v30, v27
	s_nop 1
	v_cndmask_b32_e32 v19, 0, v19, vcc
	v_cmp_lt_i32_e32 vcc, v22, v27
	s_nop 1
	v_cndmask_b32_e32 v31, 0, v31, vcc
.LBB324_824:                            ;   in Loop: Header=BB324_296 Depth=1
	s_or_b64 exec, exec, s[0:1]
	v_lshlrev_b32_e32 v2, 16, v2
	v_mul_f32_e32 v30, v54, v2
	v_and_b32_e32 v2, 0x7f800000, v30
	v_cmp_ne_u32_e32 vcc, s8, v2
                                        ; implicit-def: $vgpr2
	s_and_saveexec_b64 s[0:1], vcc
	s_xor_b64 s[0:1], exec, s[0:1]
; %bb.825:                              ;   in Loop: Header=BB324_296 Depth=1
	v_bfe_u32 v2, v30, 16, 1
	v_add3_u32 v2, v30, v2, s9
                                        ; implicit-def: $vgpr30
; %bb.826:                              ;   in Loop: Header=BB324_296 Depth=1
	s_andn2_saveexec_b64 s[0:1], s[0:1]
; %bb.827:                              ;   in Loop: Header=BB324_296 Depth=1
	v_or_b32_e32 v2, 0x10000, v30
	v_cmp_eq_u32_sdwa vcc, v30, v23 src0_sel:WORD_0 src1_sel:DWORD
	s_nop 1
	v_cndmask_b32_e32 v2, v2, v30, vcc
; %bb.828:                              ;   in Loop: Header=BB324_296 Depth=1
	s_or_b64 exec, exec, s[0:1]
	v_lshlrev_b32_e32 v3, 16, v3
	v_mul_f32_e32 v30, v55, v3
	v_and_b32_e32 v3, 0x7f800000, v30
	v_cmp_ne_u32_e32 vcc, s8, v3
                                        ; implicit-def: $vgpr3
	s_and_saveexec_b64 s[0:1], vcc
	s_xor_b64 s[0:1], exec, s[0:1]
; %bb.829:                              ;   in Loop: Header=BB324_296 Depth=1
	v_bfe_u32 v3, v30, 16, 1
	v_add3_u32 v3, v30, v3, s9
                                        ; implicit-def: $vgpr30
; %bb.830:                              ;   in Loop: Header=BB324_296 Depth=1
	s_andn2_saveexec_b64 s[0:1], s[0:1]
; %bb.831:                              ;   in Loop: Header=BB324_296 Depth=1
	v_or_b32_e32 v3, 0x10000, v30
	v_cmp_eq_u32_sdwa vcc, v30, v23 src0_sel:WORD_0 src1_sel:DWORD
	s_nop 1
	v_cndmask_b32_e32 v3, v3, v30, vcc
; %bb.832:                              ;   in Loop: Header=BB324_296 Depth=1
	s_or_b64 exec, exec, s[0:1]
	v_lshlrev_b32_e32 v30, 16, v35
	v_mul_f32_e32 v30, v40, v30
	v_and_b32_e32 v33, 0x7f800000, v30
	v_cmp_ne_u32_e32 vcc, s8, v33
                                        ; implicit-def: $vgpr54
	s_and_saveexec_b64 s[0:1], vcc
	s_xor_b64 s[0:1], exec, s[0:1]
; %bb.833:                              ;   in Loop: Header=BB324_296 Depth=1
	v_bfe_u32 v33, v30, 16, 1
	v_add3_u32 v54, v30, v33, s9
                                        ; implicit-def: $vgpr30
; %bb.834:                              ;   in Loop: Header=BB324_296 Depth=1
	s_andn2_saveexec_b64 s[0:1], s[0:1]
; %bb.835:                              ;   in Loop: Header=BB324_296 Depth=1
	v_or_b32_e32 v33, 0x10000, v30
	v_cmp_eq_u32_sdwa vcc, v30, v23 src0_sel:WORD_0 src1_sel:DWORD
	s_nop 1
	v_cndmask_b32_e32 v54, v33, v30, vcc
; %bb.836:                              ;   in Loop: Header=BB324_296 Depth=1
	s_or_b64 exec, exec, s[0:1]
	v_lshlrev_b32_e32 v26, 16, v26
	v_mul_f32_e32 v26, v41, v26
	v_and_b32_e32 v30, 0x7f800000, v26
	v_cmp_ne_u32_e32 vcc, s8, v30
                                        ; implicit-def: $vgpr35
	s_and_saveexec_b64 s[0:1], vcc
	s_xor_b64 s[0:1], exec, s[0:1]
; %bb.837:                              ;   in Loop: Header=BB324_296 Depth=1
	v_bfe_u32 v30, v26, 16, 1
	v_add3_u32 v35, v26, v30, s9
                                        ; implicit-def: $vgpr26
; %bb.838:                              ;   in Loop: Header=BB324_296 Depth=1
	s_andn2_saveexec_b64 s[0:1], s[0:1]
; %bb.839:                              ;   in Loop: Header=BB324_296 Depth=1
	v_or_b32_e32 v30, 0x10000, v26
	v_cmp_eq_u32_sdwa vcc, v26, v23 src0_sel:WORD_0 src1_sel:DWORD
	s_nop 1
	v_cndmask_b32_e32 v35, v30, v26, vcc
; %bb.840:                              ;   in Loop: Header=BB324_296 Depth=1
	s_or_b64 exec, exec, s[0:1]
	v_lshlrev_b32_e32 v0, 16, v0
	v_mul_f32_e32 v0, v42, v0
	v_and_b32_e32 v26, 0x7f800000, v0
	v_cmp_ne_u32_e32 vcc, s8, v26
                                        ; implicit-def: $vgpr55
	s_and_saveexec_b64 s[0:1], vcc
	s_xor_b64 s[0:1], exec, s[0:1]
; %bb.841:                              ;   in Loop: Header=BB324_296 Depth=1
	v_bfe_u32 v26, v0, 16, 1
	v_add3_u32 v55, v0, v26, s9
                                        ; implicit-def: $vgpr0
; %bb.842:                              ;   in Loop: Header=BB324_296 Depth=1
	s_andn2_saveexec_b64 s[0:1], s[0:1]
; %bb.843:                              ;   in Loop: Header=BB324_296 Depth=1
	v_or_b32_e32 v26, 0x10000, v0
	v_cmp_eq_u32_sdwa vcc, v0, v23 src0_sel:WORD_0 src1_sel:DWORD
	s_nop 1
	v_cndmask_b32_e32 v55, v26, v0, vcc
; %bb.844:                              ;   in Loop: Header=BB324_296 Depth=1
	s_or_b64 exec, exec, s[0:1]
	v_lshlrev_b32_e32 v0, 16, v1
	v_mul_f32_e32 v0, v43, v0
	v_and_b32_e32 v1, 0x7f800000, v0
	v_cmp_ne_u32_e32 vcc, s8, v1
                                        ; implicit-def: $vgpr40
	s_and_saveexec_b64 s[0:1], vcc
	s_xor_b64 s[0:1], exec, s[0:1]
; %bb.845:                              ;   in Loop: Header=BB324_296 Depth=1
	v_bfe_u32 v1, v0, 16, 1
	v_add3_u32 v40, v0, v1, s9
                                        ; implicit-def: $vgpr0
; %bb.846:                              ;   in Loop: Header=BB324_296 Depth=1
	s_andn2_saveexec_b64 s[0:1], s[0:1]
; %bb.847:                              ;   in Loop: Header=BB324_296 Depth=1
	v_or_b32_e32 v1, 0x10000, v0
	v_cmp_eq_u32_sdwa vcc, v0, v23 src0_sel:WORD_0 src1_sel:DWORD
	s_nop 1
	v_cndmask_b32_e32 v40, v1, v0, vcc
; %bb.848:                              ;   in Loop: Header=BB324_296 Depth=1
	s_or_b64 exec, exec, s[0:1]
	v_lshlrev_b32_e32 v0, 16, v19
	v_mul_f32_e32 v0, v44, v0
	v_and_b32_e32 v1, 0x7f800000, v0
	v_cmp_ne_u32_e32 vcc, s8, v1
                                        ; implicit-def: $vgpr1
	s_and_saveexec_b64 s[0:1], vcc
	s_xor_b64 s[0:1], exec, s[0:1]
; %bb.849:                              ;   in Loop: Header=BB324_296 Depth=1
	v_bfe_u32 v1, v0, 16, 1
	v_add3_u32 v1, v0, v1, s9
                                        ; implicit-def: $vgpr0
; %bb.850:                              ;   in Loop: Header=BB324_296 Depth=1
	s_andn2_saveexec_b64 s[0:1], s[0:1]
; %bb.851:                              ;   in Loop: Header=BB324_296 Depth=1
	v_or_b32_e32 v1, 0x10000, v0
	v_cmp_eq_u32_sdwa vcc, v0, v23 src0_sel:WORD_0 src1_sel:DWORD
	s_nop 1
	v_cndmask_b32_e32 v1, v1, v0, vcc
; %bb.852:                              ;   in Loop: Header=BB324_296 Depth=1
	s_or_b64 exec, exec, s[0:1]
	v_lshlrev_b32_e32 v0, 16, v31
	v_mul_f32_e32 v19, v45, v0
	v_and_b32_e32 v0, 0x7f800000, v19
	v_cmp_ne_u32_e32 vcc, s8, v0
                                        ; implicit-def: $vgpr0
	s_and_saveexec_b64 s[0:1], vcc
	s_xor_b64 s[0:1], exec, s[0:1]
; %bb.853:                              ;   in Loop: Header=BB324_296 Depth=1
	v_bfe_u32 v0, v19, 16, 1
	v_add3_u32 v0, v19, v0, s9
                                        ; implicit-def: $vgpr19
; %bb.854:                              ;   in Loop: Header=BB324_296 Depth=1
	s_andn2_saveexec_b64 s[0:1], s[0:1]
	s_cbranch_execz .LBB324_295
; %bb.855:                              ;   in Loop: Header=BB324_296 Depth=1
	v_or_b32_e32 v0, 0x10000, v19
	v_cmp_eq_u32_sdwa vcc, v19, v23 src0_sel:WORD_0 src1_sel:DWORD
	s_nop 1
	v_cndmask_b32_e32 v0, v0, v19, vcc
	s_branch .LBB324_295
.LBB324_856:
	s_or_b64 exec, exec, s[4:5]
	v_accvgpr_read_b32 v18, a6
	v_accvgpr_read_b32 v19, a7
	;; [unrolled: 1-line block ×3, first 2 shown]
.LBB324_857:
	s_or_b64 exec, exec, s[2:3]
	ds_bpermute_b32 v2, v19, v16
	ds_bpermute_b32 v3, v19, v17
	;; [unrolled: 1-line block ×6, first 2 shown]
	s_waitcnt lgkmcnt(4)
	v_pk_add_f32 v[4:5], v[16:17], v[2:3]
	s_waitcnt lgkmcnt(0)
	v_pk_add_f32 v[2:3], v[14:15], v[6:7]
	s_barrier
	v_pk_add_f32 v[6:7], v[12:13], v[10:11]
	scratch_load_dword v12, off, s32 offset:280 ; 4-byte Folded Reload
	ds_bpermute_b32 v0, v19, v20
	ds_bpermute_b32 v1, v19, v21
	s_waitcnt lgkmcnt(0)
	v_pk_add_f32 v[8:9], v[20:21], v[0:1]
	s_waitcnt vmcnt(0)
	v_and_b32_e32 v0, 0x3c1, v12
	v_cmp_eq_u32_e32 vcc, 64, v0
	s_and_saveexec_b64 s[0:1], vcc
	s_cbranch_execz .LBB324_859
; %bb.858:
	s_ashr_i32 s17, s16, 31
	s_lshl_b64 s[2:3], s[16:17], 2
	s_getpc_b64 s[4:5]
	s_add_u32 s4, s4, llvm.amdgcn.dynlds.offset.table@rel32@lo+4
	s_addc_u32 s5, s5, llvm.amdgcn.dynlds.offset.table@rel32@hi+12
	s_add_u32 s2, s2, s4
	s_addc_u32 s3, s3, s5
	s_load_dword s2, s[2:3], 0x0
	s_waitcnt lgkmcnt(0)
	v_lshl_add_u32 v0, v18, 1, s2
	ds_write2_b32 v0, v8, v9 offset1:32
	ds_write2_b32 v0, v4, v5 offset0:64 offset1:96
	ds_write2_b32 v0, v2, v3 offset0:128 offset1:160
	;; [unrolled: 1-line block ×3, first 2 shown]
.LBB324_859:
	s_or_b64 exec, exec, s[0:1]
	v_cmp_gt_u32_e32 vcc, 64, v12
	s_waitcnt lgkmcnt(0)
	s_barrier
	s_and_saveexec_b64 s[2:3], vcc
	s_cbranch_execz .LBB324_870
; %bb.860:
	v_cmp_eq_u32_e64 s[0:1], 0, v24
	v_lshrrev_b32_e32 v0, 1, v12
	s_and_saveexec_b64 s[4:5], s[0:1]
	s_cbranch_execnz .LBB324_906
; %bb.861:
	s_or_b64 exec, exec, s[4:5]
	s_and_saveexec_b64 s[4:5], s[0:1]
	s_cbranch_execnz .LBB324_907
.LBB324_862:
	s_or_b64 exec, exec, s[4:5]
	s_and_saveexec_b64 s[4:5], s[0:1]
	s_cbranch_execnz .LBB324_908
.LBB324_863:
	s_or_b64 exec, exec, s[4:5]
	s_and_saveexec_b64 s[4:5], s[0:1]
	s_cbranch_execnz .LBB324_909
.LBB324_864:
	s_or_b64 exec, exec, s[4:5]
	s_and_saveexec_b64 s[4:5], s[0:1]
	s_cbranch_execnz .LBB324_910
.LBB324_865:
	s_or_b64 exec, exec, s[4:5]
	s_and_saveexec_b64 s[4:5], s[0:1]
	s_cbranch_execnz .LBB324_911
.LBB324_866:
	s_or_b64 exec, exec, s[4:5]
	s_and_saveexec_b64 s[4:5], s[0:1]
	s_cbranch_execnz .LBB324_912
.LBB324_867:
	s_or_b64 exec, exec, s[4:5]
	s_and_saveexec_b64 s[4:5], s[0:1]
	s_cbranch_execz .LBB324_869
.LBB324_868:
	s_ashr_i32 s17, s16, 31
	s_lshl_b64 s[0:1], s[16:17], 2
	s_getpc_b64 s[6:7]
	s_add_u32 s6, s6, llvm.amdgcn.dynlds.offset.table@rel32@lo+4
	s_addc_u32 s7, s7, llvm.amdgcn.dynlds.offset.table@rel32@hi+12
	s_add_u32 s0, s0, s6
	s_addc_u32 s1, s1, s7
	s_load_dword s0, s[0:1], 0x0
	s_waitcnt lgkmcnt(0)
	v_lshl_add_u32 v0, v0, 2, s0
	ds_read_b32 v0, v0 offset:896
	s_waitcnt lgkmcnt(0)
	v_add_f32_e32 v7, v7, v0
.LBB324_869:
	s_or_b64 exec, exec, s[4:5]
.LBB324_870:
	s_or_b64 exec, exec, s[2:3]
	s_barrier
	s_and_saveexec_b64 s[0:1], vcc
	s_cbranch_execz .LBB324_905
; %bb.871:
	v_cmp_eq_u32_e32 vcc, 0, v24
	s_and_b64 exec, exec, vcc
	s_cbranch_execz .LBB324_905
; %bb.872:
	s_mov_b32 s2, 0x7f800000
	v_and_b32_e32 v0, 0x7f800000, v8
	v_cmp_ne_u32_e32 vcc, s2, v0
                                        ; implicit-def: $vgpr0
	s_and_saveexec_b64 s[2:3], vcc
	s_xor_b64 s[2:3], exec, s[2:3]
; %bb.873:
	v_bfe_u32 v0, v8, 16, 1
	s_movk_i32 s4, 0x7fff
	v_add3_u32 v0, v8, v0, s4
; %bb.874:
	s_andn2_saveexec_b64 s[2:3], s[2:3]
; %bb.875:
	v_mov_b32_e32 v0, 0
	v_or_b32_e32 v1, 0x10000, v8
	v_cmp_eq_u32_sdwa vcc, v8, v0 src0_sel:WORD_0 src1_sel:DWORD
	s_nop 1
	v_cndmask_b32_e32 v0, v1, v8, vcc
; %bb.876:
	s_or_b64 exec, exec, s[2:3]
	scratch_load_dwordx2 v[10:11], off, s32 offset:284 ; 8-byte Folded Reload
	v_cmp_ne_u16_e64 s[2:3], s15, 0
	s_cmp_lg_u64 s[2:3], 0
	s_addc_u32 s4, s13, 0
	s_mul_i32 s2, s10, s4
	s_mul_i32 s2, s2, s11
	s_lshl_b32 s2, s2, 8
	s_mul_i32 s4, s12, s4
	s_lshl_b32 s6, s14, 8
	s_ashr_i32 s3, s2, 31
	s_ashr_i32 s5, s4, 31
	;; [unrolled: 1-line block ×3, first 2 shown]
	s_lshl_b64 s[2:3], s[2:3], 1
	s_lshl_b64 s[4:5], s[4:5], 1
	;; [unrolled: 1-line block ×3, first 2 shown]
	s_add_u32 s4, s6, s4
	s_addc_u32 s5, s7, s5
	s_add_u32 s2, s4, s2
	s_addc_u32 s3, s5, s3
	v_and_b32_e32 v12, 0x3fe, v12
	v_mov_b32_e32 v13, 0
	s_waitcnt vmcnt(0)
	v_lshl_add_u64 v[10:11], s[2:3], 0, v[10:11]
	v_lshl_add_u64 v[10:11], v[10:11], 0, v[12:13]
	flat_store_short_d16_hi v[10:11], v0
	s_mov_b32 s2, 0x7f800000
	v_and_b32_e32 v0, 0x7f800000, v9
	v_cmp_ne_u32_e32 vcc, s2, v0
                                        ; implicit-def: $vgpr0
	s_and_saveexec_b64 s[2:3], vcc
	s_xor_b64 s[2:3], exec, s[2:3]
; %bb.877:
	v_bfe_u32 v0, v9, 16, 1
	s_movk_i32 s4, 0x7fff
	v_add3_u32 v0, v9, v0, s4
; %bb.878:
	s_andn2_saveexec_b64 s[2:3], s[2:3]
; %bb.879:
	v_mov_b32_e32 v0, 0
	v_or_b32_e32 v1, 0x10000, v9
	v_cmp_eq_u32_sdwa vcc, v9, v0 src0_sel:WORD_0 src1_sel:DWORD
	s_nop 1
	v_cndmask_b32_e32 v0, v1, v9, vcc
; %bb.880:
	s_or_b64 exec, exec, s[2:3]
	flat_store_short_d16_hi v[10:11], v0 offset:64
	s_mov_b32 s2, 0x7f800000
	v_and_b32_e32 v0, 0x7f800000, v4
	v_cmp_ne_u32_e32 vcc, s2, v0
                                        ; implicit-def: $vgpr0
	s_and_saveexec_b64 s[2:3], vcc
	s_xor_b64 s[2:3], exec, s[2:3]
; %bb.881:
	v_bfe_u32 v0, v4, 16, 1
	s_movk_i32 s4, 0x7fff
	v_add3_u32 v0, v4, v0, s4
; %bb.882:
	s_andn2_saveexec_b64 s[2:3], s[2:3]
; %bb.883:
	v_mov_b32_e32 v0, 0
	v_or_b32_e32 v1, 0x10000, v4
	v_cmp_eq_u32_sdwa vcc, v4, v0 src0_sel:WORD_0 src1_sel:DWORD
	s_nop 1
	v_cndmask_b32_e32 v0, v1, v4, vcc
; %bb.884:
	s_or_b64 exec, exec, s[2:3]
	flat_store_short_d16_hi v[10:11], v0 offset:128
	;; [unrolled: 21-line block ×6, first 2 shown]
	s_mov_b32 s2, 0x7f800000
	v_and_b32_e32 v0, 0x7f800000, v7
	v_cmp_ne_u32_e32 vcc, s2, v0
                                        ; implicit-def: $vgpr8
	s_and_saveexec_b64 s[2:3], vcc
	s_xor_b64 s[2:3], exec, s[2:3]
; %bb.901:
	v_bfe_u32 v0, v7, 16, 1
	s_movk_i32 s4, 0x7fff
	v_add3_u32 v8, v7, v0, s4
                                        ; implicit-def: $vgpr0_vgpr1_vgpr2_vgpr3_vgpr4_vgpr5_vgpr6_vgpr7
; %bb.902:
	s_andn2_saveexec_b64 s[2:3], s[2:3]
; %bb.903:
	v_mov_b32_e32 v0, 0
	v_or_b32_e32 v1, 0x10000, v7
	v_cmp_eq_u32_sdwa vcc, v7, v0 src0_sel:WORD_0 src1_sel:DWORD
	s_nop 1
	v_cndmask_b32_e32 v8, v1, v7, vcc
; %bb.904:
	s_or_b64 exec, exec, s[2:3]
	flat_store_short_d16_hi v[10:11], v8 offset:448
.LBB324_905:
	s_or_b64 exec, exec, s[0:1]
	scratch_load_dword a63, off, s32        ; 4-byte Folded Reload
	scratch_load_dword a62, off, s32 offset:4 ; 4-byte Folded Reload
	scratch_load_dword a61, off, s32 offset:8 ; 4-byte Folded Reload
	;; [unrolled: 1-line block ×47, first 2 shown]
	s_waitcnt vmcnt(0) lgkmcnt(0)
	s_setpc_b64 s[30:31]
.LBB324_906:
	s_ashr_i32 s17, s16, 31
	s_lshl_b64 s[6:7], s[16:17], 2
	s_getpc_b64 s[8:9]
	s_add_u32 s8, s8, llvm.amdgcn.dynlds.offset.table@rel32@lo+4
	s_addc_u32 s9, s9, llvm.amdgcn.dynlds.offset.table@rel32@hi+12
	s_add_u32 s6, s6, s8
	s_addc_u32 s7, s7, s9
	s_load_dword s6, s[6:7], 0x0
	s_waitcnt lgkmcnt(0)
	v_lshl_add_u32 v1, v0, 2, s6
	ds_read_b32 v1, v1
	s_waitcnt lgkmcnt(0)
	v_add_f32_e32 v8, v8, v1
	s_or_b64 exec, exec, s[4:5]
	s_and_saveexec_b64 s[4:5], s[0:1]
	s_cbranch_execz .LBB324_862
.LBB324_907:
	s_ashr_i32 s17, s16, 31
	s_lshl_b64 s[6:7], s[16:17], 2
	s_getpc_b64 s[8:9]
	s_add_u32 s8, s8, llvm.amdgcn.dynlds.offset.table@rel32@lo+4
	s_addc_u32 s9, s9, llvm.amdgcn.dynlds.offset.table@rel32@hi+12
	s_add_u32 s6, s6, s8
	s_addc_u32 s7, s7, s9
	s_load_dword s6, s[6:7], 0x0
	s_waitcnt lgkmcnt(0)
	v_lshl_add_u32 v1, v0, 2, s6
	ds_read_b32 v1, v1 offset:128
	s_waitcnt lgkmcnt(0)
	v_add_f32_e32 v9, v9, v1
	s_or_b64 exec, exec, s[4:5]
	s_and_saveexec_b64 s[4:5], s[0:1]
	s_cbranch_execz .LBB324_863
.LBB324_908:
	s_ashr_i32 s17, s16, 31
	s_lshl_b64 s[6:7], s[16:17], 2
	s_getpc_b64 s[8:9]
	s_add_u32 s8, s8, llvm.amdgcn.dynlds.offset.table@rel32@lo+4
	s_addc_u32 s9, s9, llvm.amdgcn.dynlds.offset.table@rel32@hi+12
	s_add_u32 s6, s6, s8
	s_addc_u32 s7, s7, s9
	s_load_dword s6, s[6:7], 0x0
	s_waitcnt lgkmcnt(0)
	v_lshl_add_u32 v1, v0, 2, s6
	ds_read_b32 v1, v1 offset:256
	s_waitcnt lgkmcnt(0)
	v_add_f32_e32 v4, v4, v1
	s_or_b64 exec, exec, s[4:5]
	s_and_saveexec_b64 s[4:5], s[0:1]
	s_cbranch_execz .LBB324_864
.LBB324_909:
	s_ashr_i32 s17, s16, 31
	s_lshl_b64 s[6:7], s[16:17], 2
	s_getpc_b64 s[8:9]
	s_add_u32 s8, s8, llvm.amdgcn.dynlds.offset.table@rel32@lo+4
	s_addc_u32 s9, s9, llvm.amdgcn.dynlds.offset.table@rel32@hi+12
	s_add_u32 s6, s6, s8
	s_addc_u32 s7, s7, s9
	s_load_dword s6, s[6:7], 0x0
	s_waitcnt lgkmcnt(0)
	v_lshl_add_u32 v1, v0, 2, s6
	ds_read_b32 v1, v1 offset:384
	s_waitcnt lgkmcnt(0)
	v_add_f32_e32 v5, v5, v1
	s_or_b64 exec, exec, s[4:5]
	s_and_saveexec_b64 s[4:5], s[0:1]
	s_cbranch_execz .LBB324_865
.LBB324_910:
	s_ashr_i32 s17, s16, 31
	s_lshl_b64 s[6:7], s[16:17], 2
	s_getpc_b64 s[8:9]
	s_add_u32 s8, s8, llvm.amdgcn.dynlds.offset.table@rel32@lo+4
	s_addc_u32 s9, s9, llvm.amdgcn.dynlds.offset.table@rel32@hi+12
	s_add_u32 s6, s6, s8
	s_addc_u32 s7, s7, s9
	s_load_dword s6, s[6:7], 0x0
	s_waitcnt lgkmcnt(0)
	v_lshl_add_u32 v1, v0, 2, s6
	ds_read_b32 v1, v1 offset:512
	s_waitcnt lgkmcnt(0)
	v_add_f32_e32 v2, v2, v1
	s_or_b64 exec, exec, s[4:5]
	s_and_saveexec_b64 s[4:5], s[0:1]
	s_cbranch_execz .LBB324_866
.LBB324_911:
	s_ashr_i32 s17, s16, 31
	s_lshl_b64 s[6:7], s[16:17], 2
	s_getpc_b64 s[8:9]
	s_add_u32 s8, s8, llvm.amdgcn.dynlds.offset.table@rel32@lo+4
	s_addc_u32 s9, s9, llvm.amdgcn.dynlds.offset.table@rel32@hi+12
	s_add_u32 s6, s6, s8
	s_addc_u32 s7, s7, s9
	s_load_dword s6, s[6:7], 0x0
	s_waitcnt lgkmcnt(0)
	v_lshl_add_u32 v1, v0, 2, s6
	ds_read_b32 v1, v1 offset:640
	s_waitcnt lgkmcnt(0)
	v_add_f32_e32 v3, v3, v1
	s_or_b64 exec, exec, s[4:5]
	s_and_saveexec_b64 s[4:5], s[0:1]
	s_cbranch_execz .LBB324_867
.LBB324_912:
	s_ashr_i32 s17, s16, 31
	s_lshl_b64 s[6:7], s[16:17], 2
	s_getpc_b64 s[8:9]
	s_add_u32 s8, s8, llvm.amdgcn.dynlds.offset.table@rel32@lo+4
	s_addc_u32 s9, s9, llvm.amdgcn.dynlds.offset.table@rel32@hi+12
	s_add_u32 s6, s6, s8
	s_addc_u32 s7, s7, s9
	s_load_dword s6, s[6:7], 0x0
	s_waitcnt lgkmcnt(0)
	v_lshl_add_u32 v1, v0, 2, s6
	ds_read_b32 v1, v1 offset:768
	s_waitcnt lgkmcnt(0)
	v_add_f32_e32 v6, v6, v1
	s_or_b64 exec, exec, s[4:5]
	s_and_saveexec_b64 s[4:5], s[0:1]
	s_cbranch_execnz .LBB324_868
	s_branch .LBB324_869
.Lfunc_end324:
	.size	_ZN4vllm22paged_attention_kernelI14__hip_bfloat16hLi256ELi16ELi128ELNS_18Fp8KVCacheDataTypeE1ELb0ELi0EEEvPfS3_PT_PKS4_PKT0_SA_ifPKiSC_iPKfiiiSE_SE_iiiii, .Lfunc_end324-_ZN4vllm22paged_attention_kernelI14__hip_bfloat16hLi256ELi16ELi128ELNS_18Fp8KVCacheDataTypeE1ELb0ELi0EEEvPfS3_PT_PKS4_PKT0_SA_ifPKiSC_iPKfiiiSE_SE_iiiii
                                        ; -- End function
	.section	.AMDGPU.csdata,"",@progbits
; Function info:
; codeLenInByte = 31236
; NumSgprs: 39
; NumVgprs: 64
; NumAgprs: 64
; TotalNumVgprs: 128
; ScratchSize: 348
; MemoryBound: 0
	.section	.text._ZN4vllm25paged_attention_v1_kernelI14__hip_bfloat16hLi256ELi16ELi128ELNS_18Fp8KVCacheDataTypeE1ELb0EEEvPT_PKS3_PKT0_S9_ifPKiSB_iPKfiiiSD_SD_iiiii,"axG",@progbits,_ZN4vllm25paged_attention_v1_kernelI14__hip_bfloat16hLi256ELi16ELi128ELNS_18Fp8KVCacheDataTypeE1ELb0EEEvPT_PKS3_PKT0_S9_ifPKiSB_iPKfiiiSD_SD_iiiii,comdat
	.protected	_ZN4vllm25paged_attention_v1_kernelI14__hip_bfloat16hLi256ELi16ELi128ELNS_18Fp8KVCacheDataTypeE1ELb0EEEvPT_PKS3_PKT0_S9_ifPKiSB_iPKfiiiSD_SD_iiiii ; -- Begin function _ZN4vllm25paged_attention_v1_kernelI14__hip_bfloat16hLi256ELi16ELi128ELNS_18Fp8KVCacheDataTypeE1ELb0EEEvPT_PKS3_PKT0_S9_ifPKiSB_iPKfiiiSD_SD_iiiii
	.globl	_ZN4vllm25paged_attention_v1_kernelI14__hip_bfloat16hLi256ELi16ELi128ELNS_18Fp8KVCacheDataTypeE1ELb0EEEvPT_PKS3_PKT0_S9_ifPKiSB_iPKfiiiSD_SD_iiiii
	.p2align	8
	.type	_ZN4vllm25paged_attention_v1_kernelI14__hip_bfloat16hLi256ELi16ELi128ELNS_18Fp8KVCacheDataTypeE1ELb0EEEvPT_PKS3_PKT0_S9_ifPKiSB_iPKfiiiSD_SD_iiiii,@function
_ZN4vllm25paged_attention_v1_kernelI14__hip_bfloat16hLi256ELi16ELi128ELNS_18Fp8KVCacheDataTypeE1ELb0EEEvPT_PKS3_PKT0_S9_ifPKiSB_iPKfiiiSD_SD_iiiii: ; @_ZN4vllm25paged_attention_v1_kernelI14__hip_bfloat16hLi256ELi16ELi128ELNS_18Fp8KVCacheDataTypeE1ELb0EEEvPT_PKS3_PKT0_S9_ifPKiSB_iPKfiiiSD_SD_iiiii
; %bb.0:
	s_load_dwordx8 s[16:23], s[0:1], 0x0
	s_load_dwordx4 s[36:39], s[0:1], 0x20
	s_load_dwordx2 s[6:7], s[0:1], 0x30
	s_load_dword s5, s[0:1], 0x38
	s_load_dwordx2 s[10:11], s[0:1], 0x40
	s_load_dwordx8 s[24:31], s[0:1], 0x48
	s_add_u32 s8, s0, 0x80
	s_addc_u32 s9, s1, 0
	s_mov_b32 s12, s2
	s_mov_b32 s13, s3
	;; [unrolled: 1-line block ×4, first 2 shown]
	v_mov_b32_e32 v31, v0
	s_waitcnt lgkmcnt(0)
	v_mov_b32_e32 v0, s16
	v_mov_b32_e32 v1, s17
	;; [unrolled: 1-line block ×24, first 2 shown]
	s_mov_b32 s32, 0
	s_getpc_b64 s[0:1]
	s_add_u32 s0, s0, _ZN4vllm22paged_attention_kernelI14__hip_bfloat16hLi256ELi16ELi128ELNS_18Fp8KVCacheDataTypeE1ELb0ELi0EEEvPfS3_PT_PKS4_PKT0_SA_ifPKiSC_iPKfiiiSE_SE_iiiii@rel32@lo+4
	s_addc_u32 s1, s1, _ZN4vllm22paged_attention_kernelI14__hip_bfloat16hLi256ELi16ELi128ELNS_18Fp8KVCacheDataTypeE1ELb0ELi0EEEvPfS3_PT_PKS4_PKT0_SA_ifPKiSC_iPKfiiiSE_SE_iiiii@rel32@hi+12
	s_swappc_b64 s[30:31], s[0:1]
	s_endpgm
	.section	.rodata,"a",@progbits
	.p2align	6, 0x0
	.amdhsa_kernel _ZN4vllm25paged_attention_v1_kernelI14__hip_bfloat16hLi256ELi16ELi128ELNS_18Fp8KVCacheDataTypeE1ELb0EEEvPT_PKS3_PKT0_S9_ifPKiSB_iPKfiiiSD_SD_iiiii
		.amdhsa_group_segment_fixed_size 528
		.amdhsa_private_segment_fixed_size 348
		.amdhsa_kernarg_size 384
		.amdhsa_user_sgpr_count 2
		.amdhsa_user_sgpr_dispatch_ptr 0
		.amdhsa_user_sgpr_queue_ptr 0
		.amdhsa_user_sgpr_kernarg_segment_ptr 1
		.amdhsa_user_sgpr_dispatch_id 0
		.amdhsa_user_sgpr_kernarg_preload_length 0
		.amdhsa_user_sgpr_kernarg_preload_offset 0
		.amdhsa_user_sgpr_private_segment_size 0
		.amdhsa_uses_dynamic_stack 0
		.amdhsa_enable_private_segment 1
		.amdhsa_system_sgpr_workgroup_id_x 1
		.amdhsa_system_sgpr_workgroup_id_y 1
		.amdhsa_system_sgpr_workgroup_id_z 1
		.amdhsa_system_sgpr_workgroup_info 0
		.amdhsa_system_vgpr_workitem_id 0
		.amdhsa_next_free_vgpr 128
		.amdhsa_next_free_sgpr 40
		.amdhsa_accum_offset 64
		.amdhsa_reserve_vcc 1
		.amdhsa_float_round_mode_32 0
		.amdhsa_float_round_mode_16_64 0
		.amdhsa_float_denorm_mode_32 3
		.amdhsa_float_denorm_mode_16_64 3
		.amdhsa_dx10_clamp 1
		.amdhsa_ieee_mode 1
		.amdhsa_fp16_overflow 0
		.amdhsa_tg_split 0
		.amdhsa_exception_fp_ieee_invalid_op 0
		.amdhsa_exception_fp_denorm_src 0
		.amdhsa_exception_fp_ieee_div_zero 0
		.amdhsa_exception_fp_ieee_overflow 0
		.amdhsa_exception_fp_ieee_underflow 0
		.amdhsa_exception_fp_ieee_inexact 0
		.amdhsa_exception_int_div_zero 0
	.end_amdhsa_kernel
	.section	.text._ZN4vllm25paged_attention_v1_kernelI14__hip_bfloat16hLi256ELi16ELi128ELNS_18Fp8KVCacheDataTypeE1ELb0EEEvPT_PKS3_PKT0_S9_ifPKiSB_iPKfiiiSD_SD_iiiii,"axG",@progbits,_ZN4vllm25paged_attention_v1_kernelI14__hip_bfloat16hLi256ELi16ELi128ELNS_18Fp8KVCacheDataTypeE1ELb0EEEvPT_PKS3_PKT0_S9_ifPKiSB_iPKfiiiSD_SD_iiiii,comdat
.Lfunc_end325:
	.size	_ZN4vllm25paged_attention_v1_kernelI14__hip_bfloat16hLi256ELi16ELi128ELNS_18Fp8KVCacheDataTypeE1ELb0EEEvPT_PKS3_PKT0_S9_ifPKiSB_iPKfiiiSD_SD_iiiii, .Lfunc_end325-_ZN4vllm25paged_attention_v1_kernelI14__hip_bfloat16hLi256ELi16ELi128ELNS_18Fp8KVCacheDataTypeE1ELb0EEEvPT_PKS3_PKT0_S9_ifPKiSB_iPKfiiiSD_SD_iiiii
                                        ; -- End function
	.section	.AMDGPU.csdata,"",@progbits
; Kernel info:
; codeLenInByte = 212
; NumSgprs: 46
; NumVgprs: 64
; NumAgprs: 64
; TotalNumVgprs: 128
; ScratchSize: 348
; MemoryBound: 0
; FloatMode: 240
; IeeeMode: 1
; LDSByteSize: 528 bytes/workgroup (compile time only)
; SGPRBlocks: 5
; VGPRBlocks: 15
; NumSGPRsForWavesPerEU: 46
; NumVGPRsForWavesPerEU: 128
; AccumOffset: 64
; Occupancy: 4
; WaveLimiterHint : 1
; COMPUTE_PGM_RSRC2:SCRATCH_EN: 1
; COMPUTE_PGM_RSRC2:USER_SGPR: 2
; COMPUTE_PGM_RSRC2:TRAP_HANDLER: 0
; COMPUTE_PGM_RSRC2:TGID_X_EN: 1
; COMPUTE_PGM_RSRC2:TGID_Y_EN: 1
; COMPUTE_PGM_RSRC2:TGID_Z_EN: 1
; COMPUTE_PGM_RSRC2:TIDIG_COMP_CNT: 0
; COMPUTE_PGM_RSRC3_GFX90A:ACCUM_OFFSET: 15
; COMPUTE_PGM_RSRC3_GFX90A:TG_SPLIT: 0
	.section	.text._ZN4vllm25paged_attention_v1_kernelI14__hip_bfloat16hLi32ELi32ELi128ELNS_18Fp8KVCacheDataTypeE1ELb1EEEvPT_PKS3_PKT0_S9_ifPKiSB_iPKfiiiSD_SD_iiiii,"axG",@progbits,_ZN4vllm25paged_attention_v1_kernelI14__hip_bfloat16hLi32ELi32ELi128ELNS_18Fp8KVCacheDataTypeE1ELb1EEEvPT_PKS3_PKT0_S9_ifPKiSB_iPKfiiiSD_SD_iiiii,comdat
	.protected	_ZN4vllm25paged_attention_v1_kernelI14__hip_bfloat16hLi32ELi32ELi128ELNS_18Fp8KVCacheDataTypeE1ELb1EEEvPT_PKS3_PKT0_S9_ifPKiSB_iPKfiiiSD_SD_iiiii ; -- Begin function _ZN4vllm25paged_attention_v1_kernelI14__hip_bfloat16hLi32ELi32ELi128ELNS_18Fp8KVCacheDataTypeE1ELb1EEEvPT_PKS3_PKT0_S9_ifPKiSB_iPKfiiiSD_SD_iiiii
	.globl	_ZN4vllm25paged_attention_v1_kernelI14__hip_bfloat16hLi32ELi32ELi128ELNS_18Fp8KVCacheDataTypeE1ELb1EEEvPT_PKS3_PKT0_S9_ifPKiSB_iPKfiiiSD_SD_iiiii
	.p2align	8
	.type	_ZN4vllm25paged_attention_v1_kernelI14__hip_bfloat16hLi32ELi32ELi128ELNS_18Fp8KVCacheDataTypeE1ELb1EEEvPT_PKS3_PKT0_S9_ifPKiSB_iPKfiiiSD_SD_iiiii,@function
_ZN4vllm25paged_attention_v1_kernelI14__hip_bfloat16hLi32ELi32ELi128ELNS_18Fp8KVCacheDataTypeE1ELb1EEEvPT_PKS3_PKT0_S9_ifPKiSB_iPKfiiiSD_SD_iiiii: ; @_ZN4vllm25paged_attention_v1_kernelI14__hip_bfloat16hLi32ELi32ELi128ELNS_18Fp8KVCacheDataTypeE1ELb1EEEvPT_PKS3_PKT0_S9_ifPKiSB_iPKfiiiSD_SD_iiiii
; %bb.0:
	s_load_dword s5, s[0:1], 0x80
	s_load_dwordx2 s[6:7], s[0:1], 0x30
	s_load_dwordx2 s[36:37], s[0:1], 0x20
	s_mov_b32 s10, s3
	s_ashr_i32 s11, s3, 31
	s_lshl_b64 s[8:9], s[10:11], 2
	s_waitcnt lgkmcnt(0)
	s_add_u32 s6, s6, s8
	s_addc_u32 s7, s7, s9
	s_abs_i32 s3, s36
	v_cvt_f32_u32_e32 v1, s3
	s_sub_i32 s11, 0, s3
	s_abs_i32 s9, s5
	s_xor_b32 s8, s5, s36
	v_rcp_iflag_f32_e32 v1, v1
	s_ashr_i32 s8, s8, 31
	s_mov_b32 s44, 0
	v_mul_f32_e32 v1, 0x4f7ffffe, v1
	v_cvt_u32_f32_e32 v1, v1
	s_nop 0
	v_readfirstlane_b32 s12, v1
	s_mul_i32 s11, s11, s12
	s_mul_hi_u32 s11, s12, s11
	s_add_i32 s12, s12, s11
	s_mul_hi_u32 s11, s9, s12
	s_mul_i32 s12, s11, s3
	s_sub_i32 s9, s9, s12
	s_add_i32 s12, s11, 1
	s_sub_i32 s13, s9, s3
	s_cmp_ge_u32 s9, s3
	s_cselect_b32 s11, s12, s11
	s_cselect_b32 s9, s13, s9
	s_add_i32 s12, s11, 1
	s_cmp_ge_u32 s9, s3
	s_cselect_b32 s3, s12, s11
	s_xor_b32 s3, s3, s8
	s_sub_i32 s14, s3, s8
	s_abs_i32 s11, s14
	v_cvt_f32_u32_e32 v1, s11
	s_load_dwordx2 s[8:9], s[0:1], 0x40
	s_sub_i32 s3, 0, s11
	s_abs_i32 s12, s2
	v_rcp_iflag_f32_e32 v1, v1
	s_nop 0
	v_mul_f32_e32 v1, 0x4f7ffffe, v1
	v_cvt_u32_f32_e32 v1, v1
	s_nop 0
	v_readfirstlane_b32 s13, v1
	s_mul_i32 s3, s3, s13
	s_mul_hi_u32 s3, s13, s3
	s_add_i32 s13, s13, s3
	s_waitcnt lgkmcnt(0)
	s_cmp_eq_u64 s[8:9], 0
	s_mul_hi_u32 s13, s12, s13
	s_cbranch_scc1 .LBB326_2
; %bb.1:
	s_ashr_i32 s3, s2, 31
	s_lshl_b64 s[16:17], s[2:3], 2
	s_add_u32 s8, s8, s16
	s_addc_u32 s9, s9, s17
	s_load_dword s44, s[8:9], 0x0
.LBB326_2:
	s_load_dword s33, s[6:7], 0x0
	s_load_dwordx4 s[16:19], s[0:1], 0x48
	s_ashr_i32 s8, s2, 31
	s_ashr_i32 s9, s14, 31
	v_and_b32_e32 v2, 1, v0
	s_lshl_b32 s24, s2, 5
	v_cmp_gt_u32_e32 vcc, 8, v0
	v_lshlrev_b32_e32 v24, 3, v0
	s_and_saveexec_b64 s[6:7], vcc
	s_cbranch_execz .LBB326_4
; %bb.3:
	s_load_dwordx2 s[14:15], s[0:1], 0x8
	s_waitcnt lgkmcnt(0)
	s_mul_i32 s20, s10, s16
	s_ashr_i32 s21, s20, 31
	s_lshl_b64 s[20:21], s[20:21], 1
	v_lshlrev_b32_e32 v1, 2, v0
	s_add_u32 s3, s14, s20
	s_addc_u32 s16, s15, s21
	s_ashr_i32 s25, s24, 31
	s_lshl_b64 s[14:15], s[24:25], 1
	s_add_u32 s14, s3, s14
	s_addc_u32 s15, s16, s15
	global_load_dwordx2 v[4:5], v24, s[14:15]
	v_and_b32_e32 v1, 0xff8, v1
	v_lshl_add_u32 v1, v2, 5, v1
	s_waitcnt vmcnt(0)
	ds_write_b64 v1, v[4:5]
.LBB326_4:
	s_or_b64 exec, exec, s[6:7]
	s_mul_i32 s7, s13, s11
	s_sub_i32 s7, s12, s7
	s_xor_b32 s6, s8, s9
	s_add_i32 s8, s13, 1
	s_sub_i32 s9, s7, s11
	s_load_dwordx4 s[20:23], s[0:1], 0x68
	s_load_dword s3, s[0:1], 0x78
	s_cmp_ge_u32 s7, s11
	s_cselect_b32 s8, s8, s13
	s_cselect_b32 s7, s9, s7
	s_add_i32 s9, s8, 1
	s_cmp_ge_u32 s7, s11
	s_cselect_b32 s7, s9, s8
	s_waitcnt lgkmcnt(0)
	s_abs_i32 s16, s23
	v_cvt_f32_u32_e32 v1, s16
	s_xor_b32 s7, s7, s6
	s_sub_i32 s43, s7, s6
	s_sub_i32 s6, 0, s16
	v_rcp_iflag_f32_e32 v1, v1
	s_add_i32 s11, s33, -1
	s_abs_i32 s8, s11
	v_mul_f32_e32 v1, 0x4f7ffffe, v1
	v_cvt_u32_f32_e32 v1, v1
	s_barrier
	v_readfirstlane_b32 s25, v1
	s_mul_i32 s6, s6, s25
	s_mul_hi_u32 s6, s25, s6
	s_add_i32 s25, s25, s6
	s_cmp_lt_i32 s3, 0
	s_mul_hi_u32 s9, s8, s25
	s_cbranch_scc0 .LBB326_6
; %bb.5:
	s_mul_i32 s6, s20, s36
	s_add_i32 s6, s43, s6
	s_mul_i32 s6, s6, s3
	s_sub_i32 s36, 1, s6
	s_mov_b64 s[6:7], 0
	s_branch .LBB326_7
.LBB326_6:
	s_mov_b64 s[6:7], -1
                                        ; implicit-def: $sgpr36
.LBB326_7:
	s_load_dwordx2 s[28:29], s[0:1], 0x28
	s_ashr_i32 s19, s11, 31
	s_andn2_b64 vcc, exec, s[6:7]
	s_ashr_i32 s23, s23, 31
	s_cbranch_vccnz .LBB326_9
; %bb.8:
	s_mul_i32 s6, s5, s20
	s_add_i32 s2, s6, s2
	s_mul_i32 s2, s2, s3
	s_add_i32 s36, s2, 1
.LBB326_9:
	s_load_dword s2, s[0:1], 0x38
	s_load_dwordx2 s[26:27], s[0:1], 0x0
	s_load_dwordx2 s[34:35], s[0:1], 0x18
	s_load_dword s11, s[0:1], 0x88
	s_load_dwordx4 s[12:15], s[0:1], 0x58
	s_mul_i32 s3, s9, s16
	s_waitcnt lgkmcnt(0)
	s_mul_i32 s30, s10, s2
	s_sub_i32 s3, s8, s3
	s_ashr_i32 s31, s30, 31
	s_xor_b32 s2, s19, s23
	s_add_i32 s6, s9, 1
	s_sub_i32 s7, s3, s16
	s_cmp_ge_u32 s3, s16
	s_cselect_b32 s6, s6, s9
	s_cselect_b32 s3, s7, s3
	s_add_i32 s7, s6, 1
	s_cmp_ge_u32 s3, s16
	s_cselect_b32 s3, s7, s6
	s_xor_b32 s3, s3, s2
	s_sub_i32 s42, s3, s2
	s_add_i32 s2, s33, 31
	s_ashr_i32 s3, s2, 31
	s_lshr_b32 s3, s3, 27
	s_add_i32 s2, s2, s3
	s_ashr_i32 s20, s2, 5
	v_lshrrev_b32_e32 v1, 6, v0
	v_cmp_gt_i32_e64 s[6:7], s20, v1
	v_mov_b32_e32 v22, 0xff7fffff
	s_mul_i32 s43, s43, s18
	v_lshrrev_b32_e32 v25, 4, v0
	v_lshlrev_b32_e32 v18, 5, v1
	v_mbcnt_lo_u32_b32 v19, -1, 0
	s_and_saveexec_b64 s[18:19], s[6:7]
	s_cbranch_execz .LBB326_83
; %bb.10:
	s_load_dwordx2 s[0:1], s[0:1], 0x10
	s_sub_i32 s45, s42, s21
	s_ashr_i32 s2, s43, 31
	v_bfe_u32 v20, v0, 1, 5
	v_mov_b32_e32 v11, 0
	s_waitcnt lgkmcnt(0)
	s_add_u32 s0, s0, s43
	s_addc_u32 s1, s1, s2
	s_abs_i32 s46, s22
	v_cvt_f32_u32_e32 v3, s46
	v_lshlrev_b32_e32 v10, 4, v20
	v_lshl_add_u64 v[12:13], s[0:1], 0, v[10:11]
	s_sub_i32 s0, 0, s46
	v_rcp_iflag_f32_e32 v3, v3
	v_cmp_eq_u32_e32 vcc, 0, v2
	v_lshlrev_b32_e32 v21, 5, v2
	v_lshlrev_b32_e32 v10, 2, v2
	v_mul_f32_e32 v3, 0x4f7ffffe, v3
	v_cvt_u32_f32_e32 v3, v3
	s_mov_b32 s47, s17
	v_cmp_neq_f32_e64 s[2:3], s44, 0
	v_lshlrev_b32_e32 v26, 5, v1
	v_mul_lo_u32 v2, s0, v3
	s_lshl_b64 s[0:1], s[30:31], 2
	v_mul_hi_u32 v2, v3, v2
	s_add_u32 s0, s28, s0
	v_add_u32_e32 v23, v3, v2
	v_and_b32_e32 v2, 60, v25
	v_mov_b32_e32 v3, v11
	s_addc_u32 s1, s29, s1
	v_lshl_add_u64 v[14:15], s[0:1], 0, v[2:3]
	v_lshlrev_b32_e32 v2, 2, v20
	v_lshl_or_b32 v2, v1, 7, v2
	v_add_u32_e32 v27, 0x50, v2
	v_subrev_u32_e32 v2, s33, v20
	v_add_u32_e32 v28, 1, v2
	s_mov_b64 s[38:39], 0
	v_mov_b32_e32 v29, 0xff7fffff
	s_mov_b32 s48, 0x7f800000
	s_movk_i32 s49, 0x7fff
	v_mbcnt_hi_u32_b32 v30, -1, v19
	v_mov_b32_e32 v22, 0xff7fffff
	v_mov_b32_e32 v31, v1
	s_branch .LBB326_13
.LBB326_11:                             ;   in Loop: Header=BB326_13 Depth=1
	s_or_b64 exec, exec, s[40:41]
.LBB326_12:                             ;   in Loop: Header=BB326_13 Depth=1
	s_or_b64 exec, exec, s[8:9]
	v_add_u32_e32 v31, 2, v31
	v_cmp_le_i32_e64 s[0:1], s20, v31
	v_lshl_add_u64 v[14:15], v[14:15], 0, 8
	v_add_u32_e32 v26, 64, v26
	s_or_b64 s[38:39], s[0:1], s[38:39]
	v_add_u32_e32 v27, 0x100, v27
	s_andn2_b64 exec, exec, s[38:39]
	s_cbranch_execz .LBB326_82
.LBB326_13:                             ; =>This Inner Loop Header: Depth=1
	v_mul_hi_u32 v2, v26, s25
	s_waitcnt lgkmcnt(0)
	v_mul_lo_u32 v3, v2, s16
	v_sub_u32_e32 v3, v26, v3
	v_add_u32_e32 v4, 1, v2
	v_cmp_le_u32_e64 s[0:1], s16, v3
	s_nop 1
	v_cndmask_b32_e64 v2, v2, v4, s[0:1]
	v_subrev_u32_e32 v4, s16, v3
	v_cndmask_b32_e64 v3, v3, v4, s[0:1]
	v_add_u32_e32 v4, 1, v2
	v_cmp_le_u32_e64 s[0:1], s16, v3
	s_nop 1
	v_cndmask_b32_e64 v2, v2, v4, s[0:1]
	v_xor_b32_e32 v2, s23, v2
	v_subrev_u32_e32 v2, s23, v2
	v_add_u32_e32 v3, s36, v2
	v_sub_u32_e32 v5, 0, v3
	v_ashrrev_i32_e32 v4, 31, v3
	v_max_i32_e32 v3, v3, v5
	v_mul_hi_u32 v5, v3, v23
	v_mul_lo_u32 v5, v5, s46
	v_sub_u32_e32 v3, v3, v5
	v_subrev_u32_e32 v5, s46, v3
	v_cmp_le_u32_e64 s[0:1], s46, v3
	v_cmp_ge_i32_e64 s[8:9], s45, v2
	s_nop 0
	v_cndmask_b32_e64 v3, v3, v5, s[0:1]
	v_subrev_u32_e32 v5, s46, v3
	v_cmp_le_u32_e64 s[0:1], s46, v3
	s_nop 1
	v_cndmask_b32_e64 v3, v3, v5, s[0:1]
	v_xor_b32_e32 v3, v3, v4
	v_sub_u32_e32 v3, v3, v4
	v_cmp_ne_u32_e64 s[0:1], 0, v3
	s_and_b64 s[0:1], s[0:1], s[8:9]
	s_and_b64 s[40:41], vcc, s[0:1]
	s_and_saveexec_b64 s[8:9], s[40:41]
	s_cbranch_execz .LBB326_15
; %bb.14:                               ;   in Loop: Header=BB326_13 Depth=1
	ds_write_b32 v27, v29
.LBB326_15:                             ;   in Loop: Header=BB326_13 Depth=1
	s_or_b64 exec, exec, s[8:9]
	s_xor_b64 s[0:1], s[0:1], -1
	s_and_saveexec_b64 s[8:9], s[0:1]
	s_cbranch_execz .LBB326_12
; %bb.16:                               ;   in Loop: Header=BB326_13 Depth=1
	global_load_dword v2, v[14:15], off
	s_load_dword s50, s[12:13], 0x0
	s_waitcnt vmcnt(0)
	v_mad_i64_i32 v[2:3], s[0:1], v2, s47, v[12:13]
	v_lshl_add_u64 v[16:17], v[2:3], 0, v[10:11]
	global_load_dword v35, v[16:17], off
	s_waitcnt vmcnt(0)
	v_and_b32_e32 v2, 0xff, v35
	v_cvt_f32_fp8_sdwa v32, v2 src0_sel:BYTE_0
	ds_read_b128 v[6:9], v21
	ds_read_b128 v[2:5], v21 offset:16
	s_waitcnt lgkmcnt(0)
	v_mul_f32_e32 v33, s50, v32
	v_and_b32_e32 v32, 0x7f800000, v33
	v_cmp_ne_u32_e64 s[0:1], s48, v32
                                        ; implicit-def: $vgpr32
	s_and_saveexec_b64 s[40:41], s[0:1]
	s_xor_b64 s[0:1], exec, s[40:41]
; %bb.17:                               ;   in Loop: Header=BB326_13 Depth=1
	v_bfe_u32 v32, v33, 16, 1
	v_add3_u32 v32, v33, v32, s49
                                        ; implicit-def: $vgpr33
; %bb.18:                               ;   in Loop: Header=BB326_13 Depth=1
	s_andn2_saveexec_b64 s[40:41], s[0:1]
; %bb.19:                               ;   in Loop: Header=BB326_13 Depth=1
	v_or_b32_e32 v32, 0x10000, v33
	v_cmp_eq_u32_sdwa s[0:1], v33, v11 src0_sel:WORD_0 src1_sel:DWORD
	s_nop 1
	v_cndmask_b32_e64 v32, v32, v33, s[0:1]
; %bb.20:                               ;   in Loop: Header=BB326_13 Depth=1
	s_or_b64 exec, exec, s[40:41]
	v_bfe_u32 v33, v35, 8, 8
	v_cvt_f32_fp8_sdwa v33, v33 src0_sel:BYTE_0
	s_nop 0
	v_mul_f32_e32 v34, s50, v33
	v_and_b32_e32 v33, 0x7f800000, v34
	v_cmp_ne_u32_e64 s[0:1], s48, v33
                                        ; implicit-def: $vgpr33
	s_and_saveexec_b64 s[40:41], s[0:1]
	s_xor_b64 s[0:1], exec, s[40:41]
; %bb.21:                               ;   in Loop: Header=BB326_13 Depth=1
	v_bfe_u32 v33, v34, 16, 1
	v_add3_u32 v33, v34, v33, s49
                                        ; implicit-def: $vgpr34
; %bb.22:                               ;   in Loop: Header=BB326_13 Depth=1
	s_andn2_saveexec_b64 s[40:41], s[0:1]
; %bb.23:                               ;   in Loop: Header=BB326_13 Depth=1
	v_or_b32_e32 v33, 0x10000, v34
	v_cmp_eq_u32_sdwa s[0:1], v34, v11 src0_sel:WORD_0 src1_sel:DWORD
	s_nop 1
	v_cndmask_b32_e64 v33, v33, v34, s[0:1]
; %bb.24:                               ;   in Loop: Header=BB326_13 Depth=1
	s_or_b64 exec, exec, s[40:41]
	v_bfe_u32 v34, v35, 16, 8
	v_cvt_f32_fp8_sdwa v34, v34 src0_sel:BYTE_0
	s_nop 0
	v_mul_f32_e32 v36, s50, v34
	v_and_b32_e32 v34, 0x7f800000, v36
	v_cmp_ne_u32_e64 s[0:1], s48, v34
                                        ; implicit-def: $vgpr34
	s_and_saveexec_b64 s[40:41], s[0:1]
	s_xor_b64 s[0:1], exec, s[40:41]
; %bb.25:                               ;   in Loop: Header=BB326_13 Depth=1
	v_bfe_u32 v34, v36, 16, 1
	v_add3_u32 v34, v36, v34, s49
                                        ; implicit-def: $vgpr36
; %bb.26:                               ;   in Loop: Header=BB326_13 Depth=1
	s_andn2_saveexec_b64 s[40:41], s[0:1]
; %bb.27:                               ;   in Loop: Header=BB326_13 Depth=1
	v_or_b32_e32 v34, 0x10000, v36
	v_cmp_eq_u32_sdwa s[0:1], v36, v11 src0_sel:WORD_0 src1_sel:DWORD
	s_nop 1
	v_cndmask_b32_e64 v34, v34, v36, s[0:1]
; %bb.28:                               ;   in Loop: Header=BB326_13 Depth=1
	s_or_b64 exec, exec, s[40:41]
	v_lshrrev_b32_e32 v35, 24, v35
	v_cvt_f32_fp8_sdwa v35, v35 src0_sel:BYTE_0
	s_nop 0
	v_mul_f32_e32 v36, s50, v35
	v_and_b32_e32 v35, 0x7f800000, v36
	v_cmp_ne_u32_e64 s[0:1], s48, v35
                                        ; implicit-def: $vgpr35
	s_and_saveexec_b64 s[40:41], s[0:1]
	s_xor_b64 s[0:1], exec, s[40:41]
; %bb.29:                               ;   in Loop: Header=BB326_13 Depth=1
	v_bfe_u32 v35, v36, 16, 1
	v_add3_u32 v35, v36, v35, s49
                                        ; implicit-def: $vgpr36
; %bb.30:                               ;   in Loop: Header=BB326_13 Depth=1
	s_andn2_saveexec_b64 s[40:41], s[0:1]
; %bb.31:                               ;   in Loop: Header=BB326_13 Depth=1
	v_or_b32_e32 v35, 0x10000, v36
	v_cmp_eq_u32_sdwa s[0:1], v36, v11 src0_sel:WORD_0 src1_sel:DWORD
	s_nop 1
	v_cndmask_b32_e64 v35, v35, v36, s[0:1]
; %bb.32:                               ;   in Loop: Header=BB326_13 Depth=1
	s_or_b64 exec, exec, s[40:41]
	global_load_dword v39, v[16:17], off offset:8
	s_waitcnt vmcnt(0)
	v_and_b32_e32 v36, 0xff, v39
	v_cvt_f32_fp8_sdwa v36, v36 src0_sel:BYTE_0
	s_nop 0
	v_mul_f32_e32 v37, s50, v36
	v_and_b32_e32 v36, 0x7f800000, v37
	v_cmp_ne_u32_e64 s[0:1], s48, v36
                                        ; implicit-def: $vgpr36
	s_and_saveexec_b64 s[40:41], s[0:1]
	s_xor_b64 s[0:1], exec, s[40:41]
; %bb.33:                               ;   in Loop: Header=BB326_13 Depth=1
	v_bfe_u32 v36, v37, 16, 1
	v_add3_u32 v36, v37, v36, s49
                                        ; implicit-def: $vgpr37
; %bb.34:                               ;   in Loop: Header=BB326_13 Depth=1
	s_andn2_saveexec_b64 s[40:41], s[0:1]
; %bb.35:                               ;   in Loop: Header=BB326_13 Depth=1
	v_or_b32_e32 v36, 0x10000, v37
	v_cmp_eq_u32_sdwa s[0:1], v37, v11 src0_sel:WORD_0 src1_sel:DWORD
	s_nop 1
	v_cndmask_b32_e64 v36, v36, v37, s[0:1]
; %bb.36:                               ;   in Loop: Header=BB326_13 Depth=1
	s_or_b64 exec, exec, s[40:41]
	v_bfe_u32 v37, v39, 8, 8
	v_cvt_f32_fp8_sdwa v37, v37 src0_sel:BYTE_0
	s_nop 0
	v_mul_f32_e32 v38, s50, v37
	v_and_b32_e32 v37, 0x7f800000, v38
	v_cmp_ne_u32_e64 s[0:1], s48, v37
                                        ; implicit-def: $vgpr37
	s_and_saveexec_b64 s[40:41], s[0:1]
	s_xor_b64 s[0:1], exec, s[40:41]
; %bb.37:                               ;   in Loop: Header=BB326_13 Depth=1
	v_bfe_u32 v37, v38, 16, 1
	v_add3_u32 v37, v38, v37, s49
                                        ; implicit-def: $vgpr38
; %bb.38:                               ;   in Loop: Header=BB326_13 Depth=1
	s_andn2_saveexec_b64 s[40:41], s[0:1]
; %bb.39:                               ;   in Loop: Header=BB326_13 Depth=1
	v_or_b32_e32 v37, 0x10000, v38
	v_cmp_eq_u32_sdwa s[0:1], v38, v11 src0_sel:WORD_0 src1_sel:DWORD
	s_nop 1
	v_cndmask_b32_e64 v37, v37, v38, s[0:1]
; %bb.40:                               ;   in Loop: Header=BB326_13 Depth=1
	s_or_b64 exec, exec, s[40:41]
	v_bfe_u32 v38, v39, 16, 8
	v_cvt_f32_fp8_sdwa v38, v38 src0_sel:BYTE_0
	s_nop 0
	v_mul_f32_e32 v40, s50, v38
	v_and_b32_e32 v38, 0x7f800000, v40
	v_cmp_ne_u32_e64 s[0:1], s48, v38
                                        ; implicit-def: $vgpr38
	s_and_saveexec_b64 s[40:41], s[0:1]
	s_xor_b64 s[0:1], exec, s[40:41]
; %bb.41:                               ;   in Loop: Header=BB326_13 Depth=1
	v_bfe_u32 v38, v40, 16, 1
	v_add3_u32 v38, v40, v38, s49
                                        ; implicit-def: $vgpr40
; %bb.42:                               ;   in Loop: Header=BB326_13 Depth=1
	s_andn2_saveexec_b64 s[40:41], s[0:1]
; %bb.43:                               ;   in Loop: Header=BB326_13 Depth=1
	v_or_b32_e32 v38, 0x10000, v40
	v_cmp_eq_u32_sdwa s[0:1], v40, v11 src0_sel:WORD_0 src1_sel:DWORD
	s_nop 1
	v_cndmask_b32_e64 v38, v38, v40, s[0:1]
; %bb.44:                               ;   in Loop: Header=BB326_13 Depth=1
	s_or_b64 exec, exec, s[40:41]
	v_lshrrev_b32_e32 v39, 24, v39
	v_cvt_f32_fp8_sdwa v39, v39 src0_sel:BYTE_0
	s_nop 0
	v_mul_f32_e32 v40, s50, v39
	v_and_b32_e32 v39, 0x7f800000, v40
	v_cmp_ne_u32_e64 s[0:1], s48, v39
                                        ; implicit-def: $vgpr39
	s_and_saveexec_b64 s[40:41], s[0:1]
	s_xor_b64 s[0:1], exec, s[40:41]
; %bb.45:                               ;   in Loop: Header=BB326_13 Depth=1
	v_bfe_u32 v39, v40, 16, 1
	v_add3_u32 v39, v40, v39, s49
                                        ; implicit-def: $vgpr40
; %bb.46:                               ;   in Loop: Header=BB326_13 Depth=1
	s_andn2_saveexec_b64 s[40:41], s[0:1]
; %bb.47:                               ;   in Loop: Header=BB326_13 Depth=1
	v_or_b32_e32 v39, 0x10000, v40
	v_cmp_eq_u32_sdwa s[0:1], v40, v11 src0_sel:WORD_0 src1_sel:DWORD
	s_nop 1
	v_cndmask_b32_e64 v39, v39, v40, s[0:1]
; %bb.48:                               ;   in Loop: Header=BB326_13 Depth=1
	s_or_b64 exec, exec, s[40:41]
	global_load_dword v43, v[16:17], off offset:512
	s_waitcnt vmcnt(0)
	v_and_b32_e32 v40, 0xff, v43
	v_cvt_f32_fp8_sdwa v40, v40 src0_sel:BYTE_0
	s_nop 0
	v_mul_f32_e32 v41, s50, v40
	v_and_b32_e32 v40, 0x7f800000, v41
	v_cmp_ne_u32_e64 s[0:1], s48, v40
                                        ; implicit-def: $vgpr40
	s_and_saveexec_b64 s[40:41], s[0:1]
	s_xor_b64 s[0:1], exec, s[40:41]
; %bb.49:                               ;   in Loop: Header=BB326_13 Depth=1
	v_bfe_u32 v40, v41, 16, 1
	v_add3_u32 v40, v41, v40, s49
                                        ; implicit-def: $vgpr41
; %bb.50:                               ;   in Loop: Header=BB326_13 Depth=1
	s_andn2_saveexec_b64 s[40:41], s[0:1]
; %bb.51:                               ;   in Loop: Header=BB326_13 Depth=1
	v_or_b32_e32 v40, 0x10000, v41
	v_cmp_eq_u32_sdwa s[0:1], v41, v11 src0_sel:WORD_0 src1_sel:DWORD
	s_nop 1
	v_cndmask_b32_e64 v40, v40, v41, s[0:1]
; %bb.52:                               ;   in Loop: Header=BB326_13 Depth=1
	s_or_b64 exec, exec, s[40:41]
	v_bfe_u32 v41, v43, 8, 8
	v_cvt_f32_fp8_sdwa v41, v41 src0_sel:BYTE_0
	s_nop 0
	v_mul_f32_e32 v42, s50, v41
	v_and_b32_e32 v41, 0x7f800000, v42
	v_cmp_ne_u32_e64 s[0:1], s48, v41
                                        ; implicit-def: $vgpr41
	s_and_saveexec_b64 s[40:41], s[0:1]
	s_xor_b64 s[0:1], exec, s[40:41]
; %bb.53:                               ;   in Loop: Header=BB326_13 Depth=1
	v_bfe_u32 v41, v42, 16, 1
	v_add3_u32 v41, v42, v41, s49
                                        ; implicit-def: $vgpr42
; %bb.54:                               ;   in Loop: Header=BB326_13 Depth=1
	s_andn2_saveexec_b64 s[40:41], s[0:1]
; %bb.55:                               ;   in Loop: Header=BB326_13 Depth=1
	v_or_b32_e32 v41, 0x10000, v42
	v_cmp_eq_u32_sdwa s[0:1], v42, v11 src0_sel:WORD_0 src1_sel:DWORD
	s_nop 1
	v_cndmask_b32_e64 v41, v41, v42, s[0:1]
; %bb.56:                               ;   in Loop: Header=BB326_13 Depth=1
	s_or_b64 exec, exec, s[40:41]
	v_bfe_u32 v42, v43, 16, 8
	v_cvt_f32_fp8_sdwa v42, v42 src0_sel:BYTE_0
	s_nop 0
	v_mul_f32_e32 v44, s50, v42
	v_and_b32_e32 v42, 0x7f800000, v44
	v_cmp_ne_u32_e64 s[0:1], s48, v42
                                        ; implicit-def: $vgpr42
	s_and_saveexec_b64 s[40:41], s[0:1]
	s_xor_b64 s[0:1], exec, s[40:41]
; %bb.57:                               ;   in Loop: Header=BB326_13 Depth=1
	v_bfe_u32 v42, v44, 16, 1
	v_add3_u32 v42, v44, v42, s49
                                        ; implicit-def: $vgpr44
; %bb.58:                               ;   in Loop: Header=BB326_13 Depth=1
	s_andn2_saveexec_b64 s[40:41], s[0:1]
; %bb.59:                               ;   in Loop: Header=BB326_13 Depth=1
	v_or_b32_e32 v42, 0x10000, v44
	v_cmp_eq_u32_sdwa s[0:1], v44, v11 src0_sel:WORD_0 src1_sel:DWORD
	s_nop 1
	v_cndmask_b32_e64 v42, v42, v44, s[0:1]
; %bb.60:                               ;   in Loop: Header=BB326_13 Depth=1
	s_or_b64 exec, exec, s[40:41]
	v_lshrrev_b32_e32 v43, 24, v43
	v_cvt_f32_fp8_sdwa v43, v43 src0_sel:BYTE_0
	s_nop 0
	v_mul_f32_e32 v44, s50, v43
	v_and_b32_e32 v43, 0x7f800000, v44
	v_cmp_ne_u32_e64 s[0:1], s48, v43
                                        ; implicit-def: $vgpr43
	s_and_saveexec_b64 s[40:41], s[0:1]
	s_xor_b64 s[0:1], exec, s[40:41]
; %bb.61:                               ;   in Loop: Header=BB326_13 Depth=1
	v_bfe_u32 v43, v44, 16, 1
	v_add3_u32 v43, v44, v43, s49
                                        ; implicit-def: $vgpr44
; %bb.62:                               ;   in Loop: Header=BB326_13 Depth=1
	s_andn2_saveexec_b64 s[40:41], s[0:1]
; %bb.63:                               ;   in Loop: Header=BB326_13 Depth=1
	v_or_b32_e32 v43, 0x10000, v44
	v_cmp_eq_u32_sdwa s[0:1], v44, v11 src0_sel:WORD_0 src1_sel:DWORD
	s_nop 1
	v_cndmask_b32_e64 v43, v43, v44, s[0:1]
; %bb.64:                               ;   in Loop: Header=BB326_13 Depth=1
	s_or_b64 exec, exec, s[40:41]
	global_load_dword v17, v[16:17], off offset:520
	s_waitcnt vmcnt(0)
	v_and_b32_e32 v16, 0xff, v17
	v_cvt_f32_fp8_sdwa v16, v16 src0_sel:BYTE_0
	s_nop 0
	v_mul_f32_e32 v44, s50, v16
	v_and_b32_e32 v16, 0x7f800000, v44
	v_cmp_ne_u32_e64 s[0:1], s48, v16
                                        ; implicit-def: $vgpr16
	s_and_saveexec_b64 s[40:41], s[0:1]
	s_xor_b64 s[0:1], exec, s[40:41]
; %bb.65:                               ;   in Loop: Header=BB326_13 Depth=1
	v_bfe_u32 v16, v44, 16, 1
	v_add3_u32 v16, v44, v16, s49
                                        ; implicit-def: $vgpr44
; %bb.66:                               ;   in Loop: Header=BB326_13 Depth=1
	s_andn2_saveexec_b64 s[40:41], s[0:1]
; %bb.67:                               ;   in Loop: Header=BB326_13 Depth=1
	v_or_b32_e32 v16, 0x10000, v44
	v_cmp_eq_u32_sdwa s[0:1], v44, v11 src0_sel:WORD_0 src1_sel:DWORD
	s_nop 1
	v_cndmask_b32_e64 v16, v16, v44, s[0:1]
; %bb.68:                               ;   in Loop: Header=BB326_13 Depth=1
	s_or_b64 exec, exec, s[40:41]
	v_bfe_u32 v44, v17, 8, 8
	v_cvt_f32_fp8_sdwa v44, v44 src0_sel:BYTE_0
	s_nop 0
	v_mul_f32_e32 v45, s50, v44
	v_and_b32_e32 v44, 0x7f800000, v45
	v_cmp_ne_u32_e64 s[0:1], s48, v44
                                        ; implicit-def: $vgpr44
	s_and_saveexec_b64 s[40:41], s[0:1]
	s_xor_b64 s[0:1], exec, s[40:41]
; %bb.69:                               ;   in Loop: Header=BB326_13 Depth=1
	v_bfe_u32 v44, v45, 16, 1
	v_add3_u32 v44, v45, v44, s49
                                        ; implicit-def: $vgpr45
; %bb.70:                               ;   in Loop: Header=BB326_13 Depth=1
	s_andn2_saveexec_b64 s[40:41], s[0:1]
; %bb.71:                               ;   in Loop: Header=BB326_13 Depth=1
	v_or_b32_e32 v44, 0x10000, v45
	v_cmp_eq_u32_sdwa s[0:1], v45, v11 src0_sel:WORD_0 src1_sel:DWORD
	s_nop 1
	v_cndmask_b32_e64 v44, v44, v45, s[0:1]
; %bb.72:                               ;   in Loop: Header=BB326_13 Depth=1
	s_or_b64 exec, exec, s[40:41]
	v_bfe_u32 v45, v17, 16, 8
	v_cvt_f32_fp8_sdwa v45, v45 src0_sel:BYTE_0
	s_nop 0
	v_mul_f32_e32 v46, s50, v45
	v_and_b32_e32 v45, 0x7f800000, v46
	v_cmp_ne_u32_e64 s[0:1], s48, v45
                                        ; implicit-def: $vgpr45
	s_and_saveexec_b64 s[40:41], s[0:1]
	s_xor_b64 s[0:1], exec, s[40:41]
; %bb.73:                               ;   in Loop: Header=BB326_13 Depth=1
	v_bfe_u32 v45, v46, 16, 1
	v_add3_u32 v45, v46, v45, s49
                                        ; implicit-def: $vgpr46
; %bb.74:                               ;   in Loop: Header=BB326_13 Depth=1
	s_andn2_saveexec_b64 s[40:41], s[0:1]
; %bb.75:                               ;   in Loop: Header=BB326_13 Depth=1
	v_or_b32_e32 v45, 0x10000, v46
	v_cmp_eq_u32_sdwa s[0:1], v46, v11 src0_sel:WORD_0 src1_sel:DWORD
	s_nop 1
	v_cndmask_b32_e64 v45, v45, v46, s[0:1]
; %bb.76:                               ;   in Loop: Header=BB326_13 Depth=1
	s_or_b64 exec, exec, s[40:41]
	v_lshrrev_b32_e32 v17, 24, v17
	v_cvt_f32_fp8_sdwa v17, v17 src0_sel:BYTE_0
	s_nop 0
	v_mul_f32_e32 v46, s50, v17
	v_and_b32_e32 v17, 0x7f800000, v46
	v_cmp_ne_u32_e64 s[0:1], s48, v17
                                        ; implicit-def: $vgpr17
	s_and_saveexec_b64 s[40:41], s[0:1]
	s_xor_b64 s[0:1], exec, s[40:41]
; %bb.77:                               ;   in Loop: Header=BB326_13 Depth=1
	v_bfe_u32 v17, v46, 16, 1
	v_add3_u32 v17, v46, v17, s49
                                        ; implicit-def: $vgpr46
; %bb.78:                               ;   in Loop: Header=BB326_13 Depth=1
	s_andn2_saveexec_b64 s[40:41], s[0:1]
; %bb.79:                               ;   in Loop: Header=BB326_13 Depth=1
	v_or_b32_e32 v17, 0x10000, v46
	v_cmp_eq_u32_sdwa s[0:1], v46, v11 src0_sel:WORD_0 src1_sel:DWORD
	s_nop 1
	v_cndmask_b32_e64 v17, v17, v46, s[0:1]
; %bb.80:                               ;   in Loop: Header=BB326_13 Depth=1
	s_or_b64 exec, exec, s[40:41]
	v_and_b32_e32 v37, 0xffff0000, v37
	v_and_b32_e32 v36, 0xffff0000, v36
	v_lshlrev_b32_e32 v48, 16, v8
	v_and_b32_e32 v8, 0xffff0000, v8
	v_and_b32_e32 v38, 0xffff0000, v38
	;; [unrolled: 1-line block ×4, first 2 shown]
	v_lshlrev_b32_e32 v46, 16, v6
	v_lshlrev_b32_e32 v49, 16, v9
	v_and_b32_e32 v6, 0xffff0000, v6
	v_mul_f32_e32 v36, v48, v36
	v_mul_f32_e32 v8, v8, v37
	v_and_b32_e32 v41, 0xffff0000, v41
	v_and_b32_e32 v40, 0xffff0000, v40
	;; [unrolled: 1-line block ×4, first 2 shown]
	v_lshlrev_b32_e32 v47, 16, v7
	v_lshlrev_b32_e32 v50, 16, v2
	v_and_b32_e32 v9, 0xffff0000, v9
	v_and_b32_e32 v2, 0xffff0000, v2
	v_fmac_f32_e32 v36, v46, v32
	v_fmac_f32_e32 v8, v6, v33
	v_mul_f32_e32 v6, v49, v38
	v_and_b32_e32 v44, 0xffff0000, v44
	v_and_b32_e32 v16, 0xffff0000, v16
	;; [unrolled: 1-line block ×4, first 2 shown]
	v_lshlrev_b32_e32 v51, 16, v3
	v_lshlrev_b32_e32 v52, 16, v4
	v_and_b32_e32 v55, 64, v30
	v_and_b32_e32 v7, 0xffff0000, v7
	;; [unrolled: 1-line block ×3, first 2 shown]
	v_fmac_f32_e32 v6, v47, v34
	v_mul_f32_e32 v9, v9, v39
	v_fmac_f32_e32 v36, v50, v40
	v_fmac_f32_e32 v8, v2, v41
	v_and_b32_e32 v43, 0xffff0000, v43
	v_lshlrev_b32_e32 v53, 16, v5
	v_xor_b32_e32 v54, 1, v30
	v_add_u32_e32 v55, 64, v55
	v_and_b32_e32 v45, 0xffff0000, v45
	v_and_b32_e32 v3, 0xffff0000, v3
	v_fmac_f32_e32 v9, v7, v35
	v_fmac_f32_e32 v6, v51, v42
	;; [unrolled: 1-line block ×4, first 2 shown]
	v_cmp_lt_i32_e64 s[0:1], v54, v55
	v_and_b32_e32 v17, 0xffff0000, v17
	v_and_b32_e32 v5, 0xffff0000, v5
	v_fmac_f32_e32 v9, v3, v43
	v_fmac_f32_e32 v6, v53, v45
	v_add_f32_e32 v2, v36, v8
	v_cndmask_b32_e64 v54, v30, v54, s[0:1]
	v_fmac_f32_e32 v9, v5, v17
	v_add_f32_e32 v2, v2, v6
	v_lshlrev_b32_e32 v54, 2, v54
	v_add_f32_e32 v2, v2, v9
	ds_bpermute_b32 v3, v54, v2
	s_and_saveexec_b64 s[40:41], vcc
	s_cbranch_execz .LBB326_11
; %bb.81:                               ;   in Loop: Header=BB326_13 Depth=1
	v_add_u32_e32 v4, v28, v26
	v_cvt_f32_i32_e32 v4, v4
	s_waitcnt lgkmcnt(0)
	v_add_f32_e32 v2, v2, v3
	v_add_u32_e32 v5, v20, v26
	v_cmp_gt_i32_e64 s[0:1], s33, v5
	v_mul_f32_e32 v3, s44, v4
	v_cndmask_b32_e64 v3, 0, v3, s[2:3]
	v_fmac_f32_e32 v3, s37, v2
	v_cndmask_b32_e64 v2, 0, v3, s[0:1]
	ds_write_b32 v27, v2
	v_max_f32_e32 v2, v22, v22
	v_max_f32_e32 v2, v2, v3
	v_cndmask_b32_e64 v22, v22, v2, s[0:1]
	s_branch .LBB326_11
.LBB326_82:
	s_or_b64 exec, exec, s[38:39]
.LBB326_83:
	s_or_b64 exec, exec, s[18:19]
	v_mbcnt_hi_u32_b32 v8, -1, v19
	v_and_b32_e32 v2, 64, v8
	v_add_u32_e32 v9, 64, v2
	v_xor_b32_e32 v2, 32, v8
	v_cmp_lt_i32_e32 vcc, v2, v9
	v_xor_b32_e32 v5, 16, v8
	v_max_f32_e32 v4, v22, v22
	v_cndmask_b32_e32 v2, v8, v2, vcc
	v_lshlrev_b32_e32 v2, 2, v2
	s_waitcnt lgkmcnt(0)
	ds_bpermute_b32 v3, v2, v22
	v_cmp_lt_i32_e32 vcc, v5, v9
	v_xor_b32_e32 v6, 8, v8
	v_xor_b32_e32 v7, 4, v8
	;; [unrolled: 1-line block ×3, first 2 shown]
	s_waitcnt lgkmcnt(0)
	v_max_f32_e32 v3, v3, v3
	v_max_f32_e32 v4, v4, v3
	v_cndmask_b32_e32 v3, v8, v5, vcc
	v_lshlrev_b32_e32 v3, 2, v3
	ds_bpermute_b32 v5, v3, v4
	v_cmp_lt_i32_e32 vcc, v6, v9
	v_and_b32_e32 v19, 63, v0
	s_waitcnt lgkmcnt(0)
	v_max_f32_e32 v5, v5, v5
	v_max_f32_e32 v5, v4, v5
	v_cndmask_b32_e32 v4, v8, v6, vcc
	v_lshlrev_b32_e32 v4, 2, v4
	ds_bpermute_b32 v6, v4, v5
	v_cmp_lt_i32_e32 vcc, v7, v9
	s_waitcnt lgkmcnt(0)
	v_max_f32_e32 v6, v6, v6
	v_max_f32_e32 v6, v5, v6
	v_cndmask_b32_e32 v5, v8, v7, vcc
	v_lshlrev_b32_e32 v5, 2, v5
	ds_bpermute_b32 v7, v5, v6
	v_cmp_lt_i32_e32 vcc, v10, v9
	s_waitcnt lgkmcnt(0)
	v_max_f32_e32 v7, v7, v7
	v_max_f32_e32 v7, v6, v7
	v_cndmask_b32_e32 v6, v8, v10, vcc
	v_lshlrev_b32_e32 v20, 2, v6
	ds_bpermute_b32 v10, v20, v7
	v_cmp_eq_u32_e32 vcc, 0, v19
	v_lshlrev_b32_e32 v6, 2, v1
	s_and_saveexec_b64 s[0:1], vcc
	s_cbranch_execz .LBB326_85
; %bb.84:
	s_waitcnt lgkmcnt(0)
	v_max_f32_e32 v10, v10, v10
	v_max_f32_e32 v7, v7, v7
	;; [unrolled: 1-line block ×3, first 2 shown]
	ds_write_b32 v6, v7 offset:64
.LBB326_85:
	s_or_b64 exec, exec, s[0:1]
	v_cmp_gt_u32_e64 s[0:1], 2, v19
	s_waitcnt lgkmcnt(0)
	v_mov_b32_e32 v10, 0xff7fffff
	v_lshlrev_b32_e32 v7, 2, v19
	s_barrier
	s_and_saveexec_b64 s[2:3], s[0:1]
	s_cbranch_execz .LBB326_87
; %bb.86:
	ds_read_b32 v10, v7 offset:64
.LBB326_87:
	s_or_b64 exec, exec, s[2:3]
	v_xor_b32_e32 v11, 1, v8
	v_cmp_lt_i32_e64 s[2:3], v11, v9
	s_nop 1
	v_cndmask_b32_e64 v9, v8, v11, s[2:3]
	v_lshlrev_b32_e32 v21, 2, v9
	s_waitcnt lgkmcnt(0)
	ds_bpermute_b32 v9, v21, v10
	v_max_f32_e32 v10, v10, v10
	v_lshlrev_b32_e32 v8, 2, v8
	v_and_b32_e32 v8, 0x100, v8
	s_lshl_b32 s2, s20, 5
	s_waitcnt lgkmcnt(0)
	v_max_f32_e32 v9, v9, v9
	v_max_f32_e32 v9, v10, v9
	ds_bpermute_b32 v10, v8, v9
	s_min_i32 s37, s2, s33
	v_cmp_gt_i32_e64 s[2:3], s37, v0
	v_mov_b32_e32 v9, 0
	s_and_saveexec_b64 s[12:13], s[2:3]
	s_cbranch_execz .LBB326_91
; %bb.88:
	v_mov_b32_e32 v9, 0x50
	v_lshl_add_u32 v11, v0, 2, v9
	s_mov_b64 s[18:19], 0
	v_mov_b32_e32 v9, 0
	v_mov_b32_e32 v12, v0
.LBB326_89:                             ; =>This Inner Loop Header: Depth=1
	ds_read_b32 v13, v11
	v_add_u32_e32 v12, 0x80, v12
	v_cmp_le_i32_e64 s[8:9], s37, v12
	s_or_b64 s[18:19], s[8:9], s[18:19]
	s_waitcnt lgkmcnt(0)
	v_sub_f32_e32 v13, v13, v10
	v_mul_f32_e32 v13, 0x3fb8aa3b, v13
	v_exp_f32_e32 v13, v13
	ds_write_b32 v11, v13
	v_add_f32_e32 v9, v9, v13
	v_add_u32_e32 v11, 0x200, v11
	s_andn2_b64 exec, exec, s[18:19]
	s_cbranch_execnz .LBB326_89
; %bb.90:
	s_or_b64 exec, exec, s[18:19]
.LBB326_91:
	s_or_b64 exec, exec, s[12:13]
	ds_bpermute_b32 v2, v2, v9
	s_waitcnt lgkmcnt(0)
	v_add_f32_e32 v2, v9, v2
	ds_bpermute_b32 v3, v3, v2
	s_waitcnt lgkmcnt(0)
	v_add_f32_e32 v2, v2, v3
	ds_bpermute_b32 v3, v4, v2
	s_waitcnt lgkmcnt(0)
	v_add_f32_e32 v2, v2, v3
	ds_bpermute_b32 v3, v5, v2
	s_waitcnt lgkmcnt(0)
	v_add_f32_e32 v2, v2, v3
	ds_bpermute_b32 v3, v20, v2
	s_waitcnt lgkmcnt(0)
	v_add_f32_e32 v2, v2, v3
	ds_bpermute_b32 v3, v21, v2
	s_waitcnt lgkmcnt(0)
	v_add_f32_e32 v2, v2, v3
	s_and_saveexec_b64 s[8:9], vcc
	s_cbranch_execz .LBB326_93
; %bb.92:
	ds_write_b32 v6, v2 offset:72
.LBB326_93:
	s_or_b64 exec, exec, s[8:9]
	s_waitcnt lgkmcnt(0)
	s_barrier
	s_and_saveexec_b64 s[8:9], s[0:1]
	s_cbranch_execz .LBB326_95
; %bb.94:
	ds_read_b32 v2, v7 offset:72
.LBB326_95:
	s_or_b64 exec, exec, s[8:9]
	s_waitcnt lgkmcnt(0)
	ds_bpermute_b32 v3, v21, v2
	s_waitcnt lgkmcnt(0)
	v_add_f32_e32 v2, v2, v3
	ds_bpermute_b32 v2, v8, v2
	s_and_saveexec_b64 s[0:1], s[2:3]
	s_cbranch_execz .LBB326_108
; %bb.96:
	s_waitcnt lgkmcnt(0)
	v_add_f32_e32 v2, 0x358637bd, v2
	v_div_scale_f32 v3, s[2:3], v2, v2, 1.0
	v_rcp_f32_e32 v4, v3
	v_div_scale_f32 v5, vcc, 1.0, v2, 1.0
	s_movk_i32 s2, 0x7f
	v_fma_f32 v6, -v3, v4, 1.0
	v_fmac_f32_e32 v4, v6, v4
	v_mul_f32_e32 v6, v5, v4
	v_fma_f32 v7, -v3, v6, v5
	v_fmac_f32_e32 v6, v7, v4
	v_fma_f32 v3, -v3, v6, v5
	v_div_fmas_f32 v3, v3, v4, v6
	v_xad_u32 v4, v0, -1, s37
	v_div_fixup_f32 v2, v3, v2, 1.0
	v_cmp_lt_u32_e32 vcc, s2, v4
	s_mov_b64 s[8:9], -1
	v_mov_b32_e32 v3, v0
	s_and_saveexec_b64 s[2:3], vcc
	s_cbranch_execz .LBB326_105
; %bb.97:
	v_lshrrev_b32_e32 v4, 7, v4
	v_add_u32_e32 v6, -1, v4
	v_lshrrev_b32_e32 v5, 1, v6
	v_mov_b32_e32 v3, v2
	v_add_u32_e32 v5, 1, v5
	v_cmp_lt_u32_e32 vcc, 13, v6
	v_mov_b32_e32 v8, 0
	s_and_saveexec_b64 s[8:9], vcc
	s_cbranch_execz .LBB326_101
; %bb.98:
	v_mov_b32_e32 v7, 0x50
	v_and_b32_e32 v6, -8, v5
	v_lshl_add_u32 v7, v0, 2, v7
	s_mov_b32 s18, 0
	s_mov_b64 s[12:13], 0
.LBB326_99:                             ; =>This Inner Loop Header: Depth=1
	ds_read2st64_b32 v[8:9], v7 offset1:2
	ds_read2st64_b32 v[10:11], v7 offset0:4 offset1:6
	ds_read2st64_b32 v[12:13], v7 offset0:8 offset1:10
	;; [unrolled: 1-line block ×3, first 2 shown]
	v_add_u32_e32 v6, -8, v6
	s_waitcnt lgkmcnt(3)
	v_pk_mul_f32 v[8:9], v[2:3], v[8:9]
	s_waitcnt lgkmcnt(2)
	v_pk_mul_f32 v[10:11], v[2:3], v[10:11]
	ds_write2st64_b32 v7, v8, v9 offset1:2
	ds_write2st64_b32 v7, v10, v11 offset0:4 offset1:6
	ds_read2st64_b32 v[10:11], v7 offset0:16 offset1:18
	s_waitcnt lgkmcnt(4)
	v_pk_mul_f32 v[8:9], v[2:3], v[12:13]
	ds_write2st64_b32 v7, v8, v9 offset0:8 offset1:10
	s_waitcnt lgkmcnt(4)
	v_pk_mul_f32 v[8:9], v[2:3], v[14:15]
	ds_write2st64_b32 v7, v8, v9 offset0:12 offset1:14
	ds_read2st64_b32 v[8:9], v7 offset0:20 offset1:22
	s_waitcnt lgkmcnt(3)
	v_pk_mul_f32 v[10:11], v[2:3], v[10:11]
	ds_read2st64_b32 v[12:13], v7 offset0:24 offset1:26
	ds_write2st64_b32 v7, v10, v11 offset0:16 offset1:18
	ds_read2st64_b32 v[10:11], v7 offset0:28 offset1:30
	s_waitcnt lgkmcnt(3)
	v_pk_mul_f32 v[8:9], v[2:3], v[8:9]
	ds_write2st64_b32 v7, v8, v9 offset0:20 offset1:22
	s_waitcnt lgkmcnt(3)
	v_pk_mul_f32 v[8:9], v[2:3], v[12:13]
	ds_write2st64_b32 v7, v8, v9 offset0:24 offset1:26
	s_waitcnt lgkmcnt(2)
	v_pk_mul_f32 v[8:9], v[2:3], v[10:11]
	s_add_i32 s18, s18, 16
	v_cmp_eq_u32_e32 vcc, 0, v6
	ds_write2st64_b32 v7, v8, v9 offset0:28 offset1:30
	v_add_u32_e32 v7, 0x2000, v7
	s_or_b64 s[12:13], vcc, s[12:13]
	v_mov_b32_e32 v8, s18
	s_andn2_b64 exec, exec, s[12:13]
	s_cbranch_execnz .LBB326_99
; %bb.100:
	s_or_b64 exec, exec, s[12:13]
.LBB326_101:
	s_or_b64 exec, exec, s[8:9]
	v_and_b32_e32 v5, 7, v5
	v_cmp_ne_u32_e32 vcc, 0, v5
	s_and_saveexec_b64 s[8:9], vcc
	s_cbranch_execz .LBB326_104
; %bb.102:
	v_lshlrev_b32_e32 v6, 9, v8
	v_lshlrev_b32_e32 v7, 2, v0
	s_movk_i32 s12, 0x50
	v_add3_u32 v6, v6, v7, s12
	s_mov_b64 s[12:13], 0
.LBB326_103:                            ; =>This Inner Loop Header: Depth=1
	ds_read2st64_b32 v[8:9], v6 offset1:2
	v_add_u32_e32 v5, -1, v5
	v_cmp_eq_u32_e32 vcc, 0, v5
	s_or_b64 s[12:13], vcc, s[12:13]
	s_waitcnt lgkmcnt(0)
	v_pk_mul_f32 v[8:9], v[2:3], v[8:9]
	ds_write2st64_b32 v6, v8, v9 offset1:2
	v_add_u32_e32 v6, 0x400, v6
	s_andn2_b64 exec, exec, s[12:13]
	s_cbranch_execnz .LBB326_103
.LBB326_104:
	s_or_b64 exec, exec, s[8:9]
	v_add_u32_e32 v4, 1, v4
	v_and_b32_e32 v5, 0x3fffffe, v4
	v_cmp_ne_u32_e32 vcc, v4, v5
	v_lshl_add_u32 v3, v5, 7, v0
	s_orn2_b64 s[8:9], vcc, exec
.LBB326_105:
	s_or_b64 exec, exec, s[2:3]
	s_and_b64 exec, exec, s[8:9]
	s_cbranch_execz .LBB326_108
; %bb.106:
	v_mov_b32_e32 v4, 0x50
	v_lshl_add_u32 v4, v3, 2, v4
	s_mov_b64 s[2:3], 0
.LBB326_107:                            ; =>This Inner Loop Header: Depth=1
	ds_read_b32 v5, v4
	v_add_u32_e32 v3, 0x80, v3
	v_cmp_le_i32_e32 vcc, s37, v3
	s_or_b64 s[2:3], vcc, s[2:3]
	s_waitcnt lgkmcnt(0)
	v_mul_f32_e32 v5, v2, v5
	ds_write_b32 v4, v5
	v_add_u32_e32 v4, 0x200, v4
	s_andn2_b64 exec, exec, s[2:3]
	s_cbranch_execnz .LBB326_107
.LBB326_108:
	s_or_b64 exec, exec, s[0:1]
	v_mov_b32_e32 v15, 0
	v_and_b32_e32 v22, 3, v0
	v_mov_b32_e32 v14, v15
	s_waitcnt lgkmcnt(0)
	s_barrier
	s_and_saveexec_b64 s[2:3], s[6:7]
	s_cbranch_execz .LBB326_278
; %bb.109:
	s_sub_i32 s18, s42, s21
	s_ashr_i32 s1, s43, 31
	s_add_u32 s0, s34, s43
	s_addc_u32 s1, s35, s1
	s_abs_i32 s19, s22
	v_cvt_f32_u32_e32 v2, s19
	s_sub_i32 s6, 0, s19
	v_and_b32_e32 v10, 0x1f8, v24
	v_mov_b32_e32 v11, 0
	v_rcp_iflag_f32_e32 v2, v2
	s_add_i32 s21, s20, -1
	v_lshl_add_u64 v[12:13], s[0:1], 0, v[10:11]
	s_lshl_b64 s[0:1], s[30:31], 2
	v_mul_f32_e32 v2, 0x4f7ffffe, v2
	v_cvt_u32_f32_e32 v2, v2
	v_and_b32_e32 v23, 24, v24
	s_add_u32 s0, s28, s0
	v_and_b32_e32 v10, 60, v25
	v_mul_lo_u32 v3, s6, v2
	v_mul_hi_u32 v3, v2, v3
	v_add_u32_e32 v24, v2, v3
	v_lshlrev_b32_e32 v2, 5, v22
	s_addc_u32 s1, s29, s1
	v_lshl_or_b32 v2, v1, 7, v2
	v_lshl_add_u64 v[16:17], s[0:1], 0, v[10:11]
	v_add_u32_e32 v10, 0x50, v2
	s_mov_b64 s[6:7], 0
	s_mov_b32 s22, 0x7f800000
	s_movk_i32 s28, 0x7fff
	v_mov_b32_e32 v14, 0
	v_mov_b32_e32 v15, v11
	s_branch .LBB326_112
.LBB326_110:                            ;   in Loop: Header=BB326_112 Depth=1
	s_or_b64 exec, exec, s[0:1]
	v_and_b32_e32 v33, 0xffff0000, v34
	v_and_b32_e32 v35, 0xffff0000, v7
	;; [unrolled: 1-line block ×5, first 2 shown]
	v_pk_add_f32 v[4:5], v[4:5], v[34:35]
	v_and_b32_e32 v32, 0xffff0000, v9
	v_and_b32_e32 v9, 0xffff0000, v25
	;; [unrolled: 1-line block ×3, first 2 shown]
	v_mov_b32_e32 v6, v5
	v_pk_add_f32 v[4:5], v[4:5], v[6:7]
	v_pk_add_f32 v[6:7], v[8:9], v[32:33]
	v_and_b32_e32 v8, 0xffff0000, v29
	v_pk_add_f32 v[4:5], v[4:5], v[6:7]
	v_mov_b32_e32 v6, v7
	v_pk_add_f32 v[4:5], v[4:5], v[6:7]
	v_and_b32_e32 v7, 0xffff0000, v3
	v_and_b32_e32 v29, 0xffff0000, v28
	;; [unrolled: 1-line block ×5, first 2 shown]
	v_pk_add_f32 v[2:3], v[2:3], v[28:29]
	v_and_b32_e32 v6, 0xffff0000, v30
	v_and_b32_e32 v9, 0xffff0000, v31
	v_mov_b32_e32 v26, v3
	v_pk_add_f32 v[2:3], v[2:3], v[26:27]
	v_pk_add_f32 v[6:7], v[8:9], v[6:7]
	;; [unrolled: 1-line block ×4, first 2 shown]
	v_mov_b32_e32 v6, v7
	v_pk_add_f32 v[2:3], v[2:3], v[6:7]
	s_nop 0
	v_mov_b32_e32 v3, v2
	v_pk_add_f32 v[2:3], v[14:15], v[2:3]
	s_nop 0
	v_mov_b32_e32 v5, v3
	v_mov_b64_e32 v[14:15], v[4:5]
.LBB326_111:                            ;   in Loop: Header=BB326_112 Depth=1
	s_or_b64 exec, exec, s[8:9]
	v_add_u32_e32 v1, 2, v1
	v_cmp_le_i32_e32 vcc, s20, v1
	v_lshl_add_u64 v[16:17], v[16:17], 0, 8
	v_add_u32_e32 v18, 64, v18
	s_or_b64 s[6:7], vcc, s[6:7]
	v_add_u32_e32 v10, 0x100, v10
	s_andn2_b64 exec, exec, s[6:7]
	s_cbranch_execz .LBB326_277
.LBB326_112:                            ; =>This Inner Loop Header: Depth=1
	v_mul_hi_u32 v2, v18, s25
	v_mul_lo_u32 v3, v2, s16
	v_sub_u32_e32 v3, v18, v3
	v_add_u32_e32 v4, 1, v2
	v_cmp_le_u32_e32 vcc, s16, v3
	s_nop 1
	v_cndmask_b32_e32 v2, v2, v4, vcc
	v_subrev_u32_e32 v4, s16, v3
	v_cndmask_b32_e32 v3, v3, v4, vcc
	v_add_u32_e32 v4, 1, v2
	v_cmp_le_u32_e32 vcc, s16, v3
	s_nop 1
	v_cndmask_b32_e32 v2, v2, v4, vcc
	v_xor_b32_e32 v2, s23, v2
	v_subrev_u32_e32 v2, s23, v2
	v_add_u32_e32 v3, s36, v2
	v_sub_u32_e32 v5, 0, v3
	v_ashrrev_i32_e32 v4, 31, v3
	v_max_i32_e32 v3, v3, v5
	v_mul_hi_u32 v5, v3, v24
	v_mul_lo_u32 v5, v5, s19
	v_sub_u32_e32 v3, v3, v5
	v_subrev_u32_e32 v5, s19, v3
	v_cmp_le_u32_e32 vcc, s19, v3
	v_cmp_lt_i32_e64 s[0:1], s18, v2
	s_nop 0
	v_cndmask_b32_e32 v3, v3, v5, vcc
	v_subrev_u32_e32 v5, s19, v3
	v_cmp_le_u32_e32 vcc, s19, v3
	s_nop 1
	v_cndmask_b32_e32 v3, v3, v5, vcc
	v_xor_b32_e32 v3, v3, v4
	v_sub_u32_e32 v3, v3, v4
	v_cmp_eq_u32_e32 vcc, 0, v3
	s_or_b64 s[0:1], vcc, s[0:1]
	s_and_saveexec_b64 s[8:9], s[0:1]
	s_cbranch_execz .LBB326_111
; %bb.113:                              ;   in Loop: Header=BB326_112 Depth=1
	global_load_dword v26, v[16:17], off
	ds_read2_b64 v[6:9], v10 offset1:1
	ds_read2_b64 v[2:5], v10 offset0:2 offset1:3
                                        ; implicit-def: $vgpr35
	s_waitcnt lgkmcnt(1)
	v_and_b32_e32 v25, 0x7f800000, v6
	v_cmp_ne_u32_e32 vcc, s22, v25
	s_and_saveexec_b64 s[0:1], vcc
	s_xor_b64 s[0:1], exec, s[0:1]
; %bb.114:                              ;   in Loop: Header=BB326_112 Depth=1
	v_bfe_u32 v25, v6, 16, 1
	v_add3_u32 v35, v6, v25, s28
; %bb.115:                              ;   in Loop: Header=BB326_112 Depth=1
	s_andn2_saveexec_b64 s[0:1], s[0:1]
; %bb.116:                              ;   in Loop: Header=BB326_112 Depth=1
	v_or_b32_e32 v25, 0x10000, v6
	v_cmp_eq_u32_sdwa vcc, v6, v11 src0_sel:WORD_0 src1_sel:DWORD
	s_nop 1
	v_cndmask_b32_e32 v35, v25, v6, vcc
; %bb.117:                              ;   in Loop: Header=BB326_112 Depth=1
	s_or_b64 exec, exec, s[0:1]
	v_and_b32_e32 v6, 0x7f800000, v7
	v_cmp_ne_u32_e32 vcc, s22, v6
                                        ; implicit-def: $vgpr36
	s_and_saveexec_b64 s[0:1], vcc
	s_xor_b64 s[0:1], exec, s[0:1]
; %bb.118:                              ;   in Loop: Header=BB326_112 Depth=1
	v_bfe_u32 v6, v7, 16, 1
	v_add3_u32 v36, v7, v6, s28
; %bb.119:                              ;   in Loop: Header=BB326_112 Depth=1
	s_andn2_saveexec_b64 s[0:1], s[0:1]
; %bb.120:                              ;   in Loop: Header=BB326_112 Depth=1
	v_or_b32_e32 v6, 0x10000, v7
	v_cmp_eq_u32_sdwa vcc, v7, v11 src0_sel:WORD_0 src1_sel:DWORD
	s_nop 1
	v_cndmask_b32_e32 v36, v6, v7, vcc
; %bb.121:                              ;   in Loop: Header=BB326_112 Depth=1
	s_or_b64 exec, exec, s[0:1]
	v_and_b32_e32 v6, 0x7f800000, v8
	v_cmp_ne_u32_e32 vcc, s22, v6
                                        ; implicit-def: $vgpr37
	s_and_saveexec_b64 s[0:1], vcc
	s_xor_b64 s[0:1], exec, s[0:1]
; %bb.122:                              ;   in Loop: Header=BB326_112 Depth=1
	v_bfe_u32 v6, v8, 16, 1
	v_add3_u32 v37, v8, v6, s28
; %bb.123:                              ;   in Loop: Header=BB326_112 Depth=1
	s_andn2_saveexec_b64 s[0:1], s[0:1]
; %bb.124:                              ;   in Loop: Header=BB326_112 Depth=1
	v_or_b32_e32 v6, 0x10000, v8
	v_cmp_eq_u32_sdwa vcc, v8, v11 src0_sel:WORD_0 src1_sel:DWORD
	s_nop 1
	v_cndmask_b32_e32 v37, v6, v8, vcc
; %bb.125:                              ;   in Loop: Header=BB326_112 Depth=1
	s_or_b64 exec, exec, s[0:1]
	v_and_b32_e32 v6, 0x7f800000, v9
	v_cmp_ne_u32_e32 vcc, s22, v6
                                        ; implicit-def: $vgpr38
	s_and_saveexec_b64 s[0:1], vcc
	s_xor_b64 s[0:1], exec, s[0:1]
; %bb.126:                              ;   in Loop: Header=BB326_112 Depth=1
	v_bfe_u32 v6, v9, 16, 1
	v_add3_u32 v38, v9, v6, s28
                                        ; implicit-def: $vgpr6_vgpr7_vgpr8_vgpr9
; %bb.127:                              ;   in Loop: Header=BB326_112 Depth=1
	s_andn2_saveexec_b64 s[0:1], s[0:1]
; %bb.128:                              ;   in Loop: Header=BB326_112 Depth=1
	v_or_b32_e32 v6, 0x10000, v9
	v_cmp_eq_u32_sdwa vcc, v9, v11 src0_sel:WORD_0 src1_sel:DWORD
	s_nop 1
	v_cndmask_b32_e32 v38, v6, v9, vcc
; %bb.129:                              ;   in Loop: Header=BB326_112 Depth=1
	s_or_b64 exec, exec, s[0:1]
	s_waitcnt lgkmcnt(0)
	v_and_b32_e32 v6, 0x7f800000, v2
	v_cmp_ne_u32_e32 vcc, s22, v6
                                        ; implicit-def: $vgpr8
	s_and_saveexec_b64 s[0:1], vcc
	s_xor_b64 s[0:1], exec, s[0:1]
; %bb.130:                              ;   in Loop: Header=BB326_112 Depth=1
	v_bfe_u32 v6, v2, 16, 1
	v_add3_u32 v8, v2, v6, s28
; %bb.131:                              ;   in Loop: Header=BB326_112 Depth=1
	s_andn2_saveexec_b64 s[0:1], s[0:1]
; %bb.132:                              ;   in Loop: Header=BB326_112 Depth=1
	v_or_b32_e32 v6, 0x10000, v2
	v_cmp_eq_u32_sdwa vcc, v2, v11 src0_sel:WORD_0 src1_sel:DWORD
	s_nop 1
	v_cndmask_b32_e32 v8, v6, v2, vcc
; %bb.133:                              ;   in Loop: Header=BB326_112 Depth=1
	s_or_b64 exec, exec, s[0:1]
	v_and_b32_e32 v2, 0x7f800000, v3
	v_cmp_ne_u32_e32 vcc, s22, v2
                                        ; implicit-def: $vgpr9
	s_and_saveexec_b64 s[0:1], vcc
	s_xor_b64 s[0:1], exec, s[0:1]
; %bb.134:                              ;   in Loop: Header=BB326_112 Depth=1
	v_bfe_u32 v2, v3, 16, 1
	v_add3_u32 v9, v3, v2, s28
; %bb.135:                              ;   in Loop: Header=BB326_112 Depth=1
	s_andn2_saveexec_b64 s[0:1], s[0:1]
; %bb.136:                              ;   in Loop: Header=BB326_112 Depth=1
	v_or_b32_e32 v2, 0x10000, v3
	v_cmp_eq_u32_sdwa vcc, v3, v11 src0_sel:WORD_0 src1_sel:DWORD
	s_nop 1
	v_cndmask_b32_e32 v9, v2, v3, vcc
; %bb.137:                              ;   in Loop: Header=BB326_112 Depth=1
	s_or_b64 exec, exec, s[0:1]
	v_and_b32_e32 v2, 0x7f800000, v4
	v_cmp_ne_u32_e32 vcc, s22, v2
                                        ; implicit-def: $vgpr25
	s_and_saveexec_b64 s[0:1], vcc
	s_xor_b64 s[0:1], exec, s[0:1]
; %bb.138:                              ;   in Loop: Header=BB326_112 Depth=1
	v_bfe_u32 v2, v4, 16, 1
	v_add3_u32 v25, v4, v2, s28
; %bb.139:                              ;   in Loop: Header=BB326_112 Depth=1
	s_andn2_saveexec_b64 s[0:1], s[0:1]
; %bb.140:                              ;   in Loop: Header=BB326_112 Depth=1
	v_or_b32_e32 v2, 0x10000, v4
	v_cmp_eq_u32_sdwa vcc, v4, v11 src0_sel:WORD_0 src1_sel:DWORD
	s_nop 1
	v_cndmask_b32_e32 v25, v2, v4, vcc
; %bb.141:                              ;   in Loop: Header=BB326_112 Depth=1
	s_or_b64 exec, exec, s[0:1]
	v_and_b32_e32 v2, 0x7f800000, v5
	v_cmp_ne_u32_e32 vcc, s22, v2
                                        ; implicit-def: $vgpr34
	s_and_saveexec_b64 s[0:1], vcc
	s_xor_b64 s[0:1], exec, s[0:1]
; %bb.142:                              ;   in Loop: Header=BB326_112 Depth=1
	v_bfe_u32 v2, v5, 16, 1
	v_add3_u32 v34, v5, v2, s28
                                        ; implicit-def: $vgpr2_vgpr3_vgpr4_vgpr5
; %bb.143:                              ;   in Loop: Header=BB326_112 Depth=1
	s_andn2_saveexec_b64 s[0:1], s[0:1]
; %bb.144:                              ;   in Loop: Header=BB326_112 Depth=1
	v_or_b32_e32 v2, 0x10000, v5
	v_cmp_eq_u32_sdwa vcc, v5, v11 src0_sel:WORD_0 src1_sel:DWORD
	s_nop 1
	v_cndmask_b32_e32 v34, v2, v5, vcc
; %bb.145:                              ;   in Loop: Header=BB326_112 Depth=1
	s_or_b64 exec, exec, s[0:1]
	s_waitcnt vmcnt(0)
	v_mad_i64_i32 v[2:3], s[0:1], v26, s17, v[12:13]
	global_load_dwordx2 v[4:5], v[2:3], off
	s_load_dword s29, s[14:15], 0x0
	s_waitcnt vmcnt(0)
	v_and_b32_e32 v6, 0xff, v4
	v_cvt_f32_fp8_sdwa v6, v6 src0_sel:BYTE_0
	s_waitcnt lgkmcnt(0)
	v_mul_f32_e32 v7, s29, v6
	v_and_b32_e32 v6, 0x7f800000, v7
	v_cmp_ne_u32_e32 vcc, s22, v6
                                        ; implicit-def: $vgpr6
	s_and_saveexec_b64 s[0:1], vcc
	s_xor_b64 s[0:1], exec, s[0:1]
; %bb.146:                              ;   in Loop: Header=BB326_112 Depth=1
	v_bfe_u32 v6, v7, 16, 1
	v_add3_u32 v6, v7, v6, s28
                                        ; implicit-def: $vgpr7
; %bb.147:                              ;   in Loop: Header=BB326_112 Depth=1
	s_andn2_saveexec_b64 s[0:1], s[0:1]
; %bb.148:                              ;   in Loop: Header=BB326_112 Depth=1
	v_or_b32_e32 v6, 0x10000, v7
	v_cmp_eq_u32_sdwa vcc, v7, v11 src0_sel:WORD_0 src1_sel:DWORD
	s_nop 1
	v_cndmask_b32_e32 v6, v6, v7, vcc
; %bb.149:                              ;   in Loop: Header=BB326_112 Depth=1
	s_or_b64 exec, exec, s[0:1]
	v_bfe_u32 v7, v4, 8, 8
	v_cvt_f32_fp8_sdwa v7, v7 src0_sel:BYTE_0
	s_nop 0
	v_mul_f32_e32 v26, s29, v7
	v_and_b32_e32 v7, 0x7f800000, v26
	v_cmp_ne_u32_e32 vcc, s22, v7
                                        ; implicit-def: $vgpr7
	s_and_saveexec_b64 s[0:1], vcc
	s_xor_b64 s[0:1], exec, s[0:1]
; %bb.150:                              ;   in Loop: Header=BB326_112 Depth=1
	v_bfe_u32 v7, v26, 16, 1
	v_add3_u32 v7, v26, v7, s28
                                        ; implicit-def: $vgpr26
; %bb.151:                              ;   in Loop: Header=BB326_112 Depth=1
	s_andn2_saveexec_b64 s[0:1], s[0:1]
; %bb.152:                              ;   in Loop: Header=BB326_112 Depth=1
	v_or_b32_e32 v7, 0x10000, v26
	v_cmp_eq_u32_sdwa vcc, v26, v11 src0_sel:WORD_0 src1_sel:DWORD
	s_nop 1
	v_cndmask_b32_e32 v7, v7, v26, vcc
; %bb.153:                              ;   in Loop: Header=BB326_112 Depth=1
	s_or_b64 exec, exec, s[0:1]
	v_bfe_u32 v26, v4, 16, 8
	v_cvt_f32_fp8_sdwa v26, v26 src0_sel:BYTE_0
	s_nop 0
	v_mul_f32_e32 v26, s29, v26
	v_and_b32_e32 v27, 0x7f800000, v26
	v_cmp_ne_u32_e32 vcc, s22, v27
                                        ; implicit-def: $vgpr27
	s_and_saveexec_b64 s[0:1], vcc
	s_xor_b64 s[0:1], exec, s[0:1]
; %bb.154:                              ;   in Loop: Header=BB326_112 Depth=1
	v_bfe_u32 v27, v26, 16, 1
	v_add3_u32 v27, v26, v27, s28
                                        ; implicit-def: $vgpr26
; %bb.155:                              ;   in Loop: Header=BB326_112 Depth=1
	s_andn2_saveexec_b64 s[0:1], s[0:1]
; %bb.156:                              ;   in Loop: Header=BB326_112 Depth=1
	v_or_b32_e32 v27, 0x10000, v26
	v_cmp_eq_u32_sdwa vcc, v26, v11 src0_sel:WORD_0 src1_sel:DWORD
	s_nop 1
	v_cndmask_b32_e32 v27, v27, v26, vcc
; %bb.157:                              ;   in Loop: Header=BB326_112 Depth=1
	s_or_b64 exec, exec, s[0:1]
	v_lshrrev_b32_e32 v4, 24, v4
	v_cvt_f32_fp8_sdwa v4, v4 src0_sel:BYTE_0
	s_nop 0
	v_mul_f32_e32 v26, s29, v4
	v_and_b32_e32 v4, 0x7f800000, v26
	v_cmp_ne_u32_e32 vcc, s22, v4
                                        ; implicit-def: $vgpr4
	s_and_saveexec_b64 s[0:1], vcc
	s_xor_b64 s[0:1], exec, s[0:1]
; %bb.158:                              ;   in Loop: Header=BB326_112 Depth=1
	v_bfe_u32 v4, v26, 16, 1
	v_add3_u32 v4, v26, v4, s28
                                        ; implicit-def: $vgpr26
; %bb.159:                              ;   in Loop: Header=BB326_112 Depth=1
	s_andn2_saveexec_b64 s[0:1], s[0:1]
; %bb.160:                              ;   in Loop: Header=BB326_112 Depth=1
	v_or_b32_e32 v4, 0x10000, v26
	v_cmp_eq_u32_sdwa vcc, v26, v11 src0_sel:WORD_0 src1_sel:DWORD
	s_nop 1
	v_cndmask_b32_e32 v4, v4, v26, vcc
; %bb.161:                              ;   in Loop: Header=BB326_112 Depth=1
	s_or_b64 exec, exec, s[0:1]
	v_and_b32_e32 v26, 0xff, v5
	v_cvt_f32_fp8_sdwa v26, v26 src0_sel:BYTE_0
	s_nop 0
	v_mul_f32_e32 v26, s29, v26
	v_and_b32_e32 v28, 0x7f800000, v26
	v_cmp_ne_u32_e32 vcc, s22, v28
                                        ; implicit-def: $vgpr28
	s_and_saveexec_b64 s[0:1], vcc
	s_xor_b64 s[0:1], exec, s[0:1]
; %bb.162:                              ;   in Loop: Header=BB326_112 Depth=1
	v_bfe_u32 v28, v26, 16, 1
	v_add3_u32 v28, v26, v28, s28
                                        ; implicit-def: $vgpr26
; %bb.163:                              ;   in Loop: Header=BB326_112 Depth=1
	s_andn2_saveexec_b64 s[0:1], s[0:1]
; %bb.164:                              ;   in Loop: Header=BB326_112 Depth=1
	v_or_b32_e32 v28, 0x10000, v26
	v_cmp_eq_u32_sdwa vcc, v26, v11 src0_sel:WORD_0 src1_sel:DWORD
	s_nop 1
	v_cndmask_b32_e32 v28, v28, v26, vcc
; %bb.165:                              ;   in Loop: Header=BB326_112 Depth=1
	s_or_b64 exec, exec, s[0:1]
	v_bfe_u32 v26, v5, 8, 8
	v_cvt_f32_fp8_sdwa v26, v26 src0_sel:BYTE_0
	s_nop 0
	v_mul_f32_e32 v26, s29, v26
	v_and_b32_e32 v29, 0x7f800000, v26
	v_cmp_ne_u32_e32 vcc, s22, v29
                                        ; implicit-def: $vgpr29
	s_and_saveexec_b64 s[0:1], vcc
	s_xor_b64 s[0:1], exec, s[0:1]
; %bb.166:                              ;   in Loop: Header=BB326_112 Depth=1
	v_bfe_u32 v29, v26, 16, 1
	v_add3_u32 v29, v26, v29, s28
                                        ; implicit-def: $vgpr26
; %bb.167:                              ;   in Loop: Header=BB326_112 Depth=1
	s_andn2_saveexec_b64 s[0:1], s[0:1]
; %bb.168:                              ;   in Loop: Header=BB326_112 Depth=1
	v_or_b32_e32 v29, 0x10000, v26
	v_cmp_eq_u32_sdwa vcc, v26, v11 src0_sel:WORD_0 src1_sel:DWORD
	s_nop 1
	v_cndmask_b32_e32 v29, v29, v26, vcc
; %bb.169:                              ;   in Loop: Header=BB326_112 Depth=1
	s_or_b64 exec, exec, s[0:1]
	v_bfe_u32 v26, v5, 16, 8
	v_cvt_f32_fp8_sdwa v26, v26 src0_sel:BYTE_0
	s_nop 0
	v_mul_f32_e32 v26, s29, v26
	v_and_b32_e32 v30, 0x7f800000, v26
	v_cmp_ne_u32_e32 vcc, s22, v30
                                        ; implicit-def: $vgpr30
	s_and_saveexec_b64 s[0:1], vcc
	s_xor_b64 s[0:1], exec, s[0:1]
; %bb.170:                              ;   in Loop: Header=BB326_112 Depth=1
	v_bfe_u32 v30, v26, 16, 1
	v_add3_u32 v30, v26, v30, s28
                                        ; implicit-def: $vgpr26
; %bb.171:                              ;   in Loop: Header=BB326_112 Depth=1
	s_andn2_saveexec_b64 s[0:1], s[0:1]
; %bb.172:                              ;   in Loop: Header=BB326_112 Depth=1
	v_or_b32_e32 v30, 0x10000, v26
	v_cmp_eq_u32_sdwa vcc, v26, v11 src0_sel:WORD_0 src1_sel:DWORD
	s_nop 1
	v_cndmask_b32_e32 v30, v30, v26, vcc
; %bb.173:                              ;   in Loop: Header=BB326_112 Depth=1
	s_or_b64 exec, exec, s[0:1]
	v_lshrrev_b32_e32 v5, 24, v5
	v_cvt_f32_fp8_sdwa v5, v5 src0_sel:BYTE_0
                                        ; implicit-def: $vgpr31
	s_nop 0
	v_mul_f32_e32 v5, s29, v5
	v_and_b32_e32 v26, 0x7f800000, v5
	v_cmp_ne_u32_e32 vcc, s22, v26
	s_and_saveexec_b64 s[0:1], vcc
	s_xor_b64 s[0:1], exec, s[0:1]
; %bb.174:                              ;   in Loop: Header=BB326_112 Depth=1
	v_bfe_u32 v26, v5, 16, 1
	v_add3_u32 v31, v5, v26, s28
                                        ; implicit-def: $vgpr5
; %bb.175:                              ;   in Loop: Header=BB326_112 Depth=1
	s_andn2_saveexec_b64 s[0:1], s[0:1]
; %bb.176:                              ;   in Loop: Header=BB326_112 Depth=1
	v_or_b32_e32 v26, 0x10000, v5
	v_cmp_eq_u32_sdwa vcc, v5, v11 src0_sel:WORD_0 src1_sel:DWORD
	s_nop 1
	v_cndmask_b32_e32 v31, v26, v5, vcc
; %bb.177:                              ;   in Loop: Header=BB326_112 Depth=1
	s_or_b64 exec, exec, s[0:1]
	v_add_u32_e32 v26, v23, v18
	v_cmp_eq_u32_e32 vcc, s21, v1
	v_lshrrev_b32_e32 v41, 16, v29
	v_lshrrev_b32_e32 v40, 16, v28
	;; [unrolled: 1-line block ×8, first 2 shown]
	v_add_u32_e32 v33, 1, v26
	v_add_u32_e32 v32, 2, v26
	;; [unrolled: 1-line block ×7, first 2 shown]
	s_and_saveexec_b64 s[12:13], vcc
	s_cbranch_execz .LBB326_179
; %bb.178:                              ;   in Loop: Header=BB326_112 Depth=1
	v_cmp_gt_i32_e64 s[0:1], s33, v26
	s_nop 1
	v_cndmask_b32_e64 v4, 0, v4, s[0:1]
	v_cmp_gt_i32_e64 s[0:1], s33, v33
	s_nop 1
	v_cndmask_b32_e64 v5, 0, v5, s[0:1]
	;; [unrolled: 3-line block ×8, first 2 shown]
.LBB326_179:                            ;   in Loop: Header=BB326_112 Depth=1
	s_or_b64 exec, exec, s[12:13]
	v_and_b32_e32 v35, 0xffff0000, v35
	v_lshlrev_b32_e32 v4, 16, v4
	v_mul_f32_e32 v6, v35, v4
	v_and_b32_e32 v4, 0x7f800000, v6
	v_cmp_ne_u32_e64 s[0:1], s22, v4
                                        ; implicit-def: $vgpr4
	s_and_saveexec_b64 s[12:13], s[0:1]
	s_xor_b64 s[0:1], exec, s[12:13]
; %bb.180:                              ;   in Loop: Header=BB326_112 Depth=1
	v_bfe_u32 v4, v6, 16, 1
	v_add3_u32 v4, v6, v4, s28
                                        ; implicit-def: $vgpr6
; %bb.181:                              ;   in Loop: Header=BB326_112 Depth=1
	s_andn2_saveexec_b64 s[12:13], s[0:1]
; %bb.182:                              ;   in Loop: Header=BB326_112 Depth=1
	v_or_b32_e32 v4, 0x10000, v6
	v_cmp_eq_u32_sdwa s[0:1], v6, v11 src0_sel:WORD_0 src1_sel:DWORD
	s_nop 1
	v_cndmask_b32_e64 v4, v4, v6, s[0:1]
; %bb.183:                              ;   in Loop: Header=BB326_112 Depth=1
	s_or_b64 exec, exec, s[12:13]
	v_and_b32_e32 v36, 0xffff0000, v36
	v_lshlrev_b32_e32 v5, 16, v5
	v_mul_f32_e32 v6, v36, v5
	v_and_b32_e32 v5, 0x7f800000, v6
	v_cmp_ne_u32_e64 s[0:1], s22, v5
                                        ; implicit-def: $vgpr5
	s_and_saveexec_b64 s[12:13], s[0:1]
	s_xor_b64 s[0:1], exec, s[12:13]
; %bb.184:                              ;   in Loop: Header=BB326_112 Depth=1
	v_bfe_u32 v5, v6, 16, 1
	v_add3_u32 v5, v6, v5, s28
                                        ; implicit-def: $vgpr6
; %bb.185:                              ;   in Loop: Header=BB326_112 Depth=1
	s_andn2_saveexec_b64 s[12:13], s[0:1]
; %bb.186:                              ;   in Loop: Header=BB326_112 Depth=1
	v_or_b32_e32 v5, 0x10000, v6
	v_cmp_eq_u32_sdwa s[0:1], v6, v11 src0_sel:WORD_0 src1_sel:DWORD
	s_nop 1
	v_cndmask_b32_e64 v5, v5, v6, s[0:1]
; %bb.187:                              ;   in Loop: Header=BB326_112 Depth=1
	s_or_b64 exec, exec, s[12:13]
	v_and_b32_e32 v37, 0xffff0000, v37
	v_lshlrev_b32_e32 v6, 16, v44
	v_mul_f32_e32 v7, v37, v6
	v_and_b32_e32 v6, 0x7f800000, v7
	v_cmp_ne_u32_e64 s[0:1], s22, v6
                                        ; implicit-def: $vgpr6
	s_and_saveexec_b64 s[12:13], s[0:1]
	s_xor_b64 s[0:1], exec, s[12:13]
; %bb.188:                              ;   in Loop: Header=BB326_112 Depth=1
	v_bfe_u32 v6, v7, 16, 1
	v_add3_u32 v6, v7, v6, s28
                                        ; implicit-def: $vgpr7
; %bb.189:                              ;   in Loop: Header=BB326_112 Depth=1
	s_andn2_saveexec_b64 s[12:13], s[0:1]
; %bb.190:                              ;   in Loop: Header=BB326_112 Depth=1
	v_or_b32_e32 v6, 0x10000, v7
	v_cmp_eq_u32_sdwa s[0:1], v7, v11 src0_sel:WORD_0 src1_sel:DWORD
	s_nop 1
	v_cndmask_b32_e64 v6, v6, v7, s[0:1]
; %bb.191:                              ;   in Loop: Header=BB326_112 Depth=1
	s_or_b64 exec, exec, s[12:13]
	v_and_b32_e32 v38, 0xffff0000, v38
	v_lshlrev_b32_e32 v7, 16, v39
	v_mul_f32_e32 v39, v38, v7
	v_and_b32_e32 v7, 0x7f800000, v39
	v_cmp_ne_u32_e64 s[0:1], s22, v7
                                        ; implicit-def: $vgpr7
	s_and_saveexec_b64 s[12:13], s[0:1]
	s_xor_b64 s[0:1], exec, s[12:13]
; %bb.192:                              ;   in Loop: Header=BB326_112 Depth=1
	v_bfe_u32 v7, v39, 16, 1
	v_add3_u32 v7, v39, v7, s28
                                        ; implicit-def: $vgpr39
; %bb.193:                              ;   in Loop: Header=BB326_112 Depth=1
	s_andn2_saveexec_b64 s[12:13], s[0:1]
; %bb.194:                              ;   in Loop: Header=BB326_112 Depth=1
	v_or_b32_e32 v7, 0x10000, v39
	v_cmp_eq_u32_sdwa s[0:1], v39, v11 src0_sel:WORD_0 src1_sel:DWORD
	s_nop 1
	v_cndmask_b32_e64 v7, v7, v39, s[0:1]
; %bb.195:                              ;   in Loop: Header=BB326_112 Depth=1
	s_or_b64 exec, exec, s[12:13]
	v_and_b32_e32 v39, 0xffff0000, v8
	v_lshlrev_b32_e32 v8, 16, v40
	v_mul_f32_e32 v40, v39, v8
	v_and_b32_e32 v8, 0x7f800000, v40
	v_cmp_ne_u32_e64 s[0:1], s22, v8
                                        ; implicit-def: $vgpr8
	s_and_saveexec_b64 s[12:13], s[0:1]
	s_xor_b64 s[0:1], exec, s[12:13]
; %bb.196:                              ;   in Loop: Header=BB326_112 Depth=1
	v_bfe_u32 v8, v40, 16, 1
	v_add3_u32 v8, v40, v8, s28
                                        ; implicit-def: $vgpr40
; %bb.197:                              ;   in Loop: Header=BB326_112 Depth=1
	s_andn2_saveexec_b64 s[12:13], s[0:1]
; %bb.198:                              ;   in Loop: Header=BB326_112 Depth=1
	v_or_b32_e32 v8, 0x10000, v40
	v_cmp_eq_u32_sdwa s[0:1], v40, v11 src0_sel:WORD_0 src1_sel:DWORD
	s_nop 1
	v_cndmask_b32_e64 v8, v8, v40, s[0:1]
; %bb.199:                              ;   in Loop: Header=BB326_112 Depth=1
	s_or_b64 exec, exec, s[12:13]
	v_and_b32_e32 v40, 0xffff0000, v9
	v_lshlrev_b32_e32 v9, 16, v41
	v_mul_f32_e32 v41, v40, v9
	v_and_b32_e32 v9, 0x7f800000, v41
	v_cmp_ne_u32_e64 s[0:1], s22, v9
                                        ; implicit-def: $vgpr9
	s_and_saveexec_b64 s[12:13], s[0:1]
	s_xor_b64 s[0:1], exec, s[12:13]
; %bb.200:                              ;   in Loop: Header=BB326_112 Depth=1
	v_bfe_u32 v9, v41, 16, 1
	v_add3_u32 v9, v41, v9, s28
                                        ; implicit-def: $vgpr41
; %bb.201:                              ;   in Loop: Header=BB326_112 Depth=1
	s_andn2_saveexec_b64 s[12:13], s[0:1]
; %bb.202:                              ;   in Loop: Header=BB326_112 Depth=1
	v_or_b32_e32 v9, 0x10000, v41
	v_cmp_eq_u32_sdwa s[0:1], v41, v11 src0_sel:WORD_0 src1_sel:DWORD
	s_nop 1
	v_cndmask_b32_e64 v9, v9, v41, s[0:1]
; %bb.203:                              ;   in Loop: Header=BB326_112 Depth=1
	s_or_b64 exec, exec, s[12:13]
	v_and_b32_e32 v41, 0xffff0000, v25
	v_lshlrev_b32_e32 v25, 16, v42
	v_mul_f32_e32 v42, v41, v25
	v_and_b32_e32 v25, 0x7f800000, v42
	v_cmp_ne_u32_e64 s[0:1], s22, v25
                                        ; implicit-def: $vgpr25
	s_and_saveexec_b64 s[12:13], s[0:1]
	s_xor_b64 s[0:1], exec, s[12:13]
; %bb.204:                              ;   in Loop: Header=BB326_112 Depth=1
	v_bfe_u32 v25, v42, 16, 1
	v_add3_u32 v25, v42, v25, s28
                                        ; implicit-def: $vgpr42
; %bb.205:                              ;   in Loop: Header=BB326_112 Depth=1
	s_andn2_saveexec_b64 s[12:13], s[0:1]
; %bb.206:                              ;   in Loop: Header=BB326_112 Depth=1
	v_or_b32_e32 v25, 0x10000, v42
	v_cmp_eq_u32_sdwa s[0:1], v42, v11 src0_sel:WORD_0 src1_sel:DWORD
	s_nop 1
	v_cndmask_b32_e64 v25, v25, v42, s[0:1]
; %bb.207:                              ;   in Loop: Header=BB326_112 Depth=1
	s_or_b64 exec, exec, s[12:13]
	v_and_b32_e32 v42, 0xffff0000, v34
	v_lshlrev_b32_e32 v34, 16, v43
	v_mul_f32_e32 v43, v42, v34
	v_and_b32_e32 v34, 0x7f800000, v43
	v_cmp_ne_u32_e64 s[0:1], s22, v34
                                        ; implicit-def: $vgpr34
	s_and_saveexec_b64 s[12:13], s[0:1]
	s_xor_b64 s[0:1], exec, s[12:13]
; %bb.208:                              ;   in Loop: Header=BB326_112 Depth=1
	v_bfe_u32 v34, v43, 16, 1
	v_add3_u32 v34, v43, v34, s28
                                        ; implicit-def: $vgpr43
; %bb.209:                              ;   in Loop: Header=BB326_112 Depth=1
	s_andn2_saveexec_b64 s[12:13], s[0:1]
; %bb.210:                              ;   in Loop: Header=BB326_112 Depth=1
	v_or_b32_e32 v34, 0x10000, v43
	v_cmp_eq_u32_sdwa s[0:1], v43, v11 src0_sel:WORD_0 src1_sel:DWORD
	s_nop 1
	v_cndmask_b32_e64 v34, v34, v43, s[0:1]
; %bb.211:                              ;   in Loop: Header=BB326_112 Depth=1
	s_or_b64 exec, exec, s[12:13]
	global_load_dwordx2 v[2:3], v[2:3], off offset:512
	s_waitcnt vmcnt(0)
	v_and_b32_e32 v43, 0xff, v2
	v_cvt_f32_fp8_sdwa v43, v43 src0_sel:BYTE_0
	s_nop 0
	v_mul_f32_e32 v44, s29, v43
	v_and_b32_e32 v43, 0x7f800000, v44
	v_cmp_ne_u32_e64 s[0:1], s22, v43
                                        ; implicit-def: $vgpr43
	s_and_saveexec_b64 s[12:13], s[0:1]
	s_xor_b64 s[0:1], exec, s[12:13]
; %bb.212:                              ;   in Loop: Header=BB326_112 Depth=1
	v_bfe_u32 v43, v44, 16, 1
	v_add3_u32 v43, v44, v43, s28
                                        ; implicit-def: $vgpr44
; %bb.213:                              ;   in Loop: Header=BB326_112 Depth=1
	s_andn2_saveexec_b64 s[12:13], s[0:1]
; %bb.214:                              ;   in Loop: Header=BB326_112 Depth=1
	v_or_b32_e32 v43, 0x10000, v44
	v_cmp_eq_u32_sdwa s[0:1], v44, v11 src0_sel:WORD_0 src1_sel:DWORD
	s_nop 1
	v_cndmask_b32_e64 v43, v43, v44, s[0:1]
; %bb.215:                              ;   in Loop: Header=BB326_112 Depth=1
	s_or_b64 exec, exec, s[12:13]
	v_bfe_u32 v44, v2, 8, 8
	v_cvt_f32_fp8_sdwa v44, v44 src0_sel:BYTE_0
	s_nop 0
	v_mul_f32_e32 v45, s29, v44
	v_and_b32_e32 v44, 0x7f800000, v45
	v_cmp_ne_u32_e64 s[0:1], s22, v44
                                        ; implicit-def: $vgpr44
	s_and_saveexec_b64 s[12:13], s[0:1]
	s_xor_b64 s[0:1], exec, s[12:13]
; %bb.216:                              ;   in Loop: Header=BB326_112 Depth=1
	v_bfe_u32 v44, v45, 16, 1
	v_add3_u32 v44, v45, v44, s28
                                        ; implicit-def: $vgpr45
; %bb.217:                              ;   in Loop: Header=BB326_112 Depth=1
	s_andn2_saveexec_b64 s[12:13], s[0:1]
; %bb.218:                              ;   in Loop: Header=BB326_112 Depth=1
	v_or_b32_e32 v44, 0x10000, v45
	v_cmp_eq_u32_sdwa s[0:1], v45, v11 src0_sel:WORD_0 src1_sel:DWORD
	s_nop 1
	v_cndmask_b32_e64 v44, v44, v45, s[0:1]
; %bb.219:                              ;   in Loop: Header=BB326_112 Depth=1
	s_or_b64 exec, exec, s[12:13]
	v_bfe_u32 v45, v2, 16, 8
	v_cvt_f32_fp8_sdwa v45, v45 src0_sel:BYTE_0
	s_nop 0
	v_mul_f32_e32 v45, s29, v45
	v_and_b32_e32 v46, 0x7f800000, v45
	v_cmp_ne_u32_e64 s[0:1], s22, v46
                                        ; implicit-def: $vgpr46
	s_and_saveexec_b64 s[12:13], s[0:1]
	s_xor_b64 s[0:1], exec, s[12:13]
; %bb.220:                              ;   in Loop: Header=BB326_112 Depth=1
	v_bfe_u32 v46, v45, 16, 1
	v_add3_u32 v46, v45, v46, s28
                                        ; implicit-def: $vgpr45
; %bb.221:                              ;   in Loop: Header=BB326_112 Depth=1
	s_andn2_saveexec_b64 s[12:13], s[0:1]
; %bb.222:                              ;   in Loop: Header=BB326_112 Depth=1
	v_or_b32_e32 v46, 0x10000, v45
	v_cmp_eq_u32_sdwa s[0:1], v45, v11 src0_sel:WORD_0 src1_sel:DWORD
	s_nop 1
	v_cndmask_b32_e64 v46, v46, v45, s[0:1]
; %bb.223:                              ;   in Loop: Header=BB326_112 Depth=1
	s_or_b64 exec, exec, s[12:13]
	v_lshrrev_b32_e32 v2, 24, v2
	v_cvt_f32_fp8_sdwa v2, v2 src0_sel:BYTE_0
	s_nop 0
	v_mul_f32_e32 v45, s29, v2
	v_and_b32_e32 v2, 0x7f800000, v45
	v_cmp_ne_u32_e64 s[0:1], s22, v2
                                        ; implicit-def: $vgpr2
	s_and_saveexec_b64 s[12:13], s[0:1]
	s_xor_b64 s[0:1], exec, s[12:13]
; %bb.224:                              ;   in Loop: Header=BB326_112 Depth=1
	v_bfe_u32 v2, v45, 16, 1
	v_add3_u32 v2, v45, v2, s28
                                        ; implicit-def: $vgpr45
; %bb.225:                              ;   in Loop: Header=BB326_112 Depth=1
	s_andn2_saveexec_b64 s[12:13], s[0:1]
; %bb.226:                              ;   in Loop: Header=BB326_112 Depth=1
	v_or_b32_e32 v2, 0x10000, v45
	v_cmp_eq_u32_sdwa s[0:1], v45, v11 src0_sel:WORD_0 src1_sel:DWORD
	s_nop 1
	v_cndmask_b32_e64 v2, v2, v45, s[0:1]
; %bb.227:                              ;   in Loop: Header=BB326_112 Depth=1
	s_or_b64 exec, exec, s[12:13]
	v_and_b32_e32 v45, 0xff, v3
	v_cvt_f32_fp8_sdwa v45, v45 src0_sel:BYTE_0
	s_nop 0
	v_mul_f32_e32 v45, s29, v45
	v_and_b32_e32 v47, 0x7f800000, v45
	v_cmp_ne_u32_e64 s[0:1], s22, v47
                                        ; implicit-def: $vgpr47
	s_and_saveexec_b64 s[12:13], s[0:1]
	s_xor_b64 s[0:1], exec, s[12:13]
; %bb.228:                              ;   in Loop: Header=BB326_112 Depth=1
	v_bfe_u32 v47, v45, 16, 1
	v_add3_u32 v47, v45, v47, s28
                                        ; implicit-def: $vgpr45
; %bb.229:                              ;   in Loop: Header=BB326_112 Depth=1
	s_andn2_saveexec_b64 s[12:13], s[0:1]
; %bb.230:                              ;   in Loop: Header=BB326_112 Depth=1
	v_or_b32_e32 v47, 0x10000, v45
	v_cmp_eq_u32_sdwa s[0:1], v45, v11 src0_sel:WORD_0 src1_sel:DWORD
	s_nop 1
	v_cndmask_b32_e64 v47, v47, v45, s[0:1]
; %bb.231:                              ;   in Loop: Header=BB326_112 Depth=1
	s_or_b64 exec, exec, s[12:13]
	v_bfe_u32 v45, v3, 8, 8
	v_cvt_f32_fp8_sdwa v45, v45 src0_sel:BYTE_0
	s_nop 0
	v_mul_f32_e32 v48, s29, v45
	v_and_b32_e32 v45, 0x7f800000, v48
	v_cmp_ne_u32_e64 s[0:1], s22, v45
                                        ; implicit-def: $vgpr45
	s_and_saveexec_b64 s[12:13], s[0:1]
	s_xor_b64 s[0:1], exec, s[12:13]
; %bb.232:                              ;   in Loop: Header=BB326_112 Depth=1
	v_bfe_u32 v45, v48, 16, 1
	v_add3_u32 v45, v48, v45, s28
                                        ; implicit-def: $vgpr48
; %bb.233:                              ;   in Loop: Header=BB326_112 Depth=1
	s_andn2_saveexec_b64 s[12:13], s[0:1]
; %bb.234:                              ;   in Loop: Header=BB326_112 Depth=1
	v_or_b32_e32 v45, 0x10000, v48
	v_cmp_eq_u32_sdwa s[0:1], v48, v11 src0_sel:WORD_0 src1_sel:DWORD
	s_nop 1
	v_cndmask_b32_e64 v45, v45, v48, s[0:1]
; %bb.235:                              ;   in Loop: Header=BB326_112 Depth=1
	s_or_b64 exec, exec, s[12:13]
	v_bfe_u32 v48, v3, 16, 8
	v_cvt_f32_fp8_sdwa v48, v48 src0_sel:BYTE_0
	s_nop 0
	v_mul_f32_e32 v48, s29, v48
	v_and_b32_e32 v49, 0x7f800000, v48
	v_cmp_ne_u32_e64 s[0:1], s22, v49
                                        ; implicit-def: $vgpr49
	s_and_saveexec_b64 s[12:13], s[0:1]
	s_xor_b64 s[0:1], exec, s[12:13]
; %bb.236:                              ;   in Loop: Header=BB326_112 Depth=1
	v_bfe_u32 v49, v48, 16, 1
	v_add3_u32 v49, v48, v49, s28
                                        ; implicit-def: $vgpr48
; %bb.237:                              ;   in Loop: Header=BB326_112 Depth=1
	s_andn2_saveexec_b64 s[12:13], s[0:1]
; %bb.238:                              ;   in Loop: Header=BB326_112 Depth=1
	v_or_b32_e32 v49, 0x10000, v48
	v_cmp_eq_u32_sdwa s[0:1], v48, v11 src0_sel:WORD_0 src1_sel:DWORD
	s_nop 1
	v_cndmask_b32_e64 v49, v49, v48, s[0:1]
; %bb.239:                              ;   in Loop: Header=BB326_112 Depth=1
	s_or_b64 exec, exec, s[12:13]
	v_lshrrev_b32_e32 v3, 24, v3
	v_cvt_f32_fp8_sdwa v3, v3 src0_sel:BYTE_0
	s_nop 0
	v_mul_f32_e32 v48, s29, v3
	v_and_b32_e32 v3, 0x7f800000, v48
	v_cmp_ne_u32_e64 s[0:1], s22, v3
                                        ; implicit-def: $vgpr3
	s_and_saveexec_b64 s[12:13], s[0:1]
	s_xor_b64 s[0:1], exec, s[12:13]
; %bb.240:                              ;   in Loop: Header=BB326_112 Depth=1
	v_bfe_u32 v3, v48, 16, 1
	v_add3_u32 v3, v48, v3, s28
                                        ; implicit-def: $vgpr48
; %bb.241:                              ;   in Loop: Header=BB326_112 Depth=1
	s_andn2_saveexec_b64 s[12:13], s[0:1]
; %bb.242:                              ;   in Loop: Header=BB326_112 Depth=1
	v_or_b32_e32 v3, 0x10000, v48
	v_cmp_eq_u32_sdwa s[0:1], v48, v11 src0_sel:WORD_0 src1_sel:DWORD
	s_nop 1
	v_cndmask_b32_e64 v3, v3, v48, s[0:1]
; %bb.243:                              ;   in Loop: Header=BB326_112 Depth=1
	s_or_b64 exec, exec, s[12:13]
	v_lshrrev_b32_e32 v45, 16, v45
	v_lshrrev_b32_e32 v47, 16, v47
	;; [unrolled: 1-line block ×8, first 2 shown]
	s_and_saveexec_b64 s[0:1], vcc
	s_cbranch_execz .LBB326_245
; %bb.244:                              ;   in Loop: Header=BB326_112 Depth=1
	v_cmp_gt_i32_e32 vcc, s33, v26
	s_nop 1
	v_cndmask_b32_e32 v2, 0, v2, vcc
	v_cmp_gt_i32_e32 vcc, s33, v33
	s_nop 1
	v_cndmask_b32_e32 v44, 0, v44, vcc
	;; [unrolled: 3-line block ×8, first 2 shown]
.LBB326_245:                            ;   in Loop: Header=BB326_112 Depth=1
	s_or_b64 exec, exec, s[0:1]
	v_lshlrev_b32_e32 v2, 16, v2
	v_mul_f32_e32 v26, v35, v2
	v_and_b32_e32 v2, 0x7f800000, v26
	v_cmp_ne_u32_e32 vcc, s22, v2
                                        ; implicit-def: $vgpr2
	s_and_saveexec_b64 s[0:1], vcc
	s_xor_b64 s[0:1], exec, s[0:1]
; %bb.246:                              ;   in Loop: Header=BB326_112 Depth=1
	v_bfe_u32 v2, v26, 16, 1
	v_add3_u32 v2, v26, v2, s28
                                        ; implicit-def: $vgpr26
; %bb.247:                              ;   in Loop: Header=BB326_112 Depth=1
	s_andn2_saveexec_b64 s[0:1], s[0:1]
; %bb.248:                              ;   in Loop: Header=BB326_112 Depth=1
	v_or_b32_e32 v2, 0x10000, v26
	v_cmp_eq_u32_sdwa vcc, v26, v11 src0_sel:WORD_0 src1_sel:DWORD
	s_nop 1
	v_cndmask_b32_e32 v2, v2, v26, vcc
; %bb.249:                              ;   in Loop: Header=BB326_112 Depth=1
	s_or_b64 exec, exec, s[0:1]
	v_lshlrev_b32_e32 v26, 16, v44
	v_mul_f32_e32 v27, v36, v26
	v_and_b32_e32 v26, 0x7f800000, v27
	v_cmp_ne_u32_e32 vcc, s22, v26
                                        ; implicit-def: $vgpr26
	s_and_saveexec_b64 s[0:1], vcc
	s_xor_b64 s[0:1], exec, s[0:1]
; %bb.250:                              ;   in Loop: Header=BB326_112 Depth=1
	v_bfe_u32 v26, v27, 16, 1
	v_add3_u32 v26, v27, v26, s28
                                        ; implicit-def: $vgpr27
; %bb.251:                              ;   in Loop: Header=BB326_112 Depth=1
	s_andn2_saveexec_b64 s[0:1], s[0:1]
; %bb.252:                              ;   in Loop: Header=BB326_112 Depth=1
	v_or_b32_e32 v26, 0x10000, v27
	v_cmp_eq_u32_sdwa vcc, v27, v11 src0_sel:WORD_0 src1_sel:DWORD
	s_nop 1
	v_cndmask_b32_e32 v26, v26, v27, vcc
; %bb.253:                              ;   in Loop: Header=BB326_112 Depth=1
	s_or_b64 exec, exec, s[0:1]
	v_lshlrev_b32_e32 v27, 16, v46
	v_mul_f32_e32 v28, v37, v27
	v_and_b32_e32 v27, 0x7f800000, v28
	v_cmp_ne_u32_e32 vcc, s22, v27
                                        ; implicit-def: $vgpr27
	s_and_saveexec_b64 s[0:1], vcc
	s_xor_b64 s[0:1], exec, s[0:1]
; %bb.254:                              ;   in Loop: Header=BB326_112 Depth=1
	v_bfe_u32 v27, v28, 16, 1
	v_add3_u32 v27, v28, v27, s28
                                        ; implicit-def: $vgpr28
; %bb.255:                              ;   in Loop: Header=BB326_112 Depth=1
	s_andn2_saveexec_b64 s[0:1], s[0:1]
; %bb.256:                              ;   in Loop: Header=BB326_112 Depth=1
	v_or_b32_e32 v27, 0x10000, v28
	v_cmp_eq_u32_sdwa vcc, v28, v11 src0_sel:WORD_0 src1_sel:DWORD
	s_nop 1
	v_cndmask_b32_e32 v27, v27, v28, vcc
; %bb.257:                              ;   in Loop: Header=BB326_112 Depth=1
	s_or_b64 exec, exec, s[0:1]
	v_lshlrev_b32_e32 v28, 16, v48
	v_mul_f32_e32 v29, v38, v28
	v_and_b32_e32 v28, 0x7f800000, v29
	v_cmp_ne_u32_e32 vcc, s22, v28
                                        ; implicit-def: $vgpr28
	s_and_saveexec_b64 s[0:1], vcc
	s_xor_b64 s[0:1], exec, s[0:1]
; %bb.258:                              ;   in Loop: Header=BB326_112 Depth=1
	v_bfe_u32 v28, v29, 16, 1
	v_add3_u32 v28, v29, v28, s28
                                        ; implicit-def: $vgpr29
; %bb.259:                              ;   in Loop: Header=BB326_112 Depth=1
	s_andn2_saveexec_b64 s[0:1], s[0:1]
; %bb.260:                              ;   in Loop: Header=BB326_112 Depth=1
	v_or_b32_e32 v28, 0x10000, v29
	v_cmp_eq_u32_sdwa vcc, v29, v11 src0_sel:WORD_0 src1_sel:DWORD
	s_nop 1
	v_cndmask_b32_e32 v28, v28, v29, vcc
; %bb.261:                              ;   in Loop: Header=BB326_112 Depth=1
	s_or_b64 exec, exec, s[0:1]
	v_lshlrev_b32_e32 v29, 16, v47
	v_mul_f32_e32 v30, v39, v29
	v_and_b32_e32 v29, 0x7f800000, v30
	v_cmp_ne_u32_e32 vcc, s22, v29
                                        ; implicit-def: $vgpr29
	s_and_saveexec_b64 s[0:1], vcc
	s_xor_b64 s[0:1], exec, s[0:1]
; %bb.262:                              ;   in Loop: Header=BB326_112 Depth=1
	v_bfe_u32 v29, v30, 16, 1
	v_add3_u32 v29, v30, v29, s28
                                        ; implicit-def: $vgpr30
; %bb.263:                              ;   in Loop: Header=BB326_112 Depth=1
	s_andn2_saveexec_b64 s[0:1], s[0:1]
; %bb.264:                              ;   in Loop: Header=BB326_112 Depth=1
	v_or_b32_e32 v29, 0x10000, v30
	v_cmp_eq_u32_sdwa vcc, v30, v11 src0_sel:WORD_0 src1_sel:DWORD
	s_nop 1
	v_cndmask_b32_e32 v29, v29, v30, vcc
; %bb.265:                              ;   in Loop: Header=BB326_112 Depth=1
	s_or_b64 exec, exec, s[0:1]
	v_lshlrev_b32_e32 v30, 16, v45
	v_mul_f32_e32 v31, v40, v30
	v_and_b32_e32 v30, 0x7f800000, v31
	v_cmp_ne_u32_e32 vcc, s22, v30
                                        ; implicit-def: $vgpr30
	s_and_saveexec_b64 s[0:1], vcc
	s_xor_b64 s[0:1], exec, s[0:1]
; %bb.266:                              ;   in Loop: Header=BB326_112 Depth=1
	v_bfe_u32 v30, v31, 16, 1
	v_add3_u32 v30, v31, v30, s28
                                        ; implicit-def: $vgpr31
; %bb.267:                              ;   in Loop: Header=BB326_112 Depth=1
	s_andn2_saveexec_b64 s[0:1], s[0:1]
; %bb.268:                              ;   in Loop: Header=BB326_112 Depth=1
	v_or_b32_e32 v30, 0x10000, v31
	v_cmp_eq_u32_sdwa vcc, v31, v11 src0_sel:WORD_0 src1_sel:DWORD
	s_nop 1
	v_cndmask_b32_e32 v30, v30, v31, vcc
; %bb.269:                              ;   in Loop: Header=BB326_112 Depth=1
	s_or_b64 exec, exec, s[0:1]
	v_lshlrev_b32_e32 v31, 16, v43
	v_mul_f32_e32 v32, v41, v31
	v_and_b32_e32 v31, 0x7f800000, v32
	v_cmp_ne_u32_e32 vcc, s22, v31
                                        ; implicit-def: $vgpr31
	s_and_saveexec_b64 s[0:1], vcc
	s_xor_b64 s[0:1], exec, s[0:1]
; %bb.270:                              ;   in Loop: Header=BB326_112 Depth=1
	v_bfe_u32 v31, v32, 16, 1
	v_add3_u32 v31, v32, v31, s28
                                        ; implicit-def: $vgpr32
; %bb.271:                              ;   in Loop: Header=BB326_112 Depth=1
	s_andn2_saveexec_b64 s[0:1], s[0:1]
; %bb.272:                              ;   in Loop: Header=BB326_112 Depth=1
	v_or_b32_e32 v31, 0x10000, v32
	v_cmp_eq_u32_sdwa vcc, v32, v11 src0_sel:WORD_0 src1_sel:DWORD
	s_nop 1
	v_cndmask_b32_e32 v31, v31, v32, vcc
; %bb.273:                              ;   in Loop: Header=BB326_112 Depth=1
	s_or_b64 exec, exec, s[0:1]
	v_lshlrev_b32_e32 v3, 16, v3
	v_mul_f32_e32 v32, v42, v3
	v_and_b32_e32 v3, 0x7f800000, v32
	v_cmp_ne_u32_e32 vcc, s22, v3
                                        ; implicit-def: $vgpr3
	s_and_saveexec_b64 s[0:1], vcc
	s_xor_b64 s[0:1], exec, s[0:1]
; %bb.274:                              ;   in Loop: Header=BB326_112 Depth=1
	v_bfe_u32 v3, v32, 16, 1
	v_add3_u32 v3, v32, v3, s28
                                        ; implicit-def: $vgpr32
; %bb.275:                              ;   in Loop: Header=BB326_112 Depth=1
	s_andn2_saveexec_b64 s[0:1], s[0:1]
	s_cbranch_execz .LBB326_110
; %bb.276:                              ;   in Loop: Header=BB326_112 Depth=1
	v_or_b32_e32 v3, 0x10000, v32
	v_cmp_eq_u32_sdwa vcc, v32, v11 src0_sel:WORD_0 src1_sel:DWORD
	s_nop 1
	v_cndmask_b32_e32 v3, v3, v32, vcc
	s_branch .LBB326_110
.LBB326_277:
	s_or_b64 exec, exec, s[6:7]
.LBB326_278:
	s_or_b64 exec, exec, s[2:3]
	ds_bpermute_b32 v2, v20, v14
	ds_bpermute_b32 v3, v20, v15
	v_and_b32_e32 v1, 0x3c3, v0
	v_cmp_eq_u32_e32 vcc, 64, v1
	s_waitcnt lgkmcnt(0)
	s_barrier
	v_pk_add_f32 v[2:3], v[14:15], v[2:3]
	ds_bpermute_b32 v4, v21, v2
	ds_bpermute_b32 v5, v21, v3
	s_waitcnt lgkmcnt(0)
	v_pk_add_f32 v[2:3], v[2:3], v[4:5]
	s_and_saveexec_b64 s[0:1], vcc
	s_cbranch_execz .LBB326_280
; %bb.279:
	v_add_u32_e32 v4, 0x50, v19
	v_add_u32_e32 v1, 0x50, v0
	ds_write_b32 v4, v2
	ds_write_b32 v1, v3
.LBB326_280:
	s_or_b64 exec, exec, s[0:1]
	v_cmp_gt_u32_e32 vcc, 64, v0
	s_waitcnt lgkmcnt(0)
	s_barrier
	s_and_saveexec_b64 s[2:3], vcc
	s_cbranch_execz .LBB326_286
; %bb.281:
	v_cmp_eq_u32_e64 s[0:1], 0, v22
	v_lshrrev_b32_e32 v1, 2, v0
	s_and_saveexec_b64 s[6:7], s[0:1]
	s_cbranch_execz .LBB326_283
; %bb.282:
	v_mov_b32_e32 v4, 0x50
	v_lshl_add_u32 v4, v1, 2, v4
	ds_read_b32 v4, v4
	s_waitcnt lgkmcnt(0)
	v_add_f32_e32 v2, v2, v4
.LBB326_283:
	s_or_b64 exec, exec, s[6:7]
	s_and_saveexec_b64 s[6:7], s[0:1]
	s_cbranch_execz .LBB326_285
; %bb.284:
	v_mov_b32_e32 v4, 0x50
	v_lshl_add_u32 v1, v1, 2, v4
	ds_read_b32 v1, v1 offset:64
	s_waitcnt lgkmcnt(0)
	v_add_f32_e32 v3, v3, v1
.LBB326_285:
	s_or_b64 exec, exec, s[6:7]
.LBB326_286:
	s_or_b64 exec, exec, s[2:3]
	s_barrier
	s_and_saveexec_b64 s[0:1], vcc
	s_cbranch_execz .LBB326_297
; %bb.287:
	v_cmp_eq_u32_e32 vcc, 0, v22
	s_and_b64 exec, exec, vcc
	s_cbranch_execz .LBB326_297
; %bb.288:
	s_mov_b32 s0, 0x7f800000
	v_and_b32_e32 v1, 0x7f800000, v2
	v_cmp_ne_u32_e32 vcc, s0, v1
                                        ; implicit-def: $vgpr4
	s_and_saveexec_b64 s[0:1], vcc
	s_xor_b64 s[0:1], exec, s[0:1]
; %bb.289:
	v_bfe_u32 v1, v2, 16, 1
	s_movk_i32 s2, 0x7fff
	v_add3_u32 v4, v2, v1, s2
; %bb.290:
	s_andn2_saveexec_b64 s[0:1], s[0:1]
; %bb.291:
	v_mov_b32_e32 v1, 0
	v_or_b32_e32 v4, 0x10000, v2
	v_cmp_eq_u32_sdwa vcc, v2, v1 src0_sel:WORD_0 src1_sel:DWORD
	s_nop 1
	v_cndmask_b32_e32 v4, v4, v2, vcc
; %bb.292:
	s_or_b64 exec, exec, s[0:1]
	s_mul_i32 s0, s10, s11
	s_mul_i32 s0, s0, s5
	s_lshl_b32 s0, s0, 5
	s_ashr_i32 s1, s0, 31
	s_lshl_b64 s[0:1], s[0:1], 1
	s_add_u32 s2, s26, s0
	s_mul_i32 s0, s11, s24
	s_addc_u32 s3, s27, s1
	s_ashr_i32 s1, s0, 31
	s_lshl_b64 s[0:1], s[0:1], 1
	s_add_u32 s2, s2, s0
	s_addc_u32 s3, s3, s1
	s_lshl_b32 s0, s4, 5
	s_ashr_i32 s1, s0, 31
	s_lshl_b64 s[0:1], s[0:1], 1
	s_add_u32 s0, s2, s0
	v_lshrrev_b32_e32 v0, 1, v0
	s_mov_b32 s2, 0x7f800000
	v_and_b32_e32 v2, 0x7f800000, v3
	s_addc_u32 s1, s3, s1
	v_and_b32_e32 v0, 0x1fe, v0
	v_mov_b32_e32 v1, 0
	v_cmp_ne_u32_e32 vcc, s2, v2
	global_store_short_d16_hi v0, v4, s[0:1]
                                        ; implicit-def: $vgpr4
	s_and_saveexec_b64 s[2:3], vcc
	s_xor_b64 s[2:3], exec, s[2:3]
; %bb.293:
	v_bfe_u32 v2, v3, 16, 1
	s_movk_i32 s4, 0x7fff
	v_add3_u32 v4, v3, v2, s4
                                        ; implicit-def: $vgpr2_vgpr3
; %bb.294:
	s_or_saveexec_b64 s[2:3], s[2:3]
	v_lshl_add_u64 v[0:1], s[0:1], 0, v[0:1]
	s_xor_b64 exec, exec, s[2:3]
; %bb.295:
	v_mov_b32_e32 v2, 0
	v_or_b32_e32 v4, 0x10000, v3
	v_cmp_eq_u32_sdwa vcc, v3, v2 src0_sel:WORD_0 src1_sel:DWORD
	s_nop 1
	v_cndmask_b32_e32 v4, v4, v3, vcc
; %bb.296:
	s_or_b64 exec, exec, s[2:3]
	global_store_short_d16_hi v[0:1], v4, off offset:32
.LBB326_297:
	s_endpgm
	.section	.rodata,"a",@progbits
	.p2align	6, 0x0
	.amdhsa_kernel _ZN4vllm25paged_attention_v1_kernelI14__hip_bfloat16hLi32ELi32ELi128ELNS_18Fp8KVCacheDataTypeE1ELb1EEEvPT_PKS3_PKT0_S9_ifPKiSB_iPKfiiiSD_SD_iiiii
		.amdhsa_group_segment_fixed_size 80
		.amdhsa_private_segment_fixed_size 0
		.amdhsa_kernarg_size 384
		.amdhsa_user_sgpr_count 2
		.amdhsa_user_sgpr_dispatch_ptr 0
		.amdhsa_user_sgpr_queue_ptr 0
		.amdhsa_user_sgpr_kernarg_segment_ptr 1
		.amdhsa_user_sgpr_dispatch_id 0
		.amdhsa_user_sgpr_kernarg_preload_length 0
		.amdhsa_user_sgpr_kernarg_preload_offset 0
		.amdhsa_user_sgpr_private_segment_size 0
		.amdhsa_uses_dynamic_stack 0
		.amdhsa_enable_private_segment 0
		.amdhsa_system_sgpr_workgroup_id_x 1
		.amdhsa_system_sgpr_workgroup_id_y 1
		.amdhsa_system_sgpr_workgroup_id_z 1
		.amdhsa_system_sgpr_workgroup_info 0
		.amdhsa_system_vgpr_workitem_id 0
		.amdhsa_next_free_vgpr 56
		.amdhsa_next_free_sgpr 51
		.amdhsa_accum_offset 56
		.amdhsa_reserve_vcc 1
		.amdhsa_float_round_mode_32 0
		.amdhsa_float_round_mode_16_64 0
		.amdhsa_float_denorm_mode_32 3
		.amdhsa_float_denorm_mode_16_64 3
		.amdhsa_dx10_clamp 1
		.amdhsa_ieee_mode 1
		.amdhsa_fp16_overflow 0
		.amdhsa_tg_split 0
		.amdhsa_exception_fp_ieee_invalid_op 0
		.amdhsa_exception_fp_denorm_src 0
		.amdhsa_exception_fp_ieee_div_zero 0
		.amdhsa_exception_fp_ieee_overflow 0
		.amdhsa_exception_fp_ieee_underflow 0
		.amdhsa_exception_fp_ieee_inexact 0
		.amdhsa_exception_int_div_zero 0
	.end_amdhsa_kernel
	.section	.text._ZN4vllm25paged_attention_v1_kernelI14__hip_bfloat16hLi32ELi32ELi128ELNS_18Fp8KVCacheDataTypeE1ELb1EEEvPT_PKS3_PKT0_S9_ifPKiSB_iPKfiiiSD_SD_iiiii,"axG",@progbits,_ZN4vllm25paged_attention_v1_kernelI14__hip_bfloat16hLi32ELi32ELi128ELNS_18Fp8KVCacheDataTypeE1ELb1EEEvPT_PKS3_PKT0_S9_ifPKiSB_iPKfiiiSD_SD_iiiii,comdat
.Lfunc_end326:
	.size	_ZN4vllm25paged_attention_v1_kernelI14__hip_bfloat16hLi32ELi32ELi128ELNS_18Fp8KVCacheDataTypeE1ELb1EEEvPT_PKS3_PKT0_S9_ifPKiSB_iPKfiiiSD_SD_iiiii, .Lfunc_end326-_ZN4vllm25paged_attention_v1_kernelI14__hip_bfloat16hLi32ELi32ELi128ELNS_18Fp8KVCacheDataTypeE1ELb1EEEvPT_PKS3_PKT0_S9_ifPKiSB_iPKfiiiSD_SD_iiiii
                                        ; -- End function
	.section	.AMDGPU.csdata,"",@progbits
; Kernel info:
; codeLenInByte = 9876
; NumSgprs: 57
; NumVgprs: 56
; NumAgprs: 0
; TotalNumVgprs: 56
; ScratchSize: 0
; MemoryBound: 0
; FloatMode: 240
; IeeeMode: 1
; LDSByteSize: 80 bytes/workgroup (compile time only)
; SGPRBlocks: 7
; VGPRBlocks: 6
; NumSGPRsForWavesPerEU: 57
; NumVGPRsForWavesPerEU: 56
; AccumOffset: 56
; Occupancy: 8
; WaveLimiterHint : 1
; COMPUTE_PGM_RSRC2:SCRATCH_EN: 0
; COMPUTE_PGM_RSRC2:USER_SGPR: 2
; COMPUTE_PGM_RSRC2:TRAP_HANDLER: 0
; COMPUTE_PGM_RSRC2:TGID_X_EN: 1
; COMPUTE_PGM_RSRC2:TGID_Y_EN: 1
; COMPUTE_PGM_RSRC2:TGID_Z_EN: 1
; COMPUTE_PGM_RSRC2:TIDIG_COMP_CNT: 0
; COMPUTE_PGM_RSRC3_GFX90A:ACCUM_OFFSET: 13
; COMPUTE_PGM_RSRC3_GFX90A:TG_SPLIT: 0
	.section	.text._ZN4vllm25paged_attention_v1_kernelI14__hip_bfloat16hLi64ELi32ELi128ELNS_18Fp8KVCacheDataTypeE1ELb1EEEvPT_PKS3_PKT0_S9_ifPKiSB_iPKfiiiSD_SD_iiiii,"axG",@progbits,_ZN4vllm25paged_attention_v1_kernelI14__hip_bfloat16hLi64ELi32ELi128ELNS_18Fp8KVCacheDataTypeE1ELb1EEEvPT_PKS3_PKT0_S9_ifPKiSB_iPKfiiiSD_SD_iiiii,comdat
	.protected	_ZN4vllm25paged_attention_v1_kernelI14__hip_bfloat16hLi64ELi32ELi128ELNS_18Fp8KVCacheDataTypeE1ELb1EEEvPT_PKS3_PKT0_S9_ifPKiSB_iPKfiiiSD_SD_iiiii ; -- Begin function _ZN4vllm25paged_attention_v1_kernelI14__hip_bfloat16hLi64ELi32ELi128ELNS_18Fp8KVCacheDataTypeE1ELb1EEEvPT_PKS3_PKT0_S9_ifPKiSB_iPKfiiiSD_SD_iiiii
	.globl	_ZN4vllm25paged_attention_v1_kernelI14__hip_bfloat16hLi64ELi32ELi128ELNS_18Fp8KVCacheDataTypeE1ELb1EEEvPT_PKS3_PKT0_S9_ifPKiSB_iPKfiiiSD_SD_iiiii
	.p2align	8
	.type	_ZN4vllm25paged_attention_v1_kernelI14__hip_bfloat16hLi64ELi32ELi128ELNS_18Fp8KVCacheDataTypeE1ELb1EEEvPT_PKS3_PKT0_S9_ifPKiSB_iPKfiiiSD_SD_iiiii,@function
_ZN4vllm25paged_attention_v1_kernelI14__hip_bfloat16hLi64ELi32ELi128ELNS_18Fp8KVCacheDataTypeE1ELb1EEEvPT_PKS3_PKT0_S9_ifPKiSB_iPKfiiiSD_SD_iiiii: ; @_ZN4vllm25paged_attention_v1_kernelI14__hip_bfloat16hLi64ELi32ELi128ELNS_18Fp8KVCacheDataTypeE1ELb1EEEvPT_PKS3_PKT0_S9_ifPKiSB_iPKfiiiSD_SD_iiiii
; %bb.0:
	s_load_dword s5, s[0:1], 0x80
	s_load_dwordx2 s[6:7], s[0:1], 0x30
	s_load_dwordx2 s[36:37], s[0:1], 0x20
	s_mov_b32 s10, s3
	s_ashr_i32 s11, s3, 31
	s_lshl_b64 s[8:9], s[10:11], 2
	s_waitcnt lgkmcnt(0)
	s_add_u32 s6, s6, s8
	s_addc_u32 s7, s7, s9
	s_abs_i32 s3, s36
	v_cvt_f32_u32_e32 v1, s3
	s_sub_i32 s11, 0, s3
	s_abs_i32 s9, s5
	s_xor_b32 s8, s5, s36
	v_rcp_iflag_f32_e32 v1, v1
	s_ashr_i32 s8, s8, 31
	s_mov_b32 s44, 0
	v_mul_f32_e32 v1, 0x4f7ffffe, v1
	v_cvt_u32_f32_e32 v1, v1
	s_nop 0
	v_readfirstlane_b32 s12, v1
	s_mul_i32 s11, s11, s12
	s_mul_hi_u32 s11, s12, s11
	s_add_i32 s12, s12, s11
	s_mul_hi_u32 s11, s9, s12
	s_mul_i32 s12, s11, s3
	s_sub_i32 s9, s9, s12
	s_add_i32 s12, s11, 1
	s_sub_i32 s13, s9, s3
	s_cmp_ge_u32 s9, s3
	s_cselect_b32 s11, s12, s11
	s_cselect_b32 s9, s13, s9
	s_add_i32 s12, s11, 1
	s_cmp_ge_u32 s9, s3
	s_cselect_b32 s3, s12, s11
	s_xor_b32 s3, s3, s8
	s_sub_i32 s14, s3, s8
	s_abs_i32 s11, s14
	v_cvt_f32_u32_e32 v1, s11
	s_load_dwordx2 s[8:9], s[0:1], 0x40
	s_sub_i32 s3, 0, s11
	s_abs_i32 s12, s2
	v_rcp_iflag_f32_e32 v1, v1
	s_nop 0
	v_mul_f32_e32 v1, 0x4f7ffffe, v1
	v_cvt_u32_f32_e32 v1, v1
	s_nop 0
	v_readfirstlane_b32 s13, v1
	s_mul_i32 s3, s3, s13
	s_mul_hi_u32 s3, s13, s3
	s_add_i32 s13, s13, s3
	s_waitcnt lgkmcnt(0)
	s_cmp_eq_u64 s[8:9], 0
	s_mul_hi_u32 s13, s12, s13
	s_cbranch_scc1 .LBB327_2
; %bb.1:
	s_ashr_i32 s3, s2, 31
	s_lshl_b64 s[16:17], s[2:3], 2
	s_add_u32 s8, s8, s16
	s_addc_u32 s9, s9, s17
	s_load_dword s44, s[8:9], 0x0
.LBB327_2:
	s_load_dword s33, s[6:7], 0x0
	s_load_dwordx4 s[16:19], s[0:1], 0x48
	s_ashr_i32 s8, s2, 31
	s_ashr_i32 s9, s14, 31
	v_and_b32_e32 v2, 1, v0
	s_lshl_b32 s24, s2, 6
	v_cmp_gt_u32_e32 vcc, 16, v0
	v_lshlrev_b32_e32 v27, 3, v0
	s_and_saveexec_b64 s[6:7], vcc
	s_cbranch_execz .LBB327_4
; %bb.3:
	s_load_dwordx2 s[14:15], s[0:1], 0x8
	s_waitcnt lgkmcnt(0)
	s_mul_i32 s20, s10, s16
	s_ashr_i32 s21, s20, 31
	s_lshl_b64 s[20:21], s[20:21], 1
	v_lshlrev_b32_e32 v1, 2, v0
	s_add_u32 s3, s14, s20
	s_addc_u32 s16, s15, s21
	s_ashr_i32 s25, s24, 31
	s_lshl_b64 s[14:15], s[24:25], 1
	s_add_u32 s14, s3, s14
	s_addc_u32 s15, s16, s15
	global_load_dwordx2 v[4:5], v27, s[14:15]
	v_and_b32_e32 v1, 0xff8, v1
	v_lshl_add_u32 v1, v2, 6, v1
	s_waitcnt vmcnt(0)
	ds_write_b64 v1, v[4:5]
.LBB327_4:
	s_or_b64 exec, exec, s[6:7]
	s_mul_i32 s7, s13, s11
	s_sub_i32 s7, s12, s7
	s_xor_b32 s6, s8, s9
	s_add_i32 s8, s13, 1
	s_sub_i32 s9, s7, s11
	s_load_dwordx4 s[20:23], s[0:1], 0x68
	s_load_dword s3, s[0:1], 0x78
	s_cmp_ge_u32 s7, s11
	s_cselect_b32 s8, s8, s13
	s_cselect_b32 s7, s9, s7
	s_add_i32 s9, s8, 1
	s_cmp_ge_u32 s7, s11
	s_cselect_b32 s7, s9, s8
	s_waitcnt lgkmcnt(0)
	s_abs_i32 s16, s23
	v_cvt_f32_u32_e32 v1, s16
	s_xor_b32 s7, s7, s6
	s_sub_i32 s43, s7, s6
	s_sub_i32 s6, 0, s16
	v_rcp_iflag_f32_e32 v1, v1
	s_add_i32 s11, s33, -1
	s_abs_i32 s8, s11
	v_mul_f32_e32 v1, 0x4f7ffffe, v1
	v_cvt_u32_f32_e32 v1, v1
	s_barrier
	v_readfirstlane_b32 s25, v1
	s_mul_i32 s6, s6, s25
	s_mul_hi_u32 s6, s25, s6
	s_add_i32 s25, s25, s6
	s_cmp_lt_i32 s3, 0
	s_mul_hi_u32 s9, s8, s25
	s_cbranch_scc0 .LBB327_6
; %bb.5:
	s_mul_i32 s6, s20, s36
	s_add_i32 s6, s43, s6
	s_mul_i32 s6, s6, s3
	s_sub_i32 s36, 1, s6
	s_mov_b64 s[6:7], 0
	s_branch .LBB327_7
.LBB327_6:
	s_mov_b64 s[6:7], -1
                                        ; implicit-def: $sgpr36
.LBB327_7:
	s_load_dwordx2 s[28:29], s[0:1], 0x28
	s_ashr_i32 s19, s11, 31
	s_andn2_b64 vcc, exec, s[6:7]
	s_ashr_i32 s23, s23, 31
	s_cbranch_vccnz .LBB327_9
; %bb.8:
	s_mul_i32 s6, s5, s20
	s_add_i32 s2, s6, s2
	s_mul_i32 s2, s2, s3
	s_add_i32 s36, s2, 1
.LBB327_9:
	s_load_dword s2, s[0:1], 0x38
	s_load_dwordx2 s[26:27], s[0:1], 0x0
	s_load_dwordx2 s[34:35], s[0:1], 0x18
	s_load_dword s11, s[0:1], 0x88
	s_load_dwordx4 s[12:15], s[0:1], 0x58
	s_mul_i32 s3, s9, s16
	s_waitcnt lgkmcnt(0)
	s_mul_i32 s30, s10, s2
	s_sub_i32 s3, s8, s3
	s_ashr_i32 s31, s30, 31
	s_xor_b32 s2, s19, s23
	s_add_i32 s6, s9, 1
	s_sub_i32 s7, s3, s16
	s_cmp_ge_u32 s3, s16
	s_cselect_b32 s6, s6, s9
	s_cselect_b32 s3, s7, s3
	s_add_i32 s7, s6, 1
	s_cmp_ge_u32 s3, s16
	s_cselect_b32 s3, s7, s6
	s_xor_b32 s3, s3, s2
	s_sub_i32 s42, s3, s2
	s_add_i32 s2, s33, 31
	s_ashr_i32 s3, s2, 31
	s_lshr_b32 s3, s3, 27
	s_add_i32 s2, s2, s3
	s_ashr_i32 s20, s2, 5
	v_lshrrev_b32_e32 v1, 6, v0
	v_cmp_gt_i32_e64 s[6:7], s20, v1
	v_mov_b32_e32 v32, 0xff7fffff
	s_mul_i32 s43, s43, s18
	v_lshrrev_b32_e32 v28, 4, v0
	v_lshlrev_b32_e32 v26, 5, v1
	v_mbcnt_lo_u32_b32 v29, -1, 0
	s_and_saveexec_b64 s[18:19], s[6:7]
	s_cbranch_execz .LBB327_147
; %bb.10:
	s_load_dwordx2 s[0:1], s[0:1], 0x10
	s_sub_i32 s45, s42, s21
	s_ashr_i32 s2, s43, 31
	v_bfe_u32 v30, v0, 1, 5
	v_mov_b32_e32 v19, 0
	s_waitcnt lgkmcnt(0)
	s_add_u32 s0, s0, s43
	s_addc_u32 s1, s1, s2
	s_abs_i32 s46, s22
	v_cvt_f32_u32_e32 v3, s46
	v_lshlrev_b32_e32 v18, 4, v30
	v_lshl_add_u64 v[20:21], s[0:1], 0, v[18:19]
	s_sub_i32 s0, 0, s46
	v_rcp_iflag_f32_e32 v3, v3
	v_cmp_eq_u32_e32 vcc, 0, v2
	v_lshlrev_b32_e32 v31, 6, v2
	v_lshlrev_b32_e32 v18, 2, v2
	v_mul_f32_e32 v3, 0x4f7ffffe, v3
	v_cvt_u32_f32_e32 v3, v3
	s_mov_b32 s47, s17
	v_cmp_neq_f32_e64 s[2:3], s44, 0
	v_lshlrev_b32_e32 v34, 5, v1
	v_mul_lo_u32 v2, s0, v3
	s_lshl_b64 s[0:1], s[30:31], 2
	v_mul_hi_u32 v2, v3, v2
	s_add_u32 s0, s28, s0
	v_add_u32_e32 v33, v3, v2
	v_and_b32_e32 v2, 60, v28
	v_mov_b32_e32 v3, v19
	s_addc_u32 s1, s29, s1
	v_lshl_add_u64 v[22:23], s[0:1], 0, v[2:3]
	v_lshlrev_b32_e32 v2, 2, v30
	v_lshl_or_b32 v2, v1, 7, v2
	v_add_u32_e32 v35, 0x90, v2
	v_subrev_u32_e32 v2, s33, v30
	v_add_u32_e32 v36, 1, v2
	s_mov_b64 s[38:39], 0
	v_mov_b32_e32 v37, 0xff7fffff
	s_mov_b32 s48, 0x7f800000
	s_movk_i32 s49, 0x7fff
	v_mbcnt_hi_u32_b32 v38, -1, v29
	v_mov_b32_e32 v32, 0xff7fffff
	v_mov_b32_e32 v39, v1
	s_branch .LBB327_13
.LBB327_11:                             ;   in Loop: Header=BB327_13 Depth=1
	s_or_b64 exec, exec, s[40:41]
.LBB327_12:                             ;   in Loop: Header=BB327_13 Depth=1
	s_or_b64 exec, exec, s[8:9]
	v_add_u32_e32 v39, 2, v39
	v_cmp_le_i32_e64 s[0:1], s20, v39
	v_lshl_add_u64 v[22:23], v[22:23], 0, 8
	v_add_u32_e32 v34, 64, v34
	s_or_b64 s[38:39], s[0:1], s[38:39]
	v_add_u32_e32 v35, 0x100, v35
	s_andn2_b64 exec, exec, s[38:39]
	s_cbranch_execz .LBB327_146
.LBB327_13:                             ; =>This Inner Loop Header: Depth=1
	v_mul_hi_u32 v2, v34, s25
	s_waitcnt lgkmcnt(0)
	v_mul_lo_u32 v3, v2, s16
	v_sub_u32_e32 v3, v34, v3
	v_add_u32_e32 v4, 1, v2
	v_cmp_le_u32_e64 s[0:1], s16, v3
	s_nop 1
	v_cndmask_b32_e64 v2, v2, v4, s[0:1]
	v_subrev_u32_e32 v4, s16, v3
	v_cndmask_b32_e64 v3, v3, v4, s[0:1]
	v_add_u32_e32 v4, 1, v2
	v_cmp_le_u32_e64 s[0:1], s16, v3
	s_nop 1
	v_cndmask_b32_e64 v2, v2, v4, s[0:1]
	v_xor_b32_e32 v2, s23, v2
	v_subrev_u32_e32 v2, s23, v2
	v_add_u32_e32 v3, s36, v2
	v_sub_u32_e32 v5, 0, v3
	v_ashrrev_i32_e32 v4, 31, v3
	v_max_i32_e32 v3, v3, v5
	v_mul_hi_u32 v5, v3, v33
	v_mul_lo_u32 v5, v5, s46
	v_sub_u32_e32 v3, v3, v5
	v_subrev_u32_e32 v5, s46, v3
	v_cmp_le_u32_e64 s[0:1], s46, v3
	v_cmp_ge_i32_e64 s[8:9], s45, v2
	s_nop 0
	v_cndmask_b32_e64 v3, v3, v5, s[0:1]
	v_subrev_u32_e32 v5, s46, v3
	v_cmp_le_u32_e64 s[0:1], s46, v3
	s_nop 1
	v_cndmask_b32_e64 v3, v3, v5, s[0:1]
	v_xor_b32_e32 v3, v3, v4
	v_sub_u32_e32 v3, v3, v4
	v_cmp_ne_u32_e64 s[0:1], 0, v3
	s_and_b64 s[0:1], s[0:1], s[8:9]
	s_and_b64 s[40:41], vcc, s[0:1]
	s_and_saveexec_b64 s[8:9], s[40:41]
	s_cbranch_execz .LBB327_15
; %bb.14:                               ;   in Loop: Header=BB327_13 Depth=1
	ds_write_b32 v35, v37
.LBB327_15:                             ;   in Loop: Header=BB327_13 Depth=1
	s_or_b64 exec, exec, s[8:9]
	s_xor_b64 s[0:1], s[0:1], -1
	s_and_saveexec_b64 s[8:9], s[0:1]
	s_cbranch_execz .LBB327_12
; %bb.16:                               ;   in Loop: Header=BB327_13 Depth=1
	global_load_dword v2, v[22:23], off
	s_waitcnt vmcnt(0)
	v_mad_i64_i32 v[2:3], s[0:1], v2, s47, v[20:21]
	v_lshl_add_u64 v[24:25], v[2:3], 0, v[18:19]
	global_load_dword v43, v[24:25], off
	ds_read_b128 v[14:17], v31
	ds_read_b128 v[6:9], v31 offset:16
	s_load_dword s50, s[12:13], 0x0
	s_waitcnt vmcnt(0)
	v_and_b32_e32 v2, 0xff, v43
	v_cvt_f32_fp8_sdwa v40, v2 src0_sel:BYTE_0
	ds_read_b128 v[10:13], v31 offset:32
	ds_read_b128 v[2:5], v31 offset:48
	s_waitcnt lgkmcnt(0)
	v_mul_f32_e32 v41, s50, v40
	v_and_b32_e32 v40, 0x7f800000, v41
	v_cmp_ne_u32_e64 s[0:1], s48, v40
                                        ; implicit-def: $vgpr40
	s_and_saveexec_b64 s[40:41], s[0:1]
	s_xor_b64 s[0:1], exec, s[40:41]
; %bb.17:                               ;   in Loop: Header=BB327_13 Depth=1
	v_bfe_u32 v40, v41, 16, 1
	v_add3_u32 v40, v41, v40, s49
                                        ; implicit-def: $vgpr41
; %bb.18:                               ;   in Loop: Header=BB327_13 Depth=1
	s_andn2_saveexec_b64 s[40:41], s[0:1]
; %bb.19:                               ;   in Loop: Header=BB327_13 Depth=1
	v_or_b32_e32 v40, 0x10000, v41
	v_cmp_eq_u32_sdwa s[0:1], v41, v19 src0_sel:WORD_0 src1_sel:DWORD
	s_nop 1
	v_cndmask_b32_e64 v40, v40, v41, s[0:1]
; %bb.20:                               ;   in Loop: Header=BB327_13 Depth=1
	s_or_b64 exec, exec, s[40:41]
	v_bfe_u32 v41, v43, 8, 8
	v_cvt_f32_fp8_sdwa v41, v41 src0_sel:BYTE_0
	s_nop 0
	v_mul_f32_e32 v42, s50, v41
	v_and_b32_e32 v41, 0x7f800000, v42
	v_cmp_ne_u32_e64 s[0:1], s48, v41
                                        ; implicit-def: $vgpr41
	s_and_saveexec_b64 s[40:41], s[0:1]
	s_xor_b64 s[0:1], exec, s[40:41]
; %bb.21:                               ;   in Loop: Header=BB327_13 Depth=1
	v_bfe_u32 v41, v42, 16, 1
	v_add3_u32 v41, v42, v41, s49
                                        ; implicit-def: $vgpr42
; %bb.22:                               ;   in Loop: Header=BB327_13 Depth=1
	s_andn2_saveexec_b64 s[40:41], s[0:1]
; %bb.23:                               ;   in Loop: Header=BB327_13 Depth=1
	v_or_b32_e32 v41, 0x10000, v42
	v_cmp_eq_u32_sdwa s[0:1], v42, v19 src0_sel:WORD_0 src1_sel:DWORD
	s_nop 1
	v_cndmask_b32_e64 v41, v41, v42, s[0:1]
; %bb.24:                               ;   in Loop: Header=BB327_13 Depth=1
	s_or_b64 exec, exec, s[40:41]
	v_bfe_u32 v42, v43, 16, 8
	v_cvt_f32_fp8_sdwa v42, v42 src0_sel:BYTE_0
	s_nop 0
	v_mul_f32_e32 v44, s50, v42
	v_and_b32_e32 v42, 0x7f800000, v44
	v_cmp_ne_u32_e64 s[0:1], s48, v42
                                        ; implicit-def: $vgpr42
	s_and_saveexec_b64 s[40:41], s[0:1]
	s_xor_b64 s[0:1], exec, s[40:41]
; %bb.25:                               ;   in Loop: Header=BB327_13 Depth=1
	v_bfe_u32 v42, v44, 16, 1
	v_add3_u32 v42, v44, v42, s49
                                        ; implicit-def: $vgpr44
; %bb.26:                               ;   in Loop: Header=BB327_13 Depth=1
	s_andn2_saveexec_b64 s[40:41], s[0:1]
; %bb.27:                               ;   in Loop: Header=BB327_13 Depth=1
	v_or_b32_e32 v42, 0x10000, v44
	v_cmp_eq_u32_sdwa s[0:1], v44, v19 src0_sel:WORD_0 src1_sel:DWORD
	s_nop 1
	v_cndmask_b32_e64 v42, v42, v44, s[0:1]
; %bb.28:                               ;   in Loop: Header=BB327_13 Depth=1
	s_or_b64 exec, exec, s[40:41]
	v_lshrrev_b32_e32 v43, 24, v43
	v_cvt_f32_fp8_sdwa v43, v43 src0_sel:BYTE_0
	s_nop 0
	v_mul_f32_e32 v44, s50, v43
	v_and_b32_e32 v43, 0x7f800000, v44
	v_cmp_ne_u32_e64 s[0:1], s48, v43
                                        ; implicit-def: $vgpr43
	s_and_saveexec_b64 s[40:41], s[0:1]
	s_xor_b64 s[0:1], exec, s[40:41]
; %bb.29:                               ;   in Loop: Header=BB327_13 Depth=1
	v_bfe_u32 v43, v44, 16, 1
	v_add3_u32 v43, v44, v43, s49
                                        ; implicit-def: $vgpr44
; %bb.30:                               ;   in Loop: Header=BB327_13 Depth=1
	s_andn2_saveexec_b64 s[40:41], s[0:1]
; %bb.31:                               ;   in Loop: Header=BB327_13 Depth=1
	v_or_b32_e32 v43, 0x10000, v44
	v_cmp_eq_u32_sdwa s[0:1], v44, v19 src0_sel:WORD_0 src1_sel:DWORD
	s_nop 1
	v_cndmask_b32_e64 v43, v43, v44, s[0:1]
; %bb.32:                               ;   in Loop: Header=BB327_13 Depth=1
	s_or_b64 exec, exec, s[40:41]
	global_load_dword v47, v[24:25], off offset:8
	s_waitcnt vmcnt(0)
	v_and_b32_e32 v44, 0xff, v47
	v_cvt_f32_fp8_sdwa v44, v44 src0_sel:BYTE_0
	s_nop 0
	v_mul_f32_e32 v45, s50, v44
	v_and_b32_e32 v44, 0x7f800000, v45
	v_cmp_ne_u32_e64 s[0:1], s48, v44
                                        ; implicit-def: $vgpr44
	s_and_saveexec_b64 s[40:41], s[0:1]
	s_xor_b64 s[0:1], exec, s[40:41]
; %bb.33:                               ;   in Loop: Header=BB327_13 Depth=1
	v_bfe_u32 v44, v45, 16, 1
	v_add3_u32 v44, v45, v44, s49
                                        ; implicit-def: $vgpr45
; %bb.34:                               ;   in Loop: Header=BB327_13 Depth=1
	s_andn2_saveexec_b64 s[40:41], s[0:1]
; %bb.35:                               ;   in Loop: Header=BB327_13 Depth=1
	v_or_b32_e32 v44, 0x10000, v45
	v_cmp_eq_u32_sdwa s[0:1], v45, v19 src0_sel:WORD_0 src1_sel:DWORD
	s_nop 1
	v_cndmask_b32_e64 v44, v44, v45, s[0:1]
; %bb.36:                               ;   in Loop: Header=BB327_13 Depth=1
	s_or_b64 exec, exec, s[40:41]
	v_bfe_u32 v45, v47, 8, 8
	v_cvt_f32_fp8_sdwa v45, v45 src0_sel:BYTE_0
	s_nop 0
	v_mul_f32_e32 v46, s50, v45
	v_and_b32_e32 v45, 0x7f800000, v46
	v_cmp_ne_u32_e64 s[0:1], s48, v45
                                        ; implicit-def: $vgpr45
	s_and_saveexec_b64 s[40:41], s[0:1]
	s_xor_b64 s[0:1], exec, s[40:41]
; %bb.37:                               ;   in Loop: Header=BB327_13 Depth=1
	v_bfe_u32 v45, v46, 16, 1
	v_add3_u32 v45, v46, v45, s49
                                        ; implicit-def: $vgpr46
; %bb.38:                               ;   in Loop: Header=BB327_13 Depth=1
	s_andn2_saveexec_b64 s[40:41], s[0:1]
; %bb.39:                               ;   in Loop: Header=BB327_13 Depth=1
	v_or_b32_e32 v45, 0x10000, v46
	v_cmp_eq_u32_sdwa s[0:1], v46, v19 src0_sel:WORD_0 src1_sel:DWORD
	s_nop 1
	v_cndmask_b32_e64 v45, v45, v46, s[0:1]
; %bb.40:                               ;   in Loop: Header=BB327_13 Depth=1
	s_or_b64 exec, exec, s[40:41]
	v_bfe_u32 v46, v47, 16, 8
	v_cvt_f32_fp8_sdwa v46, v46 src0_sel:BYTE_0
	s_nop 0
	v_mul_f32_e32 v48, s50, v46
	v_and_b32_e32 v46, 0x7f800000, v48
	v_cmp_ne_u32_e64 s[0:1], s48, v46
                                        ; implicit-def: $vgpr46
	s_and_saveexec_b64 s[40:41], s[0:1]
	s_xor_b64 s[0:1], exec, s[40:41]
; %bb.41:                               ;   in Loop: Header=BB327_13 Depth=1
	v_bfe_u32 v46, v48, 16, 1
	v_add3_u32 v46, v48, v46, s49
                                        ; implicit-def: $vgpr48
; %bb.42:                               ;   in Loop: Header=BB327_13 Depth=1
	s_andn2_saveexec_b64 s[40:41], s[0:1]
; %bb.43:                               ;   in Loop: Header=BB327_13 Depth=1
	v_or_b32_e32 v46, 0x10000, v48
	v_cmp_eq_u32_sdwa s[0:1], v48, v19 src0_sel:WORD_0 src1_sel:DWORD
	s_nop 1
	v_cndmask_b32_e64 v46, v46, v48, s[0:1]
; %bb.44:                               ;   in Loop: Header=BB327_13 Depth=1
	s_or_b64 exec, exec, s[40:41]
	v_lshrrev_b32_e32 v47, 24, v47
	v_cvt_f32_fp8_sdwa v47, v47 src0_sel:BYTE_0
	s_nop 0
	v_mul_f32_e32 v48, s50, v47
	v_and_b32_e32 v47, 0x7f800000, v48
	v_cmp_ne_u32_e64 s[0:1], s48, v47
                                        ; implicit-def: $vgpr47
	s_and_saveexec_b64 s[40:41], s[0:1]
	s_xor_b64 s[0:1], exec, s[40:41]
; %bb.45:                               ;   in Loop: Header=BB327_13 Depth=1
	v_bfe_u32 v47, v48, 16, 1
	v_add3_u32 v47, v48, v47, s49
                                        ; implicit-def: $vgpr48
; %bb.46:                               ;   in Loop: Header=BB327_13 Depth=1
	s_andn2_saveexec_b64 s[40:41], s[0:1]
; %bb.47:                               ;   in Loop: Header=BB327_13 Depth=1
	v_or_b32_e32 v47, 0x10000, v48
	v_cmp_eq_u32_sdwa s[0:1], v48, v19 src0_sel:WORD_0 src1_sel:DWORD
	s_nop 1
	v_cndmask_b32_e64 v47, v47, v48, s[0:1]
; %bb.48:                               ;   in Loop: Header=BB327_13 Depth=1
	s_or_b64 exec, exec, s[40:41]
	global_load_dword v51, v[24:25], off offset:512
	s_waitcnt vmcnt(0)
	v_and_b32_e32 v48, 0xff, v51
	v_cvt_f32_fp8_sdwa v48, v48 src0_sel:BYTE_0
	s_nop 0
	v_mul_f32_e32 v49, s50, v48
	v_and_b32_e32 v48, 0x7f800000, v49
	v_cmp_ne_u32_e64 s[0:1], s48, v48
                                        ; implicit-def: $vgpr48
	s_and_saveexec_b64 s[40:41], s[0:1]
	s_xor_b64 s[0:1], exec, s[40:41]
; %bb.49:                               ;   in Loop: Header=BB327_13 Depth=1
	v_bfe_u32 v48, v49, 16, 1
	v_add3_u32 v48, v49, v48, s49
                                        ; implicit-def: $vgpr49
; %bb.50:                               ;   in Loop: Header=BB327_13 Depth=1
	s_andn2_saveexec_b64 s[40:41], s[0:1]
; %bb.51:                               ;   in Loop: Header=BB327_13 Depth=1
	v_or_b32_e32 v48, 0x10000, v49
	v_cmp_eq_u32_sdwa s[0:1], v49, v19 src0_sel:WORD_0 src1_sel:DWORD
	s_nop 1
	v_cndmask_b32_e64 v48, v48, v49, s[0:1]
; %bb.52:                               ;   in Loop: Header=BB327_13 Depth=1
	s_or_b64 exec, exec, s[40:41]
	v_bfe_u32 v49, v51, 8, 8
	v_cvt_f32_fp8_sdwa v49, v49 src0_sel:BYTE_0
	s_nop 0
	v_mul_f32_e32 v50, s50, v49
	v_and_b32_e32 v49, 0x7f800000, v50
	v_cmp_ne_u32_e64 s[0:1], s48, v49
                                        ; implicit-def: $vgpr49
	s_and_saveexec_b64 s[40:41], s[0:1]
	s_xor_b64 s[0:1], exec, s[40:41]
; %bb.53:                               ;   in Loop: Header=BB327_13 Depth=1
	v_bfe_u32 v49, v50, 16, 1
	v_add3_u32 v49, v50, v49, s49
                                        ; implicit-def: $vgpr50
; %bb.54:                               ;   in Loop: Header=BB327_13 Depth=1
	s_andn2_saveexec_b64 s[40:41], s[0:1]
; %bb.55:                               ;   in Loop: Header=BB327_13 Depth=1
	v_or_b32_e32 v49, 0x10000, v50
	v_cmp_eq_u32_sdwa s[0:1], v50, v19 src0_sel:WORD_0 src1_sel:DWORD
	s_nop 1
	v_cndmask_b32_e64 v49, v49, v50, s[0:1]
; %bb.56:                               ;   in Loop: Header=BB327_13 Depth=1
	s_or_b64 exec, exec, s[40:41]
	v_bfe_u32 v50, v51, 16, 8
	v_cvt_f32_fp8_sdwa v50, v50 src0_sel:BYTE_0
	s_nop 0
	v_mul_f32_e32 v52, s50, v50
	v_and_b32_e32 v50, 0x7f800000, v52
	v_cmp_ne_u32_e64 s[0:1], s48, v50
                                        ; implicit-def: $vgpr50
	s_and_saveexec_b64 s[40:41], s[0:1]
	s_xor_b64 s[0:1], exec, s[40:41]
; %bb.57:                               ;   in Loop: Header=BB327_13 Depth=1
	v_bfe_u32 v50, v52, 16, 1
	v_add3_u32 v50, v52, v50, s49
                                        ; implicit-def: $vgpr52
; %bb.58:                               ;   in Loop: Header=BB327_13 Depth=1
	s_andn2_saveexec_b64 s[40:41], s[0:1]
; %bb.59:                               ;   in Loop: Header=BB327_13 Depth=1
	v_or_b32_e32 v50, 0x10000, v52
	v_cmp_eq_u32_sdwa s[0:1], v52, v19 src0_sel:WORD_0 src1_sel:DWORD
	s_nop 1
	v_cndmask_b32_e64 v50, v50, v52, s[0:1]
; %bb.60:                               ;   in Loop: Header=BB327_13 Depth=1
	s_or_b64 exec, exec, s[40:41]
	v_lshrrev_b32_e32 v51, 24, v51
	v_cvt_f32_fp8_sdwa v51, v51 src0_sel:BYTE_0
	s_nop 0
	v_mul_f32_e32 v52, s50, v51
	v_and_b32_e32 v51, 0x7f800000, v52
	v_cmp_ne_u32_e64 s[0:1], s48, v51
                                        ; implicit-def: $vgpr51
	s_and_saveexec_b64 s[40:41], s[0:1]
	s_xor_b64 s[0:1], exec, s[40:41]
; %bb.61:                               ;   in Loop: Header=BB327_13 Depth=1
	v_bfe_u32 v51, v52, 16, 1
	v_add3_u32 v51, v52, v51, s49
                                        ; implicit-def: $vgpr52
; %bb.62:                               ;   in Loop: Header=BB327_13 Depth=1
	s_andn2_saveexec_b64 s[40:41], s[0:1]
; %bb.63:                               ;   in Loop: Header=BB327_13 Depth=1
	v_or_b32_e32 v51, 0x10000, v52
	v_cmp_eq_u32_sdwa s[0:1], v52, v19 src0_sel:WORD_0 src1_sel:DWORD
	s_nop 1
	v_cndmask_b32_e64 v51, v51, v52, s[0:1]
; %bb.64:                               ;   in Loop: Header=BB327_13 Depth=1
	s_or_b64 exec, exec, s[40:41]
	global_load_dword v55, v[24:25], off offset:520
	s_waitcnt vmcnt(0)
	v_and_b32_e32 v52, 0xff, v55
	v_cvt_f32_fp8_sdwa v52, v52 src0_sel:BYTE_0
	s_nop 0
	v_mul_f32_e32 v53, s50, v52
	v_and_b32_e32 v52, 0x7f800000, v53
	v_cmp_ne_u32_e64 s[0:1], s48, v52
                                        ; implicit-def: $vgpr52
	s_and_saveexec_b64 s[40:41], s[0:1]
	s_xor_b64 s[0:1], exec, s[40:41]
; %bb.65:                               ;   in Loop: Header=BB327_13 Depth=1
	v_bfe_u32 v52, v53, 16, 1
	v_add3_u32 v52, v53, v52, s49
                                        ; implicit-def: $vgpr53
; %bb.66:                               ;   in Loop: Header=BB327_13 Depth=1
	s_andn2_saveexec_b64 s[40:41], s[0:1]
; %bb.67:                               ;   in Loop: Header=BB327_13 Depth=1
	v_or_b32_e32 v52, 0x10000, v53
	v_cmp_eq_u32_sdwa s[0:1], v53, v19 src0_sel:WORD_0 src1_sel:DWORD
	s_nop 1
	v_cndmask_b32_e64 v52, v52, v53, s[0:1]
; %bb.68:                               ;   in Loop: Header=BB327_13 Depth=1
	s_or_b64 exec, exec, s[40:41]
	v_bfe_u32 v53, v55, 8, 8
	v_cvt_f32_fp8_sdwa v53, v53 src0_sel:BYTE_0
	s_nop 0
	v_mul_f32_e32 v54, s50, v53
	v_and_b32_e32 v53, 0x7f800000, v54
	v_cmp_ne_u32_e64 s[0:1], s48, v53
                                        ; implicit-def: $vgpr53
	s_and_saveexec_b64 s[40:41], s[0:1]
	s_xor_b64 s[0:1], exec, s[40:41]
; %bb.69:                               ;   in Loop: Header=BB327_13 Depth=1
	v_bfe_u32 v53, v54, 16, 1
	v_add3_u32 v53, v54, v53, s49
                                        ; implicit-def: $vgpr54
; %bb.70:                               ;   in Loop: Header=BB327_13 Depth=1
	s_andn2_saveexec_b64 s[40:41], s[0:1]
; %bb.71:                               ;   in Loop: Header=BB327_13 Depth=1
	v_or_b32_e32 v53, 0x10000, v54
	v_cmp_eq_u32_sdwa s[0:1], v54, v19 src0_sel:WORD_0 src1_sel:DWORD
	s_nop 1
	v_cndmask_b32_e64 v53, v53, v54, s[0:1]
; %bb.72:                               ;   in Loop: Header=BB327_13 Depth=1
	s_or_b64 exec, exec, s[40:41]
	v_bfe_u32 v54, v55, 16, 8
	v_cvt_f32_fp8_sdwa v54, v54 src0_sel:BYTE_0
	s_nop 0
	v_mul_f32_e32 v56, s50, v54
	v_and_b32_e32 v54, 0x7f800000, v56
	v_cmp_ne_u32_e64 s[0:1], s48, v54
                                        ; implicit-def: $vgpr54
	s_and_saveexec_b64 s[40:41], s[0:1]
	s_xor_b64 s[0:1], exec, s[40:41]
; %bb.73:                               ;   in Loop: Header=BB327_13 Depth=1
	v_bfe_u32 v54, v56, 16, 1
	v_add3_u32 v54, v56, v54, s49
                                        ; implicit-def: $vgpr56
; %bb.74:                               ;   in Loop: Header=BB327_13 Depth=1
	s_andn2_saveexec_b64 s[40:41], s[0:1]
; %bb.75:                               ;   in Loop: Header=BB327_13 Depth=1
	v_or_b32_e32 v54, 0x10000, v56
	v_cmp_eq_u32_sdwa s[0:1], v56, v19 src0_sel:WORD_0 src1_sel:DWORD
	s_nop 1
	v_cndmask_b32_e64 v54, v54, v56, s[0:1]
; %bb.76:                               ;   in Loop: Header=BB327_13 Depth=1
	s_or_b64 exec, exec, s[40:41]
	v_lshrrev_b32_e32 v55, 24, v55
	v_cvt_f32_fp8_sdwa v55, v55 src0_sel:BYTE_0
	s_nop 0
	v_mul_f32_e32 v56, s50, v55
	v_and_b32_e32 v55, 0x7f800000, v56
	v_cmp_ne_u32_e64 s[0:1], s48, v55
                                        ; implicit-def: $vgpr55
	s_and_saveexec_b64 s[40:41], s[0:1]
	s_xor_b64 s[0:1], exec, s[40:41]
; %bb.77:                               ;   in Loop: Header=BB327_13 Depth=1
	v_bfe_u32 v55, v56, 16, 1
	v_add3_u32 v55, v56, v55, s49
                                        ; implicit-def: $vgpr56
; %bb.78:                               ;   in Loop: Header=BB327_13 Depth=1
	s_andn2_saveexec_b64 s[40:41], s[0:1]
; %bb.79:                               ;   in Loop: Header=BB327_13 Depth=1
	v_or_b32_e32 v55, 0x10000, v56
	v_cmp_eq_u32_sdwa s[0:1], v56, v19 src0_sel:WORD_0 src1_sel:DWORD
	s_nop 1
	v_cndmask_b32_e64 v55, v55, v56, s[0:1]
; %bb.80:                               ;   in Loop: Header=BB327_13 Depth=1
	s_or_b64 exec, exec, s[40:41]
	global_load_dword v59, v[24:25], off offset:1024
	s_waitcnt vmcnt(0)
	v_and_b32_e32 v56, 0xff, v59
	v_cvt_f32_fp8_sdwa v56, v56 src0_sel:BYTE_0
	s_nop 0
	v_mul_f32_e32 v57, s50, v56
	v_and_b32_e32 v56, 0x7f800000, v57
	v_cmp_ne_u32_e64 s[0:1], s48, v56
                                        ; implicit-def: $vgpr56
	s_and_saveexec_b64 s[40:41], s[0:1]
	s_xor_b64 s[0:1], exec, s[40:41]
; %bb.81:                               ;   in Loop: Header=BB327_13 Depth=1
	v_bfe_u32 v56, v57, 16, 1
	v_add3_u32 v56, v57, v56, s49
                                        ; implicit-def: $vgpr57
; %bb.82:                               ;   in Loop: Header=BB327_13 Depth=1
	s_andn2_saveexec_b64 s[40:41], s[0:1]
; %bb.83:                               ;   in Loop: Header=BB327_13 Depth=1
	v_or_b32_e32 v56, 0x10000, v57
	v_cmp_eq_u32_sdwa s[0:1], v57, v19 src0_sel:WORD_0 src1_sel:DWORD
	s_nop 1
	v_cndmask_b32_e64 v56, v56, v57, s[0:1]
; %bb.84:                               ;   in Loop: Header=BB327_13 Depth=1
	s_or_b64 exec, exec, s[40:41]
	v_bfe_u32 v57, v59, 8, 8
	v_cvt_f32_fp8_sdwa v57, v57 src0_sel:BYTE_0
	s_nop 0
	v_mul_f32_e32 v58, s50, v57
	v_and_b32_e32 v57, 0x7f800000, v58
	v_cmp_ne_u32_e64 s[0:1], s48, v57
                                        ; implicit-def: $vgpr57
	s_and_saveexec_b64 s[40:41], s[0:1]
	s_xor_b64 s[0:1], exec, s[40:41]
; %bb.85:                               ;   in Loop: Header=BB327_13 Depth=1
	v_bfe_u32 v57, v58, 16, 1
	v_add3_u32 v57, v58, v57, s49
                                        ; implicit-def: $vgpr58
; %bb.86:                               ;   in Loop: Header=BB327_13 Depth=1
	s_andn2_saveexec_b64 s[40:41], s[0:1]
; %bb.87:                               ;   in Loop: Header=BB327_13 Depth=1
	v_or_b32_e32 v57, 0x10000, v58
	v_cmp_eq_u32_sdwa s[0:1], v58, v19 src0_sel:WORD_0 src1_sel:DWORD
	s_nop 1
	v_cndmask_b32_e64 v57, v57, v58, s[0:1]
; %bb.88:                               ;   in Loop: Header=BB327_13 Depth=1
	s_or_b64 exec, exec, s[40:41]
	v_bfe_u32 v58, v59, 16, 8
	v_cvt_f32_fp8_sdwa v58, v58 src0_sel:BYTE_0
	s_nop 0
	v_mul_f32_e32 v60, s50, v58
	v_and_b32_e32 v58, 0x7f800000, v60
	v_cmp_ne_u32_e64 s[0:1], s48, v58
                                        ; implicit-def: $vgpr58
	s_and_saveexec_b64 s[40:41], s[0:1]
	s_xor_b64 s[0:1], exec, s[40:41]
; %bb.89:                               ;   in Loop: Header=BB327_13 Depth=1
	v_bfe_u32 v58, v60, 16, 1
	v_add3_u32 v58, v60, v58, s49
                                        ; implicit-def: $vgpr60
; %bb.90:                               ;   in Loop: Header=BB327_13 Depth=1
	s_andn2_saveexec_b64 s[40:41], s[0:1]
; %bb.91:                               ;   in Loop: Header=BB327_13 Depth=1
	v_or_b32_e32 v58, 0x10000, v60
	v_cmp_eq_u32_sdwa s[0:1], v60, v19 src0_sel:WORD_0 src1_sel:DWORD
	s_nop 1
	v_cndmask_b32_e64 v58, v58, v60, s[0:1]
; %bb.92:                               ;   in Loop: Header=BB327_13 Depth=1
	s_or_b64 exec, exec, s[40:41]
	v_lshrrev_b32_e32 v59, 24, v59
	v_cvt_f32_fp8_sdwa v59, v59 src0_sel:BYTE_0
	s_nop 0
	v_mul_f32_e32 v60, s50, v59
	v_and_b32_e32 v59, 0x7f800000, v60
	v_cmp_ne_u32_e64 s[0:1], s48, v59
                                        ; implicit-def: $vgpr59
	s_and_saveexec_b64 s[40:41], s[0:1]
	s_xor_b64 s[0:1], exec, s[40:41]
; %bb.93:                               ;   in Loop: Header=BB327_13 Depth=1
	v_bfe_u32 v59, v60, 16, 1
	v_add3_u32 v59, v60, v59, s49
                                        ; implicit-def: $vgpr60
; %bb.94:                               ;   in Loop: Header=BB327_13 Depth=1
	s_andn2_saveexec_b64 s[40:41], s[0:1]
; %bb.95:                               ;   in Loop: Header=BB327_13 Depth=1
	v_or_b32_e32 v59, 0x10000, v60
	v_cmp_eq_u32_sdwa s[0:1], v60, v19 src0_sel:WORD_0 src1_sel:DWORD
	s_nop 1
	v_cndmask_b32_e64 v59, v59, v60, s[0:1]
; %bb.96:                               ;   in Loop: Header=BB327_13 Depth=1
	s_or_b64 exec, exec, s[40:41]
	global_load_dword v63, v[24:25], off offset:1032
	s_waitcnt vmcnt(0)
	v_and_b32_e32 v60, 0xff, v63
	v_cvt_f32_fp8_sdwa v60, v60 src0_sel:BYTE_0
	s_nop 0
	v_mul_f32_e32 v61, s50, v60
	v_and_b32_e32 v60, 0x7f800000, v61
	v_cmp_ne_u32_e64 s[0:1], s48, v60
                                        ; implicit-def: $vgpr60
	s_and_saveexec_b64 s[40:41], s[0:1]
	s_xor_b64 s[0:1], exec, s[40:41]
; %bb.97:                               ;   in Loop: Header=BB327_13 Depth=1
	v_bfe_u32 v60, v61, 16, 1
	v_add3_u32 v60, v61, v60, s49
                                        ; implicit-def: $vgpr61
; %bb.98:                               ;   in Loop: Header=BB327_13 Depth=1
	s_andn2_saveexec_b64 s[40:41], s[0:1]
; %bb.99:                               ;   in Loop: Header=BB327_13 Depth=1
	v_or_b32_e32 v60, 0x10000, v61
	v_cmp_eq_u32_sdwa s[0:1], v61, v19 src0_sel:WORD_0 src1_sel:DWORD
	s_nop 1
	v_cndmask_b32_e64 v60, v60, v61, s[0:1]
; %bb.100:                              ;   in Loop: Header=BB327_13 Depth=1
	s_or_b64 exec, exec, s[40:41]
	v_bfe_u32 v61, v63, 8, 8
	v_cvt_f32_fp8_sdwa v61, v61 src0_sel:BYTE_0
	s_nop 0
	v_mul_f32_e32 v62, s50, v61
	v_and_b32_e32 v61, 0x7f800000, v62
	v_cmp_ne_u32_e64 s[0:1], s48, v61
                                        ; implicit-def: $vgpr61
	s_and_saveexec_b64 s[40:41], s[0:1]
	s_xor_b64 s[0:1], exec, s[40:41]
; %bb.101:                              ;   in Loop: Header=BB327_13 Depth=1
	v_bfe_u32 v61, v62, 16, 1
	v_add3_u32 v61, v62, v61, s49
                                        ; implicit-def: $vgpr62
; %bb.102:                              ;   in Loop: Header=BB327_13 Depth=1
	s_andn2_saveexec_b64 s[40:41], s[0:1]
; %bb.103:                              ;   in Loop: Header=BB327_13 Depth=1
	v_or_b32_e32 v61, 0x10000, v62
	v_cmp_eq_u32_sdwa s[0:1], v62, v19 src0_sel:WORD_0 src1_sel:DWORD
	s_nop 1
	v_cndmask_b32_e64 v61, v61, v62, s[0:1]
; %bb.104:                              ;   in Loop: Header=BB327_13 Depth=1
	s_or_b64 exec, exec, s[40:41]
	v_bfe_u32 v62, v63, 16, 8
	v_cvt_f32_fp8_sdwa v62, v62 src0_sel:BYTE_0
	s_nop 0
	v_mul_f32_e32 v64, s50, v62
	v_and_b32_e32 v62, 0x7f800000, v64
	v_cmp_ne_u32_e64 s[0:1], s48, v62
                                        ; implicit-def: $vgpr62
	s_and_saveexec_b64 s[40:41], s[0:1]
	s_xor_b64 s[0:1], exec, s[40:41]
; %bb.105:                              ;   in Loop: Header=BB327_13 Depth=1
	v_bfe_u32 v62, v64, 16, 1
	v_add3_u32 v62, v64, v62, s49
                                        ; implicit-def: $vgpr64
; %bb.106:                              ;   in Loop: Header=BB327_13 Depth=1
	s_andn2_saveexec_b64 s[40:41], s[0:1]
; %bb.107:                              ;   in Loop: Header=BB327_13 Depth=1
	v_or_b32_e32 v62, 0x10000, v64
	v_cmp_eq_u32_sdwa s[0:1], v64, v19 src0_sel:WORD_0 src1_sel:DWORD
	s_nop 1
	v_cndmask_b32_e64 v62, v62, v64, s[0:1]
; %bb.108:                              ;   in Loop: Header=BB327_13 Depth=1
	s_or_b64 exec, exec, s[40:41]
	v_lshrrev_b32_e32 v63, 24, v63
	v_cvt_f32_fp8_sdwa v63, v63 src0_sel:BYTE_0
	s_nop 0
	v_mul_f32_e32 v64, s50, v63
	v_and_b32_e32 v63, 0x7f800000, v64
	v_cmp_ne_u32_e64 s[0:1], s48, v63
                                        ; implicit-def: $vgpr63
	s_and_saveexec_b64 s[40:41], s[0:1]
	s_xor_b64 s[0:1], exec, s[40:41]
; %bb.109:                              ;   in Loop: Header=BB327_13 Depth=1
	v_bfe_u32 v63, v64, 16, 1
	v_add3_u32 v63, v64, v63, s49
                                        ; implicit-def: $vgpr64
; %bb.110:                              ;   in Loop: Header=BB327_13 Depth=1
	s_andn2_saveexec_b64 s[40:41], s[0:1]
; %bb.111:                              ;   in Loop: Header=BB327_13 Depth=1
	v_or_b32_e32 v63, 0x10000, v64
	v_cmp_eq_u32_sdwa s[0:1], v64, v19 src0_sel:WORD_0 src1_sel:DWORD
	s_nop 1
	v_cndmask_b32_e64 v63, v63, v64, s[0:1]
; %bb.112:                              ;   in Loop: Header=BB327_13 Depth=1
	s_or_b64 exec, exec, s[40:41]
	global_load_dword v67, v[24:25], off offset:1536
	s_waitcnt vmcnt(0)
	v_and_b32_e32 v64, 0xff, v67
	v_cvt_f32_fp8_sdwa v64, v64 src0_sel:BYTE_0
	s_nop 0
	v_mul_f32_e32 v65, s50, v64
	v_and_b32_e32 v64, 0x7f800000, v65
	v_cmp_ne_u32_e64 s[0:1], s48, v64
                                        ; implicit-def: $vgpr64
	s_and_saveexec_b64 s[40:41], s[0:1]
	s_xor_b64 s[0:1], exec, s[40:41]
; %bb.113:                              ;   in Loop: Header=BB327_13 Depth=1
	v_bfe_u32 v64, v65, 16, 1
	v_add3_u32 v64, v65, v64, s49
                                        ; implicit-def: $vgpr65
; %bb.114:                              ;   in Loop: Header=BB327_13 Depth=1
	s_andn2_saveexec_b64 s[40:41], s[0:1]
; %bb.115:                              ;   in Loop: Header=BB327_13 Depth=1
	v_or_b32_e32 v64, 0x10000, v65
	v_cmp_eq_u32_sdwa s[0:1], v65, v19 src0_sel:WORD_0 src1_sel:DWORD
	s_nop 1
	v_cndmask_b32_e64 v64, v64, v65, s[0:1]
; %bb.116:                              ;   in Loop: Header=BB327_13 Depth=1
	s_or_b64 exec, exec, s[40:41]
	v_bfe_u32 v65, v67, 8, 8
	v_cvt_f32_fp8_sdwa v65, v65 src0_sel:BYTE_0
	s_nop 0
	v_mul_f32_e32 v66, s50, v65
	v_and_b32_e32 v65, 0x7f800000, v66
	v_cmp_ne_u32_e64 s[0:1], s48, v65
                                        ; implicit-def: $vgpr65
	s_and_saveexec_b64 s[40:41], s[0:1]
	s_xor_b64 s[0:1], exec, s[40:41]
; %bb.117:                              ;   in Loop: Header=BB327_13 Depth=1
	v_bfe_u32 v65, v66, 16, 1
	v_add3_u32 v65, v66, v65, s49
                                        ; implicit-def: $vgpr66
; %bb.118:                              ;   in Loop: Header=BB327_13 Depth=1
	s_andn2_saveexec_b64 s[40:41], s[0:1]
; %bb.119:                              ;   in Loop: Header=BB327_13 Depth=1
	v_or_b32_e32 v65, 0x10000, v66
	v_cmp_eq_u32_sdwa s[0:1], v66, v19 src0_sel:WORD_0 src1_sel:DWORD
	s_nop 1
	v_cndmask_b32_e64 v65, v65, v66, s[0:1]
; %bb.120:                              ;   in Loop: Header=BB327_13 Depth=1
	s_or_b64 exec, exec, s[40:41]
	v_bfe_u32 v66, v67, 16, 8
	v_cvt_f32_fp8_sdwa v66, v66 src0_sel:BYTE_0
	s_nop 0
	v_mul_f32_e32 v68, s50, v66
	v_and_b32_e32 v66, 0x7f800000, v68
	v_cmp_ne_u32_e64 s[0:1], s48, v66
                                        ; implicit-def: $vgpr66
	s_and_saveexec_b64 s[40:41], s[0:1]
	s_xor_b64 s[0:1], exec, s[40:41]
; %bb.121:                              ;   in Loop: Header=BB327_13 Depth=1
	v_bfe_u32 v66, v68, 16, 1
	v_add3_u32 v66, v68, v66, s49
                                        ; implicit-def: $vgpr68
; %bb.122:                              ;   in Loop: Header=BB327_13 Depth=1
	s_andn2_saveexec_b64 s[40:41], s[0:1]
; %bb.123:                              ;   in Loop: Header=BB327_13 Depth=1
	v_or_b32_e32 v66, 0x10000, v68
	v_cmp_eq_u32_sdwa s[0:1], v68, v19 src0_sel:WORD_0 src1_sel:DWORD
	s_nop 1
	v_cndmask_b32_e64 v66, v66, v68, s[0:1]
; %bb.124:                              ;   in Loop: Header=BB327_13 Depth=1
	s_or_b64 exec, exec, s[40:41]
	v_lshrrev_b32_e32 v67, 24, v67
	v_cvt_f32_fp8_sdwa v67, v67 src0_sel:BYTE_0
	s_nop 0
	v_mul_f32_e32 v68, s50, v67
	v_and_b32_e32 v67, 0x7f800000, v68
	v_cmp_ne_u32_e64 s[0:1], s48, v67
                                        ; implicit-def: $vgpr67
	s_and_saveexec_b64 s[40:41], s[0:1]
	s_xor_b64 s[0:1], exec, s[40:41]
; %bb.125:                              ;   in Loop: Header=BB327_13 Depth=1
	v_bfe_u32 v67, v68, 16, 1
	v_add3_u32 v67, v68, v67, s49
                                        ; implicit-def: $vgpr68
; %bb.126:                              ;   in Loop: Header=BB327_13 Depth=1
	s_andn2_saveexec_b64 s[40:41], s[0:1]
; %bb.127:                              ;   in Loop: Header=BB327_13 Depth=1
	v_or_b32_e32 v67, 0x10000, v68
	v_cmp_eq_u32_sdwa s[0:1], v68, v19 src0_sel:WORD_0 src1_sel:DWORD
	s_nop 1
	v_cndmask_b32_e64 v67, v67, v68, s[0:1]
; %bb.128:                              ;   in Loop: Header=BB327_13 Depth=1
	s_or_b64 exec, exec, s[40:41]
	global_load_dword v68, v[24:25], off offset:1544
	s_waitcnt vmcnt(0)
	v_and_b32_e32 v24, 0xff, v68
	v_cvt_f32_fp8_sdwa v24, v24 src0_sel:BYTE_0
	s_nop 0
	v_mul_f32_e32 v24, s50, v24
	v_and_b32_e32 v25, 0x7f800000, v24
	v_cmp_ne_u32_e64 s[0:1], s48, v25
                                        ; implicit-def: $vgpr25
	s_and_saveexec_b64 s[40:41], s[0:1]
	s_xor_b64 s[0:1], exec, s[40:41]
; %bb.129:                              ;   in Loop: Header=BB327_13 Depth=1
	v_bfe_u32 v25, v24, 16, 1
	v_add3_u32 v25, v24, v25, s49
                                        ; implicit-def: $vgpr24
; %bb.130:                              ;   in Loop: Header=BB327_13 Depth=1
	s_andn2_saveexec_b64 s[40:41], s[0:1]
; %bb.131:                              ;   in Loop: Header=BB327_13 Depth=1
	v_or_b32_e32 v25, 0x10000, v24
	v_cmp_eq_u32_sdwa s[0:1], v24, v19 src0_sel:WORD_0 src1_sel:DWORD
	s_nop 1
	v_cndmask_b32_e64 v25, v25, v24, s[0:1]
; %bb.132:                              ;   in Loop: Header=BB327_13 Depth=1
	s_or_b64 exec, exec, s[40:41]
	v_bfe_u32 v24, v68, 8, 8
	v_cvt_f32_fp8_sdwa v24, v24 src0_sel:BYTE_0
	s_nop 0
	v_mul_f32_e32 v24, s50, v24
	v_and_b32_e32 v69, 0x7f800000, v24
	v_cmp_ne_u32_e64 s[0:1], s48, v69
                                        ; implicit-def: $vgpr69
	s_and_saveexec_b64 s[40:41], s[0:1]
	s_xor_b64 s[0:1], exec, s[40:41]
; %bb.133:                              ;   in Loop: Header=BB327_13 Depth=1
	v_bfe_u32 v69, v24, 16, 1
	v_add3_u32 v69, v24, v69, s49
                                        ; implicit-def: $vgpr24
; %bb.134:                              ;   in Loop: Header=BB327_13 Depth=1
	s_andn2_saveexec_b64 s[40:41], s[0:1]
; %bb.135:                              ;   in Loop: Header=BB327_13 Depth=1
	v_or_b32_e32 v69, 0x10000, v24
	v_cmp_eq_u32_sdwa s[0:1], v24, v19 src0_sel:WORD_0 src1_sel:DWORD
	s_nop 1
	v_cndmask_b32_e64 v69, v69, v24, s[0:1]
; %bb.136:                              ;   in Loop: Header=BB327_13 Depth=1
	s_or_b64 exec, exec, s[40:41]
	v_bfe_u32 v24, v68, 16, 8
	v_cvt_f32_fp8_sdwa v24, v24 src0_sel:BYTE_0
	s_nop 0
	v_mul_f32_e32 v70, s50, v24
	v_and_b32_e32 v24, 0x7f800000, v70
	v_cmp_ne_u32_e64 s[0:1], s48, v24
                                        ; implicit-def: $vgpr24
	s_and_saveexec_b64 s[40:41], s[0:1]
	s_xor_b64 s[0:1], exec, s[40:41]
; %bb.137:                              ;   in Loop: Header=BB327_13 Depth=1
	v_bfe_u32 v24, v70, 16, 1
	v_add3_u32 v24, v70, v24, s49
                                        ; implicit-def: $vgpr70
; %bb.138:                              ;   in Loop: Header=BB327_13 Depth=1
	s_andn2_saveexec_b64 s[40:41], s[0:1]
; %bb.139:                              ;   in Loop: Header=BB327_13 Depth=1
	v_or_b32_e32 v24, 0x10000, v70
	v_cmp_eq_u32_sdwa s[0:1], v70, v19 src0_sel:WORD_0 src1_sel:DWORD
	s_nop 1
	v_cndmask_b32_e64 v24, v24, v70, s[0:1]
; %bb.140:                              ;   in Loop: Header=BB327_13 Depth=1
	s_or_b64 exec, exec, s[40:41]
	v_lshrrev_b32_e32 v68, 24, v68
	v_cvt_f32_fp8_sdwa v68, v68 src0_sel:BYTE_0
	s_nop 0
	v_mul_f32_e32 v70, s50, v68
	v_and_b32_e32 v68, 0x7f800000, v70
	v_cmp_ne_u32_e64 s[0:1], s48, v68
                                        ; implicit-def: $vgpr68
	s_and_saveexec_b64 s[40:41], s[0:1]
	s_xor_b64 s[0:1], exec, s[40:41]
; %bb.141:                              ;   in Loop: Header=BB327_13 Depth=1
	v_bfe_u32 v68, v70, 16, 1
	v_add3_u32 v68, v70, v68, s49
                                        ; implicit-def: $vgpr70
; %bb.142:                              ;   in Loop: Header=BB327_13 Depth=1
	s_andn2_saveexec_b64 s[40:41], s[0:1]
; %bb.143:                              ;   in Loop: Header=BB327_13 Depth=1
	v_or_b32_e32 v68, 0x10000, v70
	v_cmp_eq_u32_sdwa s[0:1], v70, v19 src0_sel:WORD_0 src1_sel:DWORD
	s_nop 1
	v_cndmask_b32_e64 v68, v68, v70, s[0:1]
; %bb.144:                              ;   in Loop: Header=BB327_13 Depth=1
	s_or_b64 exec, exec, s[40:41]
	v_and_b32_e32 v45, 0xffff0000, v45
	v_and_b32_e32 v44, 0xffff0000, v44
	v_lshlrev_b32_e32 v72, 16, v16
	v_and_b32_e32 v16, 0xffff0000, v16
	v_and_b32_e32 v46, 0xffff0000, v46
	;; [unrolled: 1-line block ×4, first 2 shown]
	v_lshlrev_b32_e32 v70, 16, v14
	v_lshlrev_b32_e32 v73, 16, v17
	v_and_b32_e32 v14, 0xffff0000, v14
	v_mul_f32_e32 v44, v72, v44
	v_mul_f32_e32 v16, v16, v45
	v_and_b32_e32 v49, 0xffff0000, v49
	v_and_b32_e32 v48, 0xffff0000, v48
	;; [unrolled: 1-line block ×4, first 2 shown]
	v_lshlrev_b32_e32 v71, 16, v15
	v_lshlrev_b32_e32 v74, 16, v6
	v_and_b32_e32 v17, 0xffff0000, v17
	v_and_b32_e32 v6, 0xffff0000, v6
	v_fmac_f32_e32 v44, v70, v40
	v_fmac_f32_e32 v16, v14, v41
	v_mul_f32_e32 v14, v73, v46
	v_and_b32_e32 v53, 0xffff0000, v53
	v_and_b32_e32 v52, 0xffff0000, v52
	;; [unrolled: 1-line block ×4, first 2 shown]
	v_lshlrev_b32_e32 v75, 16, v7
	v_lshlrev_b32_e32 v76, 16, v8
	v_and_b32_e32 v15, 0xffff0000, v15
	v_and_b32_e32 v8, 0xffff0000, v8
	v_fmac_f32_e32 v14, v71, v42
	v_mul_f32_e32 v17, v17, v47
	v_fmac_f32_e32 v44, v74, v48
	v_fmac_f32_e32 v16, v6, v49
	v_and_b32_e32 v57, 0xffff0000, v57
	v_and_b32_e32 v56, 0xffff0000, v56
	v_and_b32_e32 v54, 0xffff0000, v54
	v_and_b32_e32 v51, 0xffff0000, v51
	v_lshlrev_b32_e32 v77, 16, v9
	v_lshlrev_b32_e32 v78, 16, v10
	v_and_b32_e32 v7, 0xffff0000, v7
	v_and_b32_e32 v10, 0xffff0000, v10
	v_fmac_f32_e32 v17, v15, v43
	v_fmac_f32_e32 v14, v75, v50
	v_fmac_f32_e32 v44, v76, v52
	v_fmac_f32_e32 v16, v8, v53
	v_and_b32_e32 v61, 0xffff0000, v61
	v_and_b32_e32 v60, 0xffff0000, v60
	v_and_b32_e32 v58, 0xffff0000, v58
	v_and_b32_e32 v55, 0xffff0000, v55
	v_lshlrev_b32_e32 v79, 16, v11
	v_lshlrev_b32_e32 v80, 16, v12
	v_and_b32_e32 v9, 0xffff0000, v9
	v_and_b32_e32 v12, 0xffff0000, v12
	v_fmac_f32_e32 v17, v7, v51
	v_fmac_f32_e32 v14, v77, v54
	;; [unrolled: 12-line block ×3, first 2 shown]
	v_fmac_f32_e32 v44, v80, v60
	v_fmac_f32_e32 v16, v12, v61
	v_and_b32_e32 v69, 0xffff0000, v69
	v_and_b32_e32 v25, 0xffff0000, v25
	;; [unrolled: 1-line block ×4, first 2 shown]
	v_lshlrev_b32_e32 v83, 16, v3
	v_lshlrev_b32_e32 v84, 16, v4
	v_and_b32_e32 v13, 0xffff0000, v13
	v_and_b32_e32 v4, 0xffff0000, v4
	;; [unrolled: 1-line block ×3, first 2 shown]
	v_fmac_f32_e32 v17, v11, v59
	v_fmac_f32_e32 v14, v81, v62
	;; [unrolled: 1-line block ×4, first 2 shown]
	v_and_b32_e32 v67, 0xffff0000, v67
	v_lshlrev_b32_e32 v85, 16, v5
	v_and_b32_e32 v3, 0xffff0000, v3
	v_xor_b32_e32 v86, 1, v38
	v_add_u32_e32 v87, 64, v87
	v_and_b32_e32 v24, 0xffff0000, v24
	v_fmac_f32_e32 v17, v13, v63
	v_fmac_f32_e32 v14, v83, v66
	;; [unrolled: 1-line block ×4, first 2 shown]
	v_and_b32_e32 v5, 0xffff0000, v5
	v_cmp_lt_i32_e64 s[0:1], v86, v87
	v_and_b32_e32 v68, 0xffff0000, v68
	v_fmac_f32_e32 v17, v3, v67
	v_fmac_f32_e32 v14, v85, v24
	v_add_f32_e32 v2, v44, v16
	v_cndmask_b32_e64 v86, v38, v86, s[0:1]
	v_fmac_f32_e32 v17, v5, v68
	v_add_f32_e32 v2, v2, v14
	v_lshlrev_b32_e32 v86, 2, v86
	v_add_f32_e32 v2, v2, v17
	ds_bpermute_b32 v3, v86, v2
	s_and_saveexec_b64 s[40:41], vcc
	s_cbranch_execz .LBB327_11
; %bb.145:                              ;   in Loop: Header=BB327_13 Depth=1
	v_add_u32_e32 v4, v36, v34
	v_cvt_f32_i32_e32 v4, v4
	s_waitcnt lgkmcnt(0)
	v_add_f32_e32 v2, v2, v3
	v_add_u32_e32 v5, v30, v34
	v_cmp_gt_i32_e64 s[0:1], s33, v5
	v_mul_f32_e32 v3, s44, v4
	v_cndmask_b32_e64 v3, 0, v3, s[2:3]
	v_fmac_f32_e32 v3, s37, v2
	v_cndmask_b32_e64 v2, 0, v3, s[0:1]
	ds_write_b32 v35, v2
	v_max_f32_e32 v2, v32, v32
	v_max_f32_e32 v2, v2, v3
	v_cndmask_b32_e64 v32, v32, v2, s[0:1]
	s_branch .LBB327_11
.LBB327_146:
	s_or_b64 exec, exec, s[38:39]
.LBB327_147:
	s_or_b64 exec, exec, s[18:19]
	v_mbcnt_hi_u32_b32 v8, -1, v29
	v_and_b32_e32 v2, 64, v8
	v_add_u32_e32 v9, 64, v2
	v_xor_b32_e32 v2, 32, v8
	v_cmp_lt_i32_e32 vcc, v2, v9
	v_xor_b32_e32 v5, 16, v8
	v_max_f32_e32 v4, v32, v32
	v_cndmask_b32_e32 v2, v8, v2, vcc
	v_lshlrev_b32_e32 v2, 2, v2
	s_waitcnt lgkmcnt(0)
	ds_bpermute_b32 v3, v2, v32
	v_cmp_lt_i32_e32 vcc, v5, v9
	v_xor_b32_e32 v6, 8, v8
	v_xor_b32_e32 v7, 4, v8
	;; [unrolled: 1-line block ×3, first 2 shown]
	s_waitcnt lgkmcnt(0)
	v_max_f32_e32 v3, v3, v3
	v_max_f32_e32 v4, v4, v3
	v_cndmask_b32_e32 v3, v8, v5, vcc
	v_lshlrev_b32_e32 v3, 2, v3
	ds_bpermute_b32 v5, v3, v4
	v_cmp_lt_i32_e32 vcc, v6, v9
	v_and_b32_e32 v20, 63, v0
	s_waitcnt lgkmcnt(0)
	v_max_f32_e32 v5, v5, v5
	v_max_f32_e32 v5, v4, v5
	v_cndmask_b32_e32 v4, v8, v6, vcc
	v_lshlrev_b32_e32 v4, 2, v4
	ds_bpermute_b32 v6, v4, v5
	v_cmp_lt_i32_e32 vcc, v7, v9
	s_waitcnt lgkmcnt(0)
	v_max_f32_e32 v6, v6, v6
	v_max_f32_e32 v6, v5, v6
	v_cndmask_b32_e32 v5, v8, v7, vcc
	v_lshlrev_b32_e32 v5, 2, v5
	ds_bpermute_b32 v7, v5, v6
	v_cmp_lt_i32_e32 vcc, v10, v9
	s_waitcnt lgkmcnt(0)
	v_max_f32_e32 v7, v7, v7
	v_max_f32_e32 v7, v6, v7
	v_cndmask_b32_e32 v6, v8, v10, vcc
	v_lshlrev_b32_e32 v21, 2, v6
	ds_bpermute_b32 v10, v21, v7
	v_cmp_eq_u32_e32 vcc, 0, v20
	v_lshlrev_b32_e32 v6, 2, v1
	s_and_saveexec_b64 s[0:1], vcc
	s_cbranch_execz .LBB327_149
; %bb.148:
	s_waitcnt lgkmcnt(0)
	v_max_f32_e32 v10, v10, v10
	v_max_f32_e32 v7, v7, v7
	;; [unrolled: 1-line block ×3, first 2 shown]
	ds_write_b32 v6, v7 offset:128
.LBB327_149:
	s_or_b64 exec, exec, s[0:1]
	v_cmp_gt_u32_e64 s[0:1], 2, v20
	s_waitcnt lgkmcnt(0)
	v_mov_b32_e32 v10, 0xff7fffff
	v_lshlrev_b32_e32 v7, 2, v20
	s_barrier
	s_and_saveexec_b64 s[2:3], s[0:1]
	s_cbranch_execz .LBB327_151
; %bb.150:
	ds_read_b32 v10, v7 offset:128
.LBB327_151:
	s_or_b64 exec, exec, s[2:3]
	v_xor_b32_e32 v11, 1, v8
	v_cmp_lt_i32_e64 s[2:3], v11, v9
	s_nop 1
	v_cndmask_b32_e64 v9, v8, v11, s[2:3]
	v_lshlrev_b32_e32 v22, 2, v9
	s_waitcnt lgkmcnt(0)
	ds_bpermute_b32 v9, v22, v10
	v_max_f32_e32 v10, v10, v10
	v_lshlrev_b32_e32 v8, 2, v8
	v_and_b32_e32 v8, 0x100, v8
	s_lshl_b32 s2, s20, 5
	s_waitcnt lgkmcnt(0)
	v_max_f32_e32 v9, v9, v9
	v_max_f32_e32 v9, v10, v9
	ds_bpermute_b32 v10, v8, v9
	s_min_i32 s37, s2, s33
	v_cmp_gt_i32_e64 s[2:3], s37, v0
	v_mov_b32_e32 v9, 0
	s_and_saveexec_b64 s[12:13], s[2:3]
	s_cbranch_execz .LBB327_155
; %bb.152:
	v_mov_b32_e32 v9, 0x90
	v_lshl_add_u32 v11, v0, 2, v9
	s_mov_b64 s[18:19], 0
	v_mov_b32_e32 v9, 0
	v_mov_b32_e32 v12, v0
.LBB327_153:                            ; =>This Inner Loop Header: Depth=1
	ds_read_b32 v13, v11
	v_add_u32_e32 v12, 0x80, v12
	v_cmp_le_i32_e64 s[8:9], s37, v12
	s_or_b64 s[18:19], s[8:9], s[18:19]
	s_waitcnt lgkmcnt(0)
	v_sub_f32_e32 v13, v13, v10
	v_mul_f32_e32 v13, 0x3fb8aa3b, v13
	v_exp_f32_e32 v13, v13
	ds_write_b32 v11, v13
	v_add_f32_e32 v9, v9, v13
	v_add_u32_e32 v11, 0x200, v11
	s_andn2_b64 exec, exec, s[18:19]
	s_cbranch_execnz .LBB327_153
; %bb.154:
	s_or_b64 exec, exec, s[18:19]
.LBB327_155:
	s_or_b64 exec, exec, s[12:13]
	ds_bpermute_b32 v2, v2, v9
	s_waitcnt lgkmcnt(0)
	v_add_f32_e32 v2, v9, v2
	ds_bpermute_b32 v3, v3, v2
	s_waitcnt lgkmcnt(0)
	v_add_f32_e32 v2, v2, v3
	;; [unrolled: 3-line block ×6, first 2 shown]
	s_and_saveexec_b64 s[8:9], vcc
	s_cbranch_execz .LBB327_157
; %bb.156:
	ds_write_b32 v6, v2 offset:136
.LBB327_157:
	s_or_b64 exec, exec, s[8:9]
	s_waitcnt lgkmcnt(0)
	s_barrier
	s_and_saveexec_b64 s[8:9], s[0:1]
	s_cbranch_execz .LBB327_159
; %bb.158:
	ds_read_b32 v2, v7 offset:136
.LBB327_159:
	s_or_b64 exec, exec, s[8:9]
	s_waitcnt lgkmcnt(0)
	ds_bpermute_b32 v3, v22, v2
	s_waitcnt lgkmcnt(0)
	v_add_f32_e32 v2, v2, v3
	ds_bpermute_b32 v2, v8, v2
	s_and_saveexec_b64 s[0:1], s[2:3]
	s_cbranch_execz .LBB327_172
; %bb.160:
	s_waitcnt lgkmcnt(0)
	v_add_f32_e32 v2, 0x358637bd, v2
	v_div_scale_f32 v3, s[2:3], v2, v2, 1.0
	v_rcp_f32_e32 v4, v3
	v_div_scale_f32 v5, vcc, 1.0, v2, 1.0
	s_movk_i32 s2, 0x7f
	v_fma_f32 v6, -v3, v4, 1.0
	v_fmac_f32_e32 v4, v6, v4
	v_mul_f32_e32 v6, v5, v4
	v_fma_f32 v7, -v3, v6, v5
	v_fmac_f32_e32 v6, v7, v4
	v_fma_f32 v3, -v3, v6, v5
	v_div_fmas_f32 v3, v3, v4, v6
	v_xad_u32 v4, v0, -1, s37
	v_div_fixup_f32 v2, v3, v2, 1.0
	v_cmp_lt_u32_e32 vcc, s2, v4
	s_mov_b64 s[8:9], -1
	v_mov_b32_e32 v3, v0
	s_and_saveexec_b64 s[2:3], vcc
	s_cbranch_execz .LBB327_169
; %bb.161:
	v_lshrrev_b32_e32 v4, 7, v4
	v_add_u32_e32 v6, -1, v4
	v_lshrrev_b32_e32 v5, 1, v6
	v_mov_b32_e32 v3, v2
	v_add_u32_e32 v5, 1, v5
	v_cmp_lt_u32_e32 vcc, 13, v6
	v_mov_b32_e32 v8, 0
	s_and_saveexec_b64 s[8:9], vcc
	s_cbranch_execz .LBB327_165
; %bb.162:
	v_mov_b32_e32 v7, 0x90
	v_and_b32_e32 v6, -8, v5
	v_lshl_add_u32 v7, v0, 2, v7
	s_mov_b32 s18, 0
	s_mov_b64 s[12:13], 0
.LBB327_163:                            ; =>This Inner Loop Header: Depth=1
	ds_read2st64_b32 v[8:9], v7 offset1:2
	ds_read2st64_b32 v[10:11], v7 offset0:4 offset1:6
	ds_read2st64_b32 v[12:13], v7 offset0:8 offset1:10
	;; [unrolled: 1-line block ×3, first 2 shown]
	v_add_u32_e32 v6, -8, v6
	s_waitcnt lgkmcnt(3)
	v_pk_mul_f32 v[8:9], v[2:3], v[8:9]
	s_waitcnt lgkmcnt(2)
	v_pk_mul_f32 v[10:11], v[2:3], v[10:11]
	ds_write2st64_b32 v7, v8, v9 offset1:2
	ds_write2st64_b32 v7, v10, v11 offset0:4 offset1:6
	ds_read2st64_b32 v[10:11], v7 offset0:16 offset1:18
	s_waitcnt lgkmcnt(4)
	v_pk_mul_f32 v[8:9], v[2:3], v[12:13]
	ds_write2st64_b32 v7, v8, v9 offset0:8 offset1:10
	s_waitcnt lgkmcnt(4)
	v_pk_mul_f32 v[8:9], v[2:3], v[14:15]
	ds_write2st64_b32 v7, v8, v9 offset0:12 offset1:14
	ds_read2st64_b32 v[8:9], v7 offset0:20 offset1:22
	s_waitcnt lgkmcnt(3)
	v_pk_mul_f32 v[10:11], v[2:3], v[10:11]
	ds_read2st64_b32 v[12:13], v7 offset0:24 offset1:26
	ds_write2st64_b32 v7, v10, v11 offset0:16 offset1:18
	ds_read2st64_b32 v[10:11], v7 offset0:28 offset1:30
	s_waitcnt lgkmcnt(3)
	v_pk_mul_f32 v[8:9], v[2:3], v[8:9]
	ds_write2st64_b32 v7, v8, v9 offset0:20 offset1:22
	s_waitcnt lgkmcnt(3)
	v_pk_mul_f32 v[8:9], v[2:3], v[12:13]
	ds_write2st64_b32 v7, v8, v9 offset0:24 offset1:26
	s_waitcnt lgkmcnt(2)
	v_pk_mul_f32 v[8:9], v[2:3], v[10:11]
	s_add_i32 s18, s18, 16
	v_cmp_eq_u32_e32 vcc, 0, v6
	ds_write2st64_b32 v7, v8, v9 offset0:28 offset1:30
	v_add_u32_e32 v7, 0x2000, v7
	s_or_b64 s[12:13], vcc, s[12:13]
	v_mov_b32_e32 v8, s18
	s_andn2_b64 exec, exec, s[12:13]
	s_cbranch_execnz .LBB327_163
; %bb.164:
	s_or_b64 exec, exec, s[12:13]
.LBB327_165:
	s_or_b64 exec, exec, s[8:9]
	v_and_b32_e32 v5, 7, v5
	v_cmp_ne_u32_e32 vcc, 0, v5
	s_and_saveexec_b64 s[8:9], vcc
	s_cbranch_execz .LBB327_168
; %bb.166:
	v_lshlrev_b32_e32 v6, 9, v8
	v_lshlrev_b32_e32 v7, 2, v0
	s_movk_i32 s12, 0x90
	v_add3_u32 v6, v6, v7, s12
	s_mov_b64 s[12:13], 0
.LBB327_167:                            ; =>This Inner Loop Header: Depth=1
	ds_read2st64_b32 v[8:9], v6 offset1:2
	v_add_u32_e32 v5, -1, v5
	v_cmp_eq_u32_e32 vcc, 0, v5
	s_or_b64 s[12:13], vcc, s[12:13]
	s_waitcnt lgkmcnt(0)
	v_pk_mul_f32 v[8:9], v[2:3], v[8:9]
	ds_write2st64_b32 v6, v8, v9 offset1:2
	v_add_u32_e32 v6, 0x400, v6
	s_andn2_b64 exec, exec, s[12:13]
	s_cbranch_execnz .LBB327_167
.LBB327_168:
	s_or_b64 exec, exec, s[8:9]
	v_add_u32_e32 v4, 1, v4
	v_and_b32_e32 v5, 0x3fffffe, v4
	v_cmp_ne_u32_e32 vcc, v4, v5
	v_lshl_add_u32 v3, v5, 7, v0
	s_orn2_b64 s[8:9], vcc, exec
.LBB327_169:
	s_or_b64 exec, exec, s[2:3]
	s_and_b64 exec, exec, s[8:9]
	s_cbranch_execz .LBB327_172
; %bb.170:
	v_mov_b32_e32 v4, 0x90
	v_lshl_add_u32 v4, v3, 2, v4
	s_mov_b64 s[2:3], 0
.LBB327_171:                            ; =>This Inner Loop Header: Depth=1
	ds_read_b32 v5, v4
	v_add_u32_e32 v3, 0x80, v3
	v_cmp_le_i32_e32 vcc, s37, v3
	s_or_b64 s[2:3], vcc, s[2:3]
	s_waitcnt lgkmcnt(0)
	v_mul_f32_e32 v5, v2, v5
	ds_write_b32 v4, v5
	v_add_u32_e32 v4, 0x200, v4
	s_andn2_b64 exec, exec, s[2:3]
	s_cbranch_execnz .LBB327_171
.LBB327_172:
	s_or_b64 exec, exec, s[0:1]
	s_mov_b32 s0, 0
	v_mov_b32_e32 v5, 0
	v_and_b32_e32 v23, 3, v0
	v_mov_b32_e32 v4, 0
	v_mov_b32_e32 v3, 0
	s_waitcnt lgkmcnt(0)
	v_mov_b32_e32 v2, 0
	s_barrier
	s_and_saveexec_b64 s[8:9], s[6:7]
	s_cbranch_execz .LBB327_474
; %bb.173:
	s_sub_i32 s18, s42, s21
	s_ashr_i32 s1, s43, 31
	s_add_u32 s2, s34, s43
	s_addc_u32 s3, s35, s1
	s_abs_i32 s19, s22
	v_cvt_f32_u32_e32 v2, s19
	v_and_b32_e32 v14, 0x1f8, v27
	v_mov_b32_e32 v15, 0
	s_sub_i32 s1, 0, s19
	v_rcp_iflag_f32_e32 v2, v2
	s_add_i32 s21, s20, -1
	v_lshl_add_u64 v[16:17], s[2:3], 0, v[14:15]
	s_lshl_b64 s[2:3], s[30:31], 2
	v_mul_f32_e32 v2, 0x4f7ffffe, v2
	v_cvt_u32_f32_e32 v2, v2
	s_add_u32 s2, s28, s2
	v_and_b32_e32 v14, 60, v28
	s_addc_u32 s3, s29, s3
	v_mul_lo_u32 v3, s1, v2
	v_mul_hi_u32 v3, v2, v3
	v_add_u32_e32 v25, v2, v3
	v_lshlrev_b32_e32 v2, 5, v23
	v_lshl_add_u64 v[18:19], s[2:3], 0, v[14:15]
	v_lshl_or_b32 v2, v1, 7, v2
	s_mov_b32 s2, s0
	s_mov_b32 s3, s0
	v_add_u32_e32 v14, 0x90, v2
	s_mov_b32 s1, s0
	v_mov_b64_e32 v[4:5], s[2:3]
	v_and_b32_e32 v24, 24, v27
	s_mov_b64 s[6:7], 0
	v_mov_b64_e32 v[2:3], s[0:1]
	s_mov_b32 s22, 0x7f800000
	s_movk_i32 s28, 0x7fff
	s_branch .LBB327_176
.LBB327_174:                            ;   in Loop: Header=BB327_176 Depth=1
	s_or_b64 exec, exec, s[0:1]
	v_and_b32_e32 v37, 0xffff0000, v38
	v_and_b32_e32 v39, 0xffff0000, v13
	;; [unrolled: 1-line block ×8, first 2 shown]
	v_pk_add_f32 v[10:11], v[10:11], v[38:39]
	v_pk_add_f32 v[12:13], v[28:29], v[36:37]
	v_add_f32_e32 v10, v10, v11
	v_add_f32_e32 v10, v10, v12
	v_add_f32_e32 v10, v10, v13
	v_and_b32_e32 v29, 0xffff0000, v50
	v_and_b32_e32 v28, 0xffff0000, v48
	v_and_b32_e32 v37, 0xffff0000, v49
	v_and_b32_e32 v36, 0xffff0000, v47
	v_add_f32_e32 v2, v2, v10
	v_and_b32_e32 v11, 0xffff0000, v54
	v_and_b32_e32 v10, 0xffff0000, v52
	v_and_b32_e32 v13, 0xffff0000, v53
	v_and_b32_e32 v12, 0xffff0000, v51
	v_pk_add_f32 v[28:29], v[36:37], v[28:29]
	v_pk_add_f32 v[10:11], v[12:13], v[10:11]
	v_add_f32_e32 v12, v28, v29
	v_add_f32_e32 v10, v12, v10
	v_add_f32_e32 v10, v10, v11
	v_and_b32_e32 v29, 0xffff0000, v56
	v_and_b32_e32 v28, 0xffff0000, v9
	v_and_b32_e32 v9, 0xffff0000, v55
	v_and_b32_e32 v8, 0xffff0000, v8
	v_add_f32_e32 v3, v3, v10
	v_and_b32_e32 v11, 0xffff0000, v60
	v_and_b32_e32 v10, 0xffff0000, v58
	v_and_b32_e32 v13, 0xffff0000, v59
	v_and_b32_e32 v12, 0xffff0000, v57
	;; [unrolled: 14-line block ×3, first 2 shown]
	v_pk_add_f32 v[6:7], v[6:7], v[12:13]
	v_pk_add_f32 v[8:9], v[10:11], v[8:9]
	v_add_f32_e32 v6, v6, v7
	v_add_f32_e32 v6, v6, v8
	;; [unrolled: 1-line block ×4, first 2 shown]
.LBB327_175:                            ;   in Loop: Header=BB327_176 Depth=1
	s_or_b64 exec, exec, s[2:3]
	v_add_u32_e32 v1, 2, v1
	v_cmp_le_i32_e32 vcc, s20, v1
	v_lshl_add_u64 v[18:19], v[18:19], 0, 8
	v_add_u32_e32 v26, 64, v26
	s_or_b64 s[6:7], vcc, s[6:7]
	v_add_u32_e32 v14, 0x100, v14
	s_andn2_b64 exec, exec, s[6:7]
	s_cbranch_execz .LBB327_473
.LBB327_176:                            ; =>This Inner Loop Header: Depth=1
	v_mul_hi_u32 v6, v26, s25
	v_mul_lo_u32 v7, v6, s16
	v_sub_u32_e32 v7, v26, v7
	v_add_u32_e32 v8, 1, v6
	v_cmp_le_u32_e32 vcc, s16, v7
	s_nop 1
	v_cndmask_b32_e32 v6, v6, v8, vcc
	v_subrev_u32_e32 v8, s16, v7
	v_cndmask_b32_e32 v7, v7, v8, vcc
	v_add_u32_e32 v8, 1, v6
	v_cmp_le_u32_e32 vcc, s16, v7
	s_nop 1
	v_cndmask_b32_e32 v6, v6, v8, vcc
	v_xor_b32_e32 v6, s23, v6
	v_subrev_u32_e32 v6, s23, v6
	v_add_u32_e32 v7, s36, v6
	v_sub_u32_e32 v9, 0, v7
	v_ashrrev_i32_e32 v8, 31, v7
	v_max_i32_e32 v7, v7, v9
	v_mul_hi_u32 v9, v7, v25
	v_mul_lo_u32 v9, v9, s19
	v_sub_u32_e32 v7, v7, v9
	v_subrev_u32_e32 v9, s19, v7
	v_cmp_le_u32_e32 vcc, s19, v7
	v_cmp_lt_i32_e64 s[0:1], s18, v6
	s_nop 0
	v_cndmask_b32_e32 v7, v7, v9, vcc
	v_subrev_u32_e32 v9, s19, v7
	v_cmp_le_u32_e32 vcc, s19, v7
	s_nop 1
	v_cndmask_b32_e32 v7, v7, v9, vcc
	v_xor_b32_e32 v7, v7, v8
	v_sub_u32_e32 v7, v7, v8
	v_cmp_eq_u32_e32 vcc, 0, v7
	s_or_b64 s[0:1], vcc, s[0:1]
	s_and_saveexec_b64 s[2:3], s[0:1]
	s_cbranch_execz .LBB327_175
; %bb.177:                              ;   in Loop: Header=BB327_176 Depth=1
	global_load_dword v30, v[18:19], off
	ds_read2_b64 v[10:13], v14 offset1:1
	ds_read2_b64 v[6:9], v14 offset0:2 offset1:3
                                        ; implicit-def: $vgpr39
	s_waitcnt lgkmcnt(1)
	v_and_b32_e32 v27, 0x7f800000, v10
	v_cmp_ne_u32_e32 vcc, s22, v27
	s_and_saveexec_b64 s[0:1], vcc
	s_xor_b64 s[0:1], exec, s[0:1]
; %bb.178:                              ;   in Loop: Header=BB327_176 Depth=1
	v_bfe_u32 v27, v10, 16, 1
	v_add3_u32 v39, v10, v27, s28
; %bb.179:                              ;   in Loop: Header=BB327_176 Depth=1
	s_andn2_saveexec_b64 s[0:1], s[0:1]
; %bb.180:                              ;   in Loop: Header=BB327_176 Depth=1
	v_or_b32_e32 v27, 0x10000, v10
	v_cmp_eq_u32_sdwa vcc, v10, v15 src0_sel:WORD_0 src1_sel:DWORD
	s_nop 1
	v_cndmask_b32_e32 v39, v27, v10, vcc
; %bb.181:                              ;   in Loop: Header=BB327_176 Depth=1
	s_or_b64 exec, exec, s[0:1]
	v_and_b32_e32 v10, 0x7f800000, v11
	v_cmp_ne_u32_e32 vcc, s22, v10
                                        ; implicit-def: $vgpr40
	s_and_saveexec_b64 s[0:1], vcc
	s_xor_b64 s[0:1], exec, s[0:1]
; %bb.182:                              ;   in Loop: Header=BB327_176 Depth=1
	v_bfe_u32 v10, v11, 16, 1
	v_add3_u32 v40, v11, v10, s28
; %bb.183:                              ;   in Loop: Header=BB327_176 Depth=1
	s_andn2_saveexec_b64 s[0:1], s[0:1]
; %bb.184:                              ;   in Loop: Header=BB327_176 Depth=1
	v_or_b32_e32 v10, 0x10000, v11
	v_cmp_eq_u32_sdwa vcc, v11, v15 src0_sel:WORD_0 src1_sel:DWORD
	s_nop 1
	v_cndmask_b32_e32 v40, v10, v11, vcc
; %bb.185:                              ;   in Loop: Header=BB327_176 Depth=1
	s_or_b64 exec, exec, s[0:1]
	v_and_b32_e32 v10, 0x7f800000, v12
	v_cmp_ne_u32_e32 vcc, s22, v10
                                        ; implicit-def: $vgpr41
	s_and_saveexec_b64 s[0:1], vcc
	s_xor_b64 s[0:1], exec, s[0:1]
; %bb.186:                              ;   in Loop: Header=BB327_176 Depth=1
	v_bfe_u32 v10, v12, 16, 1
	v_add3_u32 v41, v12, v10, s28
; %bb.187:                              ;   in Loop: Header=BB327_176 Depth=1
	s_andn2_saveexec_b64 s[0:1], s[0:1]
; %bb.188:                              ;   in Loop: Header=BB327_176 Depth=1
	v_or_b32_e32 v10, 0x10000, v12
	v_cmp_eq_u32_sdwa vcc, v12, v15 src0_sel:WORD_0 src1_sel:DWORD
	s_nop 1
	v_cndmask_b32_e32 v41, v10, v12, vcc
; %bb.189:                              ;   in Loop: Header=BB327_176 Depth=1
	s_or_b64 exec, exec, s[0:1]
	v_and_b32_e32 v10, 0x7f800000, v13
	v_cmp_ne_u32_e32 vcc, s22, v10
                                        ; implicit-def: $vgpr42
	s_and_saveexec_b64 s[0:1], vcc
	s_xor_b64 s[0:1], exec, s[0:1]
; %bb.190:                              ;   in Loop: Header=BB327_176 Depth=1
	v_bfe_u32 v10, v13, 16, 1
	v_add3_u32 v42, v13, v10, s28
                                        ; implicit-def: $vgpr10_vgpr11_vgpr12_vgpr13
; %bb.191:                              ;   in Loop: Header=BB327_176 Depth=1
	s_andn2_saveexec_b64 s[0:1], s[0:1]
; %bb.192:                              ;   in Loop: Header=BB327_176 Depth=1
	v_or_b32_e32 v10, 0x10000, v13
	v_cmp_eq_u32_sdwa vcc, v13, v15 src0_sel:WORD_0 src1_sel:DWORD
	s_nop 1
	v_cndmask_b32_e32 v42, v10, v13, vcc
; %bb.193:                              ;   in Loop: Header=BB327_176 Depth=1
	s_or_b64 exec, exec, s[0:1]
	s_waitcnt lgkmcnt(0)
	v_and_b32_e32 v10, 0x7f800000, v6
	v_cmp_ne_u32_e32 vcc, s22, v10
                                        ; implicit-def: $vgpr27
	s_and_saveexec_b64 s[0:1], vcc
	s_xor_b64 s[0:1], exec, s[0:1]
; %bb.194:                              ;   in Loop: Header=BB327_176 Depth=1
	v_bfe_u32 v10, v6, 16, 1
	v_add3_u32 v27, v6, v10, s28
; %bb.195:                              ;   in Loop: Header=BB327_176 Depth=1
	s_andn2_saveexec_b64 s[0:1], s[0:1]
; %bb.196:                              ;   in Loop: Header=BB327_176 Depth=1
	v_or_b32_e32 v10, 0x10000, v6
	v_cmp_eq_u32_sdwa vcc, v6, v15 src0_sel:WORD_0 src1_sel:DWORD
	s_nop 1
	v_cndmask_b32_e32 v27, v10, v6, vcc
; %bb.197:                              ;   in Loop: Header=BB327_176 Depth=1
	s_or_b64 exec, exec, s[0:1]
	v_and_b32_e32 v6, 0x7f800000, v7
	v_cmp_ne_u32_e32 vcc, s22, v6
                                        ; implicit-def: $vgpr28
	s_and_saveexec_b64 s[0:1], vcc
	s_xor_b64 s[0:1], exec, s[0:1]
; %bb.198:                              ;   in Loop: Header=BB327_176 Depth=1
	v_bfe_u32 v6, v7, 16, 1
	v_add3_u32 v28, v7, v6, s28
; %bb.199:                              ;   in Loop: Header=BB327_176 Depth=1
	s_andn2_saveexec_b64 s[0:1], s[0:1]
; %bb.200:                              ;   in Loop: Header=BB327_176 Depth=1
	v_or_b32_e32 v6, 0x10000, v7
	v_cmp_eq_u32_sdwa vcc, v7, v15 src0_sel:WORD_0 src1_sel:DWORD
	s_nop 1
	v_cndmask_b32_e32 v28, v6, v7, vcc
; %bb.201:                              ;   in Loop: Header=BB327_176 Depth=1
	s_or_b64 exec, exec, s[0:1]
	v_and_b32_e32 v6, 0x7f800000, v8
	v_cmp_ne_u32_e32 vcc, s22, v6
                                        ; implicit-def: $vgpr29
	s_and_saveexec_b64 s[0:1], vcc
	s_xor_b64 s[0:1], exec, s[0:1]
; %bb.202:                              ;   in Loop: Header=BB327_176 Depth=1
	v_bfe_u32 v6, v8, 16, 1
	v_add3_u32 v29, v8, v6, s28
; %bb.203:                              ;   in Loop: Header=BB327_176 Depth=1
	s_andn2_saveexec_b64 s[0:1], s[0:1]
; %bb.204:                              ;   in Loop: Header=BB327_176 Depth=1
	v_or_b32_e32 v6, 0x10000, v8
	v_cmp_eq_u32_sdwa vcc, v8, v15 src0_sel:WORD_0 src1_sel:DWORD
	s_nop 1
	v_cndmask_b32_e32 v29, v6, v8, vcc
; %bb.205:                              ;   in Loop: Header=BB327_176 Depth=1
	s_or_b64 exec, exec, s[0:1]
	v_and_b32_e32 v6, 0x7f800000, v9
	v_cmp_ne_u32_e32 vcc, s22, v6
                                        ; implicit-def: $vgpr38
	s_and_saveexec_b64 s[0:1], vcc
	s_xor_b64 s[0:1], exec, s[0:1]
; %bb.206:                              ;   in Loop: Header=BB327_176 Depth=1
	v_bfe_u32 v6, v9, 16, 1
	v_add3_u32 v38, v9, v6, s28
                                        ; implicit-def: $vgpr6_vgpr7_vgpr8_vgpr9
; %bb.207:                              ;   in Loop: Header=BB327_176 Depth=1
	s_andn2_saveexec_b64 s[0:1], s[0:1]
; %bb.208:                              ;   in Loop: Header=BB327_176 Depth=1
	v_or_b32_e32 v6, 0x10000, v9
	v_cmp_eq_u32_sdwa vcc, v9, v15 src0_sel:WORD_0 src1_sel:DWORD
	s_nop 1
	v_cndmask_b32_e32 v38, v6, v9, vcc
; %bb.209:                              ;   in Loop: Header=BB327_176 Depth=1
	s_or_b64 exec, exec, s[0:1]
	s_waitcnt vmcnt(0)
	v_mad_i64_i32 v[6:7], s[0:1], v30, s17, v[16:17]
	global_load_dwordx2 v[8:9], v[6:7], off
	s_load_dword s29, s[14:15], 0x0
	s_waitcnt vmcnt(0)
	v_and_b32_e32 v10, 0xff, v8
	v_cvt_f32_fp8_sdwa v10, v10 src0_sel:BYTE_0
	s_waitcnt lgkmcnt(0)
	v_mul_f32_e32 v11, s29, v10
	v_and_b32_e32 v10, 0x7f800000, v11
	v_cmp_ne_u32_e32 vcc, s22, v10
                                        ; implicit-def: $vgpr10
	s_and_saveexec_b64 s[0:1], vcc
	s_xor_b64 s[0:1], exec, s[0:1]
; %bb.210:                              ;   in Loop: Header=BB327_176 Depth=1
	v_bfe_u32 v10, v11, 16, 1
	v_add3_u32 v10, v11, v10, s28
                                        ; implicit-def: $vgpr11
; %bb.211:                              ;   in Loop: Header=BB327_176 Depth=1
	s_andn2_saveexec_b64 s[0:1], s[0:1]
; %bb.212:                              ;   in Loop: Header=BB327_176 Depth=1
	v_or_b32_e32 v10, 0x10000, v11
	v_cmp_eq_u32_sdwa vcc, v11, v15 src0_sel:WORD_0 src1_sel:DWORD
	s_nop 1
	v_cndmask_b32_e32 v10, v10, v11, vcc
; %bb.213:                              ;   in Loop: Header=BB327_176 Depth=1
	s_or_b64 exec, exec, s[0:1]
	v_bfe_u32 v11, v8, 8, 8
	v_cvt_f32_fp8_sdwa v11, v11 src0_sel:BYTE_0
	s_nop 0
	v_mul_f32_e32 v12, s29, v11
	v_and_b32_e32 v11, 0x7f800000, v12
	v_cmp_ne_u32_e32 vcc, s22, v11
                                        ; implicit-def: $vgpr11
	s_and_saveexec_b64 s[0:1], vcc
	s_xor_b64 s[0:1], exec, s[0:1]
; %bb.214:                              ;   in Loop: Header=BB327_176 Depth=1
	v_bfe_u32 v11, v12, 16, 1
	v_add3_u32 v11, v12, v11, s28
                                        ; implicit-def: $vgpr12
; %bb.215:                              ;   in Loop: Header=BB327_176 Depth=1
	s_andn2_saveexec_b64 s[0:1], s[0:1]
; %bb.216:                              ;   in Loop: Header=BB327_176 Depth=1
	v_or_b32_e32 v11, 0x10000, v12
	v_cmp_eq_u32_sdwa vcc, v12, v15 src0_sel:WORD_0 src1_sel:DWORD
	s_nop 1
	v_cndmask_b32_e32 v11, v11, v12, vcc
; %bb.217:                              ;   in Loop: Header=BB327_176 Depth=1
	s_or_b64 exec, exec, s[0:1]
	v_bfe_u32 v12, v8, 16, 8
	v_cvt_f32_fp8_sdwa v12, v12 src0_sel:BYTE_0
	s_nop 0
	v_mul_f32_e32 v13, s29, v12
	v_and_b32_e32 v12, 0x7f800000, v13
	v_cmp_ne_u32_e32 vcc, s22, v12
                                        ; implicit-def: $vgpr12
	s_and_saveexec_b64 s[0:1], vcc
	s_xor_b64 s[0:1], exec, s[0:1]
; %bb.218:                              ;   in Loop: Header=BB327_176 Depth=1
	v_bfe_u32 v12, v13, 16, 1
	v_add3_u32 v12, v13, v12, s28
                                        ; implicit-def: $vgpr13
; %bb.219:                              ;   in Loop: Header=BB327_176 Depth=1
	s_andn2_saveexec_b64 s[0:1], s[0:1]
; %bb.220:                              ;   in Loop: Header=BB327_176 Depth=1
	v_or_b32_e32 v12, 0x10000, v13
	v_cmp_eq_u32_sdwa vcc, v13, v15 src0_sel:WORD_0 src1_sel:DWORD
	s_nop 1
	v_cndmask_b32_e32 v12, v12, v13, vcc
; %bb.221:                              ;   in Loop: Header=BB327_176 Depth=1
	s_or_b64 exec, exec, s[0:1]
	v_lshrrev_b32_e32 v8, 24, v8
	v_cvt_f32_fp8_sdwa v8, v8 src0_sel:BYTE_0
	s_nop 0
	v_mul_f32_e32 v13, s29, v8
	v_and_b32_e32 v8, 0x7f800000, v13
	v_cmp_ne_u32_e32 vcc, s22, v8
                                        ; implicit-def: $vgpr8
	s_and_saveexec_b64 s[0:1], vcc
	s_xor_b64 s[0:1], exec, s[0:1]
; %bb.222:                              ;   in Loop: Header=BB327_176 Depth=1
	v_bfe_u32 v8, v13, 16, 1
	v_add3_u32 v8, v13, v8, s28
                                        ; implicit-def: $vgpr13
; %bb.223:                              ;   in Loop: Header=BB327_176 Depth=1
	s_andn2_saveexec_b64 s[0:1], s[0:1]
; %bb.224:                              ;   in Loop: Header=BB327_176 Depth=1
	v_or_b32_e32 v8, 0x10000, v13
	v_cmp_eq_u32_sdwa vcc, v13, v15 src0_sel:WORD_0 src1_sel:DWORD
	s_nop 1
	v_cndmask_b32_e32 v8, v8, v13, vcc
; %bb.225:                              ;   in Loop: Header=BB327_176 Depth=1
	s_or_b64 exec, exec, s[0:1]
	v_and_b32_e32 v13, 0xff, v9
	v_cvt_f32_fp8_sdwa v13, v13 src0_sel:BYTE_0
	s_nop 0
	v_mul_f32_e32 v30, s29, v13
	v_and_b32_e32 v13, 0x7f800000, v30
	v_cmp_ne_u32_e32 vcc, s22, v13
                                        ; implicit-def: $vgpr13
	s_and_saveexec_b64 s[0:1], vcc
	s_xor_b64 s[0:1], exec, s[0:1]
; %bb.226:                              ;   in Loop: Header=BB327_176 Depth=1
	v_bfe_u32 v13, v30, 16, 1
	v_add3_u32 v13, v30, v13, s28
                                        ; implicit-def: $vgpr30
; %bb.227:                              ;   in Loop: Header=BB327_176 Depth=1
	s_andn2_saveexec_b64 s[0:1], s[0:1]
; %bb.228:                              ;   in Loop: Header=BB327_176 Depth=1
	v_or_b32_e32 v13, 0x10000, v30
	v_cmp_eq_u32_sdwa vcc, v30, v15 src0_sel:WORD_0 src1_sel:DWORD
	s_nop 1
	v_cndmask_b32_e32 v13, v13, v30, vcc
; %bb.229:                              ;   in Loop: Header=BB327_176 Depth=1
	s_or_b64 exec, exec, s[0:1]
	v_bfe_u32 v30, v9, 8, 8
	v_cvt_f32_fp8_sdwa v30, v30 src0_sel:BYTE_0
	s_nop 0
	v_mul_f32_e32 v30, s29, v30
	v_and_b32_e32 v31, 0x7f800000, v30
	v_cmp_ne_u32_e32 vcc, s22, v31
                                        ; implicit-def: $vgpr31
	s_and_saveexec_b64 s[0:1], vcc
	s_xor_b64 s[0:1], exec, s[0:1]
; %bb.230:                              ;   in Loop: Header=BB327_176 Depth=1
	v_bfe_u32 v31, v30, 16, 1
	v_add3_u32 v31, v30, v31, s28
                                        ; implicit-def: $vgpr30
; %bb.231:                              ;   in Loop: Header=BB327_176 Depth=1
	s_andn2_saveexec_b64 s[0:1], s[0:1]
; %bb.232:                              ;   in Loop: Header=BB327_176 Depth=1
	v_or_b32_e32 v31, 0x10000, v30
	v_cmp_eq_u32_sdwa vcc, v30, v15 src0_sel:WORD_0 src1_sel:DWORD
	s_nop 1
	v_cndmask_b32_e32 v31, v31, v30, vcc
; %bb.233:                              ;   in Loop: Header=BB327_176 Depth=1
	s_or_b64 exec, exec, s[0:1]
	v_bfe_u32 v30, v9, 16, 8
	v_cvt_f32_fp8_sdwa v30, v30 src0_sel:BYTE_0
	s_nop 0
	v_mul_f32_e32 v30, s29, v30
	v_and_b32_e32 v32, 0x7f800000, v30
	v_cmp_ne_u32_e32 vcc, s22, v32
                                        ; implicit-def: $vgpr32
	s_and_saveexec_b64 s[0:1], vcc
	s_xor_b64 s[0:1], exec, s[0:1]
; %bb.234:                              ;   in Loop: Header=BB327_176 Depth=1
	v_bfe_u32 v32, v30, 16, 1
	v_add3_u32 v32, v30, v32, s28
                                        ; implicit-def: $vgpr30
; %bb.235:                              ;   in Loop: Header=BB327_176 Depth=1
	s_andn2_saveexec_b64 s[0:1], s[0:1]
; %bb.236:                              ;   in Loop: Header=BB327_176 Depth=1
	v_or_b32_e32 v32, 0x10000, v30
	v_cmp_eq_u32_sdwa vcc, v30, v15 src0_sel:WORD_0 src1_sel:DWORD
	s_nop 1
	v_cndmask_b32_e32 v32, v32, v30, vcc
; %bb.237:                              ;   in Loop: Header=BB327_176 Depth=1
	s_or_b64 exec, exec, s[0:1]
	v_lshrrev_b32_e32 v9, 24, v9
	v_cvt_f32_fp8_sdwa v9, v9 src0_sel:BYTE_0
                                        ; implicit-def: $vgpr33
	s_nop 0
	v_mul_f32_e32 v9, s29, v9
	v_and_b32_e32 v30, 0x7f800000, v9
	v_cmp_ne_u32_e32 vcc, s22, v30
	s_and_saveexec_b64 s[0:1], vcc
	s_xor_b64 s[0:1], exec, s[0:1]
; %bb.238:                              ;   in Loop: Header=BB327_176 Depth=1
	v_bfe_u32 v30, v9, 16, 1
	v_add3_u32 v33, v9, v30, s28
                                        ; implicit-def: $vgpr9
; %bb.239:                              ;   in Loop: Header=BB327_176 Depth=1
	s_andn2_saveexec_b64 s[0:1], s[0:1]
; %bb.240:                              ;   in Loop: Header=BB327_176 Depth=1
	v_or_b32_e32 v30, 0x10000, v9
	v_cmp_eq_u32_sdwa vcc, v9, v15 src0_sel:WORD_0 src1_sel:DWORD
	s_nop 1
	v_cndmask_b32_e32 v33, v30, v9, vcc
; %bb.241:                              ;   in Loop: Header=BB327_176 Depth=1
	s_or_b64 exec, exec, s[0:1]
	v_add_u32_e32 v30, v24, v26
	v_cmp_eq_u32_e32 vcc, s21, v1
	v_lshrrev_b32_e32 v45, 16, v31
	v_lshrrev_b32_e32 v44, 16, v13
	;; [unrolled: 1-line block ×8, first 2 shown]
	v_add_u32_e32 v37, 1, v30
	v_add_u32_e32 v36, 2, v30
	;; [unrolled: 1-line block ×7, first 2 shown]
	s_and_saveexec_b64 s[12:13], vcc
	s_cbranch_execz .LBB327_243
; %bb.242:                              ;   in Loop: Header=BB327_176 Depth=1
	v_cmp_gt_i32_e64 s[0:1], s33, v30
	s_nop 1
	v_cndmask_b32_e64 v10, 0, v10, s[0:1]
	v_cmp_gt_i32_e64 s[0:1], s33, v37
	s_nop 1
	v_cndmask_b32_e64 v11, 0, v11, s[0:1]
	;; [unrolled: 3-line block ×8, first 2 shown]
.LBB327_243:                            ;   in Loop: Header=BB327_176 Depth=1
	s_or_b64 exec, exec, s[12:13]
	v_and_b32_e32 v39, 0xffff0000, v39
	v_lshlrev_b32_e32 v10, 16, v10
	v_mul_f32_e32 v43, v39, v10
	v_and_b32_e32 v10, 0x7f800000, v43
	v_cmp_ne_u32_e64 s[0:1], s22, v10
                                        ; implicit-def: $vgpr10
	s_and_saveexec_b64 s[12:13], s[0:1]
	s_xor_b64 s[0:1], exec, s[12:13]
; %bb.244:                              ;   in Loop: Header=BB327_176 Depth=1
	v_bfe_u32 v10, v43, 16, 1
	v_add3_u32 v10, v43, v10, s28
                                        ; implicit-def: $vgpr43
; %bb.245:                              ;   in Loop: Header=BB327_176 Depth=1
	s_andn2_saveexec_b64 s[12:13], s[0:1]
; %bb.246:                              ;   in Loop: Header=BB327_176 Depth=1
	v_or_b32_e32 v10, 0x10000, v43
	v_cmp_eq_u32_sdwa s[0:1], v43, v15 src0_sel:WORD_0 src1_sel:DWORD
	s_nop 1
	v_cndmask_b32_e64 v10, v10, v43, s[0:1]
; %bb.247:                              ;   in Loop: Header=BB327_176 Depth=1
	s_or_b64 exec, exec, s[12:13]
	v_and_b32_e32 v40, 0xffff0000, v40
	v_lshlrev_b32_e32 v11, 16, v11
	v_mul_f32_e32 v43, v40, v11
	v_and_b32_e32 v11, 0x7f800000, v43
	v_cmp_ne_u32_e64 s[0:1], s22, v11
                                        ; implicit-def: $vgpr11
	s_and_saveexec_b64 s[12:13], s[0:1]
	s_xor_b64 s[0:1], exec, s[12:13]
; %bb.248:                              ;   in Loop: Header=BB327_176 Depth=1
	v_bfe_u32 v11, v43, 16, 1
	v_add3_u32 v11, v43, v11, s28
                                        ; implicit-def: $vgpr43
; %bb.249:                              ;   in Loop: Header=BB327_176 Depth=1
	s_andn2_saveexec_b64 s[12:13], s[0:1]
; %bb.250:                              ;   in Loop: Header=BB327_176 Depth=1
	v_or_b32_e32 v11, 0x10000, v43
	v_cmp_eq_u32_sdwa s[0:1], v43, v15 src0_sel:WORD_0 src1_sel:DWORD
	s_nop 1
	v_cndmask_b32_e64 v11, v11, v43, s[0:1]
; %bb.251:                              ;   in Loop: Header=BB327_176 Depth=1
	s_or_b64 exec, exec, s[12:13]
	v_and_b32_e32 v41, 0xffff0000, v41
	v_lshlrev_b32_e32 v12, 16, v12
	v_mul_f32_e32 v43, v41, v12
	v_and_b32_e32 v12, 0x7f800000, v43
	v_cmp_ne_u32_e64 s[0:1], s22, v12
                                        ; implicit-def: $vgpr12
	s_and_saveexec_b64 s[12:13], s[0:1]
	s_xor_b64 s[0:1], exec, s[12:13]
; %bb.252:                              ;   in Loop: Header=BB327_176 Depth=1
	v_bfe_u32 v12, v43, 16, 1
	v_add3_u32 v12, v43, v12, s28
                                        ; implicit-def: $vgpr43
; %bb.253:                              ;   in Loop: Header=BB327_176 Depth=1
	s_andn2_saveexec_b64 s[12:13], s[0:1]
; %bb.254:                              ;   in Loop: Header=BB327_176 Depth=1
	v_or_b32_e32 v12, 0x10000, v43
	v_cmp_eq_u32_sdwa s[0:1], v43, v15 src0_sel:WORD_0 src1_sel:DWORD
	s_nop 1
	v_cndmask_b32_e64 v12, v12, v43, s[0:1]
; %bb.255:                              ;   in Loop: Header=BB327_176 Depth=1
	s_or_b64 exec, exec, s[12:13]
	v_and_b32_e32 v42, 0xffff0000, v42
	v_lshlrev_b32_e32 v13, 16, v13
	v_mul_f32_e32 v43, v42, v13
	v_and_b32_e32 v13, 0x7f800000, v43
	v_cmp_ne_u32_e64 s[0:1], s22, v13
                                        ; implicit-def: $vgpr13
	s_and_saveexec_b64 s[12:13], s[0:1]
	s_xor_b64 s[0:1], exec, s[12:13]
; %bb.256:                              ;   in Loop: Header=BB327_176 Depth=1
	v_bfe_u32 v13, v43, 16, 1
	v_add3_u32 v13, v43, v13, s28
                                        ; implicit-def: $vgpr43
; %bb.257:                              ;   in Loop: Header=BB327_176 Depth=1
	s_andn2_saveexec_b64 s[12:13], s[0:1]
; %bb.258:                              ;   in Loop: Header=BB327_176 Depth=1
	v_or_b32_e32 v13, 0x10000, v43
	v_cmp_eq_u32_sdwa s[0:1], v43, v15 src0_sel:WORD_0 src1_sel:DWORD
	s_nop 1
	v_cndmask_b32_e64 v13, v13, v43, s[0:1]
; %bb.259:                              ;   in Loop: Header=BB327_176 Depth=1
	s_or_b64 exec, exec, s[12:13]
	v_and_b32_e32 v43, 0xffff0000, v27
	v_lshlrev_b32_e32 v27, 16, v44
	v_mul_f32_e32 v44, v43, v27
	v_and_b32_e32 v27, 0x7f800000, v44
	v_cmp_ne_u32_e64 s[0:1], s22, v27
                                        ; implicit-def: $vgpr27
	s_and_saveexec_b64 s[12:13], s[0:1]
	s_xor_b64 s[0:1], exec, s[12:13]
; %bb.260:                              ;   in Loop: Header=BB327_176 Depth=1
	v_bfe_u32 v27, v44, 16, 1
	v_add3_u32 v27, v44, v27, s28
                                        ; implicit-def: $vgpr44
; %bb.261:                              ;   in Loop: Header=BB327_176 Depth=1
	s_andn2_saveexec_b64 s[12:13], s[0:1]
; %bb.262:                              ;   in Loop: Header=BB327_176 Depth=1
	v_or_b32_e32 v27, 0x10000, v44
	v_cmp_eq_u32_sdwa s[0:1], v44, v15 src0_sel:WORD_0 src1_sel:DWORD
	s_nop 1
	v_cndmask_b32_e64 v27, v27, v44, s[0:1]
; %bb.263:                              ;   in Loop: Header=BB327_176 Depth=1
	s_or_b64 exec, exec, s[12:13]
	v_and_b32_e32 v44, 0xffff0000, v28
	v_lshlrev_b32_e32 v28, 16, v45
	v_mul_f32_e32 v45, v44, v28
	v_and_b32_e32 v28, 0x7f800000, v45
	v_cmp_ne_u32_e64 s[0:1], s22, v28
                                        ; implicit-def: $vgpr28
	s_and_saveexec_b64 s[12:13], s[0:1]
	s_xor_b64 s[0:1], exec, s[12:13]
; %bb.264:                              ;   in Loop: Header=BB327_176 Depth=1
	v_bfe_u32 v28, v45, 16, 1
	v_add3_u32 v28, v45, v28, s28
                                        ; implicit-def: $vgpr45
; %bb.265:                              ;   in Loop: Header=BB327_176 Depth=1
	s_andn2_saveexec_b64 s[12:13], s[0:1]
; %bb.266:                              ;   in Loop: Header=BB327_176 Depth=1
	v_or_b32_e32 v28, 0x10000, v45
	v_cmp_eq_u32_sdwa s[0:1], v45, v15 src0_sel:WORD_0 src1_sel:DWORD
	s_nop 1
	v_cndmask_b32_e64 v28, v28, v45, s[0:1]
; %bb.267:                              ;   in Loop: Header=BB327_176 Depth=1
	s_or_b64 exec, exec, s[12:13]
	v_and_b32_e32 v45, 0xffff0000, v29
	v_lshlrev_b32_e32 v9, 16, v9
	v_mul_f32_e32 v9, v45, v9
	v_and_b32_e32 v29, 0x7f800000, v9
	v_cmp_ne_u32_e64 s[0:1], s22, v29
                                        ; implicit-def: $vgpr29
	s_and_saveexec_b64 s[12:13], s[0:1]
	s_xor_b64 s[0:1], exec, s[12:13]
; %bb.268:                              ;   in Loop: Header=BB327_176 Depth=1
	v_bfe_u32 v29, v9, 16, 1
	v_add3_u32 v29, v9, v29, s28
                                        ; implicit-def: $vgpr9
; %bb.269:                              ;   in Loop: Header=BB327_176 Depth=1
	s_andn2_saveexec_b64 s[12:13], s[0:1]
; %bb.270:                              ;   in Loop: Header=BB327_176 Depth=1
	v_or_b32_e32 v29, 0x10000, v9
	v_cmp_eq_u32_sdwa s[0:1], v9, v15 src0_sel:WORD_0 src1_sel:DWORD
	s_nop 1
	v_cndmask_b32_e64 v29, v29, v9, s[0:1]
; %bb.271:                              ;   in Loop: Header=BB327_176 Depth=1
	s_or_b64 exec, exec, s[12:13]
	v_and_b32_e32 v46, 0xffff0000, v38
	v_lshlrev_b32_e32 v8, 16, v8
	v_mul_f32_e32 v8, v46, v8
	v_and_b32_e32 v9, 0x7f800000, v8
	v_cmp_ne_u32_e64 s[0:1], s22, v9
                                        ; implicit-def: $vgpr38
	s_and_saveexec_b64 s[12:13], s[0:1]
	s_xor_b64 s[0:1], exec, s[12:13]
; %bb.272:                              ;   in Loop: Header=BB327_176 Depth=1
	v_bfe_u32 v9, v8, 16, 1
	v_add3_u32 v38, v8, v9, s28
                                        ; implicit-def: $vgpr8
; %bb.273:                              ;   in Loop: Header=BB327_176 Depth=1
	s_andn2_saveexec_b64 s[12:13], s[0:1]
; %bb.274:                              ;   in Loop: Header=BB327_176 Depth=1
	v_or_b32_e32 v9, 0x10000, v8
	v_cmp_eq_u32_sdwa s[0:1], v8, v15 src0_sel:WORD_0 src1_sel:DWORD
	s_nop 1
	v_cndmask_b32_e64 v38, v9, v8, s[0:1]
; %bb.275:                              ;   in Loop: Header=BB327_176 Depth=1
	s_or_b64 exec, exec, s[12:13]
	global_load_dwordx2 v[8:9], v[6:7], off offset:512
	s_waitcnt vmcnt(0)
	v_and_b32_e32 v47, 0xff, v8
	v_cvt_f32_fp8_sdwa v47, v47 src0_sel:BYTE_0
	s_nop 0
	v_mul_f32_e32 v48, s29, v47
	v_and_b32_e32 v47, 0x7f800000, v48
	v_cmp_ne_u32_e64 s[0:1], s22, v47
                                        ; implicit-def: $vgpr47
	s_and_saveexec_b64 s[12:13], s[0:1]
	s_xor_b64 s[0:1], exec, s[12:13]
; %bb.276:                              ;   in Loop: Header=BB327_176 Depth=1
	v_bfe_u32 v47, v48, 16, 1
	v_add3_u32 v47, v48, v47, s28
                                        ; implicit-def: $vgpr48
; %bb.277:                              ;   in Loop: Header=BB327_176 Depth=1
	s_andn2_saveexec_b64 s[12:13], s[0:1]
; %bb.278:                              ;   in Loop: Header=BB327_176 Depth=1
	v_or_b32_e32 v47, 0x10000, v48
	v_cmp_eq_u32_sdwa s[0:1], v48, v15 src0_sel:WORD_0 src1_sel:DWORD
	s_nop 1
	v_cndmask_b32_e64 v47, v47, v48, s[0:1]
; %bb.279:                              ;   in Loop: Header=BB327_176 Depth=1
	s_or_b64 exec, exec, s[12:13]
	v_bfe_u32 v48, v8, 8, 8
	v_cvt_f32_fp8_sdwa v48, v48 src0_sel:BYTE_0
	s_nop 0
	v_mul_f32_e32 v49, s29, v48
	v_and_b32_e32 v48, 0x7f800000, v49
	v_cmp_ne_u32_e64 s[0:1], s22, v48
                                        ; implicit-def: $vgpr48
	s_and_saveexec_b64 s[12:13], s[0:1]
	s_xor_b64 s[0:1], exec, s[12:13]
; %bb.280:                              ;   in Loop: Header=BB327_176 Depth=1
	v_bfe_u32 v48, v49, 16, 1
	v_add3_u32 v48, v49, v48, s28
                                        ; implicit-def: $vgpr49
; %bb.281:                              ;   in Loop: Header=BB327_176 Depth=1
	s_andn2_saveexec_b64 s[12:13], s[0:1]
; %bb.282:                              ;   in Loop: Header=BB327_176 Depth=1
	v_or_b32_e32 v48, 0x10000, v49
	v_cmp_eq_u32_sdwa s[0:1], v49, v15 src0_sel:WORD_0 src1_sel:DWORD
	s_nop 1
	v_cndmask_b32_e64 v48, v48, v49, s[0:1]
; %bb.283:                              ;   in Loop: Header=BB327_176 Depth=1
	s_or_b64 exec, exec, s[12:13]
	v_bfe_u32 v49, v8, 16, 8
	v_cvt_f32_fp8_sdwa v49, v49 src0_sel:BYTE_0
	s_nop 0
	v_mul_f32_e32 v50, s29, v49
	v_and_b32_e32 v49, 0x7f800000, v50
	v_cmp_ne_u32_e64 s[0:1], s22, v49
                                        ; implicit-def: $vgpr49
	s_and_saveexec_b64 s[12:13], s[0:1]
	s_xor_b64 s[0:1], exec, s[12:13]
; %bb.284:                              ;   in Loop: Header=BB327_176 Depth=1
	v_bfe_u32 v49, v50, 16, 1
	v_add3_u32 v49, v50, v49, s28
                                        ; implicit-def: $vgpr50
; %bb.285:                              ;   in Loop: Header=BB327_176 Depth=1
	s_andn2_saveexec_b64 s[12:13], s[0:1]
; %bb.286:                              ;   in Loop: Header=BB327_176 Depth=1
	v_or_b32_e32 v49, 0x10000, v50
	v_cmp_eq_u32_sdwa s[0:1], v50, v15 src0_sel:WORD_0 src1_sel:DWORD
	s_nop 1
	v_cndmask_b32_e64 v49, v49, v50, s[0:1]
; %bb.287:                              ;   in Loop: Header=BB327_176 Depth=1
	s_or_b64 exec, exec, s[12:13]
	v_lshrrev_b32_e32 v8, 24, v8
	v_cvt_f32_fp8_sdwa v8, v8 src0_sel:BYTE_0
	s_nop 0
	v_mul_f32_e32 v50, s29, v8
	v_and_b32_e32 v8, 0x7f800000, v50
	v_cmp_ne_u32_e64 s[0:1], s22, v8
                                        ; implicit-def: $vgpr8
	s_and_saveexec_b64 s[12:13], s[0:1]
	s_xor_b64 s[0:1], exec, s[12:13]
; %bb.288:                              ;   in Loop: Header=BB327_176 Depth=1
	v_bfe_u32 v8, v50, 16, 1
	v_add3_u32 v8, v50, v8, s28
                                        ; implicit-def: $vgpr50
; %bb.289:                              ;   in Loop: Header=BB327_176 Depth=1
	s_andn2_saveexec_b64 s[12:13], s[0:1]
; %bb.290:                              ;   in Loop: Header=BB327_176 Depth=1
	v_or_b32_e32 v8, 0x10000, v50
	v_cmp_eq_u32_sdwa s[0:1], v50, v15 src0_sel:WORD_0 src1_sel:DWORD
	s_nop 1
	v_cndmask_b32_e64 v8, v8, v50, s[0:1]
; %bb.291:                              ;   in Loop: Header=BB327_176 Depth=1
	s_or_b64 exec, exec, s[12:13]
	v_and_b32_e32 v50, 0xff, v9
	v_cvt_f32_fp8_sdwa v50, v50 src0_sel:BYTE_0
	s_nop 0
	v_mul_f32_e32 v51, s29, v50
	v_and_b32_e32 v50, 0x7f800000, v51
	v_cmp_ne_u32_e64 s[0:1], s22, v50
                                        ; implicit-def: $vgpr50
	s_and_saveexec_b64 s[12:13], s[0:1]
	s_xor_b64 s[0:1], exec, s[12:13]
; %bb.292:                              ;   in Loop: Header=BB327_176 Depth=1
	v_bfe_u32 v50, v51, 16, 1
	v_add3_u32 v50, v51, v50, s28
                                        ; implicit-def: $vgpr51
; %bb.293:                              ;   in Loop: Header=BB327_176 Depth=1
	s_andn2_saveexec_b64 s[12:13], s[0:1]
; %bb.294:                              ;   in Loop: Header=BB327_176 Depth=1
	v_or_b32_e32 v50, 0x10000, v51
	v_cmp_eq_u32_sdwa s[0:1], v51, v15 src0_sel:WORD_0 src1_sel:DWORD
	s_nop 1
	v_cndmask_b32_e64 v50, v50, v51, s[0:1]
; %bb.295:                              ;   in Loop: Header=BB327_176 Depth=1
	s_or_b64 exec, exec, s[12:13]
	v_bfe_u32 v51, v9, 8, 8
	v_cvt_f32_fp8_sdwa v51, v51 src0_sel:BYTE_0
	s_nop 0
	v_mul_f32_e32 v52, s29, v51
	v_and_b32_e32 v51, 0x7f800000, v52
	v_cmp_ne_u32_e64 s[0:1], s22, v51
                                        ; implicit-def: $vgpr51
	s_and_saveexec_b64 s[12:13], s[0:1]
	s_xor_b64 s[0:1], exec, s[12:13]
; %bb.296:                              ;   in Loop: Header=BB327_176 Depth=1
	v_bfe_u32 v51, v52, 16, 1
	v_add3_u32 v51, v52, v51, s28
                                        ; implicit-def: $vgpr52
; %bb.297:                              ;   in Loop: Header=BB327_176 Depth=1
	s_andn2_saveexec_b64 s[12:13], s[0:1]
; %bb.298:                              ;   in Loop: Header=BB327_176 Depth=1
	v_or_b32_e32 v51, 0x10000, v52
	v_cmp_eq_u32_sdwa s[0:1], v52, v15 src0_sel:WORD_0 src1_sel:DWORD
	s_nop 1
	v_cndmask_b32_e64 v51, v51, v52, s[0:1]
; %bb.299:                              ;   in Loop: Header=BB327_176 Depth=1
	s_or_b64 exec, exec, s[12:13]
	v_bfe_u32 v52, v9, 16, 8
	v_cvt_f32_fp8_sdwa v52, v52 src0_sel:BYTE_0
	s_nop 0
	v_mul_f32_e32 v52, s29, v52
	v_and_b32_e32 v53, 0x7f800000, v52
	v_cmp_ne_u32_e64 s[0:1], s22, v53
                                        ; implicit-def: $vgpr53
	s_and_saveexec_b64 s[12:13], s[0:1]
	s_xor_b64 s[0:1], exec, s[12:13]
; %bb.300:                              ;   in Loop: Header=BB327_176 Depth=1
	v_bfe_u32 v53, v52, 16, 1
	v_add3_u32 v53, v52, v53, s28
                                        ; implicit-def: $vgpr52
; %bb.301:                              ;   in Loop: Header=BB327_176 Depth=1
	s_andn2_saveexec_b64 s[12:13], s[0:1]
; %bb.302:                              ;   in Loop: Header=BB327_176 Depth=1
	v_or_b32_e32 v53, 0x10000, v52
	v_cmp_eq_u32_sdwa s[0:1], v52, v15 src0_sel:WORD_0 src1_sel:DWORD
	s_nop 1
	v_cndmask_b32_e64 v53, v53, v52, s[0:1]
; %bb.303:                              ;   in Loop: Header=BB327_176 Depth=1
	s_or_b64 exec, exec, s[12:13]
	v_lshrrev_b32_e32 v9, 24, v9
	v_cvt_f32_fp8_sdwa v9, v9 src0_sel:BYTE_0
                                        ; implicit-def: $vgpr54
	s_nop 0
	v_mul_f32_e32 v9, s29, v9
	v_and_b32_e32 v52, 0x7f800000, v9
	v_cmp_ne_u32_e64 s[0:1], s22, v52
	s_and_saveexec_b64 s[12:13], s[0:1]
	s_xor_b64 s[0:1], exec, s[12:13]
; %bb.304:                              ;   in Loop: Header=BB327_176 Depth=1
	v_bfe_u32 v52, v9, 16, 1
	v_add3_u32 v54, v9, v52, s28
                                        ; implicit-def: $vgpr9
; %bb.305:                              ;   in Loop: Header=BB327_176 Depth=1
	s_andn2_saveexec_b64 s[12:13], s[0:1]
; %bb.306:                              ;   in Loop: Header=BB327_176 Depth=1
	v_or_b32_e32 v52, 0x10000, v9
	v_cmp_eq_u32_sdwa s[0:1], v9, v15 src0_sel:WORD_0 src1_sel:DWORD
	s_nop 1
	v_cndmask_b32_e64 v54, v52, v9, s[0:1]
; %bb.307:                              ;   in Loop: Header=BB327_176 Depth=1
	s_or_b64 exec, exec, s[12:13]
	v_lshrrev_b32_e32 v52, 16, v51
	v_lshrrev_b32_e32 v51, 16, v50
	;; [unrolled: 1-line block ×8, first 2 shown]
	s_and_saveexec_b64 s[12:13], vcc
	s_cbranch_execz .LBB327_309
; %bb.308:                              ;   in Loop: Header=BB327_176 Depth=1
	v_cmp_gt_i32_e64 s[0:1], s33, v30
	s_nop 1
	v_cndmask_b32_e64 v47, 0, v47, s[0:1]
	v_cmp_gt_i32_e64 s[0:1], s33, v37
	s_nop 1
	v_cndmask_b32_e64 v48, 0, v48, s[0:1]
	;; [unrolled: 3-line block ×8, first 2 shown]
.LBB327_309:                            ;   in Loop: Header=BB327_176 Depth=1
	s_or_b64 exec, exec, s[12:13]
	v_lshlrev_b32_e32 v47, 16, v47
	v_mul_f32_e32 v53, v39, v47
	v_and_b32_e32 v47, 0x7f800000, v53
	v_cmp_ne_u32_e64 s[0:1], s22, v47
                                        ; implicit-def: $vgpr47
	s_and_saveexec_b64 s[12:13], s[0:1]
	s_xor_b64 s[0:1], exec, s[12:13]
; %bb.310:                              ;   in Loop: Header=BB327_176 Depth=1
	v_bfe_u32 v47, v53, 16, 1
	v_add3_u32 v47, v53, v47, s28
                                        ; implicit-def: $vgpr53
; %bb.311:                              ;   in Loop: Header=BB327_176 Depth=1
	s_andn2_saveexec_b64 s[12:13], s[0:1]
; %bb.312:                              ;   in Loop: Header=BB327_176 Depth=1
	v_or_b32_e32 v47, 0x10000, v53
	v_cmp_eq_u32_sdwa s[0:1], v53, v15 src0_sel:WORD_0 src1_sel:DWORD
	s_nop 1
	v_cndmask_b32_e64 v47, v47, v53, s[0:1]
; %bb.313:                              ;   in Loop: Header=BB327_176 Depth=1
	s_or_b64 exec, exec, s[12:13]
	v_lshlrev_b32_e32 v48, 16, v48
	v_mul_f32_e32 v53, v40, v48
	v_and_b32_e32 v48, 0x7f800000, v53
	v_cmp_ne_u32_e64 s[0:1], s22, v48
                                        ; implicit-def: $vgpr48
	s_and_saveexec_b64 s[12:13], s[0:1]
	s_xor_b64 s[0:1], exec, s[12:13]
; %bb.314:                              ;   in Loop: Header=BB327_176 Depth=1
	v_bfe_u32 v48, v53, 16, 1
	v_add3_u32 v48, v53, v48, s28
                                        ; implicit-def: $vgpr53
; %bb.315:                              ;   in Loop: Header=BB327_176 Depth=1
	s_andn2_saveexec_b64 s[12:13], s[0:1]
; %bb.316:                              ;   in Loop: Header=BB327_176 Depth=1
	v_or_b32_e32 v48, 0x10000, v53
	v_cmp_eq_u32_sdwa s[0:1], v53, v15 src0_sel:WORD_0 src1_sel:DWORD
	s_nop 1
	v_cndmask_b32_e64 v48, v48, v53, s[0:1]
; %bb.317:                              ;   in Loop: Header=BB327_176 Depth=1
	s_or_b64 exec, exec, s[12:13]
	v_lshlrev_b32_e32 v49, 16, v49
	v_mul_f32_e32 v53, v41, v49
	v_and_b32_e32 v49, 0x7f800000, v53
	v_cmp_ne_u32_e64 s[0:1], s22, v49
                                        ; implicit-def: $vgpr49
	s_and_saveexec_b64 s[12:13], s[0:1]
	s_xor_b64 s[0:1], exec, s[12:13]
; %bb.318:                              ;   in Loop: Header=BB327_176 Depth=1
	v_bfe_u32 v49, v53, 16, 1
	v_add3_u32 v49, v53, v49, s28
                                        ; implicit-def: $vgpr53
; %bb.319:                              ;   in Loop: Header=BB327_176 Depth=1
	s_andn2_saveexec_b64 s[12:13], s[0:1]
; %bb.320:                              ;   in Loop: Header=BB327_176 Depth=1
	v_or_b32_e32 v49, 0x10000, v53
	v_cmp_eq_u32_sdwa s[0:1], v53, v15 src0_sel:WORD_0 src1_sel:DWORD
	s_nop 1
	v_cndmask_b32_e64 v49, v49, v53, s[0:1]
; %bb.321:                              ;   in Loop: Header=BB327_176 Depth=1
	s_or_b64 exec, exec, s[12:13]
	v_lshlrev_b32_e32 v50, 16, v50
	v_mul_f32_e32 v53, v42, v50
	v_and_b32_e32 v50, 0x7f800000, v53
	v_cmp_ne_u32_e64 s[0:1], s22, v50
                                        ; implicit-def: $vgpr50
	s_and_saveexec_b64 s[12:13], s[0:1]
	s_xor_b64 s[0:1], exec, s[12:13]
; %bb.322:                              ;   in Loop: Header=BB327_176 Depth=1
	v_bfe_u32 v50, v53, 16, 1
	v_add3_u32 v50, v53, v50, s28
                                        ; implicit-def: $vgpr53
; %bb.323:                              ;   in Loop: Header=BB327_176 Depth=1
	s_andn2_saveexec_b64 s[12:13], s[0:1]
; %bb.324:                              ;   in Loop: Header=BB327_176 Depth=1
	v_or_b32_e32 v50, 0x10000, v53
	v_cmp_eq_u32_sdwa s[0:1], v53, v15 src0_sel:WORD_0 src1_sel:DWORD
	s_nop 1
	v_cndmask_b32_e64 v50, v50, v53, s[0:1]
; %bb.325:                              ;   in Loop: Header=BB327_176 Depth=1
	s_or_b64 exec, exec, s[12:13]
	v_lshlrev_b32_e32 v51, 16, v51
	v_mul_f32_e32 v53, v43, v51
	v_and_b32_e32 v51, 0x7f800000, v53
	v_cmp_ne_u32_e64 s[0:1], s22, v51
                                        ; implicit-def: $vgpr51
	s_and_saveexec_b64 s[12:13], s[0:1]
	s_xor_b64 s[0:1], exec, s[12:13]
; %bb.326:                              ;   in Loop: Header=BB327_176 Depth=1
	v_bfe_u32 v51, v53, 16, 1
	v_add3_u32 v51, v53, v51, s28
                                        ; implicit-def: $vgpr53
; %bb.327:                              ;   in Loop: Header=BB327_176 Depth=1
	s_andn2_saveexec_b64 s[12:13], s[0:1]
; %bb.328:                              ;   in Loop: Header=BB327_176 Depth=1
	v_or_b32_e32 v51, 0x10000, v53
	v_cmp_eq_u32_sdwa s[0:1], v53, v15 src0_sel:WORD_0 src1_sel:DWORD
	s_nop 1
	v_cndmask_b32_e64 v51, v51, v53, s[0:1]
; %bb.329:                              ;   in Loop: Header=BB327_176 Depth=1
	s_or_b64 exec, exec, s[12:13]
	v_lshlrev_b32_e32 v52, 16, v52
	v_mul_f32_e32 v53, v44, v52
	v_and_b32_e32 v52, 0x7f800000, v53
	v_cmp_ne_u32_e64 s[0:1], s22, v52
                                        ; implicit-def: $vgpr52
	s_and_saveexec_b64 s[12:13], s[0:1]
	s_xor_b64 s[0:1], exec, s[12:13]
; %bb.330:                              ;   in Loop: Header=BB327_176 Depth=1
	v_bfe_u32 v52, v53, 16, 1
	v_add3_u32 v52, v53, v52, s28
                                        ; implicit-def: $vgpr53
; %bb.331:                              ;   in Loop: Header=BB327_176 Depth=1
	s_andn2_saveexec_b64 s[12:13], s[0:1]
; %bb.332:                              ;   in Loop: Header=BB327_176 Depth=1
	v_or_b32_e32 v52, 0x10000, v53
	v_cmp_eq_u32_sdwa s[0:1], v53, v15 src0_sel:WORD_0 src1_sel:DWORD
	s_nop 1
	v_cndmask_b32_e64 v52, v52, v53, s[0:1]
; %bb.333:                              ;   in Loop: Header=BB327_176 Depth=1
	s_or_b64 exec, exec, s[12:13]
	v_lshlrev_b32_e32 v9, 16, v9
	v_mul_f32_e32 v9, v45, v9
	v_and_b32_e32 v53, 0x7f800000, v9
	v_cmp_ne_u32_e64 s[0:1], s22, v53
                                        ; implicit-def: $vgpr53
	s_and_saveexec_b64 s[12:13], s[0:1]
	s_xor_b64 s[0:1], exec, s[12:13]
; %bb.334:                              ;   in Loop: Header=BB327_176 Depth=1
	v_bfe_u32 v53, v9, 16, 1
	v_add3_u32 v53, v9, v53, s28
                                        ; implicit-def: $vgpr9
; %bb.335:                              ;   in Loop: Header=BB327_176 Depth=1
	s_andn2_saveexec_b64 s[12:13], s[0:1]
; %bb.336:                              ;   in Loop: Header=BB327_176 Depth=1
	v_or_b32_e32 v53, 0x10000, v9
	v_cmp_eq_u32_sdwa s[0:1], v9, v15 src0_sel:WORD_0 src1_sel:DWORD
	s_nop 1
	v_cndmask_b32_e64 v53, v53, v9, s[0:1]
; %bb.337:                              ;   in Loop: Header=BB327_176 Depth=1
	s_or_b64 exec, exec, s[12:13]
	v_lshlrev_b32_e32 v8, 16, v8
	v_mul_f32_e32 v8, v46, v8
	v_and_b32_e32 v9, 0x7f800000, v8
	v_cmp_ne_u32_e64 s[0:1], s22, v9
                                        ; implicit-def: $vgpr54
	s_and_saveexec_b64 s[12:13], s[0:1]
	s_xor_b64 s[0:1], exec, s[12:13]
; %bb.338:                              ;   in Loop: Header=BB327_176 Depth=1
	v_bfe_u32 v9, v8, 16, 1
	v_add3_u32 v54, v8, v9, s28
                                        ; implicit-def: $vgpr8
; %bb.339:                              ;   in Loop: Header=BB327_176 Depth=1
	s_andn2_saveexec_b64 s[12:13], s[0:1]
; %bb.340:                              ;   in Loop: Header=BB327_176 Depth=1
	v_or_b32_e32 v9, 0x10000, v8
	v_cmp_eq_u32_sdwa s[0:1], v8, v15 src0_sel:WORD_0 src1_sel:DWORD
	s_nop 1
	v_cndmask_b32_e64 v54, v9, v8, s[0:1]
; %bb.341:                              ;   in Loop: Header=BB327_176 Depth=1
	s_or_b64 exec, exec, s[12:13]
	global_load_dwordx2 v[8:9], v[6:7], off offset:1024
	s_waitcnt vmcnt(0)
	v_and_b32_e32 v55, 0xff, v8
	v_cvt_f32_fp8_sdwa v55, v55 src0_sel:BYTE_0
	s_nop 0
	v_mul_f32_e32 v56, s29, v55
	v_and_b32_e32 v55, 0x7f800000, v56
	v_cmp_ne_u32_e64 s[0:1], s22, v55
                                        ; implicit-def: $vgpr55
	s_and_saveexec_b64 s[12:13], s[0:1]
	s_xor_b64 s[0:1], exec, s[12:13]
; %bb.342:                              ;   in Loop: Header=BB327_176 Depth=1
	v_bfe_u32 v55, v56, 16, 1
	v_add3_u32 v55, v56, v55, s28
                                        ; implicit-def: $vgpr56
; %bb.343:                              ;   in Loop: Header=BB327_176 Depth=1
	s_andn2_saveexec_b64 s[12:13], s[0:1]
; %bb.344:                              ;   in Loop: Header=BB327_176 Depth=1
	v_or_b32_e32 v55, 0x10000, v56
	v_cmp_eq_u32_sdwa s[0:1], v56, v15 src0_sel:WORD_0 src1_sel:DWORD
	s_nop 1
	v_cndmask_b32_e64 v55, v55, v56, s[0:1]
; %bb.345:                              ;   in Loop: Header=BB327_176 Depth=1
	s_or_b64 exec, exec, s[12:13]
	v_bfe_u32 v56, v8, 8, 8
	v_cvt_f32_fp8_sdwa v56, v56 src0_sel:BYTE_0
	s_nop 0
	v_mul_f32_e32 v57, s29, v56
	v_and_b32_e32 v56, 0x7f800000, v57
	v_cmp_ne_u32_e64 s[0:1], s22, v56
                                        ; implicit-def: $vgpr56
	s_and_saveexec_b64 s[12:13], s[0:1]
	s_xor_b64 s[0:1], exec, s[12:13]
; %bb.346:                              ;   in Loop: Header=BB327_176 Depth=1
	v_bfe_u32 v56, v57, 16, 1
	v_add3_u32 v56, v57, v56, s28
                                        ; implicit-def: $vgpr57
; %bb.347:                              ;   in Loop: Header=BB327_176 Depth=1
	s_andn2_saveexec_b64 s[12:13], s[0:1]
; %bb.348:                              ;   in Loop: Header=BB327_176 Depth=1
	v_or_b32_e32 v56, 0x10000, v57
	v_cmp_eq_u32_sdwa s[0:1], v57, v15 src0_sel:WORD_0 src1_sel:DWORD
	s_nop 1
	v_cndmask_b32_e64 v56, v56, v57, s[0:1]
; %bb.349:                              ;   in Loop: Header=BB327_176 Depth=1
	s_or_b64 exec, exec, s[12:13]
	v_bfe_u32 v57, v8, 16, 8
	v_cvt_f32_fp8_sdwa v57, v57 src0_sel:BYTE_0
	s_nop 0
	v_mul_f32_e32 v58, s29, v57
	v_and_b32_e32 v57, 0x7f800000, v58
	v_cmp_ne_u32_e64 s[0:1], s22, v57
                                        ; implicit-def: $vgpr57
	s_and_saveexec_b64 s[12:13], s[0:1]
	s_xor_b64 s[0:1], exec, s[12:13]
; %bb.350:                              ;   in Loop: Header=BB327_176 Depth=1
	v_bfe_u32 v57, v58, 16, 1
	v_add3_u32 v57, v58, v57, s28
                                        ; implicit-def: $vgpr58
; %bb.351:                              ;   in Loop: Header=BB327_176 Depth=1
	s_andn2_saveexec_b64 s[12:13], s[0:1]
; %bb.352:                              ;   in Loop: Header=BB327_176 Depth=1
	v_or_b32_e32 v57, 0x10000, v58
	v_cmp_eq_u32_sdwa s[0:1], v58, v15 src0_sel:WORD_0 src1_sel:DWORD
	s_nop 1
	v_cndmask_b32_e64 v57, v57, v58, s[0:1]
; %bb.353:                              ;   in Loop: Header=BB327_176 Depth=1
	s_or_b64 exec, exec, s[12:13]
	v_lshrrev_b32_e32 v8, 24, v8
	v_cvt_f32_fp8_sdwa v8, v8 src0_sel:BYTE_0
	s_nop 0
	v_mul_f32_e32 v58, s29, v8
	v_and_b32_e32 v8, 0x7f800000, v58
	v_cmp_ne_u32_e64 s[0:1], s22, v8
                                        ; implicit-def: $vgpr8
	s_and_saveexec_b64 s[12:13], s[0:1]
	s_xor_b64 s[0:1], exec, s[12:13]
; %bb.354:                              ;   in Loop: Header=BB327_176 Depth=1
	v_bfe_u32 v8, v58, 16, 1
	v_add3_u32 v8, v58, v8, s28
                                        ; implicit-def: $vgpr58
; %bb.355:                              ;   in Loop: Header=BB327_176 Depth=1
	s_andn2_saveexec_b64 s[12:13], s[0:1]
; %bb.356:                              ;   in Loop: Header=BB327_176 Depth=1
	v_or_b32_e32 v8, 0x10000, v58
	v_cmp_eq_u32_sdwa s[0:1], v58, v15 src0_sel:WORD_0 src1_sel:DWORD
	s_nop 1
	v_cndmask_b32_e64 v8, v8, v58, s[0:1]
; %bb.357:                              ;   in Loop: Header=BB327_176 Depth=1
	s_or_b64 exec, exec, s[12:13]
	v_and_b32_e32 v58, 0xff, v9
	v_cvt_f32_fp8_sdwa v58, v58 src0_sel:BYTE_0
	s_nop 0
	v_mul_f32_e32 v58, s29, v58
	v_and_b32_e32 v59, 0x7f800000, v58
	v_cmp_ne_u32_e64 s[0:1], s22, v59
                                        ; implicit-def: $vgpr59
	s_and_saveexec_b64 s[12:13], s[0:1]
	s_xor_b64 s[0:1], exec, s[12:13]
; %bb.358:                              ;   in Loop: Header=BB327_176 Depth=1
	v_bfe_u32 v59, v58, 16, 1
	v_add3_u32 v59, v58, v59, s28
                                        ; implicit-def: $vgpr58
; %bb.359:                              ;   in Loop: Header=BB327_176 Depth=1
	s_andn2_saveexec_b64 s[12:13], s[0:1]
; %bb.360:                              ;   in Loop: Header=BB327_176 Depth=1
	v_or_b32_e32 v59, 0x10000, v58
	v_cmp_eq_u32_sdwa s[0:1], v58, v15 src0_sel:WORD_0 src1_sel:DWORD
	s_nop 1
	v_cndmask_b32_e64 v59, v59, v58, s[0:1]
; %bb.361:                              ;   in Loop: Header=BB327_176 Depth=1
	s_or_b64 exec, exec, s[12:13]
	v_bfe_u32 v58, v9, 8, 8
	v_cvt_f32_fp8_sdwa v58, v58 src0_sel:BYTE_0
	s_nop 0
	v_mul_f32_e32 v60, s29, v58
	v_and_b32_e32 v58, 0x7f800000, v60
	v_cmp_ne_u32_e64 s[0:1], s22, v58
                                        ; implicit-def: $vgpr58
	s_and_saveexec_b64 s[12:13], s[0:1]
	s_xor_b64 s[0:1], exec, s[12:13]
; %bb.362:                              ;   in Loop: Header=BB327_176 Depth=1
	v_bfe_u32 v58, v60, 16, 1
	v_add3_u32 v58, v60, v58, s28
                                        ; implicit-def: $vgpr60
; %bb.363:                              ;   in Loop: Header=BB327_176 Depth=1
	s_andn2_saveexec_b64 s[12:13], s[0:1]
; %bb.364:                              ;   in Loop: Header=BB327_176 Depth=1
	v_or_b32_e32 v58, 0x10000, v60
	v_cmp_eq_u32_sdwa s[0:1], v60, v15 src0_sel:WORD_0 src1_sel:DWORD
	s_nop 1
	v_cndmask_b32_e64 v58, v58, v60, s[0:1]
; %bb.365:                              ;   in Loop: Header=BB327_176 Depth=1
	s_or_b64 exec, exec, s[12:13]
	v_bfe_u32 v60, v9, 16, 8
	v_cvt_f32_fp8_sdwa v60, v60 src0_sel:BYTE_0
	s_nop 0
	v_mul_f32_e32 v61, s29, v60
	v_and_b32_e32 v60, 0x7f800000, v61
	v_cmp_ne_u32_e64 s[0:1], s22, v60
                                        ; implicit-def: $vgpr60
	s_and_saveexec_b64 s[12:13], s[0:1]
	s_xor_b64 s[0:1], exec, s[12:13]
; %bb.366:                              ;   in Loop: Header=BB327_176 Depth=1
	v_bfe_u32 v60, v61, 16, 1
	v_add3_u32 v60, v61, v60, s28
                                        ; implicit-def: $vgpr61
; %bb.367:                              ;   in Loop: Header=BB327_176 Depth=1
	s_andn2_saveexec_b64 s[12:13], s[0:1]
; %bb.368:                              ;   in Loop: Header=BB327_176 Depth=1
	v_or_b32_e32 v60, 0x10000, v61
	v_cmp_eq_u32_sdwa s[0:1], v61, v15 src0_sel:WORD_0 src1_sel:DWORD
	s_nop 1
	v_cndmask_b32_e64 v60, v60, v61, s[0:1]
; %bb.369:                              ;   in Loop: Header=BB327_176 Depth=1
	s_or_b64 exec, exec, s[12:13]
	v_lshrrev_b32_e32 v9, 24, v9
	v_cvt_f32_fp8_sdwa v9, v9 src0_sel:BYTE_0
                                        ; implicit-def: $vgpr63
	s_nop 0
	v_mul_f32_e32 v9, s29, v9
	v_and_b32_e32 v61, 0x7f800000, v9
	v_cmp_ne_u32_e64 s[0:1], s22, v61
	s_and_saveexec_b64 s[12:13], s[0:1]
	s_xor_b64 s[0:1], exec, s[12:13]
; %bb.370:                              ;   in Loop: Header=BB327_176 Depth=1
	v_bfe_u32 v61, v9, 16, 1
	v_add3_u32 v63, v9, v61, s28
                                        ; implicit-def: $vgpr9
; %bb.371:                              ;   in Loop: Header=BB327_176 Depth=1
	s_andn2_saveexec_b64 s[12:13], s[0:1]
; %bb.372:                              ;   in Loop: Header=BB327_176 Depth=1
	v_or_b32_e32 v61, 0x10000, v9
	v_cmp_eq_u32_sdwa s[0:1], v9, v15 src0_sel:WORD_0 src1_sel:DWORD
	s_nop 1
	v_cndmask_b32_e64 v63, v61, v9, s[0:1]
; %bb.373:                              ;   in Loop: Header=BB327_176 Depth=1
	s_or_b64 exec, exec, s[12:13]
	v_lshrrev_b32_e32 v58, 16, v58
	v_lshrrev_b32_e32 v61, 16, v59
	;; [unrolled: 1-line block ×8, first 2 shown]
	s_and_saveexec_b64 s[12:13], vcc
	s_cbranch_execz .LBB327_375
; %bb.374:                              ;   in Loop: Header=BB327_176 Depth=1
	v_cmp_gt_i32_e64 s[0:1], s33, v30
	s_nop 1
	v_cndmask_b32_e64 v8, 0, v8, s[0:1]
	v_cmp_gt_i32_e64 s[0:1], s33, v37
	s_nop 1
	v_cndmask_b32_e64 v9, 0, v9, s[0:1]
	;; [unrolled: 3-line block ×8, first 2 shown]
.LBB327_375:                            ;   in Loop: Header=BB327_176 Depth=1
	s_or_b64 exec, exec, s[12:13]
	v_lshlrev_b32_e32 v8, 16, v8
	v_mul_f32_e32 v55, v39, v8
	v_and_b32_e32 v8, 0x7f800000, v55
	v_cmp_ne_u32_e64 s[0:1], s22, v8
                                        ; implicit-def: $vgpr8
	s_and_saveexec_b64 s[12:13], s[0:1]
	s_xor_b64 s[0:1], exec, s[12:13]
; %bb.376:                              ;   in Loop: Header=BB327_176 Depth=1
	v_bfe_u32 v8, v55, 16, 1
	v_add3_u32 v8, v55, v8, s28
                                        ; implicit-def: $vgpr55
; %bb.377:                              ;   in Loop: Header=BB327_176 Depth=1
	s_andn2_saveexec_b64 s[12:13], s[0:1]
; %bb.378:                              ;   in Loop: Header=BB327_176 Depth=1
	v_or_b32_e32 v8, 0x10000, v55
	v_cmp_eq_u32_sdwa s[0:1], v55, v15 src0_sel:WORD_0 src1_sel:DWORD
	s_nop 1
	v_cndmask_b32_e64 v8, v8, v55, s[0:1]
; %bb.379:                              ;   in Loop: Header=BB327_176 Depth=1
	s_or_b64 exec, exec, s[12:13]
	v_lshlrev_b32_e32 v9, 16, v9
	v_mul_f32_e32 v55, v40, v9
	v_and_b32_e32 v9, 0x7f800000, v55
	v_cmp_ne_u32_e64 s[0:1], s22, v9
                                        ; implicit-def: $vgpr9
	s_and_saveexec_b64 s[12:13], s[0:1]
	s_xor_b64 s[0:1], exec, s[12:13]
; %bb.380:                              ;   in Loop: Header=BB327_176 Depth=1
	v_bfe_u32 v9, v55, 16, 1
	v_add3_u32 v9, v55, v9, s28
                                        ; implicit-def: $vgpr55
; %bb.381:                              ;   in Loop: Header=BB327_176 Depth=1
	s_andn2_saveexec_b64 s[12:13], s[0:1]
; %bb.382:                              ;   in Loop: Header=BB327_176 Depth=1
	v_or_b32_e32 v9, 0x10000, v55
	v_cmp_eq_u32_sdwa s[0:1], v55, v15 src0_sel:WORD_0 src1_sel:DWORD
	s_nop 1
	v_cndmask_b32_e64 v9, v9, v55, s[0:1]
; %bb.383:                              ;   in Loop: Header=BB327_176 Depth=1
	s_or_b64 exec, exec, s[12:13]
	v_lshlrev_b32_e32 v55, 16, v57
	v_mul_f32_e32 v56, v41, v55
	v_and_b32_e32 v55, 0x7f800000, v56
	v_cmp_ne_u32_e64 s[0:1], s22, v55
                                        ; implicit-def: $vgpr55
	s_and_saveexec_b64 s[12:13], s[0:1]
	s_xor_b64 s[0:1], exec, s[12:13]
; %bb.384:                              ;   in Loop: Header=BB327_176 Depth=1
	v_bfe_u32 v55, v56, 16, 1
	v_add3_u32 v55, v56, v55, s28
                                        ; implicit-def: $vgpr56
; %bb.385:                              ;   in Loop: Header=BB327_176 Depth=1
	s_andn2_saveexec_b64 s[12:13], s[0:1]
; %bb.386:                              ;   in Loop: Header=BB327_176 Depth=1
	v_or_b32_e32 v55, 0x10000, v56
	v_cmp_eq_u32_sdwa s[0:1], v56, v15 src0_sel:WORD_0 src1_sel:DWORD
	s_nop 1
	v_cndmask_b32_e64 v55, v55, v56, s[0:1]
; %bb.387:                              ;   in Loop: Header=BB327_176 Depth=1
	s_or_b64 exec, exec, s[12:13]
	v_lshlrev_b32_e32 v56, 16, v62
	v_mul_f32_e32 v57, v42, v56
	v_and_b32_e32 v56, 0x7f800000, v57
	v_cmp_ne_u32_e64 s[0:1], s22, v56
                                        ; implicit-def: $vgpr56
	s_and_saveexec_b64 s[12:13], s[0:1]
	s_xor_b64 s[0:1], exec, s[12:13]
; %bb.388:                              ;   in Loop: Header=BB327_176 Depth=1
	v_bfe_u32 v56, v57, 16, 1
	v_add3_u32 v56, v57, v56, s28
                                        ; implicit-def: $vgpr57
; %bb.389:                              ;   in Loop: Header=BB327_176 Depth=1
	s_andn2_saveexec_b64 s[12:13], s[0:1]
; %bb.390:                              ;   in Loop: Header=BB327_176 Depth=1
	v_or_b32_e32 v56, 0x10000, v57
	v_cmp_eq_u32_sdwa s[0:1], v57, v15 src0_sel:WORD_0 src1_sel:DWORD
	s_nop 1
	v_cndmask_b32_e64 v56, v56, v57, s[0:1]
; %bb.391:                              ;   in Loop: Header=BB327_176 Depth=1
	s_or_b64 exec, exec, s[12:13]
	v_lshlrev_b32_e32 v57, 16, v61
	v_mul_f32_e32 v61, v43, v57
	v_and_b32_e32 v57, 0x7f800000, v61
	v_cmp_ne_u32_e64 s[0:1], s22, v57
                                        ; implicit-def: $vgpr57
	s_and_saveexec_b64 s[12:13], s[0:1]
	s_xor_b64 s[0:1], exec, s[12:13]
; %bb.392:                              ;   in Loop: Header=BB327_176 Depth=1
	v_bfe_u32 v57, v61, 16, 1
	v_add3_u32 v57, v61, v57, s28
                                        ; implicit-def: $vgpr61
; %bb.393:                              ;   in Loop: Header=BB327_176 Depth=1
	s_andn2_saveexec_b64 s[12:13], s[0:1]
; %bb.394:                              ;   in Loop: Header=BB327_176 Depth=1
	v_or_b32_e32 v57, 0x10000, v61
	v_cmp_eq_u32_sdwa s[0:1], v61, v15 src0_sel:WORD_0 src1_sel:DWORD
	s_nop 1
	v_cndmask_b32_e64 v57, v57, v61, s[0:1]
; %bb.395:                              ;   in Loop: Header=BB327_176 Depth=1
	s_or_b64 exec, exec, s[12:13]
	v_lshlrev_b32_e32 v58, 16, v58
	v_mul_f32_e32 v61, v44, v58
	v_and_b32_e32 v58, 0x7f800000, v61
	v_cmp_ne_u32_e64 s[0:1], s22, v58
                                        ; implicit-def: $vgpr58
	s_and_saveexec_b64 s[12:13], s[0:1]
	s_xor_b64 s[0:1], exec, s[12:13]
; %bb.396:                              ;   in Loop: Header=BB327_176 Depth=1
	v_bfe_u32 v58, v61, 16, 1
	v_add3_u32 v58, v61, v58, s28
                                        ; implicit-def: $vgpr61
; %bb.397:                              ;   in Loop: Header=BB327_176 Depth=1
	s_andn2_saveexec_b64 s[12:13], s[0:1]
; %bb.398:                              ;   in Loop: Header=BB327_176 Depth=1
	v_or_b32_e32 v58, 0x10000, v61
	v_cmp_eq_u32_sdwa s[0:1], v61, v15 src0_sel:WORD_0 src1_sel:DWORD
	s_nop 1
	v_cndmask_b32_e64 v58, v58, v61, s[0:1]
; %bb.399:                              ;   in Loop: Header=BB327_176 Depth=1
	s_or_b64 exec, exec, s[12:13]
	v_lshlrev_b32_e32 v59, 16, v59
	v_mul_f32_e32 v61, v45, v59
	v_and_b32_e32 v59, 0x7f800000, v61
	v_cmp_ne_u32_e64 s[0:1], s22, v59
                                        ; implicit-def: $vgpr59
	s_and_saveexec_b64 s[12:13], s[0:1]
	s_xor_b64 s[0:1], exec, s[12:13]
; %bb.400:                              ;   in Loop: Header=BB327_176 Depth=1
	v_bfe_u32 v59, v61, 16, 1
	v_add3_u32 v59, v61, v59, s28
                                        ; implicit-def: $vgpr61
; %bb.401:                              ;   in Loop: Header=BB327_176 Depth=1
	s_andn2_saveexec_b64 s[12:13], s[0:1]
; %bb.402:                              ;   in Loop: Header=BB327_176 Depth=1
	v_or_b32_e32 v59, 0x10000, v61
	v_cmp_eq_u32_sdwa s[0:1], v61, v15 src0_sel:WORD_0 src1_sel:DWORD
	s_nop 1
	v_cndmask_b32_e64 v59, v59, v61, s[0:1]
; %bb.403:                              ;   in Loop: Header=BB327_176 Depth=1
	s_or_b64 exec, exec, s[12:13]
	v_lshlrev_b32_e32 v60, 16, v60
	v_mul_f32_e32 v61, v46, v60
	v_and_b32_e32 v60, 0x7f800000, v61
	v_cmp_ne_u32_e64 s[0:1], s22, v60
                                        ; implicit-def: $vgpr60
	s_and_saveexec_b64 s[12:13], s[0:1]
	s_xor_b64 s[0:1], exec, s[12:13]
; %bb.404:                              ;   in Loop: Header=BB327_176 Depth=1
	v_bfe_u32 v60, v61, 16, 1
	v_add3_u32 v60, v61, v60, s28
                                        ; implicit-def: $vgpr61
; %bb.405:                              ;   in Loop: Header=BB327_176 Depth=1
	s_andn2_saveexec_b64 s[12:13], s[0:1]
; %bb.406:                              ;   in Loop: Header=BB327_176 Depth=1
	v_or_b32_e32 v60, 0x10000, v61
	v_cmp_eq_u32_sdwa s[0:1], v61, v15 src0_sel:WORD_0 src1_sel:DWORD
	s_nop 1
	v_cndmask_b32_e64 v60, v60, v61, s[0:1]
; %bb.407:                              ;   in Loop: Header=BB327_176 Depth=1
	s_or_b64 exec, exec, s[12:13]
	global_load_dwordx2 v[6:7], v[6:7], off offset:1536
	s_waitcnt vmcnt(0)
	v_and_b32_e32 v61, 0xff, v6
	v_cvt_f32_fp8_sdwa v61, v61 src0_sel:BYTE_0
	s_nop 0
	v_mul_f32_e32 v62, s29, v61
	v_and_b32_e32 v61, 0x7f800000, v62
	v_cmp_ne_u32_e64 s[0:1], s22, v61
                                        ; implicit-def: $vgpr61
	s_and_saveexec_b64 s[12:13], s[0:1]
	s_xor_b64 s[0:1], exec, s[12:13]
; %bb.408:                              ;   in Loop: Header=BB327_176 Depth=1
	v_bfe_u32 v61, v62, 16, 1
	v_add3_u32 v61, v62, v61, s28
                                        ; implicit-def: $vgpr62
; %bb.409:                              ;   in Loop: Header=BB327_176 Depth=1
	s_andn2_saveexec_b64 s[12:13], s[0:1]
; %bb.410:                              ;   in Loop: Header=BB327_176 Depth=1
	v_or_b32_e32 v61, 0x10000, v62
	v_cmp_eq_u32_sdwa s[0:1], v62, v15 src0_sel:WORD_0 src1_sel:DWORD
	s_nop 1
	v_cndmask_b32_e64 v61, v61, v62, s[0:1]
; %bb.411:                              ;   in Loop: Header=BB327_176 Depth=1
	s_or_b64 exec, exec, s[12:13]
	v_bfe_u32 v62, v6, 8, 8
	v_cvt_f32_fp8_sdwa v62, v62 src0_sel:BYTE_0
	s_nop 0
	v_mul_f32_e32 v63, s29, v62
	v_and_b32_e32 v62, 0x7f800000, v63
	v_cmp_ne_u32_e64 s[0:1], s22, v62
                                        ; implicit-def: $vgpr62
	s_and_saveexec_b64 s[12:13], s[0:1]
	s_xor_b64 s[0:1], exec, s[12:13]
; %bb.412:                              ;   in Loop: Header=BB327_176 Depth=1
	v_bfe_u32 v62, v63, 16, 1
	v_add3_u32 v62, v63, v62, s28
                                        ; implicit-def: $vgpr63
; %bb.413:                              ;   in Loop: Header=BB327_176 Depth=1
	s_andn2_saveexec_b64 s[12:13], s[0:1]
; %bb.414:                              ;   in Loop: Header=BB327_176 Depth=1
	v_or_b32_e32 v62, 0x10000, v63
	v_cmp_eq_u32_sdwa s[0:1], v63, v15 src0_sel:WORD_0 src1_sel:DWORD
	s_nop 1
	v_cndmask_b32_e64 v62, v62, v63, s[0:1]
; %bb.415:                              ;   in Loop: Header=BB327_176 Depth=1
	s_or_b64 exec, exec, s[12:13]
	v_bfe_u32 v63, v6, 16, 8
	v_cvt_f32_fp8_sdwa v63, v63 src0_sel:BYTE_0
	s_nop 0
	v_mul_f32_e32 v63, s29, v63
	v_and_b32_e32 v64, 0x7f800000, v63
	v_cmp_ne_u32_e64 s[0:1], s22, v64
                                        ; implicit-def: $vgpr64
	s_and_saveexec_b64 s[12:13], s[0:1]
	s_xor_b64 s[0:1], exec, s[12:13]
; %bb.416:                              ;   in Loop: Header=BB327_176 Depth=1
	v_bfe_u32 v64, v63, 16, 1
	v_add3_u32 v64, v63, v64, s28
                                        ; implicit-def: $vgpr63
; %bb.417:                              ;   in Loop: Header=BB327_176 Depth=1
	s_andn2_saveexec_b64 s[12:13], s[0:1]
; %bb.418:                              ;   in Loop: Header=BB327_176 Depth=1
	v_or_b32_e32 v64, 0x10000, v63
	v_cmp_eq_u32_sdwa s[0:1], v63, v15 src0_sel:WORD_0 src1_sel:DWORD
	s_nop 1
	v_cndmask_b32_e64 v64, v64, v63, s[0:1]
; %bb.419:                              ;   in Loop: Header=BB327_176 Depth=1
	s_or_b64 exec, exec, s[12:13]
	v_lshrrev_b32_e32 v6, 24, v6
	v_cvt_f32_fp8_sdwa v6, v6 src0_sel:BYTE_0
	s_nop 0
	v_mul_f32_e32 v63, s29, v6
	v_and_b32_e32 v6, 0x7f800000, v63
	v_cmp_ne_u32_e64 s[0:1], s22, v6
                                        ; implicit-def: $vgpr6
	s_and_saveexec_b64 s[12:13], s[0:1]
	s_xor_b64 s[0:1], exec, s[12:13]
; %bb.420:                              ;   in Loop: Header=BB327_176 Depth=1
	v_bfe_u32 v6, v63, 16, 1
	v_add3_u32 v6, v63, v6, s28
                                        ; implicit-def: $vgpr63
; %bb.421:                              ;   in Loop: Header=BB327_176 Depth=1
	s_andn2_saveexec_b64 s[12:13], s[0:1]
; %bb.422:                              ;   in Loop: Header=BB327_176 Depth=1
	v_or_b32_e32 v6, 0x10000, v63
	v_cmp_eq_u32_sdwa s[0:1], v63, v15 src0_sel:WORD_0 src1_sel:DWORD
	s_nop 1
	v_cndmask_b32_e64 v6, v6, v63, s[0:1]
; %bb.423:                              ;   in Loop: Header=BB327_176 Depth=1
	s_or_b64 exec, exec, s[12:13]
	v_and_b32_e32 v63, 0xff, v7
	v_cvt_f32_fp8_sdwa v63, v63 src0_sel:BYTE_0
	s_nop 0
	v_mul_f32_e32 v63, s29, v63
	v_and_b32_e32 v65, 0x7f800000, v63
	v_cmp_ne_u32_e64 s[0:1], s22, v65
                                        ; implicit-def: $vgpr65
	s_and_saveexec_b64 s[12:13], s[0:1]
	s_xor_b64 s[0:1], exec, s[12:13]
; %bb.424:                              ;   in Loop: Header=BB327_176 Depth=1
	v_bfe_u32 v65, v63, 16, 1
	v_add3_u32 v65, v63, v65, s28
                                        ; implicit-def: $vgpr63
; %bb.425:                              ;   in Loop: Header=BB327_176 Depth=1
	s_andn2_saveexec_b64 s[12:13], s[0:1]
; %bb.426:                              ;   in Loop: Header=BB327_176 Depth=1
	v_or_b32_e32 v65, 0x10000, v63
	v_cmp_eq_u32_sdwa s[0:1], v63, v15 src0_sel:WORD_0 src1_sel:DWORD
	s_nop 1
	v_cndmask_b32_e64 v65, v65, v63, s[0:1]
; %bb.427:                              ;   in Loop: Header=BB327_176 Depth=1
	s_or_b64 exec, exec, s[12:13]
	v_bfe_u32 v63, v7, 8, 8
	v_cvt_f32_fp8_sdwa v63, v63 src0_sel:BYTE_0
	s_nop 0
	v_mul_f32_e32 v66, s29, v63
	v_and_b32_e32 v63, 0x7f800000, v66
	v_cmp_ne_u32_e64 s[0:1], s22, v63
                                        ; implicit-def: $vgpr63
	s_and_saveexec_b64 s[12:13], s[0:1]
	s_xor_b64 s[0:1], exec, s[12:13]
; %bb.428:                              ;   in Loop: Header=BB327_176 Depth=1
	v_bfe_u32 v63, v66, 16, 1
	v_add3_u32 v63, v66, v63, s28
                                        ; implicit-def: $vgpr66
; %bb.429:                              ;   in Loop: Header=BB327_176 Depth=1
	s_andn2_saveexec_b64 s[12:13], s[0:1]
; %bb.430:                              ;   in Loop: Header=BB327_176 Depth=1
	v_or_b32_e32 v63, 0x10000, v66
	v_cmp_eq_u32_sdwa s[0:1], v66, v15 src0_sel:WORD_0 src1_sel:DWORD
	s_nop 1
	v_cndmask_b32_e64 v63, v63, v66, s[0:1]
; %bb.431:                              ;   in Loop: Header=BB327_176 Depth=1
	s_or_b64 exec, exec, s[12:13]
	v_bfe_u32 v66, v7, 16, 8
	v_cvt_f32_fp8_sdwa v66, v66 src0_sel:BYTE_0
	s_nop 0
	v_mul_f32_e32 v66, s29, v66
	v_and_b32_e32 v67, 0x7f800000, v66
	v_cmp_ne_u32_e64 s[0:1], s22, v67
                                        ; implicit-def: $vgpr67
	s_and_saveexec_b64 s[12:13], s[0:1]
	s_xor_b64 s[0:1], exec, s[12:13]
; %bb.432:                              ;   in Loop: Header=BB327_176 Depth=1
	v_bfe_u32 v67, v66, 16, 1
	v_add3_u32 v67, v66, v67, s28
                                        ; implicit-def: $vgpr66
; %bb.433:                              ;   in Loop: Header=BB327_176 Depth=1
	s_andn2_saveexec_b64 s[12:13], s[0:1]
; %bb.434:                              ;   in Loop: Header=BB327_176 Depth=1
	v_or_b32_e32 v67, 0x10000, v66
	v_cmp_eq_u32_sdwa s[0:1], v66, v15 src0_sel:WORD_0 src1_sel:DWORD
	s_nop 1
	v_cndmask_b32_e64 v67, v67, v66, s[0:1]
; %bb.435:                              ;   in Loop: Header=BB327_176 Depth=1
	s_or_b64 exec, exec, s[12:13]
	v_lshrrev_b32_e32 v7, 24, v7
	v_cvt_f32_fp8_sdwa v7, v7 src0_sel:BYTE_0
                                        ; implicit-def: $vgpr68
	s_nop 0
	v_mul_f32_e32 v7, s29, v7
	v_and_b32_e32 v66, 0x7f800000, v7
	v_cmp_ne_u32_e64 s[0:1], s22, v66
	s_and_saveexec_b64 s[12:13], s[0:1]
	s_xor_b64 s[0:1], exec, s[12:13]
; %bb.436:                              ;   in Loop: Header=BB327_176 Depth=1
	v_bfe_u32 v66, v7, 16, 1
	v_add3_u32 v68, v7, v66, s28
                                        ; implicit-def: $vgpr7
; %bb.437:                              ;   in Loop: Header=BB327_176 Depth=1
	s_andn2_saveexec_b64 s[12:13], s[0:1]
; %bb.438:                              ;   in Loop: Header=BB327_176 Depth=1
	v_or_b32_e32 v66, 0x10000, v7
	v_cmp_eq_u32_sdwa s[0:1], v7, v15 src0_sel:WORD_0 src1_sel:DWORD
	s_nop 1
	v_cndmask_b32_e64 v68, v66, v7, s[0:1]
; %bb.439:                              ;   in Loop: Header=BB327_176 Depth=1
	s_or_b64 exec, exec, s[12:13]
	v_lshrrev_b32_e32 v63, 16, v63
	v_lshrrev_b32_e32 v65, 16, v65
	;; [unrolled: 1-line block ×8, first 2 shown]
	s_and_saveexec_b64 s[0:1], vcc
	s_cbranch_execz .LBB327_441
; %bb.440:                              ;   in Loop: Header=BB327_176 Depth=1
	v_cmp_gt_i32_e32 vcc, s33, v30
	s_nop 1
	v_cndmask_b32_e32 v6, 0, v6, vcc
	v_cmp_gt_i32_e32 vcc, s33, v37
	s_nop 1
	v_cndmask_b32_e32 v7, 0, v7, vcc
	;; [unrolled: 3-line block ×8, first 2 shown]
.LBB327_441:                            ;   in Loop: Header=BB327_176 Depth=1
	s_or_b64 exec, exec, s[0:1]
	v_lshlrev_b32_e32 v6, 16, v6
	v_mul_f32_e32 v30, v39, v6
	v_and_b32_e32 v6, 0x7f800000, v30
	v_cmp_ne_u32_e32 vcc, s22, v6
                                        ; implicit-def: $vgpr6
	s_and_saveexec_b64 s[0:1], vcc
	s_xor_b64 s[0:1], exec, s[0:1]
; %bb.442:                              ;   in Loop: Header=BB327_176 Depth=1
	v_bfe_u32 v6, v30, 16, 1
	v_add3_u32 v6, v30, v6, s28
                                        ; implicit-def: $vgpr30
; %bb.443:                              ;   in Loop: Header=BB327_176 Depth=1
	s_andn2_saveexec_b64 s[0:1], s[0:1]
; %bb.444:                              ;   in Loop: Header=BB327_176 Depth=1
	v_or_b32_e32 v6, 0x10000, v30
	v_cmp_eq_u32_sdwa vcc, v30, v15 src0_sel:WORD_0 src1_sel:DWORD
	s_nop 1
	v_cndmask_b32_e32 v6, v6, v30, vcc
; %bb.445:                              ;   in Loop: Header=BB327_176 Depth=1
	s_or_b64 exec, exec, s[0:1]
	v_lshlrev_b32_e32 v7, 16, v7
	v_mul_f32_e32 v30, v40, v7
	v_and_b32_e32 v7, 0x7f800000, v30
	v_cmp_ne_u32_e32 vcc, s22, v7
                                        ; implicit-def: $vgpr7
	s_and_saveexec_b64 s[0:1], vcc
	s_xor_b64 s[0:1], exec, s[0:1]
; %bb.446:                              ;   in Loop: Header=BB327_176 Depth=1
	v_bfe_u32 v7, v30, 16, 1
	v_add3_u32 v7, v30, v7, s28
                                        ; implicit-def: $vgpr30
; %bb.447:                              ;   in Loop: Header=BB327_176 Depth=1
	s_andn2_saveexec_b64 s[0:1], s[0:1]
; %bb.448:                              ;   in Loop: Header=BB327_176 Depth=1
	v_or_b32_e32 v7, 0x10000, v30
	v_cmp_eq_u32_sdwa vcc, v30, v15 src0_sel:WORD_0 src1_sel:DWORD
	s_nop 1
	v_cndmask_b32_e32 v7, v7, v30, vcc
; %bb.449:                              ;   in Loop: Header=BB327_176 Depth=1
	s_or_b64 exec, exec, s[0:1]
	v_lshlrev_b32_e32 v30, 16, v64
	v_mul_f32_e32 v31, v41, v30
	v_and_b32_e32 v30, 0x7f800000, v31
	v_cmp_ne_u32_e32 vcc, s22, v30
                                        ; implicit-def: $vgpr30
	s_and_saveexec_b64 s[0:1], vcc
	s_xor_b64 s[0:1], exec, s[0:1]
; %bb.450:                              ;   in Loop: Header=BB327_176 Depth=1
	v_bfe_u32 v30, v31, 16, 1
	v_add3_u32 v30, v31, v30, s28
                                        ; implicit-def: $vgpr31
; %bb.451:                              ;   in Loop: Header=BB327_176 Depth=1
	s_andn2_saveexec_b64 s[0:1], s[0:1]
; %bb.452:                              ;   in Loop: Header=BB327_176 Depth=1
	v_or_b32_e32 v30, 0x10000, v31
	v_cmp_eq_u32_sdwa vcc, v31, v15 src0_sel:WORD_0 src1_sel:DWORD
	s_nop 1
	v_cndmask_b32_e32 v30, v30, v31, vcc
; %bb.453:                              ;   in Loop: Header=BB327_176 Depth=1
	s_or_b64 exec, exec, s[0:1]
	v_lshlrev_b32_e32 v31, 16, v66
	v_mul_f32_e32 v32, v42, v31
	v_and_b32_e32 v31, 0x7f800000, v32
	v_cmp_ne_u32_e32 vcc, s22, v31
                                        ; implicit-def: $vgpr31
	s_and_saveexec_b64 s[0:1], vcc
	s_xor_b64 s[0:1], exec, s[0:1]
; %bb.454:                              ;   in Loop: Header=BB327_176 Depth=1
	v_bfe_u32 v31, v32, 16, 1
	v_add3_u32 v31, v32, v31, s28
                                        ; implicit-def: $vgpr32
; %bb.455:                              ;   in Loop: Header=BB327_176 Depth=1
	s_andn2_saveexec_b64 s[0:1], s[0:1]
; %bb.456:                              ;   in Loop: Header=BB327_176 Depth=1
	v_or_b32_e32 v31, 0x10000, v32
	v_cmp_eq_u32_sdwa vcc, v32, v15 src0_sel:WORD_0 src1_sel:DWORD
	s_nop 1
	v_cndmask_b32_e32 v31, v31, v32, vcc
; %bb.457:                              ;   in Loop: Header=BB327_176 Depth=1
	s_or_b64 exec, exec, s[0:1]
	v_lshlrev_b32_e32 v32, 16, v65
	v_mul_f32_e32 v33, v43, v32
	v_and_b32_e32 v32, 0x7f800000, v33
	v_cmp_ne_u32_e32 vcc, s22, v32
                                        ; implicit-def: $vgpr32
	s_and_saveexec_b64 s[0:1], vcc
	s_xor_b64 s[0:1], exec, s[0:1]
; %bb.458:                              ;   in Loop: Header=BB327_176 Depth=1
	v_bfe_u32 v32, v33, 16, 1
	v_add3_u32 v32, v33, v32, s28
                                        ; implicit-def: $vgpr33
; %bb.459:                              ;   in Loop: Header=BB327_176 Depth=1
	s_andn2_saveexec_b64 s[0:1], s[0:1]
; %bb.460:                              ;   in Loop: Header=BB327_176 Depth=1
	v_or_b32_e32 v32, 0x10000, v33
	v_cmp_eq_u32_sdwa vcc, v33, v15 src0_sel:WORD_0 src1_sel:DWORD
	s_nop 1
	v_cndmask_b32_e32 v32, v32, v33, vcc
; %bb.461:                              ;   in Loop: Header=BB327_176 Depth=1
	s_or_b64 exec, exec, s[0:1]
	v_lshlrev_b32_e32 v33, 16, v63
	v_mul_f32_e32 v34, v44, v33
	v_and_b32_e32 v33, 0x7f800000, v34
	v_cmp_ne_u32_e32 vcc, s22, v33
                                        ; implicit-def: $vgpr33
	s_and_saveexec_b64 s[0:1], vcc
	s_xor_b64 s[0:1], exec, s[0:1]
; %bb.462:                              ;   in Loop: Header=BB327_176 Depth=1
	v_bfe_u32 v33, v34, 16, 1
	v_add3_u32 v33, v34, v33, s28
                                        ; implicit-def: $vgpr34
; %bb.463:                              ;   in Loop: Header=BB327_176 Depth=1
	s_andn2_saveexec_b64 s[0:1], s[0:1]
; %bb.464:                              ;   in Loop: Header=BB327_176 Depth=1
	v_or_b32_e32 v33, 0x10000, v34
	v_cmp_eq_u32_sdwa vcc, v34, v15 src0_sel:WORD_0 src1_sel:DWORD
	s_nop 1
	v_cndmask_b32_e32 v33, v33, v34, vcc
; %bb.465:                              ;   in Loop: Header=BB327_176 Depth=1
	s_or_b64 exec, exec, s[0:1]
	v_lshlrev_b32_e32 v34, 16, v62
	v_mul_f32_e32 v35, v45, v34
	v_and_b32_e32 v34, 0x7f800000, v35
	v_cmp_ne_u32_e32 vcc, s22, v34
                                        ; implicit-def: $vgpr34
	s_and_saveexec_b64 s[0:1], vcc
	s_xor_b64 s[0:1], exec, s[0:1]
; %bb.466:                              ;   in Loop: Header=BB327_176 Depth=1
	v_bfe_u32 v34, v35, 16, 1
	v_add3_u32 v34, v35, v34, s28
                                        ; implicit-def: $vgpr35
; %bb.467:                              ;   in Loop: Header=BB327_176 Depth=1
	s_andn2_saveexec_b64 s[0:1], s[0:1]
; %bb.468:                              ;   in Loop: Header=BB327_176 Depth=1
	v_or_b32_e32 v34, 0x10000, v35
	v_cmp_eq_u32_sdwa vcc, v35, v15 src0_sel:WORD_0 src1_sel:DWORD
	s_nop 1
	v_cndmask_b32_e32 v34, v34, v35, vcc
; %bb.469:                              ;   in Loop: Header=BB327_176 Depth=1
	s_or_b64 exec, exec, s[0:1]
	v_lshlrev_b32_e32 v35, 16, v61
	v_mul_f32_e32 v36, v46, v35
	v_and_b32_e32 v35, 0x7f800000, v36
	v_cmp_ne_u32_e32 vcc, s22, v35
                                        ; implicit-def: $vgpr35
	s_and_saveexec_b64 s[0:1], vcc
	s_xor_b64 s[0:1], exec, s[0:1]
; %bb.470:                              ;   in Loop: Header=BB327_176 Depth=1
	v_bfe_u32 v35, v36, 16, 1
	v_add3_u32 v35, v36, v35, s28
                                        ; implicit-def: $vgpr36
; %bb.471:                              ;   in Loop: Header=BB327_176 Depth=1
	s_andn2_saveexec_b64 s[0:1], s[0:1]
	s_cbranch_execz .LBB327_174
; %bb.472:                              ;   in Loop: Header=BB327_176 Depth=1
	v_or_b32_e32 v35, 0x10000, v36
	v_cmp_eq_u32_sdwa vcc, v36, v15 src0_sel:WORD_0 src1_sel:DWORD
	s_nop 1
	v_cndmask_b32_e32 v35, v35, v36, vcc
	s_branch .LBB327_174
.LBB327_473:
	s_or_b64 exec, exec, s[6:7]
.LBB327_474:
	s_or_b64 exec, exec, s[8:9]
	ds_bpermute_b32 v6, v21, v2
	ds_bpermute_b32 v7, v21, v3
	;; [unrolled: 1-line block ×4, first 2 shown]
	v_and_b32_e32 v1, 0x3c3, v0
	v_cmp_eq_u32_e32 vcc, 64, v1
	s_waitcnt lgkmcnt(2)
	v_pk_add_f32 v[2:3], v[2:3], v[6:7]
	ds_bpermute_b32 v6, v22, v2
	s_waitcnt lgkmcnt(1)
	v_pk_add_f32 v[8:9], v[4:5], v[8:9]
	ds_bpermute_b32 v7, v22, v3
	ds_bpermute_b32 v10, v22, v8
	;; [unrolled: 1-line block ×3, first 2 shown]
	s_waitcnt lgkmcnt(0)
	s_barrier
	v_pk_add_f32 v[4:5], v[2:3], v[6:7]
	v_pk_add_f32 v[2:3], v[8:9], v[10:11]
	s_and_saveexec_b64 s[0:1], vcc
	s_cbranch_execz .LBB327_476
; %bb.475:
	v_add_u32_e32 v1, 0x90, v20
	ds_write2_b32 v1, v4, v5 offset1:16
	ds_write2_b32 v1, v2, v3 offset0:32 offset1:48
.LBB327_476:
	s_or_b64 exec, exec, s[0:1]
	v_cmp_gt_u32_e32 vcc, 64, v0
	s_waitcnt lgkmcnt(0)
	s_barrier
	s_and_saveexec_b64 s[2:3], vcc
	s_cbranch_execz .LBB327_483
; %bb.477:
	v_cmp_eq_u32_e64 s[0:1], 0, v23
	v_lshrrev_b32_e32 v1, 2, v0
	s_and_saveexec_b64 s[6:7], s[0:1]
	s_cbranch_execnz .LBB327_503
; %bb.478:
	s_or_b64 exec, exec, s[6:7]
	s_and_saveexec_b64 s[6:7], s[0:1]
	s_cbranch_execnz .LBB327_504
.LBB327_479:
	s_or_b64 exec, exec, s[6:7]
	s_and_saveexec_b64 s[6:7], s[0:1]
	s_cbranch_execnz .LBB327_505
.LBB327_480:
	s_or_b64 exec, exec, s[6:7]
	s_and_saveexec_b64 s[6:7], s[0:1]
	s_cbranch_execz .LBB327_482
.LBB327_481:
	v_mov_b32_e32 v6, 0x90
	v_lshl_add_u32 v1, v1, 2, v6
	ds_read_b32 v1, v1 offset:192
	s_waitcnt lgkmcnt(0)
	v_add_f32_e32 v3, v3, v1
.LBB327_482:
	s_or_b64 exec, exec, s[6:7]
.LBB327_483:
	s_or_b64 exec, exec, s[2:3]
	s_barrier
	s_and_saveexec_b64 s[0:1], vcc
	s_cbranch_execz .LBB327_502
; %bb.484:
	v_cmp_eq_u32_e32 vcc, 0, v23
	s_and_b64 exec, exec, vcc
	s_cbranch_execz .LBB327_502
; %bb.485:
	s_mov_b32 s0, 0x7f800000
	v_and_b32_e32 v1, 0x7f800000, v4
	v_cmp_ne_u32_e32 vcc, s0, v1
                                        ; implicit-def: $vgpr6
	s_and_saveexec_b64 s[0:1], vcc
	s_xor_b64 s[0:1], exec, s[0:1]
; %bb.486:
	v_bfe_u32 v1, v4, 16, 1
	s_movk_i32 s2, 0x7fff
	v_add3_u32 v6, v4, v1, s2
; %bb.487:
	s_andn2_saveexec_b64 s[0:1], s[0:1]
; %bb.488:
	v_mov_b32_e32 v1, 0
	v_or_b32_e32 v6, 0x10000, v4
	v_cmp_eq_u32_sdwa vcc, v4, v1 src0_sel:WORD_0 src1_sel:DWORD
	s_nop 1
	v_cndmask_b32_e32 v6, v6, v4, vcc
; %bb.489:
	s_or_b64 exec, exec, s[0:1]
	s_mul_i32 s0, s10, s11
	s_mul_i32 s0, s0, s5
	s_lshl_b32 s0, s0, 6
	s_ashr_i32 s1, s0, 31
	s_lshl_b64 s[0:1], s[0:1], 1
	s_add_u32 s2, s26, s0
	s_mul_i32 s0, s11, s24
	s_addc_u32 s3, s27, s1
	s_ashr_i32 s1, s0, 31
	s_lshl_b64 s[0:1], s[0:1], 1
	s_add_u32 s2, s2, s0
	s_addc_u32 s3, s3, s1
	s_lshl_b32 s0, s4, 6
	s_ashr_i32 s1, s0, 31
	s_lshl_b64 s[0:1], s[0:1], 1
	s_add_u32 s0, s2, s0
	v_lshrrev_b32_e32 v0, 1, v0
	s_mov_b32 s2, 0x7f800000
	v_and_b32_e32 v4, 0x7f800000, v5
	s_addc_u32 s1, s3, s1
	v_and_b32_e32 v0, 0x1fe, v0
	v_mov_b32_e32 v1, 0
	v_cmp_ne_u32_e32 vcc, s2, v4
	global_store_short_d16_hi v0, v6, s[0:1]
                                        ; implicit-def: $vgpr4
	s_and_saveexec_b64 s[2:3], vcc
	s_xor_b64 s[2:3], exec, s[2:3]
; %bb.490:
	v_bfe_u32 v4, v5, 16, 1
	s_movk_i32 s4, 0x7fff
	v_add3_u32 v4, v5, v4, s4
; %bb.491:
	s_or_saveexec_b64 s[2:3], s[2:3]
	v_lshl_add_u64 v[6:7], s[0:1], 0, v[0:1]
	s_xor_b64 exec, exec, s[2:3]
; %bb.492:
	v_mov_b32_e32 v0, 0
	v_or_b32_e32 v1, 0x10000, v5
	v_cmp_eq_u32_sdwa vcc, v5, v0 src0_sel:WORD_0 src1_sel:DWORD
	s_nop 1
	v_cndmask_b32_e32 v4, v1, v5, vcc
; %bb.493:
	s_or_b64 exec, exec, s[2:3]
	s_mov_b32 s0, 0x7f800000
	v_and_b32_e32 v0, 0x7f800000, v2
	v_cmp_ne_u32_e32 vcc, s0, v0
	global_store_short_d16_hi v[6:7], v4, off offset:32
                                        ; implicit-def: $vgpr0
	s_and_saveexec_b64 s[0:1], vcc
	s_xor_b64 s[0:1], exec, s[0:1]
; %bb.494:
	v_bfe_u32 v0, v2, 16, 1
	s_movk_i32 s2, 0x7fff
	v_add3_u32 v0, v2, v0, s2
; %bb.495:
	s_andn2_saveexec_b64 s[0:1], s[0:1]
; %bb.496:
	v_mov_b32_e32 v0, 0
	v_or_b32_e32 v1, 0x10000, v2
	v_cmp_eq_u32_sdwa vcc, v2, v0 src0_sel:WORD_0 src1_sel:DWORD
	s_nop 1
	v_cndmask_b32_e32 v0, v1, v2, vcc
; %bb.497:
	s_or_b64 exec, exec, s[0:1]
	global_store_short_d16_hi v[6:7], v0, off offset:64
	s_mov_b32 s0, 0x7f800000
	v_and_b32_e32 v0, 0x7f800000, v3
	v_cmp_ne_u32_e32 vcc, s0, v0
                                        ; implicit-def: $vgpr4
	s_and_saveexec_b64 s[0:1], vcc
	s_xor_b64 s[0:1], exec, s[0:1]
; %bb.498:
	v_bfe_u32 v0, v3, 16, 1
	s_movk_i32 s2, 0x7fff
	v_add3_u32 v4, v3, v0, s2
                                        ; implicit-def: $vgpr0_vgpr1_vgpr2_vgpr3
; %bb.499:
	s_andn2_saveexec_b64 s[0:1], s[0:1]
; %bb.500:
	v_mov_b32_e32 v0, 0
	v_or_b32_e32 v1, 0x10000, v3
	v_cmp_eq_u32_sdwa vcc, v3, v0 src0_sel:WORD_0 src1_sel:DWORD
	s_nop 1
	v_cndmask_b32_e32 v4, v1, v3, vcc
; %bb.501:
	s_or_b64 exec, exec, s[0:1]
	global_store_short_d16_hi v[6:7], v4, off offset:96
.LBB327_502:
	s_endpgm
.LBB327_503:
	v_mov_b32_e32 v6, 0x90
	v_lshl_add_u32 v6, v1, 2, v6
	ds_read_b32 v6, v6
	s_waitcnt lgkmcnt(0)
	v_add_f32_e32 v4, v4, v6
	s_or_b64 exec, exec, s[6:7]
	s_and_saveexec_b64 s[6:7], s[0:1]
	s_cbranch_execz .LBB327_479
.LBB327_504:
	v_mov_b32_e32 v6, 0x90
	v_lshl_add_u32 v6, v1, 2, v6
	ds_read_b32 v6, v6 offset:64
	s_waitcnt lgkmcnt(0)
	v_add_f32_e32 v5, v5, v6
	s_or_b64 exec, exec, s[6:7]
	s_and_saveexec_b64 s[6:7], s[0:1]
	s_cbranch_execz .LBB327_480
.LBB327_505:
	v_mov_b32_e32 v6, 0x90
	v_lshl_add_u32 v6, v1, 2, v6
	ds_read_b32 v6, v6 offset:128
	s_waitcnt lgkmcnt(0)
	v_add_f32_e32 v2, v2, v6
	s_or_b64 exec, exec, s[6:7]
	s_and_saveexec_b64 s[6:7], s[0:1]
	s_cbranch_execnz .LBB327_481
	s_branch .LBB327_482
	.section	.rodata,"a",@progbits
	.p2align	6, 0x0
	.amdhsa_kernel _ZN4vllm25paged_attention_v1_kernelI14__hip_bfloat16hLi64ELi32ELi128ELNS_18Fp8KVCacheDataTypeE1ELb1EEEvPT_PKS3_PKT0_S9_ifPKiSB_iPKfiiiSD_SD_iiiii
		.amdhsa_group_segment_fixed_size 144
		.amdhsa_private_segment_fixed_size 0
		.amdhsa_kernarg_size 384
		.amdhsa_user_sgpr_count 2
		.amdhsa_user_sgpr_dispatch_ptr 0
		.amdhsa_user_sgpr_queue_ptr 0
		.amdhsa_user_sgpr_kernarg_segment_ptr 1
		.amdhsa_user_sgpr_dispatch_id 0
		.amdhsa_user_sgpr_kernarg_preload_length 0
		.amdhsa_user_sgpr_kernarg_preload_offset 0
		.amdhsa_user_sgpr_private_segment_size 0
		.amdhsa_uses_dynamic_stack 0
		.amdhsa_enable_private_segment 0
		.amdhsa_system_sgpr_workgroup_id_x 1
		.amdhsa_system_sgpr_workgroup_id_y 1
		.amdhsa_system_sgpr_workgroup_id_z 1
		.amdhsa_system_sgpr_workgroup_info 0
		.amdhsa_system_vgpr_workitem_id 0
		.amdhsa_next_free_vgpr 88
		.amdhsa_next_free_sgpr 51
		.amdhsa_accum_offset 88
		.amdhsa_reserve_vcc 1
		.amdhsa_float_round_mode_32 0
		.amdhsa_float_round_mode_16_64 0
		.amdhsa_float_denorm_mode_32 3
		.amdhsa_float_denorm_mode_16_64 3
		.amdhsa_dx10_clamp 1
		.amdhsa_ieee_mode 1
		.amdhsa_fp16_overflow 0
		.amdhsa_tg_split 0
		.amdhsa_exception_fp_ieee_invalid_op 0
		.amdhsa_exception_fp_denorm_src 0
		.amdhsa_exception_fp_ieee_div_zero 0
		.amdhsa_exception_fp_ieee_overflow 0
		.amdhsa_exception_fp_ieee_underflow 0
		.amdhsa_exception_fp_ieee_inexact 0
		.amdhsa_exception_int_div_zero 0
	.end_amdhsa_kernel
	.section	.text._ZN4vllm25paged_attention_v1_kernelI14__hip_bfloat16hLi64ELi32ELi128ELNS_18Fp8KVCacheDataTypeE1ELb1EEEvPT_PKS3_PKT0_S9_ifPKiSB_iPKfiiiSD_SD_iiiii,"axG",@progbits,_ZN4vllm25paged_attention_v1_kernelI14__hip_bfloat16hLi64ELi32ELi128ELNS_18Fp8KVCacheDataTypeE1ELb1EEEvPT_PKS3_PKT0_S9_ifPKiSB_iPKfiiiSD_SD_iiiii,comdat
.Lfunc_end327:
	.size	_ZN4vllm25paged_attention_v1_kernelI14__hip_bfloat16hLi64ELi32ELi128ELNS_18Fp8KVCacheDataTypeE1ELb1EEEvPT_PKS3_PKT0_S9_ifPKiSB_iPKfiiiSD_SD_iiiii, .Lfunc_end327-_ZN4vllm25paged_attention_v1_kernelI14__hip_bfloat16hLi64ELi32ELi128ELNS_18Fp8KVCacheDataTypeE1ELb1EEEvPT_PKS3_PKT0_S9_ifPKiSB_iPKfiiiSD_SD_iiiii
                                        ; -- End function
	.section	.AMDGPU.csdata,"",@progbits
; Kernel info:
; codeLenInByte = 15676
; NumSgprs: 57
; NumVgprs: 88
; NumAgprs: 0
; TotalNumVgprs: 88
; ScratchSize: 0
; MemoryBound: 0
; FloatMode: 240
; IeeeMode: 1
; LDSByteSize: 144 bytes/workgroup (compile time only)
; SGPRBlocks: 7
; VGPRBlocks: 10
; NumSGPRsForWavesPerEU: 57
; NumVGPRsForWavesPerEU: 88
; AccumOffset: 88
; Occupancy: 5
; WaveLimiterHint : 1
; COMPUTE_PGM_RSRC2:SCRATCH_EN: 0
; COMPUTE_PGM_RSRC2:USER_SGPR: 2
; COMPUTE_PGM_RSRC2:TRAP_HANDLER: 0
; COMPUTE_PGM_RSRC2:TGID_X_EN: 1
; COMPUTE_PGM_RSRC2:TGID_Y_EN: 1
; COMPUTE_PGM_RSRC2:TGID_Z_EN: 1
; COMPUTE_PGM_RSRC2:TIDIG_COMP_CNT: 0
; COMPUTE_PGM_RSRC3_GFX90A:ACCUM_OFFSET: 21
; COMPUTE_PGM_RSRC3_GFX90A:TG_SPLIT: 0
	.section	.text._ZN4vllm25paged_attention_v1_kernelI14__hip_bfloat16hLi80ELi32ELi128ELNS_18Fp8KVCacheDataTypeE1ELb1EEEvPT_PKS3_PKT0_S9_ifPKiSB_iPKfiiiSD_SD_iiiii,"axG",@progbits,_ZN4vllm25paged_attention_v1_kernelI14__hip_bfloat16hLi80ELi32ELi128ELNS_18Fp8KVCacheDataTypeE1ELb1EEEvPT_PKS3_PKT0_S9_ifPKiSB_iPKfiiiSD_SD_iiiii,comdat
	.protected	_ZN4vllm25paged_attention_v1_kernelI14__hip_bfloat16hLi80ELi32ELi128ELNS_18Fp8KVCacheDataTypeE1ELb1EEEvPT_PKS3_PKT0_S9_ifPKiSB_iPKfiiiSD_SD_iiiii ; -- Begin function _ZN4vllm25paged_attention_v1_kernelI14__hip_bfloat16hLi80ELi32ELi128ELNS_18Fp8KVCacheDataTypeE1ELb1EEEvPT_PKS3_PKT0_S9_ifPKiSB_iPKfiiiSD_SD_iiiii
	.globl	_ZN4vllm25paged_attention_v1_kernelI14__hip_bfloat16hLi80ELi32ELi128ELNS_18Fp8KVCacheDataTypeE1ELb1EEEvPT_PKS3_PKT0_S9_ifPKiSB_iPKfiiiSD_SD_iiiii
	.p2align	8
	.type	_ZN4vllm25paged_attention_v1_kernelI14__hip_bfloat16hLi80ELi32ELi128ELNS_18Fp8KVCacheDataTypeE1ELb1EEEvPT_PKS3_PKT0_S9_ifPKiSB_iPKfiiiSD_SD_iiiii,@function
_ZN4vllm25paged_attention_v1_kernelI14__hip_bfloat16hLi80ELi32ELi128ELNS_18Fp8KVCacheDataTypeE1ELb1EEEvPT_PKS3_PKT0_S9_ifPKiSB_iPKfiiiSD_SD_iiiii: ; @_ZN4vllm25paged_attention_v1_kernelI14__hip_bfloat16hLi80ELi32ELi128ELNS_18Fp8KVCacheDataTypeE1ELb1EEEvPT_PKS3_PKT0_S9_ifPKiSB_iPKfiiiSD_SD_iiiii
; %bb.0:
	s_load_dword s5, s[0:1], 0x80
	s_load_dwordx2 s[6:7], s[0:1], 0x30
	s_load_dwordx2 s[36:37], s[0:1], 0x20
	s_mov_b32 s10, s3
	s_ashr_i32 s11, s3, 31
	s_lshl_b64 s[8:9], s[10:11], 2
	s_waitcnt lgkmcnt(0)
	s_add_u32 s6, s6, s8
	s_addc_u32 s7, s7, s9
	s_abs_i32 s3, s36
	v_cvt_f32_u32_e32 v1, s3
	s_sub_i32 s11, 0, s3
	s_abs_i32 s9, s5
	s_xor_b32 s8, s5, s36
	v_rcp_iflag_f32_e32 v1, v1
	s_ashr_i32 s8, s8, 31
	s_mov_b32 s44, 0
	v_mul_f32_e32 v1, 0x4f7ffffe, v1
	v_cvt_u32_f32_e32 v1, v1
	s_nop 0
	v_readfirstlane_b32 s12, v1
	s_mul_i32 s11, s11, s12
	s_mul_hi_u32 s11, s12, s11
	s_add_i32 s12, s12, s11
	s_mul_hi_u32 s11, s9, s12
	s_mul_i32 s12, s11, s3
	s_sub_i32 s9, s9, s12
	s_add_i32 s12, s11, 1
	s_sub_i32 s13, s9, s3
	s_cmp_ge_u32 s9, s3
	s_cselect_b32 s11, s12, s11
	s_cselect_b32 s9, s13, s9
	s_add_i32 s12, s11, 1
	s_cmp_ge_u32 s9, s3
	s_cselect_b32 s3, s12, s11
	s_xor_b32 s3, s3, s8
	s_sub_i32 s14, s3, s8
	s_abs_i32 s11, s14
	v_cvt_f32_u32_e32 v1, s11
	s_load_dwordx2 s[8:9], s[0:1], 0x40
	s_sub_i32 s3, 0, s11
	s_abs_i32 s12, s2
	v_rcp_iflag_f32_e32 v1, v1
	s_nop 0
	v_mul_f32_e32 v1, 0x4f7ffffe, v1
	v_cvt_u32_f32_e32 v1, v1
	s_nop 0
	v_readfirstlane_b32 s13, v1
	s_mul_i32 s3, s3, s13
	s_mul_hi_u32 s3, s13, s3
	s_add_i32 s13, s13, s3
	s_waitcnt lgkmcnt(0)
	s_cmp_eq_u64 s[8:9], 0
	s_mul_hi_u32 s13, s12, s13
	s_cbranch_scc1 .LBB328_2
; %bb.1:
	s_ashr_i32 s3, s2, 31
	s_lshl_b64 s[16:17], s[2:3], 2
	s_add_u32 s8, s8, s16
	s_addc_u32 s9, s9, s17
	s_load_dword s44, s[8:9], 0x0
.LBB328_2:
	s_load_dword s33, s[6:7], 0x0
	s_load_dwordx4 s[16:19], s[0:1], 0x48
	s_ashr_i32 s8, s2, 31
	s_ashr_i32 s9, s14, 31
	v_and_b32_e32 v2, 1, v0
	s_movk_i32 s3, 0x50
	s_mul_i32 s24, s2, 0x50
	v_cmp_gt_u32_e32 vcc, 20, v0
	v_lshlrev_b32_e32 v31, 3, v0
	s_and_saveexec_b64 s[6:7], vcc
	s_cbranch_execz .LBB328_4
; %bb.3:
	s_load_dwordx2 s[14:15], s[0:1], 0x8
	s_waitcnt lgkmcnt(0)
	s_mul_i32 s20, s10, s16
	s_ashr_i32 s21, s20, 31
	s_lshl_b64 s[20:21], s[20:21], 1
	v_lshlrev_b32_e32 v1, 2, v0
	s_add_u32 s16, s14, s20
	s_addc_u32 s19, s15, s21
	s_ashr_i32 s25, s24, 31
	s_lshl_b64 s[14:15], s[24:25], 1
	s_add_u32 s14, s16, s14
	s_addc_u32 s15, s19, s15
	global_load_dwordx2 v[4:5], v31, s[14:15]
	v_and_b32_e32 v1, 0xff8, v1
	v_mad_u32_u24 v1, v2, s3, v1
	s_waitcnt vmcnt(0)
	ds_write_b64 v1, v[4:5]
.LBB328_4:
	s_or_b64 exec, exec, s[6:7]
	s_mul_i32 s7, s13, s11
	s_sub_i32 s7, s12, s7
	s_xor_b32 s6, s8, s9
	s_add_i32 s8, s13, 1
	s_sub_i32 s9, s7, s11
	s_load_dwordx4 s[20:23], s[0:1], 0x68
	s_load_dword s3, s[0:1], 0x78
	s_cmp_ge_u32 s7, s11
	s_cselect_b32 s8, s8, s13
	s_cselect_b32 s7, s9, s7
	s_add_i32 s9, s8, 1
	s_cmp_ge_u32 s7, s11
	s_cselect_b32 s7, s9, s8
	s_waitcnt lgkmcnt(0)
	s_abs_i32 s16, s23
	v_cvt_f32_u32_e32 v1, s16
	s_xor_b32 s7, s7, s6
	s_sub_i32 s43, s7, s6
	s_sub_i32 s6, 0, s16
	v_rcp_iflag_f32_e32 v1, v1
	s_add_i32 s11, s33, -1
	s_abs_i32 s8, s11
	v_mul_f32_e32 v1, 0x4f7ffffe, v1
	v_cvt_u32_f32_e32 v1, v1
	s_barrier
	v_readfirstlane_b32 s25, v1
	s_mul_i32 s6, s6, s25
	s_mul_hi_u32 s6, s25, s6
	s_add_i32 s25, s25, s6
	s_cmp_lt_i32 s3, 0
	s_mul_hi_u32 s9, s8, s25
	s_cbranch_scc0 .LBB328_6
; %bb.5:
	s_mul_i32 s6, s20, s36
	s_add_i32 s6, s43, s6
	s_mul_i32 s6, s6, s3
	s_sub_i32 s36, 1, s6
	s_mov_b64 s[6:7], 0
	s_branch .LBB328_7
.LBB328_6:
	s_mov_b64 s[6:7], -1
                                        ; implicit-def: $sgpr36
.LBB328_7:
	s_load_dwordx2 s[28:29], s[0:1], 0x28
	s_ashr_i32 s19, s11, 31
	s_andn2_b64 vcc, exec, s[6:7]
	s_ashr_i32 s23, s23, 31
	s_cbranch_vccnz .LBB328_9
; %bb.8:
	s_mul_i32 s6, s5, s20
	s_add_i32 s2, s6, s2
	s_mul_i32 s2, s2, s3
	s_add_i32 s36, s2, 1
.LBB328_9:
	s_load_dword s2, s[0:1], 0x38
	s_load_dwordx2 s[26:27], s[0:1], 0x0
	s_load_dwordx2 s[34:35], s[0:1], 0x18
	s_load_dword s11, s[0:1], 0x88
	s_load_dwordx4 s[12:15], s[0:1], 0x58
	s_mul_i32 s3, s9, s16
	s_waitcnt lgkmcnt(0)
	s_mul_i32 s30, s10, s2
	s_sub_i32 s3, s8, s3
	s_ashr_i32 s31, s30, 31
	s_xor_b32 s2, s19, s23
	s_add_i32 s6, s9, 1
	s_sub_i32 s7, s3, s16
	s_cmp_ge_u32 s3, s16
	s_cselect_b32 s6, s6, s9
	s_cselect_b32 s3, s7, s3
	s_add_i32 s7, s6, 1
	s_cmp_ge_u32 s3, s16
	s_cselect_b32 s3, s7, s6
	s_xor_b32 s3, s3, s2
	s_sub_i32 s42, s3, s2
	s_add_i32 s2, s33, 31
	s_ashr_i32 s3, s2, 31
	s_lshr_b32 s3, s3, 27
	s_add_i32 s2, s2, s3
	s_ashr_i32 s20, s2, 5
	v_lshrrev_b32_e32 v1, 6, v0
	v_cmp_gt_i32_e64 s[6:7], s20, v1
	v_mov_b32_e32 v36, 0xff7fffff
	s_mul_i32 s43, s43, s18
	v_lshrrev_b32_e32 v32, 4, v0
	v_lshlrev_b32_e32 v30, 5, v1
	v_mbcnt_lo_u32_b32 v33, -1, 0
	s_and_saveexec_b64 s[18:19], s[6:7]
	s_cbranch_execz .LBB328_179
; %bb.10:
	s_load_dwordx2 s[0:1], s[0:1], 0x10
	s_sub_i32 s45, s42, s21
	s_ashr_i32 s2, s43, 31
	v_bfe_u32 v34, v0, 1, 5
	v_mov_b32_e32 v23, 0
	s_waitcnt lgkmcnt(0)
	s_add_u32 s0, s0, s43
	s_addc_u32 s1, s1, s2
	s_abs_i32 s46, s22
	v_cvt_f32_u32_e32 v3, s46
	v_lshlrev_b32_e32 v22, 4, v34
	v_lshl_add_u64 v[24:25], s[0:1], 0, v[22:23]
	s_sub_i32 s0, 0, s46
	v_rcp_iflag_f32_e32 v3, v3
	v_cmp_eq_u32_e32 vcc, 0, v2
	v_mul_u32_u24_e32 v35, 0x50, v2
	v_lshlrev_b32_e32 v22, 2, v2
	v_mul_f32_e32 v3, 0x4f7ffffe, v3
	v_cvt_u32_f32_e32 v3, v3
	s_mov_b32 s47, s17
	v_cmp_neq_f32_e64 s[2:3], s44, 0
	v_lshlrev_b32_e32 v38, 5, v1
	v_mul_lo_u32 v2, s0, v3
	s_lshl_b64 s[0:1], s[30:31], 2
	v_mul_hi_u32 v2, v3, v2
	s_add_u32 s0, s28, s0
	v_add_u32_e32 v37, v3, v2
	v_and_b32_e32 v2, 60, v32
	v_mov_b32_e32 v3, v23
	s_addc_u32 s1, s29, s1
	v_lshl_add_u64 v[26:27], s[0:1], 0, v[2:3]
	v_lshlrev_b32_e32 v2, 2, v34
	v_lshl_or_b32 v2, v1, 7, v2
	v_add_u32_e32 v39, 0xb0, v2
	v_subrev_u32_e32 v2, s33, v34
	v_add_u32_e32 v40, 1, v2
	s_mov_b64 s[38:39], 0
	v_mov_b32_e32 v41, 0xff7fffff
	s_mov_b32 s48, 0x7f800000
	s_movk_i32 s49, 0x7fff
	v_mbcnt_hi_u32_b32 v42, -1, v33
	v_mov_b32_e32 v36, 0xff7fffff
	v_mov_b32_e32 v43, v1
	s_branch .LBB328_13
.LBB328_11:                             ;   in Loop: Header=BB328_13 Depth=1
	s_or_b64 exec, exec, s[40:41]
.LBB328_12:                             ;   in Loop: Header=BB328_13 Depth=1
	s_or_b64 exec, exec, s[8:9]
	v_add_u32_e32 v43, 2, v43
	v_cmp_le_i32_e64 s[0:1], s20, v43
	v_lshl_add_u64 v[26:27], v[26:27], 0, 8
	v_add_u32_e32 v38, 64, v38
	s_or_b64 s[38:39], s[0:1], s[38:39]
	v_add_u32_e32 v39, 0x100, v39
	s_andn2_b64 exec, exec, s[38:39]
	s_cbranch_execz .LBB328_178
.LBB328_13:                             ; =>This Inner Loop Header: Depth=1
	v_mul_hi_u32 v2, v38, s25
	s_waitcnt lgkmcnt(0)
	v_mul_lo_u32 v3, v2, s16
	v_sub_u32_e32 v3, v38, v3
	v_add_u32_e32 v4, 1, v2
	v_cmp_le_u32_e64 s[0:1], s16, v3
	s_nop 1
	v_cndmask_b32_e64 v2, v2, v4, s[0:1]
	v_subrev_u32_e32 v4, s16, v3
	v_cndmask_b32_e64 v3, v3, v4, s[0:1]
	v_add_u32_e32 v4, 1, v2
	v_cmp_le_u32_e64 s[0:1], s16, v3
	s_nop 1
	v_cndmask_b32_e64 v2, v2, v4, s[0:1]
	v_xor_b32_e32 v2, s23, v2
	v_subrev_u32_e32 v2, s23, v2
	v_add_u32_e32 v3, s36, v2
	v_sub_u32_e32 v5, 0, v3
	v_ashrrev_i32_e32 v4, 31, v3
	v_max_i32_e32 v3, v3, v5
	v_mul_hi_u32 v5, v3, v37
	v_mul_lo_u32 v5, v5, s46
	v_sub_u32_e32 v3, v3, v5
	v_subrev_u32_e32 v5, s46, v3
	v_cmp_le_u32_e64 s[0:1], s46, v3
	v_cmp_ge_i32_e64 s[8:9], s45, v2
	s_nop 0
	v_cndmask_b32_e64 v3, v3, v5, s[0:1]
	v_subrev_u32_e32 v5, s46, v3
	v_cmp_le_u32_e64 s[0:1], s46, v3
	s_nop 1
	v_cndmask_b32_e64 v3, v3, v5, s[0:1]
	v_xor_b32_e32 v3, v3, v4
	v_sub_u32_e32 v3, v3, v4
	v_cmp_ne_u32_e64 s[0:1], 0, v3
	s_and_b64 s[0:1], s[0:1], s[8:9]
	s_and_b64 s[40:41], vcc, s[0:1]
	s_and_saveexec_b64 s[8:9], s[40:41]
	s_cbranch_execz .LBB328_15
; %bb.14:                               ;   in Loop: Header=BB328_13 Depth=1
	ds_write_b32 v39, v41
.LBB328_15:                             ;   in Loop: Header=BB328_13 Depth=1
	s_or_b64 exec, exec, s[8:9]
	s_xor_b64 s[0:1], s[0:1], -1
	s_and_saveexec_b64 s[8:9], s[0:1]
	s_cbranch_execz .LBB328_12
; %bb.16:                               ;   in Loop: Header=BB328_13 Depth=1
	global_load_dword v2, v[26:27], off
	s_waitcnt vmcnt(0)
	v_mad_i64_i32 v[2:3], s[0:1], v2, s47, v[24:25]
	v_lshl_add_u64 v[28:29], v[2:3], 0, v[22:23]
	global_load_dword v47, v[28:29], off
	ds_read_b128 v[18:21], v35
	ds_read_b128 v[10:13], v35 offset:16
	s_load_dword s50, s[12:13], 0x0
	s_waitcnt vmcnt(0)
	v_and_b32_e32 v2, 0xff, v47
	v_cvt_f32_fp8_sdwa v44, v2 src0_sel:BYTE_0
	ds_read_b128 v[14:17], v35 offset:32
	ds_read_b128 v[6:9], v35 offset:48
	;; [unrolled: 1-line block ×3, first 2 shown]
	s_waitcnt lgkmcnt(0)
	v_mul_f32_e32 v45, s50, v44
	v_and_b32_e32 v44, 0x7f800000, v45
	v_cmp_ne_u32_e64 s[0:1], s48, v44
                                        ; implicit-def: $vgpr44
	s_and_saveexec_b64 s[40:41], s[0:1]
	s_xor_b64 s[0:1], exec, s[40:41]
; %bb.17:                               ;   in Loop: Header=BB328_13 Depth=1
	v_bfe_u32 v44, v45, 16, 1
	v_add3_u32 v44, v45, v44, s49
                                        ; implicit-def: $vgpr45
; %bb.18:                               ;   in Loop: Header=BB328_13 Depth=1
	s_andn2_saveexec_b64 s[40:41], s[0:1]
; %bb.19:                               ;   in Loop: Header=BB328_13 Depth=1
	v_or_b32_e32 v44, 0x10000, v45
	v_cmp_eq_u32_sdwa s[0:1], v45, v23 src0_sel:WORD_0 src1_sel:DWORD
	s_nop 1
	v_cndmask_b32_e64 v44, v44, v45, s[0:1]
; %bb.20:                               ;   in Loop: Header=BB328_13 Depth=1
	s_or_b64 exec, exec, s[40:41]
	v_bfe_u32 v45, v47, 8, 8
	v_cvt_f32_fp8_sdwa v45, v45 src0_sel:BYTE_0
	s_nop 0
	v_mul_f32_e32 v46, s50, v45
	v_and_b32_e32 v45, 0x7f800000, v46
	v_cmp_ne_u32_e64 s[0:1], s48, v45
                                        ; implicit-def: $vgpr45
	s_and_saveexec_b64 s[40:41], s[0:1]
	s_xor_b64 s[0:1], exec, s[40:41]
; %bb.21:                               ;   in Loop: Header=BB328_13 Depth=1
	v_bfe_u32 v45, v46, 16, 1
	v_add3_u32 v45, v46, v45, s49
                                        ; implicit-def: $vgpr46
; %bb.22:                               ;   in Loop: Header=BB328_13 Depth=1
	s_andn2_saveexec_b64 s[40:41], s[0:1]
; %bb.23:                               ;   in Loop: Header=BB328_13 Depth=1
	v_or_b32_e32 v45, 0x10000, v46
	v_cmp_eq_u32_sdwa s[0:1], v46, v23 src0_sel:WORD_0 src1_sel:DWORD
	s_nop 1
	v_cndmask_b32_e64 v45, v45, v46, s[0:1]
; %bb.24:                               ;   in Loop: Header=BB328_13 Depth=1
	s_or_b64 exec, exec, s[40:41]
	v_bfe_u32 v46, v47, 16, 8
	v_cvt_f32_fp8_sdwa v46, v46 src0_sel:BYTE_0
	s_nop 0
	v_mul_f32_e32 v48, s50, v46
	v_and_b32_e32 v46, 0x7f800000, v48
	v_cmp_ne_u32_e64 s[0:1], s48, v46
                                        ; implicit-def: $vgpr46
	s_and_saveexec_b64 s[40:41], s[0:1]
	s_xor_b64 s[0:1], exec, s[40:41]
; %bb.25:                               ;   in Loop: Header=BB328_13 Depth=1
	v_bfe_u32 v46, v48, 16, 1
	v_add3_u32 v46, v48, v46, s49
                                        ; implicit-def: $vgpr48
; %bb.26:                               ;   in Loop: Header=BB328_13 Depth=1
	s_andn2_saveexec_b64 s[40:41], s[0:1]
; %bb.27:                               ;   in Loop: Header=BB328_13 Depth=1
	v_or_b32_e32 v46, 0x10000, v48
	v_cmp_eq_u32_sdwa s[0:1], v48, v23 src0_sel:WORD_0 src1_sel:DWORD
	s_nop 1
	v_cndmask_b32_e64 v46, v46, v48, s[0:1]
; %bb.28:                               ;   in Loop: Header=BB328_13 Depth=1
	s_or_b64 exec, exec, s[40:41]
	v_lshrrev_b32_e32 v47, 24, v47
	v_cvt_f32_fp8_sdwa v47, v47 src0_sel:BYTE_0
	s_nop 0
	v_mul_f32_e32 v48, s50, v47
	v_and_b32_e32 v47, 0x7f800000, v48
	v_cmp_ne_u32_e64 s[0:1], s48, v47
                                        ; implicit-def: $vgpr47
	s_and_saveexec_b64 s[40:41], s[0:1]
	s_xor_b64 s[0:1], exec, s[40:41]
; %bb.29:                               ;   in Loop: Header=BB328_13 Depth=1
	v_bfe_u32 v47, v48, 16, 1
	v_add3_u32 v47, v48, v47, s49
                                        ; implicit-def: $vgpr48
; %bb.30:                               ;   in Loop: Header=BB328_13 Depth=1
	s_andn2_saveexec_b64 s[40:41], s[0:1]
; %bb.31:                               ;   in Loop: Header=BB328_13 Depth=1
	v_or_b32_e32 v47, 0x10000, v48
	v_cmp_eq_u32_sdwa s[0:1], v48, v23 src0_sel:WORD_0 src1_sel:DWORD
	s_nop 1
	v_cndmask_b32_e64 v47, v47, v48, s[0:1]
; %bb.32:                               ;   in Loop: Header=BB328_13 Depth=1
	s_or_b64 exec, exec, s[40:41]
	global_load_dword v51, v[28:29], off offset:8
	s_waitcnt vmcnt(0)
	v_and_b32_e32 v48, 0xff, v51
	v_cvt_f32_fp8_sdwa v48, v48 src0_sel:BYTE_0
	s_nop 0
	v_mul_f32_e32 v49, s50, v48
	v_and_b32_e32 v48, 0x7f800000, v49
	v_cmp_ne_u32_e64 s[0:1], s48, v48
                                        ; implicit-def: $vgpr48
	s_and_saveexec_b64 s[40:41], s[0:1]
	s_xor_b64 s[0:1], exec, s[40:41]
; %bb.33:                               ;   in Loop: Header=BB328_13 Depth=1
	v_bfe_u32 v48, v49, 16, 1
	v_add3_u32 v48, v49, v48, s49
                                        ; implicit-def: $vgpr49
; %bb.34:                               ;   in Loop: Header=BB328_13 Depth=1
	s_andn2_saveexec_b64 s[40:41], s[0:1]
; %bb.35:                               ;   in Loop: Header=BB328_13 Depth=1
	v_or_b32_e32 v48, 0x10000, v49
	v_cmp_eq_u32_sdwa s[0:1], v49, v23 src0_sel:WORD_0 src1_sel:DWORD
	s_nop 1
	v_cndmask_b32_e64 v48, v48, v49, s[0:1]
; %bb.36:                               ;   in Loop: Header=BB328_13 Depth=1
	s_or_b64 exec, exec, s[40:41]
	v_bfe_u32 v49, v51, 8, 8
	v_cvt_f32_fp8_sdwa v49, v49 src0_sel:BYTE_0
	s_nop 0
	v_mul_f32_e32 v50, s50, v49
	v_and_b32_e32 v49, 0x7f800000, v50
	v_cmp_ne_u32_e64 s[0:1], s48, v49
                                        ; implicit-def: $vgpr49
	s_and_saveexec_b64 s[40:41], s[0:1]
	s_xor_b64 s[0:1], exec, s[40:41]
; %bb.37:                               ;   in Loop: Header=BB328_13 Depth=1
	v_bfe_u32 v49, v50, 16, 1
	v_add3_u32 v49, v50, v49, s49
                                        ; implicit-def: $vgpr50
; %bb.38:                               ;   in Loop: Header=BB328_13 Depth=1
	s_andn2_saveexec_b64 s[40:41], s[0:1]
; %bb.39:                               ;   in Loop: Header=BB328_13 Depth=1
	v_or_b32_e32 v49, 0x10000, v50
	v_cmp_eq_u32_sdwa s[0:1], v50, v23 src0_sel:WORD_0 src1_sel:DWORD
	s_nop 1
	v_cndmask_b32_e64 v49, v49, v50, s[0:1]
; %bb.40:                               ;   in Loop: Header=BB328_13 Depth=1
	s_or_b64 exec, exec, s[40:41]
	v_bfe_u32 v50, v51, 16, 8
	v_cvt_f32_fp8_sdwa v50, v50 src0_sel:BYTE_0
	s_nop 0
	v_mul_f32_e32 v52, s50, v50
	v_and_b32_e32 v50, 0x7f800000, v52
	v_cmp_ne_u32_e64 s[0:1], s48, v50
                                        ; implicit-def: $vgpr50
	s_and_saveexec_b64 s[40:41], s[0:1]
	s_xor_b64 s[0:1], exec, s[40:41]
; %bb.41:                               ;   in Loop: Header=BB328_13 Depth=1
	v_bfe_u32 v50, v52, 16, 1
	v_add3_u32 v50, v52, v50, s49
                                        ; implicit-def: $vgpr52
; %bb.42:                               ;   in Loop: Header=BB328_13 Depth=1
	s_andn2_saveexec_b64 s[40:41], s[0:1]
; %bb.43:                               ;   in Loop: Header=BB328_13 Depth=1
	v_or_b32_e32 v50, 0x10000, v52
	v_cmp_eq_u32_sdwa s[0:1], v52, v23 src0_sel:WORD_0 src1_sel:DWORD
	s_nop 1
	v_cndmask_b32_e64 v50, v50, v52, s[0:1]
; %bb.44:                               ;   in Loop: Header=BB328_13 Depth=1
	s_or_b64 exec, exec, s[40:41]
	v_lshrrev_b32_e32 v51, 24, v51
	v_cvt_f32_fp8_sdwa v51, v51 src0_sel:BYTE_0
	s_nop 0
	v_mul_f32_e32 v52, s50, v51
	v_and_b32_e32 v51, 0x7f800000, v52
	v_cmp_ne_u32_e64 s[0:1], s48, v51
                                        ; implicit-def: $vgpr51
	s_and_saveexec_b64 s[40:41], s[0:1]
	s_xor_b64 s[0:1], exec, s[40:41]
; %bb.45:                               ;   in Loop: Header=BB328_13 Depth=1
	v_bfe_u32 v51, v52, 16, 1
	v_add3_u32 v51, v52, v51, s49
                                        ; implicit-def: $vgpr52
; %bb.46:                               ;   in Loop: Header=BB328_13 Depth=1
	s_andn2_saveexec_b64 s[40:41], s[0:1]
; %bb.47:                               ;   in Loop: Header=BB328_13 Depth=1
	v_or_b32_e32 v51, 0x10000, v52
	v_cmp_eq_u32_sdwa s[0:1], v52, v23 src0_sel:WORD_0 src1_sel:DWORD
	s_nop 1
	v_cndmask_b32_e64 v51, v51, v52, s[0:1]
; %bb.48:                               ;   in Loop: Header=BB328_13 Depth=1
	s_or_b64 exec, exec, s[40:41]
	global_load_dword v55, v[28:29], off offset:512
	s_waitcnt vmcnt(0)
	v_and_b32_e32 v52, 0xff, v55
	v_cvt_f32_fp8_sdwa v52, v52 src0_sel:BYTE_0
	s_nop 0
	v_mul_f32_e32 v53, s50, v52
	v_and_b32_e32 v52, 0x7f800000, v53
	v_cmp_ne_u32_e64 s[0:1], s48, v52
                                        ; implicit-def: $vgpr52
	s_and_saveexec_b64 s[40:41], s[0:1]
	s_xor_b64 s[0:1], exec, s[40:41]
; %bb.49:                               ;   in Loop: Header=BB328_13 Depth=1
	v_bfe_u32 v52, v53, 16, 1
	v_add3_u32 v52, v53, v52, s49
                                        ; implicit-def: $vgpr53
; %bb.50:                               ;   in Loop: Header=BB328_13 Depth=1
	s_andn2_saveexec_b64 s[40:41], s[0:1]
; %bb.51:                               ;   in Loop: Header=BB328_13 Depth=1
	v_or_b32_e32 v52, 0x10000, v53
	v_cmp_eq_u32_sdwa s[0:1], v53, v23 src0_sel:WORD_0 src1_sel:DWORD
	s_nop 1
	v_cndmask_b32_e64 v52, v52, v53, s[0:1]
; %bb.52:                               ;   in Loop: Header=BB328_13 Depth=1
	s_or_b64 exec, exec, s[40:41]
	v_bfe_u32 v53, v55, 8, 8
	v_cvt_f32_fp8_sdwa v53, v53 src0_sel:BYTE_0
	s_nop 0
	v_mul_f32_e32 v54, s50, v53
	v_and_b32_e32 v53, 0x7f800000, v54
	v_cmp_ne_u32_e64 s[0:1], s48, v53
                                        ; implicit-def: $vgpr53
	s_and_saveexec_b64 s[40:41], s[0:1]
	s_xor_b64 s[0:1], exec, s[40:41]
; %bb.53:                               ;   in Loop: Header=BB328_13 Depth=1
	v_bfe_u32 v53, v54, 16, 1
	v_add3_u32 v53, v54, v53, s49
                                        ; implicit-def: $vgpr54
; %bb.54:                               ;   in Loop: Header=BB328_13 Depth=1
	s_andn2_saveexec_b64 s[40:41], s[0:1]
; %bb.55:                               ;   in Loop: Header=BB328_13 Depth=1
	v_or_b32_e32 v53, 0x10000, v54
	v_cmp_eq_u32_sdwa s[0:1], v54, v23 src0_sel:WORD_0 src1_sel:DWORD
	s_nop 1
	v_cndmask_b32_e64 v53, v53, v54, s[0:1]
; %bb.56:                               ;   in Loop: Header=BB328_13 Depth=1
	s_or_b64 exec, exec, s[40:41]
	v_bfe_u32 v54, v55, 16, 8
	v_cvt_f32_fp8_sdwa v54, v54 src0_sel:BYTE_0
	s_nop 0
	v_mul_f32_e32 v56, s50, v54
	v_and_b32_e32 v54, 0x7f800000, v56
	v_cmp_ne_u32_e64 s[0:1], s48, v54
                                        ; implicit-def: $vgpr54
	s_and_saveexec_b64 s[40:41], s[0:1]
	s_xor_b64 s[0:1], exec, s[40:41]
; %bb.57:                               ;   in Loop: Header=BB328_13 Depth=1
	v_bfe_u32 v54, v56, 16, 1
	v_add3_u32 v54, v56, v54, s49
                                        ; implicit-def: $vgpr56
; %bb.58:                               ;   in Loop: Header=BB328_13 Depth=1
	s_andn2_saveexec_b64 s[40:41], s[0:1]
; %bb.59:                               ;   in Loop: Header=BB328_13 Depth=1
	v_or_b32_e32 v54, 0x10000, v56
	v_cmp_eq_u32_sdwa s[0:1], v56, v23 src0_sel:WORD_0 src1_sel:DWORD
	s_nop 1
	v_cndmask_b32_e64 v54, v54, v56, s[0:1]
; %bb.60:                               ;   in Loop: Header=BB328_13 Depth=1
	s_or_b64 exec, exec, s[40:41]
	v_lshrrev_b32_e32 v55, 24, v55
	v_cvt_f32_fp8_sdwa v55, v55 src0_sel:BYTE_0
	s_nop 0
	v_mul_f32_e32 v56, s50, v55
	v_and_b32_e32 v55, 0x7f800000, v56
	v_cmp_ne_u32_e64 s[0:1], s48, v55
                                        ; implicit-def: $vgpr55
	s_and_saveexec_b64 s[40:41], s[0:1]
	s_xor_b64 s[0:1], exec, s[40:41]
; %bb.61:                               ;   in Loop: Header=BB328_13 Depth=1
	v_bfe_u32 v55, v56, 16, 1
	v_add3_u32 v55, v56, v55, s49
                                        ; implicit-def: $vgpr56
; %bb.62:                               ;   in Loop: Header=BB328_13 Depth=1
	s_andn2_saveexec_b64 s[40:41], s[0:1]
; %bb.63:                               ;   in Loop: Header=BB328_13 Depth=1
	v_or_b32_e32 v55, 0x10000, v56
	v_cmp_eq_u32_sdwa s[0:1], v56, v23 src0_sel:WORD_0 src1_sel:DWORD
	s_nop 1
	v_cndmask_b32_e64 v55, v55, v56, s[0:1]
; %bb.64:                               ;   in Loop: Header=BB328_13 Depth=1
	s_or_b64 exec, exec, s[40:41]
	global_load_dword v59, v[28:29], off offset:520
	s_waitcnt vmcnt(0)
	v_and_b32_e32 v56, 0xff, v59
	v_cvt_f32_fp8_sdwa v56, v56 src0_sel:BYTE_0
	s_nop 0
	v_mul_f32_e32 v57, s50, v56
	v_and_b32_e32 v56, 0x7f800000, v57
	v_cmp_ne_u32_e64 s[0:1], s48, v56
                                        ; implicit-def: $vgpr56
	s_and_saveexec_b64 s[40:41], s[0:1]
	s_xor_b64 s[0:1], exec, s[40:41]
; %bb.65:                               ;   in Loop: Header=BB328_13 Depth=1
	v_bfe_u32 v56, v57, 16, 1
	v_add3_u32 v56, v57, v56, s49
                                        ; implicit-def: $vgpr57
; %bb.66:                               ;   in Loop: Header=BB328_13 Depth=1
	s_andn2_saveexec_b64 s[40:41], s[0:1]
; %bb.67:                               ;   in Loop: Header=BB328_13 Depth=1
	v_or_b32_e32 v56, 0x10000, v57
	v_cmp_eq_u32_sdwa s[0:1], v57, v23 src0_sel:WORD_0 src1_sel:DWORD
	s_nop 1
	v_cndmask_b32_e64 v56, v56, v57, s[0:1]
; %bb.68:                               ;   in Loop: Header=BB328_13 Depth=1
	s_or_b64 exec, exec, s[40:41]
	v_bfe_u32 v57, v59, 8, 8
	v_cvt_f32_fp8_sdwa v57, v57 src0_sel:BYTE_0
	s_nop 0
	v_mul_f32_e32 v58, s50, v57
	v_and_b32_e32 v57, 0x7f800000, v58
	v_cmp_ne_u32_e64 s[0:1], s48, v57
                                        ; implicit-def: $vgpr57
	s_and_saveexec_b64 s[40:41], s[0:1]
	s_xor_b64 s[0:1], exec, s[40:41]
; %bb.69:                               ;   in Loop: Header=BB328_13 Depth=1
	v_bfe_u32 v57, v58, 16, 1
	v_add3_u32 v57, v58, v57, s49
                                        ; implicit-def: $vgpr58
; %bb.70:                               ;   in Loop: Header=BB328_13 Depth=1
	s_andn2_saveexec_b64 s[40:41], s[0:1]
; %bb.71:                               ;   in Loop: Header=BB328_13 Depth=1
	v_or_b32_e32 v57, 0x10000, v58
	v_cmp_eq_u32_sdwa s[0:1], v58, v23 src0_sel:WORD_0 src1_sel:DWORD
	s_nop 1
	v_cndmask_b32_e64 v57, v57, v58, s[0:1]
; %bb.72:                               ;   in Loop: Header=BB328_13 Depth=1
	s_or_b64 exec, exec, s[40:41]
	v_bfe_u32 v58, v59, 16, 8
	v_cvt_f32_fp8_sdwa v58, v58 src0_sel:BYTE_0
	s_nop 0
	v_mul_f32_e32 v60, s50, v58
	v_and_b32_e32 v58, 0x7f800000, v60
	v_cmp_ne_u32_e64 s[0:1], s48, v58
                                        ; implicit-def: $vgpr58
	s_and_saveexec_b64 s[40:41], s[0:1]
	s_xor_b64 s[0:1], exec, s[40:41]
; %bb.73:                               ;   in Loop: Header=BB328_13 Depth=1
	v_bfe_u32 v58, v60, 16, 1
	v_add3_u32 v58, v60, v58, s49
                                        ; implicit-def: $vgpr60
; %bb.74:                               ;   in Loop: Header=BB328_13 Depth=1
	s_andn2_saveexec_b64 s[40:41], s[0:1]
; %bb.75:                               ;   in Loop: Header=BB328_13 Depth=1
	v_or_b32_e32 v58, 0x10000, v60
	v_cmp_eq_u32_sdwa s[0:1], v60, v23 src0_sel:WORD_0 src1_sel:DWORD
	s_nop 1
	v_cndmask_b32_e64 v58, v58, v60, s[0:1]
; %bb.76:                               ;   in Loop: Header=BB328_13 Depth=1
	s_or_b64 exec, exec, s[40:41]
	v_lshrrev_b32_e32 v59, 24, v59
	v_cvt_f32_fp8_sdwa v59, v59 src0_sel:BYTE_0
	s_nop 0
	v_mul_f32_e32 v60, s50, v59
	v_and_b32_e32 v59, 0x7f800000, v60
	v_cmp_ne_u32_e64 s[0:1], s48, v59
                                        ; implicit-def: $vgpr59
	s_and_saveexec_b64 s[40:41], s[0:1]
	s_xor_b64 s[0:1], exec, s[40:41]
; %bb.77:                               ;   in Loop: Header=BB328_13 Depth=1
	v_bfe_u32 v59, v60, 16, 1
	v_add3_u32 v59, v60, v59, s49
                                        ; implicit-def: $vgpr60
; %bb.78:                               ;   in Loop: Header=BB328_13 Depth=1
	s_andn2_saveexec_b64 s[40:41], s[0:1]
; %bb.79:                               ;   in Loop: Header=BB328_13 Depth=1
	v_or_b32_e32 v59, 0x10000, v60
	v_cmp_eq_u32_sdwa s[0:1], v60, v23 src0_sel:WORD_0 src1_sel:DWORD
	s_nop 1
	v_cndmask_b32_e64 v59, v59, v60, s[0:1]
; %bb.80:                               ;   in Loop: Header=BB328_13 Depth=1
	s_or_b64 exec, exec, s[40:41]
	global_load_dword v63, v[28:29], off offset:1024
	s_waitcnt vmcnt(0)
	v_and_b32_e32 v60, 0xff, v63
	v_cvt_f32_fp8_sdwa v60, v60 src0_sel:BYTE_0
	s_nop 0
	v_mul_f32_e32 v61, s50, v60
	v_and_b32_e32 v60, 0x7f800000, v61
	v_cmp_ne_u32_e64 s[0:1], s48, v60
                                        ; implicit-def: $vgpr60
	s_and_saveexec_b64 s[40:41], s[0:1]
	s_xor_b64 s[0:1], exec, s[40:41]
; %bb.81:                               ;   in Loop: Header=BB328_13 Depth=1
	v_bfe_u32 v60, v61, 16, 1
	v_add3_u32 v60, v61, v60, s49
                                        ; implicit-def: $vgpr61
; %bb.82:                               ;   in Loop: Header=BB328_13 Depth=1
	s_andn2_saveexec_b64 s[40:41], s[0:1]
; %bb.83:                               ;   in Loop: Header=BB328_13 Depth=1
	v_or_b32_e32 v60, 0x10000, v61
	v_cmp_eq_u32_sdwa s[0:1], v61, v23 src0_sel:WORD_0 src1_sel:DWORD
	s_nop 1
	v_cndmask_b32_e64 v60, v60, v61, s[0:1]
; %bb.84:                               ;   in Loop: Header=BB328_13 Depth=1
	s_or_b64 exec, exec, s[40:41]
	v_bfe_u32 v61, v63, 8, 8
	v_cvt_f32_fp8_sdwa v61, v61 src0_sel:BYTE_0
	s_nop 0
	v_mul_f32_e32 v62, s50, v61
	v_and_b32_e32 v61, 0x7f800000, v62
	v_cmp_ne_u32_e64 s[0:1], s48, v61
                                        ; implicit-def: $vgpr61
	s_and_saveexec_b64 s[40:41], s[0:1]
	s_xor_b64 s[0:1], exec, s[40:41]
; %bb.85:                               ;   in Loop: Header=BB328_13 Depth=1
	v_bfe_u32 v61, v62, 16, 1
	v_add3_u32 v61, v62, v61, s49
                                        ; implicit-def: $vgpr62
; %bb.86:                               ;   in Loop: Header=BB328_13 Depth=1
	s_andn2_saveexec_b64 s[40:41], s[0:1]
; %bb.87:                               ;   in Loop: Header=BB328_13 Depth=1
	v_or_b32_e32 v61, 0x10000, v62
	v_cmp_eq_u32_sdwa s[0:1], v62, v23 src0_sel:WORD_0 src1_sel:DWORD
	s_nop 1
	v_cndmask_b32_e64 v61, v61, v62, s[0:1]
; %bb.88:                               ;   in Loop: Header=BB328_13 Depth=1
	s_or_b64 exec, exec, s[40:41]
	v_bfe_u32 v62, v63, 16, 8
	v_cvt_f32_fp8_sdwa v62, v62 src0_sel:BYTE_0
	s_nop 0
	v_mul_f32_e32 v64, s50, v62
	v_and_b32_e32 v62, 0x7f800000, v64
	v_cmp_ne_u32_e64 s[0:1], s48, v62
                                        ; implicit-def: $vgpr62
	s_and_saveexec_b64 s[40:41], s[0:1]
	s_xor_b64 s[0:1], exec, s[40:41]
; %bb.89:                               ;   in Loop: Header=BB328_13 Depth=1
	v_bfe_u32 v62, v64, 16, 1
	v_add3_u32 v62, v64, v62, s49
                                        ; implicit-def: $vgpr64
; %bb.90:                               ;   in Loop: Header=BB328_13 Depth=1
	s_andn2_saveexec_b64 s[40:41], s[0:1]
; %bb.91:                               ;   in Loop: Header=BB328_13 Depth=1
	v_or_b32_e32 v62, 0x10000, v64
	v_cmp_eq_u32_sdwa s[0:1], v64, v23 src0_sel:WORD_0 src1_sel:DWORD
	s_nop 1
	v_cndmask_b32_e64 v62, v62, v64, s[0:1]
; %bb.92:                               ;   in Loop: Header=BB328_13 Depth=1
	s_or_b64 exec, exec, s[40:41]
	v_lshrrev_b32_e32 v63, 24, v63
	v_cvt_f32_fp8_sdwa v63, v63 src0_sel:BYTE_0
	s_nop 0
	v_mul_f32_e32 v64, s50, v63
	v_and_b32_e32 v63, 0x7f800000, v64
	v_cmp_ne_u32_e64 s[0:1], s48, v63
                                        ; implicit-def: $vgpr63
	s_and_saveexec_b64 s[40:41], s[0:1]
	s_xor_b64 s[0:1], exec, s[40:41]
; %bb.93:                               ;   in Loop: Header=BB328_13 Depth=1
	v_bfe_u32 v63, v64, 16, 1
	v_add3_u32 v63, v64, v63, s49
                                        ; implicit-def: $vgpr64
; %bb.94:                               ;   in Loop: Header=BB328_13 Depth=1
	s_andn2_saveexec_b64 s[40:41], s[0:1]
; %bb.95:                               ;   in Loop: Header=BB328_13 Depth=1
	v_or_b32_e32 v63, 0x10000, v64
	v_cmp_eq_u32_sdwa s[0:1], v64, v23 src0_sel:WORD_0 src1_sel:DWORD
	s_nop 1
	v_cndmask_b32_e64 v63, v63, v64, s[0:1]
; %bb.96:                               ;   in Loop: Header=BB328_13 Depth=1
	s_or_b64 exec, exec, s[40:41]
	global_load_dword v67, v[28:29], off offset:1032
	s_waitcnt vmcnt(0)
	v_and_b32_e32 v64, 0xff, v67
	v_cvt_f32_fp8_sdwa v64, v64 src0_sel:BYTE_0
	s_nop 0
	v_mul_f32_e32 v65, s50, v64
	v_and_b32_e32 v64, 0x7f800000, v65
	v_cmp_ne_u32_e64 s[0:1], s48, v64
                                        ; implicit-def: $vgpr64
	s_and_saveexec_b64 s[40:41], s[0:1]
	s_xor_b64 s[0:1], exec, s[40:41]
; %bb.97:                               ;   in Loop: Header=BB328_13 Depth=1
	v_bfe_u32 v64, v65, 16, 1
	v_add3_u32 v64, v65, v64, s49
                                        ; implicit-def: $vgpr65
; %bb.98:                               ;   in Loop: Header=BB328_13 Depth=1
	s_andn2_saveexec_b64 s[40:41], s[0:1]
; %bb.99:                               ;   in Loop: Header=BB328_13 Depth=1
	v_or_b32_e32 v64, 0x10000, v65
	v_cmp_eq_u32_sdwa s[0:1], v65, v23 src0_sel:WORD_0 src1_sel:DWORD
	s_nop 1
	v_cndmask_b32_e64 v64, v64, v65, s[0:1]
; %bb.100:                              ;   in Loop: Header=BB328_13 Depth=1
	s_or_b64 exec, exec, s[40:41]
	v_bfe_u32 v65, v67, 8, 8
	v_cvt_f32_fp8_sdwa v65, v65 src0_sel:BYTE_0
	s_nop 0
	v_mul_f32_e32 v66, s50, v65
	v_and_b32_e32 v65, 0x7f800000, v66
	v_cmp_ne_u32_e64 s[0:1], s48, v65
                                        ; implicit-def: $vgpr65
	s_and_saveexec_b64 s[40:41], s[0:1]
	s_xor_b64 s[0:1], exec, s[40:41]
; %bb.101:                              ;   in Loop: Header=BB328_13 Depth=1
	v_bfe_u32 v65, v66, 16, 1
	v_add3_u32 v65, v66, v65, s49
                                        ; implicit-def: $vgpr66
; %bb.102:                              ;   in Loop: Header=BB328_13 Depth=1
	s_andn2_saveexec_b64 s[40:41], s[0:1]
; %bb.103:                              ;   in Loop: Header=BB328_13 Depth=1
	v_or_b32_e32 v65, 0x10000, v66
	v_cmp_eq_u32_sdwa s[0:1], v66, v23 src0_sel:WORD_0 src1_sel:DWORD
	s_nop 1
	v_cndmask_b32_e64 v65, v65, v66, s[0:1]
; %bb.104:                              ;   in Loop: Header=BB328_13 Depth=1
	s_or_b64 exec, exec, s[40:41]
	v_bfe_u32 v66, v67, 16, 8
	v_cvt_f32_fp8_sdwa v66, v66 src0_sel:BYTE_0
	s_nop 0
	v_mul_f32_e32 v68, s50, v66
	v_and_b32_e32 v66, 0x7f800000, v68
	v_cmp_ne_u32_e64 s[0:1], s48, v66
                                        ; implicit-def: $vgpr66
	s_and_saveexec_b64 s[40:41], s[0:1]
	s_xor_b64 s[0:1], exec, s[40:41]
; %bb.105:                              ;   in Loop: Header=BB328_13 Depth=1
	v_bfe_u32 v66, v68, 16, 1
	v_add3_u32 v66, v68, v66, s49
                                        ; implicit-def: $vgpr68
; %bb.106:                              ;   in Loop: Header=BB328_13 Depth=1
	s_andn2_saveexec_b64 s[40:41], s[0:1]
; %bb.107:                              ;   in Loop: Header=BB328_13 Depth=1
	v_or_b32_e32 v66, 0x10000, v68
	v_cmp_eq_u32_sdwa s[0:1], v68, v23 src0_sel:WORD_0 src1_sel:DWORD
	s_nop 1
	v_cndmask_b32_e64 v66, v66, v68, s[0:1]
; %bb.108:                              ;   in Loop: Header=BB328_13 Depth=1
	s_or_b64 exec, exec, s[40:41]
	v_lshrrev_b32_e32 v67, 24, v67
	v_cvt_f32_fp8_sdwa v67, v67 src0_sel:BYTE_0
	s_nop 0
	v_mul_f32_e32 v68, s50, v67
	v_and_b32_e32 v67, 0x7f800000, v68
	v_cmp_ne_u32_e64 s[0:1], s48, v67
                                        ; implicit-def: $vgpr67
	s_and_saveexec_b64 s[40:41], s[0:1]
	s_xor_b64 s[0:1], exec, s[40:41]
; %bb.109:                              ;   in Loop: Header=BB328_13 Depth=1
	v_bfe_u32 v67, v68, 16, 1
	v_add3_u32 v67, v68, v67, s49
                                        ; implicit-def: $vgpr68
; %bb.110:                              ;   in Loop: Header=BB328_13 Depth=1
	s_andn2_saveexec_b64 s[40:41], s[0:1]
; %bb.111:                              ;   in Loop: Header=BB328_13 Depth=1
	v_or_b32_e32 v67, 0x10000, v68
	v_cmp_eq_u32_sdwa s[0:1], v68, v23 src0_sel:WORD_0 src1_sel:DWORD
	s_nop 1
	v_cndmask_b32_e64 v67, v67, v68, s[0:1]
; %bb.112:                              ;   in Loop: Header=BB328_13 Depth=1
	s_or_b64 exec, exec, s[40:41]
	global_load_dword v71, v[28:29], off offset:1536
	s_waitcnt vmcnt(0)
	v_and_b32_e32 v68, 0xff, v71
	v_cvt_f32_fp8_sdwa v68, v68 src0_sel:BYTE_0
	s_nop 0
	v_mul_f32_e32 v69, s50, v68
	v_and_b32_e32 v68, 0x7f800000, v69
	v_cmp_ne_u32_e64 s[0:1], s48, v68
                                        ; implicit-def: $vgpr68
	s_and_saveexec_b64 s[40:41], s[0:1]
	s_xor_b64 s[0:1], exec, s[40:41]
; %bb.113:                              ;   in Loop: Header=BB328_13 Depth=1
	v_bfe_u32 v68, v69, 16, 1
	v_add3_u32 v68, v69, v68, s49
                                        ; implicit-def: $vgpr69
; %bb.114:                              ;   in Loop: Header=BB328_13 Depth=1
	s_andn2_saveexec_b64 s[40:41], s[0:1]
; %bb.115:                              ;   in Loop: Header=BB328_13 Depth=1
	v_or_b32_e32 v68, 0x10000, v69
	v_cmp_eq_u32_sdwa s[0:1], v69, v23 src0_sel:WORD_0 src1_sel:DWORD
	s_nop 1
	v_cndmask_b32_e64 v68, v68, v69, s[0:1]
; %bb.116:                              ;   in Loop: Header=BB328_13 Depth=1
	s_or_b64 exec, exec, s[40:41]
	v_bfe_u32 v69, v71, 8, 8
	v_cvt_f32_fp8_sdwa v69, v69 src0_sel:BYTE_0
	s_nop 0
	v_mul_f32_e32 v70, s50, v69
	v_and_b32_e32 v69, 0x7f800000, v70
	v_cmp_ne_u32_e64 s[0:1], s48, v69
                                        ; implicit-def: $vgpr69
	s_and_saveexec_b64 s[40:41], s[0:1]
	s_xor_b64 s[0:1], exec, s[40:41]
; %bb.117:                              ;   in Loop: Header=BB328_13 Depth=1
	v_bfe_u32 v69, v70, 16, 1
	v_add3_u32 v69, v70, v69, s49
                                        ; implicit-def: $vgpr70
; %bb.118:                              ;   in Loop: Header=BB328_13 Depth=1
	s_andn2_saveexec_b64 s[40:41], s[0:1]
; %bb.119:                              ;   in Loop: Header=BB328_13 Depth=1
	v_or_b32_e32 v69, 0x10000, v70
	v_cmp_eq_u32_sdwa s[0:1], v70, v23 src0_sel:WORD_0 src1_sel:DWORD
	s_nop 1
	v_cndmask_b32_e64 v69, v69, v70, s[0:1]
; %bb.120:                              ;   in Loop: Header=BB328_13 Depth=1
	s_or_b64 exec, exec, s[40:41]
	v_bfe_u32 v70, v71, 16, 8
	v_cvt_f32_fp8_sdwa v70, v70 src0_sel:BYTE_0
	s_nop 0
	v_mul_f32_e32 v72, s50, v70
	v_and_b32_e32 v70, 0x7f800000, v72
	v_cmp_ne_u32_e64 s[0:1], s48, v70
                                        ; implicit-def: $vgpr70
	s_and_saveexec_b64 s[40:41], s[0:1]
	s_xor_b64 s[0:1], exec, s[40:41]
; %bb.121:                              ;   in Loop: Header=BB328_13 Depth=1
	v_bfe_u32 v70, v72, 16, 1
	v_add3_u32 v70, v72, v70, s49
                                        ; implicit-def: $vgpr72
; %bb.122:                              ;   in Loop: Header=BB328_13 Depth=1
	s_andn2_saveexec_b64 s[40:41], s[0:1]
; %bb.123:                              ;   in Loop: Header=BB328_13 Depth=1
	v_or_b32_e32 v70, 0x10000, v72
	v_cmp_eq_u32_sdwa s[0:1], v72, v23 src0_sel:WORD_0 src1_sel:DWORD
	s_nop 1
	v_cndmask_b32_e64 v70, v70, v72, s[0:1]
; %bb.124:                              ;   in Loop: Header=BB328_13 Depth=1
	s_or_b64 exec, exec, s[40:41]
	v_lshrrev_b32_e32 v71, 24, v71
	v_cvt_f32_fp8_sdwa v71, v71 src0_sel:BYTE_0
	s_nop 0
	v_mul_f32_e32 v72, s50, v71
	v_and_b32_e32 v71, 0x7f800000, v72
	v_cmp_ne_u32_e64 s[0:1], s48, v71
                                        ; implicit-def: $vgpr71
	s_and_saveexec_b64 s[40:41], s[0:1]
	s_xor_b64 s[0:1], exec, s[40:41]
; %bb.125:                              ;   in Loop: Header=BB328_13 Depth=1
	v_bfe_u32 v71, v72, 16, 1
	v_add3_u32 v71, v72, v71, s49
                                        ; implicit-def: $vgpr72
; %bb.126:                              ;   in Loop: Header=BB328_13 Depth=1
	s_andn2_saveexec_b64 s[40:41], s[0:1]
; %bb.127:                              ;   in Loop: Header=BB328_13 Depth=1
	v_or_b32_e32 v71, 0x10000, v72
	v_cmp_eq_u32_sdwa s[0:1], v72, v23 src0_sel:WORD_0 src1_sel:DWORD
	s_nop 1
	v_cndmask_b32_e64 v71, v71, v72, s[0:1]
; %bb.128:                              ;   in Loop: Header=BB328_13 Depth=1
	s_or_b64 exec, exec, s[40:41]
	global_load_dword v75, v[28:29], off offset:1544
	s_waitcnt vmcnt(0)
	v_and_b32_e32 v72, 0xff, v75
	v_cvt_f32_fp8_sdwa v72, v72 src0_sel:BYTE_0
	s_nop 0
	v_mul_f32_e32 v73, s50, v72
	v_and_b32_e32 v72, 0x7f800000, v73
	v_cmp_ne_u32_e64 s[0:1], s48, v72
                                        ; implicit-def: $vgpr72
	s_and_saveexec_b64 s[40:41], s[0:1]
	s_xor_b64 s[0:1], exec, s[40:41]
; %bb.129:                              ;   in Loop: Header=BB328_13 Depth=1
	v_bfe_u32 v72, v73, 16, 1
	v_add3_u32 v72, v73, v72, s49
                                        ; implicit-def: $vgpr73
; %bb.130:                              ;   in Loop: Header=BB328_13 Depth=1
	s_andn2_saveexec_b64 s[40:41], s[0:1]
; %bb.131:                              ;   in Loop: Header=BB328_13 Depth=1
	v_or_b32_e32 v72, 0x10000, v73
	v_cmp_eq_u32_sdwa s[0:1], v73, v23 src0_sel:WORD_0 src1_sel:DWORD
	s_nop 1
	v_cndmask_b32_e64 v72, v72, v73, s[0:1]
; %bb.132:                              ;   in Loop: Header=BB328_13 Depth=1
	s_or_b64 exec, exec, s[40:41]
	v_bfe_u32 v73, v75, 8, 8
	v_cvt_f32_fp8_sdwa v73, v73 src0_sel:BYTE_0
	s_nop 0
	v_mul_f32_e32 v74, s50, v73
	v_and_b32_e32 v73, 0x7f800000, v74
	v_cmp_ne_u32_e64 s[0:1], s48, v73
                                        ; implicit-def: $vgpr73
	s_and_saveexec_b64 s[40:41], s[0:1]
	s_xor_b64 s[0:1], exec, s[40:41]
; %bb.133:                              ;   in Loop: Header=BB328_13 Depth=1
	v_bfe_u32 v73, v74, 16, 1
	v_add3_u32 v73, v74, v73, s49
                                        ; implicit-def: $vgpr74
; %bb.134:                              ;   in Loop: Header=BB328_13 Depth=1
	s_andn2_saveexec_b64 s[40:41], s[0:1]
; %bb.135:                              ;   in Loop: Header=BB328_13 Depth=1
	v_or_b32_e32 v73, 0x10000, v74
	v_cmp_eq_u32_sdwa s[0:1], v74, v23 src0_sel:WORD_0 src1_sel:DWORD
	s_nop 1
	v_cndmask_b32_e64 v73, v73, v74, s[0:1]
; %bb.136:                              ;   in Loop: Header=BB328_13 Depth=1
	s_or_b64 exec, exec, s[40:41]
	v_bfe_u32 v74, v75, 16, 8
	v_cvt_f32_fp8_sdwa v74, v74 src0_sel:BYTE_0
	s_nop 0
	v_mul_f32_e32 v76, s50, v74
	v_and_b32_e32 v74, 0x7f800000, v76
	v_cmp_ne_u32_e64 s[0:1], s48, v74
                                        ; implicit-def: $vgpr74
	s_and_saveexec_b64 s[40:41], s[0:1]
	s_xor_b64 s[0:1], exec, s[40:41]
; %bb.137:                              ;   in Loop: Header=BB328_13 Depth=1
	v_bfe_u32 v74, v76, 16, 1
	v_add3_u32 v74, v76, v74, s49
                                        ; implicit-def: $vgpr76
; %bb.138:                              ;   in Loop: Header=BB328_13 Depth=1
	s_andn2_saveexec_b64 s[40:41], s[0:1]
; %bb.139:                              ;   in Loop: Header=BB328_13 Depth=1
	v_or_b32_e32 v74, 0x10000, v76
	v_cmp_eq_u32_sdwa s[0:1], v76, v23 src0_sel:WORD_0 src1_sel:DWORD
	s_nop 1
	v_cndmask_b32_e64 v74, v74, v76, s[0:1]
; %bb.140:                              ;   in Loop: Header=BB328_13 Depth=1
	s_or_b64 exec, exec, s[40:41]
	v_lshrrev_b32_e32 v75, 24, v75
	v_cvt_f32_fp8_sdwa v75, v75 src0_sel:BYTE_0
	s_nop 0
	v_mul_f32_e32 v76, s50, v75
	v_and_b32_e32 v75, 0x7f800000, v76
	v_cmp_ne_u32_e64 s[0:1], s48, v75
                                        ; implicit-def: $vgpr75
	s_and_saveexec_b64 s[40:41], s[0:1]
	s_xor_b64 s[0:1], exec, s[40:41]
; %bb.141:                              ;   in Loop: Header=BB328_13 Depth=1
	v_bfe_u32 v75, v76, 16, 1
	v_add3_u32 v75, v76, v75, s49
                                        ; implicit-def: $vgpr76
; %bb.142:                              ;   in Loop: Header=BB328_13 Depth=1
	s_andn2_saveexec_b64 s[40:41], s[0:1]
; %bb.143:                              ;   in Loop: Header=BB328_13 Depth=1
	v_or_b32_e32 v75, 0x10000, v76
	v_cmp_eq_u32_sdwa s[0:1], v76, v23 src0_sel:WORD_0 src1_sel:DWORD
	s_nop 1
	v_cndmask_b32_e64 v75, v75, v76, s[0:1]
; %bb.144:                              ;   in Loop: Header=BB328_13 Depth=1
	s_or_b64 exec, exec, s[40:41]
	global_load_dword v79, v[28:29], off offset:2048
	s_waitcnt vmcnt(0)
	v_and_b32_e32 v76, 0xff, v79
	v_cvt_f32_fp8_sdwa v76, v76 src0_sel:BYTE_0
	s_nop 0
	v_mul_f32_e32 v77, s50, v76
	v_and_b32_e32 v76, 0x7f800000, v77
	v_cmp_ne_u32_e64 s[0:1], s48, v76
                                        ; implicit-def: $vgpr76
	s_and_saveexec_b64 s[40:41], s[0:1]
	s_xor_b64 s[0:1], exec, s[40:41]
; %bb.145:                              ;   in Loop: Header=BB328_13 Depth=1
	v_bfe_u32 v76, v77, 16, 1
	v_add3_u32 v76, v77, v76, s49
                                        ; implicit-def: $vgpr77
; %bb.146:                              ;   in Loop: Header=BB328_13 Depth=1
	s_andn2_saveexec_b64 s[40:41], s[0:1]
; %bb.147:                              ;   in Loop: Header=BB328_13 Depth=1
	v_or_b32_e32 v76, 0x10000, v77
	v_cmp_eq_u32_sdwa s[0:1], v77, v23 src0_sel:WORD_0 src1_sel:DWORD
	s_nop 1
	v_cndmask_b32_e64 v76, v76, v77, s[0:1]
; %bb.148:                              ;   in Loop: Header=BB328_13 Depth=1
	s_or_b64 exec, exec, s[40:41]
	v_bfe_u32 v77, v79, 8, 8
	v_cvt_f32_fp8_sdwa v77, v77 src0_sel:BYTE_0
	s_nop 0
	v_mul_f32_e32 v78, s50, v77
	v_and_b32_e32 v77, 0x7f800000, v78
	v_cmp_ne_u32_e64 s[0:1], s48, v77
                                        ; implicit-def: $vgpr77
	s_and_saveexec_b64 s[40:41], s[0:1]
	s_xor_b64 s[0:1], exec, s[40:41]
; %bb.149:                              ;   in Loop: Header=BB328_13 Depth=1
	v_bfe_u32 v77, v78, 16, 1
	v_add3_u32 v77, v78, v77, s49
                                        ; implicit-def: $vgpr78
; %bb.150:                              ;   in Loop: Header=BB328_13 Depth=1
	s_andn2_saveexec_b64 s[40:41], s[0:1]
; %bb.151:                              ;   in Loop: Header=BB328_13 Depth=1
	v_or_b32_e32 v77, 0x10000, v78
	v_cmp_eq_u32_sdwa s[0:1], v78, v23 src0_sel:WORD_0 src1_sel:DWORD
	s_nop 1
	v_cndmask_b32_e64 v77, v77, v78, s[0:1]
; %bb.152:                              ;   in Loop: Header=BB328_13 Depth=1
	s_or_b64 exec, exec, s[40:41]
	v_bfe_u32 v78, v79, 16, 8
	v_cvt_f32_fp8_sdwa v78, v78 src0_sel:BYTE_0
	s_nop 0
	v_mul_f32_e32 v80, s50, v78
	v_and_b32_e32 v78, 0x7f800000, v80
	v_cmp_ne_u32_e64 s[0:1], s48, v78
                                        ; implicit-def: $vgpr78
	s_and_saveexec_b64 s[40:41], s[0:1]
	s_xor_b64 s[0:1], exec, s[40:41]
; %bb.153:                              ;   in Loop: Header=BB328_13 Depth=1
	v_bfe_u32 v78, v80, 16, 1
	v_add3_u32 v78, v80, v78, s49
                                        ; implicit-def: $vgpr80
; %bb.154:                              ;   in Loop: Header=BB328_13 Depth=1
	s_andn2_saveexec_b64 s[40:41], s[0:1]
; %bb.155:                              ;   in Loop: Header=BB328_13 Depth=1
	v_or_b32_e32 v78, 0x10000, v80
	v_cmp_eq_u32_sdwa s[0:1], v80, v23 src0_sel:WORD_0 src1_sel:DWORD
	s_nop 1
	v_cndmask_b32_e64 v78, v78, v80, s[0:1]
; %bb.156:                              ;   in Loop: Header=BB328_13 Depth=1
	s_or_b64 exec, exec, s[40:41]
	v_lshrrev_b32_e32 v79, 24, v79
	v_cvt_f32_fp8_sdwa v79, v79 src0_sel:BYTE_0
	s_nop 0
	v_mul_f32_e32 v80, s50, v79
	v_and_b32_e32 v79, 0x7f800000, v80
	v_cmp_ne_u32_e64 s[0:1], s48, v79
                                        ; implicit-def: $vgpr79
	s_and_saveexec_b64 s[40:41], s[0:1]
	s_xor_b64 s[0:1], exec, s[40:41]
; %bb.157:                              ;   in Loop: Header=BB328_13 Depth=1
	v_bfe_u32 v79, v80, 16, 1
	v_add3_u32 v79, v80, v79, s49
                                        ; implicit-def: $vgpr80
; %bb.158:                              ;   in Loop: Header=BB328_13 Depth=1
	s_andn2_saveexec_b64 s[40:41], s[0:1]
; %bb.159:                              ;   in Loop: Header=BB328_13 Depth=1
	v_or_b32_e32 v79, 0x10000, v80
	v_cmp_eq_u32_sdwa s[0:1], v80, v23 src0_sel:WORD_0 src1_sel:DWORD
	s_nop 1
	v_cndmask_b32_e64 v79, v79, v80, s[0:1]
; %bb.160:                              ;   in Loop: Header=BB328_13 Depth=1
	s_or_b64 exec, exec, s[40:41]
	global_load_dword v80, v[28:29], off offset:2056
	s_waitcnt vmcnt(0)
	v_and_b32_e32 v28, 0xff, v80
	v_cvt_f32_fp8_sdwa v28, v28 src0_sel:BYTE_0
	s_nop 0
	v_mul_f32_e32 v29, s50, v28
	v_and_b32_e32 v28, 0x7f800000, v29
	v_cmp_ne_u32_e64 s[0:1], s48, v28
                                        ; implicit-def: $vgpr28
	s_and_saveexec_b64 s[40:41], s[0:1]
	s_xor_b64 s[0:1], exec, s[40:41]
; %bb.161:                              ;   in Loop: Header=BB328_13 Depth=1
	v_bfe_u32 v28, v29, 16, 1
	v_add3_u32 v28, v29, v28, s49
                                        ; implicit-def: $vgpr29
; %bb.162:                              ;   in Loop: Header=BB328_13 Depth=1
	s_andn2_saveexec_b64 s[40:41], s[0:1]
; %bb.163:                              ;   in Loop: Header=BB328_13 Depth=1
	v_or_b32_e32 v28, 0x10000, v29
	v_cmp_eq_u32_sdwa s[0:1], v29, v23 src0_sel:WORD_0 src1_sel:DWORD
	s_nop 1
	v_cndmask_b32_e64 v28, v28, v29, s[0:1]
; %bb.164:                              ;   in Loop: Header=BB328_13 Depth=1
	s_or_b64 exec, exec, s[40:41]
	v_bfe_u32 v29, v80, 8, 8
	v_cvt_f32_fp8_sdwa v29, v29 src0_sel:BYTE_0
	s_nop 0
	v_mul_f32_e32 v29, s50, v29
	v_and_b32_e32 v81, 0x7f800000, v29
	v_cmp_ne_u32_e64 s[0:1], s48, v81
                                        ; implicit-def: $vgpr81
	s_and_saveexec_b64 s[40:41], s[0:1]
	s_xor_b64 s[0:1], exec, s[40:41]
; %bb.165:                              ;   in Loop: Header=BB328_13 Depth=1
	v_bfe_u32 v81, v29, 16, 1
	v_add3_u32 v81, v29, v81, s49
                                        ; implicit-def: $vgpr29
; %bb.166:                              ;   in Loop: Header=BB328_13 Depth=1
	s_andn2_saveexec_b64 s[40:41], s[0:1]
; %bb.167:                              ;   in Loop: Header=BB328_13 Depth=1
	v_or_b32_e32 v81, 0x10000, v29
	v_cmp_eq_u32_sdwa s[0:1], v29, v23 src0_sel:WORD_0 src1_sel:DWORD
	s_nop 1
	v_cndmask_b32_e64 v81, v81, v29, s[0:1]
; %bb.168:                              ;   in Loop: Header=BB328_13 Depth=1
	s_or_b64 exec, exec, s[40:41]
	v_bfe_u32 v29, v80, 16, 8
	v_cvt_f32_fp8_sdwa v29, v29 src0_sel:BYTE_0
	s_nop 0
	v_mul_f32_e32 v82, s50, v29
	v_and_b32_e32 v29, 0x7f800000, v82
	v_cmp_ne_u32_e64 s[0:1], s48, v29
                                        ; implicit-def: $vgpr29
	s_and_saveexec_b64 s[40:41], s[0:1]
	s_xor_b64 s[0:1], exec, s[40:41]
; %bb.169:                              ;   in Loop: Header=BB328_13 Depth=1
	v_bfe_u32 v29, v82, 16, 1
	v_add3_u32 v29, v82, v29, s49
                                        ; implicit-def: $vgpr82
; %bb.170:                              ;   in Loop: Header=BB328_13 Depth=1
	s_andn2_saveexec_b64 s[40:41], s[0:1]
; %bb.171:                              ;   in Loop: Header=BB328_13 Depth=1
	v_or_b32_e32 v29, 0x10000, v82
	v_cmp_eq_u32_sdwa s[0:1], v82, v23 src0_sel:WORD_0 src1_sel:DWORD
	s_nop 1
	v_cndmask_b32_e64 v29, v29, v82, s[0:1]
; %bb.172:                              ;   in Loop: Header=BB328_13 Depth=1
	s_or_b64 exec, exec, s[40:41]
	v_lshrrev_b32_e32 v80, 24, v80
	v_cvt_f32_fp8_sdwa v80, v80 src0_sel:BYTE_0
	s_nop 0
	v_mul_f32_e32 v82, s50, v80
	v_and_b32_e32 v80, 0x7f800000, v82
	v_cmp_ne_u32_e64 s[0:1], s48, v80
                                        ; implicit-def: $vgpr80
	s_and_saveexec_b64 s[40:41], s[0:1]
	s_xor_b64 s[0:1], exec, s[40:41]
; %bb.173:                              ;   in Loop: Header=BB328_13 Depth=1
	v_bfe_u32 v80, v82, 16, 1
	v_add3_u32 v80, v82, v80, s49
                                        ; implicit-def: $vgpr82
; %bb.174:                              ;   in Loop: Header=BB328_13 Depth=1
	s_andn2_saveexec_b64 s[40:41], s[0:1]
; %bb.175:                              ;   in Loop: Header=BB328_13 Depth=1
	v_or_b32_e32 v80, 0x10000, v82
	v_cmp_eq_u32_sdwa s[0:1], v82, v23 src0_sel:WORD_0 src1_sel:DWORD
	s_nop 1
	v_cndmask_b32_e64 v80, v80, v82, s[0:1]
; %bb.176:                              ;   in Loop: Header=BB328_13 Depth=1
	s_or_b64 exec, exec, s[40:41]
	v_and_b32_e32 v49, 0xffff0000, v49
	v_and_b32_e32 v48, 0xffff0000, v48
	v_lshlrev_b32_e32 v84, 16, v20
	v_and_b32_e32 v20, 0xffff0000, v20
	v_and_b32_e32 v50, 0xffff0000, v50
	;; [unrolled: 1-line block ×4, first 2 shown]
	v_lshlrev_b32_e32 v82, 16, v18
	v_lshlrev_b32_e32 v85, 16, v21
	v_and_b32_e32 v18, 0xffff0000, v18
	v_mul_f32_e32 v48, v84, v48
	v_mul_f32_e32 v20, v20, v49
	v_and_b32_e32 v53, 0xffff0000, v53
	v_and_b32_e32 v52, 0xffff0000, v52
	;; [unrolled: 1-line block ×4, first 2 shown]
	v_lshlrev_b32_e32 v83, 16, v19
	v_lshlrev_b32_e32 v86, 16, v10
	v_and_b32_e32 v21, 0xffff0000, v21
	v_and_b32_e32 v10, 0xffff0000, v10
	v_fmac_f32_e32 v48, v82, v44
	v_fmac_f32_e32 v20, v18, v45
	v_mul_f32_e32 v18, v85, v50
	v_and_b32_e32 v57, 0xffff0000, v57
	v_and_b32_e32 v56, 0xffff0000, v56
	v_and_b32_e32 v54, 0xffff0000, v54
	v_and_b32_e32 v47, 0xffff0000, v47
	v_lshlrev_b32_e32 v87, 16, v11
	v_lshlrev_b32_e32 v88, 16, v12
	v_and_b32_e32 v19, 0xffff0000, v19
	v_and_b32_e32 v12, 0xffff0000, v12
	v_fmac_f32_e32 v18, v83, v46
	v_mul_f32_e32 v21, v21, v51
	v_fmac_f32_e32 v48, v86, v52
	v_fmac_f32_e32 v20, v10, v53
	v_and_b32_e32 v61, 0xffff0000, v61
	v_and_b32_e32 v60, 0xffff0000, v60
	v_and_b32_e32 v58, 0xffff0000, v58
	v_and_b32_e32 v55, 0xffff0000, v55
	v_lshlrev_b32_e32 v89, 16, v13
	v_lshlrev_b32_e32 v90, 16, v14
	v_and_b32_e32 v11, 0xffff0000, v11
	v_and_b32_e32 v14, 0xffff0000, v14
	v_fmac_f32_e32 v21, v19, v47
	v_fmac_f32_e32 v18, v87, v54
	v_fmac_f32_e32 v48, v88, v56
	v_fmac_f32_e32 v20, v12, v57
	v_and_b32_e32 v65, 0xffff0000, v65
	v_and_b32_e32 v64, 0xffff0000, v64
	v_and_b32_e32 v62, 0xffff0000, v62
	v_and_b32_e32 v59, 0xffff0000, v59
	v_lshlrev_b32_e32 v91, 16, v15
	v_lshlrev_b32_e32 v92, 16, v16
	v_and_b32_e32 v13, 0xffff0000, v13
	v_and_b32_e32 v16, 0xffff0000, v16
	v_fmac_f32_e32 v21, v11, v55
	v_fmac_f32_e32 v18, v89, v58
	;; [unrolled: 12-line block ×5, first 2 shown]
	v_fmac_f32_e32 v48, v96, v72
	v_fmac_f32_e32 v20, v8, v73
	v_and_b32_e32 v81, 0xffff0000, v81
	v_and_b32_e32 v28, 0xffff0000, v28
	;; [unrolled: 1-line block ×4, first 2 shown]
	v_lshlrev_b32_e32 v99, 16, v3
	v_lshlrev_b32_e32 v100, 16, v4
	v_and_b32_e32 v103, 64, v42
	v_and_b32_e32 v9, 0xffff0000, v9
	;; [unrolled: 1-line block ×3, first 2 shown]
	v_fmac_f32_e32 v21, v7, v71
	v_fmac_f32_e32 v18, v97, v74
	;; [unrolled: 1-line block ×4, first 2 shown]
	v_and_b32_e32 v79, 0xffff0000, v79
	v_lshlrev_b32_e32 v101, 16, v5
	v_xor_b32_e32 v102, 1, v42
	v_add_u32_e32 v103, 64, v103
	v_and_b32_e32 v29, 0xffff0000, v29
	v_and_b32_e32 v3, 0xffff0000, v3
	v_fmac_f32_e32 v21, v9, v75
	v_fmac_f32_e32 v18, v99, v78
	;; [unrolled: 1-line block ×4, first 2 shown]
	v_cmp_lt_i32_e64 s[0:1], v102, v103
	v_and_b32_e32 v80, 0xffff0000, v80
	v_and_b32_e32 v5, 0xffff0000, v5
	v_fmac_f32_e32 v21, v3, v79
	v_fmac_f32_e32 v18, v101, v29
	v_add_f32_e32 v2, v48, v20
	v_cndmask_b32_e64 v102, v42, v102, s[0:1]
	v_fmac_f32_e32 v21, v5, v80
	v_add_f32_e32 v2, v2, v18
	v_lshlrev_b32_e32 v102, 2, v102
	v_add_f32_e32 v2, v2, v21
	ds_bpermute_b32 v3, v102, v2
	s_and_saveexec_b64 s[40:41], vcc
	s_cbranch_execz .LBB328_11
; %bb.177:                              ;   in Loop: Header=BB328_13 Depth=1
	v_add_u32_e32 v4, v40, v38
	v_cvt_f32_i32_e32 v4, v4
	s_waitcnt lgkmcnt(0)
	v_add_f32_e32 v2, v2, v3
	v_add_u32_e32 v5, v34, v38
	v_cmp_gt_i32_e64 s[0:1], s33, v5
	v_mul_f32_e32 v3, s44, v4
	v_cndmask_b32_e64 v3, 0, v3, s[2:3]
	v_fmac_f32_e32 v3, s37, v2
	v_cndmask_b32_e64 v2, 0, v3, s[0:1]
	ds_write_b32 v39, v2
	v_max_f32_e32 v2, v36, v36
	v_max_f32_e32 v2, v2, v3
	v_cndmask_b32_e64 v36, v36, v2, s[0:1]
	s_branch .LBB328_11
.LBB328_178:
	s_or_b64 exec, exec, s[38:39]
.LBB328_179:
	s_or_b64 exec, exec, s[18:19]
	v_mbcnt_hi_u32_b32 v8, -1, v33
	v_and_b32_e32 v2, 64, v8
	v_add_u32_e32 v9, 64, v2
	v_xor_b32_e32 v2, 32, v8
	v_cmp_lt_i32_e32 vcc, v2, v9
	v_xor_b32_e32 v5, 16, v8
	v_max_f32_e32 v4, v36, v36
	v_cndmask_b32_e32 v2, v8, v2, vcc
	v_lshlrev_b32_e32 v2, 2, v2
	s_waitcnt lgkmcnt(0)
	ds_bpermute_b32 v3, v2, v36
	v_cmp_lt_i32_e32 vcc, v5, v9
	v_xor_b32_e32 v6, 8, v8
	v_xor_b32_e32 v7, 4, v8
	v_xor_b32_e32 v10, 2, v8
	s_waitcnt lgkmcnt(0)
	v_max_f32_e32 v3, v3, v3
	v_max_f32_e32 v4, v4, v3
	v_cndmask_b32_e32 v3, v8, v5, vcc
	v_lshlrev_b32_e32 v3, 2, v3
	ds_bpermute_b32 v5, v3, v4
	v_cmp_lt_i32_e32 vcc, v6, v9
	v_and_b32_e32 v20, 63, v0
	s_waitcnt lgkmcnt(0)
	v_max_f32_e32 v5, v5, v5
	v_max_f32_e32 v5, v4, v5
	v_cndmask_b32_e32 v4, v8, v6, vcc
	v_lshlrev_b32_e32 v4, 2, v4
	ds_bpermute_b32 v6, v4, v5
	v_cmp_lt_i32_e32 vcc, v7, v9
	s_waitcnt lgkmcnt(0)
	v_max_f32_e32 v6, v6, v6
	v_max_f32_e32 v6, v5, v6
	v_cndmask_b32_e32 v5, v8, v7, vcc
	v_lshlrev_b32_e32 v5, 2, v5
	ds_bpermute_b32 v7, v5, v6
	v_cmp_lt_i32_e32 vcc, v10, v9
	s_waitcnt lgkmcnt(0)
	v_max_f32_e32 v7, v7, v7
	v_max_f32_e32 v7, v6, v7
	v_cndmask_b32_e32 v6, v8, v10, vcc
	v_lshlrev_b32_e32 v21, 2, v6
	ds_bpermute_b32 v10, v21, v7
	v_cmp_eq_u32_e32 vcc, 0, v20
	v_lshlrev_b32_e32 v6, 2, v1
	s_and_saveexec_b64 s[0:1], vcc
	s_cbranch_execz .LBB328_181
; %bb.180:
	s_waitcnt lgkmcnt(0)
	v_max_f32_e32 v10, v10, v10
	v_max_f32_e32 v7, v7, v7
	;; [unrolled: 1-line block ×3, first 2 shown]
	ds_write_b32 v6, v7 offset:160
.LBB328_181:
	s_or_b64 exec, exec, s[0:1]
	v_cmp_gt_u32_e64 s[0:1], 2, v20
	s_waitcnt lgkmcnt(0)
	v_mov_b32_e32 v10, 0xff7fffff
	v_lshlrev_b32_e32 v7, 2, v20
	s_barrier
	s_and_saveexec_b64 s[2:3], s[0:1]
	s_cbranch_execz .LBB328_183
; %bb.182:
	ds_read_b32 v10, v7 offset:160
.LBB328_183:
	s_or_b64 exec, exec, s[2:3]
	v_xor_b32_e32 v11, 1, v8
	v_cmp_lt_i32_e64 s[2:3], v11, v9
	s_nop 1
	v_cndmask_b32_e64 v9, v8, v11, s[2:3]
	v_lshlrev_b32_e32 v22, 2, v9
	s_waitcnt lgkmcnt(0)
	ds_bpermute_b32 v9, v22, v10
	v_max_f32_e32 v10, v10, v10
	v_lshlrev_b32_e32 v8, 2, v8
	v_and_b32_e32 v8, 0x100, v8
	s_lshl_b32 s2, s20, 5
	s_waitcnt lgkmcnt(0)
	v_max_f32_e32 v9, v9, v9
	v_max_f32_e32 v9, v10, v9
	ds_bpermute_b32 v10, v8, v9
	s_min_i32 s37, s2, s33
	v_cmp_gt_i32_e64 s[2:3], s37, v0
	v_mov_b32_e32 v9, 0
	s_and_saveexec_b64 s[12:13], s[2:3]
	s_cbranch_execz .LBB328_187
; %bb.184:
	v_mov_b32_e32 v9, 0xb0
	v_lshl_add_u32 v11, v0, 2, v9
	s_mov_b64 s[18:19], 0
	v_mov_b32_e32 v9, 0
	v_mov_b32_e32 v12, v0
.LBB328_185:                            ; =>This Inner Loop Header: Depth=1
	ds_read_b32 v13, v11
	v_add_u32_e32 v12, 0x80, v12
	v_cmp_le_i32_e64 s[8:9], s37, v12
	s_or_b64 s[18:19], s[8:9], s[18:19]
	s_waitcnt lgkmcnt(0)
	v_sub_f32_e32 v13, v13, v10
	v_mul_f32_e32 v13, 0x3fb8aa3b, v13
	v_exp_f32_e32 v13, v13
	ds_write_b32 v11, v13
	v_add_f32_e32 v9, v9, v13
	v_add_u32_e32 v11, 0x200, v11
	s_andn2_b64 exec, exec, s[18:19]
	s_cbranch_execnz .LBB328_185
; %bb.186:
	s_or_b64 exec, exec, s[18:19]
.LBB328_187:
	s_or_b64 exec, exec, s[12:13]
	ds_bpermute_b32 v2, v2, v9
	s_waitcnt lgkmcnt(0)
	v_add_f32_e32 v2, v9, v2
	ds_bpermute_b32 v3, v3, v2
	s_waitcnt lgkmcnt(0)
	v_add_f32_e32 v2, v2, v3
	;; [unrolled: 3-line block ×6, first 2 shown]
	s_and_saveexec_b64 s[8:9], vcc
	s_cbranch_execz .LBB328_189
; %bb.188:
	ds_write_b32 v6, v2 offset:168
.LBB328_189:
	s_or_b64 exec, exec, s[8:9]
	s_waitcnt lgkmcnt(0)
	s_barrier
	s_and_saveexec_b64 s[8:9], s[0:1]
	s_cbranch_execz .LBB328_191
; %bb.190:
	ds_read_b32 v2, v7 offset:168
.LBB328_191:
	s_or_b64 exec, exec, s[8:9]
	s_waitcnt lgkmcnt(0)
	ds_bpermute_b32 v3, v22, v2
	s_waitcnt lgkmcnt(0)
	v_add_f32_e32 v2, v2, v3
	ds_bpermute_b32 v2, v8, v2
	s_and_saveexec_b64 s[0:1], s[2:3]
	s_cbranch_execz .LBB328_204
; %bb.192:
	s_waitcnt lgkmcnt(0)
	v_add_f32_e32 v2, 0x358637bd, v2
	v_div_scale_f32 v3, s[2:3], v2, v2, 1.0
	v_rcp_f32_e32 v4, v3
	v_div_scale_f32 v5, vcc, 1.0, v2, 1.0
	s_movk_i32 s2, 0x7f
	v_fma_f32 v6, -v3, v4, 1.0
	v_fmac_f32_e32 v4, v6, v4
	v_mul_f32_e32 v6, v5, v4
	v_fma_f32 v7, -v3, v6, v5
	v_fmac_f32_e32 v6, v7, v4
	v_fma_f32 v3, -v3, v6, v5
	v_div_fmas_f32 v3, v3, v4, v6
	v_xad_u32 v4, v0, -1, s37
	v_div_fixup_f32 v2, v3, v2, 1.0
	v_cmp_lt_u32_e32 vcc, s2, v4
	s_mov_b64 s[8:9], -1
	v_mov_b32_e32 v3, v0
	s_and_saveexec_b64 s[2:3], vcc
	s_cbranch_execz .LBB328_201
; %bb.193:
	v_lshrrev_b32_e32 v4, 7, v4
	v_add_u32_e32 v6, -1, v4
	v_lshrrev_b32_e32 v5, 1, v6
	v_mov_b32_e32 v3, v2
	v_add_u32_e32 v5, 1, v5
	v_cmp_lt_u32_e32 vcc, 13, v6
	v_mov_b32_e32 v8, 0
	s_and_saveexec_b64 s[8:9], vcc
	s_cbranch_execz .LBB328_197
; %bb.194:
	v_mov_b32_e32 v7, 0xb0
	v_and_b32_e32 v6, -8, v5
	v_lshl_add_u32 v7, v0, 2, v7
	s_mov_b32 s18, 0
	s_mov_b64 s[12:13], 0
.LBB328_195:                            ; =>This Inner Loop Header: Depth=1
	ds_read2st64_b32 v[8:9], v7 offset1:2
	ds_read2st64_b32 v[10:11], v7 offset0:4 offset1:6
	ds_read2st64_b32 v[12:13], v7 offset0:8 offset1:10
	;; [unrolled: 1-line block ×3, first 2 shown]
	v_add_u32_e32 v6, -8, v6
	s_waitcnt lgkmcnt(3)
	v_pk_mul_f32 v[8:9], v[2:3], v[8:9]
	s_waitcnt lgkmcnt(2)
	v_pk_mul_f32 v[10:11], v[2:3], v[10:11]
	ds_write2st64_b32 v7, v8, v9 offset1:2
	ds_write2st64_b32 v7, v10, v11 offset0:4 offset1:6
	ds_read2st64_b32 v[10:11], v7 offset0:16 offset1:18
	s_waitcnt lgkmcnt(4)
	v_pk_mul_f32 v[8:9], v[2:3], v[12:13]
	ds_write2st64_b32 v7, v8, v9 offset0:8 offset1:10
	s_waitcnt lgkmcnt(4)
	v_pk_mul_f32 v[8:9], v[2:3], v[14:15]
	ds_write2st64_b32 v7, v8, v9 offset0:12 offset1:14
	ds_read2st64_b32 v[8:9], v7 offset0:20 offset1:22
	s_waitcnt lgkmcnt(3)
	v_pk_mul_f32 v[10:11], v[2:3], v[10:11]
	ds_read2st64_b32 v[12:13], v7 offset0:24 offset1:26
	ds_write2st64_b32 v7, v10, v11 offset0:16 offset1:18
	ds_read2st64_b32 v[10:11], v7 offset0:28 offset1:30
	s_waitcnt lgkmcnt(3)
	v_pk_mul_f32 v[8:9], v[2:3], v[8:9]
	ds_write2st64_b32 v7, v8, v9 offset0:20 offset1:22
	s_waitcnt lgkmcnt(3)
	v_pk_mul_f32 v[8:9], v[2:3], v[12:13]
	ds_write2st64_b32 v7, v8, v9 offset0:24 offset1:26
	s_waitcnt lgkmcnt(2)
	v_pk_mul_f32 v[8:9], v[2:3], v[10:11]
	s_add_i32 s18, s18, 16
	v_cmp_eq_u32_e32 vcc, 0, v6
	ds_write2st64_b32 v7, v8, v9 offset0:28 offset1:30
	v_add_u32_e32 v7, 0x2000, v7
	s_or_b64 s[12:13], vcc, s[12:13]
	v_mov_b32_e32 v8, s18
	s_andn2_b64 exec, exec, s[12:13]
	s_cbranch_execnz .LBB328_195
; %bb.196:
	s_or_b64 exec, exec, s[12:13]
.LBB328_197:
	s_or_b64 exec, exec, s[8:9]
	v_and_b32_e32 v5, 7, v5
	v_cmp_ne_u32_e32 vcc, 0, v5
	s_and_saveexec_b64 s[8:9], vcc
	s_cbranch_execz .LBB328_200
; %bb.198:
	v_lshlrev_b32_e32 v6, 9, v8
	v_lshlrev_b32_e32 v7, 2, v0
	s_movk_i32 s12, 0xb0
	v_add3_u32 v6, v6, v7, s12
	s_mov_b64 s[12:13], 0
.LBB328_199:                            ; =>This Inner Loop Header: Depth=1
	ds_read2st64_b32 v[8:9], v6 offset1:2
	v_add_u32_e32 v5, -1, v5
	v_cmp_eq_u32_e32 vcc, 0, v5
	s_or_b64 s[12:13], vcc, s[12:13]
	s_waitcnt lgkmcnt(0)
	v_pk_mul_f32 v[8:9], v[2:3], v[8:9]
	ds_write2st64_b32 v6, v8, v9 offset1:2
	v_add_u32_e32 v6, 0x400, v6
	s_andn2_b64 exec, exec, s[12:13]
	s_cbranch_execnz .LBB328_199
.LBB328_200:
	s_or_b64 exec, exec, s[8:9]
	v_add_u32_e32 v4, 1, v4
	v_and_b32_e32 v5, 0x3fffffe, v4
	v_cmp_ne_u32_e32 vcc, v4, v5
	v_lshl_add_u32 v3, v5, 7, v0
	s_orn2_b64 s[8:9], vcc, exec
.LBB328_201:
	s_or_b64 exec, exec, s[2:3]
	s_and_b64 exec, exec, s[8:9]
	s_cbranch_execz .LBB328_204
; %bb.202:
	v_mov_b32_e32 v4, 0xb0
	v_lshl_add_u32 v4, v3, 2, v4
	s_mov_b64 s[2:3], 0
.LBB328_203:                            ; =>This Inner Loop Header: Depth=1
	ds_read_b32 v5, v4
	v_add_u32_e32 v3, 0x80, v3
	v_cmp_le_i32_e32 vcc, s37, v3
	s_or_b64 s[2:3], vcc, s[2:3]
	s_waitcnt lgkmcnt(0)
	v_mul_f32_e32 v5, v2, v5
	ds_write_b32 v4, v5
	v_add_u32_e32 v4, 0x200, v4
	s_andn2_b64 exec, exec, s[2:3]
	s_cbranch_execnz .LBB328_203
.LBB328_204:
	s_or_b64 exec, exec, s[0:1]
	v_mov_b32_e32 v14, 0
	v_and_b32_e32 v23, 3, v0
	v_mov_b32_e32 v11, 0
	v_mov_b32_e32 v10, 0
	;; [unrolled: 1-line block ×4, first 2 shown]
	s_waitcnt lgkmcnt(0)
	s_barrier
	s_and_saveexec_b64 s[2:3], s[6:7]
	s_cbranch_execz .LBB328_572
; %bb.205:
	s_sub_i32 s18, s42, s21
	s_ashr_i32 s1, s43, 31
	s_add_u32 s0, s34, s43
	s_addc_u32 s1, s35, s1
	s_abs_i32 s19, s22
	v_cvt_f32_u32_e32 v2, s19
	s_sub_i32 s6, 0, s19
	v_and_b32_e32 v14, 0x1f8, v31
	v_mov_b32_e32 v15, 0
	v_rcp_iflag_f32_e32 v2, v2
	s_add_i32 s21, s20, -1
	v_lshl_add_u64 v[16:17], s[0:1], 0, v[14:15]
	s_lshl_b64 s[0:1], s[30:31], 2
	v_mul_f32_e32 v2, 0x4f7ffffe, v2
	v_cvt_u32_f32_e32 v2, v2
	s_add_u32 s0, s28, s0
	v_and_b32_e32 v14, 60, v32
	s_addc_u32 s1, s29, s1
	v_mul_lo_u32 v3, s6, v2
	v_mul_hi_u32 v3, v2, v3
	v_add_u32_e32 v25, v2, v3
	v_lshlrev_b32_e32 v2, 5, v23
	v_lshl_or_b32 v2, v1, 7, v2
	v_and_b32_e32 v24, 24, v31
	v_lshl_add_u64 v[18:19], s[0:1], 0, v[14:15]
	v_add_u32_e32 v26, 0xb0, v2
	s_mov_b64 s[6:7], 0
	s_mov_b32 s22, 0x7f800000
	s_movk_i32 s28, 0x7fff
	v_mov_b32_e32 v12, 0
	v_mov_b32_e32 v13, 0
	;; [unrolled: 1-line block ×5, first 2 shown]
	s_branch .LBB328_208
.LBB328_206:                            ;   in Loop: Header=BB328_208 Depth=1
	s_or_b64 exec, exec, s[0:1]
	v_and_b32_e32 v43, 0xffff0000, v65
	v_and_b32_e32 v42, 0xffff0000, v5
	;; [unrolled: 1-line block ×8, first 2 shown]
	v_pk_add_f32 v[4:5], v[4:5], v[42:43]
	v_pk_add_f32 v[38:39], v[40:41], v[38:39]
	v_add_f32_e32 v4, v4, v5
	v_add_f32_e32 v4, v4, v38
	v_add_f32_e32 v4, v4, v39
	v_and_b32_e32 v41, 0xffff0000, v59
	v_and_b32_e32 v40, 0xffff0000, v57
	v_and_b32_e32 v43, 0xffff0000, v58
	v_and_b32_e32 v42, 0xffff0000, v56
	v_add_f32_e32 v11, v11, v4
	v_and_b32_e32 v5, 0xffff0000, v63
	v_and_b32_e32 v4, 0xffff0000, v61
	v_and_b32_e32 v39, 0xffff0000, v62
	v_and_b32_e32 v38, 0xffff0000, v60
	v_pk_add_f32 v[40:41], v[42:43], v[40:41]
	v_pk_add_f32 v[4:5], v[38:39], v[4:5]
	v_add_f32_e32 v38, v40, v41
	v_add_f32_e32 v4, v38, v4
	v_add_f32_e32 v4, v4, v5
	v_and_b32_e32 v41, 0xffff0000, v51
	v_and_b32_e32 v40, 0xffff0000, v49
	v_and_b32_e32 v43, 0xffff0000, v50
	v_and_b32_e32 v42, 0xffff0000, v48
	v_add_f32_e32 v10, v10, v4
	v_and_b32_e32 v5, 0xffff0000, v55
	v_and_b32_e32 v4, 0xffff0000, v53
	v_and_b32_e32 v39, 0xffff0000, v54
	v_and_b32_e32 v38, 0xffff0000, v52
	;; [unrolled: 14-line block ×4, first 2 shown]
	v_pk_add_f32 v[2:3], v[2:3], v[8:9]
	v_pk_add_f32 v[4:5], v[6:7], v[4:5]
	v_add_f32_e32 v2, v2, v3
	v_add_f32_e32 v2, v2, v4
	v_add_f32_e32 v2, v2, v5
	v_add_f32_e32 v14, v14, v2
.LBB328_207:                            ;   in Loop: Header=BB328_208 Depth=1
	s_or_b64 exec, exec, s[8:9]
	v_add_u32_e32 v1, 2, v1
	v_cmp_le_i32_e32 vcc, s20, v1
	v_lshl_add_u64 v[18:19], v[18:19], 0, 8
	v_add_u32_e32 v30, 64, v30
	s_or_b64 s[6:7], vcc, s[6:7]
	v_add_u32_e32 v26, 0x100, v26
	s_andn2_b64 exec, exec, s[6:7]
	s_cbranch_execz .LBB328_571
.LBB328_208:                            ; =>This Inner Loop Header: Depth=1
	v_mul_hi_u32 v2, v30, s25
	v_mul_lo_u32 v3, v2, s16
	v_sub_u32_e32 v3, v30, v3
	v_add_u32_e32 v4, 1, v2
	v_cmp_le_u32_e32 vcc, s16, v3
	s_nop 1
	v_cndmask_b32_e32 v2, v2, v4, vcc
	v_subrev_u32_e32 v4, s16, v3
	v_cndmask_b32_e32 v3, v3, v4, vcc
	v_add_u32_e32 v4, 1, v2
	v_cmp_le_u32_e32 vcc, s16, v3
	s_nop 1
	v_cndmask_b32_e32 v2, v2, v4, vcc
	v_xor_b32_e32 v2, s23, v2
	v_subrev_u32_e32 v2, s23, v2
	v_add_u32_e32 v3, s36, v2
	v_sub_u32_e32 v5, 0, v3
	v_ashrrev_i32_e32 v4, 31, v3
	v_max_i32_e32 v3, v3, v5
	v_mul_hi_u32 v5, v3, v25
	v_mul_lo_u32 v5, v5, s19
	v_sub_u32_e32 v3, v3, v5
	v_subrev_u32_e32 v5, s19, v3
	v_cmp_le_u32_e32 vcc, s19, v3
	v_cmp_lt_i32_e64 s[0:1], s18, v2
	s_nop 0
	v_cndmask_b32_e32 v3, v3, v5, vcc
	v_subrev_u32_e32 v5, s19, v3
	v_cmp_le_u32_e32 vcc, s19, v3
	s_nop 1
	v_cndmask_b32_e32 v3, v3, v5, vcc
	v_xor_b32_e32 v3, v3, v4
	v_sub_u32_e32 v3, v3, v4
	v_cmp_eq_u32_e32 vcc, 0, v3
	s_or_b64 s[0:1], vcc, s[0:1]
	s_and_saveexec_b64 s[8:9], s[0:1]
	s_cbranch_execz .LBB328_207
; %bb.209:                              ;   in Loop: Header=BB328_208 Depth=1
	global_load_dword v32, v[18:19], off
	ds_read2_b64 v[6:9], v26 offset1:1
	ds_read2_b64 v[2:5], v26 offset0:2 offset1:3
                                        ; implicit-def: $vgpr40
	s_waitcnt lgkmcnt(1)
	v_and_b32_e32 v27, 0x7f800000, v6
	v_cmp_ne_u32_e32 vcc, s22, v27
	s_and_saveexec_b64 s[0:1], vcc
	s_xor_b64 s[0:1], exec, s[0:1]
; %bb.210:                              ;   in Loop: Header=BB328_208 Depth=1
	v_bfe_u32 v27, v6, 16, 1
	v_add3_u32 v40, v6, v27, s28
; %bb.211:                              ;   in Loop: Header=BB328_208 Depth=1
	s_andn2_saveexec_b64 s[0:1], s[0:1]
; %bb.212:                              ;   in Loop: Header=BB328_208 Depth=1
	v_or_b32_e32 v27, 0x10000, v6
	v_cmp_eq_u32_sdwa vcc, v6, v15 src0_sel:WORD_0 src1_sel:DWORD
	s_nop 1
	v_cndmask_b32_e32 v40, v27, v6, vcc
; %bb.213:                              ;   in Loop: Header=BB328_208 Depth=1
	s_or_b64 exec, exec, s[0:1]
	v_and_b32_e32 v6, 0x7f800000, v7
	v_cmp_ne_u32_e32 vcc, s22, v6
                                        ; implicit-def: $vgpr41
	s_and_saveexec_b64 s[0:1], vcc
	s_xor_b64 s[0:1], exec, s[0:1]
; %bb.214:                              ;   in Loop: Header=BB328_208 Depth=1
	v_bfe_u32 v6, v7, 16, 1
	v_add3_u32 v41, v7, v6, s28
; %bb.215:                              ;   in Loop: Header=BB328_208 Depth=1
	s_andn2_saveexec_b64 s[0:1], s[0:1]
; %bb.216:                              ;   in Loop: Header=BB328_208 Depth=1
	v_or_b32_e32 v6, 0x10000, v7
	v_cmp_eq_u32_sdwa vcc, v7, v15 src0_sel:WORD_0 src1_sel:DWORD
	s_nop 1
	v_cndmask_b32_e32 v41, v6, v7, vcc
; %bb.217:                              ;   in Loop: Header=BB328_208 Depth=1
	s_or_b64 exec, exec, s[0:1]
	v_and_b32_e32 v6, 0x7f800000, v8
	v_cmp_ne_u32_e32 vcc, s22, v6
                                        ; implicit-def: $vgpr42
	s_and_saveexec_b64 s[0:1], vcc
	s_xor_b64 s[0:1], exec, s[0:1]
; %bb.218:                              ;   in Loop: Header=BB328_208 Depth=1
	v_bfe_u32 v6, v8, 16, 1
	v_add3_u32 v42, v8, v6, s28
; %bb.219:                              ;   in Loop: Header=BB328_208 Depth=1
	s_andn2_saveexec_b64 s[0:1], s[0:1]
; %bb.220:                              ;   in Loop: Header=BB328_208 Depth=1
	v_or_b32_e32 v6, 0x10000, v8
	v_cmp_eq_u32_sdwa vcc, v8, v15 src0_sel:WORD_0 src1_sel:DWORD
	s_nop 1
	v_cndmask_b32_e32 v42, v6, v8, vcc
; %bb.221:                              ;   in Loop: Header=BB328_208 Depth=1
	s_or_b64 exec, exec, s[0:1]
	v_and_b32_e32 v6, 0x7f800000, v9
	v_cmp_ne_u32_e32 vcc, s22, v6
                                        ; implicit-def: $vgpr43
	s_and_saveexec_b64 s[0:1], vcc
	s_xor_b64 s[0:1], exec, s[0:1]
; %bb.222:                              ;   in Loop: Header=BB328_208 Depth=1
	v_bfe_u32 v6, v9, 16, 1
	v_add3_u32 v43, v9, v6, s28
                                        ; implicit-def: $vgpr6_vgpr7_vgpr8_vgpr9
; %bb.223:                              ;   in Loop: Header=BB328_208 Depth=1
	s_andn2_saveexec_b64 s[0:1], s[0:1]
; %bb.224:                              ;   in Loop: Header=BB328_208 Depth=1
	v_or_b32_e32 v6, 0x10000, v9
	v_cmp_eq_u32_sdwa vcc, v9, v15 src0_sel:WORD_0 src1_sel:DWORD
	s_nop 1
	v_cndmask_b32_e32 v43, v6, v9, vcc
; %bb.225:                              ;   in Loop: Header=BB328_208 Depth=1
	s_or_b64 exec, exec, s[0:1]
	s_waitcnt lgkmcnt(0)
	v_and_b32_e32 v6, 0x7f800000, v2
	v_cmp_ne_u32_e32 vcc, s22, v6
                                        ; implicit-def: $vgpr27
	s_and_saveexec_b64 s[0:1], vcc
	s_xor_b64 s[0:1], exec, s[0:1]
; %bb.226:                              ;   in Loop: Header=BB328_208 Depth=1
	v_bfe_u32 v6, v2, 16, 1
	v_add3_u32 v27, v2, v6, s28
; %bb.227:                              ;   in Loop: Header=BB328_208 Depth=1
	s_andn2_saveexec_b64 s[0:1], s[0:1]
; %bb.228:                              ;   in Loop: Header=BB328_208 Depth=1
	v_or_b32_e32 v6, 0x10000, v2
	v_cmp_eq_u32_sdwa vcc, v2, v15 src0_sel:WORD_0 src1_sel:DWORD
	s_nop 1
	v_cndmask_b32_e32 v27, v6, v2, vcc
; %bb.229:                              ;   in Loop: Header=BB328_208 Depth=1
	s_or_b64 exec, exec, s[0:1]
	v_and_b32_e32 v2, 0x7f800000, v3
	v_cmp_ne_u32_e32 vcc, s22, v2
                                        ; implicit-def: $vgpr28
	s_and_saveexec_b64 s[0:1], vcc
	s_xor_b64 s[0:1], exec, s[0:1]
; %bb.230:                              ;   in Loop: Header=BB328_208 Depth=1
	v_bfe_u32 v2, v3, 16, 1
	v_add3_u32 v28, v3, v2, s28
; %bb.231:                              ;   in Loop: Header=BB328_208 Depth=1
	s_andn2_saveexec_b64 s[0:1], s[0:1]
; %bb.232:                              ;   in Loop: Header=BB328_208 Depth=1
	v_or_b32_e32 v2, 0x10000, v3
	v_cmp_eq_u32_sdwa vcc, v3, v15 src0_sel:WORD_0 src1_sel:DWORD
	s_nop 1
	v_cndmask_b32_e32 v28, v2, v3, vcc
; %bb.233:                              ;   in Loop: Header=BB328_208 Depth=1
	s_or_b64 exec, exec, s[0:1]
	v_and_b32_e32 v2, 0x7f800000, v4
	v_cmp_ne_u32_e32 vcc, s22, v2
                                        ; implicit-def: $vgpr29
	s_and_saveexec_b64 s[0:1], vcc
	s_xor_b64 s[0:1], exec, s[0:1]
; %bb.234:                              ;   in Loop: Header=BB328_208 Depth=1
	v_bfe_u32 v2, v4, 16, 1
	v_add3_u32 v29, v4, v2, s28
; %bb.235:                              ;   in Loop: Header=BB328_208 Depth=1
	s_andn2_saveexec_b64 s[0:1], s[0:1]
; %bb.236:                              ;   in Loop: Header=BB328_208 Depth=1
	v_or_b32_e32 v2, 0x10000, v4
	v_cmp_eq_u32_sdwa vcc, v4, v15 src0_sel:WORD_0 src1_sel:DWORD
	s_nop 1
	v_cndmask_b32_e32 v29, v2, v4, vcc
; %bb.237:                              ;   in Loop: Header=BB328_208 Depth=1
	s_or_b64 exec, exec, s[0:1]
	v_and_b32_e32 v2, 0x7f800000, v5
	v_cmp_ne_u32_e32 vcc, s22, v2
                                        ; implicit-def: $vgpr31
	s_and_saveexec_b64 s[0:1], vcc
	s_xor_b64 s[0:1], exec, s[0:1]
; %bb.238:                              ;   in Loop: Header=BB328_208 Depth=1
	v_bfe_u32 v2, v5, 16, 1
	v_add3_u32 v31, v5, v2, s28
                                        ; implicit-def: $vgpr2_vgpr3_vgpr4_vgpr5
; %bb.239:                              ;   in Loop: Header=BB328_208 Depth=1
	s_andn2_saveexec_b64 s[0:1], s[0:1]
; %bb.240:                              ;   in Loop: Header=BB328_208 Depth=1
	v_or_b32_e32 v2, 0x10000, v5
	v_cmp_eq_u32_sdwa vcc, v5, v15 src0_sel:WORD_0 src1_sel:DWORD
	s_nop 1
	v_cndmask_b32_e32 v31, v2, v5, vcc
; %bb.241:                              ;   in Loop: Header=BB328_208 Depth=1
	s_or_b64 exec, exec, s[0:1]
	s_waitcnt vmcnt(0)
	v_mad_i64_i32 v[2:3], s[0:1], v32, s17, v[16:17]
	global_load_dwordx2 v[4:5], v[2:3], off
	s_load_dword s29, s[14:15], 0x0
	s_waitcnt vmcnt(0)
	v_and_b32_e32 v6, 0xff, v4
	v_cvt_f32_fp8_sdwa v6, v6 src0_sel:BYTE_0
	s_waitcnt lgkmcnt(0)
	v_mul_f32_e32 v7, s29, v6
	v_and_b32_e32 v6, 0x7f800000, v7
	v_cmp_ne_u32_e32 vcc, s22, v6
                                        ; implicit-def: $vgpr6
	s_and_saveexec_b64 s[0:1], vcc
	s_xor_b64 s[0:1], exec, s[0:1]
; %bb.242:                              ;   in Loop: Header=BB328_208 Depth=1
	v_bfe_u32 v6, v7, 16, 1
	v_add3_u32 v6, v7, v6, s28
                                        ; implicit-def: $vgpr7
; %bb.243:                              ;   in Loop: Header=BB328_208 Depth=1
	s_andn2_saveexec_b64 s[0:1], s[0:1]
; %bb.244:                              ;   in Loop: Header=BB328_208 Depth=1
	v_or_b32_e32 v6, 0x10000, v7
	v_cmp_eq_u32_sdwa vcc, v7, v15 src0_sel:WORD_0 src1_sel:DWORD
	s_nop 1
	v_cndmask_b32_e32 v6, v6, v7, vcc
; %bb.245:                              ;   in Loop: Header=BB328_208 Depth=1
	s_or_b64 exec, exec, s[0:1]
	v_bfe_u32 v7, v4, 8, 8
	v_cvt_f32_fp8_sdwa v7, v7 src0_sel:BYTE_0
	s_nop 0
	v_mul_f32_e32 v8, s29, v7
	v_and_b32_e32 v7, 0x7f800000, v8
	v_cmp_ne_u32_e32 vcc, s22, v7
                                        ; implicit-def: $vgpr7
	s_and_saveexec_b64 s[0:1], vcc
	s_xor_b64 s[0:1], exec, s[0:1]
; %bb.246:                              ;   in Loop: Header=BB328_208 Depth=1
	v_bfe_u32 v7, v8, 16, 1
	v_add3_u32 v7, v8, v7, s28
                                        ; implicit-def: $vgpr8
; %bb.247:                              ;   in Loop: Header=BB328_208 Depth=1
	s_andn2_saveexec_b64 s[0:1], s[0:1]
; %bb.248:                              ;   in Loop: Header=BB328_208 Depth=1
	v_or_b32_e32 v7, 0x10000, v8
	v_cmp_eq_u32_sdwa vcc, v8, v15 src0_sel:WORD_0 src1_sel:DWORD
	s_nop 1
	v_cndmask_b32_e32 v7, v7, v8, vcc
; %bb.249:                              ;   in Loop: Header=BB328_208 Depth=1
	s_or_b64 exec, exec, s[0:1]
	v_bfe_u32 v8, v4, 16, 8
	v_cvt_f32_fp8_sdwa v8, v8 src0_sel:BYTE_0
	s_nop 0
	v_mul_f32_e32 v9, s29, v8
	v_and_b32_e32 v8, 0x7f800000, v9
	v_cmp_ne_u32_e32 vcc, s22, v8
                                        ; implicit-def: $vgpr8
	s_and_saveexec_b64 s[0:1], vcc
	s_xor_b64 s[0:1], exec, s[0:1]
; %bb.250:                              ;   in Loop: Header=BB328_208 Depth=1
	v_bfe_u32 v8, v9, 16, 1
	v_add3_u32 v8, v9, v8, s28
                                        ; implicit-def: $vgpr9
; %bb.251:                              ;   in Loop: Header=BB328_208 Depth=1
	s_andn2_saveexec_b64 s[0:1], s[0:1]
; %bb.252:                              ;   in Loop: Header=BB328_208 Depth=1
	v_or_b32_e32 v8, 0x10000, v9
	v_cmp_eq_u32_sdwa vcc, v9, v15 src0_sel:WORD_0 src1_sel:DWORD
	s_nop 1
	v_cndmask_b32_e32 v8, v8, v9, vcc
; %bb.253:                              ;   in Loop: Header=BB328_208 Depth=1
	s_or_b64 exec, exec, s[0:1]
	v_lshrrev_b32_e32 v4, 24, v4
	v_cvt_f32_fp8_sdwa v4, v4 src0_sel:BYTE_0
	s_nop 0
	v_mul_f32_e32 v9, s29, v4
	v_and_b32_e32 v4, 0x7f800000, v9
	v_cmp_ne_u32_e32 vcc, s22, v4
                                        ; implicit-def: $vgpr4
	s_and_saveexec_b64 s[0:1], vcc
	s_xor_b64 s[0:1], exec, s[0:1]
; %bb.254:                              ;   in Loop: Header=BB328_208 Depth=1
	v_bfe_u32 v4, v9, 16, 1
	v_add3_u32 v4, v9, v4, s28
                                        ; implicit-def: $vgpr9
; %bb.255:                              ;   in Loop: Header=BB328_208 Depth=1
	s_andn2_saveexec_b64 s[0:1], s[0:1]
; %bb.256:                              ;   in Loop: Header=BB328_208 Depth=1
	v_or_b32_e32 v4, 0x10000, v9
	v_cmp_eq_u32_sdwa vcc, v9, v15 src0_sel:WORD_0 src1_sel:DWORD
	s_nop 1
	v_cndmask_b32_e32 v4, v4, v9, vcc
; %bb.257:                              ;   in Loop: Header=BB328_208 Depth=1
	s_or_b64 exec, exec, s[0:1]
	v_and_b32_e32 v9, 0xff, v5
	v_cvt_f32_fp8_sdwa v9, v9 src0_sel:BYTE_0
	s_nop 0
	v_mul_f32_e32 v32, s29, v9
	v_and_b32_e32 v9, 0x7f800000, v32
	v_cmp_ne_u32_e32 vcc, s22, v9
                                        ; implicit-def: $vgpr9
	s_and_saveexec_b64 s[0:1], vcc
	s_xor_b64 s[0:1], exec, s[0:1]
; %bb.258:                              ;   in Loop: Header=BB328_208 Depth=1
	v_bfe_u32 v9, v32, 16, 1
	v_add3_u32 v9, v32, v9, s28
                                        ; implicit-def: $vgpr32
; %bb.259:                              ;   in Loop: Header=BB328_208 Depth=1
	s_andn2_saveexec_b64 s[0:1], s[0:1]
; %bb.260:                              ;   in Loop: Header=BB328_208 Depth=1
	v_or_b32_e32 v9, 0x10000, v32
	v_cmp_eq_u32_sdwa vcc, v32, v15 src0_sel:WORD_0 src1_sel:DWORD
	s_nop 1
	v_cndmask_b32_e32 v9, v9, v32, vcc
; %bb.261:                              ;   in Loop: Header=BB328_208 Depth=1
	s_or_b64 exec, exec, s[0:1]
	v_bfe_u32 v32, v5, 8, 8
	v_cvt_f32_fp8_sdwa v32, v32 src0_sel:BYTE_0
	s_nop 0
	v_mul_f32_e32 v32, s29, v32
	v_and_b32_e32 v33, 0x7f800000, v32
	v_cmp_ne_u32_e32 vcc, s22, v33
                                        ; implicit-def: $vgpr33
	s_and_saveexec_b64 s[0:1], vcc
	s_xor_b64 s[0:1], exec, s[0:1]
; %bb.262:                              ;   in Loop: Header=BB328_208 Depth=1
	v_bfe_u32 v33, v32, 16, 1
	v_add3_u32 v33, v32, v33, s28
                                        ; implicit-def: $vgpr32
; %bb.263:                              ;   in Loop: Header=BB328_208 Depth=1
	s_andn2_saveexec_b64 s[0:1], s[0:1]
; %bb.264:                              ;   in Loop: Header=BB328_208 Depth=1
	v_or_b32_e32 v33, 0x10000, v32
	v_cmp_eq_u32_sdwa vcc, v32, v15 src0_sel:WORD_0 src1_sel:DWORD
	s_nop 1
	v_cndmask_b32_e32 v33, v33, v32, vcc
; %bb.265:                              ;   in Loop: Header=BB328_208 Depth=1
	s_or_b64 exec, exec, s[0:1]
	v_bfe_u32 v32, v5, 16, 8
	v_cvt_f32_fp8_sdwa v32, v32 src0_sel:BYTE_0
	s_nop 0
	v_mul_f32_e32 v32, s29, v32
	v_and_b32_e32 v34, 0x7f800000, v32
	v_cmp_ne_u32_e32 vcc, s22, v34
                                        ; implicit-def: $vgpr34
	s_and_saveexec_b64 s[0:1], vcc
	s_xor_b64 s[0:1], exec, s[0:1]
; %bb.266:                              ;   in Loop: Header=BB328_208 Depth=1
	v_bfe_u32 v34, v32, 16, 1
	v_add3_u32 v34, v32, v34, s28
                                        ; implicit-def: $vgpr32
; %bb.267:                              ;   in Loop: Header=BB328_208 Depth=1
	s_andn2_saveexec_b64 s[0:1], s[0:1]
; %bb.268:                              ;   in Loop: Header=BB328_208 Depth=1
	v_or_b32_e32 v34, 0x10000, v32
	v_cmp_eq_u32_sdwa vcc, v32, v15 src0_sel:WORD_0 src1_sel:DWORD
	s_nop 1
	v_cndmask_b32_e32 v34, v34, v32, vcc
; %bb.269:                              ;   in Loop: Header=BB328_208 Depth=1
	s_or_b64 exec, exec, s[0:1]
	v_lshrrev_b32_e32 v5, 24, v5
	v_cvt_f32_fp8_sdwa v5, v5 src0_sel:BYTE_0
                                        ; implicit-def: $vgpr35
	s_nop 0
	v_mul_f32_e32 v5, s29, v5
	v_and_b32_e32 v32, 0x7f800000, v5
	v_cmp_ne_u32_e32 vcc, s22, v32
	s_and_saveexec_b64 s[0:1], vcc
	s_xor_b64 s[0:1], exec, s[0:1]
; %bb.270:                              ;   in Loop: Header=BB328_208 Depth=1
	v_bfe_u32 v32, v5, 16, 1
	v_add3_u32 v35, v5, v32, s28
                                        ; implicit-def: $vgpr5
; %bb.271:                              ;   in Loop: Header=BB328_208 Depth=1
	s_andn2_saveexec_b64 s[0:1], s[0:1]
; %bb.272:                              ;   in Loop: Header=BB328_208 Depth=1
	v_or_b32_e32 v32, 0x10000, v5
	v_cmp_eq_u32_sdwa vcc, v5, v15 src0_sel:WORD_0 src1_sel:DWORD
	s_nop 1
	v_cndmask_b32_e32 v35, v32, v5, vcc
; %bb.273:                              ;   in Loop: Header=BB328_208 Depth=1
	s_or_b64 exec, exec, s[0:1]
	v_add_u32_e32 v32, v24, v30
	v_cmp_eq_u32_e32 vcc, s21, v1
	v_lshrrev_b32_e32 v46, 16, v33
	v_lshrrev_b32_e32 v45, 16, v9
	;; [unrolled: 1-line block ×8, first 2 shown]
	v_add_u32_e32 v39, 1, v32
	v_add_u32_e32 v38, 2, v32
	;; [unrolled: 1-line block ×7, first 2 shown]
	s_and_saveexec_b64 s[12:13], vcc
	s_cbranch_execz .LBB328_275
; %bb.274:                              ;   in Loop: Header=BB328_208 Depth=1
	v_cmp_gt_i32_e64 s[0:1], s33, v32
	s_nop 1
	v_cndmask_b32_e64 v6, 0, v6, s[0:1]
	v_cmp_gt_i32_e64 s[0:1], s33, v39
	s_nop 1
	v_cndmask_b32_e64 v7, 0, v7, s[0:1]
	;; [unrolled: 3-line block ×8, first 2 shown]
.LBB328_275:                            ;   in Loop: Header=BB328_208 Depth=1
	s_or_b64 exec, exec, s[12:13]
	v_and_b32_e32 v40, 0xffff0000, v40
	v_lshlrev_b32_e32 v6, 16, v6
	v_mul_f32_e32 v44, v40, v6
	v_and_b32_e32 v6, 0x7f800000, v44
	v_cmp_ne_u32_e64 s[0:1], s22, v6
                                        ; implicit-def: $vgpr6
	s_and_saveexec_b64 s[12:13], s[0:1]
	s_xor_b64 s[0:1], exec, s[12:13]
; %bb.276:                              ;   in Loop: Header=BB328_208 Depth=1
	v_bfe_u32 v6, v44, 16, 1
	v_add3_u32 v6, v44, v6, s28
                                        ; implicit-def: $vgpr44
; %bb.277:                              ;   in Loop: Header=BB328_208 Depth=1
	s_andn2_saveexec_b64 s[12:13], s[0:1]
; %bb.278:                              ;   in Loop: Header=BB328_208 Depth=1
	v_or_b32_e32 v6, 0x10000, v44
	v_cmp_eq_u32_sdwa s[0:1], v44, v15 src0_sel:WORD_0 src1_sel:DWORD
	s_nop 1
	v_cndmask_b32_e64 v6, v6, v44, s[0:1]
; %bb.279:                              ;   in Loop: Header=BB328_208 Depth=1
	s_or_b64 exec, exec, s[12:13]
	v_and_b32_e32 v41, 0xffff0000, v41
	v_lshlrev_b32_e32 v7, 16, v7
	v_mul_f32_e32 v44, v41, v7
	v_and_b32_e32 v7, 0x7f800000, v44
	v_cmp_ne_u32_e64 s[0:1], s22, v7
                                        ; implicit-def: $vgpr7
	s_and_saveexec_b64 s[12:13], s[0:1]
	s_xor_b64 s[0:1], exec, s[12:13]
; %bb.280:                              ;   in Loop: Header=BB328_208 Depth=1
	v_bfe_u32 v7, v44, 16, 1
	v_add3_u32 v7, v44, v7, s28
                                        ; implicit-def: $vgpr44
; %bb.281:                              ;   in Loop: Header=BB328_208 Depth=1
	s_andn2_saveexec_b64 s[12:13], s[0:1]
; %bb.282:                              ;   in Loop: Header=BB328_208 Depth=1
	v_or_b32_e32 v7, 0x10000, v44
	v_cmp_eq_u32_sdwa s[0:1], v44, v15 src0_sel:WORD_0 src1_sel:DWORD
	s_nop 1
	v_cndmask_b32_e64 v7, v7, v44, s[0:1]
; %bb.283:                              ;   in Loop: Header=BB328_208 Depth=1
	s_or_b64 exec, exec, s[12:13]
	v_and_b32_e32 v42, 0xffff0000, v42
	v_lshlrev_b32_e32 v8, 16, v8
	v_mul_f32_e32 v44, v42, v8
	v_and_b32_e32 v8, 0x7f800000, v44
	v_cmp_ne_u32_e64 s[0:1], s22, v8
                                        ; implicit-def: $vgpr8
	s_and_saveexec_b64 s[12:13], s[0:1]
	s_xor_b64 s[0:1], exec, s[12:13]
; %bb.284:                              ;   in Loop: Header=BB328_208 Depth=1
	v_bfe_u32 v8, v44, 16, 1
	v_add3_u32 v8, v44, v8, s28
                                        ; implicit-def: $vgpr44
; %bb.285:                              ;   in Loop: Header=BB328_208 Depth=1
	s_andn2_saveexec_b64 s[12:13], s[0:1]
; %bb.286:                              ;   in Loop: Header=BB328_208 Depth=1
	v_or_b32_e32 v8, 0x10000, v44
	v_cmp_eq_u32_sdwa s[0:1], v44, v15 src0_sel:WORD_0 src1_sel:DWORD
	s_nop 1
	v_cndmask_b32_e64 v8, v8, v44, s[0:1]
; %bb.287:                              ;   in Loop: Header=BB328_208 Depth=1
	s_or_b64 exec, exec, s[12:13]
	v_and_b32_e32 v43, 0xffff0000, v43
	v_lshlrev_b32_e32 v9, 16, v9
	v_mul_f32_e32 v44, v43, v9
	v_and_b32_e32 v9, 0x7f800000, v44
	v_cmp_ne_u32_e64 s[0:1], s22, v9
                                        ; implicit-def: $vgpr9
	s_and_saveexec_b64 s[12:13], s[0:1]
	s_xor_b64 s[0:1], exec, s[12:13]
; %bb.288:                              ;   in Loop: Header=BB328_208 Depth=1
	v_bfe_u32 v9, v44, 16, 1
	v_add3_u32 v9, v44, v9, s28
                                        ; implicit-def: $vgpr44
; %bb.289:                              ;   in Loop: Header=BB328_208 Depth=1
	s_andn2_saveexec_b64 s[12:13], s[0:1]
; %bb.290:                              ;   in Loop: Header=BB328_208 Depth=1
	v_or_b32_e32 v9, 0x10000, v44
	v_cmp_eq_u32_sdwa s[0:1], v44, v15 src0_sel:WORD_0 src1_sel:DWORD
	s_nop 1
	v_cndmask_b32_e64 v9, v9, v44, s[0:1]
; %bb.291:                              ;   in Loop: Header=BB328_208 Depth=1
	s_or_b64 exec, exec, s[12:13]
	v_and_b32_e32 v44, 0xffff0000, v27
	v_lshlrev_b32_e32 v27, 16, v45
	v_mul_f32_e32 v45, v44, v27
	v_and_b32_e32 v27, 0x7f800000, v45
	v_cmp_ne_u32_e64 s[0:1], s22, v27
                                        ; implicit-def: $vgpr27
	s_and_saveexec_b64 s[12:13], s[0:1]
	s_xor_b64 s[0:1], exec, s[12:13]
; %bb.292:                              ;   in Loop: Header=BB328_208 Depth=1
	v_bfe_u32 v27, v45, 16, 1
	v_add3_u32 v27, v45, v27, s28
                                        ; implicit-def: $vgpr45
; %bb.293:                              ;   in Loop: Header=BB328_208 Depth=1
	s_andn2_saveexec_b64 s[12:13], s[0:1]
; %bb.294:                              ;   in Loop: Header=BB328_208 Depth=1
	v_or_b32_e32 v27, 0x10000, v45
	v_cmp_eq_u32_sdwa s[0:1], v45, v15 src0_sel:WORD_0 src1_sel:DWORD
	s_nop 1
	v_cndmask_b32_e64 v27, v27, v45, s[0:1]
; %bb.295:                              ;   in Loop: Header=BB328_208 Depth=1
	s_or_b64 exec, exec, s[12:13]
	v_and_b32_e32 v45, 0xffff0000, v28
	v_lshlrev_b32_e32 v28, 16, v46
	v_mul_f32_e32 v46, v45, v28
	v_and_b32_e32 v28, 0x7f800000, v46
	v_cmp_ne_u32_e64 s[0:1], s22, v28
                                        ; implicit-def: $vgpr28
	s_and_saveexec_b64 s[12:13], s[0:1]
	s_xor_b64 s[0:1], exec, s[12:13]
; %bb.296:                              ;   in Loop: Header=BB328_208 Depth=1
	v_bfe_u32 v28, v46, 16, 1
	v_add3_u32 v28, v46, v28, s28
                                        ; implicit-def: $vgpr46
; %bb.297:                              ;   in Loop: Header=BB328_208 Depth=1
	s_andn2_saveexec_b64 s[12:13], s[0:1]
; %bb.298:                              ;   in Loop: Header=BB328_208 Depth=1
	v_or_b32_e32 v28, 0x10000, v46
	v_cmp_eq_u32_sdwa s[0:1], v46, v15 src0_sel:WORD_0 src1_sel:DWORD
	s_nop 1
	v_cndmask_b32_e64 v28, v28, v46, s[0:1]
; %bb.299:                              ;   in Loop: Header=BB328_208 Depth=1
	s_or_b64 exec, exec, s[12:13]
	v_and_b32_e32 v46, 0xffff0000, v29
	v_lshlrev_b32_e32 v5, 16, v5
	v_mul_f32_e32 v5, v46, v5
	v_and_b32_e32 v29, 0x7f800000, v5
	v_cmp_ne_u32_e64 s[0:1], s22, v29
                                        ; implicit-def: $vgpr29
	s_and_saveexec_b64 s[12:13], s[0:1]
	s_xor_b64 s[0:1], exec, s[12:13]
; %bb.300:                              ;   in Loop: Header=BB328_208 Depth=1
	v_bfe_u32 v29, v5, 16, 1
	v_add3_u32 v29, v5, v29, s28
                                        ; implicit-def: $vgpr5
; %bb.301:                              ;   in Loop: Header=BB328_208 Depth=1
	s_andn2_saveexec_b64 s[12:13], s[0:1]
; %bb.302:                              ;   in Loop: Header=BB328_208 Depth=1
	v_or_b32_e32 v29, 0x10000, v5
	v_cmp_eq_u32_sdwa s[0:1], v5, v15 src0_sel:WORD_0 src1_sel:DWORD
	s_nop 1
	v_cndmask_b32_e64 v29, v29, v5, s[0:1]
; %bb.303:                              ;   in Loop: Header=BB328_208 Depth=1
	s_or_b64 exec, exec, s[12:13]
	v_and_b32_e32 v47, 0xffff0000, v31
	v_lshlrev_b32_e32 v4, 16, v4
	v_mul_f32_e32 v4, v47, v4
	v_and_b32_e32 v5, 0x7f800000, v4
	v_cmp_ne_u32_e64 s[0:1], s22, v5
                                        ; implicit-def: $vgpr31
	s_and_saveexec_b64 s[12:13], s[0:1]
	s_xor_b64 s[0:1], exec, s[12:13]
; %bb.304:                              ;   in Loop: Header=BB328_208 Depth=1
	v_bfe_u32 v5, v4, 16, 1
	v_add3_u32 v31, v4, v5, s28
                                        ; implicit-def: $vgpr4
; %bb.305:                              ;   in Loop: Header=BB328_208 Depth=1
	s_andn2_saveexec_b64 s[12:13], s[0:1]
; %bb.306:                              ;   in Loop: Header=BB328_208 Depth=1
	v_or_b32_e32 v5, 0x10000, v4
	v_cmp_eq_u32_sdwa s[0:1], v4, v15 src0_sel:WORD_0 src1_sel:DWORD
	s_nop 1
	v_cndmask_b32_e64 v31, v5, v4, s[0:1]
; %bb.307:                              ;   in Loop: Header=BB328_208 Depth=1
	s_or_b64 exec, exec, s[12:13]
	global_load_dwordx2 v[4:5], v[2:3], off offset:512
	s_waitcnt vmcnt(0)
	v_and_b32_e32 v48, 0xff, v4
	v_cvt_f32_fp8_sdwa v48, v48 src0_sel:BYTE_0
	s_nop 0
	v_mul_f32_e32 v49, s29, v48
	v_and_b32_e32 v48, 0x7f800000, v49
	v_cmp_ne_u32_e64 s[0:1], s22, v48
                                        ; implicit-def: $vgpr48
	s_and_saveexec_b64 s[12:13], s[0:1]
	s_xor_b64 s[0:1], exec, s[12:13]
; %bb.308:                              ;   in Loop: Header=BB328_208 Depth=1
	v_bfe_u32 v48, v49, 16, 1
	v_add3_u32 v48, v49, v48, s28
                                        ; implicit-def: $vgpr49
; %bb.309:                              ;   in Loop: Header=BB328_208 Depth=1
	s_andn2_saveexec_b64 s[12:13], s[0:1]
; %bb.310:                              ;   in Loop: Header=BB328_208 Depth=1
	v_or_b32_e32 v48, 0x10000, v49
	v_cmp_eq_u32_sdwa s[0:1], v49, v15 src0_sel:WORD_0 src1_sel:DWORD
	s_nop 1
	v_cndmask_b32_e64 v48, v48, v49, s[0:1]
; %bb.311:                              ;   in Loop: Header=BB328_208 Depth=1
	s_or_b64 exec, exec, s[12:13]
	v_bfe_u32 v49, v4, 8, 8
	v_cvt_f32_fp8_sdwa v49, v49 src0_sel:BYTE_0
	s_nop 0
	v_mul_f32_e32 v50, s29, v49
	v_and_b32_e32 v49, 0x7f800000, v50
	v_cmp_ne_u32_e64 s[0:1], s22, v49
                                        ; implicit-def: $vgpr49
	s_and_saveexec_b64 s[12:13], s[0:1]
	s_xor_b64 s[0:1], exec, s[12:13]
; %bb.312:                              ;   in Loop: Header=BB328_208 Depth=1
	v_bfe_u32 v49, v50, 16, 1
	v_add3_u32 v49, v50, v49, s28
                                        ; implicit-def: $vgpr50
; %bb.313:                              ;   in Loop: Header=BB328_208 Depth=1
	s_andn2_saveexec_b64 s[12:13], s[0:1]
; %bb.314:                              ;   in Loop: Header=BB328_208 Depth=1
	v_or_b32_e32 v49, 0x10000, v50
	v_cmp_eq_u32_sdwa s[0:1], v50, v15 src0_sel:WORD_0 src1_sel:DWORD
	s_nop 1
	v_cndmask_b32_e64 v49, v49, v50, s[0:1]
; %bb.315:                              ;   in Loop: Header=BB328_208 Depth=1
	s_or_b64 exec, exec, s[12:13]
	v_bfe_u32 v50, v4, 16, 8
	v_cvt_f32_fp8_sdwa v50, v50 src0_sel:BYTE_0
	s_nop 0
	v_mul_f32_e32 v51, s29, v50
	v_and_b32_e32 v50, 0x7f800000, v51
	v_cmp_ne_u32_e64 s[0:1], s22, v50
                                        ; implicit-def: $vgpr50
	s_and_saveexec_b64 s[12:13], s[0:1]
	s_xor_b64 s[0:1], exec, s[12:13]
; %bb.316:                              ;   in Loop: Header=BB328_208 Depth=1
	v_bfe_u32 v50, v51, 16, 1
	v_add3_u32 v50, v51, v50, s28
                                        ; implicit-def: $vgpr51
; %bb.317:                              ;   in Loop: Header=BB328_208 Depth=1
	s_andn2_saveexec_b64 s[12:13], s[0:1]
; %bb.318:                              ;   in Loop: Header=BB328_208 Depth=1
	v_or_b32_e32 v50, 0x10000, v51
	v_cmp_eq_u32_sdwa s[0:1], v51, v15 src0_sel:WORD_0 src1_sel:DWORD
	s_nop 1
	v_cndmask_b32_e64 v50, v50, v51, s[0:1]
; %bb.319:                              ;   in Loop: Header=BB328_208 Depth=1
	s_or_b64 exec, exec, s[12:13]
	v_lshrrev_b32_e32 v4, 24, v4
	v_cvt_f32_fp8_sdwa v4, v4 src0_sel:BYTE_0
	s_nop 0
	v_mul_f32_e32 v51, s29, v4
	v_and_b32_e32 v4, 0x7f800000, v51
	v_cmp_ne_u32_e64 s[0:1], s22, v4
                                        ; implicit-def: $vgpr4
	s_and_saveexec_b64 s[12:13], s[0:1]
	s_xor_b64 s[0:1], exec, s[12:13]
; %bb.320:                              ;   in Loop: Header=BB328_208 Depth=1
	v_bfe_u32 v4, v51, 16, 1
	v_add3_u32 v4, v51, v4, s28
                                        ; implicit-def: $vgpr51
; %bb.321:                              ;   in Loop: Header=BB328_208 Depth=1
	s_andn2_saveexec_b64 s[12:13], s[0:1]
; %bb.322:                              ;   in Loop: Header=BB328_208 Depth=1
	v_or_b32_e32 v4, 0x10000, v51
	v_cmp_eq_u32_sdwa s[0:1], v51, v15 src0_sel:WORD_0 src1_sel:DWORD
	s_nop 1
	v_cndmask_b32_e64 v4, v4, v51, s[0:1]
; %bb.323:                              ;   in Loop: Header=BB328_208 Depth=1
	s_or_b64 exec, exec, s[12:13]
	v_and_b32_e32 v51, 0xff, v5
	v_cvt_f32_fp8_sdwa v51, v51 src0_sel:BYTE_0
	s_nop 0
	v_mul_f32_e32 v52, s29, v51
	v_and_b32_e32 v51, 0x7f800000, v52
	v_cmp_ne_u32_e64 s[0:1], s22, v51
                                        ; implicit-def: $vgpr51
	s_and_saveexec_b64 s[12:13], s[0:1]
	s_xor_b64 s[0:1], exec, s[12:13]
; %bb.324:                              ;   in Loop: Header=BB328_208 Depth=1
	v_bfe_u32 v51, v52, 16, 1
	v_add3_u32 v51, v52, v51, s28
                                        ; implicit-def: $vgpr52
; %bb.325:                              ;   in Loop: Header=BB328_208 Depth=1
	s_andn2_saveexec_b64 s[12:13], s[0:1]
; %bb.326:                              ;   in Loop: Header=BB328_208 Depth=1
	v_or_b32_e32 v51, 0x10000, v52
	v_cmp_eq_u32_sdwa s[0:1], v52, v15 src0_sel:WORD_0 src1_sel:DWORD
	s_nop 1
	v_cndmask_b32_e64 v51, v51, v52, s[0:1]
; %bb.327:                              ;   in Loop: Header=BB328_208 Depth=1
	s_or_b64 exec, exec, s[12:13]
	v_bfe_u32 v52, v5, 8, 8
	v_cvt_f32_fp8_sdwa v52, v52 src0_sel:BYTE_0
	s_nop 0
	v_mul_f32_e32 v53, s29, v52
	v_and_b32_e32 v52, 0x7f800000, v53
	v_cmp_ne_u32_e64 s[0:1], s22, v52
                                        ; implicit-def: $vgpr52
	s_and_saveexec_b64 s[12:13], s[0:1]
	s_xor_b64 s[0:1], exec, s[12:13]
; %bb.328:                              ;   in Loop: Header=BB328_208 Depth=1
	v_bfe_u32 v52, v53, 16, 1
	v_add3_u32 v52, v53, v52, s28
                                        ; implicit-def: $vgpr53
; %bb.329:                              ;   in Loop: Header=BB328_208 Depth=1
	s_andn2_saveexec_b64 s[12:13], s[0:1]
; %bb.330:                              ;   in Loop: Header=BB328_208 Depth=1
	v_or_b32_e32 v52, 0x10000, v53
	v_cmp_eq_u32_sdwa s[0:1], v53, v15 src0_sel:WORD_0 src1_sel:DWORD
	s_nop 1
	v_cndmask_b32_e64 v52, v52, v53, s[0:1]
; %bb.331:                              ;   in Loop: Header=BB328_208 Depth=1
	s_or_b64 exec, exec, s[12:13]
	v_bfe_u32 v53, v5, 16, 8
	v_cvt_f32_fp8_sdwa v53, v53 src0_sel:BYTE_0
	s_nop 0
	v_mul_f32_e32 v53, s29, v53
	v_and_b32_e32 v54, 0x7f800000, v53
	v_cmp_ne_u32_e64 s[0:1], s22, v54
                                        ; implicit-def: $vgpr54
	s_and_saveexec_b64 s[12:13], s[0:1]
	s_xor_b64 s[0:1], exec, s[12:13]
; %bb.332:                              ;   in Loop: Header=BB328_208 Depth=1
	v_bfe_u32 v54, v53, 16, 1
	v_add3_u32 v54, v53, v54, s28
                                        ; implicit-def: $vgpr53
; %bb.333:                              ;   in Loop: Header=BB328_208 Depth=1
	s_andn2_saveexec_b64 s[12:13], s[0:1]
; %bb.334:                              ;   in Loop: Header=BB328_208 Depth=1
	v_or_b32_e32 v54, 0x10000, v53
	v_cmp_eq_u32_sdwa s[0:1], v53, v15 src0_sel:WORD_0 src1_sel:DWORD
	s_nop 1
	v_cndmask_b32_e64 v54, v54, v53, s[0:1]
; %bb.335:                              ;   in Loop: Header=BB328_208 Depth=1
	s_or_b64 exec, exec, s[12:13]
	v_lshrrev_b32_e32 v5, 24, v5
	v_cvt_f32_fp8_sdwa v5, v5 src0_sel:BYTE_0
                                        ; implicit-def: $vgpr55
	s_nop 0
	v_mul_f32_e32 v5, s29, v5
	v_and_b32_e32 v53, 0x7f800000, v5
	v_cmp_ne_u32_e64 s[0:1], s22, v53
	s_and_saveexec_b64 s[12:13], s[0:1]
	s_xor_b64 s[0:1], exec, s[12:13]
; %bb.336:                              ;   in Loop: Header=BB328_208 Depth=1
	v_bfe_u32 v53, v5, 16, 1
	v_add3_u32 v55, v5, v53, s28
                                        ; implicit-def: $vgpr5
; %bb.337:                              ;   in Loop: Header=BB328_208 Depth=1
	s_andn2_saveexec_b64 s[12:13], s[0:1]
; %bb.338:                              ;   in Loop: Header=BB328_208 Depth=1
	v_or_b32_e32 v53, 0x10000, v5
	v_cmp_eq_u32_sdwa s[0:1], v5, v15 src0_sel:WORD_0 src1_sel:DWORD
	s_nop 1
	v_cndmask_b32_e64 v55, v53, v5, s[0:1]
; %bb.339:                              ;   in Loop: Header=BB328_208 Depth=1
	s_or_b64 exec, exec, s[12:13]
	v_lshrrev_b32_e32 v53, 16, v52
	v_lshrrev_b32_e32 v52, 16, v51
	v_lshrrev_b32_e32 v51, 16, v4
	v_lshrrev_b32_e32 v50, 16, v50
	v_lshrrev_b32_e32 v49, 16, v49
	v_lshrrev_b32_e32 v48, 16, v48
	v_lshrrev_b32_e32 v5, 16, v54
	v_lshrrev_b32_e32 v4, 16, v55
	s_and_saveexec_b64 s[12:13], vcc
	s_cbranch_execz .LBB328_341
; %bb.340:                              ;   in Loop: Header=BB328_208 Depth=1
	v_cmp_gt_i32_e64 s[0:1], s33, v32
	s_nop 1
	v_cndmask_b32_e64 v48, 0, v48, s[0:1]
	v_cmp_gt_i32_e64 s[0:1], s33, v39
	s_nop 1
	v_cndmask_b32_e64 v49, 0, v49, s[0:1]
	;; [unrolled: 3-line block ×8, first 2 shown]
.LBB328_341:                            ;   in Loop: Header=BB328_208 Depth=1
	s_or_b64 exec, exec, s[12:13]
	v_lshlrev_b32_e32 v48, 16, v48
	v_mul_f32_e32 v54, v40, v48
	v_and_b32_e32 v48, 0x7f800000, v54
	v_cmp_ne_u32_e64 s[0:1], s22, v48
                                        ; implicit-def: $vgpr48
	s_and_saveexec_b64 s[12:13], s[0:1]
	s_xor_b64 s[0:1], exec, s[12:13]
; %bb.342:                              ;   in Loop: Header=BB328_208 Depth=1
	v_bfe_u32 v48, v54, 16, 1
	v_add3_u32 v48, v54, v48, s28
                                        ; implicit-def: $vgpr54
; %bb.343:                              ;   in Loop: Header=BB328_208 Depth=1
	s_andn2_saveexec_b64 s[12:13], s[0:1]
; %bb.344:                              ;   in Loop: Header=BB328_208 Depth=1
	v_or_b32_e32 v48, 0x10000, v54
	v_cmp_eq_u32_sdwa s[0:1], v54, v15 src0_sel:WORD_0 src1_sel:DWORD
	s_nop 1
	v_cndmask_b32_e64 v48, v48, v54, s[0:1]
; %bb.345:                              ;   in Loop: Header=BB328_208 Depth=1
	s_or_b64 exec, exec, s[12:13]
	v_lshlrev_b32_e32 v49, 16, v49
	v_mul_f32_e32 v54, v41, v49
	v_and_b32_e32 v49, 0x7f800000, v54
	v_cmp_ne_u32_e64 s[0:1], s22, v49
                                        ; implicit-def: $vgpr49
	s_and_saveexec_b64 s[12:13], s[0:1]
	s_xor_b64 s[0:1], exec, s[12:13]
; %bb.346:                              ;   in Loop: Header=BB328_208 Depth=1
	v_bfe_u32 v49, v54, 16, 1
	v_add3_u32 v49, v54, v49, s28
                                        ; implicit-def: $vgpr54
; %bb.347:                              ;   in Loop: Header=BB328_208 Depth=1
	s_andn2_saveexec_b64 s[12:13], s[0:1]
; %bb.348:                              ;   in Loop: Header=BB328_208 Depth=1
	v_or_b32_e32 v49, 0x10000, v54
	v_cmp_eq_u32_sdwa s[0:1], v54, v15 src0_sel:WORD_0 src1_sel:DWORD
	s_nop 1
	v_cndmask_b32_e64 v49, v49, v54, s[0:1]
; %bb.349:                              ;   in Loop: Header=BB328_208 Depth=1
	s_or_b64 exec, exec, s[12:13]
	v_lshlrev_b32_e32 v50, 16, v50
	v_mul_f32_e32 v54, v42, v50
	v_and_b32_e32 v50, 0x7f800000, v54
	v_cmp_ne_u32_e64 s[0:1], s22, v50
                                        ; implicit-def: $vgpr50
	s_and_saveexec_b64 s[12:13], s[0:1]
	s_xor_b64 s[0:1], exec, s[12:13]
; %bb.350:                              ;   in Loop: Header=BB328_208 Depth=1
	v_bfe_u32 v50, v54, 16, 1
	v_add3_u32 v50, v54, v50, s28
                                        ; implicit-def: $vgpr54
; %bb.351:                              ;   in Loop: Header=BB328_208 Depth=1
	s_andn2_saveexec_b64 s[12:13], s[0:1]
; %bb.352:                              ;   in Loop: Header=BB328_208 Depth=1
	v_or_b32_e32 v50, 0x10000, v54
	v_cmp_eq_u32_sdwa s[0:1], v54, v15 src0_sel:WORD_0 src1_sel:DWORD
	s_nop 1
	v_cndmask_b32_e64 v50, v50, v54, s[0:1]
; %bb.353:                              ;   in Loop: Header=BB328_208 Depth=1
	s_or_b64 exec, exec, s[12:13]
	v_lshlrev_b32_e32 v51, 16, v51
	v_mul_f32_e32 v54, v43, v51
	v_and_b32_e32 v51, 0x7f800000, v54
	v_cmp_ne_u32_e64 s[0:1], s22, v51
                                        ; implicit-def: $vgpr51
	s_and_saveexec_b64 s[12:13], s[0:1]
	s_xor_b64 s[0:1], exec, s[12:13]
; %bb.354:                              ;   in Loop: Header=BB328_208 Depth=1
	v_bfe_u32 v51, v54, 16, 1
	v_add3_u32 v51, v54, v51, s28
                                        ; implicit-def: $vgpr54
; %bb.355:                              ;   in Loop: Header=BB328_208 Depth=1
	s_andn2_saveexec_b64 s[12:13], s[0:1]
; %bb.356:                              ;   in Loop: Header=BB328_208 Depth=1
	v_or_b32_e32 v51, 0x10000, v54
	v_cmp_eq_u32_sdwa s[0:1], v54, v15 src0_sel:WORD_0 src1_sel:DWORD
	s_nop 1
	v_cndmask_b32_e64 v51, v51, v54, s[0:1]
; %bb.357:                              ;   in Loop: Header=BB328_208 Depth=1
	s_or_b64 exec, exec, s[12:13]
	v_lshlrev_b32_e32 v52, 16, v52
	v_mul_f32_e32 v54, v44, v52
	v_and_b32_e32 v52, 0x7f800000, v54
	v_cmp_ne_u32_e64 s[0:1], s22, v52
                                        ; implicit-def: $vgpr52
	s_and_saveexec_b64 s[12:13], s[0:1]
	s_xor_b64 s[0:1], exec, s[12:13]
; %bb.358:                              ;   in Loop: Header=BB328_208 Depth=1
	v_bfe_u32 v52, v54, 16, 1
	v_add3_u32 v52, v54, v52, s28
                                        ; implicit-def: $vgpr54
; %bb.359:                              ;   in Loop: Header=BB328_208 Depth=1
	s_andn2_saveexec_b64 s[12:13], s[0:1]
; %bb.360:                              ;   in Loop: Header=BB328_208 Depth=1
	v_or_b32_e32 v52, 0x10000, v54
	v_cmp_eq_u32_sdwa s[0:1], v54, v15 src0_sel:WORD_0 src1_sel:DWORD
	s_nop 1
	v_cndmask_b32_e64 v52, v52, v54, s[0:1]
; %bb.361:                              ;   in Loop: Header=BB328_208 Depth=1
	s_or_b64 exec, exec, s[12:13]
	v_lshlrev_b32_e32 v53, 16, v53
	v_mul_f32_e32 v54, v45, v53
	v_and_b32_e32 v53, 0x7f800000, v54
	v_cmp_ne_u32_e64 s[0:1], s22, v53
                                        ; implicit-def: $vgpr53
	s_and_saveexec_b64 s[12:13], s[0:1]
	s_xor_b64 s[0:1], exec, s[12:13]
; %bb.362:                              ;   in Loop: Header=BB328_208 Depth=1
	v_bfe_u32 v53, v54, 16, 1
	v_add3_u32 v53, v54, v53, s28
                                        ; implicit-def: $vgpr54
; %bb.363:                              ;   in Loop: Header=BB328_208 Depth=1
	s_andn2_saveexec_b64 s[12:13], s[0:1]
; %bb.364:                              ;   in Loop: Header=BB328_208 Depth=1
	v_or_b32_e32 v53, 0x10000, v54
	v_cmp_eq_u32_sdwa s[0:1], v54, v15 src0_sel:WORD_0 src1_sel:DWORD
	s_nop 1
	v_cndmask_b32_e64 v53, v53, v54, s[0:1]
; %bb.365:                              ;   in Loop: Header=BB328_208 Depth=1
	s_or_b64 exec, exec, s[12:13]
	v_lshlrev_b32_e32 v5, 16, v5
	v_mul_f32_e32 v5, v46, v5
	v_and_b32_e32 v54, 0x7f800000, v5
	v_cmp_ne_u32_e64 s[0:1], s22, v54
                                        ; implicit-def: $vgpr54
	s_and_saveexec_b64 s[12:13], s[0:1]
	s_xor_b64 s[0:1], exec, s[12:13]
; %bb.366:                              ;   in Loop: Header=BB328_208 Depth=1
	v_bfe_u32 v54, v5, 16, 1
	v_add3_u32 v54, v5, v54, s28
                                        ; implicit-def: $vgpr5
; %bb.367:                              ;   in Loop: Header=BB328_208 Depth=1
	s_andn2_saveexec_b64 s[12:13], s[0:1]
; %bb.368:                              ;   in Loop: Header=BB328_208 Depth=1
	v_or_b32_e32 v54, 0x10000, v5
	v_cmp_eq_u32_sdwa s[0:1], v5, v15 src0_sel:WORD_0 src1_sel:DWORD
	s_nop 1
	v_cndmask_b32_e64 v54, v54, v5, s[0:1]
; %bb.369:                              ;   in Loop: Header=BB328_208 Depth=1
	s_or_b64 exec, exec, s[12:13]
	v_lshlrev_b32_e32 v4, 16, v4
	v_mul_f32_e32 v4, v47, v4
	v_and_b32_e32 v5, 0x7f800000, v4
	v_cmp_ne_u32_e64 s[0:1], s22, v5
                                        ; implicit-def: $vgpr55
	s_and_saveexec_b64 s[12:13], s[0:1]
	s_xor_b64 s[0:1], exec, s[12:13]
; %bb.370:                              ;   in Loop: Header=BB328_208 Depth=1
	v_bfe_u32 v5, v4, 16, 1
	v_add3_u32 v55, v4, v5, s28
                                        ; implicit-def: $vgpr4
; %bb.371:                              ;   in Loop: Header=BB328_208 Depth=1
	s_andn2_saveexec_b64 s[12:13], s[0:1]
; %bb.372:                              ;   in Loop: Header=BB328_208 Depth=1
	v_or_b32_e32 v5, 0x10000, v4
	v_cmp_eq_u32_sdwa s[0:1], v4, v15 src0_sel:WORD_0 src1_sel:DWORD
	s_nop 1
	v_cndmask_b32_e64 v55, v5, v4, s[0:1]
; %bb.373:                              ;   in Loop: Header=BB328_208 Depth=1
	s_or_b64 exec, exec, s[12:13]
	global_load_dwordx2 v[4:5], v[2:3], off offset:1024
	s_waitcnt vmcnt(0)
	v_and_b32_e32 v56, 0xff, v4
	v_cvt_f32_fp8_sdwa v56, v56 src0_sel:BYTE_0
	s_nop 0
	v_mul_f32_e32 v57, s29, v56
	v_and_b32_e32 v56, 0x7f800000, v57
	v_cmp_ne_u32_e64 s[0:1], s22, v56
                                        ; implicit-def: $vgpr56
	s_and_saveexec_b64 s[12:13], s[0:1]
	s_xor_b64 s[0:1], exec, s[12:13]
; %bb.374:                              ;   in Loop: Header=BB328_208 Depth=1
	v_bfe_u32 v56, v57, 16, 1
	v_add3_u32 v56, v57, v56, s28
                                        ; implicit-def: $vgpr57
; %bb.375:                              ;   in Loop: Header=BB328_208 Depth=1
	s_andn2_saveexec_b64 s[12:13], s[0:1]
; %bb.376:                              ;   in Loop: Header=BB328_208 Depth=1
	v_or_b32_e32 v56, 0x10000, v57
	v_cmp_eq_u32_sdwa s[0:1], v57, v15 src0_sel:WORD_0 src1_sel:DWORD
	s_nop 1
	v_cndmask_b32_e64 v56, v56, v57, s[0:1]
; %bb.377:                              ;   in Loop: Header=BB328_208 Depth=1
	s_or_b64 exec, exec, s[12:13]
	v_bfe_u32 v57, v4, 8, 8
	v_cvt_f32_fp8_sdwa v57, v57 src0_sel:BYTE_0
	s_nop 0
	v_mul_f32_e32 v58, s29, v57
	v_and_b32_e32 v57, 0x7f800000, v58
	v_cmp_ne_u32_e64 s[0:1], s22, v57
                                        ; implicit-def: $vgpr57
	s_and_saveexec_b64 s[12:13], s[0:1]
	s_xor_b64 s[0:1], exec, s[12:13]
; %bb.378:                              ;   in Loop: Header=BB328_208 Depth=1
	v_bfe_u32 v57, v58, 16, 1
	v_add3_u32 v57, v58, v57, s28
                                        ; implicit-def: $vgpr58
; %bb.379:                              ;   in Loop: Header=BB328_208 Depth=1
	s_andn2_saveexec_b64 s[12:13], s[0:1]
; %bb.380:                              ;   in Loop: Header=BB328_208 Depth=1
	v_or_b32_e32 v57, 0x10000, v58
	v_cmp_eq_u32_sdwa s[0:1], v58, v15 src0_sel:WORD_0 src1_sel:DWORD
	s_nop 1
	v_cndmask_b32_e64 v57, v57, v58, s[0:1]
; %bb.381:                              ;   in Loop: Header=BB328_208 Depth=1
	s_or_b64 exec, exec, s[12:13]
	v_bfe_u32 v58, v4, 16, 8
	v_cvt_f32_fp8_sdwa v58, v58 src0_sel:BYTE_0
	s_nop 0
	v_mul_f32_e32 v59, s29, v58
	v_and_b32_e32 v58, 0x7f800000, v59
	v_cmp_ne_u32_e64 s[0:1], s22, v58
                                        ; implicit-def: $vgpr58
	s_and_saveexec_b64 s[12:13], s[0:1]
	s_xor_b64 s[0:1], exec, s[12:13]
; %bb.382:                              ;   in Loop: Header=BB328_208 Depth=1
	v_bfe_u32 v58, v59, 16, 1
	v_add3_u32 v58, v59, v58, s28
                                        ; implicit-def: $vgpr59
; %bb.383:                              ;   in Loop: Header=BB328_208 Depth=1
	s_andn2_saveexec_b64 s[12:13], s[0:1]
; %bb.384:                              ;   in Loop: Header=BB328_208 Depth=1
	v_or_b32_e32 v58, 0x10000, v59
	v_cmp_eq_u32_sdwa s[0:1], v59, v15 src0_sel:WORD_0 src1_sel:DWORD
	s_nop 1
	v_cndmask_b32_e64 v58, v58, v59, s[0:1]
; %bb.385:                              ;   in Loop: Header=BB328_208 Depth=1
	s_or_b64 exec, exec, s[12:13]
	v_lshrrev_b32_e32 v4, 24, v4
	v_cvt_f32_fp8_sdwa v4, v4 src0_sel:BYTE_0
	s_nop 0
	v_mul_f32_e32 v59, s29, v4
	v_and_b32_e32 v4, 0x7f800000, v59
	v_cmp_ne_u32_e64 s[0:1], s22, v4
                                        ; implicit-def: $vgpr4
	s_and_saveexec_b64 s[12:13], s[0:1]
	s_xor_b64 s[0:1], exec, s[12:13]
; %bb.386:                              ;   in Loop: Header=BB328_208 Depth=1
	v_bfe_u32 v4, v59, 16, 1
	v_add3_u32 v4, v59, v4, s28
                                        ; implicit-def: $vgpr59
; %bb.387:                              ;   in Loop: Header=BB328_208 Depth=1
	s_andn2_saveexec_b64 s[12:13], s[0:1]
; %bb.388:                              ;   in Loop: Header=BB328_208 Depth=1
	v_or_b32_e32 v4, 0x10000, v59
	v_cmp_eq_u32_sdwa s[0:1], v59, v15 src0_sel:WORD_0 src1_sel:DWORD
	s_nop 1
	v_cndmask_b32_e64 v4, v4, v59, s[0:1]
; %bb.389:                              ;   in Loop: Header=BB328_208 Depth=1
	s_or_b64 exec, exec, s[12:13]
	v_and_b32_e32 v59, 0xff, v5
	v_cvt_f32_fp8_sdwa v59, v59 src0_sel:BYTE_0
	s_nop 0
	v_mul_f32_e32 v60, s29, v59
	v_and_b32_e32 v59, 0x7f800000, v60
	v_cmp_ne_u32_e64 s[0:1], s22, v59
                                        ; implicit-def: $vgpr59
	s_and_saveexec_b64 s[12:13], s[0:1]
	s_xor_b64 s[0:1], exec, s[12:13]
; %bb.390:                              ;   in Loop: Header=BB328_208 Depth=1
	v_bfe_u32 v59, v60, 16, 1
	v_add3_u32 v59, v60, v59, s28
                                        ; implicit-def: $vgpr60
; %bb.391:                              ;   in Loop: Header=BB328_208 Depth=1
	s_andn2_saveexec_b64 s[12:13], s[0:1]
; %bb.392:                              ;   in Loop: Header=BB328_208 Depth=1
	v_or_b32_e32 v59, 0x10000, v60
	v_cmp_eq_u32_sdwa s[0:1], v60, v15 src0_sel:WORD_0 src1_sel:DWORD
	s_nop 1
	v_cndmask_b32_e64 v59, v59, v60, s[0:1]
; %bb.393:                              ;   in Loop: Header=BB328_208 Depth=1
	s_or_b64 exec, exec, s[12:13]
	v_bfe_u32 v60, v5, 8, 8
	v_cvt_f32_fp8_sdwa v60, v60 src0_sel:BYTE_0
	s_nop 0
	v_mul_f32_e32 v61, s29, v60
	v_and_b32_e32 v60, 0x7f800000, v61
	v_cmp_ne_u32_e64 s[0:1], s22, v60
                                        ; implicit-def: $vgpr60
	s_and_saveexec_b64 s[12:13], s[0:1]
	s_xor_b64 s[0:1], exec, s[12:13]
; %bb.394:                              ;   in Loop: Header=BB328_208 Depth=1
	v_bfe_u32 v60, v61, 16, 1
	v_add3_u32 v60, v61, v60, s28
                                        ; implicit-def: $vgpr61
; %bb.395:                              ;   in Loop: Header=BB328_208 Depth=1
	s_andn2_saveexec_b64 s[12:13], s[0:1]
; %bb.396:                              ;   in Loop: Header=BB328_208 Depth=1
	v_or_b32_e32 v60, 0x10000, v61
	v_cmp_eq_u32_sdwa s[0:1], v61, v15 src0_sel:WORD_0 src1_sel:DWORD
	s_nop 1
	v_cndmask_b32_e64 v60, v60, v61, s[0:1]
; %bb.397:                              ;   in Loop: Header=BB328_208 Depth=1
	s_or_b64 exec, exec, s[12:13]
	v_bfe_u32 v61, v5, 16, 8
	v_cvt_f32_fp8_sdwa v61, v61 src0_sel:BYTE_0
	s_nop 0
	v_mul_f32_e32 v61, s29, v61
	v_and_b32_e32 v62, 0x7f800000, v61
	v_cmp_ne_u32_e64 s[0:1], s22, v62
                                        ; implicit-def: $vgpr62
	s_and_saveexec_b64 s[12:13], s[0:1]
	s_xor_b64 s[0:1], exec, s[12:13]
; %bb.398:                              ;   in Loop: Header=BB328_208 Depth=1
	v_bfe_u32 v62, v61, 16, 1
	v_add3_u32 v62, v61, v62, s28
                                        ; implicit-def: $vgpr61
; %bb.399:                              ;   in Loop: Header=BB328_208 Depth=1
	s_andn2_saveexec_b64 s[12:13], s[0:1]
; %bb.400:                              ;   in Loop: Header=BB328_208 Depth=1
	v_or_b32_e32 v62, 0x10000, v61
	v_cmp_eq_u32_sdwa s[0:1], v61, v15 src0_sel:WORD_0 src1_sel:DWORD
	s_nop 1
	v_cndmask_b32_e64 v62, v62, v61, s[0:1]
; %bb.401:                              ;   in Loop: Header=BB328_208 Depth=1
	s_or_b64 exec, exec, s[12:13]
	v_lshrrev_b32_e32 v5, 24, v5
	v_cvt_f32_fp8_sdwa v5, v5 src0_sel:BYTE_0
                                        ; implicit-def: $vgpr63
	s_nop 0
	v_mul_f32_e32 v5, s29, v5
	v_and_b32_e32 v61, 0x7f800000, v5
	v_cmp_ne_u32_e64 s[0:1], s22, v61
	s_and_saveexec_b64 s[12:13], s[0:1]
	s_xor_b64 s[0:1], exec, s[12:13]
; %bb.402:                              ;   in Loop: Header=BB328_208 Depth=1
	v_bfe_u32 v61, v5, 16, 1
	v_add3_u32 v63, v5, v61, s28
                                        ; implicit-def: $vgpr5
; %bb.403:                              ;   in Loop: Header=BB328_208 Depth=1
	s_andn2_saveexec_b64 s[12:13], s[0:1]
; %bb.404:                              ;   in Loop: Header=BB328_208 Depth=1
	v_or_b32_e32 v61, 0x10000, v5
	v_cmp_eq_u32_sdwa s[0:1], v5, v15 src0_sel:WORD_0 src1_sel:DWORD
	s_nop 1
	v_cndmask_b32_e64 v63, v61, v5, s[0:1]
; %bb.405:                              ;   in Loop: Header=BB328_208 Depth=1
	s_or_b64 exec, exec, s[12:13]
	v_lshrrev_b32_e32 v61, 16, v60
	v_lshrrev_b32_e32 v60, 16, v59
	v_lshrrev_b32_e32 v59, 16, v4
	v_lshrrev_b32_e32 v58, 16, v58
	v_lshrrev_b32_e32 v57, 16, v57
	v_lshrrev_b32_e32 v56, 16, v56
	v_lshrrev_b32_e32 v5, 16, v62
	v_lshrrev_b32_e32 v4, 16, v63
	s_and_saveexec_b64 s[12:13], vcc
	s_cbranch_execz .LBB328_407
; %bb.406:                              ;   in Loop: Header=BB328_208 Depth=1
	v_cmp_gt_i32_e64 s[0:1], s33, v32
	s_nop 1
	v_cndmask_b32_e64 v56, 0, v56, s[0:1]
	v_cmp_gt_i32_e64 s[0:1], s33, v39
	s_nop 1
	v_cndmask_b32_e64 v57, 0, v57, s[0:1]
	v_cmp_gt_i32_e64 s[0:1], s33, v38
	s_nop 1
	v_cndmask_b32_e64 v58, 0, v58, s[0:1]
	v_cmp_gt_i32_e64 s[0:1], s33, v37
	s_nop 1
	v_cndmask_b32_e64 v59, 0, v59, s[0:1]
	v_cmp_gt_i32_e64 s[0:1], s33, v36
	s_nop 1
	v_cndmask_b32_e64 v60, 0, v60, s[0:1]
	v_cmp_gt_i32_e64 s[0:1], s33, v35
	s_nop 1
	v_cndmask_b32_e64 v61, 0, v61, s[0:1]
	v_cmp_gt_i32_e64 s[0:1], s33, v34
	s_nop 1
	v_cndmask_b32_e64 v5, 0, v5, s[0:1]
	v_cmp_gt_i32_e64 s[0:1], s33, v33
	s_nop 1
	v_cndmask_b32_e64 v4, 0, v4, s[0:1]
.LBB328_407:                            ;   in Loop: Header=BB328_208 Depth=1
	s_or_b64 exec, exec, s[12:13]
	v_lshlrev_b32_e32 v56, 16, v56
	v_mul_f32_e32 v62, v40, v56
	v_and_b32_e32 v56, 0x7f800000, v62
	v_cmp_ne_u32_e64 s[0:1], s22, v56
                                        ; implicit-def: $vgpr56
	s_and_saveexec_b64 s[12:13], s[0:1]
	s_xor_b64 s[0:1], exec, s[12:13]
; %bb.408:                              ;   in Loop: Header=BB328_208 Depth=1
	v_bfe_u32 v56, v62, 16, 1
	v_add3_u32 v56, v62, v56, s28
                                        ; implicit-def: $vgpr62
; %bb.409:                              ;   in Loop: Header=BB328_208 Depth=1
	s_andn2_saveexec_b64 s[12:13], s[0:1]
; %bb.410:                              ;   in Loop: Header=BB328_208 Depth=1
	v_or_b32_e32 v56, 0x10000, v62
	v_cmp_eq_u32_sdwa s[0:1], v62, v15 src0_sel:WORD_0 src1_sel:DWORD
	s_nop 1
	v_cndmask_b32_e64 v56, v56, v62, s[0:1]
; %bb.411:                              ;   in Loop: Header=BB328_208 Depth=1
	s_or_b64 exec, exec, s[12:13]
	v_lshlrev_b32_e32 v57, 16, v57
	v_mul_f32_e32 v62, v41, v57
	v_and_b32_e32 v57, 0x7f800000, v62
	v_cmp_ne_u32_e64 s[0:1], s22, v57
                                        ; implicit-def: $vgpr57
	s_and_saveexec_b64 s[12:13], s[0:1]
	s_xor_b64 s[0:1], exec, s[12:13]
; %bb.412:                              ;   in Loop: Header=BB328_208 Depth=1
	v_bfe_u32 v57, v62, 16, 1
	v_add3_u32 v57, v62, v57, s28
                                        ; implicit-def: $vgpr62
; %bb.413:                              ;   in Loop: Header=BB328_208 Depth=1
	s_andn2_saveexec_b64 s[12:13], s[0:1]
; %bb.414:                              ;   in Loop: Header=BB328_208 Depth=1
	v_or_b32_e32 v57, 0x10000, v62
	v_cmp_eq_u32_sdwa s[0:1], v62, v15 src0_sel:WORD_0 src1_sel:DWORD
	s_nop 1
	v_cndmask_b32_e64 v57, v57, v62, s[0:1]
; %bb.415:                              ;   in Loop: Header=BB328_208 Depth=1
	s_or_b64 exec, exec, s[12:13]
	v_lshlrev_b32_e32 v58, 16, v58
	v_mul_f32_e32 v62, v42, v58
	v_and_b32_e32 v58, 0x7f800000, v62
	v_cmp_ne_u32_e64 s[0:1], s22, v58
                                        ; implicit-def: $vgpr58
	s_and_saveexec_b64 s[12:13], s[0:1]
	s_xor_b64 s[0:1], exec, s[12:13]
; %bb.416:                              ;   in Loop: Header=BB328_208 Depth=1
	v_bfe_u32 v58, v62, 16, 1
	v_add3_u32 v58, v62, v58, s28
                                        ; implicit-def: $vgpr62
; %bb.417:                              ;   in Loop: Header=BB328_208 Depth=1
	s_andn2_saveexec_b64 s[12:13], s[0:1]
; %bb.418:                              ;   in Loop: Header=BB328_208 Depth=1
	v_or_b32_e32 v58, 0x10000, v62
	v_cmp_eq_u32_sdwa s[0:1], v62, v15 src0_sel:WORD_0 src1_sel:DWORD
	s_nop 1
	v_cndmask_b32_e64 v58, v58, v62, s[0:1]
; %bb.419:                              ;   in Loop: Header=BB328_208 Depth=1
	s_or_b64 exec, exec, s[12:13]
	v_lshlrev_b32_e32 v59, 16, v59
	v_mul_f32_e32 v62, v43, v59
	v_and_b32_e32 v59, 0x7f800000, v62
	v_cmp_ne_u32_e64 s[0:1], s22, v59
                                        ; implicit-def: $vgpr59
	s_and_saveexec_b64 s[12:13], s[0:1]
	s_xor_b64 s[0:1], exec, s[12:13]
; %bb.420:                              ;   in Loop: Header=BB328_208 Depth=1
	v_bfe_u32 v59, v62, 16, 1
	v_add3_u32 v59, v62, v59, s28
                                        ; implicit-def: $vgpr62
; %bb.421:                              ;   in Loop: Header=BB328_208 Depth=1
	s_andn2_saveexec_b64 s[12:13], s[0:1]
; %bb.422:                              ;   in Loop: Header=BB328_208 Depth=1
	v_or_b32_e32 v59, 0x10000, v62
	v_cmp_eq_u32_sdwa s[0:1], v62, v15 src0_sel:WORD_0 src1_sel:DWORD
	s_nop 1
	v_cndmask_b32_e64 v59, v59, v62, s[0:1]
; %bb.423:                              ;   in Loop: Header=BB328_208 Depth=1
	s_or_b64 exec, exec, s[12:13]
	v_lshlrev_b32_e32 v60, 16, v60
	v_mul_f32_e32 v62, v44, v60
	v_and_b32_e32 v60, 0x7f800000, v62
	v_cmp_ne_u32_e64 s[0:1], s22, v60
                                        ; implicit-def: $vgpr60
	s_and_saveexec_b64 s[12:13], s[0:1]
	s_xor_b64 s[0:1], exec, s[12:13]
; %bb.424:                              ;   in Loop: Header=BB328_208 Depth=1
	v_bfe_u32 v60, v62, 16, 1
	v_add3_u32 v60, v62, v60, s28
                                        ; implicit-def: $vgpr62
; %bb.425:                              ;   in Loop: Header=BB328_208 Depth=1
	s_andn2_saveexec_b64 s[12:13], s[0:1]
; %bb.426:                              ;   in Loop: Header=BB328_208 Depth=1
	v_or_b32_e32 v60, 0x10000, v62
	v_cmp_eq_u32_sdwa s[0:1], v62, v15 src0_sel:WORD_0 src1_sel:DWORD
	s_nop 1
	v_cndmask_b32_e64 v60, v60, v62, s[0:1]
; %bb.427:                              ;   in Loop: Header=BB328_208 Depth=1
	s_or_b64 exec, exec, s[12:13]
	v_lshlrev_b32_e32 v61, 16, v61
	v_mul_f32_e32 v62, v45, v61
	v_and_b32_e32 v61, 0x7f800000, v62
	v_cmp_ne_u32_e64 s[0:1], s22, v61
                                        ; implicit-def: $vgpr61
	s_and_saveexec_b64 s[12:13], s[0:1]
	s_xor_b64 s[0:1], exec, s[12:13]
; %bb.428:                              ;   in Loop: Header=BB328_208 Depth=1
	v_bfe_u32 v61, v62, 16, 1
	v_add3_u32 v61, v62, v61, s28
                                        ; implicit-def: $vgpr62
; %bb.429:                              ;   in Loop: Header=BB328_208 Depth=1
	s_andn2_saveexec_b64 s[12:13], s[0:1]
; %bb.430:                              ;   in Loop: Header=BB328_208 Depth=1
	v_or_b32_e32 v61, 0x10000, v62
	v_cmp_eq_u32_sdwa s[0:1], v62, v15 src0_sel:WORD_0 src1_sel:DWORD
	s_nop 1
	v_cndmask_b32_e64 v61, v61, v62, s[0:1]
; %bb.431:                              ;   in Loop: Header=BB328_208 Depth=1
	s_or_b64 exec, exec, s[12:13]
	v_lshlrev_b32_e32 v5, 16, v5
	v_mul_f32_e32 v5, v46, v5
	v_and_b32_e32 v62, 0x7f800000, v5
	v_cmp_ne_u32_e64 s[0:1], s22, v62
                                        ; implicit-def: $vgpr62
	s_and_saveexec_b64 s[12:13], s[0:1]
	s_xor_b64 s[0:1], exec, s[12:13]
; %bb.432:                              ;   in Loop: Header=BB328_208 Depth=1
	v_bfe_u32 v62, v5, 16, 1
	v_add3_u32 v62, v5, v62, s28
                                        ; implicit-def: $vgpr5
; %bb.433:                              ;   in Loop: Header=BB328_208 Depth=1
	s_andn2_saveexec_b64 s[12:13], s[0:1]
; %bb.434:                              ;   in Loop: Header=BB328_208 Depth=1
	v_or_b32_e32 v62, 0x10000, v5
	v_cmp_eq_u32_sdwa s[0:1], v5, v15 src0_sel:WORD_0 src1_sel:DWORD
	s_nop 1
	v_cndmask_b32_e64 v62, v62, v5, s[0:1]
; %bb.435:                              ;   in Loop: Header=BB328_208 Depth=1
	s_or_b64 exec, exec, s[12:13]
	v_lshlrev_b32_e32 v4, 16, v4
	v_mul_f32_e32 v4, v47, v4
	v_and_b32_e32 v5, 0x7f800000, v4
	v_cmp_ne_u32_e64 s[0:1], s22, v5
                                        ; implicit-def: $vgpr63
	s_and_saveexec_b64 s[12:13], s[0:1]
	s_xor_b64 s[0:1], exec, s[12:13]
; %bb.436:                              ;   in Loop: Header=BB328_208 Depth=1
	v_bfe_u32 v5, v4, 16, 1
	v_add3_u32 v63, v4, v5, s28
                                        ; implicit-def: $vgpr4
; %bb.437:                              ;   in Loop: Header=BB328_208 Depth=1
	s_andn2_saveexec_b64 s[12:13], s[0:1]
; %bb.438:                              ;   in Loop: Header=BB328_208 Depth=1
	v_or_b32_e32 v5, 0x10000, v4
	v_cmp_eq_u32_sdwa s[0:1], v4, v15 src0_sel:WORD_0 src1_sel:DWORD
	s_nop 1
	v_cndmask_b32_e64 v63, v5, v4, s[0:1]
; %bb.439:                              ;   in Loop: Header=BB328_208 Depth=1
	s_or_b64 exec, exec, s[12:13]
	global_load_dwordx2 v[4:5], v[2:3], off offset:1536
	s_waitcnt vmcnt(0)
	v_and_b32_e32 v64, 0xff, v4
	v_cvt_f32_fp8_sdwa v64, v64 src0_sel:BYTE_0
	s_nop 0
	v_mul_f32_e32 v65, s29, v64
	v_and_b32_e32 v64, 0x7f800000, v65
	v_cmp_ne_u32_e64 s[0:1], s22, v64
                                        ; implicit-def: $vgpr64
	s_and_saveexec_b64 s[12:13], s[0:1]
	s_xor_b64 s[0:1], exec, s[12:13]
; %bb.440:                              ;   in Loop: Header=BB328_208 Depth=1
	v_bfe_u32 v64, v65, 16, 1
	v_add3_u32 v64, v65, v64, s28
                                        ; implicit-def: $vgpr65
; %bb.441:                              ;   in Loop: Header=BB328_208 Depth=1
	s_andn2_saveexec_b64 s[12:13], s[0:1]
; %bb.442:                              ;   in Loop: Header=BB328_208 Depth=1
	v_or_b32_e32 v64, 0x10000, v65
	v_cmp_eq_u32_sdwa s[0:1], v65, v15 src0_sel:WORD_0 src1_sel:DWORD
	s_nop 1
	v_cndmask_b32_e64 v64, v64, v65, s[0:1]
; %bb.443:                              ;   in Loop: Header=BB328_208 Depth=1
	s_or_b64 exec, exec, s[12:13]
	v_bfe_u32 v65, v4, 8, 8
	v_cvt_f32_fp8_sdwa v65, v65 src0_sel:BYTE_0
	s_nop 0
	v_mul_f32_e32 v66, s29, v65
	v_and_b32_e32 v65, 0x7f800000, v66
	v_cmp_ne_u32_e64 s[0:1], s22, v65
                                        ; implicit-def: $vgpr65
	s_and_saveexec_b64 s[12:13], s[0:1]
	s_xor_b64 s[0:1], exec, s[12:13]
; %bb.444:                              ;   in Loop: Header=BB328_208 Depth=1
	v_bfe_u32 v65, v66, 16, 1
	v_add3_u32 v65, v66, v65, s28
                                        ; implicit-def: $vgpr66
; %bb.445:                              ;   in Loop: Header=BB328_208 Depth=1
	s_andn2_saveexec_b64 s[12:13], s[0:1]
; %bb.446:                              ;   in Loop: Header=BB328_208 Depth=1
	v_or_b32_e32 v65, 0x10000, v66
	v_cmp_eq_u32_sdwa s[0:1], v66, v15 src0_sel:WORD_0 src1_sel:DWORD
	s_nop 1
	v_cndmask_b32_e64 v65, v65, v66, s[0:1]
; %bb.447:                              ;   in Loop: Header=BB328_208 Depth=1
	s_or_b64 exec, exec, s[12:13]
	v_bfe_u32 v66, v4, 16, 8
	v_cvt_f32_fp8_sdwa v66, v66 src0_sel:BYTE_0
	s_nop 0
	v_mul_f32_e32 v67, s29, v66
	v_and_b32_e32 v66, 0x7f800000, v67
	v_cmp_ne_u32_e64 s[0:1], s22, v66
                                        ; implicit-def: $vgpr66
	s_and_saveexec_b64 s[12:13], s[0:1]
	s_xor_b64 s[0:1], exec, s[12:13]
; %bb.448:                              ;   in Loop: Header=BB328_208 Depth=1
	v_bfe_u32 v66, v67, 16, 1
	v_add3_u32 v66, v67, v66, s28
                                        ; implicit-def: $vgpr67
; %bb.449:                              ;   in Loop: Header=BB328_208 Depth=1
	s_andn2_saveexec_b64 s[12:13], s[0:1]
; %bb.450:                              ;   in Loop: Header=BB328_208 Depth=1
	v_or_b32_e32 v66, 0x10000, v67
	v_cmp_eq_u32_sdwa s[0:1], v67, v15 src0_sel:WORD_0 src1_sel:DWORD
	s_nop 1
	v_cndmask_b32_e64 v66, v66, v67, s[0:1]
; %bb.451:                              ;   in Loop: Header=BB328_208 Depth=1
	s_or_b64 exec, exec, s[12:13]
	v_lshrrev_b32_e32 v4, 24, v4
	v_cvt_f32_fp8_sdwa v4, v4 src0_sel:BYTE_0
	s_nop 0
	v_mul_f32_e32 v67, s29, v4
	v_and_b32_e32 v4, 0x7f800000, v67
	v_cmp_ne_u32_e64 s[0:1], s22, v4
                                        ; implicit-def: $vgpr4
	s_and_saveexec_b64 s[12:13], s[0:1]
	s_xor_b64 s[0:1], exec, s[12:13]
; %bb.452:                              ;   in Loop: Header=BB328_208 Depth=1
	v_bfe_u32 v4, v67, 16, 1
	v_add3_u32 v4, v67, v4, s28
                                        ; implicit-def: $vgpr67
; %bb.453:                              ;   in Loop: Header=BB328_208 Depth=1
	s_andn2_saveexec_b64 s[12:13], s[0:1]
; %bb.454:                              ;   in Loop: Header=BB328_208 Depth=1
	v_or_b32_e32 v4, 0x10000, v67
	v_cmp_eq_u32_sdwa s[0:1], v67, v15 src0_sel:WORD_0 src1_sel:DWORD
	s_nop 1
	v_cndmask_b32_e64 v4, v4, v67, s[0:1]
; %bb.455:                              ;   in Loop: Header=BB328_208 Depth=1
	s_or_b64 exec, exec, s[12:13]
	v_and_b32_e32 v67, 0xff, v5
	v_cvt_f32_fp8_sdwa v67, v67 src0_sel:BYTE_0
	s_nop 0
	v_mul_f32_e32 v67, s29, v67
	v_and_b32_e32 v68, 0x7f800000, v67
	v_cmp_ne_u32_e64 s[0:1], s22, v68
                                        ; implicit-def: $vgpr68
	s_and_saveexec_b64 s[12:13], s[0:1]
	s_xor_b64 s[0:1], exec, s[12:13]
; %bb.456:                              ;   in Loop: Header=BB328_208 Depth=1
	v_bfe_u32 v68, v67, 16, 1
	v_add3_u32 v68, v67, v68, s28
                                        ; implicit-def: $vgpr67
; %bb.457:                              ;   in Loop: Header=BB328_208 Depth=1
	s_andn2_saveexec_b64 s[12:13], s[0:1]
; %bb.458:                              ;   in Loop: Header=BB328_208 Depth=1
	v_or_b32_e32 v68, 0x10000, v67
	v_cmp_eq_u32_sdwa s[0:1], v67, v15 src0_sel:WORD_0 src1_sel:DWORD
	s_nop 1
	v_cndmask_b32_e64 v68, v68, v67, s[0:1]
; %bb.459:                              ;   in Loop: Header=BB328_208 Depth=1
	s_or_b64 exec, exec, s[12:13]
	v_bfe_u32 v67, v5, 8, 8
	v_cvt_f32_fp8_sdwa v67, v67 src0_sel:BYTE_0
	s_nop 0
	v_mul_f32_e32 v69, s29, v67
	v_and_b32_e32 v67, 0x7f800000, v69
	v_cmp_ne_u32_e64 s[0:1], s22, v67
                                        ; implicit-def: $vgpr67
	s_and_saveexec_b64 s[12:13], s[0:1]
	s_xor_b64 s[0:1], exec, s[12:13]
; %bb.460:                              ;   in Loop: Header=BB328_208 Depth=1
	v_bfe_u32 v67, v69, 16, 1
	v_add3_u32 v67, v69, v67, s28
                                        ; implicit-def: $vgpr69
; %bb.461:                              ;   in Loop: Header=BB328_208 Depth=1
	s_andn2_saveexec_b64 s[12:13], s[0:1]
; %bb.462:                              ;   in Loop: Header=BB328_208 Depth=1
	v_or_b32_e32 v67, 0x10000, v69
	v_cmp_eq_u32_sdwa s[0:1], v69, v15 src0_sel:WORD_0 src1_sel:DWORD
	s_nop 1
	v_cndmask_b32_e64 v67, v67, v69, s[0:1]
; %bb.463:                              ;   in Loop: Header=BB328_208 Depth=1
	s_or_b64 exec, exec, s[12:13]
	v_bfe_u32 v69, v5, 16, 8
	v_cvt_f32_fp8_sdwa v69, v69 src0_sel:BYTE_0
	s_nop 0
	v_mul_f32_e32 v70, s29, v69
	v_and_b32_e32 v69, 0x7f800000, v70
	v_cmp_ne_u32_e64 s[0:1], s22, v69
                                        ; implicit-def: $vgpr69
	s_and_saveexec_b64 s[12:13], s[0:1]
	s_xor_b64 s[0:1], exec, s[12:13]
; %bb.464:                              ;   in Loop: Header=BB328_208 Depth=1
	v_bfe_u32 v69, v70, 16, 1
	v_add3_u32 v69, v70, v69, s28
                                        ; implicit-def: $vgpr70
; %bb.465:                              ;   in Loop: Header=BB328_208 Depth=1
	s_andn2_saveexec_b64 s[12:13], s[0:1]
; %bb.466:                              ;   in Loop: Header=BB328_208 Depth=1
	v_or_b32_e32 v69, 0x10000, v70
	v_cmp_eq_u32_sdwa s[0:1], v70, v15 src0_sel:WORD_0 src1_sel:DWORD
	s_nop 1
	v_cndmask_b32_e64 v69, v69, v70, s[0:1]
; %bb.467:                              ;   in Loop: Header=BB328_208 Depth=1
	s_or_b64 exec, exec, s[12:13]
	v_lshrrev_b32_e32 v5, 24, v5
	v_cvt_f32_fp8_sdwa v5, v5 src0_sel:BYTE_0
                                        ; implicit-def: $vgpr72
	s_nop 0
	v_mul_f32_e32 v5, s29, v5
	v_and_b32_e32 v70, 0x7f800000, v5
	v_cmp_ne_u32_e64 s[0:1], s22, v70
	s_and_saveexec_b64 s[12:13], s[0:1]
	s_xor_b64 s[0:1], exec, s[12:13]
; %bb.468:                              ;   in Loop: Header=BB328_208 Depth=1
	v_bfe_u32 v70, v5, 16, 1
	v_add3_u32 v72, v5, v70, s28
                                        ; implicit-def: $vgpr5
; %bb.469:                              ;   in Loop: Header=BB328_208 Depth=1
	s_andn2_saveexec_b64 s[12:13], s[0:1]
; %bb.470:                              ;   in Loop: Header=BB328_208 Depth=1
	v_or_b32_e32 v70, 0x10000, v5
	v_cmp_eq_u32_sdwa s[0:1], v5, v15 src0_sel:WORD_0 src1_sel:DWORD
	s_nop 1
	v_cndmask_b32_e64 v72, v70, v5, s[0:1]
; %bb.471:                              ;   in Loop: Header=BB328_208 Depth=1
	s_or_b64 exec, exec, s[12:13]
	v_lshrrev_b32_e32 v67, 16, v67
	v_lshrrev_b32_e32 v70, 16, v68
	v_lshrrev_b32_e32 v71, 16, v4
	v_lshrrev_b32_e32 v66, 16, v66
	v_lshrrev_b32_e32 v5, 16, v65
	v_lshrrev_b32_e32 v4, 16, v64
	v_lshrrev_b32_e32 v68, 16, v69
	v_lshrrev_b32_e32 v69, 16, v72
	s_and_saveexec_b64 s[12:13], vcc
	s_cbranch_execz .LBB328_473
; %bb.472:                              ;   in Loop: Header=BB328_208 Depth=1
	v_cmp_gt_i32_e64 s[0:1], s33, v32
	s_nop 1
	v_cndmask_b32_e64 v4, 0, v4, s[0:1]
	v_cmp_gt_i32_e64 s[0:1], s33, v39
	s_nop 1
	v_cndmask_b32_e64 v5, 0, v5, s[0:1]
	;; [unrolled: 3-line block ×8, first 2 shown]
.LBB328_473:                            ;   in Loop: Header=BB328_208 Depth=1
	s_or_b64 exec, exec, s[12:13]
	v_lshlrev_b32_e32 v4, 16, v4
	v_mul_f32_e32 v64, v40, v4
	v_and_b32_e32 v4, 0x7f800000, v64
	v_cmp_ne_u32_e64 s[0:1], s22, v4
                                        ; implicit-def: $vgpr4
	s_and_saveexec_b64 s[12:13], s[0:1]
	s_xor_b64 s[0:1], exec, s[12:13]
; %bb.474:                              ;   in Loop: Header=BB328_208 Depth=1
	v_bfe_u32 v4, v64, 16, 1
	v_add3_u32 v4, v64, v4, s28
                                        ; implicit-def: $vgpr64
; %bb.475:                              ;   in Loop: Header=BB328_208 Depth=1
	s_andn2_saveexec_b64 s[12:13], s[0:1]
; %bb.476:                              ;   in Loop: Header=BB328_208 Depth=1
	v_or_b32_e32 v4, 0x10000, v64
	v_cmp_eq_u32_sdwa s[0:1], v64, v15 src0_sel:WORD_0 src1_sel:DWORD
	s_nop 1
	v_cndmask_b32_e64 v4, v4, v64, s[0:1]
; %bb.477:                              ;   in Loop: Header=BB328_208 Depth=1
	s_or_b64 exec, exec, s[12:13]
	v_lshlrev_b32_e32 v5, 16, v5
	v_mul_f32_e32 v64, v41, v5
	v_and_b32_e32 v5, 0x7f800000, v64
	v_cmp_ne_u32_e64 s[0:1], s22, v5
                                        ; implicit-def: $vgpr5
	s_and_saveexec_b64 s[12:13], s[0:1]
	s_xor_b64 s[0:1], exec, s[12:13]
; %bb.478:                              ;   in Loop: Header=BB328_208 Depth=1
	v_bfe_u32 v5, v64, 16, 1
	v_add3_u32 v5, v64, v5, s28
                                        ; implicit-def: $vgpr64
; %bb.479:                              ;   in Loop: Header=BB328_208 Depth=1
	s_andn2_saveexec_b64 s[12:13], s[0:1]
; %bb.480:                              ;   in Loop: Header=BB328_208 Depth=1
	v_or_b32_e32 v5, 0x10000, v64
	v_cmp_eq_u32_sdwa s[0:1], v64, v15 src0_sel:WORD_0 src1_sel:DWORD
	s_nop 1
	v_cndmask_b32_e64 v5, v5, v64, s[0:1]
; %bb.481:                              ;   in Loop: Header=BB328_208 Depth=1
	s_or_b64 exec, exec, s[12:13]
	v_lshlrev_b32_e32 v64, 16, v66
	v_mul_f32_e32 v65, v42, v64
	v_and_b32_e32 v64, 0x7f800000, v65
	v_cmp_ne_u32_e64 s[0:1], s22, v64
                                        ; implicit-def: $vgpr64
	s_and_saveexec_b64 s[12:13], s[0:1]
	s_xor_b64 s[0:1], exec, s[12:13]
; %bb.482:                              ;   in Loop: Header=BB328_208 Depth=1
	v_bfe_u32 v64, v65, 16, 1
	v_add3_u32 v64, v65, v64, s28
                                        ; implicit-def: $vgpr65
; %bb.483:                              ;   in Loop: Header=BB328_208 Depth=1
	s_andn2_saveexec_b64 s[12:13], s[0:1]
; %bb.484:                              ;   in Loop: Header=BB328_208 Depth=1
	v_or_b32_e32 v64, 0x10000, v65
	v_cmp_eq_u32_sdwa s[0:1], v65, v15 src0_sel:WORD_0 src1_sel:DWORD
	s_nop 1
	v_cndmask_b32_e64 v64, v64, v65, s[0:1]
; %bb.485:                              ;   in Loop: Header=BB328_208 Depth=1
	s_or_b64 exec, exec, s[12:13]
	v_lshlrev_b32_e32 v65, 16, v71
	v_mul_f32_e32 v66, v43, v65
	v_and_b32_e32 v65, 0x7f800000, v66
	v_cmp_ne_u32_e64 s[0:1], s22, v65
                                        ; implicit-def: $vgpr65
	s_and_saveexec_b64 s[12:13], s[0:1]
	s_xor_b64 s[0:1], exec, s[12:13]
; %bb.486:                              ;   in Loop: Header=BB328_208 Depth=1
	v_bfe_u32 v65, v66, 16, 1
	v_add3_u32 v65, v66, v65, s28
                                        ; implicit-def: $vgpr66
; %bb.487:                              ;   in Loop: Header=BB328_208 Depth=1
	s_andn2_saveexec_b64 s[12:13], s[0:1]
; %bb.488:                              ;   in Loop: Header=BB328_208 Depth=1
	v_or_b32_e32 v65, 0x10000, v66
	v_cmp_eq_u32_sdwa s[0:1], v66, v15 src0_sel:WORD_0 src1_sel:DWORD
	s_nop 1
	v_cndmask_b32_e64 v65, v65, v66, s[0:1]
; %bb.489:                              ;   in Loop: Header=BB328_208 Depth=1
	s_or_b64 exec, exec, s[12:13]
	v_lshlrev_b32_e32 v66, 16, v70
	v_mul_f32_e32 v70, v44, v66
	v_and_b32_e32 v66, 0x7f800000, v70
	v_cmp_ne_u32_e64 s[0:1], s22, v66
                                        ; implicit-def: $vgpr66
	s_and_saveexec_b64 s[12:13], s[0:1]
	s_xor_b64 s[0:1], exec, s[12:13]
; %bb.490:                              ;   in Loop: Header=BB328_208 Depth=1
	v_bfe_u32 v66, v70, 16, 1
	v_add3_u32 v66, v70, v66, s28
                                        ; implicit-def: $vgpr70
; %bb.491:                              ;   in Loop: Header=BB328_208 Depth=1
	s_andn2_saveexec_b64 s[12:13], s[0:1]
; %bb.492:                              ;   in Loop: Header=BB328_208 Depth=1
	v_or_b32_e32 v66, 0x10000, v70
	v_cmp_eq_u32_sdwa s[0:1], v70, v15 src0_sel:WORD_0 src1_sel:DWORD
	s_nop 1
	v_cndmask_b32_e64 v66, v66, v70, s[0:1]
; %bb.493:                              ;   in Loop: Header=BB328_208 Depth=1
	s_or_b64 exec, exec, s[12:13]
	v_lshlrev_b32_e32 v67, 16, v67
	v_mul_f32_e32 v70, v45, v67
	v_and_b32_e32 v67, 0x7f800000, v70
	v_cmp_ne_u32_e64 s[0:1], s22, v67
                                        ; implicit-def: $vgpr67
	s_and_saveexec_b64 s[12:13], s[0:1]
	s_xor_b64 s[0:1], exec, s[12:13]
; %bb.494:                              ;   in Loop: Header=BB328_208 Depth=1
	v_bfe_u32 v67, v70, 16, 1
	v_add3_u32 v67, v70, v67, s28
                                        ; implicit-def: $vgpr70
; %bb.495:                              ;   in Loop: Header=BB328_208 Depth=1
	s_andn2_saveexec_b64 s[12:13], s[0:1]
; %bb.496:                              ;   in Loop: Header=BB328_208 Depth=1
	v_or_b32_e32 v67, 0x10000, v70
	v_cmp_eq_u32_sdwa s[0:1], v70, v15 src0_sel:WORD_0 src1_sel:DWORD
	s_nop 1
	v_cndmask_b32_e64 v67, v67, v70, s[0:1]
; %bb.497:                              ;   in Loop: Header=BB328_208 Depth=1
	s_or_b64 exec, exec, s[12:13]
	v_lshlrev_b32_e32 v68, 16, v68
	v_mul_f32_e32 v70, v46, v68
	v_and_b32_e32 v68, 0x7f800000, v70
	v_cmp_ne_u32_e64 s[0:1], s22, v68
                                        ; implicit-def: $vgpr68
	s_and_saveexec_b64 s[12:13], s[0:1]
	s_xor_b64 s[0:1], exec, s[12:13]
; %bb.498:                              ;   in Loop: Header=BB328_208 Depth=1
	v_bfe_u32 v68, v70, 16, 1
	v_add3_u32 v68, v70, v68, s28
                                        ; implicit-def: $vgpr70
; %bb.499:                              ;   in Loop: Header=BB328_208 Depth=1
	s_andn2_saveexec_b64 s[12:13], s[0:1]
; %bb.500:                              ;   in Loop: Header=BB328_208 Depth=1
	v_or_b32_e32 v68, 0x10000, v70
	v_cmp_eq_u32_sdwa s[0:1], v70, v15 src0_sel:WORD_0 src1_sel:DWORD
	s_nop 1
	v_cndmask_b32_e64 v68, v68, v70, s[0:1]
; %bb.501:                              ;   in Loop: Header=BB328_208 Depth=1
	s_or_b64 exec, exec, s[12:13]
	v_lshlrev_b32_e32 v69, 16, v69
	v_mul_f32_e32 v70, v47, v69
	v_and_b32_e32 v69, 0x7f800000, v70
	v_cmp_ne_u32_e64 s[0:1], s22, v69
                                        ; implicit-def: $vgpr69
	s_and_saveexec_b64 s[12:13], s[0:1]
	s_xor_b64 s[0:1], exec, s[12:13]
; %bb.502:                              ;   in Loop: Header=BB328_208 Depth=1
	v_bfe_u32 v69, v70, 16, 1
	v_add3_u32 v69, v70, v69, s28
                                        ; implicit-def: $vgpr70
; %bb.503:                              ;   in Loop: Header=BB328_208 Depth=1
	s_andn2_saveexec_b64 s[12:13], s[0:1]
; %bb.504:                              ;   in Loop: Header=BB328_208 Depth=1
	v_or_b32_e32 v69, 0x10000, v70
	v_cmp_eq_u32_sdwa s[0:1], v70, v15 src0_sel:WORD_0 src1_sel:DWORD
	s_nop 1
	v_cndmask_b32_e64 v69, v69, v70, s[0:1]
; %bb.505:                              ;   in Loop: Header=BB328_208 Depth=1
	s_or_b64 exec, exec, s[12:13]
	global_load_dwordx2 v[2:3], v[2:3], off offset:2048
	s_waitcnt vmcnt(0)
	v_and_b32_e32 v70, 0xff, v2
	v_cvt_f32_fp8_sdwa v70, v70 src0_sel:BYTE_0
	s_nop 0
	v_mul_f32_e32 v71, s29, v70
	v_and_b32_e32 v70, 0x7f800000, v71
	v_cmp_ne_u32_e64 s[0:1], s22, v70
                                        ; implicit-def: $vgpr70
	s_and_saveexec_b64 s[12:13], s[0:1]
	s_xor_b64 s[0:1], exec, s[12:13]
; %bb.506:                              ;   in Loop: Header=BB328_208 Depth=1
	v_bfe_u32 v70, v71, 16, 1
	v_add3_u32 v70, v71, v70, s28
                                        ; implicit-def: $vgpr71
; %bb.507:                              ;   in Loop: Header=BB328_208 Depth=1
	s_andn2_saveexec_b64 s[12:13], s[0:1]
; %bb.508:                              ;   in Loop: Header=BB328_208 Depth=1
	v_or_b32_e32 v70, 0x10000, v71
	v_cmp_eq_u32_sdwa s[0:1], v71, v15 src0_sel:WORD_0 src1_sel:DWORD
	s_nop 1
	v_cndmask_b32_e64 v70, v70, v71, s[0:1]
; %bb.509:                              ;   in Loop: Header=BB328_208 Depth=1
	s_or_b64 exec, exec, s[12:13]
	v_bfe_u32 v71, v2, 8, 8
	v_cvt_f32_fp8_sdwa v71, v71 src0_sel:BYTE_0
	s_nop 0
	v_mul_f32_e32 v72, s29, v71
	v_and_b32_e32 v71, 0x7f800000, v72
	v_cmp_ne_u32_e64 s[0:1], s22, v71
                                        ; implicit-def: $vgpr71
	s_and_saveexec_b64 s[12:13], s[0:1]
	s_xor_b64 s[0:1], exec, s[12:13]
; %bb.510:                              ;   in Loop: Header=BB328_208 Depth=1
	v_bfe_u32 v71, v72, 16, 1
	v_add3_u32 v71, v72, v71, s28
                                        ; implicit-def: $vgpr72
; %bb.511:                              ;   in Loop: Header=BB328_208 Depth=1
	s_andn2_saveexec_b64 s[12:13], s[0:1]
; %bb.512:                              ;   in Loop: Header=BB328_208 Depth=1
	v_or_b32_e32 v71, 0x10000, v72
	v_cmp_eq_u32_sdwa s[0:1], v72, v15 src0_sel:WORD_0 src1_sel:DWORD
	s_nop 1
	v_cndmask_b32_e64 v71, v71, v72, s[0:1]
; %bb.513:                              ;   in Loop: Header=BB328_208 Depth=1
	s_or_b64 exec, exec, s[12:13]
	v_bfe_u32 v72, v2, 16, 8
	v_cvt_f32_fp8_sdwa v72, v72 src0_sel:BYTE_0
	s_nop 0
	v_mul_f32_e32 v72, s29, v72
	v_and_b32_e32 v73, 0x7f800000, v72
	v_cmp_ne_u32_e64 s[0:1], s22, v73
                                        ; implicit-def: $vgpr73
	s_and_saveexec_b64 s[12:13], s[0:1]
	s_xor_b64 s[0:1], exec, s[12:13]
; %bb.514:                              ;   in Loop: Header=BB328_208 Depth=1
	v_bfe_u32 v73, v72, 16, 1
	v_add3_u32 v73, v72, v73, s28
                                        ; implicit-def: $vgpr72
; %bb.515:                              ;   in Loop: Header=BB328_208 Depth=1
	s_andn2_saveexec_b64 s[12:13], s[0:1]
; %bb.516:                              ;   in Loop: Header=BB328_208 Depth=1
	v_or_b32_e32 v73, 0x10000, v72
	v_cmp_eq_u32_sdwa s[0:1], v72, v15 src0_sel:WORD_0 src1_sel:DWORD
	s_nop 1
	v_cndmask_b32_e64 v73, v73, v72, s[0:1]
; %bb.517:                              ;   in Loop: Header=BB328_208 Depth=1
	s_or_b64 exec, exec, s[12:13]
	v_lshrrev_b32_e32 v2, 24, v2
	v_cvt_f32_fp8_sdwa v2, v2 src0_sel:BYTE_0
	s_nop 0
	v_mul_f32_e32 v72, s29, v2
	v_and_b32_e32 v2, 0x7f800000, v72
	v_cmp_ne_u32_e64 s[0:1], s22, v2
                                        ; implicit-def: $vgpr2
	s_and_saveexec_b64 s[12:13], s[0:1]
	s_xor_b64 s[0:1], exec, s[12:13]
; %bb.518:                              ;   in Loop: Header=BB328_208 Depth=1
	v_bfe_u32 v2, v72, 16, 1
	v_add3_u32 v2, v72, v2, s28
                                        ; implicit-def: $vgpr72
; %bb.519:                              ;   in Loop: Header=BB328_208 Depth=1
	s_andn2_saveexec_b64 s[12:13], s[0:1]
; %bb.520:                              ;   in Loop: Header=BB328_208 Depth=1
	v_or_b32_e32 v2, 0x10000, v72
	v_cmp_eq_u32_sdwa s[0:1], v72, v15 src0_sel:WORD_0 src1_sel:DWORD
	s_nop 1
	v_cndmask_b32_e64 v2, v2, v72, s[0:1]
; %bb.521:                              ;   in Loop: Header=BB328_208 Depth=1
	s_or_b64 exec, exec, s[12:13]
	v_and_b32_e32 v72, 0xff, v3
	v_cvt_f32_fp8_sdwa v72, v72 src0_sel:BYTE_0
	s_nop 0
	v_mul_f32_e32 v72, s29, v72
	v_and_b32_e32 v74, 0x7f800000, v72
	v_cmp_ne_u32_e64 s[0:1], s22, v74
                                        ; implicit-def: $vgpr74
	s_and_saveexec_b64 s[12:13], s[0:1]
	s_xor_b64 s[0:1], exec, s[12:13]
; %bb.522:                              ;   in Loop: Header=BB328_208 Depth=1
	v_bfe_u32 v74, v72, 16, 1
	v_add3_u32 v74, v72, v74, s28
                                        ; implicit-def: $vgpr72
; %bb.523:                              ;   in Loop: Header=BB328_208 Depth=1
	s_andn2_saveexec_b64 s[12:13], s[0:1]
; %bb.524:                              ;   in Loop: Header=BB328_208 Depth=1
	v_or_b32_e32 v74, 0x10000, v72
	v_cmp_eq_u32_sdwa s[0:1], v72, v15 src0_sel:WORD_0 src1_sel:DWORD
	s_nop 1
	v_cndmask_b32_e64 v74, v74, v72, s[0:1]
; %bb.525:                              ;   in Loop: Header=BB328_208 Depth=1
	s_or_b64 exec, exec, s[12:13]
	v_bfe_u32 v72, v3, 8, 8
	v_cvt_f32_fp8_sdwa v72, v72 src0_sel:BYTE_0
	s_nop 0
	v_mul_f32_e32 v75, s29, v72
	v_and_b32_e32 v72, 0x7f800000, v75
	v_cmp_ne_u32_e64 s[0:1], s22, v72
                                        ; implicit-def: $vgpr72
	s_and_saveexec_b64 s[12:13], s[0:1]
	s_xor_b64 s[0:1], exec, s[12:13]
; %bb.526:                              ;   in Loop: Header=BB328_208 Depth=1
	v_bfe_u32 v72, v75, 16, 1
	v_add3_u32 v72, v75, v72, s28
                                        ; implicit-def: $vgpr75
; %bb.527:                              ;   in Loop: Header=BB328_208 Depth=1
	s_andn2_saveexec_b64 s[12:13], s[0:1]
; %bb.528:                              ;   in Loop: Header=BB328_208 Depth=1
	v_or_b32_e32 v72, 0x10000, v75
	v_cmp_eq_u32_sdwa s[0:1], v75, v15 src0_sel:WORD_0 src1_sel:DWORD
	s_nop 1
	v_cndmask_b32_e64 v72, v72, v75, s[0:1]
; %bb.529:                              ;   in Loop: Header=BB328_208 Depth=1
	s_or_b64 exec, exec, s[12:13]
	v_bfe_u32 v75, v3, 16, 8
	v_cvt_f32_fp8_sdwa v75, v75 src0_sel:BYTE_0
	s_nop 0
	v_mul_f32_e32 v75, s29, v75
	v_and_b32_e32 v76, 0x7f800000, v75
	v_cmp_ne_u32_e64 s[0:1], s22, v76
                                        ; implicit-def: $vgpr76
	s_and_saveexec_b64 s[12:13], s[0:1]
	s_xor_b64 s[0:1], exec, s[12:13]
; %bb.530:                              ;   in Loop: Header=BB328_208 Depth=1
	v_bfe_u32 v76, v75, 16, 1
	v_add3_u32 v76, v75, v76, s28
                                        ; implicit-def: $vgpr75
; %bb.531:                              ;   in Loop: Header=BB328_208 Depth=1
	s_andn2_saveexec_b64 s[12:13], s[0:1]
; %bb.532:                              ;   in Loop: Header=BB328_208 Depth=1
	v_or_b32_e32 v76, 0x10000, v75
	v_cmp_eq_u32_sdwa s[0:1], v75, v15 src0_sel:WORD_0 src1_sel:DWORD
	s_nop 1
	v_cndmask_b32_e64 v76, v76, v75, s[0:1]
; %bb.533:                              ;   in Loop: Header=BB328_208 Depth=1
	s_or_b64 exec, exec, s[12:13]
	v_lshrrev_b32_e32 v3, 24, v3
	v_cvt_f32_fp8_sdwa v3, v3 src0_sel:BYTE_0
                                        ; implicit-def: $vgpr77
	s_nop 0
	v_mul_f32_e32 v3, s29, v3
	v_and_b32_e32 v75, 0x7f800000, v3
	v_cmp_ne_u32_e64 s[0:1], s22, v75
	s_and_saveexec_b64 s[12:13], s[0:1]
	s_xor_b64 s[0:1], exec, s[12:13]
; %bb.534:                              ;   in Loop: Header=BB328_208 Depth=1
	v_bfe_u32 v75, v3, 16, 1
	v_add3_u32 v77, v3, v75, s28
                                        ; implicit-def: $vgpr3
; %bb.535:                              ;   in Loop: Header=BB328_208 Depth=1
	s_andn2_saveexec_b64 s[12:13], s[0:1]
; %bb.536:                              ;   in Loop: Header=BB328_208 Depth=1
	v_or_b32_e32 v75, 0x10000, v3
	v_cmp_eq_u32_sdwa s[0:1], v3, v15 src0_sel:WORD_0 src1_sel:DWORD
	s_nop 1
	v_cndmask_b32_e64 v77, v75, v3, s[0:1]
; %bb.537:                              ;   in Loop: Header=BB328_208 Depth=1
	s_or_b64 exec, exec, s[12:13]
	v_lshrrev_b32_e32 v72, 16, v72
	v_lshrrev_b32_e32 v74, 16, v74
	;; [unrolled: 1-line block ×8, first 2 shown]
	s_and_saveexec_b64 s[0:1], vcc
	s_cbranch_execz .LBB328_539
; %bb.538:                              ;   in Loop: Header=BB328_208 Depth=1
	v_cmp_gt_i32_e32 vcc, s33, v32
	s_nop 1
	v_cndmask_b32_e32 v2, 0, v2, vcc
	v_cmp_gt_i32_e32 vcc, s33, v39
	s_nop 1
	v_cndmask_b32_e32 v3, 0, v3, vcc
	;; [unrolled: 3-line block ×8, first 2 shown]
.LBB328_539:                            ;   in Loop: Header=BB328_208 Depth=1
	s_or_b64 exec, exec, s[0:1]
	v_lshlrev_b32_e32 v2, 16, v2
	v_mul_f32_e32 v32, v40, v2
	v_and_b32_e32 v2, 0x7f800000, v32
	v_cmp_ne_u32_e32 vcc, s22, v2
                                        ; implicit-def: $vgpr2
	s_and_saveexec_b64 s[0:1], vcc
	s_xor_b64 s[0:1], exec, s[0:1]
; %bb.540:                              ;   in Loop: Header=BB328_208 Depth=1
	v_bfe_u32 v2, v32, 16, 1
	v_add3_u32 v2, v32, v2, s28
                                        ; implicit-def: $vgpr32
; %bb.541:                              ;   in Loop: Header=BB328_208 Depth=1
	s_andn2_saveexec_b64 s[0:1], s[0:1]
; %bb.542:                              ;   in Loop: Header=BB328_208 Depth=1
	v_or_b32_e32 v2, 0x10000, v32
	v_cmp_eq_u32_sdwa vcc, v32, v15 src0_sel:WORD_0 src1_sel:DWORD
	s_nop 1
	v_cndmask_b32_e32 v2, v2, v32, vcc
; %bb.543:                              ;   in Loop: Header=BB328_208 Depth=1
	s_or_b64 exec, exec, s[0:1]
	v_lshlrev_b32_e32 v3, 16, v3
	v_mul_f32_e32 v32, v41, v3
	v_and_b32_e32 v3, 0x7f800000, v32
	v_cmp_ne_u32_e32 vcc, s22, v3
                                        ; implicit-def: $vgpr3
	s_and_saveexec_b64 s[0:1], vcc
	s_xor_b64 s[0:1], exec, s[0:1]
; %bb.544:                              ;   in Loop: Header=BB328_208 Depth=1
	v_bfe_u32 v3, v32, 16, 1
	v_add3_u32 v3, v32, v3, s28
                                        ; implicit-def: $vgpr32
; %bb.545:                              ;   in Loop: Header=BB328_208 Depth=1
	s_andn2_saveexec_b64 s[0:1], s[0:1]
; %bb.546:                              ;   in Loop: Header=BB328_208 Depth=1
	v_or_b32_e32 v3, 0x10000, v32
	v_cmp_eq_u32_sdwa vcc, v32, v15 src0_sel:WORD_0 src1_sel:DWORD
	s_nop 1
	v_cndmask_b32_e32 v3, v3, v32, vcc
; %bb.547:                              ;   in Loop: Header=BB328_208 Depth=1
	s_or_b64 exec, exec, s[0:1]
	v_lshlrev_b32_e32 v32, 16, v73
	v_mul_f32_e32 v33, v42, v32
	v_and_b32_e32 v32, 0x7f800000, v33
	v_cmp_ne_u32_e32 vcc, s22, v32
                                        ; implicit-def: $vgpr32
	s_and_saveexec_b64 s[0:1], vcc
	s_xor_b64 s[0:1], exec, s[0:1]
; %bb.548:                              ;   in Loop: Header=BB328_208 Depth=1
	v_bfe_u32 v32, v33, 16, 1
	v_add3_u32 v32, v33, v32, s28
                                        ; implicit-def: $vgpr33
; %bb.549:                              ;   in Loop: Header=BB328_208 Depth=1
	s_andn2_saveexec_b64 s[0:1], s[0:1]
; %bb.550:                              ;   in Loop: Header=BB328_208 Depth=1
	v_or_b32_e32 v32, 0x10000, v33
	v_cmp_eq_u32_sdwa vcc, v33, v15 src0_sel:WORD_0 src1_sel:DWORD
	s_nop 1
	v_cndmask_b32_e32 v32, v32, v33, vcc
; %bb.551:                              ;   in Loop: Header=BB328_208 Depth=1
	s_or_b64 exec, exec, s[0:1]
	v_lshlrev_b32_e32 v33, 16, v75
	v_mul_f32_e32 v34, v43, v33
	v_and_b32_e32 v33, 0x7f800000, v34
	v_cmp_ne_u32_e32 vcc, s22, v33
                                        ; implicit-def: $vgpr33
	s_and_saveexec_b64 s[0:1], vcc
	s_xor_b64 s[0:1], exec, s[0:1]
; %bb.552:                              ;   in Loop: Header=BB328_208 Depth=1
	v_bfe_u32 v33, v34, 16, 1
	v_add3_u32 v33, v34, v33, s28
                                        ; implicit-def: $vgpr34
; %bb.553:                              ;   in Loop: Header=BB328_208 Depth=1
	s_andn2_saveexec_b64 s[0:1], s[0:1]
; %bb.554:                              ;   in Loop: Header=BB328_208 Depth=1
	v_or_b32_e32 v33, 0x10000, v34
	v_cmp_eq_u32_sdwa vcc, v34, v15 src0_sel:WORD_0 src1_sel:DWORD
	s_nop 1
	v_cndmask_b32_e32 v33, v33, v34, vcc
; %bb.555:                              ;   in Loop: Header=BB328_208 Depth=1
	s_or_b64 exec, exec, s[0:1]
	v_lshlrev_b32_e32 v34, 16, v74
	v_mul_f32_e32 v35, v44, v34
	v_and_b32_e32 v34, 0x7f800000, v35
	v_cmp_ne_u32_e32 vcc, s22, v34
                                        ; implicit-def: $vgpr34
	s_and_saveexec_b64 s[0:1], vcc
	s_xor_b64 s[0:1], exec, s[0:1]
; %bb.556:                              ;   in Loop: Header=BB328_208 Depth=1
	v_bfe_u32 v34, v35, 16, 1
	v_add3_u32 v34, v35, v34, s28
                                        ; implicit-def: $vgpr35
; %bb.557:                              ;   in Loop: Header=BB328_208 Depth=1
	s_andn2_saveexec_b64 s[0:1], s[0:1]
; %bb.558:                              ;   in Loop: Header=BB328_208 Depth=1
	v_or_b32_e32 v34, 0x10000, v35
	v_cmp_eq_u32_sdwa vcc, v35, v15 src0_sel:WORD_0 src1_sel:DWORD
	s_nop 1
	v_cndmask_b32_e32 v34, v34, v35, vcc
; %bb.559:                              ;   in Loop: Header=BB328_208 Depth=1
	s_or_b64 exec, exec, s[0:1]
	v_lshlrev_b32_e32 v35, 16, v72
	v_mul_f32_e32 v36, v45, v35
	v_and_b32_e32 v35, 0x7f800000, v36
	v_cmp_ne_u32_e32 vcc, s22, v35
                                        ; implicit-def: $vgpr35
	s_and_saveexec_b64 s[0:1], vcc
	s_xor_b64 s[0:1], exec, s[0:1]
; %bb.560:                              ;   in Loop: Header=BB328_208 Depth=1
	v_bfe_u32 v35, v36, 16, 1
	v_add3_u32 v35, v36, v35, s28
                                        ; implicit-def: $vgpr36
; %bb.561:                              ;   in Loop: Header=BB328_208 Depth=1
	s_andn2_saveexec_b64 s[0:1], s[0:1]
; %bb.562:                              ;   in Loop: Header=BB328_208 Depth=1
	v_or_b32_e32 v35, 0x10000, v36
	v_cmp_eq_u32_sdwa vcc, v36, v15 src0_sel:WORD_0 src1_sel:DWORD
	s_nop 1
	v_cndmask_b32_e32 v35, v35, v36, vcc
; %bb.563:                              ;   in Loop: Header=BB328_208 Depth=1
	s_or_b64 exec, exec, s[0:1]
	v_lshlrev_b32_e32 v36, 16, v71
	v_mul_f32_e32 v37, v46, v36
	v_and_b32_e32 v36, 0x7f800000, v37
	v_cmp_ne_u32_e32 vcc, s22, v36
                                        ; implicit-def: $vgpr36
	s_and_saveexec_b64 s[0:1], vcc
	s_xor_b64 s[0:1], exec, s[0:1]
; %bb.564:                              ;   in Loop: Header=BB328_208 Depth=1
	v_bfe_u32 v36, v37, 16, 1
	v_add3_u32 v36, v37, v36, s28
                                        ; implicit-def: $vgpr37
; %bb.565:                              ;   in Loop: Header=BB328_208 Depth=1
	s_andn2_saveexec_b64 s[0:1], s[0:1]
; %bb.566:                              ;   in Loop: Header=BB328_208 Depth=1
	v_or_b32_e32 v36, 0x10000, v37
	v_cmp_eq_u32_sdwa vcc, v37, v15 src0_sel:WORD_0 src1_sel:DWORD
	s_nop 1
	v_cndmask_b32_e32 v36, v36, v37, vcc
; %bb.567:                              ;   in Loop: Header=BB328_208 Depth=1
	s_or_b64 exec, exec, s[0:1]
	v_lshlrev_b32_e32 v37, 16, v70
	v_mul_f32_e32 v38, v47, v37
	v_and_b32_e32 v37, 0x7f800000, v38
	v_cmp_ne_u32_e32 vcc, s22, v37
                                        ; implicit-def: $vgpr37
	s_and_saveexec_b64 s[0:1], vcc
	s_xor_b64 s[0:1], exec, s[0:1]
; %bb.568:                              ;   in Loop: Header=BB328_208 Depth=1
	v_bfe_u32 v37, v38, 16, 1
	v_add3_u32 v37, v38, v37, s28
                                        ; implicit-def: $vgpr38
; %bb.569:                              ;   in Loop: Header=BB328_208 Depth=1
	s_andn2_saveexec_b64 s[0:1], s[0:1]
	s_cbranch_execz .LBB328_206
; %bb.570:                              ;   in Loop: Header=BB328_208 Depth=1
	v_or_b32_e32 v37, 0x10000, v38
	v_cmp_eq_u32_sdwa vcc, v38, v15 src0_sel:WORD_0 src1_sel:DWORD
	s_nop 1
	v_cndmask_b32_e32 v37, v37, v38, vcc
	s_branch .LBB328_206
.LBB328_571:
	s_or_b64 exec, exec, s[6:7]
.LBB328_572:
	s_or_b64 exec, exec, s[2:3]
	ds_bpermute_b32 v2, v21, v12
	ds_bpermute_b32 v3, v21, v13
	;; [unrolled: 1-line block ×5, first 2 shown]
	s_waitcnt lgkmcnt(0)
	v_pk_add_f32 v[2:3], v[12:13], v[2:3]
	ds_bpermute_b32 v6, v22, v2
	v_pk_add_f32 v[4:5], v[10:11], v[4:5]
	v_add_f32_e32 v1, v14, v1
	ds_bpermute_b32 v7, v22, v3
	ds_bpermute_b32 v8, v22, v4
	;; [unrolled: 1-line block ×4, first 2 shown]
	s_barrier
	s_waitcnt lgkmcnt(3)
	v_pk_add_f32 v[6:7], v[2:3], v[6:7]
	s_waitcnt lgkmcnt(0)
	v_pk_add_f32 v[2:3], v[4:5], v[8:9]
	v_add_f32_e32 v4, v1, v10
	v_and_b32_e32 v1, 0x3c3, v0
	v_cmp_eq_u32_e32 vcc, 64, v1
	s_and_saveexec_b64 s[0:1], vcc
	s_cbranch_execz .LBB328_574
; %bb.573:
	v_add_u32_e32 v1, 0xb0, v20
	ds_write2_b32 v1, v6, v7 offset1:16
	ds_write2_b32 v1, v2, v3 offset0:32 offset1:48
	ds_write_b32 v1, v4 offset:256
.LBB328_574:
	s_or_b64 exec, exec, s[0:1]
	v_cmp_gt_u32_e32 vcc, 64, v0
	s_waitcnt lgkmcnt(0)
	s_barrier
	s_and_saveexec_b64 s[2:3], vcc
	s_cbranch_execz .LBB328_582
; %bb.575:
	v_cmp_eq_u32_e64 s[0:1], 0, v23
	v_lshrrev_b32_e32 v1, 2, v0
	s_and_saveexec_b64 s[6:7], s[0:1]
	s_cbranch_execnz .LBB328_606
; %bb.576:
	s_or_b64 exec, exec, s[6:7]
	s_and_saveexec_b64 s[6:7], s[0:1]
	s_cbranch_execnz .LBB328_607
.LBB328_577:
	s_or_b64 exec, exec, s[6:7]
	s_and_saveexec_b64 s[6:7], s[0:1]
	s_cbranch_execnz .LBB328_608
.LBB328_578:
	s_or_b64 exec, exec, s[6:7]
	s_and_saveexec_b64 s[6:7], s[0:1]
	s_cbranch_execnz .LBB328_609
.LBB328_579:
	s_or_b64 exec, exec, s[6:7]
	s_and_saveexec_b64 s[6:7], s[0:1]
	s_cbranch_execz .LBB328_581
.LBB328_580:
	v_mov_b32_e32 v5, 0xb0
	v_lshl_add_u32 v1, v1, 2, v5
	ds_read_b32 v1, v1 offset:256
	s_waitcnt lgkmcnt(0)
	v_add_f32_e32 v4, v4, v1
.LBB328_581:
	s_or_b64 exec, exec, s[6:7]
.LBB328_582:
	s_or_b64 exec, exec, s[2:3]
	s_barrier
	s_and_saveexec_b64 s[0:1], vcc
	s_cbranch_execz .LBB328_605
; %bb.583:
	v_cmp_eq_u32_e32 vcc, 0, v23
	s_and_b64 exec, exec, vcc
	s_cbranch_execz .LBB328_605
; %bb.584:
	s_mov_b32 s0, 0x7f800000
	v_and_b32_e32 v1, 0x7f800000, v6
	v_cmp_ne_u32_e32 vcc, s0, v1
                                        ; implicit-def: $vgpr5
	s_and_saveexec_b64 s[0:1], vcc
	s_xor_b64 s[0:1], exec, s[0:1]
; %bb.585:
	v_bfe_u32 v1, v6, 16, 1
	s_movk_i32 s2, 0x7fff
	v_add3_u32 v5, v6, v1, s2
; %bb.586:
	s_andn2_saveexec_b64 s[0:1], s[0:1]
; %bb.587:
	v_mov_b32_e32 v1, 0
	v_or_b32_e32 v5, 0x10000, v6
	v_cmp_eq_u32_sdwa vcc, v6, v1 src0_sel:WORD_0 src1_sel:DWORD
	s_nop 1
	v_cndmask_b32_e32 v5, v5, v6, vcc
; %bb.588:
	s_or_b64 exec, exec, s[0:1]
	s_mul_i32 s0, s10, s11
	s_mul_i32 s0, s0, s5
	s_mulk_i32 s0, 0x50
	s_ashr_i32 s1, s0, 31
	s_lshl_b64 s[0:1], s[0:1], 1
	s_add_u32 s2, s26, s0
	s_mul_i32 s0, s11, s24
	s_addc_u32 s3, s27, s1
	s_ashr_i32 s1, s0, 31
	s_lshl_b64 s[0:1], s[0:1], 1
	s_add_u32 s2, s2, s0
	s_mul_i32 s0, s4, 0x50
	s_addc_u32 s3, s3, s1
	s_ashr_i32 s1, s0, 31
	s_lshl_b64 s[0:1], s[0:1], 1
	s_add_u32 s0, s2, s0
	v_lshrrev_b32_e32 v0, 1, v0
	s_addc_u32 s1, s3, s1
	v_and_b32_e32 v0, 0x1fe, v0
	global_store_short_d16_hi v0, v5, s[0:1]
	s_mov_b32 s2, 0x7f800000
	v_and_b32_e32 v5, 0x7f800000, v7
	v_mov_b32_e32 v1, 0
	v_cmp_ne_u32_e32 vcc, s2, v5
                                        ; implicit-def: $vgpr5
	s_and_saveexec_b64 s[2:3], vcc
	s_xor_b64 s[2:3], exec, s[2:3]
; %bb.589:
	v_bfe_u32 v5, v7, 16, 1
	s_movk_i32 s4, 0x7fff
	v_add3_u32 v5, v7, v5, s4
; %bb.590:
	s_or_saveexec_b64 s[2:3], s[2:3]
	v_lshl_add_u64 v[8:9], s[0:1], 0, v[0:1]
	s_xor_b64 exec, exec, s[2:3]
; %bb.591:
	v_mov_b32_e32 v0, 0
	v_or_b32_e32 v1, 0x10000, v7
	v_cmp_eq_u32_sdwa vcc, v7, v0 src0_sel:WORD_0 src1_sel:DWORD
	s_nop 1
	v_cndmask_b32_e32 v5, v1, v7, vcc
; %bb.592:
	s_or_b64 exec, exec, s[2:3]
	s_mov_b32 s0, 0x7f800000
	v_and_b32_e32 v0, 0x7f800000, v2
	v_cmp_ne_u32_e32 vcc, s0, v0
	global_store_short_d16_hi v[8:9], v5, off offset:32
                                        ; implicit-def: $vgpr0
	s_and_saveexec_b64 s[0:1], vcc
	s_xor_b64 s[0:1], exec, s[0:1]
; %bb.593:
	v_bfe_u32 v0, v2, 16, 1
	s_movk_i32 s2, 0x7fff
	v_add3_u32 v0, v2, v0, s2
; %bb.594:
	s_andn2_saveexec_b64 s[0:1], s[0:1]
; %bb.595:
	v_mov_b32_e32 v0, 0
	v_or_b32_e32 v1, 0x10000, v2
	v_cmp_eq_u32_sdwa vcc, v2, v0 src0_sel:WORD_0 src1_sel:DWORD
	s_nop 1
	v_cndmask_b32_e32 v0, v1, v2, vcc
; %bb.596:
	s_or_b64 exec, exec, s[0:1]
	global_store_short_d16_hi v[8:9], v0, off offset:64
	s_mov_b32 s0, 0x7f800000
	v_and_b32_e32 v0, 0x7f800000, v3
	v_cmp_ne_u32_e32 vcc, s0, v0
                                        ; implicit-def: $vgpr0
	s_and_saveexec_b64 s[0:1], vcc
	s_xor_b64 s[0:1], exec, s[0:1]
; %bb.597:
	v_bfe_u32 v0, v3, 16, 1
	s_movk_i32 s2, 0x7fff
	v_add3_u32 v0, v3, v0, s2
; %bb.598:
	s_andn2_saveexec_b64 s[0:1], s[0:1]
; %bb.599:
	v_mov_b32_e32 v0, 0
	v_or_b32_e32 v1, 0x10000, v3
	v_cmp_eq_u32_sdwa vcc, v3, v0 src0_sel:WORD_0 src1_sel:DWORD
	s_nop 1
	v_cndmask_b32_e32 v0, v1, v3, vcc
; %bb.600:
	s_or_b64 exec, exec, s[0:1]
	global_store_short_d16_hi v[8:9], v0, off offset:96
	s_mov_b32 s0, 0x7f800000
	v_and_b32_e32 v0, 0x7f800000, v4
	v_cmp_ne_u32_e32 vcc, s0, v0
                                        ; implicit-def: $vgpr5
	s_and_saveexec_b64 s[0:1], vcc
	s_xor_b64 s[0:1], exec, s[0:1]
; %bb.601:
	v_bfe_u32 v0, v4, 16, 1
	s_movk_i32 s2, 0x7fff
	v_add3_u32 v5, v4, v0, s2
                                        ; implicit-def: $vgpr0_vgpr1_vgpr2_vgpr3_vgpr4
; %bb.602:
	s_andn2_saveexec_b64 s[0:1], s[0:1]
; %bb.603:
	v_mov_b32_e32 v0, 0
	v_or_b32_e32 v1, 0x10000, v4
	v_cmp_eq_u32_sdwa vcc, v4, v0 src0_sel:WORD_0 src1_sel:DWORD
	s_nop 1
	v_cndmask_b32_e32 v5, v1, v4, vcc
; %bb.604:
	s_or_b64 exec, exec, s[0:1]
	global_store_short_d16_hi v[8:9], v5, off offset:128
.LBB328_605:
	s_endpgm
.LBB328_606:
	v_mov_b32_e32 v5, 0xb0
	v_lshl_add_u32 v5, v1, 2, v5
	ds_read_b32 v5, v5
	s_waitcnt lgkmcnt(0)
	v_add_f32_e32 v6, v6, v5
	s_or_b64 exec, exec, s[6:7]
	s_and_saveexec_b64 s[6:7], s[0:1]
	s_cbranch_execz .LBB328_577
.LBB328_607:
	v_mov_b32_e32 v5, 0xb0
	v_lshl_add_u32 v5, v1, 2, v5
	ds_read_b32 v5, v5 offset:64
	s_waitcnt lgkmcnt(0)
	v_add_f32_e32 v7, v7, v5
	s_or_b64 exec, exec, s[6:7]
	s_and_saveexec_b64 s[6:7], s[0:1]
	s_cbranch_execz .LBB328_578
.LBB328_608:
	v_mov_b32_e32 v5, 0xb0
	v_lshl_add_u32 v5, v1, 2, v5
	ds_read_b32 v5, v5 offset:128
	s_waitcnt lgkmcnt(0)
	v_add_f32_e32 v2, v2, v5
	s_or_b64 exec, exec, s[6:7]
	s_and_saveexec_b64 s[6:7], s[0:1]
	s_cbranch_execz .LBB328_579
.LBB328_609:
	v_mov_b32_e32 v5, 0xb0
	v_lshl_add_u32 v5, v1, 2, v5
	ds_read_b32 v5, v5 offset:192
	s_waitcnt lgkmcnt(0)
	v_add_f32_e32 v3, v3, v5
	s_or_b64 exec, exec, s[6:7]
	s_and_saveexec_b64 s[6:7], s[0:1]
	s_cbranch_execnz .LBB328_580
	s_branch .LBB328_581
	.section	.rodata,"a",@progbits
	.p2align	6, 0x0
	.amdhsa_kernel _ZN4vllm25paged_attention_v1_kernelI14__hip_bfloat16hLi80ELi32ELi128ELNS_18Fp8KVCacheDataTypeE1ELb1EEEvPT_PKS3_PKT0_S9_ifPKiSB_iPKfiiiSD_SD_iiiii
		.amdhsa_group_segment_fixed_size 176
		.amdhsa_private_segment_fixed_size 0
		.amdhsa_kernarg_size 384
		.amdhsa_user_sgpr_count 2
		.amdhsa_user_sgpr_dispatch_ptr 0
		.amdhsa_user_sgpr_queue_ptr 0
		.amdhsa_user_sgpr_kernarg_segment_ptr 1
		.amdhsa_user_sgpr_dispatch_id 0
		.amdhsa_user_sgpr_kernarg_preload_length 0
		.amdhsa_user_sgpr_kernarg_preload_offset 0
		.amdhsa_user_sgpr_private_segment_size 0
		.amdhsa_uses_dynamic_stack 0
		.amdhsa_enable_private_segment 0
		.amdhsa_system_sgpr_workgroup_id_x 1
		.amdhsa_system_sgpr_workgroup_id_y 1
		.amdhsa_system_sgpr_workgroup_id_z 1
		.amdhsa_system_sgpr_workgroup_info 0
		.amdhsa_system_vgpr_workitem_id 0
		.amdhsa_next_free_vgpr 104
		.amdhsa_next_free_sgpr 51
		.amdhsa_accum_offset 104
		.amdhsa_reserve_vcc 1
		.amdhsa_float_round_mode_32 0
		.amdhsa_float_round_mode_16_64 0
		.amdhsa_float_denorm_mode_32 3
		.amdhsa_float_denorm_mode_16_64 3
		.amdhsa_dx10_clamp 1
		.amdhsa_ieee_mode 1
		.amdhsa_fp16_overflow 0
		.amdhsa_tg_split 0
		.amdhsa_exception_fp_ieee_invalid_op 0
		.amdhsa_exception_fp_denorm_src 0
		.amdhsa_exception_fp_ieee_div_zero 0
		.amdhsa_exception_fp_ieee_overflow 0
		.amdhsa_exception_fp_ieee_underflow 0
		.amdhsa_exception_fp_ieee_inexact 0
		.amdhsa_exception_int_div_zero 0
	.end_amdhsa_kernel
	.section	.text._ZN4vllm25paged_attention_v1_kernelI14__hip_bfloat16hLi80ELi32ELi128ELNS_18Fp8KVCacheDataTypeE1ELb1EEEvPT_PKS3_PKT0_S9_ifPKiSB_iPKfiiiSD_SD_iiiii,"axG",@progbits,_ZN4vllm25paged_attention_v1_kernelI14__hip_bfloat16hLi80ELi32ELi128ELNS_18Fp8KVCacheDataTypeE1ELb1EEEvPT_PKS3_PKT0_S9_ifPKiSB_iPKfiiiSD_SD_iiiii,comdat
.Lfunc_end328:
	.size	_ZN4vllm25paged_attention_v1_kernelI14__hip_bfloat16hLi80ELi32ELi128ELNS_18Fp8KVCacheDataTypeE1ELb1EEEvPT_PKS3_PKT0_S9_ifPKiSB_iPKfiiiSD_SD_iiiii, .Lfunc_end328-_ZN4vllm25paged_attention_v1_kernelI14__hip_bfloat16hLi80ELi32ELi128ELNS_18Fp8KVCacheDataTypeE1ELb1EEEvPT_PKS3_PKT0_S9_ifPKiSB_iPKfiiiSD_SD_iiiii
                                        ; -- End function
	.section	.AMDGPU.csdata,"",@progbits
; Kernel info:
; codeLenInByte = 18616
; NumSgprs: 57
; NumVgprs: 104
; NumAgprs: 0
; TotalNumVgprs: 104
; ScratchSize: 0
; MemoryBound: 0
; FloatMode: 240
; IeeeMode: 1
; LDSByteSize: 176 bytes/workgroup (compile time only)
; SGPRBlocks: 7
; VGPRBlocks: 12
; NumSGPRsForWavesPerEU: 57
; NumVGPRsForWavesPerEU: 104
; AccumOffset: 104
; Occupancy: 4
; WaveLimiterHint : 1
; COMPUTE_PGM_RSRC2:SCRATCH_EN: 0
; COMPUTE_PGM_RSRC2:USER_SGPR: 2
; COMPUTE_PGM_RSRC2:TRAP_HANDLER: 0
; COMPUTE_PGM_RSRC2:TGID_X_EN: 1
; COMPUTE_PGM_RSRC2:TGID_Y_EN: 1
; COMPUTE_PGM_RSRC2:TGID_Z_EN: 1
; COMPUTE_PGM_RSRC2:TIDIG_COMP_CNT: 0
; COMPUTE_PGM_RSRC3_GFX90A:ACCUM_OFFSET: 25
; COMPUTE_PGM_RSRC3_GFX90A:TG_SPLIT: 0
	.section	.text._ZN4vllm25paged_attention_v1_kernelI14__hip_bfloat16hLi96ELi32ELi128ELNS_18Fp8KVCacheDataTypeE1ELb1EEEvPT_PKS3_PKT0_S9_ifPKiSB_iPKfiiiSD_SD_iiiii,"axG",@progbits,_ZN4vllm25paged_attention_v1_kernelI14__hip_bfloat16hLi96ELi32ELi128ELNS_18Fp8KVCacheDataTypeE1ELb1EEEvPT_PKS3_PKT0_S9_ifPKiSB_iPKfiiiSD_SD_iiiii,comdat
	.protected	_ZN4vllm25paged_attention_v1_kernelI14__hip_bfloat16hLi96ELi32ELi128ELNS_18Fp8KVCacheDataTypeE1ELb1EEEvPT_PKS3_PKT0_S9_ifPKiSB_iPKfiiiSD_SD_iiiii ; -- Begin function _ZN4vllm25paged_attention_v1_kernelI14__hip_bfloat16hLi96ELi32ELi128ELNS_18Fp8KVCacheDataTypeE1ELb1EEEvPT_PKS3_PKT0_S9_ifPKiSB_iPKfiiiSD_SD_iiiii
	.globl	_ZN4vllm25paged_attention_v1_kernelI14__hip_bfloat16hLi96ELi32ELi128ELNS_18Fp8KVCacheDataTypeE1ELb1EEEvPT_PKS3_PKT0_S9_ifPKiSB_iPKfiiiSD_SD_iiiii
	.p2align	8
	.type	_ZN4vllm25paged_attention_v1_kernelI14__hip_bfloat16hLi96ELi32ELi128ELNS_18Fp8KVCacheDataTypeE1ELb1EEEvPT_PKS3_PKT0_S9_ifPKiSB_iPKfiiiSD_SD_iiiii,@function
_ZN4vllm25paged_attention_v1_kernelI14__hip_bfloat16hLi96ELi32ELi128ELNS_18Fp8KVCacheDataTypeE1ELb1EEEvPT_PKS3_PKT0_S9_ifPKiSB_iPKfiiiSD_SD_iiiii: ; @_ZN4vllm25paged_attention_v1_kernelI14__hip_bfloat16hLi96ELi32ELi128ELNS_18Fp8KVCacheDataTypeE1ELb1EEEvPT_PKS3_PKT0_S9_ifPKiSB_iPKfiiiSD_SD_iiiii
; %bb.0:
	s_load_dword s5, s[0:1], 0x80
	s_load_dwordx2 s[6:7], s[0:1], 0x30
	s_load_dwordx2 s[36:37], s[0:1], 0x20
	s_mov_b32 s10, s3
	s_ashr_i32 s11, s3, 31
	s_lshl_b64 s[8:9], s[10:11], 2
	s_waitcnt lgkmcnt(0)
	s_add_u32 s6, s6, s8
	s_addc_u32 s7, s7, s9
	s_abs_i32 s3, s36
	v_cvt_f32_u32_e32 v1, s3
	s_sub_i32 s11, 0, s3
	s_abs_i32 s9, s5
	s_xor_b32 s8, s5, s36
	v_rcp_iflag_f32_e32 v1, v1
	s_ashr_i32 s8, s8, 31
	s_mov_b32 s44, 0
	v_mul_f32_e32 v1, 0x4f7ffffe, v1
	v_cvt_u32_f32_e32 v1, v1
	s_nop 0
	v_readfirstlane_b32 s12, v1
	s_mul_i32 s11, s11, s12
	s_mul_hi_u32 s11, s12, s11
	s_add_i32 s12, s12, s11
	s_mul_hi_u32 s11, s9, s12
	s_mul_i32 s12, s11, s3
	s_sub_i32 s9, s9, s12
	s_add_i32 s12, s11, 1
	s_sub_i32 s13, s9, s3
	s_cmp_ge_u32 s9, s3
	s_cselect_b32 s11, s12, s11
	s_cselect_b32 s9, s13, s9
	s_add_i32 s12, s11, 1
	s_cmp_ge_u32 s9, s3
	s_cselect_b32 s3, s12, s11
	s_xor_b32 s3, s3, s8
	s_sub_i32 s14, s3, s8
	s_abs_i32 s11, s14
	v_cvt_f32_u32_e32 v1, s11
	s_load_dwordx2 s[8:9], s[0:1], 0x40
	s_sub_i32 s3, 0, s11
	s_abs_i32 s12, s2
	v_rcp_iflag_f32_e32 v1, v1
	s_nop 0
	v_mul_f32_e32 v1, 0x4f7ffffe, v1
	v_cvt_u32_f32_e32 v1, v1
	s_nop 0
	v_readfirstlane_b32 s13, v1
	s_mul_i32 s3, s3, s13
	s_mul_hi_u32 s3, s13, s3
	s_add_i32 s13, s13, s3
	s_waitcnt lgkmcnt(0)
	s_cmp_eq_u64 s[8:9], 0
	s_mul_hi_u32 s13, s12, s13
	s_cbranch_scc1 .LBB329_2
; %bb.1:
	s_ashr_i32 s3, s2, 31
	s_lshl_b64 s[16:17], s[2:3], 2
	s_add_u32 s8, s8, s16
	s_addc_u32 s9, s9, s17
	s_load_dword s44, s[8:9], 0x0
.LBB329_2:
	s_load_dword s33, s[6:7], 0x0
	s_load_dwordx4 s[16:19], s[0:1], 0x48
	s_ashr_i32 s8, s2, 31
	s_ashr_i32 s9, s14, 31
	v_and_b32_e32 v2, 1, v0
	s_movk_i32 s3, 0x60
	s_mul_i32 s24, s2, 0x60
	v_cmp_gt_u32_e32 vcc, 24, v0
	v_lshlrev_b32_e32 v35, 3, v0
	s_and_saveexec_b64 s[6:7], vcc
	s_cbranch_execz .LBB329_4
; %bb.3:
	s_load_dwordx2 s[14:15], s[0:1], 0x8
	s_waitcnt lgkmcnt(0)
	s_mul_i32 s20, s10, s16
	s_ashr_i32 s21, s20, 31
	s_lshl_b64 s[20:21], s[20:21], 1
	v_lshlrev_b32_e32 v1, 2, v0
	s_add_u32 s16, s14, s20
	s_addc_u32 s19, s15, s21
	s_ashr_i32 s25, s24, 31
	s_lshl_b64 s[14:15], s[24:25], 1
	s_add_u32 s14, s16, s14
	s_addc_u32 s15, s19, s15
	global_load_dwordx2 v[4:5], v35, s[14:15]
	v_and_b32_e32 v1, 0xff8, v1
	v_mad_u32_u24 v1, v2, s3, v1
	s_waitcnt vmcnt(0)
	ds_write_b64 v1, v[4:5]
.LBB329_4:
	s_or_b64 exec, exec, s[6:7]
	s_mul_i32 s7, s13, s11
	s_sub_i32 s7, s12, s7
	s_xor_b32 s6, s8, s9
	s_add_i32 s8, s13, 1
	s_sub_i32 s9, s7, s11
	s_load_dwordx4 s[20:23], s[0:1], 0x68
	s_load_dword s3, s[0:1], 0x78
	s_cmp_ge_u32 s7, s11
	s_cselect_b32 s8, s8, s13
	s_cselect_b32 s7, s9, s7
	s_add_i32 s9, s8, 1
	s_cmp_ge_u32 s7, s11
	s_cselect_b32 s7, s9, s8
	s_waitcnt lgkmcnt(0)
	s_abs_i32 s16, s23
	v_cvt_f32_u32_e32 v1, s16
	s_xor_b32 s7, s7, s6
	s_sub_i32 s43, s7, s6
	s_sub_i32 s6, 0, s16
	v_rcp_iflag_f32_e32 v1, v1
	s_add_i32 s11, s33, -1
	s_abs_i32 s8, s11
	v_mul_f32_e32 v1, 0x4f7ffffe, v1
	v_cvt_u32_f32_e32 v1, v1
	s_barrier
	v_readfirstlane_b32 s25, v1
	s_mul_i32 s6, s6, s25
	s_mul_hi_u32 s6, s25, s6
	s_add_i32 s25, s25, s6
	s_cmp_lt_i32 s3, 0
	s_mul_hi_u32 s9, s8, s25
	s_cbranch_scc0 .LBB329_6
; %bb.5:
	s_mul_i32 s6, s20, s36
	s_add_i32 s6, s43, s6
	s_mul_i32 s6, s6, s3
	s_sub_i32 s36, 1, s6
	s_mov_b64 s[6:7], 0
	s_branch .LBB329_7
.LBB329_6:
	s_mov_b64 s[6:7], -1
                                        ; implicit-def: $sgpr36
.LBB329_7:
	s_load_dwordx2 s[28:29], s[0:1], 0x28
	s_ashr_i32 s19, s11, 31
	s_andn2_b64 vcc, exec, s[6:7]
	s_ashr_i32 s23, s23, 31
	s_cbranch_vccnz .LBB329_9
; %bb.8:
	s_mul_i32 s6, s5, s20
	s_add_i32 s2, s6, s2
	s_mul_i32 s2, s2, s3
	s_add_i32 s36, s2, 1
.LBB329_9:
	s_load_dword s2, s[0:1], 0x38
	s_load_dwordx2 s[26:27], s[0:1], 0x0
	s_load_dwordx2 s[34:35], s[0:1], 0x18
	s_load_dword s11, s[0:1], 0x88
	s_load_dwordx4 s[12:15], s[0:1], 0x58
	s_mul_i32 s3, s9, s16
	s_waitcnt lgkmcnt(0)
	s_mul_i32 s30, s10, s2
	s_sub_i32 s3, s8, s3
	s_ashr_i32 s31, s30, 31
	s_xor_b32 s2, s19, s23
	s_add_i32 s6, s9, 1
	s_sub_i32 s7, s3, s16
	s_cmp_ge_u32 s3, s16
	s_cselect_b32 s6, s6, s9
	s_cselect_b32 s3, s7, s3
	s_add_i32 s7, s6, 1
	s_cmp_ge_u32 s3, s16
	s_cselect_b32 s3, s7, s6
	s_xor_b32 s3, s3, s2
	s_sub_i32 s42, s3, s2
	s_add_i32 s2, s33, 31
	s_ashr_i32 s3, s2, 31
	s_lshr_b32 s3, s3, 27
	s_add_i32 s2, s2, s3
	s_ashr_i32 s20, s2, 5
	v_lshrrev_b32_e32 v1, 6, v0
	v_cmp_gt_i32_e64 s[6:7], s20, v1
	v_mov_b32_e32 v40, 0xff7fffff
	s_mul_i32 s43, s43, s18
	v_lshrrev_b32_e32 v36, 4, v0
	v_lshlrev_b32_e32 v34, 5, v1
	v_mbcnt_lo_u32_b32 v37, -1, 0
	s_and_saveexec_b64 s[18:19], s[6:7]
	s_cbranch_execz .LBB329_211
; %bb.10:
	s_load_dwordx2 s[0:1], s[0:1], 0x10
	s_sub_i32 s45, s42, s21
	s_ashr_i32 s2, s43, 31
	v_bfe_u32 v38, v0, 1, 5
	v_mov_b32_e32 v27, 0
	s_waitcnt lgkmcnt(0)
	s_add_u32 s0, s0, s43
	s_addc_u32 s1, s1, s2
	s_abs_i32 s46, s22
	v_cvt_f32_u32_e32 v3, s46
	v_lshlrev_b32_e32 v26, 4, v38
	v_lshl_add_u64 v[28:29], s[0:1], 0, v[26:27]
	s_sub_i32 s0, 0, s46
	v_rcp_iflag_f32_e32 v3, v3
	v_cmp_eq_u32_e32 vcc, 0, v2
	v_mul_u32_u24_e32 v39, 0x60, v2
	v_lshlrev_b32_e32 v26, 2, v2
	v_mul_f32_e32 v3, 0x4f7ffffe, v3
	v_cvt_u32_f32_e32 v3, v3
	s_mov_b32 s47, s17
	v_cmp_neq_f32_e64 s[2:3], s44, 0
	v_lshlrev_b32_e32 v42, 5, v1
	v_mul_lo_u32 v2, s0, v3
	s_lshl_b64 s[0:1], s[30:31], 2
	v_mul_hi_u32 v2, v3, v2
	s_add_u32 s0, s28, s0
	v_add_u32_e32 v41, v3, v2
	v_and_b32_e32 v2, 60, v36
	v_mov_b32_e32 v3, v27
	s_addc_u32 s1, s29, s1
	v_lshl_add_u64 v[30:31], s[0:1], 0, v[2:3]
	v_lshlrev_b32_e32 v2, 2, v38
	v_lshl_or_b32 v2, v1, 7, v2
	v_add_u32_e32 v43, 0xd0, v2
	v_subrev_u32_e32 v2, s33, v38
	v_add_u32_e32 v44, 1, v2
	s_mov_b64 s[38:39], 0
	v_mov_b32_e32 v45, 0xff7fffff
	s_mov_b32 s48, 0x7f800000
	s_movk_i32 s49, 0x7fff
	v_mbcnt_hi_u32_b32 v46, -1, v37
	v_mov_b32_e32 v40, 0xff7fffff
	v_mov_b32_e32 v47, v1
	s_branch .LBB329_13
.LBB329_11:                             ;   in Loop: Header=BB329_13 Depth=1
	s_or_b64 exec, exec, s[40:41]
.LBB329_12:                             ;   in Loop: Header=BB329_13 Depth=1
	s_or_b64 exec, exec, s[8:9]
	v_add_u32_e32 v47, 2, v47
	v_cmp_le_i32_e64 s[0:1], s20, v47
	v_lshl_add_u64 v[30:31], v[30:31], 0, 8
	v_add_u32_e32 v42, 64, v42
	s_or_b64 s[38:39], s[0:1], s[38:39]
	v_add_u32_e32 v43, 0x100, v43
	s_andn2_b64 exec, exec, s[38:39]
	s_cbranch_execz .LBB329_210
.LBB329_13:                             ; =>This Inner Loop Header: Depth=1
	v_mul_hi_u32 v2, v42, s25
	s_waitcnt lgkmcnt(0)
	v_mul_lo_u32 v3, v2, s16
	v_sub_u32_e32 v3, v42, v3
	v_add_u32_e32 v4, 1, v2
	v_cmp_le_u32_e64 s[0:1], s16, v3
	s_nop 1
	v_cndmask_b32_e64 v2, v2, v4, s[0:1]
	v_subrev_u32_e32 v4, s16, v3
	v_cndmask_b32_e64 v3, v3, v4, s[0:1]
	v_add_u32_e32 v4, 1, v2
	v_cmp_le_u32_e64 s[0:1], s16, v3
	s_nop 1
	v_cndmask_b32_e64 v2, v2, v4, s[0:1]
	v_xor_b32_e32 v2, s23, v2
	v_subrev_u32_e32 v2, s23, v2
	v_add_u32_e32 v3, s36, v2
	v_sub_u32_e32 v5, 0, v3
	v_ashrrev_i32_e32 v4, 31, v3
	v_max_i32_e32 v3, v3, v5
	v_mul_hi_u32 v5, v3, v41
	v_mul_lo_u32 v5, v5, s46
	v_sub_u32_e32 v3, v3, v5
	v_subrev_u32_e32 v5, s46, v3
	v_cmp_le_u32_e64 s[0:1], s46, v3
	v_cmp_ge_i32_e64 s[8:9], s45, v2
	s_nop 0
	v_cndmask_b32_e64 v3, v3, v5, s[0:1]
	v_subrev_u32_e32 v5, s46, v3
	v_cmp_le_u32_e64 s[0:1], s46, v3
	s_nop 1
	v_cndmask_b32_e64 v3, v3, v5, s[0:1]
	v_xor_b32_e32 v3, v3, v4
	v_sub_u32_e32 v3, v3, v4
	v_cmp_ne_u32_e64 s[0:1], 0, v3
	s_and_b64 s[0:1], s[0:1], s[8:9]
	s_and_b64 s[40:41], vcc, s[0:1]
	s_and_saveexec_b64 s[8:9], s[40:41]
	s_cbranch_execz .LBB329_15
; %bb.14:                               ;   in Loop: Header=BB329_13 Depth=1
	ds_write_b32 v43, v45
.LBB329_15:                             ;   in Loop: Header=BB329_13 Depth=1
	s_or_b64 exec, exec, s[8:9]
	s_xor_b64 s[0:1], s[0:1], -1
	s_and_saveexec_b64 s[8:9], s[0:1]
	s_cbranch_execz .LBB329_12
; %bb.16:                               ;   in Loop: Header=BB329_13 Depth=1
	global_load_dword v2, v[30:31], off
	s_waitcnt vmcnt(0)
	v_mad_i64_i32 v[2:3], s[0:1], v2, s47, v[28:29]
	v_lshl_add_u64 v[32:33], v[2:3], 0, v[26:27]
	global_load_dword v51, v[32:33], off
	ds_read_b128 v[22:25], v39
	ds_read_b128 v[18:21], v39 offset:16
	ds_read_b128 v[14:17], v39 offset:32
	;; [unrolled: 1-line block ×3, first 2 shown]
	s_load_dword s50, s[12:13], 0x0
	s_waitcnt vmcnt(0)
	v_and_b32_e32 v2, 0xff, v51
	v_cvt_f32_fp8_sdwa v48, v2 src0_sel:BYTE_0
	ds_read_b128 v[6:9], v39 offset:64
	ds_read_b128 v[2:5], v39 offset:80
	s_waitcnt lgkmcnt(0)
	v_mul_f32_e32 v49, s50, v48
	v_and_b32_e32 v48, 0x7f800000, v49
	v_cmp_ne_u32_e64 s[0:1], s48, v48
                                        ; implicit-def: $vgpr48
	s_and_saveexec_b64 s[40:41], s[0:1]
	s_xor_b64 s[0:1], exec, s[40:41]
; %bb.17:                               ;   in Loop: Header=BB329_13 Depth=1
	v_bfe_u32 v48, v49, 16, 1
	v_add3_u32 v48, v49, v48, s49
                                        ; implicit-def: $vgpr49
; %bb.18:                               ;   in Loop: Header=BB329_13 Depth=1
	s_andn2_saveexec_b64 s[40:41], s[0:1]
; %bb.19:                               ;   in Loop: Header=BB329_13 Depth=1
	v_or_b32_e32 v48, 0x10000, v49
	v_cmp_eq_u32_sdwa s[0:1], v49, v27 src0_sel:WORD_0 src1_sel:DWORD
	s_nop 1
	v_cndmask_b32_e64 v48, v48, v49, s[0:1]
; %bb.20:                               ;   in Loop: Header=BB329_13 Depth=1
	s_or_b64 exec, exec, s[40:41]
	v_bfe_u32 v49, v51, 8, 8
	v_cvt_f32_fp8_sdwa v49, v49 src0_sel:BYTE_0
	s_nop 0
	v_mul_f32_e32 v49, s50, v49
	v_and_b32_e32 v50, 0x7f800000, v49
	v_cmp_ne_u32_e64 s[0:1], s48, v50
                                        ; implicit-def: $vgpr50
	s_and_saveexec_b64 s[40:41], s[0:1]
	s_xor_b64 s[0:1], exec, s[40:41]
; %bb.21:                               ;   in Loop: Header=BB329_13 Depth=1
	v_bfe_u32 v50, v49, 16, 1
	v_add3_u32 v50, v49, v50, s49
                                        ; implicit-def: $vgpr49
; %bb.22:                               ;   in Loop: Header=BB329_13 Depth=1
	s_andn2_saveexec_b64 s[40:41], s[0:1]
; %bb.23:                               ;   in Loop: Header=BB329_13 Depth=1
	v_or_b32_e32 v50, 0x10000, v49
	v_cmp_eq_u32_sdwa s[0:1], v49, v27 src0_sel:WORD_0 src1_sel:DWORD
	s_nop 1
	v_cndmask_b32_e64 v50, v50, v49, s[0:1]
; %bb.24:                               ;   in Loop: Header=BB329_13 Depth=1
	s_or_b64 exec, exec, s[40:41]
	v_bfe_u32 v49, v51, 16, 8
	v_cvt_f32_fp8_sdwa v49, v49 src0_sel:BYTE_0
	s_nop 0
	v_mul_f32_e32 v52, s50, v49
	v_and_b32_e32 v49, 0x7f800000, v52
	v_cmp_ne_u32_e64 s[0:1], s48, v49
                                        ; implicit-def: $vgpr49
	s_and_saveexec_b64 s[40:41], s[0:1]
	s_xor_b64 s[0:1], exec, s[40:41]
; %bb.25:                               ;   in Loop: Header=BB329_13 Depth=1
	v_bfe_u32 v49, v52, 16, 1
	v_add3_u32 v49, v52, v49, s49
                                        ; implicit-def: $vgpr52
; %bb.26:                               ;   in Loop: Header=BB329_13 Depth=1
	s_andn2_saveexec_b64 s[40:41], s[0:1]
; %bb.27:                               ;   in Loop: Header=BB329_13 Depth=1
	v_or_b32_e32 v49, 0x10000, v52
	v_cmp_eq_u32_sdwa s[0:1], v52, v27 src0_sel:WORD_0 src1_sel:DWORD
	s_nop 1
	v_cndmask_b32_e64 v49, v49, v52, s[0:1]
; %bb.28:                               ;   in Loop: Header=BB329_13 Depth=1
	s_or_b64 exec, exec, s[40:41]
	v_lshrrev_b32_e32 v51, 24, v51
	v_cvt_f32_fp8_sdwa v51, v51 src0_sel:BYTE_0
	s_nop 0
	v_mul_f32_e32 v52, s50, v51
	v_and_b32_e32 v51, 0x7f800000, v52
	v_cmp_ne_u32_e64 s[0:1], s48, v51
                                        ; implicit-def: $vgpr51
	s_and_saveexec_b64 s[40:41], s[0:1]
	s_xor_b64 s[0:1], exec, s[40:41]
; %bb.29:                               ;   in Loop: Header=BB329_13 Depth=1
	v_bfe_u32 v51, v52, 16, 1
	v_add3_u32 v51, v52, v51, s49
                                        ; implicit-def: $vgpr52
; %bb.30:                               ;   in Loop: Header=BB329_13 Depth=1
	s_andn2_saveexec_b64 s[40:41], s[0:1]
; %bb.31:                               ;   in Loop: Header=BB329_13 Depth=1
	v_or_b32_e32 v51, 0x10000, v52
	v_cmp_eq_u32_sdwa s[0:1], v52, v27 src0_sel:WORD_0 src1_sel:DWORD
	s_nop 1
	v_cndmask_b32_e64 v51, v51, v52, s[0:1]
; %bb.32:                               ;   in Loop: Header=BB329_13 Depth=1
	s_or_b64 exec, exec, s[40:41]
	global_load_dword v55, v[32:33], off offset:8
	s_waitcnt vmcnt(0)
	v_and_b32_e32 v52, 0xff, v55
	v_cvt_f32_fp8_sdwa v52, v52 src0_sel:BYTE_0
	s_nop 0
	v_mul_f32_e32 v53, s50, v52
	v_and_b32_e32 v52, 0x7f800000, v53
	v_cmp_ne_u32_e64 s[0:1], s48, v52
                                        ; implicit-def: $vgpr52
	s_and_saveexec_b64 s[40:41], s[0:1]
	s_xor_b64 s[0:1], exec, s[40:41]
; %bb.33:                               ;   in Loop: Header=BB329_13 Depth=1
	v_bfe_u32 v52, v53, 16, 1
	v_add3_u32 v52, v53, v52, s49
                                        ; implicit-def: $vgpr53
; %bb.34:                               ;   in Loop: Header=BB329_13 Depth=1
	s_andn2_saveexec_b64 s[40:41], s[0:1]
; %bb.35:                               ;   in Loop: Header=BB329_13 Depth=1
	v_or_b32_e32 v52, 0x10000, v53
	v_cmp_eq_u32_sdwa s[0:1], v53, v27 src0_sel:WORD_0 src1_sel:DWORD
	s_nop 1
	v_cndmask_b32_e64 v52, v52, v53, s[0:1]
; %bb.36:                               ;   in Loop: Header=BB329_13 Depth=1
	s_or_b64 exec, exec, s[40:41]
	v_bfe_u32 v53, v55, 8, 8
	v_cvt_f32_fp8_sdwa v53, v53 src0_sel:BYTE_0
	s_nop 0
	v_mul_f32_e32 v53, s50, v53
	v_and_b32_e32 v54, 0x7f800000, v53
	v_cmp_ne_u32_e64 s[0:1], s48, v54
                                        ; implicit-def: $vgpr54
	s_and_saveexec_b64 s[40:41], s[0:1]
	s_xor_b64 s[0:1], exec, s[40:41]
; %bb.37:                               ;   in Loop: Header=BB329_13 Depth=1
	v_bfe_u32 v54, v53, 16, 1
	v_add3_u32 v54, v53, v54, s49
                                        ; implicit-def: $vgpr53
; %bb.38:                               ;   in Loop: Header=BB329_13 Depth=1
	s_andn2_saveexec_b64 s[40:41], s[0:1]
; %bb.39:                               ;   in Loop: Header=BB329_13 Depth=1
	v_or_b32_e32 v54, 0x10000, v53
	v_cmp_eq_u32_sdwa s[0:1], v53, v27 src0_sel:WORD_0 src1_sel:DWORD
	s_nop 1
	v_cndmask_b32_e64 v54, v54, v53, s[0:1]
; %bb.40:                               ;   in Loop: Header=BB329_13 Depth=1
	s_or_b64 exec, exec, s[40:41]
	v_bfe_u32 v53, v55, 16, 8
	v_cvt_f32_fp8_sdwa v53, v53 src0_sel:BYTE_0
	s_nop 0
	v_mul_f32_e32 v56, s50, v53
	v_and_b32_e32 v53, 0x7f800000, v56
	v_cmp_ne_u32_e64 s[0:1], s48, v53
                                        ; implicit-def: $vgpr53
	s_and_saveexec_b64 s[40:41], s[0:1]
	s_xor_b64 s[0:1], exec, s[40:41]
; %bb.41:                               ;   in Loop: Header=BB329_13 Depth=1
	v_bfe_u32 v53, v56, 16, 1
	v_add3_u32 v53, v56, v53, s49
                                        ; implicit-def: $vgpr56
; %bb.42:                               ;   in Loop: Header=BB329_13 Depth=1
	s_andn2_saveexec_b64 s[40:41], s[0:1]
; %bb.43:                               ;   in Loop: Header=BB329_13 Depth=1
	v_or_b32_e32 v53, 0x10000, v56
	v_cmp_eq_u32_sdwa s[0:1], v56, v27 src0_sel:WORD_0 src1_sel:DWORD
	s_nop 1
	v_cndmask_b32_e64 v53, v53, v56, s[0:1]
; %bb.44:                               ;   in Loop: Header=BB329_13 Depth=1
	s_or_b64 exec, exec, s[40:41]
	v_lshrrev_b32_e32 v55, 24, v55
	v_cvt_f32_fp8_sdwa v55, v55 src0_sel:BYTE_0
	s_nop 0
	v_mul_f32_e32 v56, s50, v55
	v_and_b32_e32 v55, 0x7f800000, v56
	v_cmp_ne_u32_e64 s[0:1], s48, v55
                                        ; implicit-def: $vgpr55
	s_and_saveexec_b64 s[40:41], s[0:1]
	s_xor_b64 s[0:1], exec, s[40:41]
; %bb.45:                               ;   in Loop: Header=BB329_13 Depth=1
	v_bfe_u32 v55, v56, 16, 1
	v_add3_u32 v55, v56, v55, s49
                                        ; implicit-def: $vgpr56
; %bb.46:                               ;   in Loop: Header=BB329_13 Depth=1
	s_andn2_saveexec_b64 s[40:41], s[0:1]
; %bb.47:                               ;   in Loop: Header=BB329_13 Depth=1
	v_or_b32_e32 v55, 0x10000, v56
	v_cmp_eq_u32_sdwa s[0:1], v56, v27 src0_sel:WORD_0 src1_sel:DWORD
	s_nop 1
	v_cndmask_b32_e64 v55, v55, v56, s[0:1]
; %bb.48:                               ;   in Loop: Header=BB329_13 Depth=1
	s_or_b64 exec, exec, s[40:41]
	global_load_dword v59, v[32:33], off offset:512
	s_waitcnt vmcnt(0)
	v_and_b32_e32 v56, 0xff, v59
	v_cvt_f32_fp8_sdwa v56, v56 src0_sel:BYTE_0
	s_nop 0
	v_mul_f32_e32 v56, s50, v56
	v_and_b32_e32 v57, 0x7f800000, v56
	v_cmp_ne_u32_e64 s[0:1], s48, v57
                                        ; implicit-def: $vgpr57
	s_and_saveexec_b64 s[40:41], s[0:1]
	s_xor_b64 s[0:1], exec, s[40:41]
; %bb.49:                               ;   in Loop: Header=BB329_13 Depth=1
	v_bfe_u32 v57, v56, 16, 1
	v_add3_u32 v57, v56, v57, s49
                                        ; implicit-def: $vgpr56
; %bb.50:                               ;   in Loop: Header=BB329_13 Depth=1
	s_andn2_saveexec_b64 s[40:41], s[0:1]
; %bb.51:                               ;   in Loop: Header=BB329_13 Depth=1
	v_or_b32_e32 v57, 0x10000, v56
	v_cmp_eq_u32_sdwa s[0:1], v56, v27 src0_sel:WORD_0 src1_sel:DWORD
	s_nop 1
	v_cndmask_b32_e64 v57, v57, v56, s[0:1]
; %bb.52:                               ;   in Loop: Header=BB329_13 Depth=1
	s_or_b64 exec, exec, s[40:41]
	v_bfe_u32 v56, v59, 8, 8
	v_cvt_f32_fp8_sdwa v56, v56 src0_sel:BYTE_0
	s_nop 0
	v_mul_f32_e32 v58, s50, v56
	v_and_b32_e32 v56, 0x7f800000, v58
	v_cmp_ne_u32_e64 s[0:1], s48, v56
                                        ; implicit-def: $vgpr56
	s_and_saveexec_b64 s[40:41], s[0:1]
	s_xor_b64 s[0:1], exec, s[40:41]
; %bb.53:                               ;   in Loop: Header=BB329_13 Depth=1
	v_bfe_u32 v56, v58, 16, 1
	v_add3_u32 v56, v58, v56, s49
                                        ; implicit-def: $vgpr58
; %bb.54:                               ;   in Loop: Header=BB329_13 Depth=1
	s_andn2_saveexec_b64 s[40:41], s[0:1]
; %bb.55:                               ;   in Loop: Header=BB329_13 Depth=1
	v_or_b32_e32 v56, 0x10000, v58
	v_cmp_eq_u32_sdwa s[0:1], v58, v27 src0_sel:WORD_0 src1_sel:DWORD
	s_nop 1
	v_cndmask_b32_e64 v56, v56, v58, s[0:1]
; %bb.56:                               ;   in Loop: Header=BB329_13 Depth=1
	s_or_b64 exec, exec, s[40:41]
	v_bfe_u32 v58, v59, 16, 8
	v_cvt_f32_fp8_sdwa v58, v58 src0_sel:BYTE_0
	s_nop 0
	v_mul_f32_e32 v60, s50, v58
	v_and_b32_e32 v58, 0x7f800000, v60
	v_cmp_ne_u32_e64 s[0:1], s48, v58
                                        ; implicit-def: $vgpr58
	s_and_saveexec_b64 s[40:41], s[0:1]
	s_xor_b64 s[0:1], exec, s[40:41]
; %bb.57:                               ;   in Loop: Header=BB329_13 Depth=1
	v_bfe_u32 v58, v60, 16, 1
	v_add3_u32 v58, v60, v58, s49
                                        ; implicit-def: $vgpr60
; %bb.58:                               ;   in Loop: Header=BB329_13 Depth=1
	s_andn2_saveexec_b64 s[40:41], s[0:1]
; %bb.59:                               ;   in Loop: Header=BB329_13 Depth=1
	v_or_b32_e32 v58, 0x10000, v60
	v_cmp_eq_u32_sdwa s[0:1], v60, v27 src0_sel:WORD_0 src1_sel:DWORD
	s_nop 1
	v_cndmask_b32_e64 v58, v58, v60, s[0:1]
; %bb.60:                               ;   in Loop: Header=BB329_13 Depth=1
	s_or_b64 exec, exec, s[40:41]
	v_lshrrev_b32_e32 v59, 24, v59
	v_cvt_f32_fp8_sdwa v59, v59 src0_sel:BYTE_0
	s_nop 0
	v_mul_f32_e32 v60, s50, v59
	v_and_b32_e32 v59, 0x7f800000, v60
	v_cmp_ne_u32_e64 s[0:1], s48, v59
                                        ; implicit-def: $vgpr59
	s_and_saveexec_b64 s[40:41], s[0:1]
	s_xor_b64 s[0:1], exec, s[40:41]
; %bb.61:                               ;   in Loop: Header=BB329_13 Depth=1
	v_bfe_u32 v59, v60, 16, 1
	v_add3_u32 v59, v60, v59, s49
                                        ; implicit-def: $vgpr60
; %bb.62:                               ;   in Loop: Header=BB329_13 Depth=1
	s_andn2_saveexec_b64 s[40:41], s[0:1]
; %bb.63:                               ;   in Loop: Header=BB329_13 Depth=1
	v_or_b32_e32 v59, 0x10000, v60
	v_cmp_eq_u32_sdwa s[0:1], v60, v27 src0_sel:WORD_0 src1_sel:DWORD
	s_nop 1
	v_cndmask_b32_e64 v59, v59, v60, s[0:1]
; %bb.64:                               ;   in Loop: Header=BB329_13 Depth=1
	s_or_b64 exec, exec, s[40:41]
	global_load_dword v63, v[32:33], off offset:520
	s_waitcnt vmcnt(0)
	v_and_b32_e32 v60, 0xff, v63
	v_cvt_f32_fp8_sdwa v60, v60 src0_sel:BYTE_0
	s_nop 0
	v_mul_f32_e32 v61, s50, v60
	v_and_b32_e32 v60, 0x7f800000, v61
	v_cmp_ne_u32_e64 s[0:1], s48, v60
                                        ; implicit-def: $vgpr60
	s_and_saveexec_b64 s[40:41], s[0:1]
	s_xor_b64 s[0:1], exec, s[40:41]
; %bb.65:                               ;   in Loop: Header=BB329_13 Depth=1
	v_bfe_u32 v60, v61, 16, 1
	v_add3_u32 v60, v61, v60, s49
                                        ; implicit-def: $vgpr61
; %bb.66:                               ;   in Loop: Header=BB329_13 Depth=1
	s_andn2_saveexec_b64 s[40:41], s[0:1]
; %bb.67:                               ;   in Loop: Header=BB329_13 Depth=1
	v_or_b32_e32 v60, 0x10000, v61
	v_cmp_eq_u32_sdwa s[0:1], v61, v27 src0_sel:WORD_0 src1_sel:DWORD
	s_nop 1
	v_cndmask_b32_e64 v60, v60, v61, s[0:1]
; %bb.68:                               ;   in Loop: Header=BB329_13 Depth=1
	s_or_b64 exec, exec, s[40:41]
	v_bfe_u32 v61, v63, 8, 8
	v_cvt_f32_fp8_sdwa v61, v61 src0_sel:BYTE_0
	s_nop 0
	v_mul_f32_e32 v62, s50, v61
	v_and_b32_e32 v61, 0x7f800000, v62
	v_cmp_ne_u32_e64 s[0:1], s48, v61
                                        ; implicit-def: $vgpr61
	s_and_saveexec_b64 s[40:41], s[0:1]
	s_xor_b64 s[0:1], exec, s[40:41]
; %bb.69:                               ;   in Loop: Header=BB329_13 Depth=1
	v_bfe_u32 v61, v62, 16, 1
	v_add3_u32 v61, v62, v61, s49
                                        ; implicit-def: $vgpr62
; %bb.70:                               ;   in Loop: Header=BB329_13 Depth=1
	s_andn2_saveexec_b64 s[40:41], s[0:1]
; %bb.71:                               ;   in Loop: Header=BB329_13 Depth=1
	v_or_b32_e32 v61, 0x10000, v62
	v_cmp_eq_u32_sdwa s[0:1], v62, v27 src0_sel:WORD_0 src1_sel:DWORD
	s_nop 1
	v_cndmask_b32_e64 v61, v61, v62, s[0:1]
; %bb.72:                               ;   in Loop: Header=BB329_13 Depth=1
	s_or_b64 exec, exec, s[40:41]
	v_bfe_u32 v62, v63, 16, 8
	v_cvt_f32_fp8_sdwa v62, v62 src0_sel:BYTE_0
	s_nop 0
	v_mul_f32_e32 v64, s50, v62
	v_and_b32_e32 v62, 0x7f800000, v64
	v_cmp_ne_u32_e64 s[0:1], s48, v62
                                        ; implicit-def: $vgpr62
	s_and_saveexec_b64 s[40:41], s[0:1]
	s_xor_b64 s[0:1], exec, s[40:41]
; %bb.73:                               ;   in Loop: Header=BB329_13 Depth=1
	v_bfe_u32 v62, v64, 16, 1
	v_add3_u32 v62, v64, v62, s49
                                        ; implicit-def: $vgpr64
; %bb.74:                               ;   in Loop: Header=BB329_13 Depth=1
	s_andn2_saveexec_b64 s[40:41], s[0:1]
; %bb.75:                               ;   in Loop: Header=BB329_13 Depth=1
	v_or_b32_e32 v62, 0x10000, v64
	v_cmp_eq_u32_sdwa s[0:1], v64, v27 src0_sel:WORD_0 src1_sel:DWORD
	s_nop 1
	v_cndmask_b32_e64 v62, v62, v64, s[0:1]
; %bb.76:                               ;   in Loop: Header=BB329_13 Depth=1
	s_or_b64 exec, exec, s[40:41]
	v_lshrrev_b32_e32 v63, 24, v63
	v_cvt_f32_fp8_sdwa v63, v63 src0_sel:BYTE_0
	s_nop 0
	v_mul_f32_e32 v64, s50, v63
	v_and_b32_e32 v63, 0x7f800000, v64
	v_cmp_ne_u32_e64 s[0:1], s48, v63
                                        ; implicit-def: $vgpr63
	s_and_saveexec_b64 s[40:41], s[0:1]
	s_xor_b64 s[0:1], exec, s[40:41]
; %bb.77:                               ;   in Loop: Header=BB329_13 Depth=1
	v_bfe_u32 v63, v64, 16, 1
	v_add3_u32 v63, v64, v63, s49
                                        ; implicit-def: $vgpr64
; %bb.78:                               ;   in Loop: Header=BB329_13 Depth=1
	s_andn2_saveexec_b64 s[40:41], s[0:1]
; %bb.79:                               ;   in Loop: Header=BB329_13 Depth=1
	v_or_b32_e32 v63, 0x10000, v64
	v_cmp_eq_u32_sdwa s[0:1], v64, v27 src0_sel:WORD_0 src1_sel:DWORD
	s_nop 1
	v_cndmask_b32_e64 v63, v63, v64, s[0:1]
; %bb.80:                               ;   in Loop: Header=BB329_13 Depth=1
	s_or_b64 exec, exec, s[40:41]
	global_load_dword v67, v[32:33], off offset:1024
	s_waitcnt vmcnt(0)
	v_and_b32_e32 v64, 0xff, v67
	v_cvt_f32_fp8_sdwa v64, v64 src0_sel:BYTE_0
	s_nop 0
	v_mul_f32_e32 v65, s50, v64
	v_and_b32_e32 v64, 0x7f800000, v65
	v_cmp_ne_u32_e64 s[0:1], s48, v64
                                        ; implicit-def: $vgpr64
	s_and_saveexec_b64 s[40:41], s[0:1]
	s_xor_b64 s[0:1], exec, s[40:41]
; %bb.81:                               ;   in Loop: Header=BB329_13 Depth=1
	v_bfe_u32 v64, v65, 16, 1
	v_add3_u32 v64, v65, v64, s49
                                        ; implicit-def: $vgpr65
; %bb.82:                               ;   in Loop: Header=BB329_13 Depth=1
	s_andn2_saveexec_b64 s[40:41], s[0:1]
; %bb.83:                               ;   in Loop: Header=BB329_13 Depth=1
	v_or_b32_e32 v64, 0x10000, v65
	v_cmp_eq_u32_sdwa s[0:1], v65, v27 src0_sel:WORD_0 src1_sel:DWORD
	s_nop 1
	v_cndmask_b32_e64 v64, v64, v65, s[0:1]
; %bb.84:                               ;   in Loop: Header=BB329_13 Depth=1
	s_or_b64 exec, exec, s[40:41]
	v_bfe_u32 v65, v67, 8, 8
	v_cvt_f32_fp8_sdwa v65, v65 src0_sel:BYTE_0
	s_nop 0
	v_mul_f32_e32 v66, s50, v65
	v_and_b32_e32 v65, 0x7f800000, v66
	v_cmp_ne_u32_e64 s[0:1], s48, v65
                                        ; implicit-def: $vgpr65
	s_and_saveexec_b64 s[40:41], s[0:1]
	s_xor_b64 s[0:1], exec, s[40:41]
; %bb.85:                               ;   in Loop: Header=BB329_13 Depth=1
	v_bfe_u32 v65, v66, 16, 1
	v_add3_u32 v65, v66, v65, s49
                                        ; implicit-def: $vgpr66
; %bb.86:                               ;   in Loop: Header=BB329_13 Depth=1
	s_andn2_saveexec_b64 s[40:41], s[0:1]
; %bb.87:                               ;   in Loop: Header=BB329_13 Depth=1
	v_or_b32_e32 v65, 0x10000, v66
	v_cmp_eq_u32_sdwa s[0:1], v66, v27 src0_sel:WORD_0 src1_sel:DWORD
	s_nop 1
	v_cndmask_b32_e64 v65, v65, v66, s[0:1]
; %bb.88:                               ;   in Loop: Header=BB329_13 Depth=1
	s_or_b64 exec, exec, s[40:41]
	v_bfe_u32 v66, v67, 16, 8
	v_cvt_f32_fp8_sdwa v66, v66 src0_sel:BYTE_0
	s_nop 0
	v_mul_f32_e32 v68, s50, v66
	v_and_b32_e32 v66, 0x7f800000, v68
	v_cmp_ne_u32_e64 s[0:1], s48, v66
                                        ; implicit-def: $vgpr66
	s_and_saveexec_b64 s[40:41], s[0:1]
	s_xor_b64 s[0:1], exec, s[40:41]
; %bb.89:                               ;   in Loop: Header=BB329_13 Depth=1
	v_bfe_u32 v66, v68, 16, 1
	v_add3_u32 v66, v68, v66, s49
                                        ; implicit-def: $vgpr68
; %bb.90:                               ;   in Loop: Header=BB329_13 Depth=1
	s_andn2_saveexec_b64 s[40:41], s[0:1]
; %bb.91:                               ;   in Loop: Header=BB329_13 Depth=1
	v_or_b32_e32 v66, 0x10000, v68
	v_cmp_eq_u32_sdwa s[0:1], v68, v27 src0_sel:WORD_0 src1_sel:DWORD
	s_nop 1
	v_cndmask_b32_e64 v66, v66, v68, s[0:1]
; %bb.92:                               ;   in Loop: Header=BB329_13 Depth=1
	s_or_b64 exec, exec, s[40:41]
	v_lshrrev_b32_e32 v67, 24, v67
	v_cvt_f32_fp8_sdwa v67, v67 src0_sel:BYTE_0
	s_nop 0
	v_mul_f32_e32 v68, s50, v67
	v_and_b32_e32 v67, 0x7f800000, v68
	v_cmp_ne_u32_e64 s[0:1], s48, v67
                                        ; implicit-def: $vgpr67
	s_and_saveexec_b64 s[40:41], s[0:1]
	s_xor_b64 s[0:1], exec, s[40:41]
; %bb.93:                               ;   in Loop: Header=BB329_13 Depth=1
	v_bfe_u32 v67, v68, 16, 1
	v_add3_u32 v67, v68, v67, s49
                                        ; implicit-def: $vgpr68
; %bb.94:                               ;   in Loop: Header=BB329_13 Depth=1
	s_andn2_saveexec_b64 s[40:41], s[0:1]
; %bb.95:                               ;   in Loop: Header=BB329_13 Depth=1
	v_or_b32_e32 v67, 0x10000, v68
	v_cmp_eq_u32_sdwa s[0:1], v68, v27 src0_sel:WORD_0 src1_sel:DWORD
	s_nop 1
	v_cndmask_b32_e64 v67, v67, v68, s[0:1]
; %bb.96:                               ;   in Loop: Header=BB329_13 Depth=1
	s_or_b64 exec, exec, s[40:41]
	global_load_dword v71, v[32:33], off offset:1032
	s_waitcnt vmcnt(0)
	v_and_b32_e32 v68, 0xff, v71
	v_cvt_f32_fp8_sdwa v68, v68 src0_sel:BYTE_0
	s_nop 0
	v_mul_f32_e32 v69, s50, v68
	v_and_b32_e32 v68, 0x7f800000, v69
	v_cmp_ne_u32_e64 s[0:1], s48, v68
                                        ; implicit-def: $vgpr68
	s_and_saveexec_b64 s[40:41], s[0:1]
	s_xor_b64 s[0:1], exec, s[40:41]
; %bb.97:                               ;   in Loop: Header=BB329_13 Depth=1
	v_bfe_u32 v68, v69, 16, 1
	v_add3_u32 v68, v69, v68, s49
                                        ; implicit-def: $vgpr69
; %bb.98:                               ;   in Loop: Header=BB329_13 Depth=1
	s_andn2_saveexec_b64 s[40:41], s[0:1]
; %bb.99:                               ;   in Loop: Header=BB329_13 Depth=1
	v_or_b32_e32 v68, 0x10000, v69
	v_cmp_eq_u32_sdwa s[0:1], v69, v27 src0_sel:WORD_0 src1_sel:DWORD
	s_nop 1
	v_cndmask_b32_e64 v68, v68, v69, s[0:1]
; %bb.100:                              ;   in Loop: Header=BB329_13 Depth=1
	s_or_b64 exec, exec, s[40:41]
	v_bfe_u32 v69, v71, 8, 8
	v_cvt_f32_fp8_sdwa v69, v69 src0_sel:BYTE_0
	s_nop 0
	v_mul_f32_e32 v70, s50, v69
	v_and_b32_e32 v69, 0x7f800000, v70
	v_cmp_ne_u32_e64 s[0:1], s48, v69
                                        ; implicit-def: $vgpr69
	s_and_saveexec_b64 s[40:41], s[0:1]
	s_xor_b64 s[0:1], exec, s[40:41]
; %bb.101:                              ;   in Loop: Header=BB329_13 Depth=1
	v_bfe_u32 v69, v70, 16, 1
	v_add3_u32 v69, v70, v69, s49
                                        ; implicit-def: $vgpr70
; %bb.102:                              ;   in Loop: Header=BB329_13 Depth=1
	s_andn2_saveexec_b64 s[40:41], s[0:1]
; %bb.103:                              ;   in Loop: Header=BB329_13 Depth=1
	v_or_b32_e32 v69, 0x10000, v70
	v_cmp_eq_u32_sdwa s[0:1], v70, v27 src0_sel:WORD_0 src1_sel:DWORD
	s_nop 1
	v_cndmask_b32_e64 v69, v69, v70, s[0:1]
; %bb.104:                              ;   in Loop: Header=BB329_13 Depth=1
	s_or_b64 exec, exec, s[40:41]
	v_bfe_u32 v70, v71, 16, 8
	v_cvt_f32_fp8_sdwa v70, v70 src0_sel:BYTE_0
	s_nop 0
	v_mul_f32_e32 v72, s50, v70
	v_and_b32_e32 v70, 0x7f800000, v72
	v_cmp_ne_u32_e64 s[0:1], s48, v70
                                        ; implicit-def: $vgpr70
	s_and_saveexec_b64 s[40:41], s[0:1]
	s_xor_b64 s[0:1], exec, s[40:41]
; %bb.105:                              ;   in Loop: Header=BB329_13 Depth=1
	v_bfe_u32 v70, v72, 16, 1
	v_add3_u32 v70, v72, v70, s49
                                        ; implicit-def: $vgpr72
; %bb.106:                              ;   in Loop: Header=BB329_13 Depth=1
	s_andn2_saveexec_b64 s[40:41], s[0:1]
; %bb.107:                              ;   in Loop: Header=BB329_13 Depth=1
	v_or_b32_e32 v70, 0x10000, v72
	v_cmp_eq_u32_sdwa s[0:1], v72, v27 src0_sel:WORD_0 src1_sel:DWORD
	s_nop 1
	v_cndmask_b32_e64 v70, v70, v72, s[0:1]
; %bb.108:                              ;   in Loop: Header=BB329_13 Depth=1
	s_or_b64 exec, exec, s[40:41]
	v_lshrrev_b32_e32 v71, 24, v71
	v_cvt_f32_fp8_sdwa v71, v71 src0_sel:BYTE_0
	s_nop 0
	v_mul_f32_e32 v72, s50, v71
	v_and_b32_e32 v71, 0x7f800000, v72
	v_cmp_ne_u32_e64 s[0:1], s48, v71
                                        ; implicit-def: $vgpr71
	s_and_saveexec_b64 s[40:41], s[0:1]
	s_xor_b64 s[0:1], exec, s[40:41]
; %bb.109:                              ;   in Loop: Header=BB329_13 Depth=1
	v_bfe_u32 v71, v72, 16, 1
	v_add3_u32 v71, v72, v71, s49
                                        ; implicit-def: $vgpr72
; %bb.110:                              ;   in Loop: Header=BB329_13 Depth=1
	s_andn2_saveexec_b64 s[40:41], s[0:1]
; %bb.111:                              ;   in Loop: Header=BB329_13 Depth=1
	v_or_b32_e32 v71, 0x10000, v72
	v_cmp_eq_u32_sdwa s[0:1], v72, v27 src0_sel:WORD_0 src1_sel:DWORD
	s_nop 1
	v_cndmask_b32_e64 v71, v71, v72, s[0:1]
; %bb.112:                              ;   in Loop: Header=BB329_13 Depth=1
	s_or_b64 exec, exec, s[40:41]
	global_load_dword v75, v[32:33], off offset:1536
	s_waitcnt vmcnt(0)
	v_and_b32_e32 v72, 0xff, v75
	v_cvt_f32_fp8_sdwa v72, v72 src0_sel:BYTE_0
	s_nop 0
	v_mul_f32_e32 v73, s50, v72
	v_and_b32_e32 v72, 0x7f800000, v73
	v_cmp_ne_u32_e64 s[0:1], s48, v72
                                        ; implicit-def: $vgpr72
	s_and_saveexec_b64 s[40:41], s[0:1]
	s_xor_b64 s[0:1], exec, s[40:41]
; %bb.113:                              ;   in Loop: Header=BB329_13 Depth=1
	v_bfe_u32 v72, v73, 16, 1
	v_add3_u32 v72, v73, v72, s49
                                        ; implicit-def: $vgpr73
; %bb.114:                              ;   in Loop: Header=BB329_13 Depth=1
	s_andn2_saveexec_b64 s[40:41], s[0:1]
; %bb.115:                              ;   in Loop: Header=BB329_13 Depth=1
	v_or_b32_e32 v72, 0x10000, v73
	v_cmp_eq_u32_sdwa s[0:1], v73, v27 src0_sel:WORD_0 src1_sel:DWORD
	s_nop 1
	v_cndmask_b32_e64 v72, v72, v73, s[0:1]
; %bb.116:                              ;   in Loop: Header=BB329_13 Depth=1
	s_or_b64 exec, exec, s[40:41]
	v_bfe_u32 v73, v75, 8, 8
	v_cvt_f32_fp8_sdwa v73, v73 src0_sel:BYTE_0
	s_nop 0
	v_mul_f32_e32 v74, s50, v73
	v_and_b32_e32 v73, 0x7f800000, v74
	v_cmp_ne_u32_e64 s[0:1], s48, v73
                                        ; implicit-def: $vgpr73
	s_and_saveexec_b64 s[40:41], s[0:1]
	s_xor_b64 s[0:1], exec, s[40:41]
; %bb.117:                              ;   in Loop: Header=BB329_13 Depth=1
	v_bfe_u32 v73, v74, 16, 1
	v_add3_u32 v73, v74, v73, s49
                                        ; implicit-def: $vgpr74
; %bb.118:                              ;   in Loop: Header=BB329_13 Depth=1
	s_andn2_saveexec_b64 s[40:41], s[0:1]
; %bb.119:                              ;   in Loop: Header=BB329_13 Depth=1
	v_or_b32_e32 v73, 0x10000, v74
	v_cmp_eq_u32_sdwa s[0:1], v74, v27 src0_sel:WORD_0 src1_sel:DWORD
	s_nop 1
	v_cndmask_b32_e64 v73, v73, v74, s[0:1]
; %bb.120:                              ;   in Loop: Header=BB329_13 Depth=1
	s_or_b64 exec, exec, s[40:41]
	v_bfe_u32 v74, v75, 16, 8
	v_cvt_f32_fp8_sdwa v74, v74 src0_sel:BYTE_0
	s_nop 0
	v_mul_f32_e32 v76, s50, v74
	v_and_b32_e32 v74, 0x7f800000, v76
	v_cmp_ne_u32_e64 s[0:1], s48, v74
                                        ; implicit-def: $vgpr74
	s_and_saveexec_b64 s[40:41], s[0:1]
	s_xor_b64 s[0:1], exec, s[40:41]
; %bb.121:                              ;   in Loop: Header=BB329_13 Depth=1
	v_bfe_u32 v74, v76, 16, 1
	v_add3_u32 v74, v76, v74, s49
                                        ; implicit-def: $vgpr76
; %bb.122:                              ;   in Loop: Header=BB329_13 Depth=1
	s_andn2_saveexec_b64 s[40:41], s[0:1]
; %bb.123:                              ;   in Loop: Header=BB329_13 Depth=1
	v_or_b32_e32 v74, 0x10000, v76
	v_cmp_eq_u32_sdwa s[0:1], v76, v27 src0_sel:WORD_0 src1_sel:DWORD
	s_nop 1
	v_cndmask_b32_e64 v74, v74, v76, s[0:1]
; %bb.124:                              ;   in Loop: Header=BB329_13 Depth=1
	s_or_b64 exec, exec, s[40:41]
	v_lshrrev_b32_e32 v75, 24, v75
	v_cvt_f32_fp8_sdwa v75, v75 src0_sel:BYTE_0
	s_nop 0
	v_mul_f32_e32 v76, s50, v75
	v_and_b32_e32 v75, 0x7f800000, v76
	v_cmp_ne_u32_e64 s[0:1], s48, v75
                                        ; implicit-def: $vgpr75
	s_and_saveexec_b64 s[40:41], s[0:1]
	s_xor_b64 s[0:1], exec, s[40:41]
; %bb.125:                              ;   in Loop: Header=BB329_13 Depth=1
	v_bfe_u32 v75, v76, 16, 1
	v_add3_u32 v75, v76, v75, s49
                                        ; implicit-def: $vgpr76
; %bb.126:                              ;   in Loop: Header=BB329_13 Depth=1
	s_andn2_saveexec_b64 s[40:41], s[0:1]
; %bb.127:                              ;   in Loop: Header=BB329_13 Depth=1
	v_or_b32_e32 v75, 0x10000, v76
	v_cmp_eq_u32_sdwa s[0:1], v76, v27 src0_sel:WORD_0 src1_sel:DWORD
	s_nop 1
	v_cndmask_b32_e64 v75, v75, v76, s[0:1]
; %bb.128:                              ;   in Loop: Header=BB329_13 Depth=1
	s_or_b64 exec, exec, s[40:41]
	global_load_dword v79, v[32:33], off offset:1544
	s_waitcnt vmcnt(0)
	v_and_b32_e32 v76, 0xff, v79
	v_cvt_f32_fp8_sdwa v76, v76 src0_sel:BYTE_0
	s_nop 0
	v_mul_f32_e32 v77, s50, v76
	v_and_b32_e32 v76, 0x7f800000, v77
	v_cmp_ne_u32_e64 s[0:1], s48, v76
                                        ; implicit-def: $vgpr76
	s_and_saveexec_b64 s[40:41], s[0:1]
	s_xor_b64 s[0:1], exec, s[40:41]
; %bb.129:                              ;   in Loop: Header=BB329_13 Depth=1
	v_bfe_u32 v76, v77, 16, 1
	v_add3_u32 v76, v77, v76, s49
                                        ; implicit-def: $vgpr77
; %bb.130:                              ;   in Loop: Header=BB329_13 Depth=1
	s_andn2_saveexec_b64 s[40:41], s[0:1]
; %bb.131:                              ;   in Loop: Header=BB329_13 Depth=1
	v_or_b32_e32 v76, 0x10000, v77
	v_cmp_eq_u32_sdwa s[0:1], v77, v27 src0_sel:WORD_0 src1_sel:DWORD
	s_nop 1
	v_cndmask_b32_e64 v76, v76, v77, s[0:1]
; %bb.132:                              ;   in Loop: Header=BB329_13 Depth=1
	s_or_b64 exec, exec, s[40:41]
	v_bfe_u32 v77, v79, 8, 8
	v_cvt_f32_fp8_sdwa v77, v77 src0_sel:BYTE_0
	s_nop 0
	v_mul_f32_e32 v78, s50, v77
	v_and_b32_e32 v77, 0x7f800000, v78
	v_cmp_ne_u32_e64 s[0:1], s48, v77
                                        ; implicit-def: $vgpr77
	s_and_saveexec_b64 s[40:41], s[0:1]
	s_xor_b64 s[0:1], exec, s[40:41]
; %bb.133:                              ;   in Loop: Header=BB329_13 Depth=1
	v_bfe_u32 v77, v78, 16, 1
	v_add3_u32 v77, v78, v77, s49
                                        ; implicit-def: $vgpr78
; %bb.134:                              ;   in Loop: Header=BB329_13 Depth=1
	s_andn2_saveexec_b64 s[40:41], s[0:1]
; %bb.135:                              ;   in Loop: Header=BB329_13 Depth=1
	v_or_b32_e32 v77, 0x10000, v78
	v_cmp_eq_u32_sdwa s[0:1], v78, v27 src0_sel:WORD_0 src1_sel:DWORD
	s_nop 1
	v_cndmask_b32_e64 v77, v77, v78, s[0:1]
; %bb.136:                              ;   in Loop: Header=BB329_13 Depth=1
	s_or_b64 exec, exec, s[40:41]
	v_bfe_u32 v78, v79, 16, 8
	v_cvt_f32_fp8_sdwa v78, v78 src0_sel:BYTE_0
	s_nop 0
	v_mul_f32_e32 v80, s50, v78
	v_and_b32_e32 v78, 0x7f800000, v80
	v_cmp_ne_u32_e64 s[0:1], s48, v78
                                        ; implicit-def: $vgpr78
	s_and_saveexec_b64 s[40:41], s[0:1]
	s_xor_b64 s[0:1], exec, s[40:41]
; %bb.137:                              ;   in Loop: Header=BB329_13 Depth=1
	v_bfe_u32 v78, v80, 16, 1
	v_add3_u32 v78, v80, v78, s49
                                        ; implicit-def: $vgpr80
; %bb.138:                              ;   in Loop: Header=BB329_13 Depth=1
	s_andn2_saveexec_b64 s[40:41], s[0:1]
; %bb.139:                              ;   in Loop: Header=BB329_13 Depth=1
	v_or_b32_e32 v78, 0x10000, v80
	v_cmp_eq_u32_sdwa s[0:1], v80, v27 src0_sel:WORD_0 src1_sel:DWORD
	s_nop 1
	v_cndmask_b32_e64 v78, v78, v80, s[0:1]
; %bb.140:                              ;   in Loop: Header=BB329_13 Depth=1
	s_or_b64 exec, exec, s[40:41]
	v_lshrrev_b32_e32 v79, 24, v79
	v_cvt_f32_fp8_sdwa v79, v79 src0_sel:BYTE_0
	s_nop 0
	v_mul_f32_e32 v80, s50, v79
	v_and_b32_e32 v79, 0x7f800000, v80
	v_cmp_ne_u32_e64 s[0:1], s48, v79
                                        ; implicit-def: $vgpr79
	s_and_saveexec_b64 s[40:41], s[0:1]
	s_xor_b64 s[0:1], exec, s[40:41]
; %bb.141:                              ;   in Loop: Header=BB329_13 Depth=1
	v_bfe_u32 v79, v80, 16, 1
	v_add3_u32 v79, v80, v79, s49
                                        ; implicit-def: $vgpr80
; %bb.142:                              ;   in Loop: Header=BB329_13 Depth=1
	s_andn2_saveexec_b64 s[40:41], s[0:1]
; %bb.143:                              ;   in Loop: Header=BB329_13 Depth=1
	v_or_b32_e32 v79, 0x10000, v80
	v_cmp_eq_u32_sdwa s[0:1], v80, v27 src0_sel:WORD_0 src1_sel:DWORD
	s_nop 1
	v_cndmask_b32_e64 v79, v79, v80, s[0:1]
; %bb.144:                              ;   in Loop: Header=BB329_13 Depth=1
	s_or_b64 exec, exec, s[40:41]
	global_load_dword v83, v[32:33], off offset:2048
	s_waitcnt vmcnt(0)
	v_and_b32_e32 v80, 0xff, v83
	v_cvt_f32_fp8_sdwa v80, v80 src0_sel:BYTE_0
	s_nop 0
	v_mul_f32_e32 v81, s50, v80
	v_and_b32_e32 v80, 0x7f800000, v81
	v_cmp_ne_u32_e64 s[0:1], s48, v80
                                        ; implicit-def: $vgpr80
	s_and_saveexec_b64 s[40:41], s[0:1]
	s_xor_b64 s[0:1], exec, s[40:41]
; %bb.145:                              ;   in Loop: Header=BB329_13 Depth=1
	v_bfe_u32 v80, v81, 16, 1
	v_add3_u32 v80, v81, v80, s49
                                        ; implicit-def: $vgpr81
; %bb.146:                              ;   in Loop: Header=BB329_13 Depth=1
	s_andn2_saveexec_b64 s[40:41], s[0:1]
; %bb.147:                              ;   in Loop: Header=BB329_13 Depth=1
	v_or_b32_e32 v80, 0x10000, v81
	v_cmp_eq_u32_sdwa s[0:1], v81, v27 src0_sel:WORD_0 src1_sel:DWORD
	s_nop 1
	v_cndmask_b32_e64 v80, v80, v81, s[0:1]
; %bb.148:                              ;   in Loop: Header=BB329_13 Depth=1
	s_or_b64 exec, exec, s[40:41]
	v_bfe_u32 v81, v83, 8, 8
	v_cvt_f32_fp8_sdwa v81, v81 src0_sel:BYTE_0
	s_nop 0
	v_mul_f32_e32 v82, s50, v81
	v_and_b32_e32 v81, 0x7f800000, v82
	v_cmp_ne_u32_e64 s[0:1], s48, v81
                                        ; implicit-def: $vgpr81
	s_and_saveexec_b64 s[40:41], s[0:1]
	s_xor_b64 s[0:1], exec, s[40:41]
; %bb.149:                              ;   in Loop: Header=BB329_13 Depth=1
	v_bfe_u32 v81, v82, 16, 1
	v_add3_u32 v81, v82, v81, s49
                                        ; implicit-def: $vgpr82
; %bb.150:                              ;   in Loop: Header=BB329_13 Depth=1
	s_andn2_saveexec_b64 s[40:41], s[0:1]
; %bb.151:                              ;   in Loop: Header=BB329_13 Depth=1
	v_or_b32_e32 v81, 0x10000, v82
	v_cmp_eq_u32_sdwa s[0:1], v82, v27 src0_sel:WORD_0 src1_sel:DWORD
	s_nop 1
	v_cndmask_b32_e64 v81, v81, v82, s[0:1]
; %bb.152:                              ;   in Loop: Header=BB329_13 Depth=1
	s_or_b64 exec, exec, s[40:41]
	v_bfe_u32 v82, v83, 16, 8
	v_cvt_f32_fp8_sdwa v82, v82 src0_sel:BYTE_0
	s_nop 0
	v_mul_f32_e32 v84, s50, v82
	v_and_b32_e32 v82, 0x7f800000, v84
	v_cmp_ne_u32_e64 s[0:1], s48, v82
                                        ; implicit-def: $vgpr82
	s_and_saveexec_b64 s[40:41], s[0:1]
	s_xor_b64 s[0:1], exec, s[40:41]
; %bb.153:                              ;   in Loop: Header=BB329_13 Depth=1
	v_bfe_u32 v82, v84, 16, 1
	v_add3_u32 v82, v84, v82, s49
                                        ; implicit-def: $vgpr84
; %bb.154:                              ;   in Loop: Header=BB329_13 Depth=1
	s_andn2_saveexec_b64 s[40:41], s[0:1]
; %bb.155:                              ;   in Loop: Header=BB329_13 Depth=1
	v_or_b32_e32 v82, 0x10000, v84
	v_cmp_eq_u32_sdwa s[0:1], v84, v27 src0_sel:WORD_0 src1_sel:DWORD
	s_nop 1
	v_cndmask_b32_e64 v82, v82, v84, s[0:1]
; %bb.156:                              ;   in Loop: Header=BB329_13 Depth=1
	s_or_b64 exec, exec, s[40:41]
	v_lshrrev_b32_e32 v83, 24, v83
	v_cvt_f32_fp8_sdwa v83, v83 src0_sel:BYTE_0
	s_nop 0
	v_mul_f32_e32 v84, s50, v83
	v_and_b32_e32 v83, 0x7f800000, v84
	v_cmp_ne_u32_e64 s[0:1], s48, v83
                                        ; implicit-def: $vgpr83
	s_and_saveexec_b64 s[40:41], s[0:1]
	s_xor_b64 s[0:1], exec, s[40:41]
; %bb.157:                              ;   in Loop: Header=BB329_13 Depth=1
	v_bfe_u32 v83, v84, 16, 1
	v_add3_u32 v83, v84, v83, s49
                                        ; implicit-def: $vgpr84
; %bb.158:                              ;   in Loop: Header=BB329_13 Depth=1
	s_andn2_saveexec_b64 s[40:41], s[0:1]
; %bb.159:                              ;   in Loop: Header=BB329_13 Depth=1
	v_or_b32_e32 v83, 0x10000, v84
	v_cmp_eq_u32_sdwa s[0:1], v84, v27 src0_sel:WORD_0 src1_sel:DWORD
	s_nop 1
	v_cndmask_b32_e64 v83, v83, v84, s[0:1]
; %bb.160:                              ;   in Loop: Header=BB329_13 Depth=1
	s_or_b64 exec, exec, s[40:41]
	global_load_dword v87, v[32:33], off offset:2056
	s_waitcnt vmcnt(0)
	v_and_b32_e32 v84, 0xff, v87
	v_cvt_f32_fp8_sdwa v84, v84 src0_sel:BYTE_0
	s_nop 0
	v_mul_f32_e32 v85, s50, v84
	v_and_b32_e32 v84, 0x7f800000, v85
	v_cmp_ne_u32_e64 s[0:1], s48, v84
                                        ; implicit-def: $vgpr84
	s_and_saveexec_b64 s[40:41], s[0:1]
	s_xor_b64 s[0:1], exec, s[40:41]
; %bb.161:                              ;   in Loop: Header=BB329_13 Depth=1
	v_bfe_u32 v84, v85, 16, 1
	v_add3_u32 v84, v85, v84, s49
                                        ; implicit-def: $vgpr85
; %bb.162:                              ;   in Loop: Header=BB329_13 Depth=1
	s_andn2_saveexec_b64 s[40:41], s[0:1]
; %bb.163:                              ;   in Loop: Header=BB329_13 Depth=1
	v_or_b32_e32 v84, 0x10000, v85
	v_cmp_eq_u32_sdwa s[0:1], v85, v27 src0_sel:WORD_0 src1_sel:DWORD
	s_nop 1
	v_cndmask_b32_e64 v84, v84, v85, s[0:1]
; %bb.164:                              ;   in Loop: Header=BB329_13 Depth=1
	s_or_b64 exec, exec, s[40:41]
	v_bfe_u32 v85, v87, 8, 8
	v_cvt_f32_fp8_sdwa v85, v85 src0_sel:BYTE_0
	s_nop 0
	v_mul_f32_e32 v86, s50, v85
	v_and_b32_e32 v85, 0x7f800000, v86
	v_cmp_ne_u32_e64 s[0:1], s48, v85
                                        ; implicit-def: $vgpr85
	s_and_saveexec_b64 s[40:41], s[0:1]
	s_xor_b64 s[0:1], exec, s[40:41]
; %bb.165:                              ;   in Loop: Header=BB329_13 Depth=1
	v_bfe_u32 v85, v86, 16, 1
	v_add3_u32 v85, v86, v85, s49
                                        ; implicit-def: $vgpr86
; %bb.166:                              ;   in Loop: Header=BB329_13 Depth=1
	s_andn2_saveexec_b64 s[40:41], s[0:1]
; %bb.167:                              ;   in Loop: Header=BB329_13 Depth=1
	v_or_b32_e32 v85, 0x10000, v86
	v_cmp_eq_u32_sdwa s[0:1], v86, v27 src0_sel:WORD_0 src1_sel:DWORD
	s_nop 1
	v_cndmask_b32_e64 v85, v85, v86, s[0:1]
; %bb.168:                              ;   in Loop: Header=BB329_13 Depth=1
	s_or_b64 exec, exec, s[40:41]
	v_bfe_u32 v86, v87, 16, 8
	v_cvt_f32_fp8_sdwa v86, v86 src0_sel:BYTE_0
	s_nop 0
	v_mul_f32_e32 v88, s50, v86
	v_and_b32_e32 v86, 0x7f800000, v88
	v_cmp_ne_u32_e64 s[0:1], s48, v86
                                        ; implicit-def: $vgpr86
	s_and_saveexec_b64 s[40:41], s[0:1]
	s_xor_b64 s[0:1], exec, s[40:41]
; %bb.169:                              ;   in Loop: Header=BB329_13 Depth=1
	v_bfe_u32 v86, v88, 16, 1
	v_add3_u32 v86, v88, v86, s49
                                        ; implicit-def: $vgpr88
; %bb.170:                              ;   in Loop: Header=BB329_13 Depth=1
	s_andn2_saveexec_b64 s[40:41], s[0:1]
; %bb.171:                              ;   in Loop: Header=BB329_13 Depth=1
	v_or_b32_e32 v86, 0x10000, v88
	v_cmp_eq_u32_sdwa s[0:1], v88, v27 src0_sel:WORD_0 src1_sel:DWORD
	s_nop 1
	v_cndmask_b32_e64 v86, v86, v88, s[0:1]
; %bb.172:                              ;   in Loop: Header=BB329_13 Depth=1
	s_or_b64 exec, exec, s[40:41]
	v_lshrrev_b32_e32 v87, 24, v87
	v_cvt_f32_fp8_sdwa v87, v87 src0_sel:BYTE_0
	s_nop 0
	v_mul_f32_e32 v88, s50, v87
	v_and_b32_e32 v87, 0x7f800000, v88
	v_cmp_ne_u32_e64 s[0:1], s48, v87
                                        ; implicit-def: $vgpr87
	s_and_saveexec_b64 s[40:41], s[0:1]
	s_xor_b64 s[0:1], exec, s[40:41]
; %bb.173:                              ;   in Loop: Header=BB329_13 Depth=1
	v_bfe_u32 v87, v88, 16, 1
	v_add3_u32 v87, v88, v87, s49
                                        ; implicit-def: $vgpr88
; %bb.174:                              ;   in Loop: Header=BB329_13 Depth=1
	s_andn2_saveexec_b64 s[40:41], s[0:1]
; %bb.175:                              ;   in Loop: Header=BB329_13 Depth=1
	v_or_b32_e32 v87, 0x10000, v88
	v_cmp_eq_u32_sdwa s[0:1], v88, v27 src0_sel:WORD_0 src1_sel:DWORD
	s_nop 1
	v_cndmask_b32_e64 v87, v87, v88, s[0:1]
; %bb.176:                              ;   in Loop: Header=BB329_13 Depth=1
	s_or_b64 exec, exec, s[40:41]
	global_load_dword v91, v[32:33], off offset:2560
	s_waitcnt vmcnt(0)
	v_and_b32_e32 v88, 0xff, v91
	v_cvt_f32_fp8_sdwa v88, v88 src0_sel:BYTE_0
	s_nop 0
	v_mul_f32_e32 v89, s50, v88
	v_and_b32_e32 v88, 0x7f800000, v89
	v_cmp_ne_u32_e64 s[0:1], s48, v88
                                        ; implicit-def: $vgpr88
	s_and_saveexec_b64 s[40:41], s[0:1]
	s_xor_b64 s[0:1], exec, s[40:41]
; %bb.177:                              ;   in Loop: Header=BB329_13 Depth=1
	v_bfe_u32 v88, v89, 16, 1
	v_add3_u32 v88, v89, v88, s49
                                        ; implicit-def: $vgpr89
; %bb.178:                              ;   in Loop: Header=BB329_13 Depth=1
	s_andn2_saveexec_b64 s[40:41], s[0:1]
; %bb.179:                              ;   in Loop: Header=BB329_13 Depth=1
	v_or_b32_e32 v88, 0x10000, v89
	v_cmp_eq_u32_sdwa s[0:1], v89, v27 src0_sel:WORD_0 src1_sel:DWORD
	s_nop 1
	v_cndmask_b32_e64 v88, v88, v89, s[0:1]
; %bb.180:                              ;   in Loop: Header=BB329_13 Depth=1
	s_or_b64 exec, exec, s[40:41]
	v_bfe_u32 v89, v91, 8, 8
	v_cvt_f32_fp8_sdwa v89, v89 src0_sel:BYTE_0
	s_nop 0
	v_mul_f32_e32 v90, s50, v89
	v_and_b32_e32 v89, 0x7f800000, v90
	v_cmp_ne_u32_e64 s[0:1], s48, v89
                                        ; implicit-def: $vgpr89
	s_and_saveexec_b64 s[40:41], s[0:1]
	s_xor_b64 s[0:1], exec, s[40:41]
; %bb.181:                              ;   in Loop: Header=BB329_13 Depth=1
	v_bfe_u32 v89, v90, 16, 1
	v_add3_u32 v89, v90, v89, s49
                                        ; implicit-def: $vgpr90
; %bb.182:                              ;   in Loop: Header=BB329_13 Depth=1
	s_andn2_saveexec_b64 s[40:41], s[0:1]
; %bb.183:                              ;   in Loop: Header=BB329_13 Depth=1
	v_or_b32_e32 v89, 0x10000, v90
	v_cmp_eq_u32_sdwa s[0:1], v90, v27 src0_sel:WORD_0 src1_sel:DWORD
	s_nop 1
	v_cndmask_b32_e64 v89, v89, v90, s[0:1]
; %bb.184:                              ;   in Loop: Header=BB329_13 Depth=1
	s_or_b64 exec, exec, s[40:41]
	v_bfe_u32 v90, v91, 16, 8
	v_cvt_f32_fp8_sdwa v90, v90 src0_sel:BYTE_0
	s_nop 0
	v_mul_f32_e32 v92, s50, v90
	v_and_b32_e32 v90, 0x7f800000, v92
	v_cmp_ne_u32_e64 s[0:1], s48, v90
                                        ; implicit-def: $vgpr90
	s_and_saveexec_b64 s[40:41], s[0:1]
	s_xor_b64 s[0:1], exec, s[40:41]
; %bb.185:                              ;   in Loop: Header=BB329_13 Depth=1
	v_bfe_u32 v90, v92, 16, 1
	v_add3_u32 v90, v92, v90, s49
                                        ; implicit-def: $vgpr92
; %bb.186:                              ;   in Loop: Header=BB329_13 Depth=1
	s_andn2_saveexec_b64 s[40:41], s[0:1]
; %bb.187:                              ;   in Loop: Header=BB329_13 Depth=1
	v_or_b32_e32 v90, 0x10000, v92
	v_cmp_eq_u32_sdwa s[0:1], v92, v27 src0_sel:WORD_0 src1_sel:DWORD
	s_nop 1
	v_cndmask_b32_e64 v90, v90, v92, s[0:1]
; %bb.188:                              ;   in Loop: Header=BB329_13 Depth=1
	s_or_b64 exec, exec, s[40:41]
	v_lshrrev_b32_e32 v91, 24, v91
	v_cvt_f32_fp8_sdwa v91, v91 src0_sel:BYTE_0
	s_nop 0
	v_mul_f32_e32 v92, s50, v91
	v_and_b32_e32 v91, 0x7f800000, v92
	v_cmp_ne_u32_e64 s[0:1], s48, v91
                                        ; implicit-def: $vgpr91
	s_and_saveexec_b64 s[40:41], s[0:1]
	s_xor_b64 s[0:1], exec, s[40:41]
; %bb.189:                              ;   in Loop: Header=BB329_13 Depth=1
	v_bfe_u32 v91, v92, 16, 1
	v_add3_u32 v91, v92, v91, s49
                                        ; implicit-def: $vgpr92
; %bb.190:                              ;   in Loop: Header=BB329_13 Depth=1
	s_andn2_saveexec_b64 s[40:41], s[0:1]
; %bb.191:                              ;   in Loop: Header=BB329_13 Depth=1
	v_or_b32_e32 v91, 0x10000, v92
	v_cmp_eq_u32_sdwa s[0:1], v92, v27 src0_sel:WORD_0 src1_sel:DWORD
	s_nop 1
	v_cndmask_b32_e64 v91, v91, v92, s[0:1]
; %bb.192:                              ;   in Loop: Header=BB329_13 Depth=1
	s_or_b64 exec, exec, s[40:41]
	global_load_dword v93, v[32:33], off offset:2568
	s_waitcnt vmcnt(0)
	v_and_b32_e32 v32, 0xff, v93
	v_cvt_f32_fp8_sdwa v32, v32 src0_sel:BYTE_0
	s_nop 0
	v_mul_f32_e32 v33, s50, v32
	v_and_b32_e32 v32, 0x7f800000, v33
	v_cmp_ne_u32_e64 s[0:1], s48, v32
                                        ; implicit-def: $vgpr32
	s_and_saveexec_b64 s[40:41], s[0:1]
	s_xor_b64 s[0:1], exec, s[40:41]
; %bb.193:                              ;   in Loop: Header=BB329_13 Depth=1
	v_bfe_u32 v32, v33, 16, 1
	v_add3_u32 v32, v33, v32, s49
                                        ; implicit-def: $vgpr33
; %bb.194:                              ;   in Loop: Header=BB329_13 Depth=1
	s_andn2_saveexec_b64 s[40:41], s[0:1]
; %bb.195:                              ;   in Loop: Header=BB329_13 Depth=1
	v_or_b32_e32 v32, 0x10000, v33
	v_cmp_eq_u32_sdwa s[0:1], v33, v27 src0_sel:WORD_0 src1_sel:DWORD
	s_nop 1
	v_cndmask_b32_e64 v32, v32, v33, s[0:1]
; %bb.196:                              ;   in Loop: Header=BB329_13 Depth=1
	s_or_b64 exec, exec, s[40:41]
	v_bfe_u32 v33, v93, 8, 8
	v_cvt_f32_fp8_sdwa v33, v33 src0_sel:BYTE_0
	s_nop 0
	v_mul_f32_e32 v33, s50, v33
	v_and_b32_e32 v92, 0x7f800000, v33
	v_cmp_ne_u32_e64 s[0:1], s48, v92
                                        ; implicit-def: $vgpr92
	s_and_saveexec_b64 s[40:41], s[0:1]
	s_xor_b64 s[0:1], exec, s[40:41]
; %bb.197:                              ;   in Loop: Header=BB329_13 Depth=1
	v_bfe_u32 v92, v33, 16, 1
	v_add3_u32 v92, v33, v92, s49
                                        ; implicit-def: $vgpr33
; %bb.198:                              ;   in Loop: Header=BB329_13 Depth=1
	s_andn2_saveexec_b64 s[40:41], s[0:1]
; %bb.199:                              ;   in Loop: Header=BB329_13 Depth=1
	v_or_b32_e32 v92, 0x10000, v33
	v_cmp_eq_u32_sdwa s[0:1], v33, v27 src0_sel:WORD_0 src1_sel:DWORD
	s_nop 1
	v_cndmask_b32_e64 v92, v92, v33, s[0:1]
; %bb.200:                              ;   in Loop: Header=BB329_13 Depth=1
	s_or_b64 exec, exec, s[40:41]
	v_bfe_u32 v33, v93, 16, 8
	v_cvt_f32_fp8_sdwa v33, v33 src0_sel:BYTE_0
	s_nop 0
	v_mul_f32_e32 v94, s50, v33
	v_and_b32_e32 v33, 0x7f800000, v94
	v_cmp_ne_u32_e64 s[0:1], s48, v33
                                        ; implicit-def: $vgpr33
	s_and_saveexec_b64 s[40:41], s[0:1]
	s_xor_b64 s[0:1], exec, s[40:41]
; %bb.201:                              ;   in Loop: Header=BB329_13 Depth=1
	v_bfe_u32 v33, v94, 16, 1
	v_add3_u32 v33, v94, v33, s49
                                        ; implicit-def: $vgpr94
; %bb.202:                              ;   in Loop: Header=BB329_13 Depth=1
	s_andn2_saveexec_b64 s[40:41], s[0:1]
; %bb.203:                              ;   in Loop: Header=BB329_13 Depth=1
	v_or_b32_e32 v33, 0x10000, v94
	v_cmp_eq_u32_sdwa s[0:1], v94, v27 src0_sel:WORD_0 src1_sel:DWORD
	s_nop 1
	v_cndmask_b32_e64 v33, v33, v94, s[0:1]
; %bb.204:                              ;   in Loop: Header=BB329_13 Depth=1
	s_or_b64 exec, exec, s[40:41]
	v_lshrrev_b32_e32 v93, 24, v93
	v_cvt_f32_fp8_sdwa v93, v93 src0_sel:BYTE_0
	s_nop 0
	v_mul_f32_e32 v94, s50, v93
	v_and_b32_e32 v93, 0x7f800000, v94
	v_cmp_ne_u32_e64 s[0:1], s48, v93
                                        ; implicit-def: $vgpr93
	s_and_saveexec_b64 s[40:41], s[0:1]
	s_xor_b64 s[0:1], exec, s[40:41]
; %bb.205:                              ;   in Loop: Header=BB329_13 Depth=1
	v_bfe_u32 v93, v94, 16, 1
	v_add3_u32 v93, v94, v93, s49
                                        ; implicit-def: $vgpr94
; %bb.206:                              ;   in Loop: Header=BB329_13 Depth=1
	s_andn2_saveexec_b64 s[40:41], s[0:1]
; %bb.207:                              ;   in Loop: Header=BB329_13 Depth=1
	v_or_b32_e32 v93, 0x10000, v94
	v_cmp_eq_u32_sdwa s[0:1], v94, v27 src0_sel:WORD_0 src1_sel:DWORD
	s_nop 1
	v_cndmask_b32_e64 v93, v93, v94, s[0:1]
; %bb.208:                              ;   in Loop: Header=BB329_13 Depth=1
	s_or_b64 exec, exec, s[40:41]
	v_lshlrev_b32_e32 v96, 16, v24
	v_and_b32_e32 v52, 0xffff0000, v52
	v_lshlrev_b32_e32 v94, 16, v22
	v_mul_f32_e32 v52, v96, v52
	v_and_b32_e32 v48, 0xffff0000, v48
	v_and_b32_e32 v24, 0xffff0000, v24
	v_fmac_f32_e32 v52, v94, v48
	v_and_b32_e32 v48, 0xffff0000, v54
	v_and_b32_e32 v22, 0xffff0000, v22
	v_mul_f32_e32 v24, v24, v48
	v_and_b32_e32 v48, 0xffff0000, v50
	v_lshlrev_b32_e32 v97, 16, v25
	v_fmac_f32_e32 v24, v22, v48
	v_and_b32_e32 v22, 0xffff0000, v53
	v_lshlrev_b32_e32 v95, 16, v23
	v_mul_f32_e32 v22, v97, v22
	v_and_b32_e32 v48, 0xffff0000, v49
	v_and_b32_e32 v25, 0xffff0000, v25
	v_fmac_f32_e32 v22, v95, v48
	v_and_b32_e32 v48, 0xffff0000, v55
	v_and_b32_e32 v23, 0xffff0000, v23
	v_mul_f32_e32 v25, v25, v48
	v_and_b32_e32 v48, 0xffff0000, v51
	v_lshlrev_b32_e32 v98, 16, v18
	v_and_b32_e32 v18, 0xffff0000, v18
	v_fmac_f32_e32 v25, v23, v48
	v_and_b32_e32 v23, 0xffff0000, v57
	v_and_b32_e32 v56, 0xffff0000, v56
	v_lshlrev_b32_e32 v99, 16, v19
	v_lshlrev_b32_e32 v100, 16, v20
	v_and_b32_e32 v20, 0xffff0000, v20
	v_fmac_f32_e32 v52, v98, v23
	v_and_b32_e32 v61, 0xffff0000, v61
	v_and_b32_e32 v60, 0xffff0000, v60
	;; [unrolled: 1-line block ×3, first 2 shown]
	v_fmac_f32_e32 v24, v18, v56
	v_lshlrev_b32_e32 v101, 16, v21
	v_lshlrev_b32_e32 v102, 16, v14
	v_and_b32_e32 v19, 0xffff0000, v19
	v_and_b32_e32 v14, 0xffff0000, v14
	;; [unrolled: 1-line block ×6, first 2 shown]
	v_fmac_f32_e32 v22, v99, v58
	v_fmac_f32_e32 v52, v100, v60
	;; [unrolled: 1-line block ×3, first 2 shown]
	v_and_b32_e32 v21, 0xffff0000, v21
	v_lshlrev_b32_e32 v103, 16, v15
	v_lshlrev_b32_e32 v104, 16, v16
	v_and_b32_e32 v16, 0xffff0000, v16
	v_and_b32_e32 v69, 0xffff0000, v69
	;; [unrolled: 1-line block ×5, first 2 shown]
	v_fmac_f32_e32 v25, v19, v59
	v_fmac_f32_e32 v22, v101, v62
	v_fmac_f32_e32 v52, v102, v64
	v_fmac_f32_e32 v24, v14, v65
	v_lshlrev_b32_e32 v105, 16, v17
	v_and_b32_e32 v15, 0xffff0000, v15
	v_lshlrev_b32_e32 v106, 16, v10
	v_and_b32_e32 v10, 0xffff0000, v10
	v_and_b32_e32 v73, 0xffff0000, v73
	;; [unrolled: 1-line block ×5, first 2 shown]
	v_fmac_f32_e32 v25, v21, v63
	v_fmac_f32_e32 v22, v103, v66
	;; [unrolled: 1-line block ×4, first 2 shown]
	v_and_b32_e32 v17, 0xffff0000, v17
	v_lshlrev_b32_e32 v107, 16, v11
	v_lshlrev_b32_e32 v108, 16, v12
	v_and_b32_e32 v12, 0xffff0000, v12
	v_and_b32_e32 v77, 0xffff0000, v77
	;; [unrolled: 1-line block ×5, first 2 shown]
	v_fmac_f32_e32 v25, v15, v67
	v_fmac_f32_e32 v22, v105, v70
	;; [unrolled: 1-line block ×4, first 2 shown]
	v_lshlrev_b32_e32 v109, 16, v13
	v_and_b32_e32 v11, 0xffff0000, v11
	v_lshlrev_b32_e32 v110, 16, v6
	v_and_b32_e32 v6, 0xffff0000, v6
	v_and_b32_e32 v81, 0xffff0000, v81
	;; [unrolled: 1-line block ×5, first 2 shown]
	v_fmac_f32_e32 v25, v17, v71
	v_fmac_f32_e32 v22, v107, v74
	;; [unrolled: 1-line block ×4, first 2 shown]
	v_and_b32_e32 v13, 0xffff0000, v13
	v_lshlrev_b32_e32 v111, 16, v7
	v_lshlrev_b32_e32 v112, 16, v8
	v_and_b32_e32 v8, 0xffff0000, v8
	v_and_b32_e32 v85, 0xffff0000, v85
	;; [unrolled: 1-line block ×5, first 2 shown]
	v_fmac_f32_e32 v25, v11, v75
	v_fmac_f32_e32 v22, v109, v78
	v_fmac_f32_e32 v52, v110, v80
	v_fmac_f32_e32 v24, v6, v81
	v_lshlrev_b32_e32 v113, 16, v9
	v_and_b32_e32 v7, 0xffff0000, v7
	v_lshlrev_b32_e32 v114, 16, v2
	v_and_b32_e32 v2, 0xffff0000, v2
	v_and_b32_e32 v23, 64, v46
	;; [unrolled: 1-line block ×6, first 2 shown]
	v_fmac_f32_e32 v25, v13, v79
	v_fmac_f32_e32 v22, v111, v82
	;; [unrolled: 1-line block ×4, first 2 shown]
	v_and_b32_e32 v9, 0xffff0000, v9
	v_lshlrev_b32_e32 v115, 16, v3
	v_lshlrev_b32_e32 v116, 16, v4
	v_and_b32_e32 v4, 0xffff0000, v4
	v_add_u32_e32 v23, 64, v23
	v_xor_b32_e32 v48, 1, v46
	v_and_b32_e32 v49, 0xffff0000, v92
	v_and_b32_e32 v32, 0xffff0000, v32
	;; [unrolled: 1-line block ×4, first 2 shown]
	v_fmac_f32_e32 v25, v7, v83
	v_fmac_f32_e32 v22, v113, v55
	;; [unrolled: 1-line block ×4, first 2 shown]
	v_lshlrev_b32_e32 v117, 16, v5
	v_and_b32_e32 v3, 0xffff0000, v3
	v_and_b32_e32 v51, 0xffff0000, v91
	v_cmp_lt_i32_e64 s[0:1], v48, v23
	v_and_b32_e32 v33, 0xffff0000, v33
	v_fmac_f32_e32 v25, v9, v57
	v_fmac_f32_e32 v22, v115, v50
	v_fmac_f32_e32 v52, v116, v32
	v_fmac_f32_e32 v24, v4, v49
	v_and_b32_e32 v5, 0xffff0000, v5
	v_cndmask_b32_e64 v23, v46, v48, s[0:1]
	v_and_b32_e32 v48, 0xffff0000, v93
	v_fmac_f32_e32 v25, v3, v51
	v_fmac_f32_e32 v22, v117, v33
	v_add_f32_e32 v2, v52, v24
	v_fmac_f32_e32 v25, v5, v48
	v_add_f32_e32 v2, v2, v22
	v_lshlrev_b32_e32 v23, 2, v23
	v_add_f32_e32 v2, v2, v25
	ds_bpermute_b32 v3, v23, v2
	s_and_saveexec_b64 s[40:41], vcc
	s_cbranch_execz .LBB329_11
; %bb.209:                              ;   in Loop: Header=BB329_13 Depth=1
	v_add_u32_e32 v4, v44, v42
	v_cvt_f32_i32_e32 v4, v4
	s_waitcnt lgkmcnt(0)
	v_add_f32_e32 v2, v2, v3
	v_add_u32_e32 v5, v38, v42
	v_cmp_gt_i32_e64 s[0:1], s33, v5
	v_mul_f32_e32 v3, s44, v4
	v_cndmask_b32_e64 v3, 0, v3, s[2:3]
	v_fmac_f32_e32 v3, s37, v2
	v_cndmask_b32_e64 v2, 0, v3, s[0:1]
	ds_write_b32 v43, v2
	v_max_f32_e32 v2, v40, v40
	v_max_f32_e32 v2, v2, v3
	v_cndmask_b32_e64 v40, v40, v2, s[0:1]
	s_branch .LBB329_11
.LBB329_210:
	s_or_b64 exec, exec, s[38:39]
.LBB329_211:
	s_or_b64 exec, exec, s[18:19]
	v_mbcnt_hi_u32_b32 v8, -1, v37
	v_and_b32_e32 v2, 64, v8
	v_add_u32_e32 v9, 64, v2
	v_xor_b32_e32 v2, 32, v8
	v_cmp_lt_i32_e32 vcc, v2, v9
	v_xor_b32_e32 v5, 16, v8
	v_max_f32_e32 v4, v40, v40
	v_cndmask_b32_e32 v2, v8, v2, vcc
	v_lshlrev_b32_e32 v2, 2, v2
	s_waitcnt lgkmcnt(0)
	ds_bpermute_b32 v3, v2, v40
	v_cmp_lt_i32_e32 vcc, v5, v9
	v_xor_b32_e32 v6, 8, v8
	v_xor_b32_e32 v7, 4, v8
	;; [unrolled: 1-line block ×3, first 2 shown]
	s_waitcnt lgkmcnt(0)
	v_max_f32_e32 v3, v3, v3
	v_max_f32_e32 v4, v4, v3
	v_cndmask_b32_e32 v3, v8, v5, vcc
	v_lshlrev_b32_e32 v3, 2, v3
	ds_bpermute_b32 v5, v3, v4
	v_cmp_lt_i32_e32 vcc, v6, v9
	v_and_b32_e32 v22, 63, v0
	s_waitcnt lgkmcnt(0)
	v_max_f32_e32 v5, v5, v5
	v_max_f32_e32 v5, v4, v5
	v_cndmask_b32_e32 v4, v8, v6, vcc
	v_lshlrev_b32_e32 v4, 2, v4
	ds_bpermute_b32 v6, v4, v5
	v_cmp_lt_i32_e32 vcc, v7, v9
	s_waitcnt lgkmcnt(0)
	v_max_f32_e32 v6, v6, v6
	v_max_f32_e32 v6, v5, v6
	v_cndmask_b32_e32 v5, v8, v7, vcc
	v_lshlrev_b32_e32 v5, 2, v5
	ds_bpermute_b32 v7, v5, v6
	v_cmp_lt_i32_e32 vcc, v10, v9
	s_waitcnt lgkmcnt(0)
	v_max_f32_e32 v7, v7, v7
	v_max_f32_e32 v7, v6, v7
	v_cndmask_b32_e32 v6, v8, v10, vcc
	v_lshlrev_b32_e32 v23, 2, v6
	ds_bpermute_b32 v10, v23, v7
	v_cmp_eq_u32_e32 vcc, 0, v22
	v_lshlrev_b32_e32 v6, 2, v1
	s_and_saveexec_b64 s[0:1], vcc
	s_cbranch_execz .LBB329_213
; %bb.212:
	s_waitcnt lgkmcnt(0)
	v_max_f32_e32 v10, v10, v10
	v_max_f32_e32 v7, v7, v7
	;; [unrolled: 1-line block ×3, first 2 shown]
	ds_write_b32 v6, v7 offset:192
.LBB329_213:
	s_or_b64 exec, exec, s[0:1]
	v_cmp_gt_u32_e64 s[0:1], 2, v22
	s_waitcnt lgkmcnt(0)
	v_mov_b32_e32 v10, 0xff7fffff
	v_lshlrev_b32_e32 v7, 2, v22
	s_barrier
	s_and_saveexec_b64 s[2:3], s[0:1]
	s_cbranch_execz .LBB329_215
; %bb.214:
	ds_read_b32 v10, v7 offset:192
.LBB329_215:
	s_or_b64 exec, exec, s[2:3]
	v_xor_b32_e32 v11, 1, v8
	v_cmp_lt_i32_e64 s[2:3], v11, v9
	s_nop 1
	v_cndmask_b32_e64 v9, v8, v11, s[2:3]
	v_lshlrev_b32_e32 v24, 2, v9
	s_waitcnt lgkmcnt(0)
	ds_bpermute_b32 v9, v24, v10
	v_max_f32_e32 v10, v10, v10
	v_lshlrev_b32_e32 v8, 2, v8
	v_and_b32_e32 v8, 0x100, v8
	s_lshl_b32 s2, s20, 5
	s_waitcnt lgkmcnt(0)
	v_max_f32_e32 v9, v9, v9
	v_max_f32_e32 v9, v10, v9
	ds_bpermute_b32 v10, v8, v9
	s_min_i32 s37, s2, s33
	v_cmp_gt_i32_e64 s[2:3], s37, v0
	v_mov_b32_e32 v9, 0
	s_and_saveexec_b64 s[12:13], s[2:3]
	s_cbranch_execz .LBB329_219
; %bb.216:
	v_mov_b32_e32 v9, 0xd0
	v_lshl_add_u32 v11, v0, 2, v9
	s_mov_b64 s[18:19], 0
	v_mov_b32_e32 v9, 0
	v_mov_b32_e32 v12, v0
.LBB329_217:                            ; =>This Inner Loop Header: Depth=1
	ds_read_b32 v13, v11
	v_add_u32_e32 v12, 0x80, v12
	v_cmp_le_i32_e64 s[8:9], s37, v12
	s_or_b64 s[18:19], s[8:9], s[18:19]
	s_waitcnt lgkmcnt(0)
	v_sub_f32_e32 v13, v13, v10
	v_mul_f32_e32 v13, 0x3fb8aa3b, v13
	v_exp_f32_e32 v13, v13
	ds_write_b32 v11, v13
	v_add_f32_e32 v9, v9, v13
	v_add_u32_e32 v11, 0x200, v11
	s_andn2_b64 exec, exec, s[18:19]
	s_cbranch_execnz .LBB329_217
; %bb.218:
	s_or_b64 exec, exec, s[18:19]
.LBB329_219:
	s_or_b64 exec, exec, s[12:13]
	ds_bpermute_b32 v2, v2, v9
	s_waitcnt lgkmcnt(0)
	v_add_f32_e32 v2, v9, v2
	ds_bpermute_b32 v3, v3, v2
	s_waitcnt lgkmcnt(0)
	v_add_f32_e32 v2, v2, v3
	;; [unrolled: 3-line block ×6, first 2 shown]
	s_and_saveexec_b64 s[8:9], vcc
	s_cbranch_execz .LBB329_221
; %bb.220:
	ds_write_b32 v6, v2 offset:200
.LBB329_221:
	s_or_b64 exec, exec, s[8:9]
	s_waitcnt lgkmcnt(0)
	s_barrier
	s_and_saveexec_b64 s[8:9], s[0:1]
	s_cbranch_execz .LBB329_223
; %bb.222:
	ds_read_b32 v2, v7 offset:200
.LBB329_223:
	s_or_b64 exec, exec, s[8:9]
	s_waitcnt lgkmcnt(0)
	ds_bpermute_b32 v3, v24, v2
	s_waitcnt lgkmcnt(0)
	v_add_f32_e32 v2, v2, v3
	ds_bpermute_b32 v2, v8, v2
	s_and_saveexec_b64 s[0:1], s[2:3]
	s_cbranch_execz .LBB329_236
; %bb.224:
	s_waitcnt lgkmcnt(0)
	v_add_f32_e32 v2, 0x358637bd, v2
	v_div_scale_f32 v3, s[2:3], v2, v2, 1.0
	v_rcp_f32_e32 v4, v3
	v_div_scale_f32 v5, vcc, 1.0, v2, 1.0
	s_movk_i32 s2, 0x7f
	v_fma_f32 v6, -v3, v4, 1.0
	v_fmac_f32_e32 v4, v6, v4
	v_mul_f32_e32 v6, v5, v4
	v_fma_f32 v7, -v3, v6, v5
	v_fmac_f32_e32 v6, v7, v4
	v_fma_f32 v3, -v3, v6, v5
	v_div_fmas_f32 v3, v3, v4, v6
	v_xad_u32 v4, v0, -1, s37
	v_div_fixup_f32 v2, v3, v2, 1.0
	v_cmp_lt_u32_e32 vcc, s2, v4
	s_mov_b64 s[8:9], -1
	v_mov_b32_e32 v3, v0
	s_and_saveexec_b64 s[2:3], vcc
	s_cbranch_execz .LBB329_233
; %bb.225:
	v_lshrrev_b32_e32 v4, 7, v4
	v_add_u32_e32 v6, -1, v4
	v_lshrrev_b32_e32 v5, 1, v6
	v_mov_b32_e32 v3, v2
	v_add_u32_e32 v5, 1, v5
	v_cmp_lt_u32_e32 vcc, 13, v6
	v_mov_b32_e32 v8, 0
	s_and_saveexec_b64 s[8:9], vcc
	s_cbranch_execz .LBB329_229
; %bb.226:
	v_mov_b32_e32 v7, 0xd0
	v_and_b32_e32 v6, -8, v5
	v_lshl_add_u32 v7, v0, 2, v7
	s_mov_b32 s18, 0
	s_mov_b64 s[12:13], 0
.LBB329_227:                            ; =>This Inner Loop Header: Depth=1
	ds_read2st64_b32 v[8:9], v7 offset1:2
	ds_read2st64_b32 v[10:11], v7 offset0:4 offset1:6
	ds_read2st64_b32 v[12:13], v7 offset0:8 offset1:10
	;; [unrolled: 1-line block ×3, first 2 shown]
	v_add_u32_e32 v6, -8, v6
	s_waitcnt lgkmcnt(3)
	v_pk_mul_f32 v[8:9], v[2:3], v[8:9]
	s_waitcnt lgkmcnt(2)
	v_pk_mul_f32 v[10:11], v[2:3], v[10:11]
	ds_write2st64_b32 v7, v8, v9 offset1:2
	ds_write2st64_b32 v7, v10, v11 offset0:4 offset1:6
	ds_read2st64_b32 v[10:11], v7 offset0:16 offset1:18
	s_waitcnt lgkmcnt(4)
	v_pk_mul_f32 v[8:9], v[2:3], v[12:13]
	ds_write2st64_b32 v7, v8, v9 offset0:8 offset1:10
	s_waitcnt lgkmcnt(4)
	v_pk_mul_f32 v[8:9], v[2:3], v[14:15]
	ds_write2st64_b32 v7, v8, v9 offset0:12 offset1:14
	ds_read2st64_b32 v[8:9], v7 offset0:20 offset1:22
	s_waitcnt lgkmcnt(3)
	v_pk_mul_f32 v[10:11], v[2:3], v[10:11]
	ds_read2st64_b32 v[12:13], v7 offset0:24 offset1:26
	ds_write2st64_b32 v7, v10, v11 offset0:16 offset1:18
	ds_read2st64_b32 v[10:11], v7 offset0:28 offset1:30
	s_waitcnt lgkmcnt(3)
	v_pk_mul_f32 v[8:9], v[2:3], v[8:9]
	ds_write2st64_b32 v7, v8, v9 offset0:20 offset1:22
	s_waitcnt lgkmcnt(3)
	v_pk_mul_f32 v[8:9], v[2:3], v[12:13]
	ds_write2st64_b32 v7, v8, v9 offset0:24 offset1:26
	s_waitcnt lgkmcnt(2)
	v_pk_mul_f32 v[8:9], v[2:3], v[10:11]
	s_add_i32 s18, s18, 16
	v_cmp_eq_u32_e32 vcc, 0, v6
	ds_write2st64_b32 v7, v8, v9 offset0:28 offset1:30
	v_add_u32_e32 v7, 0x2000, v7
	s_or_b64 s[12:13], vcc, s[12:13]
	v_mov_b32_e32 v8, s18
	s_andn2_b64 exec, exec, s[12:13]
	s_cbranch_execnz .LBB329_227
; %bb.228:
	s_or_b64 exec, exec, s[12:13]
.LBB329_229:
	s_or_b64 exec, exec, s[8:9]
	v_and_b32_e32 v5, 7, v5
	v_cmp_ne_u32_e32 vcc, 0, v5
	s_and_saveexec_b64 s[8:9], vcc
	s_cbranch_execz .LBB329_232
; %bb.230:
	v_lshlrev_b32_e32 v6, 9, v8
	v_lshlrev_b32_e32 v7, 2, v0
	s_movk_i32 s12, 0xd0
	v_add3_u32 v6, v6, v7, s12
	s_mov_b64 s[12:13], 0
.LBB329_231:                            ; =>This Inner Loop Header: Depth=1
	ds_read2st64_b32 v[8:9], v6 offset1:2
	v_add_u32_e32 v5, -1, v5
	v_cmp_eq_u32_e32 vcc, 0, v5
	s_or_b64 s[12:13], vcc, s[12:13]
	s_waitcnt lgkmcnt(0)
	v_pk_mul_f32 v[8:9], v[2:3], v[8:9]
	ds_write2st64_b32 v6, v8, v9 offset1:2
	v_add_u32_e32 v6, 0x400, v6
	s_andn2_b64 exec, exec, s[12:13]
	s_cbranch_execnz .LBB329_231
.LBB329_232:
	s_or_b64 exec, exec, s[8:9]
	v_add_u32_e32 v4, 1, v4
	v_and_b32_e32 v5, 0x3fffffe, v4
	v_cmp_ne_u32_e32 vcc, v4, v5
	v_lshl_add_u32 v3, v5, 7, v0
	s_orn2_b64 s[8:9], vcc, exec
.LBB329_233:
	s_or_b64 exec, exec, s[2:3]
	s_and_b64 exec, exec, s[8:9]
	s_cbranch_execz .LBB329_236
; %bb.234:
	v_mov_b32_e32 v4, 0xd0
	v_lshl_add_u32 v4, v3, 2, v4
	s_mov_b64 s[2:3], 0
.LBB329_235:                            ; =>This Inner Loop Header: Depth=1
	ds_read_b32 v5, v4
	v_add_u32_e32 v3, 0x80, v3
	v_cmp_le_i32_e32 vcc, s37, v3
	s_or_b64 s[2:3], vcc, s[2:3]
	s_waitcnt lgkmcnt(0)
	v_mul_f32_e32 v5, v2, v5
	ds_write_b32 v4, v5
	v_add_u32_e32 v4, 0x200, v4
	s_andn2_b64 exec, exec, s[2:3]
	s_cbranch_execnz .LBB329_235
.LBB329_236:
	s_or_b64 exec, exec, s[0:1]
	v_mov_b32_e32 v11, 0
	v_and_b32_e32 v25, 3, v0
	v_mov_b32_e32 v10, 0
	v_mov_b32_e32 v13, 0
	;; [unrolled: 1-line block ×5, first 2 shown]
	s_waitcnt lgkmcnt(0)
	s_barrier
	s_and_saveexec_b64 s[2:3], s[6:7]
	s_cbranch_execz .LBB329_670
; %bb.237:
	s_sub_i32 s18, s42, s21
	s_ashr_i32 s1, s43, 31
	s_add_u32 s0, s34, s43
	s_addc_u32 s1, s35, s1
	s_abs_i32 s19, s22
	v_cvt_f32_u32_e32 v2, s19
	s_sub_i32 s6, 0, s19
	v_and_b32_e32 v16, 0x1f8, v35
	v_mov_b32_e32 v17, 0
	v_rcp_iflag_f32_e32 v2, v2
	s_add_i32 s21, s20, -1
	v_lshl_add_u64 v[18:19], s[0:1], 0, v[16:17]
	s_lshl_b64 s[0:1], s[30:31], 2
	v_mul_f32_e32 v2, 0x4f7ffffe, v2
	v_cvt_u32_f32_e32 v2, v2
	s_add_u32 s0, s28, s0
	v_and_b32_e32 v16, 60, v36
	s_addc_u32 s1, s29, s1
	v_mul_lo_u32 v3, s6, v2
	v_mul_hi_u32 v3, v2, v3
	v_add_u32_e32 v27, v2, v3
	v_lshlrev_b32_e32 v2, 5, v25
	v_lshl_or_b32 v2, v1, 7, v2
	v_and_b32_e32 v26, 24, v35
	v_lshl_add_u64 v[20:21], s[0:1], 0, v[16:17]
	v_add_u32_e32 v16, 0xd0, v2
	s_mov_b64 s[6:7], 0
	s_mov_b32 s22, 0x7f800000
	s_movk_i32 s28, 0x7fff
	v_mov_b32_e32 v14, 0
	v_mov_b32_e32 v15, 0
	;; [unrolled: 1-line block ×6, first 2 shown]
	s_branch .LBB329_240
.LBB329_238:                            ;   in Loop: Header=BB329_240 Depth=1
	s_or_b64 exec, exec, s[0:1]
	v_and_b32_e32 v45, 0xffff0000, v74
	v_and_b32_e32 v44, 0xffff0000, v5
	;; [unrolled: 1-line block ×8, first 2 shown]
	v_pk_add_f32 v[4:5], v[4:5], v[44:45]
	v_pk_add_f32 v[40:41], v[42:43], v[40:41]
	v_add_f32_e32 v4, v4, v5
	v_add_f32_e32 v4, v4, v40
	v_add_f32_e32 v4, v4, v41
	v_and_b32_e32 v43, 0xffff0000, v68
	v_and_b32_e32 v42, 0xffff0000, v66
	v_and_b32_e32 v45, 0xffff0000, v67
	v_and_b32_e32 v44, 0xffff0000, v65
	v_add_f32_e32 v10, v10, v4
	v_and_b32_e32 v5, 0xffff0000, v72
	v_and_b32_e32 v4, 0xffff0000, v70
	v_and_b32_e32 v41, 0xffff0000, v71
	v_and_b32_e32 v40, 0xffff0000, v69
	v_pk_add_f32 v[42:43], v[44:45], v[42:43]
	v_pk_add_f32 v[4:5], v[40:41], v[4:5]
	v_add_f32_e32 v39, v42, v43
	v_add_f32_e32 v4, v39, v4
	v_add_f32_e32 v4, v4, v5
	v_and_b32_e32 v43, 0xffff0000, v60
	v_and_b32_e32 v42, 0xffff0000, v58
	v_and_b32_e32 v45, 0xffff0000, v59
	v_and_b32_e32 v44, 0xffff0000, v57
	v_add_f32_e32 v13, v13, v4
	v_and_b32_e32 v5, 0xffff0000, v64
	v_and_b32_e32 v4, 0xffff0000, v62
	v_and_b32_e32 v41, 0xffff0000, v63
	v_and_b32_e32 v40, 0xffff0000, v61
	;; [unrolled: 14-line block ×3, first 2 shown]
	v_pk_add_f32 v[42:43], v[44:45], v[42:43]
	v_pk_add_f32 v[4:5], v[40:41], v[4:5]
	v_add_f32_e32 v39, v42, v43
	v_add_f32_e32 v4, v39, v4
	;; [unrolled: 1-line block ×4, first 2 shown]
	v_and_b32_e32 v5, 0xffff0000, v31
	v_and_b32_e32 v4, 0xffff0000, v29
	;; [unrolled: 1-line block ×8, first 2 shown]
	v_pk_add_f32 v[6:7], v[6:7], v[30:31]
	v_pk_add_f32 v[4:5], v[28:29], v[4:5]
	v_add_f32_e32 v6, v6, v7
	v_add_f32_e32 v4, v6, v4
	;; [unrolled: 1-line block ×3, first 2 shown]
	v_and_b32_e32 v9, 0xffff0000, v33
	v_and_b32_e32 v8, 0xffff0000, v3
	;; [unrolled: 1-line block ×4, first 2 shown]
	v_add_f32_e32 v14, v14, v4
	v_and_b32_e32 v5, 0xffff0000, v38
	v_and_b32_e32 v4, 0xffff0000, v36
	;; [unrolled: 1-line block ×4, first 2 shown]
	v_pk_add_f32 v[2:3], v[2:3], v[8:9]
	v_pk_add_f32 v[4:5], v[6:7], v[4:5]
	v_add_f32_e32 v2, v2, v3
	v_add_f32_e32 v2, v2, v4
	;; [unrolled: 1-line block ×4, first 2 shown]
.LBB329_239:                            ;   in Loop: Header=BB329_240 Depth=1
	s_or_b64 exec, exec, s[8:9]
	v_add_u32_e32 v1, 2, v1
	v_cmp_le_i32_e32 vcc, s20, v1
	v_lshl_add_u64 v[20:21], v[20:21], 0, 8
	v_add_u32_e32 v34, 64, v34
	s_or_b64 s[6:7], vcc, s[6:7]
	v_add_u32_e32 v16, 0x100, v16
	s_andn2_b64 exec, exec, s[6:7]
	s_cbranch_execz .LBB329_669
.LBB329_240:                            ; =>This Inner Loop Header: Depth=1
	v_mul_hi_u32 v2, v34, s25
	v_mul_lo_u32 v3, v2, s16
	v_sub_u32_e32 v3, v34, v3
	v_add_u32_e32 v4, 1, v2
	v_cmp_le_u32_e32 vcc, s16, v3
	s_nop 1
	v_cndmask_b32_e32 v2, v2, v4, vcc
	v_subrev_u32_e32 v4, s16, v3
	v_cndmask_b32_e32 v3, v3, v4, vcc
	v_add_u32_e32 v4, 1, v2
	v_cmp_le_u32_e32 vcc, s16, v3
	s_nop 1
	v_cndmask_b32_e32 v2, v2, v4, vcc
	v_xor_b32_e32 v2, s23, v2
	v_subrev_u32_e32 v2, s23, v2
	v_add_u32_e32 v3, s36, v2
	v_sub_u32_e32 v5, 0, v3
	v_ashrrev_i32_e32 v4, 31, v3
	v_max_i32_e32 v3, v3, v5
	v_mul_hi_u32 v5, v3, v27
	v_mul_lo_u32 v5, v5, s19
	v_sub_u32_e32 v3, v3, v5
	v_subrev_u32_e32 v5, s19, v3
	v_cmp_le_u32_e32 vcc, s19, v3
	v_cmp_lt_i32_e64 s[0:1], s18, v2
	s_nop 0
	v_cndmask_b32_e32 v3, v3, v5, vcc
	v_subrev_u32_e32 v5, s19, v3
	v_cmp_le_u32_e32 vcc, s19, v3
	s_nop 1
	v_cndmask_b32_e32 v3, v3, v5, vcc
	v_xor_b32_e32 v3, v3, v4
	v_sub_u32_e32 v3, v3, v4
	v_cmp_eq_u32_e32 vcc, 0, v3
	s_or_b64 s[0:1], vcc, s[0:1]
	s_and_saveexec_b64 s[8:9], s[0:1]
	s_cbranch_execz .LBB329_239
; %bb.241:                              ;   in Loop: Header=BB329_240 Depth=1
	global_load_dword v32, v[20:21], off
	ds_read2_b64 v[6:9], v16 offset1:1
	ds_read2_b64 v[2:5], v16 offset0:2 offset1:3
                                        ; implicit-def: $vgpr41
	s_waitcnt lgkmcnt(1)
	v_and_b32_e32 v28, 0x7f800000, v6
	v_cmp_ne_u32_e32 vcc, s22, v28
	s_and_saveexec_b64 s[0:1], vcc
	s_xor_b64 s[0:1], exec, s[0:1]
; %bb.242:                              ;   in Loop: Header=BB329_240 Depth=1
	v_bfe_u32 v28, v6, 16, 1
	v_add3_u32 v41, v6, v28, s28
; %bb.243:                              ;   in Loop: Header=BB329_240 Depth=1
	s_andn2_saveexec_b64 s[0:1], s[0:1]
; %bb.244:                              ;   in Loop: Header=BB329_240 Depth=1
	v_or_b32_e32 v28, 0x10000, v6
	v_cmp_eq_u32_sdwa vcc, v6, v17 src0_sel:WORD_0 src1_sel:DWORD
	s_nop 1
	v_cndmask_b32_e32 v41, v28, v6, vcc
; %bb.245:                              ;   in Loop: Header=BB329_240 Depth=1
	s_or_b64 exec, exec, s[0:1]
	v_and_b32_e32 v6, 0x7f800000, v7
	v_cmp_ne_u32_e32 vcc, s22, v6
                                        ; implicit-def: $vgpr42
	s_and_saveexec_b64 s[0:1], vcc
	s_xor_b64 s[0:1], exec, s[0:1]
; %bb.246:                              ;   in Loop: Header=BB329_240 Depth=1
	v_bfe_u32 v6, v7, 16, 1
	v_add3_u32 v42, v7, v6, s28
; %bb.247:                              ;   in Loop: Header=BB329_240 Depth=1
	s_andn2_saveexec_b64 s[0:1], s[0:1]
; %bb.248:                              ;   in Loop: Header=BB329_240 Depth=1
	v_or_b32_e32 v6, 0x10000, v7
	v_cmp_eq_u32_sdwa vcc, v7, v17 src0_sel:WORD_0 src1_sel:DWORD
	s_nop 1
	v_cndmask_b32_e32 v42, v6, v7, vcc
; %bb.249:                              ;   in Loop: Header=BB329_240 Depth=1
	s_or_b64 exec, exec, s[0:1]
	v_and_b32_e32 v6, 0x7f800000, v8
	v_cmp_ne_u32_e32 vcc, s22, v6
                                        ; implicit-def: $vgpr43
	s_and_saveexec_b64 s[0:1], vcc
	s_xor_b64 s[0:1], exec, s[0:1]
; %bb.250:                              ;   in Loop: Header=BB329_240 Depth=1
	v_bfe_u32 v6, v8, 16, 1
	v_add3_u32 v43, v8, v6, s28
; %bb.251:                              ;   in Loop: Header=BB329_240 Depth=1
	s_andn2_saveexec_b64 s[0:1], s[0:1]
; %bb.252:                              ;   in Loop: Header=BB329_240 Depth=1
	v_or_b32_e32 v6, 0x10000, v8
	v_cmp_eq_u32_sdwa vcc, v8, v17 src0_sel:WORD_0 src1_sel:DWORD
	s_nop 1
	v_cndmask_b32_e32 v43, v6, v8, vcc
; %bb.253:                              ;   in Loop: Header=BB329_240 Depth=1
	s_or_b64 exec, exec, s[0:1]
	v_and_b32_e32 v6, 0x7f800000, v9
	v_cmp_ne_u32_e32 vcc, s22, v6
                                        ; implicit-def: $vgpr44
	s_and_saveexec_b64 s[0:1], vcc
	s_xor_b64 s[0:1], exec, s[0:1]
; %bb.254:                              ;   in Loop: Header=BB329_240 Depth=1
	v_bfe_u32 v6, v9, 16, 1
	v_add3_u32 v44, v9, v6, s28
                                        ; implicit-def: $vgpr6_vgpr7_vgpr8_vgpr9
; %bb.255:                              ;   in Loop: Header=BB329_240 Depth=1
	s_andn2_saveexec_b64 s[0:1], s[0:1]
; %bb.256:                              ;   in Loop: Header=BB329_240 Depth=1
	v_or_b32_e32 v6, 0x10000, v9
	v_cmp_eq_u32_sdwa vcc, v9, v17 src0_sel:WORD_0 src1_sel:DWORD
	s_nop 1
	v_cndmask_b32_e32 v44, v6, v9, vcc
; %bb.257:                              ;   in Loop: Header=BB329_240 Depth=1
	s_or_b64 exec, exec, s[0:1]
	s_waitcnt lgkmcnt(0)
	v_and_b32_e32 v6, 0x7f800000, v2
	v_cmp_ne_u32_e32 vcc, s22, v6
                                        ; implicit-def: $vgpr28
	s_and_saveexec_b64 s[0:1], vcc
	s_xor_b64 s[0:1], exec, s[0:1]
; %bb.258:                              ;   in Loop: Header=BB329_240 Depth=1
	v_bfe_u32 v6, v2, 16, 1
	v_add3_u32 v28, v2, v6, s28
; %bb.259:                              ;   in Loop: Header=BB329_240 Depth=1
	s_andn2_saveexec_b64 s[0:1], s[0:1]
; %bb.260:                              ;   in Loop: Header=BB329_240 Depth=1
	v_or_b32_e32 v6, 0x10000, v2
	v_cmp_eq_u32_sdwa vcc, v2, v17 src0_sel:WORD_0 src1_sel:DWORD
	s_nop 1
	v_cndmask_b32_e32 v28, v6, v2, vcc
; %bb.261:                              ;   in Loop: Header=BB329_240 Depth=1
	s_or_b64 exec, exec, s[0:1]
	v_and_b32_e32 v2, 0x7f800000, v3
	v_cmp_ne_u32_e32 vcc, s22, v2
                                        ; implicit-def: $vgpr29
	s_and_saveexec_b64 s[0:1], vcc
	s_xor_b64 s[0:1], exec, s[0:1]
; %bb.262:                              ;   in Loop: Header=BB329_240 Depth=1
	v_bfe_u32 v2, v3, 16, 1
	v_add3_u32 v29, v3, v2, s28
; %bb.263:                              ;   in Loop: Header=BB329_240 Depth=1
	s_andn2_saveexec_b64 s[0:1], s[0:1]
; %bb.264:                              ;   in Loop: Header=BB329_240 Depth=1
	v_or_b32_e32 v2, 0x10000, v3
	v_cmp_eq_u32_sdwa vcc, v3, v17 src0_sel:WORD_0 src1_sel:DWORD
	s_nop 1
	v_cndmask_b32_e32 v29, v2, v3, vcc
; %bb.265:                              ;   in Loop: Header=BB329_240 Depth=1
	s_or_b64 exec, exec, s[0:1]
	v_and_b32_e32 v2, 0x7f800000, v4
	v_cmp_ne_u32_e32 vcc, s22, v2
                                        ; implicit-def: $vgpr30
	s_and_saveexec_b64 s[0:1], vcc
	s_xor_b64 s[0:1], exec, s[0:1]
; %bb.266:                              ;   in Loop: Header=BB329_240 Depth=1
	v_bfe_u32 v2, v4, 16, 1
	v_add3_u32 v30, v4, v2, s28
; %bb.267:                              ;   in Loop: Header=BB329_240 Depth=1
	s_andn2_saveexec_b64 s[0:1], s[0:1]
; %bb.268:                              ;   in Loop: Header=BB329_240 Depth=1
	v_or_b32_e32 v2, 0x10000, v4
	v_cmp_eq_u32_sdwa vcc, v4, v17 src0_sel:WORD_0 src1_sel:DWORD
	s_nop 1
	v_cndmask_b32_e32 v30, v2, v4, vcc
; %bb.269:                              ;   in Loop: Header=BB329_240 Depth=1
	s_or_b64 exec, exec, s[0:1]
	v_and_b32_e32 v2, 0x7f800000, v5
	v_cmp_ne_u32_e32 vcc, s22, v2
                                        ; implicit-def: $vgpr31
	s_and_saveexec_b64 s[0:1], vcc
	s_xor_b64 s[0:1], exec, s[0:1]
; %bb.270:                              ;   in Loop: Header=BB329_240 Depth=1
	v_bfe_u32 v2, v5, 16, 1
	v_add3_u32 v31, v5, v2, s28
                                        ; implicit-def: $vgpr2_vgpr3_vgpr4_vgpr5
; %bb.271:                              ;   in Loop: Header=BB329_240 Depth=1
	s_andn2_saveexec_b64 s[0:1], s[0:1]
; %bb.272:                              ;   in Loop: Header=BB329_240 Depth=1
	v_or_b32_e32 v2, 0x10000, v5
	v_cmp_eq_u32_sdwa vcc, v5, v17 src0_sel:WORD_0 src1_sel:DWORD
	s_nop 1
	v_cndmask_b32_e32 v31, v2, v5, vcc
; %bb.273:                              ;   in Loop: Header=BB329_240 Depth=1
	s_or_b64 exec, exec, s[0:1]
	s_waitcnt vmcnt(0)
	v_mad_i64_i32 v[2:3], s[0:1], v32, s17, v[18:19]
	global_load_dwordx2 v[4:5], v[2:3], off
	s_load_dword s29, s[14:15], 0x0
	s_waitcnt vmcnt(0)
	v_and_b32_e32 v6, 0xff, v4
	v_cvt_f32_fp8_sdwa v6, v6 src0_sel:BYTE_0
	s_waitcnt lgkmcnt(0)
	v_mul_f32_e32 v7, s29, v6
	v_and_b32_e32 v6, 0x7f800000, v7
	v_cmp_ne_u32_e32 vcc, s22, v6
                                        ; implicit-def: $vgpr6
	s_and_saveexec_b64 s[0:1], vcc
	s_xor_b64 s[0:1], exec, s[0:1]
; %bb.274:                              ;   in Loop: Header=BB329_240 Depth=1
	v_bfe_u32 v6, v7, 16, 1
	v_add3_u32 v6, v7, v6, s28
                                        ; implicit-def: $vgpr7
; %bb.275:                              ;   in Loop: Header=BB329_240 Depth=1
	s_andn2_saveexec_b64 s[0:1], s[0:1]
; %bb.276:                              ;   in Loop: Header=BB329_240 Depth=1
	v_or_b32_e32 v6, 0x10000, v7
	v_cmp_eq_u32_sdwa vcc, v7, v17 src0_sel:WORD_0 src1_sel:DWORD
	s_nop 1
	v_cndmask_b32_e32 v6, v6, v7, vcc
; %bb.277:                              ;   in Loop: Header=BB329_240 Depth=1
	s_or_b64 exec, exec, s[0:1]
	v_bfe_u32 v7, v4, 8, 8
	v_cvt_f32_fp8_sdwa v7, v7 src0_sel:BYTE_0
	s_nop 0
	v_mul_f32_e32 v8, s29, v7
	v_and_b32_e32 v7, 0x7f800000, v8
	v_cmp_ne_u32_e32 vcc, s22, v7
                                        ; implicit-def: $vgpr7
	s_and_saveexec_b64 s[0:1], vcc
	s_xor_b64 s[0:1], exec, s[0:1]
; %bb.278:                              ;   in Loop: Header=BB329_240 Depth=1
	v_bfe_u32 v7, v8, 16, 1
	v_add3_u32 v7, v8, v7, s28
                                        ; implicit-def: $vgpr8
; %bb.279:                              ;   in Loop: Header=BB329_240 Depth=1
	s_andn2_saveexec_b64 s[0:1], s[0:1]
; %bb.280:                              ;   in Loop: Header=BB329_240 Depth=1
	v_or_b32_e32 v7, 0x10000, v8
	v_cmp_eq_u32_sdwa vcc, v8, v17 src0_sel:WORD_0 src1_sel:DWORD
	s_nop 1
	v_cndmask_b32_e32 v7, v7, v8, vcc
; %bb.281:                              ;   in Loop: Header=BB329_240 Depth=1
	s_or_b64 exec, exec, s[0:1]
	v_bfe_u32 v8, v4, 16, 8
	v_cvt_f32_fp8_sdwa v8, v8 src0_sel:BYTE_0
	s_nop 0
	v_mul_f32_e32 v9, s29, v8
	v_and_b32_e32 v8, 0x7f800000, v9
	v_cmp_ne_u32_e32 vcc, s22, v8
                                        ; implicit-def: $vgpr8
	s_and_saveexec_b64 s[0:1], vcc
	s_xor_b64 s[0:1], exec, s[0:1]
; %bb.282:                              ;   in Loop: Header=BB329_240 Depth=1
	v_bfe_u32 v8, v9, 16, 1
	v_add3_u32 v8, v9, v8, s28
                                        ; implicit-def: $vgpr9
; %bb.283:                              ;   in Loop: Header=BB329_240 Depth=1
	s_andn2_saveexec_b64 s[0:1], s[0:1]
; %bb.284:                              ;   in Loop: Header=BB329_240 Depth=1
	v_or_b32_e32 v8, 0x10000, v9
	v_cmp_eq_u32_sdwa vcc, v9, v17 src0_sel:WORD_0 src1_sel:DWORD
	s_nop 1
	v_cndmask_b32_e32 v8, v8, v9, vcc
; %bb.285:                              ;   in Loop: Header=BB329_240 Depth=1
	s_or_b64 exec, exec, s[0:1]
	v_lshrrev_b32_e32 v4, 24, v4
	v_cvt_f32_fp8_sdwa v4, v4 src0_sel:BYTE_0
	s_nop 0
	v_mul_f32_e32 v9, s29, v4
	v_and_b32_e32 v4, 0x7f800000, v9
	v_cmp_ne_u32_e32 vcc, s22, v4
                                        ; implicit-def: $vgpr4
	s_and_saveexec_b64 s[0:1], vcc
	s_xor_b64 s[0:1], exec, s[0:1]
; %bb.286:                              ;   in Loop: Header=BB329_240 Depth=1
	v_bfe_u32 v4, v9, 16, 1
	v_add3_u32 v4, v9, v4, s28
                                        ; implicit-def: $vgpr9
; %bb.287:                              ;   in Loop: Header=BB329_240 Depth=1
	s_andn2_saveexec_b64 s[0:1], s[0:1]
; %bb.288:                              ;   in Loop: Header=BB329_240 Depth=1
	v_or_b32_e32 v4, 0x10000, v9
	v_cmp_eq_u32_sdwa vcc, v9, v17 src0_sel:WORD_0 src1_sel:DWORD
	s_nop 1
	v_cndmask_b32_e32 v4, v4, v9, vcc
; %bb.289:                              ;   in Loop: Header=BB329_240 Depth=1
	s_or_b64 exec, exec, s[0:1]
	v_and_b32_e32 v9, 0xff, v5
	v_cvt_f32_fp8_sdwa v9, v9 src0_sel:BYTE_0
	s_nop 0
	v_mul_f32_e32 v32, s29, v9
	v_and_b32_e32 v9, 0x7f800000, v32
	v_cmp_ne_u32_e32 vcc, s22, v9
                                        ; implicit-def: $vgpr9
	s_and_saveexec_b64 s[0:1], vcc
	s_xor_b64 s[0:1], exec, s[0:1]
; %bb.290:                              ;   in Loop: Header=BB329_240 Depth=1
	v_bfe_u32 v9, v32, 16, 1
	v_add3_u32 v9, v32, v9, s28
                                        ; implicit-def: $vgpr32
; %bb.291:                              ;   in Loop: Header=BB329_240 Depth=1
	s_andn2_saveexec_b64 s[0:1], s[0:1]
; %bb.292:                              ;   in Loop: Header=BB329_240 Depth=1
	v_or_b32_e32 v9, 0x10000, v32
	v_cmp_eq_u32_sdwa vcc, v32, v17 src0_sel:WORD_0 src1_sel:DWORD
	s_nop 1
	v_cndmask_b32_e32 v9, v9, v32, vcc
; %bb.293:                              ;   in Loop: Header=BB329_240 Depth=1
	s_or_b64 exec, exec, s[0:1]
	v_bfe_u32 v32, v5, 8, 8
	v_cvt_f32_fp8_sdwa v32, v32 src0_sel:BYTE_0
	s_nop 0
	v_mul_f32_e32 v32, s29, v32
	v_and_b32_e32 v33, 0x7f800000, v32
	v_cmp_ne_u32_e32 vcc, s22, v33
                                        ; implicit-def: $vgpr33
	s_and_saveexec_b64 s[0:1], vcc
	s_xor_b64 s[0:1], exec, s[0:1]
; %bb.294:                              ;   in Loop: Header=BB329_240 Depth=1
	v_bfe_u32 v33, v32, 16, 1
	v_add3_u32 v33, v32, v33, s28
                                        ; implicit-def: $vgpr32
; %bb.295:                              ;   in Loop: Header=BB329_240 Depth=1
	s_andn2_saveexec_b64 s[0:1], s[0:1]
; %bb.296:                              ;   in Loop: Header=BB329_240 Depth=1
	v_or_b32_e32 v33, 0x10000, v32
	v_cmp_eq_u32_sdwa vcc, v32, v17 src0_sel:WORD_0 src1_sel:DWORD
	s_nop 1
	v_cndmask_b32_e32 v33, v33, v32, vcc
; %bb.297:                              ;   in Loop: Header=BB329_240 Depth=1
	s_or_b64 exec, exec, s[0:1]
	v_bfe_u32 v32, v5, 16, 8
	v_cvt_f32_fp8_sdwa v32, v32 src0_sel:BYTE_0
	s_nop 0
	v_mul_f32_e32 v32, s29, v32
	v_and_b32_e32 v35, 0x7f800000, v32
	v_cmp_ne_u32_e32 vcc, s22, v35
                                        ; implicit-def: $vgpr35
	s_and_saveexec_b64 s[0:1], vcc
	s_xor_b64 s[0:1], exec, s[0:1]
; %bb.298:                              ;   in Loop: Header=BB329_240 Depth=1
	v_bfe_u32 v35, v32, 16, 1
	v_add3_u32 v35, v32, v35, s28
                                        ; implicit-def: $vgpr32
; %bb.299:                              ;   in Loop: Header=BB329_240 Depth=1
	s_andn2_saveexec_b64 s[0:1], s[0:1]
; %bb.300:                              ;   in Loop: Header=BB329_240 Depth=1
	v_or_b32_e32 v35, 0x10000, v32
	v_cmp_eq_u32_sdwa vcc, v32, v17 src0_sel:WORD_0 src1_sel:DWORD
	s_nop 1
	v_cndmask_b32_e32 v35, v35, v32, vcc
; %bb.301:                              ;   in Loop: Header=BB329_240 Depth=1
	s_or_b64 exec, exec, s[0:1]
	v_lshrrev_b32_e32 v5, 24, v5
	v_cvt_f32_fp8_sdwa v5, v5 src0_sel:BYTE_0
                                        ; implicit-def: $vgpr36
	s_nop 0
	v_mul_f32_e32 v5, s29, v5
	v_and_b32_e32 v32, 0x7f800000, v5
	v_cmp_ne_u32_e32 vcc, s22, v32
	s_and_saveexec_b64 s[0:1], vcc
	s_xor_b64 s[0:1], exec, s[0:1]
; %bb.302:                              ;   in Loop: Header=BB329_240 Depth=1
	v_bfe_u32 v32, v5, 16, 1
	v_add3_u32 v36, v5, v32, s28
                                        ; implicit-def: $vgpr5
; %bb.303:                              ;   in Loop: Header=BB329_240 Depth=1
	s_andn2_saveexec_b64 s[0:1], s[0:1]
; %bb.304:                              ;   in Loop: Header=BB329_240 Depth=1
	v_or_b32_e32 v32, 0x10000, v5
	v_cmp_eq_u32_sdwa vcc, v5, v17 src0_sel:WORD_0 src1_sel:DWORD
	s_nop 1
	v_cndmask_b32_e32 v36, v32, v5, vcc
; %bb.305:                              ;   in Loop: Header=BB329_240 Depth=1
	s_or_b64 exec, exec, s[0:1]
	v_add_u32_e32 v32, v26, v34
	v_cmp_eq_u32_e32 vcc, s21, v1
	v_lshrrev_b32_e32 v47, 16, v33
	v_lshrrev_b32_e32 v46, 16, v9
	;; [unrolled: 1-line block ×8, first 2 shown]
	v_add_u32_e32 v40, 1, v32
	v_add_u32_e32 v39, 2, v32
	v_add_u32_e32 v38, 3, v32
	v_add_u32_e32 v37, 4, v32
	v_add_u32_e32 v36, 5, v32
	v_add_u32_e32 v35, 6, v32
	v_add_u32_e32 v33, 7, v32
	s_and_saveexec_b64 s[12:13], vcc
	s_cbranch_execz .LBB329_307
; %bb.306:                              ;   in Loop: Header=BB329_240 Depth=1
	v_cmp_gt_i32_e64 s[0:1], s33, v32
	s_nop 1
	v_cndmask_b32_e64 v6, 0, v6, s[0:1]
	v_cmp_gt_i32_e64 s[0:1], s33, v40
	s_nop 1
	v_cndmask_b32_e64 v7, 0, v7, s[0:1]
	;; [unrolled: 3-line block ×8, first 2 shown]
.LBB329_307:                            ;   in Loop: Header=BB329_240 Depth=1
	s_or_b64 exec, exec, s[12:13]
	v_and_b32_e32 v41, 0xffff0000, v41
	v_lshlrev_b32_e32 v6, 16, v6
	v_mul_f32_e32 v45, v41, v6
	v_and_b32_e32 v6, 0x7f800000, v45
	v_cmp_ne_u32_e64 s[0:1], s22, v6
                                        ; implicit-def: $vgpr6
	s_and_saveexec_b64 s[12:13], s[0:1]
	s_xor_b64 s[0:1], exec, s[12:13]
; %bb.308:                              ;   in Loop: Header=BB329_240 Depth=1
	v_bfe_u32 v6, v45, 16, 1
	v_add3_u32 v6, v45, v6, s28
                                        ; implicit-def: $vgpr45
; %bb.309:                              ;   in Loop: Header=BB329_240 Depth=1
	s_andn2_saveexec_b64 s[12:13], s[0:1]
; %bb.310:                              ;   in Loop: Header=BB329_240 Depth=1
	v_or_b32_e32 v6, 0x10000, v45
	v_cmp_eq_u32_sdwa s[0:1], v45, v17 src0_sel:WORD_0 src1_sel:DWORD
	s_nop 1
	v_cndmask_b32_e64 v6, v6, v45, s[0:1]
; %bb.311:                              ;   in Loop: Header=BB329_240 Depth=1
	s_or_b64 exec, exec, s[12:13]
	v_and_b32_e32 v42, 0xffff0000, v42
	v_lshlrev_b32_e32 v7, 16, v7
	v_mul_f32_e32 v45, v42, v7
	v_and_b32_e32 v7, 0x7f800000, v45
	v_cmp_ne_u32_e64 s[0:1], s22, v7
                                        ; implicit-def: $vgpr7
	s_and_saveexec_b64 s[12:13], s[0:1]
	s_xor_b64 s[0:1], exec, s[12:13]
; %bb.312:                              ;   in Loop: Header=BB329_240 Depth=1
	v_bfe_u32 v7, v45, 16, 1
	v_add3_u32 v7, v45, v7, s28
                                        ; implicit-def: $vgpr45
; %bb.313:                              ;   in Loop: Header=BB329_240 Depth=1
	s_andn2_saveexec_b64 s[12:13], s[0:1]
; %bb.314:                              ;   in Loop: Header=BB329_240 Depth=1
	v_or_b32_e32 v7, 0x10000, v45
	v_cmp_eq_u32_sdwa s[0:1], v45, v17 src0_sel:WORD_0 src1_sel:DWORD
	s_nop 1
	v_cndmask_b32_e64 v7, v7, v45, s[0:1]
; %bb.315:                              ;   in Loop: Header=BB329_240 Depth=1
	s_or_b64 exec, exec, s[12:13]
	v_and_b32_e32 v43, 0xffff0000, v43
	v_lshlrev_b32_e32 v8, 16, v8
	v_mul_f32_e32 v45, v43, v8
	v_and_b32_e32 v8, 0x7f800000, v45
	v_cmp_ne_u32_e64 s[0:1], s22, v8
                                        ; implicit-def: $vgpr8
	s_and_saveexec_b64 s[12:13], s[0:1]
	s_xor_b64 s[0:1], exec, s[12:13]
; %bb.316:                              ;   in Loop: Header=BB329_240 Depth=1
	v_bfe_u32 v8, v45, 16, 1
	v_add3_u32 v8, v45, v8, s28
                                        ; implicit-def: $vgpr45
; %bb.317:                              ;   in Loop: Header=BB329_240 Depth=1
	s_andn2_saveexec_b64 s[12:13], s[0:1]
; %bb.318:                              ;   in Loop: Header=BB329_240 Depth=1
	v_or_b32_e32 v8, 0x10000, v45
	v_cmp_eq_u32_sdwa s[0:1], v45, v17 src0_sel:WORD_0 src1_sel:DWORD
	s_nop 1
	v_cndmask_b32_e64 v8, v8, v45, s[0:1]
; %bb.319:                              ;   in Loop: Header=BB329_240 Depth=1
	s_or_b64 exec, exec, s[12:13]
	v_and_b32_e32 v44, 0xffff0000, v44
	v_lshlrev_b32_e32 v9, 16, v9
	v_mul_f32_e32 v45, v44, v9
	v_and_b32_e32 v9, 0x7f800000, v45
	v_cmp_ne_u32_e64 s[0:1], s22, v9
                                        ; implicit-def: $vgpr9
	s_and_saveexec_b64 s[12:13], s[0:1]
	s_xor_b64 s[0:1], exec, s[12:13]
; %bb.320:                              ;   in Loop: Header=BB329_240 Depth=1
	v_bfe_u32 v9, v45, 16, 1
	v_add3_u32 v9, v45, v9, s28
                                        ; implicit-def: $vgpr45
; %bb.321:                              ;   in Loop: Header=BB329_240 Depth=1
	s_andn2_saveexec_b64 s[12:13], s[0:1]
; %bb.322:                              ;   in Loop: Header=BB329_240 Depth=1
	v_or_b32_e32 v9, 0x10000, v45
	v_cmp_eq_u32_sdwa s[0:1], v45, v17 src0_sel:WORD_0 src1_sel:DWORD
	s_nop 1
	v_cndmask_b32_e64 v9, v9, v45, s[0:1]
; %bb.323:                              ;   in Loop: Header=BB329_240 Depth=1
	s_or_b64 exec, exec, s[12:13]
	v_and_b32_e32 v45, 0xffff0000, v28
	v_lshlrev_b32_e32 v28, 16, v46
	v_mul_f32_e32 v46, v45, v28
	v_and_b32_e32 v28, 0x7f800000, v46
	v_cmp_ne_u32_e64 s[0:1], s22, v28
                                        ; implicit-def: $vgpr28
	s_and_saveexec_b64 s[12:13], s[0:1]
	s_xor_b64 s[0:1], exec, s[12:13]
; %bb.324:                              ;   in Loop: Header=BB329_240 Depth=1
	v_bfe_u32 v28, v46, 16, 1
	v_add3_u32 v28, v46, v28, s28
                                        ; implicit-def: $vgpr46
; %bb.325:                              ;   in Loop: Header=BB329_240 Depth=1
	s_andn2_saveexec_b64 s[12:13], s[0:1]
; %bb.326:                              ;   in Loop: Header=BB329_240 Depth=1
	v_or_b32_e32 v28, 0x10000, v46
	v_cmp_eq_u32_sdwa s[0:1], v46, v17 src0_sel:WORD_0 src1_sel:DWORD
	s_nop 1
	v_cndmask_b32_e64 v28, v28, v46, s[0:1]
; %bb.327:                              ;   in Loop: Header=BB329_240 Depth=1
	s_or_b64 exec, exec, s[12:13]
	v_and_b32_e32 v46, 0xffff0000, v29
	v_lshlrev_b32_e32 v29, 16, v47
	v_mul_f32_e32 v47, v46, v29
	v_and_b32_e32 v29, 0x7f800000, v47
	v_cmp_ne_u32_e64 s[0:1], s22, v29
                                        ; implicit-def: $vgpr29
	s_and_saveexec_b64 s[12:13], s[0:1]
	s_xor_b64 s[0:1], exec, s[12:13]
; %bb.328:                              ;   in Loop: Header=BB329_240 Depth=1
	v_bfe_u32 v29, v47, 16, 1
	v_add3_u32 v29, v47, v29, s28
                                        ; implicit-def: $vgpr47
; %bb.329:                              ;   in Loop: Header=BB329_240 Depth=1
	s_andn2_saveexec_b64 s[12:13], s[0:1]
; %bb.330:                              ;   in Loop: Header=BB329_240 Depth=1
	v_or_b32_e32 v29, 0x10000, v47
	v_cmp_eq_u32_sdwa s[0:1], v47, v17 src0_sel:WORD_0 src1_sel:DWORD
	s_nop 1
	v_cndmask_b32_e64 v29, v29, v47, s[0:1]
; %bb.331:                              ;   in Loop: Header=BB329_240 Depth=1
	s_or_b64 exec, exec, s[12:13]
	v_and_b32_e32 v47, 0xffff0000, v30
	v_lshlrev_b32_e32 v5, 16, v5
	v_mul_f32_e32 v5, v47, v5
	v_and_b32_e32 v30, 0x7f800000, v5
	v_cmp_ne_u32_e64 s[0:1], s22, v30
                                        ; implicit-def: $vgpr30
	s_and_saveexec_b64 s[12:13], s[0:1]
	s_xor_b64 s[0:1], exec, s[12:13]
; %bb.332:                              ;   in Loop: Header=BB329_240 Depth=1
	v_bfe_u32 v30, v5, 16, 1
	v_add3_u32 v30, v5, v30, s28
                                        ; implicit-def: $vgpr5
; %bb.333:                              ;   in Loop: Header=BB329_240 Depth=1
	s_andn2_saveexec_b64 s[12:13], s[0:1]
; %bb.334:                              ;   in Loop: Header=BB329_240 Depth=1
	v_or_b32_e32 v30, 0x10000, v5
	v_cmp_eq_u32_sdwa s[0:1], v5, v17 src0_sel:WORD_0 src1_sel:DWORD
	s_nop 1
	v_cndmask_b32_e64 v30, v30, v5, s[0:1]
; %bb.335:                              ;   in Loop: Header=BB329_240 Depth=1
	s_or_b64 exec, exec, s[12:13]
	v_and_b32_e32 v48, 0xffff0000, v31
	v_lshlrev_b32_e32 v4, 16, v4
	v_mul_f32_e32 v4, v48, v4
	v_and_b32_e32 v5, 0x7f800000, v4
	v_cmp_ne_u32_e64 s[0:1], s22, v5
                                        ; implicit-def: $vgpr31
	s_and_saveexec_b64 s[12:13], s[0:1]
	s_xor_b64 s[0:1], exec, s[12:13]
; %bb.336:                              ;   in Loop: Header=BB329_240 Depth=1
	v_bfe_u32 v5, v4, 16, 1
	v_add3_u32 v31, v4, v5, s28
                                        ; implicit-def: $vgpr4
; %bb.337:                              ;   in Loop: Header=BB329_240 Depth=1
	s_andn2_saveexec_b64 s[12:13], s[0:1]
; %bb.338:                              ;   in Loop: Header=BB329_240 Depth=1
	v_or_b32_e32 v5, 0x10000, v4
	v_cmp_eq_u32_sdwa s[0:1], v4, v17 src0_sel:WORD_0 src1_sel:DWORD
	s_nop 1
	v_cndmask_b32_e64 v31, v5, v4, s[0:1]
; %bb.339:                              ;   in Loop: Header=BB329_240 Depth=1
	s_or_b64 exec, exec, s[12:13]
	global_load_dwordx2 v[4:5], v[2:3], off offset:512
	s_waitcnt vmcnt(0)
	v_and_b32_e32 v49, 0xff, v4
	v_cvt_f32_fp8_sdwa v49, v49 src0_sel:BYTE_0
	s_nop 0
	v_mul_f32_e32 v50, s29, v49
	v_and_b32_e32 v49, 0x7f800000, v50
	v_cmp_ne_u32_e64 s[0:1], s22, v49
                                        ; implicit-def: $vgpr49
	s_and_saveexec_b64 s[12:13], s[0:1]
	s_xor_b64 s[0:1], exec, s[12:13]
; %bb.340:                              ;   in Loop: Header=BB329_240 Depth=1
	v_bfe_u32 v49, v50, 16, 1
	v_add3_u32 v49, v50, v49, s28
                                        ; implicit-def: $vgpr50
; %bb.341:                              ;   in Loop: Header=BB329_240 Depth=1
	s_andn2_saveexec_b64 s[12:13], s[0:1]
; %bb.342:                              ;   in Loop: Header=BB329_240 Depth=1
	v_or_b32_e32 v49, 0x10000, v50
	v_cmp_eq_u32_sdwa s[0:1], v50, v17 src0_sel:WORD_0 src1_sel:DWORD
	s_nop 1
	v_cndmask_b32_e64 v49, v49, v50, s[0:1]
; %bb.343:                              ;   in Loop: Header=BB329_240 Depth=1
	s_or_b64 exec, exec, s[12:13]
	v_bfe_u32 v50, v4, 8, 8
	v_cvt_f32_fp8_sdwa v50, v50 src0_sel:BYTE_0
	s_nop 0
	v_mul_f32_e32 v51, s29, v50
	v_and_b32_e32 v50, 0x7f800000, v51
	v_cmp_ne_u32_e64 s[0:1], s22, v50
                                        ; implicit-def: $vgpr50
	s_and_saveexec_b64 s[12:13], s[0:1]
	s_xor_b64 s[0:1], exec, s[12:13]
; %bb.344:                              ;   in Loop: Header=BB329_240 Depth=1
	v_bfe_u32 v50, v51, 16, 1
	v_add3_u32 v50, v51, v50, s28
                                        ; implicit-def: $vgpr51
; %bb.345:                              ;   in Loop: Header=BB329_240 Depth=1
	s_andn2_saveexec_b64 s[12:13], s[0:1]
; %bb.346:                              ;   in Loop: Header=BB329_240 Depth=1
	v_or_b32_e32 v50, 0x10000, v51
	v_cmp_eq_u32_sdwa s[0:1], v51, v17 src0_sel:WORD_0 src1_sel:DWORD
	s_nop 1
	v_cndmask_b32_e64 v50, v50, v51, s[0:1]
; %bb.347:                              ;   in Loop: Header=BB329_240 Depth=1
	s_or_b64 exec, exec, s[12:13]
	v_bfe_u32 v51, v4, 16, 8
	v_cvt_f32_fp8_sdwa v51, v51 src0_sel:BYTE_0
	s_nop 0
	v_mul_f32_e32 v52, s29, v51
	v_and_b32_e32 v51, 0x7f800000, v52
	v_cmp_ne_u32_e64 s[0:1], s22, v51
                                        ; implicit-def: $vgpr51
	s_and_saveexec_b64 s[12:13], s[0:1]
	s_xor_b64 s[0:1], exec, s[12:13]
; %bb.348:                              ;   in Loop: Header=BB329_240 Depth=1
	v_bfe_u32 v51, v52, 16, 1
	v_add3_u32 v51, v52, v51, s28
                                        ; implicit-def: $vgpr52
; %bb.349:                              ;   in Loop: Header=BB329_240 Depth=1
	s_andn2_saveexec_b64 s[12:13], s[0:1]
; %bb.350:                              ;   in Loop: Header=BB329_240 Depth=1
	v_or_b32_e32 v51, 0x10000, v52
	v_cmp_eq_u32_sdwa s[0:1], v52, v17 src0_sel:WORD_0 src1_sel:DWORD
	s_nop 1
	v_cndmask_b32_e64 v51, v51, v52, s[0:1]
; %bb.351:                              ;   in Loop: Header=BB329_240 Depth=1
	s_or_b64 exec, exec, s[12:13]
	v_lshrrev_b32_e32 v4, 24, v4
	v_cvt_f32_fp8_sdwa v4, v4 src0_sel:BYTE_0
	s_nop 0
	v_mul_f32_e32 v52, s29, v4
	v_and_b32_e32 v4, 0x7f800000, v52
	v_cmp_ne_u32_e64 s[0:1], s22, v4
                                        ; implicit-def: $vgpr4
	s_and_saveexec_b64 s[12:13], s[0:1]
	s_xor_b64 s[0:1], exec, s[12:13]
; %bb.352:                              ;   in Loop: Header=BB329_240 Depth=1
	v_bfe_u32 v4, v52, 16, 1
	v_add3_u32 v4, v52, v4, s28
                                        ; implicit-def: $vgpr52
; %bb.353:                              ;   in Loop: Header=BB329_240 Depth=1
	s_andn2_saveexec_b64 s[12:13], s[0:1]
; %bb.354:                              ;   in Loop: Header=BB329_240 Depth=1
	v_or_b32_e32 v4, 0x10000, v52
	v_cmp_eq_u32_sdwa s[0:1], v52, v17 src0_sel:WORD_0 src1_sel:DWORD
	s_nop 1
	v_cndmask_b32_e64 v4, v4, v52, s[0:1]
; %bb.355:                              ;   in Loop: Header=BB329_240 Depth=1
	s_or_b64 exec, exec, s[12:13]
	v_and_b32_e32 v52, 0xff, v5
	v_cvt_f32_fp8_sdwa v52, v52 src0_sel:BYTE_0
	s_nop 0
	v_mul_f32_e32 v53, s29, v52
	v_and_b32_e32 v52, 0x7f800000, v53
	v_cmp_ne_u32_e64 s[0:1], s22, v52
                                        ; implicit-def: $vgpr52
	s_and_saveexec_b64 s[12:13], s[0:1]
	s_xor_b64 s[0:1], exec, s[12:13]
; %bb.356:                              ;   in Loop: Header=BB329_240 Depth=1
	v_bfe_u32 v52, v53, 16, 1
	v_add3_u32 v52, v53, v52, s28
                                        ; implicit-def: $vgpr53
; %bb.357:                              ;   in Loop: Header=BB329_240 Depth=1
	s_andn2_saveexec_b64 s[12:13], s[0:1]
; %bb.358:                              ;   in Loop: Header=BB329_240 Depth=1
	v_or_b32_e32 v52, 0x10000, v53
	v_cmp_eq_u32_sdwa s[0:1], v53, v17 src0_sel:WORD_0 src1_sel:DWORD
	s_nop 1
	v_cndmask_b32_e64 v52, v52, v53, s[0:1]
; %bb.359:                              ;   in Loop: Header=BB329_240 Depth=1
	s_or_b64 exec, exec, s[12:13]
	v_bfe_u32 v53, v5, 8, 8
	v_cvt_f32_fp8_sdwa v53, v53 src0_sel:BYTE_0
	s_nop 0
	v_mul_f32_e32 v54, s29, v53
	v_and_b32_e32 v53, 0x7f800000, v54
	v_cmp_ne_u32_e64 s[0:1], s22, v53
                                        ; implicit-def: $vgpr53
	s_and_saveexec_b64 s[12:13], s[0:1]
	s_xor_b64 s[0:1], exec, s[12:13]
; %bb.360:                              ;   in Loop: Header=BB329_240 Depth=1
	v_bfe_u32 v53, v54, 16, 1
	v_add3_u32 v53, v54, v53, s28
                                        ; implicit-def: $vgpr54
; %bb.361:                              ;   in Loop: Header=BB329_240 Depth=1
	s_andn2_saveexec_b64 s[12:13], s[0:1]
; %bb.362:                              ;   in Loop: Header=BB329_240 Depth=1
	v_or_b32_e32 v53, 0x10000, v54
	v_cmp_eq_u32_sdwa s[0:1], v54, v17 src0_sel:WORD_0 src1_sel:DWORD
	s_nop 1
	v_cndmask_b32_e64 v53, v53, v54, s[0:1]
; %bb.363:                              ;   in Loop: Header=BB329_240 Depth=1
	s_or_b64 exec, exec, s[12:13]
	v_bfe_u32 v54, v5, 16, 8
	v_cvt_f32_fp8_sdwa v54, v54 src0_sel:BYTE_0
	s_nop 0
	v_mul_f32_e32 v54, s29, v54
	v_and_b32_e32 v55, 0x7f800000, v54
	v_cmp_ne_u32_e64 s[0:1], s22, v55
                                        ; implicit-def: $vgpr55
	s_and_saveexec_b64 s[12:13], s[0:1]
	s_xor_b64 s[0:1], exec, s[12:13]
; %bb.364:                              ;   in Loop: Header=BB329_240 Depth=1
	v_bfe_u32 v55, v54, 16, 1
	v_add3_u32 v55, v54, v55, s28
                                        ; implicit-def: $vgpr54
; %bb.365:                              ;   in Loop: Header=BB329_240 Depth=1
	s_andn2_saveexec_b64 s[12:13], s[0:1]
; %bb.366:                              ;   in Loop: Header=BB329_240 Depth=1
	v_or_b32_e32 v55, 0x10000, v54
	v_cmp_eq_u32_sdwa s[0:1], v54, v17 src0_sel:WORD_0 src1_sel:DWORD
	s_nop 1
	v_cndmask_b32_e64 v55, v55, v54, s[0:1]
; %bb.367:                              ;   in Loop: Header=BB329_240 Depth=1
	s_or_b64 exec, exec, s[12:13]
	v_lshrrev_b32_e32 v5, 24, v5
	v_cvt_f32_fp8_sdwa v5, v5 src0_sel:BYTE_0
                                        ; implicit-def: $vgpr56
	s_nop 0
	v_mul_f32_e32 v5, s29, v5
	v_and_b32_e32 v54, 0x7f800000, v5
	v_cmp_ne_u32_e64 s[0:1], s22, v54
	s_and_saveexec_b64 s[12:13], s[0:1]
	s_xor_b64 s[0:1], exec, s[12:13]
; %bb.368:                              ;   in Loop: Header=BB329_240 Depth=1
	v_bfe_u32 v54, v5, 16, 1
	v_add3_u32 v56, v5, v54, s28
                                        ; implicit-def: $vgpr5
; %bb.369:                              ;   in Loop: Header=BB329_240 Depth=1
	s_andn2_saveexec_b64 s[12:13], s[0:1]
; %bb.370:                              ;   in Loop: Header=BB329_240 Depth=1
	v_or_b32_e32 v54, 0x10000, v5
	v_cmp_eq_u32_sdwa s[0:1], v5, v17 src0_sel:WORD_0 src1_sel:DWORD
	s_nop 1
	v_cndmask_b32_e64 v56, v54, v5, s[0:1]
; %bb.371:                              ;   in Loop: Header=BB329_240 Depth=1
	s_or_b64 exec, exec, s[12:13]
	v_lshrrev_b32_e32 v54, 16, v53
	v_lshrrev_b32_e32 v53, 16, v52
	;; [unrolled: 1-line block ×8, first 2 shown]
	s_and_saveexec_b64 s[12:13], vcc
	s_cbranch_execz .LBB329_373
; %bb.372:                              ;   in Loop: Header=BB329_240 Depth=1
	v_cmp_gt_i32_e64 s[0:1], s33, v32
	s_nop 1
	v_cndmask_b32_e64 v49, 0, v49, s[0:1]
	v_cmp_gt_i32_e64 s[0:1], s33, v40
	s_nop 1
	v_cndmask_b32_e64 v50, 0, v50, s[0:1]
	;; [unrolled: 3-line block ×8, first 2 shown]
.LBB329_373:                            ;   in Loop: Header=BB329_240 Depth=1
	s_or_b64 exec, exec, s[12:13]
	v_lshlrev_b32_e32 v49, 16, v49
	v_mul_f32_e32 v55, v41, v49
	v_and_b32_e32 v49, 0x7f800000, v55
	v_cmp_ne_u32_e64 s[0:1], s22, v49
                                        ; implicit-def: $vgpr49
	s_and_saveexec_b64 s[12:13], s[0:1]
	s_xor_b64 s[0:1], exec, s[12:13]
; %bb.374:                              ;   in Loop: Header=BB329_240 Depth=1
	v_bfe_u32 v49, v55, 16, 1
	v_add3_u32 v49, v55, v49, s28
                                        ; implicit-def: $vgpr55
; %bb.375:                              ;   in Loop: Header=BB329_240 Depth=1
	s_andn2_saveexec_b64 s[12:13], s[0:1]
; %bb.376:                              ;   in Loop: Header=BB329_240 Depth=1
	v_or_b32_e32 v49, 0x10000, v55
	v_cmp_eq_u32_sdwa s[0:1], v55, v17 src0_sel:WORD_0 src1_sel:DWORD
	s_nop 1
	v_cndmask_b32_e64 v49, v49, v55, s[0:1]
; %bb.377:                              ;   in Loop: Header=BB329_240 Depth=1
	s_or_b64 exec, exec, s[12:13]
	v_lshlrev_b32_e32 v50, 16, v50
	v_mul_f32_e32 v55, v42, v50
	v_and_b32_e32 v50, 0x7f800000, v55
	v_cmp_ne_u32_e64 s[0:1], s22, v50
                                        ; implicit-def: $vgpr50
	s_and_saveexec_b64 s[12:13], s[0:1]
	s_xor_b64 s[0:1], exec, s[12:13]
; %bb.378:                              ;   in Loop: Header=BB329_240 Depth=1
	v_bfe_u32 v50, v55, 16, 1
	v_add3_u32 v50, v55, v50, s28
                                        ; implicit-def: $vgpr55
; %bb.379:                              ;   in Loop: Header=BB329_240 Depth=1
	s_andn2_saveexec_b64 s[12:13], s[0:1]
; %bb.380:                              ;   in Loop: Header=BB329_240 Depth=1
	v_or_b32_e32 v50, 0x10000, v55
	v_cmp_eq_u32_sdwa s[0:1], v55, v17 src0_sel:WORD_0 src1_sel:DWORD
	s_nop 1
	v_cndmask_b32_e64 v50, v50, v55, s[0:1]
; %bb.381:                              ;   in Loop: Header=BB329_240 Depth=1
	s_or_b64 exec, exec, s[12:13]
	v_lshlrev_b32_e32 v51, 16, v51
	v_mul_f32_e32 v55, v43, v51
	v_and_b32_e32 v51, 0x7f800000, v55
	v_cmp_ne_u32_e64 s[0:1], s22, v51
                                        ; implicit-def: $vgpr51
	s_and_saveexec_b64 s[12:13], s[0:1]
	s_xor_b64 s[0:1], exec, s[12:13]
; %bb.382:                              ;   in Loop: Header=BB329_240 Depth=1
	v_bfe_u32 v51, v55, 16, 1
	v_add3_u32 v51, v55, v51, s28
                                        ; implicit-def: $vgpr55
; %bb.383:                              ;   in Loop: Header=BB329_240 Depth=1
	s_andn2_saveexec_b64 s[12:13], s[0:1]
; %bb.384:                              ;   in Loop: Header=BB329_240 Depth=1
	v_or_b32_e32 v51, 0x10000, v55
	v_cmp_eq_u32_sdwa s[0:1], v55, v17 src0_sel:WORD_0 src1_sel:DWORD
	s_nop 1
	v_cndmask_b32_e64 v51, v51, v55, s[0:1]
; %bb.385:                              ;   in Loop: Header=BB329_240 Depth=1
	s_or_b64 exec, exec, s[12:13]
	v_lshlrev_b32_e32 v52, 16, v52
	v_mul_f32_e32 v55, v44, v52
	v_and_b32_e32 v52, 0x7f800000, v55
	v_cmp_ne_u32_e64 s[0:1], s22, v52
                                        ; implicit-def: $vgpr52
	s_and_saveexec_b64 s[12:13], s[0:1]
	s_xor_b64 s[0:1], exec, s[12:13]
; %bb.386:                              ;   in Loop: Header=BB329_240 Depth=1
	v_bfe_u32 v52, v55, 16, 1
	v_add3_u32 v52, v55, v52, s28
                                        ; implicit-def: $vgpr55
; %bb.387:                              ;   in Loop: Header=BB329_240 Depth=1
	s_andn2_saveexec_b64 s[12:13], s[0:1]
; %bb.388:                              ;   in Loop: Header=BB329_240 Depth=1
	v_or_b32_e32 v52, 0x10000, v55
	v_cmp_eq_u32_sdwa s[0:1], v55, v17 src0_sel:WORD_0 src1_sel:DWORD
	s_nop 1
	v_cndmask_b32_e64 v52, v52, v55, s[0:1]
; %bb.389:                              ;   in Loop: Header=BB329_240 Depth=1
	s_or_b64 exec, exec, s[12:13]
	v_lshlrev_b32_e32 v53, 16, v53
	v_mul_f32_e32 v55, v45, v53
	v_and_b32_e32 v53, 0x7f800000, v55
	v_cmp_ne_u32_e64 s[0:1], s22, v53
                                        ; implicit-def: $vgpr53
	s_and_saveexec_b64 s[12:13], s[0:1]
	s_xor_b64 s[0:1], exec, s[12:13]
; %bb.390:                              ;   in Loop: Header=BB329_240 Depth=1
	v_bfe_u32 v53, v55, 16, 1
	v_add3_u32 v53, v55, v53, s28
                                        ; implicit-def: $vgpr55
; %bb.391:                              ;   in Loop: Header=BB329_240 Depth=1
	s_andn2_saveexec_b64 s[12:13], s[0:1]
; %bb.392:                              ;   in Loop: Header=BB329_240 Depth=1
	v_or_b32_e32 v53, 0x10000, v55
	v_cmp_eq_u32_sdwa s[0:1], v55, v17 src0_sel:WORD_0 src1_sel:DWORD
	s_nop 1
	v_cndmask_b32_e64 v53, v53, v55, s[0:1]
; %bb.393:                              ;   in Loop: Header=BB329_240 Depth=1
	s_or_b64 exec, exec, s[12:13]
	v_lshlrev_b32_e32 v54, 16, v54
	v_mul_f32_e32 v55, v46, v54
	v_and_b32_e32 v54, 0x7f800000, v55
	v_cmp_ne_u32_e64 s[0:1], s22, v54
                                        ; implicit-def: $vgpr54
	s_and_saveexec_b64 s[12:13], s[0:1]
	s_xor_b64 s[0:1], exec, s[12:13]
; %bb.394:                              ;   in Loop: Header=BB329_240 Depth=1
	v_bfe_u32 v54, v55, 16, 1
	v_add3_u32 v54, v55, v54, s28
                                        ; implicit-def: $vgpr55
; %bb.395:                              ;   in Loop: Header=BB329_240 Depth=1
	s_andn2_saveexec_b64 s[12:13], s[0:1]
; %bb.396:                              ;   in Loop: Header=BB329_240 Depth=1
	v_or_b32_e32 v54, 0x10000, v55
	v_cmp_eq_u32_sdwa s[0:1], v55, v17 src0_sel:WORD_0 src1_sel:DWORD
	s_nop 1
	v_cndmask_b32_e64 v54, v54, v55, s[0:1]
; %bb.397:                              ;   in Loop: Header=BB329_240 Depth=1
	s_or_b64 exec, exec, s[12:13]
	v_lshlrev_b32_e32 v5, 16, v5
	v_mul_f32_e32 v5, v47, v5
	v_and_b32_e32 v55, 0x7f800000, v5
	v_cmp_ne_u32_e64 s[0:1], s22, v55
                                        ; implicit-def: $vgpr55
	s_and_saveexec_b64 s[12:13], s[0:1]
	s_xor_b64 s[0:1], exec, s[12:13]
; %bb.398:                              ;   in Loop: Header=BB329_240 Depth=1
	v_bfe_u32 v55, v5, 16, 1
	v_add3_u32 v55, v5, v55, s28
                                        ; implicit-def: $vgpr5
; %bb.399:                              ;   in Loop: Header=BB329_240 Depth=1
	s_andn2_saveexec_b64 s[12:13], s[0:1]
; %bb.400:                              ;   in Loop: Header=BB329_240 Depth=1
	v_or_b32_e32 v55, 0x10000, v5
	v_cmp_eq_u32_sdwa s[0:1], v5, v17 src0_sel:WORD_0 src1_sel:DWORD
	s_nop 1
	v_cndmask_b32_e64 v55, v55, v5, s[0:1]
; %bb.401:                              ;   in Loop: Header=BB329_240 Depth=1
	s_or_b64 exec, exec, s[12:13]
	v_lshlrev_b32_e32 v4, 16, v4
	v_mul_f32_e32 v4, v48, v4
	v_and_b32_e32 v5, 0x7f800000, v4
	v_cmp_ne_u32_e64 s[0:1], s22, v5
                                        ; implicit-def: $vgpr56
	s_and_saveexec_b64 s[12:13], s[0:1]
	s_xor_b64 s[0:1], exec, s[12:13]
; %bb.402:                              ;   in Loop: Header=BB329_240 Depth=1
	v_bfe_u32 v5, v4, 16, 1
	v_add3_u32 v56, v4, v5, s28
                                        ; implicit-def: $vgpr4
; %bb.403:                              ;   in Loop: Header=BB329_240 Depth=1
	s_andn2_saveexec_b64 s[12:13], s[0:1]
; %bb.404:                              ;   in Loop: Header=BB329_240 Depth=1
	v_or_b32_e32 v5, 0x10000, v4
	v_cmp_eq_u32_sdwa s[0:1], v4, v17 src0_sel:WORD_0 src1_sel:DWORD
	s_nop 1
	v_cndmask_b32_e64 v56, v5, v4, s[0:1]
; %bb.405:                              ;   in Loop: Header=BB329_240 Depth=1
	s_or_b64 exec, exec, s[12:13]
	global_load_dwordx2 v[4:5], v[2:3], off offset:1024
	s_waitcnt vmcnt(0)
	v_and_b32_e32 v57, 0xff, v4
	v_cvt_f32_fp8_sdwa v57, v57 src0_sel:BYTE_0
	s_nop 0
	v_mul_f32_e32 v58, s29, v57
	v_and_b32_e32 v57, 0x7f800000, v58
	v_cmp_ne_u32_e64 s[0:1], s22, v57
                                        ; implicit-def: $vgpr57
	s_and_saveexec_b64 s[12:13], s[0:1]
	s_xor_b64 s[0:1], exec, s[12:13]
; %bb.406:                              ;   in Loop: Header=BB329_240 Depth=1
	v_bfe_u32 v57, v58, 16, 1
	v_add3_u32 v57, v58, v57, s28
                                        ; implicit-def: $vgpr58
; %bb.407:                              ;   in Loop: Header=BB329_240 Depth=1
	s_andn2_saveexec_b64 s[12:13], s[0:1]
; %bb.408:                              ;   in Loop: Header=BB329_240 Depth=1
	v_or_b32_e32 v57, 0x10000, v58
	v_cmp_eq_u32_sdwa s[0:1], v58, v17 src0_sel:WORD_0 src1_sel:DWORD
	s_nop 1
	v_cndmask_b32_e64 v57, v57, v58, s[0:1]
; %bb.409:                              ;   in Loop: Header=BB329_240 Depth=1
	s_or_b64 exec, exec, s[12:13]
	v_bfe_u32 v58, v4, 8, 8
	v_cvt_f32_fp8_sdwa v58, v58 src0_sel:BYTE_0
	s_nop 0
	v_mul_f32_e32 v59, s29, v58
	v_and_b32_e32 v58, 0x7f800000, v59
	v_cmp_ne_u32_e64 s[0:1], s22, v58
                                        ; implicit-def: $vgpr58
	s_and_saveexec_b64 s[12:13], s[0:1]
	s_xor_b64 s[0:1], exec, s[12:13]
; %bb.410:                              ;   in Loop: Header=BB329_240 Depth=1
	v_bfe_u32 v58, v59, 16, 1
	v_add3_u32 v58, v59, v58, s28
                                        ; implicit-def: $vgpr59
; %bb.411:                              ;   in Loop: Header=BB329_240 Depth=1
	s_andn2_saveexec_b64 s[12:13], s[0:1]
; %bb.412:                              ;   in Loop: Header=BB329_240 Depth=1
	v_or_b32_e32 v58, 0x10000, v59
	v_cmp_eq_u32_sdwa s[0:1], v59, v17 src0_sel:WORD_0 src1_sel:DWORD
	s_nop 1
	v_cndmask_b32_e64 v58, v58, v59, s[0:1]
; %bb.413:                              ;   in Loop: Header=BB329_240 Depth=1
	s_or_b64 exec, exec, s[12:13]
	v_bfe_u32 v59, v4, 16, 8
	v_cvt_f32_fp8_sdwa v59, v59 src0_sel:BYTE_0
	s_nop 0
	v_mul_f32_e32 v60, s29, v59
	v_and_b32_e32 v59, 0x7f800000, v60
	v_cmp_ne_u32_e64 s[0:1], s22, v59
                                        ; implicit-def: $vgpr59
	s_and_saveexec_b64 s[12:13], s[0:1]
	s_xor_b64 s[0:1], exec, s[12:13]
; %bb.414:                              ;   in Loop: Header=BB329_240 Depth=1
	v_bfe_u32 v59, v60, 16, 1
	v_add3_u32 v59, v60, v59, s28
                                        ; implicit-def: $vgpr60
; %bb.415:                              ;   in Loop: Header=BB329_240 Depth=1
	s_andn2_saveexec_b64 s[12:13], s[0:1]
; %bb.416:                              ;   in Loop: Header=BB329_240 Depth=1
	v_or_b32_e32 v59, 0x10000, v60
	v_cmp_eq_u32_sdwa s[0:1], v60, v17 src0_sel:WORD_0 src1_sel:DWORD
	s_nop 1
	v_cndmask_b32_e64 v59, v59, v60, s[0:1]
; %bb.417:                              ;   in Loop: Header=BB329_240 Depth=1
	s_or_b64 exec, exec, s[12:13]
	v_lshrrev_b32_e32 v4, 24, v4
	v_cvt_f32_fp8_sdwa v4, v4 src0_sel:BYTE_0
	s_nop 0
	v_mul_f32_e32 v60, s29, v4
	v_and_b32_e32 v4, 0x7f800000, v60
	v_cmp_ne_u32_e64 s[0:1], s22, v4
                                        ; implicit-def: $vgpr4
	s_and_saveexec_b64 s[12:13], s[0:1]
	s_xor_b64 s[0:1], exec, s[12:13]
; %bb.418:                              ;   in Loop: Header=BB329_240 Depth=1
	v_bfe_u32 v4, v60, 16, 1
	v_add3_u32 v4, v60, v4, s28
                                        ; implicit-def: $vgpr60
; %bb.419:                              ;   in Loop: Header=BB329_240 Depth=1
	s_andn2_saveexec_b64 s[12:13], s[0:1]
; %bb.420:                              ;   in Loop: Header=BB329_240 Depth=1
	v_or_b32_e32 v4, 0x10000, v60
	v_cmp_eq_u32_sdwa s[0:1], v60, v17 src0_sel:WORD_0 src1_sel:DWORD
	s_nop 1
	v_cndmask_b32_e64 v4, v4, v60, s[0:1]
; %bb.421:                              ;   in Loop: Header=BB329_240 Depth=1
	s_or_b64 exec, exec, s[12:13]
	v_and_b32_e32 v60, 0xff, v5
	v_cvt_f32_fp8_sdwa v60, v60 src0_sel:BYTE_0
	s_nop 0
	v_mul_f32_e32 v61, s29, v60
	v_and_b32_e32 v60, 0x7f800000, v61
	v_cmp_ne_u32_e64 s[0:1], s22, v60
                                        ; implicit-def: $vgpr60
	s_and_saveexec_b64 s[12:13], s[0:1]
	s_xor_b64 s[0:1], exec, s[12:13]
; %bb.422:                              ;   in Loop: Header=BB329_240 Depth=1
	v_bfe_u32 v60, v61, 16, 1
	v_add3_u32 v60, v61, v60, s28
                                        ; implicit-def: $vgpr61
; %bb.423:                              ;   in Loop: Header=BB329_240 Depth=1
	s_andn2_saveexec_b64 s[12:13], s[0:1]
; %bb.424:                              ;   in Loop: Header=BB329_240 Depth=1
	v_or_b32_e32 v60, 0x10000, v61
	v_cmp_eq_u32_sdwa s[0:1], v61, v17 src0_sel:WORD_0 src1_sel:DWORD
	s_nop 1
	v_cndmask_b32_e64 v60, v60, v61, s[0:1]
; %bb.425:                              ;   in Loop: Header=BB329_240 Depth=1
	s_or_b64 exec, exec, s[12:13]
	v_bfe_u32 v61, v5, 8, 8
	v_cvt_f32_fp8_sdwa v61, v61 src0_sel:BYTE_0
	s_nop 0
	v_mul_f32_e32 v62, s29, v61
	v_and_b32_e32 v61, 0x7f800000, v62
	v_cmp_ne_u32_e64 s[0:1], s22, v61
                                        ; implicit-def: $vgpr61
	s_and_saveexec_b64 s[12:13], s[0:1]
	s_xor_b64 s[0:1], exec, s[12:13]
; %bb.426:                              ;   in Loop: Header=BB329_240 Depth=1
	v_bfe_u32 v61, v62, 16, 1
	v_add3_u32 v61, v62, v61, s28
                                        ; implicit-def: $vgpr62
; %bb.427:                              ;   in Loop: Header=BB329_240 Depth=1
	s_andn2_saveexec_b64 s[12:13], s[0:1]
; %bb.428:                              ;   in Loop: Header=BB329_240 Depth=1
	v_or_b32_e32 v61, 0x10000, v62
	v_cmp_eq_u32_sdwa s[0:1], v62, v17 src0_sel:WORD_0 src1_sel:DWORD
	s_nop 1
	v_cndmask_b32_e64 v61, v61, v62, s[0:1]
; %bb.429:                              ;   in Loop: Header=BB329_240 Depth=1
	s_or_b64 exec, exec, s[12:13]
	v_bfe_u32 v62, v5, 16, 8
	v_cvt_f32_fp8_sdwa v62, v62 src0_sel:BYTE_0
	s_nop 0
	v_mul_f32_e32 v62, s29, v62
	v_and_b32_e32 v63, 0x7f800000, v62
	v_cmp_ne_u32_e64 s[0:1], s22, v63
                                        ; implicit-def: $vgpr63
	s_and_saveexec_b64 s[12:13], s[0:1]
	s_xor_b64 s[0:1], exec, s[12:13]
; %bb.430:                              ;   in Loop: Header=BB329_240 Depth=1
	v_bfe_u32 v63, v62, 16, 1
	v_add3_u32 v63, v62, v63, s28
                                        ; implicit-def: $vgpr62
; %bb.431:                              ;   in Loop: Header=BB329_240 Depth=1
	s_andn2_saveexec_b64 s[12:13], s[0:1]
; %bb.432:                              ;   in Loop: Header=BB329_240 Depth=1
	v_or_b32_e32 v63, 0x10000, v62
	v_cmp_eq_u32_sdwa s[0:1], v62, v17 src0_sel:WORD_0 src1_sel:DWORD
	s_nop 1
	v_cndmask_b32_e64 v63, v63, v62, s[0:1]
; %bb.433:                              ;   in Loop: Header=BB329_240 Depth=1
	s_or_b64 exec, exec, s[12:13]
	v_lshrrev_b32_e32 v5, 24, v5
	v_cvt_f32_fp8_sdwa v5, v5 src0_sel:BYTE_0
                                        ; implicit-def: $vgpr64
	s_nop 0
	v_mul_f32_e32 v5, s29, v5
	v_and_b32_e32 v62, 0x7f800000, v5
	v_cmp_ne_u32_e64 s[0:1], s22, v62
	s_and_saveexec_b64 s[12:13], s[0:1]
	s_xor_b64 s[0:1], exec, s[12:13]
; %bb.434:                              ;   in Loop: Header=BB329_240 Depth=1
	v_bfe_u32 v62, v5, 16, 1
	v_add3_u32 v64, v5, v62, s28
                                        ; implicit-def: $vgpr5
; %bb.435:                              ;   in Loop: Header=BB329_240 Depth=1
	s_andn2_saveexec_b64 s[12:13], s[0:1]
; %bb.436:                              ;   in Loop: Header=BB329_240 Depth=1
	v_or_b32_e32 v62, 0x10000, v5
	v_cmp_eq_u32_sdwa s[0:1], v5, v17 src0_sel:WORD_0 src1_sel:DWORD
	s_nop 1
	v_cndmask_b32_e64 v64, v62, v5, s[0:1]
; %bb.437:                              ;   in Loop: Header=BB329_240 Depth=1
	s_or_b64 exec, exec, s[12:13]
	v_lshrrev_b32_e32 v62, 16, v61
	v_lshrrev_b32_e32 v61, 16, v60
	;; [unrolled: 1-line block ×8, first 2 shown]
	s_and_saveexec_b64 s[12:13], vcc
	s_cbranch_execz .LBB329_439
; %bb.438:                              ;   in Loop: Header=BB329_240 Depth=1
	v_cmp_gt_i32_e64 s[0:1], s33, v32
	s_nop 1
	v_cndmask_b32_e64 v57, 0, v57, s[0:1]
	v_cmp_gt_i32_e64 s[0:1], s33, v40
	s_nop 1
	v_cndmask_b32_e64 v58, 0, v58, s[0:1]
	v_cmp_gt_i32_e64 s[0:1], s33, v39
	s_nop 1
	v_cndmask_b32_e64 v59, 0, v59, s[0:1]
	v_cmp_gt_i32_e64 s[0:1], s33, v38
	s_nop 1
	v_cndmask_b32_e64 v60, 0, v60, s[0:1]
	v_cmp_gt_i32_e64 s[0:1], s33, v37
	s_nop 1
	v_cndmask_b32_e64 v61, 0, v61, s[0:1]
	v_cmp_gt_i32_e64 s[0:1], s33, v36
	s_nop 1
	v_cndmask_b32_e64 v62, 0, v62, s[0:1]
	v_cmp_gt_i32_e64 s[0:1], s33, v35
	s_nop 1
	v_cndmask_b32_e64 v5, 0, v5, s[0:1]
	v_cmp_gt_i32_e64 s[0:1], s33, v33
	s_nop 1
	v_cndmask_b32_e64 v4, 0, v4, s[0:1]
.LBB329_439:                            ;   in Loop: Header=BB329_240 Depth=1
	s_or_b64 exec, exec, s[12:13]
	v_lshlrev_b32_e32 v57, 16, v57
	v_mul_f32_e32 v63, v41, v57
	v_and_b32_e32 v57, 0x7f800000, v63
	v_cmp_ne_u32_e64 s[0:1], s22, v57
                                        ; implicit-def: $vgpr57
	s_and_saveexec_b64 s[12:13], s[0:1]
	s_xor_b64 s[0:1], exec, s[12:13]
; %bb.440:                              ;   in Loop: Header=BB329_240 Depth=1
	v_bfe_u32 v57, v63, 16, 1
	v_add3_u32 v57, v63, v57, s28
                                        ; implicit-def: $vgpr63
; %bb.441:                              ;   in Loop: Header=BB329_240 Depth=1
	s_andn2_saveexec_b64 s[12:13], s[0:1]
; %bb.442:                              ;   in Loop: Header=BB329_240 Depth=1
	v_or_b32_e32 v57, 0x10000, v63
	v_cmp_eq_u32_sdwa s[0:1], v63, v17 src0_sel:WORD_0 src1_sel:DWORD
	s_nop 1
	v_cndmask_b32_e64 v57, v57, v63, s[0:1]
; %bb.443:                              ;   in Loop: Header=BB329_240 Depth=1
	s_or_b64 exec, exec, s[12:13]
	v_lshlrev_b32_e32 v58, 16, v58
	v_mul_f32_e32 v63, v42, v58
	v_and_b32_e32 v58, 0x7f800000, v63
	v_cmp_ne_u32_e64 s[0:1], s22, v58
                                        ; implicit-def: $vgpr58
	s_and_saveexec_b64 s[12:13], s[0:1]
	s_xor_b64 s[0:1], exec, s[12:13]
; %bb.444:                              ;   in Loop: Header=BB329_240 Depth=1
	v_bfe_u32 v58, v63, 16, 1
	v_add3_u32 v58, v63, v58, s28
                                        ; implicit-def: $vgpr63
; %bb.445:                              ;   in Loop: Header=BB329_240 Depth=1
	s_andn2_saveexec_b64 s[12:13], s[0:1]
; %bb.446:                              ;   in Loop: Header=BB329_240 Depth=1
	v_or_b32_e32 v58, 0x10000, v63
	v_cmp_eq_u32_sdwa s[0:1], v63, v17 src0_sel:WORD_0 src1_sel:DWORD
	s_nop 1
	v_cndmask_b32_e64 v58, v58, v63, s[0:1]
; %bb.447:                              ;   in Loop: Header=BB329_240 Depth=1
	s_or_b64 exec, exec, s[12:13]
	v_lshlrev_b32_e32 v59, 16, v59
	v_mul_f32_e32 v63, v43, v59
	v_and_b32_e32 v59, 0x7f800000, v63
	v_cmp_ne_u32_e64 s[0:1], s22, v59
                                        ; implicit-def: $vgpr59
	s_and_saveexec_b64 s[12:13], s[0:1]
	s_xor_b64 s[0:1], exec, s[12:13]
; %bb.448:                              ;   in Loop: Header=BB329_240 Depth=1
	v_bfe_u32 v59, v63, 16, 1
	v_add3_u32 v59, v63, v59, s28
                                        ; implicit-def: $vgpr63
; %bb.449:                              ;   in Loop: Header=BB329_240 Depth=1
	s_andn2_saveexec_b64 s[12:13], s[0:1]
; %bb.450:                              ;   in Loop: Header=BB329_240 Depth=1
	v_or_b32_e32 v59, 0x10000, v63
	v_cmp_eq_u32_sdwa s[0:1], v63, v17 src0_sel:WORD_0 src1_sel:DWORD
	s_nop 1
	v_cndmask_b32_e64 v59, v59, v63, s[0:1]
; %bb.451:                              ;   in Loop: Header=BB329_240 Depth=1
	s_or_b64 exec, exec, s[12:13]
	v_lshlrev_b32_e32 v60, 16, v60
	v_mul_f32_e32 v63, v44, v60
	v_and_b32_e32 v60, 0x7f800000, v63
	v_cmp_ne_u32_e64 s[0:1], s22, v60
                                        ; implicit-def: $vgpr60
	s_and_saveexec_b64 s[12:13], s[0:1]
	s_xor_b64 s[0:1], exec, s[12:13]
; %bb.452:                              ;   in Loop: Header=BB329_240 Depth=1
	v_bfe_u32 v60, v63, 16, 1
	v_add3_u32 v60, v63, v60, s28
                                        ; implicit-def: $vgpr63
; %bb.453:                              ;   in Loop: Header=BB329_240 Depth=1
	s_andn2_saveexec_b64 s[12:13], s[0:1]
; %bb.454:                              ;   in Loop: Header=BB329_240 Depth=1
	v_or_b32_e32 v60, 0x10000, v63
	v_cmp_eq_u32_sdwa s[0:1], v63, v17 src0_sel:WORD_0 src1_sel:DWORD
	s_nop 1
	v_cndmask_b32_e64 v60, v60, v63, s[0:1]
; %bb.455:                              ;   in Loop: Header=BB329_240 Depth=1
	s_or_b64 exec, exec, s[12:13]
	v_lshlrev_b32_e32 v61, 16, v61
	v_mul_f32_e32 v63, v45, v61
	v_and_b32_e32 v61, 0x7f800000, v63
	v_cmp_ne_u32_e64 s[0:1], s22, v61
                                        ; implicit-def: $vgpr61
	s_and_saveexec_b64 s[12:13], s[0:1]
	s_xor_b64 s[0:1], exec, s[12:13]
; %bb.456:                              ;   in Loop: Header=BB329_240 Depth=1
	v_bfe_u32 v61, v63, 16, 1
	v_add3_u32 v61, v63, v61, s28
                                        ; implicit-def: $vgpr63
; %bb.457:                              ;   in Loop: Header=BB329_240 Depth=1
	s_andn2_saveexec_b64 s[12:13], s[0:1]
; %bb.458:                              ;   in Loop: Header=BB329_240 Depth=1
	v_or_b32_e32 v61, 0x10000, v63
	v_cmp_eq_u32_sdwa s[0:1], v63, v17 src0_sel:WORD_0 src1_sel:DWORD
	s_nop 1
	v_cndmask_b32_e64 v61, v61, v63, s[0:1]
; %bb.459:                              ;   in Loop: Header=BB329_240 Depth=1
	s_or_b64 exec, exec, s[12:13]
	v_lshlrev_b32_e32 v62, 16, v62
	v_mul_f32_e32 v63, v46, v62
	v_and_b32_e32 v62, 0x7f800000, v63
	v_cmp_ne_u32_e64 s[0:1], s22, v62
                                        ; implicit-def: $vgpr62
	s_and_saveexec_b64 s[12:13], s[0:1]
	s_xor_b64 s[0:1], exec, s[12:13]
; %bb.460:                              ;   in Loop: Header=BB329_240 Depth=1
	v_bfe_u32 v62, v63, 16, 1
	v_add3_u32 v62, v63, v62, s28
                                        ; implicit-def: $vgpr63
; %bb.461:                              ;   in Loop: Header=BB329_240 Depth=1
	s_andn2_saveexec_b64 s[12:13], s[0:1]
; %bb.462:                              ;   in Loop: Header=BB329_240 Depth=1
	v_or_b32_e32 v62, 0x10000, v63
	v_cmp_eq_u32_sdwa s[0:1], v63, v17 src0_sel:WORD_0 src1_sel:DWORD
	s_nop 1
	v_cndmask_b32_e64 v62, v62, v63, s[0:1]
; %bb.463:                              ;   in Loop: Header=BB329_240 Depth=1
	s_or_b64 exec, exec, s[12:13]
	v_lshlrev_b32_e32 v5, 16, v5
	v_mul_f32_e32 v5, v47, v5
	v_and_b32_e32 v63, 0x7f800000, v5
	v_cmp_ne_u32_e64 s[0:1], s22, v63
                                        ; implicit-def: $vgpr63
	s_and_saveexec_b64 s[12:13], s[0:1]
	s_xor_b64 s[0:1], exec, s[12:13]
; %bb.464:                              ;   in Loop: Header=BB329_240 Depth=1
	v_bfe_u32 v63, v5, 16, 1
	v_add3_u32 v63, v5, v63, s28
                                        ; implicit-def: $vgpr5
; %bb.465:                              ;   in Loop: Header=BB329_240 Depth=1
	s_andn2_saveexec_b64 s[12:13], s[0:1]
; %bb.466:                              ;   in Loop: Header=BB329_240 Depth=1
	v_or_b32_e32 v63, 0x10000, v5
	v_cmp_eq_u32_sdwa s[0:1], v5, v17 src0_sel:WORD_0 src1_sel:DWORD
	s_nop 1
	v_cndmask_b32_e64 v63, v63, v5, s[0:1]
; %bb.467:                              ;   in Loop: Header=BB329_240 Depth=1
	s_or_b64 exec, exec, s[12:13]
	v_lshlrev_b32_e32 v4, 16, v4
	v_mul_f32_e32 v4, v48, v4
	v_and_b32_e32 v5, 0x7f800000, v4
	v_cmp_ne_u32_e64 s[0:1], s22, v5
                                        ; implicit-def: $vgpr64
	s_and_saveexec_b64 s[12:13], s[0:1]
	s_xor_b64 s[0:1], exec, s[12:13]
; %bb.468:                              ;   in Loop: Header=BB329_240 Depth=1
	v_bfe_u32 v5, v4, 16, 1
	v_add3_u32 v64, v4, v5, s28
                                        ; implicit-def: $vgpr4
; %bb.469:                              ;   in Loop: Header=BB329_240 Depth=1
	s_andn2_saveexec_b64 s[12:13], s[0:1]
; %bb.470:                              ;   in Loop: Header=BB329_240 Depth=1
	v_or_b32_e32 v5, 0x10000, v4
	v_cmp_eq_u32_sdwa s[0:1], v4, v17 src0_sel:WORD_0 src1_sel:DWORD
	s_nop 1
	v_cndmask_b32_e64 v64, v5, v4, s[0:1]
; %bb.471:                              ;   in Loop: Header=BB329_240 Depth=1
	s_or_b64 exec, exec, s[12:13]
	global_load_dwordx2 v[4:5], v[2:3], off offset:1536
	s_waitcnt vmcnt(0)
	v_and_b32_e32 v65, 0xff, v4
	v_cvt_f32_fp8_sdwa v65, v65 src0_sel:BYTE_0
	s_nop 0
	v_mul_f32_e32 v66, s29, v65
	v_and_b32_e32 v65, 0x7f800000, v66
	v_cmp_ne_u32_e64 s[0:1], s22, v65
                                        ; implicit-def: $vgpr65
	s_and_saveexec_b64 s[12:13], s[0:1]
	s_xor_b64 s[0:1], exec, s[12:13]
; %bb.472:                              ;   in Loop: Header=BB329_240 Depth=1
	v_bfe_u32 v65, v66, 16, 1
	v_add3_u32 v65, v66, v65, s28
                                        ; implicit-def: $vgpr66
; %bb.473:                              ;   in Loop: Header=BB329_240 Depth=1
	s_andn2_saveexec_b64 s[12:13], s[0:1]
; %bb.474:                              ;   in Loop: Header=BB329_240 Depth=1
	v_or_b32_e32 v65, 0x10000, v66
	v_cmp_eq_u32_sdwa s[0:1], v66, v17 src0_sel:WORD_0 src1_sel:DWORD
	s_nop 1
	v_cndmask_b32_e64 v65, v65, v66, s[0:1]
; %bb.475:                              ;   in Loop: Header=BB329_240 Depth=1
	s_or_b64 exec, exec, s[12:13]
	v_bfe_u32 v66, v4, 8, 8
	v_cvt_f32_fp8_sdwa v66, v66 src0_sel:BYTE_0
	s_nop 0
	v_mul_f32_e32 v67, s29, v66
	v_and_b32_e32 v66, 0x7f800000, v67
	v_cmp_ne_u32_e64 s[0:1], s22, v66
                                        ; implicit-def: $vgpr66
	s_and_saveexec_b64 s[12:13], s[0:1]
	s_xor_b64 s[0:1], exec, s[12:13]
; %bb.476:                              ;   in Loop: Header=BB329_240 Depth=1
	v_bfe_u32 v66, v67, 16, 1
	v_add3_u32 v66, v67, v66, s28
                                        ; implicit-def: $vgpr67
; %bb.477:                              ;   in Loop: Header=BB329_240 Depth=1
	s_andn2_saveexec_b64 s[12:13], s[0:1]
; %bb.478:                              ;   in Loop: Header=BB329_240 Depth=1
	v_or_b32_e32 v66, 0x10000, v67
	v_cmp_eq_u32_sdwa s[0:1], v67, v17 src0_sel:WORD_0 src1_sel:DWORD
	s_nop 1
	v_cndmask_b32_e64 v66, v66, v67, s[0:1]
; %bb.479:                              ;   in Loop: Header=BB329_240 Depth=1
	s_or_b64 exec, exec, s[12:13]
	v_bfe_u32 v67, v4, 16, 8
	v_cvt_f32_fp8_sdwa v67, v67 src0_sel:BYTE_0
	s_nop 0
	v_mul_f32_e32 v68, s29, v67
	v_and_b32_e32 v67, 0x7f800000, v68
	v_cmp_ne_u32_e64 s[0:1], s22, v67
                                        ; implicit-def: $vgpr67
	s_and_saveexec_b64 s[12:13], s[0:1]
	s_xor_b64 s[0:1], exec, s[12:13]
; %bb.480:                              ;   in Loop: Header=BB329_240 Depth=1
	v_bfe_u32 v67, v68, 16, 1
	v_add3_u32 v67, v68, v67, s28
                                        ; implicit-def: $vgpr68
; %bb.481:                              ;   in Loop: Header=BB329_240 Depth=1
	s_andn2_saveexec_b64 s[12:13], s[0:1]
; %bb.482:                              ;   in Loop: Header=BB329_240 Depth=1
	v_or_b32_e32 v67, 0x10000, v68
	v_cmp_eq_u32_sdwa s[0:1], v68, v17 src0_sel:WORD_0 src1_sel:DWORD
	s_nop 1
	v_cndmask_b32_e64 v67, v67, v68, s[0:1]
; %bb.483:                              ;   in Loop: Header=BB329_240 Depth=1
	s_or_b64 exec, exec, s[12:13]
	v_lshrrev_b32_e32 v4, 24, v4
	v_cvt_f32_fp8_sdwa v4, v4 src0_sel:BYTE_0
	s_nop 0
	v_mul_f32_e32 v68, s29, v4
	v_and_b32_e32 v4, 0x7f800000, v68
	v_cmp_ne_u32_e64 s[0:1], s22, v4
                                        ; implicit-def: $vgpr4
	s_and_saveexec_b64 s[12:13], s[0:1]
	s_xor_b64 s[0:1], exec, s[12:13]
; %bb.484:                              ;   in Loop: Header=BB329_240 Depth=1
	v_bfe_u32 v4, v68, 16, 1
	v_add3_u32 v4, v68, v4, s28
                                        ; implicit-def: $vgpr68
; %bb.485:                              ;   in Loop: Header=BB329_240 Depth=1
	s_andn2_saveexec_b64 s[12:13], s[0:1]
; %bb.486:                              ;   in Loop: Header=BB329_240 Depth=1
	v_or_b32_e32 v4, 0x10000, v68
	v_cmp_eq_u32_sdwa s[0:1], v68, v17 src0_sel:WORD_0 src1_sel:DWORD
	s_nop 1
	v_cndmask_b32_e64 v4, v4, v68, s[0:1]
; %bb.487:                              ;   in Loop: Header=BB329_240 Depth=1
	s_or_b64 exec, exec, s[12:13]
	v_and_b32_e32 v68, 0xff, v5
	v_cvt_f32_fp8_sdwa v68, v68 src0_sel:BYTE_0
	s_nop 0
	v_mul_f32_e32 v69, s29, v68
	v_and_b32_e32 v68, 0x7f800000, v69
	v_cmp_ne_u32_e64 s[0:1], s22, v68
                                        ; implicit-def: $vgpr68
	s_and_saveexec_b64 s[12:13], s[0:1]
	s_xor_b64 s[0:1], exec, s[12:13]
; %bb.488:                              ;   in Loop: Header=BB329_240 Depth=1
	v_bfe_u32 v68, v69, 16, 1
	v_add3_u32 v68, v69, v68, s28
                                        ; implicit-def: $vgpr69
; %bb.489:                              ;   in Loop: Header=BB329_240 Depth=1
	s_andn2_saveexec_b64 s[12:13], s[0:1]
; %bb.490:                              ;   in Loop: Header=BB329_240 Depth=1
	v_or_b32_e32 v68, 0x10000, v69
	v_cmp_eq_u32_sdwa s[0:1], v69, v17 src0_sel:WORD_0 src1_sel:DWORD
	s_nop 1
	v_cndmask_b32_e64 v68, v68, v69, s[0:1]
; %bb.491:                              ;   in Loop: Header=BB329_240 Depth=1
	s_or_b64 exec, exec, s[12:13]
	v_bfe_u32 v69, v5, 8, 8
	v_cvt_f32_fp8_sdwa v69, v69 src0_sel:BYTE_0
	s_nop 0
	v_mul_f32_e32 v70, s29, v69
	v_and_b32_e32 v69, 0x7f800000, v70
	v_cmp_ne_u32_e64 s[0:1], s22, v69
                                        ; implicit-def: $vgpr69
	s_and_saveexec_b64 s[12:13], s[0:1]
	s_xor_b64 s[0:1], exec, s[12:13]
; %bb.492:                              ;   in Loop: Header=BB329_240 Depth=1
	v_bfe_u32 v69, v70, 16, 1
	v_add3_u32 v69, v70, v69, s28
                                        ; implicit-def: $vgpr70
; %bb.493:                              ;   in Loop: Header=BB329_240 Depth=1
	s_andn2_saveexec_b64 s[12:13], s[0:1]
; %bb.494:                              ;   in Loop: Header=BB329_240 Depth=1
	v_or_b32_e32 v69, 0x10000, v70
	v_cmp_eq_u32_sdwa s[0:1], v70, v17 src0_sel:WORD_0 src1_sel:DWORD
	s_nop 1
	v_cndmask_b32_e64 v69, v69, v70, s[0:1]
; %bb.495:                              ;   in Loop: Header=BB329_240 Depth=1
	s_or_b64 exec, exec, s[12:13]
	v_bfe_u32 v70, v5, 16, 8
	v_cvt_f32_fp8_sdwa v70, v70 src0_sel:BYTE_0
	s_nop 0
	v_mul_f32_e32 v70, s29, v70
	v_and_b32_e32 v71, 0x7f800000, v70
	v_cmp_ne_u32_e64 s[0:1], s22, v71
                                        ; implicit-def: $vgpr71
	s_and_saveexec_b64 s[12:13], s[0:1]
	s_xor_b64 s[0:1], exec, s[12:13]
; %bb.496:                              ;   in Loop: Header=BB329_240 Depth=1
	v_bfe_u32 v71, v70, 16, 1
	v_add3_u32 v71, v70, v71, s28
                                        ; implicit-def: $vgpr70
; %bb.497:                              ;   in Loop: Header=BB329_240 Depth=1
	s_andn2_saveexec_b64 s[12:13], s[0:1]
; %bb.498:                              ;   in Loop: Header=BB329_240 Depth=1
	v_or_b32_e32 v71, 0x10000, v70
	v_cmp_eq_u32_sdwa s[0:1], v70, v17 src0_sel:WORD_0 src1_sel:DWORD
	s_nop 1
	v_cndmask_b32_e64 v71, v71, v70, s[0:1]
; %bb.499:                              ;   in Loop: Header=BB329_240 Depth=1
	s_or_b64 exec, exec, s[12:13]
	v_lshrrev_b32_e32 v5, 24, v5
	v_cvt_f32_fp8_sdwa v5, v5 src0_sel:BYTE_0
                                        ; implicit-def: $vgpr72
	s_nop 0
	v_mul_f32_e32 v5, s29, v5
	v_and_b32_e32 v70, 0x7f800000, v5
	v_cmp_ne_u32_e64 s[0:1], s22, v70
	s_and_saveexec_b64 s[12:13], s[0:1]
	s_xor_b64 s[0:1], exec, s[12:13]
; %bb.500:                              ;   in Loop: Header=BB329_240 Depth=1
	v_bfe_u32 v70, v5, 16, 1
	v_add3_u32 v72, v5, v70, s28
                                        ; implicit-def: $vgpr5
; %bb.501:                              ;   in Loop: Header=BB329_240 Depth=1
	s_andn2_saveexec_b64 s[12:13], s[0:1]
; %bb.502:                              ;   in Loop: Header=BB329_240 Depth=1
	v_or_b32_e32 v70, 0x10000, v5
	v_cmp_eq_u32_sdwa s[0:1], v5, v17 src0_sel:WORD_0 src1_sel:DWORD
	s_nop 1
	v_cndmask_b32_e64 v72, v70, v5, s[0:1]
; %bb.503:                              ;   in Loop: Header=BB329_240 Depth=1
	s_or_b64 exec, exec, s[12:13]
	v_lshrrev_b32_e32 v70, 16, v69
	v_lshrrev_b32_e32 v69, 16, v68
	;; [unrolled: 1-line block ×8, first 2 shown]
	s_and_saveexec_b64 s[12:13], vcc
	s_cbranch_execz .LBB329_505
; %bb.504:                              ;   in Loop: Header=BB329_240 Depth=1
	v_cmp_gt_i32_e64 s[0:1], s33, v32
	s_nop 1
	v_cndmask_b32_e64 v65, 0, v65, s[0:1]
	v_cmp_gt_i32_e64 s[0:1], s33, v40
	s_nop 1
	v_cndmask_b32_e64 v66, 0, v66, s[0:1]
	;; [unrolled: 3-line block ×8, first 2 shown]
.LBB329_505:                            ;   in Loop: Header=BB329_240 Depth=1
	s_or_b64 exec, exec, s[12:13]
	v_lshlrev_b32_e32 v65, 16, v65
	v_mul_f32_e32 v71, v41, v65
	v_and_b32_e32 v65, 0x7f800000, v71
	v_cmp_ne_u32_e64 s[0:1], s22, v65
                                        ; implicit-def: $vgpr65
	s_and_saveexec_b64 s[12:13], s[0:1]
	s_xor_b64 s[0:1], exec, s[12:13]
; %bb.506:                              ;   in Loop: Header=BB329_240 Depth=1
	v_bfe_u32 v65, v71, 16, 1
	v_add3_u32 v65, v71, v65, s28
                                        ; implicit-def: $vgpr71
; %bb.507:                              ;   in Loop: Header=BB329_240 Depth=1
	s_andn2_saveexec_b64 s[12:13], s[0:1]
; %bb.508:                              ;   in Loop: Header=BB329_240 Depth=1
	v_or_b32_e32 v65, 0x10000, v71
	v_cmp_eq_u32_sdwa s[0:1], v71, v17 src0_sel:WORD_0 src1_sel:DWORD
	s_nop 1
	v_cndmask_b32_e64 v65, v65, v71, s[0:1]
; %bb.509:                              ;   in Loop: Header=BB329_240 Depth=1
	s_or_b64 exec, exec, s[12:13]
	v_lshlrev_b32_e32 v66, 16, v66
	v_mul_f32_e32 v71, v42, v66
	v_and_b32_e32 v66, 0x7f800000, v71
	v_cmp_ne_u32_e64 s[0:1], s22, v66
                                        ; implicit-def: $vgpr66
	s_and_saveexec_b64 s[12:13], s[0:1]
	s_xor_b64 s[0:1], exec, s[12:13]
; %bb.510:                              ;   in Loop: Header=BB329_240 Depth=1
	v_bfe_u32 v66, v71, 16, 1
	v_add3_u32 v66, v71, v66, s28
                                        ; implicit-def: $vgpr71
; %bb.511:                              ;   in Loop: Header=BB329_240 Depth=1
	s_andn2_saveexec_b64 s[12:13], s[0:1]
; %bb.512:                              ;   in Loop: Header=BB329_240 Depth=1
	v_or_b32_e32 v66, 0x10000, v71
	v_cmp_eq_u32_sdwa s[0:1], v71, v17 src0_sel:WORD_0 src1_sel:DWORD
	s_nop 1
	v_cndmask_b32_e64 v66, v66, v71, s[0:1]
; %bb.513:                              ;   in Loop: Header=BB329_240 Depth=1
	s_or_b64 exec, exec, s[12:13]
	v_lshlrev_b32_e32 v67, 16, v67
	v_mul_f32_e32 v71, v43, v67
	v_and_b32_e32 v67, 0x7f800000, v71
	v_cmp_ne_u32_e64 s[0:1], s22, v67
                                        ; implicit-def: $vgpr67
	s_and_saveexec_b64 s[12:13], s[0:1]
	s_xor_b64 s[0:1], exec, s[12:13]
; %bb.514:                              ;   in Loop: Header=BB329_240 Depth=1
	v_bfe_u32 v67, v71, 16, 1
	v_add3_u32 v67, v71, v67, s28
                                        ; implicit-def: $vgpr71
; %bb.515:                              ;   in Loop: Header=BB329_240 Depth=1
	s_andn2_saveexec_b64 s[12:13], s[0:1]
; %bb.516:                              ;   in Loop: Header=BB329_240 Depth=1
	v_or_b32_e32 v67, 0x10000, v71
	v_cmp_eq_u32_sdwa s[0:1], v71, v17 src0_sel:WORD_0 src1_sel:DWORD
	s_nop 1
	v_cndmask_b32_e64 v67, v67, v71, s[0:1]
; %bb.517:                              ;   in Loop: Header=BB329_240 Depth=1
	s_or_b64 exec, exec, s[12:13]
	v_lshlrev_b32_e32 v68, 16, v68
	v_mul_f32_e32 v71, v44, v68
	v_and_b32_e32 v68, 0x7f800000, v71
	v_cmp_ne_u32_e64 s[0:1], s22, v68
                                        ; implicit-def: $vgpr68
	s_and_saveexec_b64 s[12:13], s[0:1]
	s_xor_b64 s[0:1], exec, s[12:13]
; %bb.518:                              ;   in Loop: Header=BB329_240 Depth=1
	v_bfe_u32 v68, v71, 16, 1
	v_add3_u32 v68, v71, v68, s28
                                        ; implicit-def: $vgpr71
; %bb.519:                              ;   in Loop: Header=BB329_240 Depth=1
	s_andn2_saveexec_b64 s[12:13], s[0:1]
; %bb.520:                              ;   in Loop: Header=BB329_240 Depth=1
	v_or_b32_e32 v68, 0x10000, v71
	v_cmp_eq_u32_sdwa s[0:1], v71, v17 src0_sel:WORD_0 src1_sel:DWORD
	s_nop 1
	v_cndmask_b32_e64 v68, v68, v71, s[0:1]
; %bb.521:                              ;   in Loop: Header=BB329_240 Depth=1
	s_or_b64 exec, exec, s[12:13]
	v_lshlrev_b32_e32 v69, 16, v69
	v_mul_f32_e32 v71, v45, v69
	v_and_b32_e32 v69, 0x7f800000, v71
	v_cmp_ne_u32_e64 s[0:1], s22, v69
                                        ; implicit-def: $vgpr69
	s_and_saveexec_b64 s[12:13], s[0:1]
	s_xor_b64 s[0:1], exec, s[12:13]
; %bb.522:                              ;   in Loop: Header=BB329_240 Depth=1
	v_bfe_u32 v69, v71, 16, 1
	v_add3_u32 v69, v71, v69, s28
                                        ; implicit-def: $vgpr71
; %bb.523:                              ;   in Loop: Header=BB329_240 Depth=1
	s_andn2_saveexec_b64 s[12:13], s[0:1]
; %bb.524:                              ;   in Loop: Header=BB329_240 Depth=1
	v_or_b32_e32 v69, 0x10000, v71
	v_cmp_eq_u32_sdwa s[0:1], v71, v17 src0_sel:WORD_0 src1_sel:DWORD
	s_nop 1
	v_cndmask_b32_e64 v69, v69, v71, s[0:1]
; %bb.525:                              ;   in Loop: Header=BB329_240 Depth=1
	s_or_b64 exec, exec, s[12:13]
	v_lshlrev_b32_e32 v70, 16, v70
	v_mul_f32_e32 v71, v46, v70
	v_and_b32_e32 v70, 0x7f800000, v71
	v_cmp_ne_u32_e64 s[0:1], s22, v70
                                        ; implicit-def: $vgpr70
	s_and_saveexec_b64 s[12:13], s[0:1]
	s_xor_b64 s[0:1], exec, s[12:13]
; %bb.526:                              ;   in Loop: Header=BB329_240 Depth=1
	v_bfe_u32 v70, v71, 16, 1
	v_add3_u32 v70, v71, v70, s28
                                        ; implicit-def: $vgpr71
; %bb.527:                              ;   in Loop: Header=BB329_240 Depth=1
	s_andn2_saveexec_b64 s[12:13], s[0:1]
; %bb.528:                              ;   in Loop: Header=BB329_240 Depth=1
	v_or_b32_e32 v70, 0x10000, v71
	v_cmp_eq_u32_sdwa s[0:1], v71, v17 src0_sel:WORD_0 src1_sel:DWORD
	s_nop 1
	v_cndmask_b32_e64 v70, v70, v71, s[0:1]
; %bb.529:                              ;   in Loop: Header=BB329_240 Depth=1
	s_or_b64 exec, exec, s[12:13]
	v_lshlrev_b32_e32 v5, 16, v5
	v_mul_f32_e32 v5, v47, v5
	v_and_b32_e32 v71, 0x7f800000, v5
	v_cmp_ne_u32_e64 s[0:1], s22, v71
                                        ; implicit-def: $vgpr71
	s_and_saveexec_b64 s[12:13], s[0:1]
	s_xor_b64 s[0:1], exec, s[12:13]
; %bb.530:                              ;   in Loop: Header=BB329_240 Depth=1
	v_bfe_u32 v71, v5, 16, 1
	v_add3_u32 v71, v5, v71, s28
                                        ; implicit-def: $vgpr5
; %bb.531:                              ;   in Loop: Header=BB329_240 Depth=1
	s_andn2_saveexec_b64 s[12:13], s[0:1]
; %bb.532:                              ;   in Loop: Header=BB329_240 Depth=1
	v_or_b32_e32 v71, 0x10000, v5
	v_cmp_eq_u32_sdwa s[0:1], v5, v17 src0_sel:WORD_0 src1_sel:DWORD
	s_nop 1
	v_cndmask_b32_e64 v71, v71, v5, s[0:1]
; %bb.533:                              ;   in Loop: Header=BB329_240 Depth=1
	s_or_b64 exec, exec, s[12:13]
	v_lshlrev_b32_e32 v4, 16, v4
	v_mul_f32_e32 v4, v48, v4
	v_and_b32_e32 v5, 0x7f800000, v4
	v_cmp_ne_u32_e64 s[0:1], s22, v5
                                        ; implicit-def: $vgpr72
	s_and_saveexec_b64 s[12:13], s[0:1]
	s_xor_b64 s[0:1], exec, s[12:13]
; %bb.534:                              ;   in Loop: Header=BB329_240 Depth=1
	v_bfe_u32 v5, v4, 16, 1
	v_add3_u32 v72, v4, v5, s28
                                        ; implicit-def: $vgpr4
; %bb.535:                              ;   in Loop: Header=BB329_240 Depth=1
	s_andn2_saveexec_b64 s[12:13], s[0:1]
; %bb.536:                              ;   in Loop: Header=BB329_240 Depth=1
	v_or_b32_e32 v5, 0x10000, v4
	v_cmp_eq_u32_sdwa s[0:1], v4, v17 src0_sel:WORD_0 src1_sel:DWORD
	s_nop 1
	v_cndmask_b32_e64 v72, v5, v4, s[0:1]
; %bb.537:                              ;   in Loop: Header=BB329_240 Depth=1
	s_or_b64 exec, exec, s[12:13]
	global_load_dwordx2 v[4:5], v[2:3], off offset:2048
	s_waitcnt vmcnt(0)
	v_and_b32_e32 v73, 0xff, v4
	v_cvt_f32_fp8_sdwa v73, v73 src0_sel:BYTE_0
	s_nop 0
	v_mul_f32_e32 v74, s29, v73
	v_and_b32_e32 v73, 0x7f800000, v74
	v_cmp_ne_u32_e64 s[0:1], s22, v73
                                        ; implicit-def: $vgpr73
	s_and_saveexec_b64 s[12:13], s[0:1]
	s_xor_b64 s[0:1], exec, s[12:13]
; %bb.538:                              ;   in Loop: Header=BB329_240 Depth=1
	v_bfe_u32 v73, v74, 16, 1
	v_add3_u32 v73, v74, v73, s28
                                        ; implicit-def: $vgpr74
; %bb.539:                              ;   in Loop: Header=BB329_240 Depth=1
	s_andn2_saveexec_b64 s[12:13], s[0:1]
; %bb.540:                              ;   in Loop: Header=BB329_240 Depth=1
	v_or_b32_e32 v73, 0x10000, v74
	v_cmp_eq_u32_sdwa s[0:1], v74, v17 src0_sel:WORD_0 src1_sel:DWORD
	s_nop 1
	v_cndmask_b32_e64 v73, v73, v74, s[0:1]
; %bb.541:                              ;   in Loop: Header=BB329_240 Depth=1
	s_or_b64 exec, exec, s[12:13]
	v_bfe_u32 v74, v4, 8, 8
	v_cvt_f32_fp8_sdwa v74, v74 src0_sel:BYTE_0
	s_nop 0
	v_mul_f32_e32 v75, s29, v74
	v_and_b32_e32 v74, 0x7f800000, v75
	v_cmp_ne_u32_e64 s[0:1], s22, v74
                                        ; implicit-def: $vgpr74
	s_and_saveexec_b64 s[12:13], s[0:1]
	s_xor_b64 s[0:1], exec, s[12:13]
; %bb.542:                              ;   in Loop: Header=BB329_240 Depth=1
	v_bfe_u32 v74, v75, 16, 1
	v_add3_u32 v74, v75, v74, s28
                                        ; implicit-def: $vgpr75
; %bb.543:                              ;   in Loop: Header=BB329_240 Depth=1
	s_andn2_saveexec_b64 s[12:13], s[0:1]
; %bb.544:                              ;   in Loop: Header=BB329_240 Depth=1
	v_or_b32_e32 v74, 0x10000, v75
	v_cmp_eq_u32_sdwa s[0:1], v75, v17 src0_sel:WORD_0 src1_sel:DWORD
	s_nop 1
	v_cndmask_b32_e64 v74, v74, v75, s[0:1]
; %bb.545:                              ;   in Loop: Header=BB329_240 Depth=1
	s_or_b64 exec, exec, s[12:13]
	v_bfe_u32 v75, v4, 16, 8
	v_cvt_f32_fp8_sdwa v75, v75 src0_sel:BYTE_0
	s_nop 0
	v_mul_f32_e32 v76, s29, v75
	v_and_b32_e32 v75, 0x7f800000, v76
	v_cmp_ne_u32_e64 s[0:1], s22, v75
                                        ; implicit-def: $vgpr75
	s_and_saveexec_b64 s[12:13], s[0:1]
	s_xor_b64 s[0:1], exec, s[12:13]
; %bb.546:                              ;   in Loop: Header=BB329_240 Depth=1
	v_bfe_u32 v75, v76, 16, 1
	v_add3_u32 v75, v76, v75, s28
                                        ; implicit-def: $vgpr76
; %bb.547:                              ;   in Loop: Header=BB329_240 Depth=1
	s_andn2_saveexec_b64 s[12:13], s[0:1]
; %bb.548:                              ;   in Loop: Header=BB329_240 Depth=1
	v_or_b32_e32 v75, 0x10000, v76
	v_cmp_eq_u32_sdwa s[0:1], v76, v17 src0_sel:WORD_0 src1_sel:DWORD
	s_nop 1
	v_cndmask_b32_e64 v75, v75, v76, s[0:1]
; %bb.549:                              ;   in Loop: Header=BB329_240 Depth=1
	s_or_b64 exec, exec, s[12:13]
	v_lshrrev_b32_e32 v4, 24, v4
	v_cvt_f32_fp8_sdwa v4, v4 src0_sel:BYTE_0
	s_nop 0
	v_mul_f32_e32 v76, s29, v4
	v_and_b32_e32 v4, 0x7f800000, v76
	v_cmp_ne_u32_e64 s[0:1], s22, v4
                                        ; implicit-def: $vgpr4
	s_and_saveexec_b64 s[12:13], s[0:1]
	s_xor_b64 s[0:1], exec, s[12:13]
; %bb.550:                              ;   in Loop: Header=BB329_240 Depth=1
	v_bfe_u32 v4, v76, 16, 1
	v_add3_u32 v4, v76, v4, s28
                                        ; implicit-def: $vgpr76
; %bb.551:                              ;   in Loop: Header=BB329_240 Depth=1
	s_andn2_saveexec_b64 s[12:13], s[0:1]
; %bb.552:                              ;   in Loop: Header=BB329_240 Depth=1
	v_or_b32_e32 v4, 0x10000, v76
	v_cmp_eq_u32_sdwa s[0:1], v76, v17 src0_sel:WORD_0 src1_sel:DWORD
	s_nop 1
	v_cndmask_b32_e64 v4, v4, v76, s[0:1]
; %bb.553:                              ;   in Loop: Header=BB329_240 Depth=1
	s_or_b64 exec, exec, s[12:13]
	v_and_b32_e32 v76, 0xff, v5
	v_cvt_f32_fp8_sdwa v76, v76 src0_sel:BYTE_0
	s_nop 0
	v_mul_f32_e32 v76, s29, v76
	v_and_b32_e32 v77, 0x7f800000, v76
	v_cmp_ne_u32_e64 s[0:1], s22, v77
                                        ; implicit-def: $vgpr77
	s_and_saveexec_b64 s[12:13], s[0:1]
	s_xor_b64 s[0:1], exec, s[12:13]
; %bb.554:                              ;   in Loop: Header=BB329_240 Depth=1
	v_bfe_u32 v77, v76, 16, 1
	v_add3_u32 v77, v76, v77, s28
                                        ; implicit-def: $vgpr76
; %bb.555:                              ;   in Loop: Header=BB329_240 Depth=1
	s_andn2_saveexec_b64 s[12:13], s[0:1]
; %bb.556:                              ;   in Loop: Header=BB329_240 Depth=1
	v_or_b32_e32 v77, 0x10000, v76
	v_cmp_eq_u32_sdwa s[0:1], v76, v17 src0_sel:WORD_0 src1_sel:DWORD
	s_nop 1
	v_cndmask_b32_e64 v77, v77, v76, s[0:1]
; %bb.557:                              ;   in Loop: Header=BB329_240 Depth=1
	s_or_b64 exec, exec, s[12:13]
	v_bfe_u32 v76, v5, 8, 8
	v_cvt_f32_fp8_sdwa v76, v76 src0_sel:BYTE_0
	s_nop 0
	v_mul_f32_e32 v78, s29, v76
	v_and_b32_e32 v76, 0x7f800000, v78
	v_cmp_ne_u32_e64 s[0:1], s22, v76
                                        ; implicit-def: $vgpr76
	s_and_saveexec_b64 s[12:13], s[0:1]
	s_xor_b64 s[0:1], exec, s[12:13]
; %bb.558:                              ;   in Loop: Header=BB329_240 Depth=1
	v_bfe_u32 v76, v78, 16, 1
	v_add3_u32 v76, v78, v76, s28
                                        ; implicit-def: $vgpr78
; %bb.559:                              ;   in Loop: Header=BB329_240 Depth=1
	s_andn2_saveexec_b64 s[12:13], s[0:1]
; %bb.560:                              ;   in Loop: Header=BB329_240 Depth=1
	v_or_b32_e32 v76, 0x10000, v78
	v_cmp_eq_u32_sdwa s[0:1], v78, v17 src0_sel:WORD_0 src1_sel:DWORD
	s_nop 1
	v_cndmask_b32_e64 v76, v76, v78, s[0:1]
; %bb.561:                              ;   in Loop: Header=BB329_240 Depth=1
	s_or_b64 exec, exec, s[12:13]
	v_bfe_u32 v78, v5, 16, 8
	v_cvt_f32_fp8_sdwa v78, v78 src0_sel:BYTE_0
	s_nop 0
	v_mul_f32_e32 v79, s29, v78
	v_and_b32_e32 v78, 0x7f800000, v79
	v_cmp_ne_u32_e64 s[0:1], s22, v78
                                        ; implicit-def: $vgpr78
	s_and_saveexec_b64 s[12:13], s[0:1]
	s_xor_b64 s[0:1], exec, s[12:13]
; %bb.562:                              ;   in Loop: Header=BB329_240 Depth=1
	v_bfe_u32 v78, v79, 16, 1
	v_add3_u32 v78, v79, v78, s28
                                        ; implicit-def: $vgpr79
; %bb.563:                              ;   in Loop: Header=BB329_240 Depth=1
	s_andn2_saveexec_b64 s[12:13], s[0:1]
; %bb.564:                              ;   in Loop: Header=BB329_240 Depth=1
	v_or_b32_e32 v78, 0x10000, v79
	v_cmp_eq_u32_sdwa s[0:1], v79, v17 src0_sel:WORD_0 src1_sel:DWORD
	s_nop 1
	v_cndmask_b32_e64 v78, v78, v79, s[0:1]
; %bb.565:                              ;   in Loop: Header=BB329_240 Depth=1
	s_or_b64 exec, exec, s[12:13]
	v_lshrrev_b32_e32 v5, 24, v5
	v_cvt_f32_fp8_sdwa v5, v5 src0_sel:BYTE_0
                                        ; implicit-def: $vgpr81
	s_nop 0
	v_mul_f32_e32 v5, s29, v5
	v_and_b32_e32 v79, 0x7f800000, v5
	v_cmp_ne_u32_e64 s[0:1], s22, v79
	s_and_saveexec_b64 s[12:13], s[0:1]
	s_xor_b64 s[0:1], exec, s[12:13]
; %bb.566:                              ;   in Loop: Header=BB329_240 Depth=1
	v_bfe_u32 v79, v5, 16, 1
	v_add3_u32 v81, v5, v79, s28
                                        ; implicit-def: $vgpr5
; %bb.567:                              ;   in Loop: Header=BB329_240 Depth=1
	s_andn2_saveexec_b64 s[12:13], s[0:1]
; %bb.568:                              ;   in Loop: Header=BB329_240 Depth=1
	v_or_b32_e32 v79, 0x10000, v5
	v_cmp_eq_u32_sdwa s[0:1], v5, v17 src0_sel:WORD_0 src1_sel:DWORD
	s_nop 1
	v_cndmask_b32_e64 v81, v79, v5, s[0:1]
; %bb.569:                              ;   in Loop: Header=BB329_240 Depth=1
	s_or_b64 exec, exec, s[12:13]
	v_lshrrev_b32_e32 v76, 16, v76
	v_lshrrev_b32_e32 v79, 16, v77
	v_lshrrev_b32_e32 v80, 16, v4
	v_lshrrev_b32_e32 v75, 16, v75
	v_lshrrev_b32_e32 v5, 16, v74
	v_lshrrev_b32_e32 v4, 16, v73
	v_lshrrev_b32_e32 v77, 16, v78
	v_lshrrev_b32_e32 v78, 16, v81
	s_and_saveexec_b64 s[12:13], vcc
	s_cbranch_execz .LBB329_571
; %bb.570:                              ;   in Loop: Header=BB329_240 Depth=1
	v_cmp_gt_i32_e64 s[0:1], s33, v32
	s_nop 1
	v_cndmask_b32_e64 v4, 0, v4, s[0:1]
	v_cmp_gt_i32_e64 s[0:1], s33, v40
	s_nop 1
	v_cndmask_b32_e64 v5, 0, v5, s[0:1]
	;; [unrolled: 3-line block ×8, first 2 shown]
.LBB329_571:                            ;   in Loop: Header=BB329_240 Depth=1
	s_or_b64 exec, exec, s[12:13]
	v_lshlrev_b32_e32 v4, 16, v4
	v_mul_f32_e32 v73, v41, v4
	v_and_b32_e32 v4, 0x7f800000, v73
	v_cmp_ne_u32_e64 s[0:1], s22, v4
                                        ; implicit-def: $vgpr4
	s_and_saveexec_b64 s[12:13], s[0:1]
	s_xor_b64 s[0:1], exec, s[12:13]
; %bb.572:                              ;   in Loop: Header=BB329_240 Depth=1
	v_bfe_u32 v4, v73, 16, 1
	v_add3_u32 v4, v73, v4, s28
                                        ; implicit-def: $vgpr73
; %bb.573:                              ;   in Loop: Header=BB329_240 Depth=1
	s_andn2_saveexec_b64 s[12:13], s[0:1]
; %bb.574:                              ;   in Loop: Header=BB329_240 Depth=1
	v_or_b32_e32 v4, 0x10000, v73
	v_cmp_eq_u32_sdwa s[0:1], v73, v17 src0_sel:WORD_0 src1_sel:DWORD
	s_nop 1
	v_cndmask_b32_e64 v4, v4, v73, s[0:1]
; %bb.575:                              ;   in Loop: Header=BB329_240 Depth=1
	s_or_b64 exec, exec, s[12:13]
	v_lshlrev_b32_e32 v5, 16, v5
	v_mul_f32_e32 v73, v42, v5
	v_and_b32_e32 v5, 0x7f800000, v73
	v_cmp_ne_u32_e64 s[0:1], s22, v5
                                        ; implicit-def: $vgpr5
	s_and_saveexec_b64 s[12:13], s[0:1]
	s_xor_b64 s[0:1], exec, s[12:13]
; %bb.576:                              ;   in Loop: Header=BB329_240 Depth=1
	v_bfe_u32 v5, v73, 16, 1
	v_add3_u32 v5, v73, v5, s28
                                        ; implicit-def: $vgpr73
; %bb.577:                              ;   in Loop: Header=BB329_240 Depth=1
	s_andn2_saveexec_b64 s[12:13], s[0:1]
; %bb.578:                              ;   in Loop: Header=BB329_240 Depth=1
	v_or_b32_e32 v5, 0x10000, v73
	v_cmp_eq_u32_sdwa s[0:1], v73, v17 src0_sel:WORD_0 src1_sel:DWORD
	s_nop 1
	v_cndmask_b32_e64 v5, v5, v73, s[0:1]
; %bb.579:                              ;   in Loop: Header=BB329_240 Depth=1
	s_or_b64 exec, exec, s[12:13]
	v_lshlrev_b32_e32 v73, 16, v75
	v_mul_f32_e32 v74, v43, v73
	v_and_b32_e32 v73, 0x7f800000, v74
	v_cmp_ne_u32_e64 s[0:1], s22, v73
                                        ; implicit-def: $vgpr73
	s_and_saveexec_b64 s[12:13], s[0:1]
	s_xor_b64 s[0:1], exec, s[12:13]
; %bb.580:                              ;   in Loop: Header=BB329_240 Depth=1
	v_bfe_u32 v73, v74, 16, 1
	v_add3_u32 v73, v74, v73, s28
                                        ; implicit-def: $vgpr74
; %bb.581:                              ;   in Loop: Header=BB329_240 Depth=1
	s_andn2_saveexec_b64 s[12:13], s[0:1]
; %bb.582:                              ;   in Loop: Header=BB329_240 Depth=1
	v_or_b32_e32 v73, 0x10000, v74
	v_cmp_eq_u32_sdwa s[0:1], v74, v17 src0_sel:WORD_0 src1_sel:DWORD
	s_nop 1
	v_cndmask_b32_e64 v73, v73, v74, s[0:1]
; %bb.583:                              ;   in Loop: Header=BB329_240 Depth=1
	s_or_b64 exec, exec, s[12:13]
	v_lshlrev_b32_e32 v74, 16, v80
	v_mul_f32_e32 v75, v44, v74
	v_and_b32_e32 v74, 0x7f800000, v75
	v_cmp_ne_u32_e64 s[0:1], s22, v74
                                        ; implicit-def: $vgpr74
	s_and_saveexec_b64 s[12:13], s[0:1]
	s_xor_b64 s[0:1], exec, s[12:13]
; %bb.584:                              ;   in Loop: Header=BB329_240 Depth=1
	v_bfe_u32 v74, v75, 16, 1
	v_add3_u32 v74, v75, v74, s28
                                        ; implicit-def: $vgpr75
; %bb.585:                              ;   in Loop: Header=BB329_240 Depth=1
	s_andn2_saveexec_b64 s[12:13], s[0:1]
; %bb.586:                              ;   in Loop: Header=BB329_240 Depth=1
	v_or_b32_e32 v74, 0x10000, v75
	v_cmp_eq_u32_sdwa s[0:1], v75, v17 src0_sel:WORD_0 src1_sel:DWORD
	s_nop 1
	v_cndmask_b32_e64 v74, v74, v75, s[0:1]
; %bb.587:                              ;   in Loop: Header=BB329_240 Depth=1
	s_or_b64 exec, exec, s[12:13]
	v_lshlrev_b32_e32 v75, 16, v79
	v_mul_f32_e32 v79, v45, v75
	v_and_b32_e32 v75, 0x7f800000, v79
	v_cmp_ne_u32_e64 s[0:1], s22, v75
                                        ; implicit-def: $vgpr75
	s_and_saveexec_b64 s[12:13], s[0:1]
	s_xor_b64 s[0:1], exec, s[12:13]
; %bb.588:                              ;   in Loop: Header=BB329_240 Depth=1
	v_bfe_u32 v75, v79, 16, 1
	v_add3_u32 v75, v79, v75, s28
                                        ; implicit-def: $vgpr79
; %bb.589:                              ;   in Loop: Header=BB329_240 Depth=1
	s_andn2_saveexec_b64 s[12:13], s[0:1]
; %bb.590:                              ;   in Loop: Header=BB329_240 Depth=1
	v_or_b32_e32 v75, 0x10000, v79
	v_cmp_eq_u32_sdwa s[0:1], v79, v17 src0_sel:WORD_0 src1_sel:DWORD
	s_nop 1
	v_cndmask_b32_e64 v75, v75, v79, s[0:1]
; %bb.591:                              ;   in Loop: Header=BB329_240 Depth=1
	s_or_b64 exec, exec, s[12:13]
	v_lshlrev_b32_e32 v76, 16, v76
	v_mul_f32_e32 v79, v46, v76
	v_and_b32_e32 v76, 0x7f800000, v79
	v_cmp_ne_u32_e64 s[0:1], s22, v76
                                        ; implicit-def: $vgpr76
	s_and_saveexec_b64 s[12:13], s[0:1]
	s_xor_b64 s[0:1], exec, s[12:13]
; %bb.592:                              ;   in Loop: Header=BB329_240 Depth=1
	v_bfe_u32 v76, v79, 16, 1
	v_add3_u32 v76, v79, v76, s28
                                        ; implicit-def: $vgpr79
; %bb.593:                              ;   in Loop: Header=BB329_240 Depth=1
	s_andn2_saveexec_b64 s[12:13], s[0:1]
; %bb.594:                              ;   in Loop: Header=BB329_240 Depth=1
	v_or_b32_e32 v76, 0x10000, v79
	v_cmp_eq_u32_sdwa s[0:1], v79, v17 src0_sel:WORD_0 src1_sel:DWORD
	s_nop 1
	v_cndmask_b32_e64 v76, v76, v79, s[0:1]
; %bb.595:                              ;   in Loop: Header=BB329_240 Depth=1
	s_or_b64 exec, exec, s[12:13]
	v_lshlrev_b32_e32 v77, 16, v77
	v_mul_f32_e32 v79, v47, v77
	v_and_b32_e32 v77, 0x7f800000, v79
	v_cmp_ne_u32_e64 s[0:1], s22, v77
                                        ; implicit-def: $vgpr77
	s_and_saveexec_b64 s[12:13], s[0:1]
	s_xor_b64 s[0:1], exec, s[12:13]
; %bb.596:                              ;   in Loop: Header=BB329_240 Depth=1
	v_bfe_u32 v77, v79, 16, 1
	v_add3_u32 v77, v79, v77, s28
                                        ; implicit-def: $vgpr79
; %bb.597:                              ;   in Loop: Header=BB329_240 Depth=1
	s_andn2_saveexec_b64 s[12:13], s[0:1]
; %bb.598:                              ;   in Loop: Header=BB329_240 Depth=1
	v_or_b32_e32 v77, 0x10000, v79
	v_cmp_eq_u32_sdwa s[0:1], v79, v17 src0_sel:WORD_0 src1_sel:DWORD
	s_nop 1
	v_cndmask_b32_e64 v77, v77, v79, s[0:1]
; %bb.599:                              ;   in Loop: Header=BB329_240 Depth=1
	s_or_b64 exec, exec, s[12:13]
	v_lshlrev_b32_e32 v78, 16, v78
	v_mul_f32_e32 v79, v48, v78
	v_and_b32_e32 v78, 0x7f800000, v79
	v_cmp_ne_u32_e64 s[0:1], s22, v78
                                        ; implicit-def: $vgpr78
	s_and_saveexec_b64 s[12:13], s[0:1]
	s_xor_b64 s[0:1], exec, s[12:13]
; %bb.600:                              ;   in Loop: Header=BB329_240 Depth=1
	v_bfe_u32 v78, v79, 16, 1
	v_add3_u32 v78, v79, v78, s28
                                        ; implicit-def: $vgpr79
; %bb.601:                              ;   in Loop: Header=BB329_240 Depth=1
	s_andn2_saveexec_b64 s[12:13], s[0:1]
; %bb.602:                              ;   in Loop: Header=BB329_240 Depth=1
	v_or_b32_e32 v78, 0x10000, v79
	v_cmp_eq_u32_sdwa s[0:1], v79, v17 src0_sel:WORD_0 src1_sel:DWORD
	s_nop 1
	v_cndmask_b32_e64 v78, v78, v79, s[0:1]
; %bb.603:                              ;   in Loop: Header=BB329_240 Depth=1
	s_or_b64 exec, exec, s[12:13]
	global_load_dwordx2 v[2:3], v[2:3], off offset:2560
	s_waitcnt vmcnt(0)
	v_and_b32_e32 v79, 0xff, v2
	v_cvt_f32_fp8_sdwa v79, v79 src0_sel:BYTE_0
	s_nop 0
	v_mul_f32_e32 v80, s29, v79
	v_and_b32_e32 v79, 0x7f800000, v80
	v_cmp_ne_u32_e64 s[0:1], s22, v79
                                        ; implicit-def: $vgpr79
	s_and_saveexec_b64 s[12:13], s[0:1]
	s_xor_b64 s[0:1], exec, s[12:13]
; %bb.604:                              ;   in Loop: Header=BB329_240 Depth=1
	v_bfe_u32 v79, v80, 16, 1
	v_add3_u32 v79, v80, v79, s28
                                        ; implicit-def: $vgpr80
; %bb.605:                              ;   in Loop: Header=BB329_240 Depth=1
	s_andn2_saveexec_b64 s[12:13], s[0:1]
; %bb.606:                              ;   in Loop: Header=BB329_240 Depth=1
	v_or_b32_e32 v79, 0x10000, v80
	v_cmp_eq_u32_sdwa s[0:1], v80, v17 src0_sel:WORD_0 src1_sel:DWORD
	s_nop 1
	v_cndmask_b32_e64 v79, v79, v80, s[0:1]
; %bb.607:                              ;   in Loop: Header=BB329_240 Depth=1
	s_or_b64 exec, exec, s[12:13]
	v_bfe_u32 v80, v2, 8, 8
	v_cvt_f32_fp8_sdwa v80, v80 src0_sel:BYTE_0
	s_nop 0
	v_mul_f32_e32 v81, s29, v80
	v_and_b32_e32 v80, 0x7f800000, v81
	v_cmp_ne_u32_e64 s[0:1], s22, v80
                                        ; implicit-def: $vgpr80
	s_and_saveexec_b64 s[12:13], s[0:1]
	s_xor_b64 s[0:1], exec, s[12:13]
; %bb.608:                              ;   in Loop: Header=BB329_240 Depth=1
	v_bfe_u32 v80, v81, 16, 1
	v_add3_u32 v80, v81, v80, s28
                                        ; implicit-def: $vgpr81
; %bb.609:                              ;   in Loop: Header=BB329_240 Depth=1
	s_andn2_saveexec_b64 s[12:13], s[0:1]
; %bb.610:                              ;   in Loop: Header=BB329_240 Depth=1
	v_or_b32_e32 v80, 0x10000, v81
	v_cmp_eq_u32_sdwa s[0:1], v81, v17 src0_sel:WORD_0 src1_sel:DWORD
	s_nop 1
	v_cndmask_b32_e64 v80, v80, v81, s[0:1]
; %bb.611:                              ;   in Loop: Header=BB329_240 Depth=1
	s_or_b64 exec, exec, s[12:13]
	v_bfe_u32 v81, v2, 16, 8
	v_cvt_f32_fp8_sdwa v81, v81 src0_sel:BYTE_0
	s_nop 0
	v_mul_f32_e32 v81, s29, v81
	v_and_b32_e32 v82, 0x7f800000, v81
	v_cmp_ne_u32_e64 s[0:1], s22, v82
                                        ; implicit-def: $vgpr82
	s_and_saveexec_b64 s[12:13], s[0:1]
	s_xor_b64 s[0:1], exec, s[12:13]
; %bb.612:                              ;   in Loop: Header=BB329_240 Depth=1
	v_bfe_u32 v82, v81, 16, 1
	v_add3_u32 v82, v81, v82, s28
                                        ; implicit-def: $vgpr81
; %bb.613:                              ;   in Loop: Header=BB329_240 Depth=1
	s_andn2_saveexec_b64 s[12:13], s[0:1]
; %bb.614:                              ;   in Loop: Header=BB329_240 Depth=1
	v_or_b32_e32 v82, 0x10000, v81
	v_cmp_eq_u32_sdwa s[0:1], v81, v17 src0_sel:WORD_0 src1_sel:DWORD
	s_nop 1
	v_cndmask_b32_e64 v82, v82, v81, s[0:1]
; %bb.615:                              ;   in Loop: Header=BB329_240 Depth=1
	s_or_b64 exec, exec, s[12:13]
	v_lshrrev_b32_e32 v2, 24, v2
	v_cvt_f32_fp8_sdwa v2, v2 src0_sel:BYTE_0
	s_nop 0
	v_mul_f32_e32 v81, s29, v2
	v_and_b32_e32 v2, 0x7f800000, v81
	v_cmp_ne_u32_e64 s[0:1], s22, v2
                                        ; implicit-def: $vgpr2
	s_and_saveexec_b64 s[12:13], s[0:1]
	s_xor_b64 s[0:1], exec, s[12:13]
; %bb.616:                              ;   in Loop: Header=BB329_240 Depth=1
	v_bfe_u32 v2, v81, 16, 1
	v_add3_u32 v2, v81, v2, s28
                                        ; implicit-def: $vgpr81
; %bb.617:                              ;   in Loop: Header=BB329_240 Depth=1
	s_andn2_saveexec_b64 s[12:13], s[0:1]
; %bb.618:                              ;   in Loop: Header=BB329_240 Depth=1
	v_or_b32_e32 v2, 0x10000, v81
	v_cmp_eq_u32_sdwa s[0:1], v81, v17 src0_sel:WORD_0 src1_sel:DWORD
	s_nop 1
	v_cndmask_b32_e64 v2, v2, v81, s[0:1]
; %bb.619:                              ;   in Loop: Header=BB329_240 Depth=1
	s_or_b64 exec, exec, s[12:13]
	v_and_b32_e32 v81, 0xff, v3
	v_cvt_f32_fp8_sdwa v81, v81 src0_sel:BYTE_0
	s_nop 0
	v_mul_f32_e32 v81, s29, v81
	v_and_b32_e32 v83, 0x7f800000, v81
	v_cmp_ne_u32_e64 s[0:1], s22, v83
                                        ; implicit-def: $vgpr83
	s_and_saveexec_b64 s[12:13], s[0:1]
	s_xor_b64 s[0:1], exec, s[12:13]
; %bb.620:                              ;   in Loop: Header=BB329_240 Depth=1
	v_bfe_u32 v83, v81, 16, 1
	v_add3_u32 v83, v81, v83, s28
                                        ; implicit-def: $vgpr81
; %bb.621:                              ;   in Loop: Header=BB329_240 Depth=1
	s_andn2_saveexec_b64 s[12:13], s[0:1]
; %bb.622:                              ;   in Loop: Header=BB329_240 Depth=1
	v_or_b32_e32 v83, 0x10000, v81
	v_cmp_eq_u32_sdwa s[0:1], v81, v17 src0_sel:WORD_0 src1_sel:DWORD
	s_nop 1
	v_cndmask_b32_e64 v83, v83, v81, s[0:1]
; %bb.623:                              ;   in Loop: Header=BB329_240 Depth=1
	s_or_b64 exec, exec, s[12:13]
	v_bfe_u32 v81, v3, 8, 8
	v_cvt_f32_fp8_sdwa v81, v81 src0_sel:BYTE_0
	s_nop 0
	v_mul_f32_e32 v84, s29, v81
	v_and_b32_e32 v81, 0x7f800000, v84
	v_cmp_ne_u32_e64 s[0:1], s22, v81
                                        ; implicit-def: $vgpr81
	s_and_saveexec_b64 s[12:13], s[0:1]
	s_xor_b64 s[0:1], exec, s[12:13]
; %bb.624:                              ;   in Loop: Header=BB329_240 Depth=1
	v_bfe_u32 v81, v84, 16, 1
	v_add3_u32 v81, v84, v81, s28
                                        ; implicit-def: $vgpr84
; %bb.625:                              ;   in Loop: Header=BB329_240 Depth=1
	s_andn2_saveexec_b64 s[12:13], s[0:1]
; %bb.626:                              ;   in Loop: Header=BB329_240 Depth=1
	v_or_b32_e32 v81, 0x10000, v84
	v_cmp_eq_u32_sdwa s[0:1], v84, v17 src0_sel:WORD_0 src1_sel:DWORD
	s_nop 1
	v_cndmask_b32_e64 v81, v81, v84, s[0:1]
; %bb.627:                              ;   in Loop: Header=BB329_240 Depth=1
	s_or_b64 exec, exec, s[12:13]
	v_bfe_u32 v84, v3, 16, 8
	v_cvt_f32_fp8_sdwa v84, v84 src0_sel:BYTE_0
	s_nop 0
	v_mul_f32_e32 v84, s29, v84
	v_and_b32_e32 v85, 0x7f800000, v84
	v_cmp_ne_u32_e64 s[0:1], s22, v85
                                        ; implicit-def: $vgpr85
	s_and_saveexec_b64 s[12:13], s[0:1]
	s_xor_b64 s[0:1], exec, s[12:13]
; %bb.628:                              ;   in Loop: Header=BB329_240 Depth=1
	v_bfe_u32 v85, v84, 16, 1
	v_add3_u32 v85, v84, v85, s28
                                        ; implicit-def: $vgpr84
; %bb.629:                              ;   in Loop: Header=BB329_240 Depth=1
	s_andn2_saveexec_b64 s[12:13], s[0:1]
; %bb.630:                              ;   in Loop: Header=BB329_240 Depth=1
	v_or_b32_e32 v85, 0x10000, v84
	v_cmp_eq_u32_sdwa s[0:1], v84, v17 src0_sel:WORD_0 src1_sel:DWORD
	s_nop 1
	v_cndmask_b32_e64 v85, v85, v84, s[0:1]
; %bb.631:                              ;   in Loop: Header=BB329_240 Depth=1
	s_or_b64 exec, exec, s[12:13]
	v_lshrrev_b32_e32 v3, 24, v3
	v_cvt_f32_fp8_sdwa v3, v3 src0_sel:BYTE_0
                                        ; implicit-def: $vgpr86
	s_nop 0
	v_mul_f32_e32 v3, s29, v3
	v_and_b32_e32 v84, 0x7f800000, v3
	v_cmp_ne_u32_e64 s[0:1], s22, v84
	s_and_saveexec_b64 s[12:13], s[0:1]
	s_xor_b64 s[0:1], exec, s[12:13]
; %bb.632:                              ;   in Loop: Header=BB329_240 Depth=1
	v_bfe_u32 v84, v3, 16, 1
	v_add3_u32 v86, v3, v84, s28
                                        ; implicit-def: $vgpr3
; %bb.633:                              ;   in Loop: Header=BB329_240 Depth=1
	s_andn2_saveexec_b64 s[12:13], s[0:1]
; %bb.634:                              ;   in Loop: Header=BB329_240 Depth=1
	v_or_b32_e32 v84, 0x10000, v3
	v_cmp_eq_u32_sdwa s[0:1], v3, v17 src0_sel:WORD_0 src1_sel:DWORD
	s_nop 1
	v_cndmask_b32_e64 v86, v84, v3, s[0:1]
; %bb.635:                              ;   in Loop: Header=BB329_240 Depth=1
	s_or_b64 exec, exec, s[12:13]
	v_lshrrev_b32_e32 v81, 16, v81
	v_lshrrev_b32_e32 v83, 16, v83
	;; [unrolled: 1-line block ×8, first 2 shown]
	s_and_saveexec_b64 s[0:1], vcc
	s_cbranch_execz .LBB329_637
; %bb.636:                              ;   in Loop: Header=BB329_240 Depth=1
	v_cmp_gt_i32_e32 vcc, s33, v32
	s_nop 1
	v_cndmask_b32_e32 v2, 0, v2, vcc
	v_cmp_gt_i32_e32 vcc, s33, v40
	s_nop 1
	v_cndmask_b32_e32 v3, 0, v3, vcc
	;; [unrolled: 3-line block ×8, first 2 shown]
.LBB329_637:                            ;   in Loop: Header=BB329_240 Depth=1
	s_or_b64 exec, exec, s[0:1]
	v_lshlrev_b32_e32 v2, 16, v2
	v_mul_f32_e32 v32, v41, v2
	v_and_b32_e32 v2, 0x7f800000, v32
	v_cmp_ne_u32_e32 vcc, s22, v2
                                        ; implicit-def: $vgpr2
	s_and_saveexec_b64 s[0:1], vcc
	s_xor_b64 s[0:1], exec, s[0:1]
; %bb.638:                              ;   in Loop: Header=BB329_240 Depth=1
	v_bfe_u32 v2, v32, 16, 1
	v_add3_u32 v2, v32, v2, s28
                                        ; implicit-def: $vgpr32
; %bb.639:                              ;   in Loop: Header=BB329_240 Depth=1
	s_andn2_saveexec_b64 s[0:1], s[0:1]
; %bb.640:                              ;   in Loop: Header=BB329_240 Depth=1
	v_or_b32_e32 v2, 0x10000, v32
	v_cmp_eq_u32_sdwa vcc, v32, v17 src0_sel:WORD_0 src1_sel:DWORD
	s_nop 1
	v_cndmask_b32_e32 v2, v2, v32, vcc
; %bb.641:                              ;   in Loop: Header=BB329_240 Depth=1
	s_or_b64 exec, exec, s[0:1]
	v_lshlrev_b32_e32 v3, 16, v3
	v_mul_f32_e32 v32, v42, v3
	v_and_b32_e32 v3, 0x7f800000, v32
	v_cmp_ne_u32_e32 vcc, s22, v3
                                        ; implicit-def: $vgpr3
	s_and_saveexec_b64 s[0:1], vcc
	s_xor_b64 s[0:1], exec, s[0:1]
; %bb.642:                              ;   in Loop: Header=BB329_240 Depth=1
	v_bfe_u32 v3, v32, 16, 1
	v_add3_u32 v3, v32, v3, s28
                                        ; implicit-def: $vgpr32
; %bb.643:                              ;   in Loop: Header=BB329_240 Depth=1
	s_andn2_saveexec_b64 s[0:1], s[0:1]
; %bb.644:                              ;   in Loop: Header=BB329_240 Depth=1
	v_or_b32_e32 v3, 0x10000, v32
	v_cmp_eq_u32_sdwa vcc, v32, v17 src0_sel:WORD_0 src1_sel:DWORD
	s_nop 1
	v_cndmask_b32_e32 v3, v3, v32, vcc
; %bb.645:                              ;   in Loop: Header=BB329_240 Depth=1
	s_or_b64 exec, exec, s[0:1]
	v_lshlrev_b32_e32 v32, 16, v82
	v_mul_f32_e32 v33, v43, v32
	v_and_b32_e32 v32, 0x7f800000, v33
	v_cmp_ne_u32_e32 vcc, s22, v32
                                        ; implicit-def: $vgpr32
	s_and_saveexec_b64 s[0:1], vcc
	s_xor_b64 s[0:1], exec, s[0:1]
; %bb.646:                              ;   in Loop: Header=BB329_240 Depth=1
	v_bfe_u32 v32, v33, 16, 1
	v_add3_u32 v32, v33, v32, s28
                                        ; implicit-def: $vgpr33
; %bb.647:                              ;   in Loop: Header=BB329_240 Depth=1
	s_andn2_saveexec_b64 s[0:1], s[0:1]
; %bb.648:                              ;   in Loop: Header=BB329_240 Depth=1
	v_or_b32_e32 v32, 0x10000, v33
	v_cmp_eq_u32_sdwa vcc, v33, v17 src0_sel:WORD_0 src1_sel:DWORD
	s_nop 1
	v_cndmask_b32_e32 v32, v32, v33, vcc
; %bb.649:                              ;   in Loop: Header=BB329_240 Depth=1
	s_or_b64 exec, exec, s[0:1]
	v_lshlrev_b32_e32 v33, 16, v84
	v_mul_f32_e32 v35, v44, v33
	v_and_b32_e32 v33, 0x7f800000, v35
	v_cmp_ne_u32_e32 vcc, s22, v33
                                        ; implicit-def: $vgpr33
	s_and_saveexec_b64 s[0:1], vcc
	s_xor_b64 s[0:1], exec, s[0:1]
; %bb.650:                              ;   in Loop: Header=BB329_240 Depth=1
	v_bfe_u32 v33, v35, 16, 1
	v_add3_u32 v33, v35, v33, s28
                                        ; implicit-def: $vgpr35
; %bb.651:                              ;   in Loop: Header=BB329_240 Depth=1
	s_andn2_saveexec_b64 s[0:1], s[0:1]
; %bb.652:                              ;   in Loop: Header=BB329_240 Depth=1
	v_or_b32_e32 v33, 0x10000, v35
	v_cmp_eq_u32_sdwa vcc, v35, v17 src0_sel:WORD_0 src1_sel:DWORD
	s_nop 1
	v_cndmask_b32_e32 v33, v33, v35, vcc
; %bb.653:                              ;   in Loop: Header=BB329_240 Depth=1
	s_or_b64 exec, exec, s[0:1]
	v_lshlrev_b32_e32 v35, 16, v83
	v_mul_f32_e32 v36, v45, v35
	v_and_b32_e32 v35, 0x7f800000, v36
	v_cmp_ne_u32_e32 vcc, s22, v35
                                        ; implicit-def: $vgpr35
	s_and_saveexec_b64 s[0:1], vcc
	s_xor_b64 s[0:1], exec, s[0:1]
; %bb.654:                              ;   in Loop: Header=BB329_240 Depth=1
	v_bfe_u32 v35, v36, 16, 1
	v_add3_u32 v35, v36, v35, s28
                                        ; implicit-def: $vgpr36
; %bb.655:                              ;   in Loop: Header=BB329_240 Depth=1
	s_andn2_saveexec_b64 s[0:1], s[0:1]
; %bb.656:                              ;   in Loop: Header=BB329_240 Depth=1
	v_or_b32_e32 v35, 0x10000, v36
	v_cmp_eq_u32_sdwa vcc, v36, v17 src0_sel:WORD_0 src1_sel:DWORD
	s_nop 1
	v_cndmask_b32_e32 v35, v35, v36, vcc
; %bb.657:                              ;   in Loop: Header=BB329_240 Depth=1
	s_or_b64 exec, exec, s[0:1]
	v_lshlrev_b32_e32 v36, 16, v81
	v_mul_f32_e32 v37, v46, v36
	v_and_b32_e32 v36, 0x7f800000, v37
	v_cmp_ne_u32_e32 vcc, s22, v36
                                        ; implicit-def: $vgpr36
	s_and_saveexec_b64 s[0:1], vcc
	s_xor_b64 s[0:1], exec, s[0:1]
; %bb.658:                              ;   in Loop: Header=BB329_240 Depth=1
	v_bfe_u32 v36, v37, 16, 1
	v_add3_u32 v36, v37, v36, s28
                                        ; implicit-def: $vgpr37
; %bb.659:                              ;   in Loop: Header=BB329_240 Depth=1
	s_andn2_saveexec_b64 s[0:1], s[0:1]
; %bb.660:                              ;   in Loop: Header=BB329_240 Depth=1
	v_or_b32_e32 v36, 0x10000, v37
	v_cmp_eq_u32_sdwa vcc, v37, v17 src0_sel:WORD_0 src1_sel:DWORD
	s_nop 1
	v_cndmask_b32_e32 v36, v36, v37, vcc
; %bb.661:                              ;   in Loop: Header=BB329_240 Depth=1
	s_or_b64 exec, exec, s[0:1]
	v_lshlrev_b32_e32 v37, 16, v80
	v_mul_f32_e32 v38, v47, v37
	v_and_b32_e32 v37, 0x7f800000, v38
	v_cmp_ne_u32_e32 vcc, s22, v37
                                        ; implicit-def: $vgpr37
	s_and_saveexec_b64 s[0:1], vcc
	s_xor_b64 s[0:1], exec, s[0:1]
; %bb.662:                              ;   in Loop: Header=BB329_240 Depth=1
	v_bfe_u32 v37, v38, 16, 1
	v_add3_u32 v37, v38, v37, s28
                                        ; implicit-def: $vgpr38
; %bb.663:                              ;   in Loop: Header=BB329_240 Depth=1
	s_andn2_saveexec_b64 s[0:1], s[0:1]
; %bb.664:                              ;   in Loop: Header=BB329_240 Depth=1
	v_or_b32_e32 v37, 0x10000, v38
	v_cmp_eq_u32_sdwa vcc, v38, v17 src0_sel:WORD_0 src1_sel:DWORD
	s_nop 1
	v_cndmask_b32_e32 v37, v37, v38, vcc
; %bb.665:                              ;   in Loop: Header=BB329_240 Depth=1
	s_or_b64 exec, exec, s[0:1]
	v_lshlrev_b32_e32 v38, 16, v79
	v_mul_f32_e32 v39, v48, v38
	v_and_b32_e32 v38, 0x7f800000, v39
	v_cmp_ne_u32_e32 vcc, s22, v38
                                        ; implicit-def: $vgpr38
	s_and_saveexec_b64 s[0:1], vcc
	s_xor_b64 s[0:1], exec, s[0:1]
; %bb.666:                              ;   in Loop: Header=BB329_240 Depth=1
	v_bfe_u32 v38, v39, 16, 1
	v_add3_u32 v38, v39, v38, s28
                                        ; implicit-def: $vgpr39
; %bb.667:                              ;   in Loop: Header=BB329_240 Depth=1
	s_andn2_saveexec_b64 s[0:1], s[0:1]
	s_cbranch_execz .LBB329_238
; %bb.668:                              ;   in Loop: Header=BB329_240 Depth=1
	v_or_b32_e32 v38, 0x10000, v39
	v_cmp_eq_u32_sdwa vcc, v39, v17 src0_sel:WORD_0 src1_sel:DWORD
	s_nop 1
	v_cndmask_b32_e32 v38, v38, v39, vcc
	s_branch .LBB329_238
.LBB329_669:
	s_or_b64 exec, exec, s[6:7]
.LBB329_670:
	s_or_b64 exec, exec, s[2:3]
	ds_bpermute_b32 v2, v23, v14
	ds_bpermute_b32 v3, v23, v15
	;; [unrolled: 1-line block ×6, first 2 shown]
	s_waitcnt lgkmcnt(4)
	v_pk_add_f32 v[2:3], v[14:15], v[2:3]
	ds_bpermute_b32 v8, v24, v2
	s_waitcnt lgkmcnt(3)
	v_pk_add_f32 v[4:5], v[12:13], v[4:5]
	ds_bpermute_b32 v9, v24, v3
	;; [unrolled: 3-line block ×3, first 2 shown]
	ds_bpermute_b32 v13, v24, v5
	ds_bpermute_b32 v14, v24, v10
	ds_bpermute_b32 v15, v24, v11
	v_and_b32_e32 v1, 0x3c3, v0
	s_waitcnt lgkmcnt(4)
	v_pk_add_f32 v[6:7], v[2:3], v[8:9]
	s_waitcnt lgkmcnt(2)
	v_pk_add_f32 v[2:3], v[4:5], v[12:13]
	v_cmp_eq_u32_e32 vcc, 64, v1
	s_waitcnt lgkmcnt(0)
	v_pk_add_f32 v[4:5], v[10:11], v[14:15]
	s_barrier
	s_and_saveexec_b64 s[0:1], vcc
	s_cbranch_execz .LBB329_672
; %bb.671:
	v_add_u32_e32 v1, 0xd0, v22
	ds_write2_b32 v1, v6, v7 offset1:16
	ds_write2_b32 v1, v2, v3 offset0:32 offset1:48
	ds_write2_b32 v1, v4, v5 offset0:64 offset1:80
.LBB329_672:
	s_or_b64 exec, exec, s[0:1]
	v_cmp_gt_u32_e32 vcc, 64, v0
	s_waitcnt lgkmcnt(0)
	s_barrier
	s_and_saveexec_b64 s[2:3], vcc
	s_cbranch_execz .LBB329_681
; %bb.673:
	v_cmp_eq_u32_e64 s[0:1], 0, v25
	v_lshrrev_b32_e32 v1, 2, v0
	s_and_saveexec_b64 s[6:7], s[0:1]
	s_cbranch_execnz .LBB329_709
; %bb.674:
	s_or_b64 exec, exec, s[6:7]
	s_and_saveexec_b64 s[6:7], s[0:1]
	s_cbranch_execnz .LBB329_710
.LBB329_675:
	s_or_b64 exec, exec, s[6:7]
	s_and_saveexec_b64 s[6:7], s[0:1]
	s_cbranch_execnz .LBB329_711
.LBB329_676:
	s_or_b64 exec, exec, s[6:7]
	s_and_saveexec_b64 s[6:7], s[0:1]
	s_cbranch_execnz .LBB329_712
.LBB329_677:
	s_or_b64 exec, exec, s[6:7]
	s_and_saveexec_b64 s[6:7], s[0:1]
	s_cbranch_execnz .LBB329_713
.LBB329_678:
	s_or_b64 exec, exec, s[6:7]
	s_and_saveexec_b64 s[6:7], s[0:1]
	s_cbranch_execz .LBB329_680
.LBB329_679:
	v_mov_b32_e32 v8, 0xd0
	v_lshl_add_u32 v1, v1, 2, v8
	ds_read_b32 v1, v1 offset:320
	s_waitcnt lgkmcnt(0)
	v_add_f32_e32 v5, v5, v1
.LBB329_680:
	s_or_b64 exec, exec, s[6:7]
.LBB329_681:
	s_or_b64 exec, exec, s[2:3]
	s_barrier
	s_and_saveexec_b64 s[0:1], vcc
	s_cbranch_execz .LBB329_708
; %bb.682:
	v_cmp_eq_u32_e32 vcc, 0, v25
	s_and_b64 exec, exec, vcc
	s_cbranch_execz .LBB329_708
; %bb.683:
	s_mov_b32 s0, 0x7f800000
	v_and_b32_e32 v1, 0x7f800000, v6
	v_cmp_ne_u32_e32 vcc, s0, v1
                                        ; implicit-def: $vgpr8
	s_and_saveexec_b64 s[0:1], vcc
	s_xor_b64 s[0:1], exec, s[0:1]
; %bb.684:
	v_bfe_u32 v1, v6, 16, 1
	s_movk_i32 s2, 0x7fff
	v_add3_u32 v8, v6, v1, s2
; %bb.685:
	s_andn2_saveexec_b64 s[0:1], s[0:1]
; %bb.686:
	v_mov_b32_e32 v1, 0
	v_or_b32_e32 v8, 0x10000, v6
	v_cmp_eq_u32_sdwa vcc, v6, v1 src0_sel:WORD_0 src1_sel:DWORD
	s_nop 1
	v_cndmask_b32_e32 v8, v8, v6, vcc
; %bb.687:
	s_or_b64 exec, exec, s[0:1]
	s_mul_i32 s0, s10, s11
	s_mul_i32 s0, s0, s5
	s_mulk_i32 s0, 0x60
	s_ashr_i32 s1, s0, 31
	s_lshl_b64 s[0:1], s[0:1], 1
	s_add_u32 s2, s26, s0
	s_mul_i32 s0, s11, s24
	s_addc_u32 s3, s27, s1
	s_ashr_i32 s1, s0, 31
	s_lshl_b64 s[0:1], s[0:1], 1
	s_add_u32 s2, s2, s0
	s_mul_i32 s0, s4, 0x60
	s_addc_u32 s3, s3, s1
	s_ashr_i32 s1, s0, 31
	s_lshl_b64 s[0:1], s[0:1], 1
	s_add_u32 s0, s2, s0
	v_lshrrev_b32_e32 v0, 1, v0
	s_mov_b32 s2, 0x7f800000
	v_and_b32_e32 v6, 0x7f800000, v7
	s_addc_u32 s1, s3, s1
	v_and_b32_e32 v0, 0x1fe, v0
	v_mov_b32_e32 v1, 0
	v_cmp_ne_u32_e32 vcc, s2, v6
	global_store_short_d16_hi v0, v8, s[0:1]
                                        ; implicit-def: $vgpr6
	s_and_saveexec_b64 s[2:3], vcc
	s_xor_b64 s[2:3], exec, s[2:3]
; %bb.688:
	v_bfe_u32 v6, v7, 16, 1
	s_movk_i32 s4, 0x7fff
	v_add3_u32 v6, v7, v6, s4
; %bb.689:
	s_or_saveexec_b64 s[2:3], s[2:3]
	v_lshl_add_u64 v[8:9], s[0:1], 0, v[0:1]
	s_xor_b64 exec, exec, s[2:3]
; %bb.690:
	v_mov_b32_e32 v0, 0
	v_or_b32_e32 v1, 0x10000, v7
	v_cmp_eq_u32_sdwa vcc, v7, v0 src0_sel:WORD_0 src1_sel:DWORD
	s_nop 1
	v_cndmask_b32_e32 v6, v1, v7, vcc
; %bb.691:
	s_or_b64 exec, exec, s[2:3]
	s_mov_b32 s0, 0x7f800000
	v_and_b32_e32 v0, 0x7f800000, v2
	v_cmp_ne_u32_e32 vcc, s0, v0
	global_store_short_d16_hi v[8:9], v6, off offset:32
                                        ; implicit-def: $vgpr0
	s_and_saveexec_b64 s[0:1], vcc
	s_xor_b64 s[0:1], exec, s[0:1]
; %bb.692:
	v_bfe_u32 v0, v2, 16, 1
	s_movk_i32 s2, 0x7fff
	v_add3_u32 v0, v2, v0, s2
; %bb.693:
	s_andn2_saveexec_b64 s[0:1], s[0:1]
; %bb.694:
	v_mov_b32_e32 v0, 0
	v_or_b32_e32 v1, 0x10000, v2
	v_cmp_eq_u32_sdwa vcc, v2, v0 src0_sel:WORD_0 src1_sel:DWORD
	s_nop 1
	v_cndmask_b32_e32 v0, v1, v2, vcc
; %bb.695:
	s_or_b64 exec, exec, s[0:1]
	global_store_short_d16_hi v[8:9], v0, off offset:64
	s_mov_b32 s0, 0x7f800000
	v_and_b32_e32 v0, 0x7f800000, v3
	v_cmp_ne_u32_e32 vcc, s0, v0
                                        ; implicit-def: $vgpr0
	s_and_saveexec_b64 s[0:1], vcc
	s_xor_b64 s[0:1], exec, s[0:1]
; %bb.696:
	v_bfe_u32 v0, v3, 16, 1
	s_movk_i32 s2, 0x7fff
	v_add3_u32 v0, v3, v0, s2
; %bb.697:
	s_andn2_saveexec_b64 s[0:1], s[0:1]
; %bb.698:
	v_mov_b32_e32 v0, 0
	v_or_b32_e32 v1, 0x10000, v3
	v_cmp_eq_u32_sdwa vcc, v3, v0 src0_sel:WORD_0 src1_sel:DWORD
	s_nop 1
	v_cndmask_b32_e32 v0, v1, v3, vcc
; %bb.699:
	s_or_b64 exec, exec, s[0:1]
	global_store_short_d16_hi v[8:9], v0, off offset:96
	s_mov_b32 s0, 0x7f800000
	v_and_b32_e32 v0, 0x7f800000, v4
	v_cmp_ne_u32_e32 vcc, s0, v0
	;; [unrolled: 21-line block ×3, first 2 shown]
                                        ; implicit-def: $vgpr6
	s_and_saveexec_b64 s[0:1], vcc
	s_xor_b64 s[0:1], exec, s[0:1]
; %bb.704:
	v_bfe_u32 v0, v5, 16, 1
	s_movk_i32 s2, 0x7fff
	v_add3_u32 v6, v5, v0, s2
                                        ; implicit-def: $vgpr0_vgpr1_vgpr2_vgpr3_vgpr4_vgpr5
; %bb.705:
	s_andn2_saveexec_b64 s[0:1], s[0:1]
; %bb.706:
	v_mov_b32_e32 v0, 0
	v_or_b32_e32 v1, 0x10000, v5
	v_cmp_eq_u32_sdwa vcc, v5, v0 src0_sel:WORD_0 src1_sel:DWORD
	s_nop 1
	v_cndmask_b32_e32 v6, v1, v5, vcc
; %bb.707:
	s_or_b64 exec, exec, s[0:1]
	global_store_short_d16_hi v[8:9], v6, off offset:160
.LBB329_708:
	s_endpgm
.LBB329_709:
	v_mov_b32_e32 v8, 0xd0
	v_lshl_add_u32 v8, v1, 2, v8
	ds_read_b32 v8, v8
	s_waitcnt lgkmcnt(0)
	v_add_f32_e32 v6, v6, v8
	s_or_b64 exec, exec, s[6:7]
	s_and_saveexec_b64 s[6:7], s[0:1]
	s_cbranch_execz .LBB329_675
.LBB329_710:
	v_mov_b32_e32 v8, 0xd0
	v_lshl_add_u32 v8, v1, 2, v8
	ds_read_b32 v8, v8 offset:64
	s_waitcnt lgkmcnt(0)
	v_add_f32_e32 v7, v7, v8
	s_or_b64 exec, exec, s[6:7]
	s_and_saveexec_b64 s[6:7], s[0:1]
	s_cbranch_execz .LBB329_676
.LBB329_711:
	v_mov_b32_e32 v8, 0xd0
	v_lshl_add_u32 v8, v1, 2, v8
	ds_read_b32 v8, v8 offset:128
	s_waitcnt lgkmcnt(0)
	v_add_f32_e32 v2, v2, v8
	s_or_b64 exec, exec, s[6:7]
	s_and_saveexec_b64 s[6:7], s[0:1]
	s_cbranch_execz .LBB329_677
.LBB329_712:
	v_mov_b32_e32 v8, 0xd0
	v_lshl_add_u32 v8, v1, 2, v8
	ds_read_b32 v8, v8 offset:192
	s_waitcnt lgkmcnt(0)
	v_add_f32_e32 v3, v3, v8
	s_or_b64 exec, exec, s[6:7]
	s_and_saveexec_b64 s[6:7], s[0:1]
	s_cbranch_execz .LBB329_678
.LBB329_713:
	v_mov_b32_e32 v8, 0xd0
	v_lshl_add_u32 v8, v1, 2, v8
	ds_read_b32 v8, v8 offset:256
	s_waitcnt lgkmcnt(0)
	v_add_f32_e32 v4, v4, v8
	s_or_b64 exec, exec, s[6:7]
	s_and_saveexec_b64 s[6:7], s[0:1]
	s_cbranch_execnz .LBB329_679
	s_branch .LBB329_680
	.section	.rodata,"a",@progbits
	.p2align	6, 0x0
	.amdhsa_kernel _ZN4vllm25paged_attention_v1_kernelI14__hip_bfloat16hLi96ELi32ELi128ELNS_18Fp8KVCacheDataTypeE1ELb1EEEvPT_PKS3_PKT0_S9_ifPKiSB_iPKfiiiSD_SD_iiiii
		.amdhsa_group_segment_fixed_size 208
		.amdhsa_private_segment_fixed_size 0
		.amdhsa_kernarg_size 384
		.amdhsa_user_sgpr_count 2
		.amdhsa_user_sgpr_dispatch_ptr 0
		.amdhsa_user_sgpr_queue_ptr 0
		.amdhsa_user_sgpr_kernarg_segment_ptr 1
		.amdhsa_user_sgpr_dispatch_id 0
		.amdhsa_user_sgpr_kernarg_preload_length 0
		.amdhsa_user_sgpr_kernarg_preload_offset 0
		.amdhsa_user_sgpr_private_segment_size 0
		.amdhsa_uses_dynamic_stack 0
		.amdhsa_enable_private_segment 0
		.amdhsa_system_sgpr_workgroup_id_x 1
		.amdhsa_system_sgpr_workgroup_id_y 1
		.amdhsa_system_sgpr_workgroup_id_z 1
		.amdhsa_system_sgpr_workgroup_info 0
		.amdhsa_system_vgpr_workitem_id 0
		.amdhsa_next_free_vgpr 118
		.amdhsa_next_free_sgpr 51
		.amdhsa_accum_offset 120
		.amdhsa_reserve_vcc 1
		.amdhsa_float_round_mode_32 0
		.amdhsa_float_round_mode_16_64 0
		.amdhsa_float_denorm_mode_32 3
		.amdhsa_float_denorm_mode_16_64 3
		.amdhsa_dx10_clamp 1
		.amdhsa_ieee_mode 1
		.amdhsa_fp16_overflow 0
		.amdhsa_tg_split 0
		.amdhsa_exception_fp_ieee_invalid_op 0
		.amdhsa_exception_fp_denorm_src 0
		.amdhsa_exception_fp_ieee_div_zero 0
		.amdhsa_exception_fp_ieee_overflow 0
		.amdhsa_exception_fp_ieee_underflow 0
		.amdhsa_exception_fp_ieee_inexact 0
		.amdhsa_exception_int_div_zero 0
	.end_amdhsa_kernel
	.section	.text._ZN4vllm25paged_attention_v1_kernelI14__hip_bfloat16hLi96ELi32ELi128ELNS_18Fp8KVCacheDataTypeE1ELb1EEEvPT_PKS3_PKT0_S9_ifPKiSB_iPKfiiiSD_SD_iiiii,"axG",@progbits,_ZN4vllm25paged_attention_v1_kernelI14__hip_bfloat16hLi96ELi32ELi128ELNS_18Fp8KVCacheDataTypeE1ELb1EEEvPT_PKS3_PKT0_S9_ifPKiSB_iPKfiiiSD_SD_iiiii,comdat
.Lfunc_end329:
	.size	_ZN4vllm25paged_attention_v1_kernelI14__hip_bfloat16hLi96ELi32ELi128ELNS_18Fp8KVCacheDataTypeE1ELb1EEEvPT_PKS3_PKT0_S9_ifPKiSB_iPKfiiiSD_SD_iiiii, .Lfunc_end329-_ZN4vllm25paged_attention_v1_kernelI14__hip_bfloat16hLi96ELi32ELi128ELNS_18Fp8KVCacheDataTypeE1ELb1EEEvPT_PKS3_PKT0_S9_ifPKiSB_iPKfiiiSD_SD_iiiii
                                        ; -- End function
	.section	.AMDGPU.csdata,"",@progbits
; Kernel info:
; codeLenInByte = 21552
; NumSgprs: 57
; NumVgprs: 118
; NumAgprs: 0
; TotalNumVgprs: 118
; ScratchSize: 0
; MemoryBound: 0
; FloatMode: 240
; IeeeMode: 1
; LDSByteSize: 208 bytes/workgroup (compile time only)
; SGPRBlocks: 7
; VGPRBlocks: 14
; NumSGPRsForWavesPerEU: 57
; NumVGPRsForWavesPerEU: 118
; AccumOffset: 120
; Occupancy: 4
; WaveLimiterHint : 1
; COMPUTE_PGM_RSRC2:SCRATCH_EN: 0
; COMPUTE_PGM_RSRC2:USER_SGPR: 2
; COMPUTE_PGM_RSRC2:TRAP_HANDLER: 0
; COMPUTE_PGM_RSRC2:TGID_X_EN: 1
; COMPUTE_PGM_RSRC2:TGID_Y_EN: 1
; COMPUTE_PGM_RSRC2:TGID_Z_EN: 1
; COMPUTE_PGM_RSRC2:TIDIG_COMP_CNT: 0
; COMPUTE_PGM_RSRC3_GFX90A:ACCUM_OFFSET: 29
; COMPUTE_PGM_RSRC3_GFX90A:TG_SPLIT: 0
	.text
	.p2align	2                               ; -- Begin function _ZN4vllm22paged_attention_kernelI14__hip_bfloat16hLi112ELi32ELi128ELNS_18Fp8KVCacheDataTypeE1ELb1ELi0EEEvPfS3_PT_PKS4_PKT0_SA_ifPKiSC_iPKfiiiSE_SE_iiiii
	.type	_ZN4vllm22paged_attention_kernelI14__hip_bfloat16hLi112ELi32ELi128ELNS_18Fp8KVCacheDataTypeE1ELb1ELi0EEEvPfS3_PT_PKS4_PKT0_SA_ifPKiSC_iPKfiiiSE_SE_iiiii,@function
_ZN4vllm22paged_attention_kernelI14__hip_bfloat16hLi112ELi32ELi128ELNS_18Fp8KVCacheDataTypeE1ELb1ELi0EEEvPfS3_PT_PKS4_PKT0_SA_ifPKiSC_iPKfiiiSE_SE_iiiii: ; @_ZN4vllm22paged_attention_kernelI14__hip_bfloat16hLi112ELi32ELi128ELNS_18Fp8KVCacheDataTypeE1ELb1ELi0EEEvPfS3_PT_PKS4_PKT0_SA_ifPKiSC_iPKfiiiSE_SE_iiiii
; %bb.0:
	s_waitcnt vmcnt(0) expcnt(0) lgkmcnt(0)
	scratch_store_dword off, v40, s32 offset:188 ; 4-byte Folded Spill
	scratch_store_dword off, v41, s32 offset:184 ; 4-byte Folded Spill
	scratch_store_dword off, v42, s32 offset:180 ; 4-byte Folded Spill
	scratch_store_dword off, v43, s32 offset:176 ; 4-byte Folded Spill
	scratch_store_dword off, v44, s32 offset:172 ; 4-byte Folded Spill
	scratch_store_dword off, v45, s32 offset:168 ; 4-byte Folded Spill
	scratch_store_dword off, v46, s32 offset:164 ; 4-byte Folded Spill
	scratch_store_dword off, v47, s32 offset:160 ; 4-byte Folded Spill
	scratch_store_dword off, v56, s32 offset:156 ; 4-byte Folded Spill
	scratch_store_dword off, v57, s32 offset:152 ; 4-byte Folded Spill
	scratch_store_dword off, v58, s32 offset:148 ; 4-byte Folded Spill
	scratch_store_dword off, v59, s32 offset:144 ; 4-byte Folded Spill
	scratch_store_dword off, v60, s32 offset:140 ; 4-byte Folded Spill
	scratch_store_dword off, v61, s32 offset:136 ; 4-byte Folded Spill
	scratch_store_dword off, v62, s32 offset:132 ; 4-byte Folded Spill
	scratch_store_dword off, v63, s32 offset:128 ; 4-byte Folded Spill
	scratch_store_dword off, a32, s32 offset:124 ; 4-byte Folded Spill
	scratch_store_dword off, a33, s32 offset:120 ; 4-byte Folded Spill
	scratch_store_dword off, a34, s32 offset:116 ; 4-byte Folded Spill
	scratch_store_dword off, a35, s32 offset:112 ; 4-byte Folded Spill
	scratch_store_dword off, a36, s32 offset:108 ; 4-byte Folded Spill
	scratch_store_dword off, a37, s32 offset:104 ; 4-byte Folded Spill
	scratch_store_dword off, a38, s32 offset:100 ; 4-byte Folded Spill
	scratch_store_dword off, a39, s32 offset:96 ; 4-byte Folded Spill
	scratch_store_dword off, a40, s32 offset:92 ; 4-byte Folded Spill
	scratch_store_dword off, a41, s32 offset:88 ; 4-byte Folded Spill
	scratch_store_dword off, a42, s32 offset:84 ; 4-byte Folded Spill
	scratch_store_dword off, a43, s32 offset:80 ; 4-byte Folded Spill
	scratch_store_dword off, a44, s32 offset:76 ; 4-byte Folded Spill
	scratch_store_dword off, a45, s32 offset:72 ; 4-byte Folded Spill
	scratch_store_dword off, a46, s32 offset:68 ; 4-byte Folded Spill
	scratch_store_dword off, a47, s32 offset:64 ; 4-byte Folded Spill
	scratch_store_dword off, a48, s32 offset:60 ; 4-byte Folded Spill
	scratch_store_dword off, a49, s32 offset:56 ; 4-byte Folded Spill
	scratch_store_dword off, a50, s32 offset:52 ; 4-byte Folded Spill
	scratch_store_dword off, a51, s32 offset:48 ; 4-byte Folded Spill
	scratch_store_dword off, a52, s32 offset:44 ; 4-byte Folded Spill
	scratch_store_dword off, a53, s32 offset:40 ; 4-byte Folded Spill
	scratch_store_dword off, a54, s32 offset:36 ; 4-byte Folded Spill
	scratch_store_dword off, a55, s32 offset:32 ; 4-byte Folded Spill
	scratch_store_dword off, a56, s32 offset:28 ; 4-byte Folded Spill
	scratch_store_dword off, a57, s32 offset:24 ; 4-byte Folded Spill
	scratch_store_dword off, a58, s32 offset:20 ; 4-byte Folded Spill
	scratch_store_dword off, a59, s32 offset:16 ; 4-byte Folded Spill
	scratch_store_dword off, a60, s32 offset:12 ; 4-byte Folded Spill
	scratch_store_dword off, a61, s32 offset:8 ; 4-byte Folded Spill
	scratch_store_dword off, a62, s32 offset:4 ; 4-byte Folded Spill
	scratch_store_dword off, a63, s32       ; 4-byte Folded Spill
	s_mov_b32 s10, s13
	s_ashr_i32 s11, s13, 31
	scratch_store_dwordx2 off, v[22:23], s32 offset:224 ; 8-byte Folded Spill
	scratch_store_dwordx2 off, v[20:21], s32 offset:232 ; 8-byte Folded Spill
	;; [unrolled: 1-line block ×4, first 2 shown]
	v_lshl_add_u64 v[0:1], s[10:11], 2, v[12:13]
	flat_load_dword a3, v[0:1]
	v_sub_u32_e32 v0, 0, v8
	v_max_i32_e32 v0, v8, v0
	v_cvt_f32_u32_e32 v1, v0
	scratch_store_dword off, v9, s32 offset:248 ; 4-byte Folded Spill
	s_load_dword s0, s[8:9], 0x10
	s_load_dword s2, s[8:9], 0x0
	v_mov_b32_e32 v37, v7
	v_rcp_iflag_f32_e32 v1, v1
	v_sub_u32_e32 v7, 0, v0
	s_waitcnt lgkmcnt(0)
	s_lshr_b32 s0, s0, 16
	s_cmp_lg_u32 s0, 0
	v_mul_f32_e32 v1, 0x4f7ffffe, v1
	v_cvt_u32_f32_e32 v1, v1
	s_cselect_b64 s[0:1], -1, 0
	s_cmp_lg_u64 s[0:1], 0
	s_addc_u32 s11, s2, 0
	v_mul_lo_u32 v7, v7, v1
	v_mul_hi_u32 v7, v1, v7
	s_abs_i32 s0, s11
	v_add_u32_e32 v1, v1, v7
	v_mul_hi_u32 v1, s0, v1
	v_mul_lo_u32 v7, v1, v0
	v_sub_u32_e32 v7, s0, v7
	v_mov_b32_e32 v22, v10
	v_add_u32_e32 v10, 1, v1
	v_cmp_ge_u32_e32 vcc, v7, v0
	v_mov_b32_e32 v36, v6
	v_xor_b32_e32 v6, s11, v8
	v_cndmask_b32_e32 v1, v1, v10, vcc
	v_sub_u32_e32 v10, v7, v0
	v_cndmask_b32_e32 v7, v7, v10, vcc
	v_add_u32_e32 v10, 1, v1
	v_cmp_ge_u32_e32 vcc, v7, v0
	v_ashrrev_i32_e32 v6, 31, v6
	v_mov_b32_e32 v33, v16
	v_cndmask_b32_e32 v0, v1, v10, vcc
	v_xor_b32_e32 v0, v0, v6
	v_sub_u32_e32 v0, v0, v6
	v_sub_u32_e32 v1, 0, v0
	v_max_i32_e32 v1, v0, v1
	v_cvt_f32_u32_e32 v6, v1
	v_sub_u32_e32 v7, 0, v1
	v_mov_b32_e32 v32, v15
	s_abs_i32 s2, s12
	v_rcp_iflag_f32_e32 v6, v6
	v_mov_b32_e32 v23, v11
	s_mov_b32 s16, s15
	v_cmp_ne_u64_e32 vcc, 0, v[32:33]
	v_mul_f32_e32 v6, 0x4f7ffffe, v6
	v_cvt_u32_f32_e32 v6, v6
	v_mul_lo_u32 v7, v7, v6
	v_mul_hi_u32 v7, v6, v7
	v_add_u32_e32 v6, v6, v7
	v_mad_u64_u32 v[12:13], s[0:1], s2, v6, 0
	v_mov_b32_e32 v6, 0
	scratch_store_dword off, v6, s32 offset:244 ; 4-byte Folded Spill
	s_and_saveexec_b64 s[0:1], vcc
	s_cbranch_execz .LBB330_2
; %bb.1:
	s_ashr_i32 s13, s12, 31
	v_lshl_add_u64 v[6:7], s[12:13], 2, v[32:33]
	flat_load_dword v6, v[6:7]
	s_waitcnt vmcnt(0) lgkmcnt(0)
	scratch_store_dword off, v6, s32 offset:244 ; 4-byte Folded Spill
.LBB330_2:
	s_or_b64 exec, exec, s[0:1]
	v_and_b32_e32 v7, 0x3ff, v31
	s_ashr_i32 s3, s12, 31
	v_ashrrev_i32_e32 v6, 31, v0
	v_and_b32_e32 v0, 1, v7
	s_movk_i32 s4, 0x70
	s_mul_i32 s18, s12, 0x70
	v_cmp_gt_u32_e32 vcc, 28, v7
	v_lshlrev_b32_e32 v30, 3, v7
	scratch_store_dword off, v7, s32 offset:220 ; 4-byte Folded Spill
	s_and_saveexec_b64 s[0:1], vcc
	s_cbranch_execz .LBB330_4
; %bb.3:
	v_mul_lo_u32 v10, s10, v17
	v_ashrrev_i32_e32 v11, 31, v10
	v_lshl_add_u64 v[2:3], v[10:11], 1, v[2:3]
	s_ashr_i32 s19, s18, 31
	v_lshl_add_u64 v[2:3], s[18:19], 1, v[2:3]
	v_mov_b32_e32 v31, 0
	v_lshl_add_u64 v[2:3], v[2:3], 0, v[30:31]
	flat_load_dwordx2 v[2:3], v[2:3]
	s_nop 0
	scratch_load_dword v7, off, s32 offset:220 ; 4-byte Folded Reload
	s_waitcnt vmcnt(0)
	v_lshlrev_b32_e32 v7, 2, v7
	v_and_b32_e32 v7, 0xff8, v7
	v_mad_u32_u24 v7, v0, s4, v7
	s_waitcnt lgkmcnt(0)
	ds_write_b64 v7, v[2:3]
.LBB330_4:
	s_or_b64 exec, exec, s[0:1]
	v_mul_lo_u32 v3, v13, v1
	v_sub_u32_e32 v3, s2, v3
	v_xor_b32_e32 v2, s3, v6
	v_add_u32_e32 v6, 1, v13
	v_cmp_ge_u32_e32 vcc, v3, v1
	v_sub_u32_e32 v7, v3, v1
	s_waitcnt lgkmcnt(0)
	v_cndmask_b32_e32 v6, v13, v6, vcc
	v_cndmask_b32_e32 v3, v3, v7, vcc
	v_add_u32_e32 v7, 1, v6
	v_cmp_ge_u32_e32 vcc, v3, v1
	v_sub_u32_e32 v3, 0, v27
	s_barrier
	v_cndmask_b32_e32 v1, v6, v7, vcc
	v_max_i32_e32 v7, v27, v3
	v_cvt_f32_u32_e32 v3, v7
	v_xor_b32_e32 v1, v1, v2
	v_sub_u32_e32 v2, v1, v2
	v_rcp_iflag_f32_e32 v1, v3
	s_waitcnt vmcnt(0)
	v_accvgpr_read_b32 v3, a3
	scratch_store_dword off, v7, s32 offset:196 ; 4-byte Folded Spill
	v_sub_u32_e32 v7, 0, v7
	v_mul_f32_e32 v1, 0x4f7ffffe, v1
	v_cvt_u32_f32_e32 v6, v1
	v_add_u32_e32 v3, -1, v3
	v_sub_u32_e32 v1, 0, v3
	v_max_i32_e32 v1, v3, v1
	v_mul_lo_u32 v7, v7, v6
	v_mul_hi_u32 v7, v6, v7
	v_add_u32_e32 v6, v6, v7
	v_mad_u64_u32 v[12:13], s[0:1], v1, v6, 0
	v_cmp_gt_i32_e32 vcc, 0, v28
	scratch_store_dword off, v6, s32 offset:204 ; 4-byte Folded Spill
                                        ; implicit-def: $agpr10
	s_and_saveexec_b64 s[0:1], vcc
	s_xor_b64 s[0:1], exec, s[0:1]
; %bb.5:
	v_mad_u64_u32 v[6:7], s[2:3], v24, v8, v[2:3]
	v_mul_lo_u32 v6, v6, v28
	v_sub_u32_e32 v6, 1, v6
	v_accvgpr_write_b32 a10, v6
                                        ; implicit-def: $vgpr24
                                        ; implicit-def: $vgpr28
; %bb.6:
	s_or_saveexec_b64 s[0:1], s[0:1]
	v_ashrrev_i32_e32 v3, 31, v3
	v_ashrrev_i32_e32 v6, 31, v27
	scratch_store_dword off, v6, s32 offset:200 ; 4-byte Folded Spill
	s_xor_b64 exec, exec, s[0:1]
; %bb.7:
	v_mul_lo_u32 v6, s11, v24
	v_add_u32_e32 v6, s12, v6
	v_mad_u64_u32 v[6:7], s[2:3], v6, v28, 1
	v_accvgpr_write_b32 a10, v6
; %bb.8:
	s_or_b64 exec, exec, s[0:1]
	s_load_dword s19, s[8:9], 0x14
	s_load_dword s15, s[8:9], 0x8
	scratch_load_dword v6, off, s32 offset:200 ; 4-byte Folded Reload
	scratch_load_dword v8, off, s32 offset:196 ; 4-byte Folded Reload
	v_mul_lo_u32 v28, s10, v14
	v_mul_lo_u32 v24, v2, v19
	v_ashrrev_i32_e32 v29, 31, v28
	v_mov_b32_e32 v9, 0xff7fffff
	v_sub_u32_e32 v27, 0, v26
	s_waitcnt vmcnt(1)
	v_xor_b32_e32 v3, v3, v6
	s_waitcnt vmcnt(0)
	v_mul_lo_u32 v6, v13, v8
	v_sub_u32_e32 v1, v1, v6
	v_add_u32_e32 v6, 1, v13
	v_cmp_ge_u32_e32 vcc, v1, v8
	v_sub_u32_e32 v7, v1, v8
	s_nop 0
	v_cndmask_b32_e32 v6, v13, v6, vcc
	v_cndmask_b32_e32 v1, v1, v7, vcc
	v_add_u32_e32 v7, 1, v6
	v_cmp_ge_u32_e32 vcc, v1, v8
	s_nop 1
	v_cndmask_b32_e32 v1, v6, v7, vcc
	v_xor_b32_e32 v1, v1, v3
	v_sub_u32_e32 v1, v1, v3
	v_accvgpr_read_b32 v3, a3
	v_add_u32_e32 v3, 31, v3
	v_ashrrev_i32_e32 v6, 31, v3
	v_lshrrev_b32_e32 v6, 27, v6
	v_add_u32_e32 v3, v3, v6
	v_ashrrev_i32_e32 v6, 5, v3
	scratch_load_dword v3, off, s32 offset:220 ; 4-byte Folded Reload
	v_sub_u32_e32 v1, v1, v25
	scratch_store_dword off, v6, s32 offset:192 ; 4-byte Folded Spill
	scratch_store_dword off, v1, s32 offset:208 ; 4-byte Folded Spill
	v_ashrrev_i32_e32 v25, 31, v24
	s_waitcnt vmcnt(2)
	v_lshrrev_b32_e32 v7, 6, v3
	v_cmp_lt_i32_e64 s[0:1], v7, v6
	v_accvgpr_write_b32 a12, v7
	v_lshlrev_b32_e32 v1, 5, v7
	v_lshrrev_b32_e32 v19, 4, v3
	v_mbcnt_lo_u32_b32 v6, -1, 0
	scratch_store_dword off, v1, s32 offset:260 ; 4-byte Folded Spill
	s_and_saveexec_b64 s[8:9], s[0:1]
	s_cbranch_execz .LBB330_242
; %bb.9:
	scratch_store_dwordx2 off, v[30:31], s32 offset:296 ; 8-byte Folded Spill
	scratch_store_dwordx2 off, v[36:37], s32 offset:304 ; 8-byte Folded Spill
	scratch_store_dword off, v26, s32 offset:312 ; 4-byte Folded Spill
	scratch_store_dword off, v27, s32 offset:272 ; 4-byte Folded Spill
	scratch_load_dword v2, off, s32 offset:220 ; 4-byte Folded Reload
	v_mov_b32_e32 v41, 0
	v_cmp_eq_u32_e32 vcc, 0, v0
	v_mul_u32_u24_e32 v11, 0x70, v0
	v_max_i32_e32 v7, v26, v27
	v_cvt_f32_u32_e32 v1, v7
	s_ashr_i32 s17, s16, 31
	scratch_store_dwordx2 off, v[24:25], s32 offset:276 ; 8-byte Folded Spill
	s_lshl_b64 s[4:5], s[16:17], 2
	v_rcp_iflag_f32_e32 v1, v1
	v_accvgpr_read_b32 v59, a12
	s_getpc_b64 s[6:7]
	s_add_u32 s6, s6, llvm.amdgcn.dynlds.offset.table@rel32@lo+4
	s_addc_u32 s7, s7, llvm.amdgcn.dynlds.offset.table@rel32@hi+12
	s_add_u32 s12, s4, s6
	v_mul_f32_e32 v1, 0x4f7ffffe, v1
	v_cvt_u32_f32_e32 v1, v1
	v_accvgpr_write_b32 a31, v7
	s_addc_u32 s13, s5, s7
	v_lshlrev_b32_e32 v18, 5, v59
	s_mov_b64 s[20:21], 0
	s_mov_b32 s17, 0x7f800000
	s_movk_i32 s24, 0x7fff
	v_mov_b32_e32 v9, 0xff7fffff
	s_waitcnt vmcnt(1)
	v_bfe_u32 v8, v2, 1, 5
	v_lshl_add_u64 v[2:3], v[4:5], 0, v[24:25]
	v_lshlrev_b32_e32 v40, 4, v8
	v_lshl_add_u64 v[2:3], v[2:3], 0, v[40:41]
	v_lshlrev_b32_e32 v40, 2, v0
	scratch_load_dword v0, off, s32 offset:244 ; 4-byte Folded Reload
	v_accvgpr_write_b32 a35, v3
	v_accvgpr_write_b32 a34, v2
	s_waitcnt vmcnt(0)
	v_cmp_neq_f32_e64 s[2:3], 0, v0
	v_sub_u32_e32 v0, 0, v7
	v_mul_lo_u32 v0, v0, v1
	v_mul_hi_u32 v0, v1, v0
	v_add_u32_e32 v0, v1, v0
	v_accvgpr_write_b32 a36, v0
	v_accvgpr_read_b32 v0, a3
	v_sub_u32_e32 v0, v8, v0
	v_add_u32_e32 v0, 1, v0
	scratch_store_dword off, v0, s32 offset:252 ; 4-byte Folded Spill
	scratch_store_dword off, v8, s32 offset:256 ; 4-byte Folded Spill
	v_lshlrev_b32_e32 v0, 2, v8
	v_lshl_or_b32 v63, v59, 7, v0
	v_and_b32_e32 v0, 60, v19
	v_mov_b32_e32 v1, v41
	v_lshl_add_u64 v[0:1], v[28:29], 2, v[0:1]
	v_lshl_add_u64 v[44:45], v[22:23], 0, v[0:1]
	v_mbcnt_hi_u32_b32 v0, -1, v6
	scratch_store_dword off, v19, s32 offset:284 ; 4-byte Folded Spill
	scratch_store_dwordx2 off, v[28:29], s32 offset:288 ; 8-byte Folded Spill
	scratch_store_dwordx2 off, v[22:23], s32 offset:316 ; 8-byte Folded Spill
	scratch_store_dword off, v0, s32 offset:240 ; 4-byte Folded Spill
	s_branch .LBB330_12
.LBB330_10:                             ;   in Loop: Header=BB330_12 Depth=1
	s_or_b64 exec, exec, s[22:23]
.LBB330_11:                             ;   in Loop: Header=BB330_12 Depth=1
	s_or_b64 exec, exec, s[6:7]
	scratch_load_dword v0, off, s32 offset:192 ; 4-byte Folded Reload
	v_add_u32_e32 v59, 2, v59
	v_add_u32_e32 v18, 64, v18
	;; [unrolled: 1-line block ×3, first 2 shown]
	v_lshl_add_u64 v[44:45], v[44:45], 0, 8
	s_waitcnt vmcnt(0)
	v_cmp_ge_i32_e64 s[4:5], v59, v0
	s_or_b64 s[20:21], s[4:5], s[20:21]
	s_andn2_b64 exec, exec, s[20:21]
	s_cbranch_execz .LBB330_241
.LBB330_12:                             ; =>This Inner Loop Header: Depth=1
	scratch_load_dword v0, off, s32 offset:204 ; 4-byte Folded Reload
	scratch_load_dword v3, off, s32 offset:196 ; 4-byte Folded Reload
	v_accvgpr_read_b32 v4, a36
	s_waitcnt vmcnt(1)
	v_mul_hi_u32 v0, v18, v0
	s_waitcnt vmcnt(0) lgkmcnt(0)
	v_mul_lo_u32 v1, v0, v3
	v_sub_u32_e32 v1, v18, v1
	v_add_u32_e32 v2, 1, v0
	v_cmp_ge_u32_e64 s[4:5], v1, v3
	s_nop 1
	v_cndmask_b32_e64 v0, v0, v2, s[4:5]
	v_sub_u32_e32 v2, v1, v3
	v_cndmask_b32_e64 v1, v1, v2, s[4:5]
	v_cmp_ge_u32_e64 s[4:5], v1, v3
	scratch_load_dword v1, off, s32 offset:200 ; 4-byte Folded Reload
	v_add_u32_e32 v2, 1, v0
	v_cndmask_b32_e64 v0, v0, v2, s[4:5]
	v_accvgpr_read_b32 v2, a10
	s_waitcnt vmcnt(0)
	v_xor_b32_e32 v0, v0, v1
	v_sub_u32_e32 v0, v0, v1
	v_add_u32_e32 v1, v0, v2
	v_sub_u32_e32 v3, 0, v1
	v_ashrrev_i32_e32 v2, 31, v1
	v_max_i32_e32 v1, v1, v3
	v_mul_hi_u32 v3, v1, v4
	v_accvgpr_read_b32 v4, a31
	v_mul_lo_u32 v3, v3, v4
	v_sub_u32_e32 v1, v1, v3
	v_sub_u32_e32 v3, v1, v4
	v_cmp_ge_u32_e64 s[4:5], v1, v4
	s_nop 1
	v_cndmask_b32_e64 v1, v1, v3, s[4:5]
	v_sub_u32_e32 v3, v1, v4
	v_cmp_ge_u32_e64 s[4:5], v1, v4
	s_nop 1
	v_cndmask_b32_e64 v1, v1, v3, s[4:5]
	v_xor_b32_e32 v1, v1, v2
	v_sub_u32_e32 v1, v1, v2
	v_cmp_ne_u32_e64 s[4:5], 0, v1
	scratch_load_dword v1, off, s32 offset:208 ; 4-byte Folded Reload
	s_waitcnt vmcnt(0)
	v_cmp_le_i32_e64 s[6:7], v0, v1
	s_and_b64 s[4:5], s[4:5], s[6:7]
	s_and_b64 s[22:23], vcc, s[4:5]
	s_and_saveexec_b64 s[6:7], s[22:23]
	s_cbranch_execz .LBB330_14
; %bb.13:                               ;   in Loop: Header=BB330_12 Depth=1
	s_load_dword s22, s[12:13], 0x0
	v_mov_b32_e32 v1, 0xff7fffff
	s_waitcnt lgkmcnt(0)
	v_add_u32_e32 v0, s22, v63
	ds_write_b32 v0, v1
.LBB330_14:                             ;   in Loop: Header=BB330_12 Depth=1
	s_or_b64 exec, exec, s[6:7]
	s_xor_b64 s[4:5], s[4:5], -1
	s_and_saveexec_b64 s[6:7], s[4:5]
	s_cbranch_execz .LBB330_11
; %bb.15:                               ;   in Loop: Header=BB330_12 Depth=1
	flat_load_dword v0, v[44:45]
	scratch_load_dwordx2 v[2:3], off, s32 offset:212 ; 8-byte Folded Reload
	v_accvgpr_read_b32 v4, a34
	v_accvgpr_read_b32 v5, a35
                                        ; implicit-def: $agpr41
	s_waitcnt vmcnt(0) lgkmcnt(0)
	v_mad_i64_i32 v[0:1], s[4:5], v0, v2, v[4:5]
	v_lshl_add_u64 v[46:47], v[0:1], 0, v[40:41]
	flat_load_dword v0, v[46:47]
	scratch_load_dwordx2 v[2:3], off, s32 offset:232 ; 8-byte Folded Reload
	s_waitcnt vmcnt(0) lgkmcnt(0)
	v_and_b32_e32 v1, 0xff, v0
	flat_load_dword v6, v[2:3]
	ds_read_b128 v[48:51], v11
	ds_read_b128 v[36:39], v11 offset:16
	ds_read_b128 v[32:35], v11 offset:32
	;; [unrolled: 1-line block ×5, first 2 shown]
	v_cvt_f32_fp8_sdwa v1, v1 src0_sel:BYTE_0
	ds_read_b32 a39, v11 offset:96
	ds_read_u16 a40, v11 offset:100
	s_waitcnt vmcnt(0) lgkmcnt(0)
	v_mul_f32_e32 v1, v6, v1
	v_and_b32_e32 v7, 0x7f800000, v1
	v_cmp_ne_u32_e64 s[4:5], s17, v7
	s_and_saveexec_b64 s[22:23], s[4:5]
	s_xor_b64 s[4:5], exec, s[22:23]
; %bb.16:                               ;   in Loop: Header=BB330_12 Depth=1
	v_bfe_u32 v7, v1, 16, 1
	v_add3_u32 v1, v1, v7, s24
	v_accvgpr_write_b32 a41, v1
                                        ; implicit-def: $vgpr1
; %bb.17:                               ;   in Loop: Header=BB330_12 Depth=1
	s_andn2_saveexec_b64 s[22:23], s[4:5]
; %bb.18:                               ;   in Loop: Header=BB330_12 Depth=1
	v_or_b32_e32 v7, 0x10000, v1
	v_cmp_eq_u32_sdwa s[4:5], v1, v41 src0_sel:WORD_0 src1_sel:DWORD
	s_nop 1
	v_cndmask_b32_e64 v1, v7, v1, s[4:5]
	v_accvgpr_write_b32 a41, v1
; %bb.19:                               ;   in Loop: Header=BB330_12 Depth=1
	s_or_b64 exec, exec, s[22:23]
	v_bfe_u32 v1, v0, 8, 8
	v_cvt_f32_fp8_sdwa v1, v1 src0_sel:BYTE_0
                                        ; implicit-def: $agpr46
	s_nop 0
	v_mul_f32_e32 v1, v6, v1
	v_and_b32_e32 v7, 0x7f800000, v1
	v_cmp_ne_u32_e64 s[4:5], s17, v7
	s_and_saveexec_b64 s[22:23], s[4:5]
	s_xor_b64 s[4:5], exec, s[22:23]
; %bb.20:                               ;   in Loop: Header=BB330_12 Depth=1
	v_bfe_u32 v7, v1, 16, 1
	v_add3_u32 v1, v1, v7, s24
	v_accvgpr_write_b32 a46, v1
                                        ; implicit-def: $vgpr1
; %bb.21:                               ;   in Loop: Header=BB330_12 Depth=1
	s_andn2_saveexec_b64 s[22:23], s[4:5]
; %bb.22:                               ;   in Loop: Header=BB330_12 Depth=1
	v_or_b32_e32 v7, 0x10000, v1
	v_cmp_eq_u32_sdwa s[4:5], v1, v41 src0_sel:WORD_0 src1_sel:DWORD
	s_nop 1
	v_cndmask_b32_e64 v1, v7, v1, s[4:5]
	v_accvgpr_write_b32 a46, v1
; %bb.23:                               ;   in Loop: Header=BB330_12 Depth=1
	s_or_b64 exec, exec, s[22:23]
	v_bfe_u32 v1, v0, 16, 8
	v_cvt_f32_fp8_sdwa v1, v1 src0_sel:BYTE_0
                                        ; implicit-def: $agpr47
	s_nop 0
	v_mul_f32_e32 v1, v6, v1
	v_and_b32_e32 v7, 0x7f800000, v1
	v_cmp_ne_u32_e64 s[4:5], s17, v7
	s_and_saveexec_b64 s[22:23], s[4:5]
	s_xor_b64 s[4:5], exec, s[22:23]
; %bb.24:                               ;   in Loop: Header=BB330_12 Depth=1
	v_bfe_u32 v7, v1, 16, 1
	v_add3_u32 v1, v1, v7, s24
	v_accvgpr_write_b32 a47, v1
                                        ; implicit-def: $vgpr1
; %bb.25:                               ;   in Loop: Header=BB330_12 Depth=1
	s_andn2_saveexec_b64 s[22:23], s[4:5]
; %bb.26:                               ;   in Loop: Header=BB330_12 Depth=1
	v_or_b32_e32 v7, 0x10000, v1
	v_cmp_eq_u32_sdwa s[4:5], v1, v41 src0_sel:WORD_0 src1_sel:DWORD
	s_nop 1
	v_cndmask_b32_e64 v1, v7, v1, s[4:5]
	v_accvgpr_write_b32 a47, v1
; %bb.27:                               ;   in Loop: Header=BB330_12 Depth=1
	s_or_b64 exec, exec, s[22:23]
	v_lshrrev_b32_e32 v0, 24, v0
	v_cvt_f32_fp8_sdwa v0, v0 src0_sel:BYTE_0
                                        ; implicit-def: $agpr48
	s_nop 0
	v_mul_f32_e32 v0, v6, v0
	v_and_b32_e32 v1, 0x7f800000, v0
	v_cmp_ne_u32_e64 s[4:5], s17, v1
	s_and_saveexec_b64 s[22:23], s[4:5]
	s_xor_b64 s[4:5], exec, s[22:23]
; %bb.28:                               ;   in Loop: Header=BB330_12 Depth=1
	v_bfe_u32 v1, v0, 16, 1
	v_add3_u32 v0, v0, v1, s24
	v_accvgpr_write_b32 a48, v0
                                        ; implicit-def: $vgpr0
; %bb.29:                               ;   in Loop: Header=BB330_12 Depth=1
	s_andn2_saveexec_b64 s[22:23], s[4:5]
; %bb.30:                               ;   in Loop: Header=BB330_12 Depth=1
	v_or_b32_e32 v1, 0x10000, v0
	v_cmp_eq_u32_sdwa s[4:5], v0, v41 src0_sel:WORD_0 src1_sel:DWORD
	s_nop 1
	v_cndmask_b32_e64 v0, v1, v0, s[4:5]
	v_accvgpr_write_b32 a48, v0
; %bb.31:                               ;   in Loop: Header=BB330_12 Depth=1
	s_or_b64 exec, exec, s[22:23]
	flat_load_dword v0, v[46:47] offset:8
                                        ; implicit-def: $agpr49
	s_waitcnt vmcnt(0) lgkmcnt(0)
	v_and_b32_e32 v1, 0xff, v0
	v_cvt_f32_fp8_sdwa v1, v1 src0_sel:BYTE_0
	s_nop 0
	v_mul_f32_e32 v1, v6, v1
	v_and_b32_e32 v7, 0x7f800000, v1
	v_cmp_ne_u32_e64 s[4:5], s17, v7
	s_and_saveexec_b64 s[22:23], s[4:5]
	s_xor_b64 s[4:5], exec, s[22:23]
; %bb.32:                               ;   in Loop: Header=BB330_12 Depth=1
	v_bfe_u32 v7, v1, 16, 1
	v_add3_u32 v1, v1, v7, s24
	v_accvgpr_write_b32 a49, v1
                                        ; implicit-def: $vgpr1
; %bb.33:                               ;   in Loop: Header=BB330_12 Depth=1
	s_andn2_saveexec_b64 s[22:23], s[4:5]
; %bb.34:                               ;   in Loop: Header=BB330_12 Depth=1
	v_or_b32_e32 v7, 0x10000, v1
	v_cmp_eq_u32_sdwa s[4:5], v1, v41 src0_sel:WORD_0 src1_sel:DWORD
	s_nop 1
	v_cndmask_b32_e64 v1, v7, v1, s[4:5]
	v_accvgpr_write_b32 a49, v1
; %bb.35:                               ;   in Loop: Header=BB330_12 Depth=1
	s_or_b64 exec, exec, s[22:23]
	v_bfe_u32 v1, v0, 8, 8
	v_cvt_f32_fp8_sdwa v1, v1 src0_sel:BYTE_0
                                        ; implicit-def: $agpr50
	s_nop 0
	v_mul_f32_e32 v1, v6, v1
	v_and_b32_e32 v7, 0x7f800000, v1
	v_cmp_ne_u32_e64 s[4:5], s17, v7
	s_and_saveexec_b64 s[22:23], s[4:5]
	s_xor_b64 s[4:5], exec, s[22:23]
; %bb.36:                               ;   in Loop: Header=BB330_12 Depth=1
	v_bfe_u32 v7, v1, 16, 1
	v_add3_u32 v1, v1, v7, s24
	v_accvgpr_write_b32 a50, v1
                                        ; implicit-def: $vgpr1
; %bb.37:                               ;   in Loop: Header=BB330_12 Depth=1
	s_andn2_saveexec_b64 s[22:23], s[4:5]
; %bb.38:                               ;   in Loop: Header=BB330_12 Depth=1
	v_or_b32_e32 v7, 0x10000, v1
	v_cmp_eq_u32_sdwa s[4:5], v1, v41 src0_sel:WORD_0 src1_sel:DWORD
	s_nop 1
	v_cndmask_b32_e64 v1, v7, v1, s[4:5]
	v_accvgpr_write_b32 a50, v1
; %bb.39:                               ;   in Loop: Header=BB330_12 Depth=1
	s_or_b64 exec, exec, s[22:23]
	v_bfe_u32 v1, v0, 16, 8
	v_cvt_f32_fp8_sdwa v1, v1 src0_sel:BYTE_0
                                        ; implicit-def: $agpr51
	s_nop 0
	v_mul_f32_e32 v1, v6, v1
	v_and_b32_e32 v7, 0x7f800000, v1
	v_cmp_ne_u32_e64 s[4:5], s17, v7
	s_and_saveexec_b64 s[22:23], s[4:5]
	s_xor_b64 s[4:5], exec, s[22:23]
; %bb.40:                               ;   in Loop: Header=BB330_12 Depth=1
	v_bfe_u32 v7, v1, 16, 1
	v_add3_u32 v1, v1, v7, s24
	v_accvgpr_write_b32 a51, v1
                                        ; implicit-def: $vgpr1
; %bb.41:                               ;   in Loop: Header=BB330_12 Depth=1
	s_andn2_saveexec_b64 s[22:23], s[4:5]
; %bb.42:                               ;   in Loop: Header=BB330_12 Depth=1
	v_or_b32_e32 v7, 0x10000, v1
	v_cmp_eq_u32_sdwa s[4:5], v1, v41 src0_sel:WORD_0 src1_sel:DWORD
	s_nop 1
	v_cndmask_b32_e64 v1, v7, v1, s[4:5]
	v_accvgpr_write_b32 a51, v1
; %bb.43:                               ;   in Loop: Header=BB330_12 Depth=1
	s_or_b64 exec, exec, s[22:23]
	v_lshrrev_b32_e32 v0, 24, v0
	v_cvt_f32_fp8_sdwa v0, v0 src0_sel:BYTE_0
                                        ; implicit-def: $agpr52
	s_nop 0
	v_mul_f32_e32 v0, v6, v0
	v_and_b32_e32 v1, 0x7f800000, v0
	v_cmp_ne_u32_e64 s[4:5], s17, v1
	s_and_saveexec_b64 s[22:23], s[4:5]
	s_xor_b64 s[4:5], exec, s[22:23]
; %bb.44:                               ;   in Loop: Header=BB330_12 Depth=1
	v_bfe_u32 v1, v0, 16, 1
	v_add3_u32 v0, v0, v1, s24
	v_accvgpr_write_b32 a52, v0
                                        ; implicit-def: $vgpr0
; %bb.45:                               ;   in Loop: Header=BB330_12 Depth=1
	s_andn2_saveexec_b64 s[22:23], s[4:5]
; %bb.46:                               ;   in Loop: Header=BB330_12 Depth=1
	v_or_b32_e32 v1, 0x10000, v0
	v_cmp_eq_u32_sdwa s[4:5], v0, v41 src0_sel:WORD_0 src1_sel:DWORD
	s_nop 1
	v_cndmask_b32_e64 v0, v1, v0, s[4:5]
	v_accvgpr_write_b32 a52, v0
; %bb.47:                               ;   in Loop: Header=BB330_12 Depth=1
	s_or_b64 exec, exec, s[22:23]
	flat_load_dword v0, v[46:47] offset:512
                                        ; implicit-def: $agpr53
	s_waitcnt vmcnt(0) lgkmcnt(0)
	v_and_b32_e32 v1, 0xff, v0
	v_cvt_f32_fp8_sdwa v1, v1 src0_sel:BYTE_0
	s_nop 0
	v_mul_f32_e32 v1, v6, v1
	v_and_b32_e32 v7, 0x7f800000, v1
	v_cmp_ne_u32_e64 s[4:5], s17, v7
	s_and_saveexec_b64 s[22:23], s[4:5]
	s_xor_b64 s[4:5], exec, s[22:23]
; %bb.48:                               ;   in Loop: Header=BB330_12 Depth=1
	v_bfe_u32 v7, v1, 16, 1
	v_add3_u32 v1, v1, v7, s24
	v_accvgpr_write_b32 a53, v1
                                        ; implicit-def: $vgpr1
; %bb.49:                               ;   in Loop: Header=BB330_12 Depth=1
	s_andn2_saveexec_b64 s[22:23], s[4:5]
; %bb.50:                               ;   in Loop: Header=BB330_12 Depth=1
	v_or_b32_e32 v7, 0x10000, v1
	v_cmp_eq_u32_sdwa s[4:5], v1, v41 src0_sel:WORD_0 src1_sel:DWORD
	s_nop 1
	v_cndmask_b32_e64 v1, v7, v1, s[4:5]
	v_accvgpr_write_b32 a53, v1
; %bb.51:                               ;   in Loop: Header=BB330_12 Depth=1
	s_or_b64 exec, exec, s[22:23]
	v_bfe_u32 v1, v0, 8, 8
	v_cvt_f32_fp8_sdwa v1, v1 src0_sel:BYTE_0
                                        ; implicit-def: $agpr54
	s_nop 0
	v_mul_f32_e32 v1, v6, v1
	v_and_b32_e32 v7, 0x7f800000, v1
	v_cmp_ne_u32_e64 s[4:5], s17, v7
	s_and_saveexec_b64 s[22:23], s[4:5]
	s_xor_b64 s[4:5], exec, s[22:23]
; %bb.52:                               ;   in Loop: Header=BB330_12 Depth=1
	v_bfe_u32 v7, v1, 16, 1
	v_add3_u32 v1, v1, v7, s24
	v_accvgpr_write_b32 a54, v1
                                        ; implicit-def: $vgpr1
; %bb.53:                               ;   in Loop: Header=BB330_12 Depth=1
	s_andn2_saveexec_b64 s[22:23], s[4:5]
; %bb.54:                               ;   in Loop: Header=BB330_12 Depth=1
	v_or_b32_e32 v7, 0x10000, v1
	v_cmp_eq_u32_sdwa s[4:5], v1, v41 src0_sel:WORD_0 src1_sel:DWORD
	s_nop 1
	v_cndmask_b32_e64 v1, v7, v1, s[4:5]
	v_accvgpr_write_b32 a54, v1
; %bb.55:                               ;   in Loop: Header=BB330_12 Depth=1
	s_or_b64 exec, exec, s[22:23]
	v_bfe_u32 v1, v0, 16, 8
	v_cvt_f32_fp8_sdwa v1, v1 src0_sel:BYTE_0
                                        ; implicit-def: $agpr55
	s_nop 0
	v_mul_f32_e32 v1, v6, v1
	v_and_b32_e32 v7, 0x7f800000, v1
	v_cmp_ne_u32_e64 s[4:5], s17, v7
	s_and_saveexec_b64 s[22:23], s[4:5]
	s_xor_b64 s[4:5], exec, s[22:23]
; %bb.56:                               ;   in Loop: Header=BB330_12 Depth=1
	v_bfe_u32 v7, v1, 16, 1
	v_add3_u32 v1, v1, v7, s24
	v_accvgpr_write_b32 a55, v1
                                        ; implicit-def: $vgpr1
; %bb.57:                               ;   in Loop: Header=BB330_12 Depth=1
	s_andn2_saveexec_b64 s[22:23], s[4:5]
; %bb.58:                               ;   in Loop: Header=BB330_12 Depth=1
	v_or_b32_e32 v7, 0x10000, v1
	v_cmp_eq_u32_sdwa s[4:5], v1, v41 src0_sel:WORD_0 src1_sel:DWORD
	s_nop 1
	v_cndmask_b32_e64 v1, v7, v1, s[4:5]
	v_accvgpr_write_b32 a55, v1
; %bb.59:                               ;   in Loop: Header=BB330_12 Depth=1
	s_or_b64 exec, exec, s[22:23]
	v_lshrrev_b32_e32 v0, 24, v0
	v_cvt_f32_fp8_sdwa v0, v0 src0_sel:BYTE_0
                                        ; implicit-def: $agpr56
	s_nop 0
	v_mul_f32_e32 v0, v6, v0
	v_and_b32_e32 v1, 0x7f800000, v0
	v_cmp_ne_u32_e64 s[4:5], s17, v1
	s_and_saveexec_b64 s[22:23], s[4:5]
	s_xor_b64 s[4:5], exec, s[22:23]
; %bb.60:                               ;   in Loop: Header=BB330_12 Depth=1
	v_bfe_u32 v1, v0, 16, 1
	v_add3_u32 v0, v0, v1, s24
	v_accvgpr_write_b32 a56, v0
                                        ; implicit-def: $vgpr0
; %bb.61:                               ;   in Loop: Header=BB330_12 Depth=1
	s_andn2_saveexec_b64 s[22:23], s[4:5]
; %bb.62:                               ;   in Loop: Header=BB330_12 Depth=1
	v_or_b32_e32 v1, 0x10000, v0
	v_cmp_eq_u32_sdwa s[4:5], v0, v41 src0_sel:WORD_0 src1_sel:DWORD
	s_nop 1
	v_cndmask_b32_e64 v0, v1, v0, s[4:5]
	v_accvgpr_write_b32 a56, v0
; %bb.63:                               ;   in Loop: Header=BB330_12 Depth=1
	s_or_b64 exec, exec, s[22:23]
	flat_load_dword v0, v[46:47] offset:520
                                        ; implicit-def: $agpr57
	s_waitcnt vmcnt(0) lgkmcnt(0)
	v_and_b32_e32 v1, 0xff, v0
	v_cvt_f32_fp8_sdwa v1, v1 src0_sel:BYTE_0
	s_nop 0
	v_mul_f32_e32 v1, v6, v1
	v_and_b32_e32 v7, 0x7f800000, v1
	v_cmp_ne_u32_e64 s[4:5], s17, v7
	s_and_saveexec_b64 s[22:23], s[4:5]
	s_xor_b64 s[4:5], exec, s[22:23]
; %bb.64:                               ;   in Loop: Header=BB330_12 Depth=1
	v_bfe_u32 v7, v1, 16, 1
	v_add3_u32 v1, v1, v7, s24
	v_accvgpr_write_b32 a57, v1
                                        ; implicit-def: $vgpr1
; %bb.65:                               ;   in Loop: Header=BB330_12 Depth=1
	s_andn2_saveexec_b64 s[22:23], s[4:5]
; %bb.66:                               ;   in Loop: Header=BB330_12 Depth=1
	v_or_b32_e32 v7, 0x10000, v1
	v_cmp_eq_u32_sdwa s[4:5], v1, v41 src0_sel:WORD_0 src1_sel:DWORD
	s_nop 1
	v_cndmask_b32_e64 v1, v7, v1, s[4:5]
	v_accvgpr_write_b32 a57, v1
; %bb.67:                               ;   in Loop: Header=BB330_12 Depth=1
	s_or_b64 exec, exec, s[22:23]
	v_bfe_u32 v1, v0, 8, 8
	v_cvt_f32_fp8_sdwa v1, v1 src0_sel:BYTE_0
                                        ; implicit-def: $agpr58
	s_nop 0
	v_mul_f32_e32 v1, v6, v1
	v_and_b32_e32 v7, 0x7f800000, v1
	v_cmp_ne_u32_e64 s[4:5], s17, v7
	s_and_saveexec_b64 s[22:23], s[4:5]
	s_xor_b64 s[4:5], exec, s[22:23]
; %bb.68:                               ;   in Loop: Header=BB330_12 Depth=1
	v_bfe_u32 v7, v1, 16, 1
	v_add3_u32 v1, v1, v7, s24
	v_accvgpr_write_b32 a58, v1
                                        ; implicit-def: $vgpr1
; %bb.69:                               ;   in Loop: Header=BB330_12 Depth=1
	s_andn2_saveexec_b64 s[22:23], s[4:5]
; %bb.70:                               ;   in Loop: Header=BB330_12 Depth=1
	v_or_b32_e32 v7, 0x10000, v1
	v_cmp_eq_u32_sdwa s[4:5], v1, v41 src0_sel:WORD_0 src1_sel:DWORD
	s_nop 1
	v_cndmask_b32_e64 v1, v7, v1, s[4:5]
	v_accvgpr_write_b32 a58, v1
; %bb.71:                               ;   in Loop: Header=BB330_12 Depth=1
	s_or_b64 exec, exec, s[22:23]
	v_bfe_u32 v1, v0, 16, 8
	v_cvt_f32_fp8_sdwa v1, v1 src0_sel:BYTE_0
                                        ; implicit-def: $agpr59
	s_nop 0
	v_mul_f32_e32 v1, v6, v1
	v_and_b32_e32 v7, 0x7f800000, v1
	v_cmp_ne_u32_e64 s[4:5], s17, v7
	s_and_saveexec_b64 s[22:23], s[4:5]
	s_xor_b64 s[4:5], exec, s[22:23]
; %bb.72:                               ;   in Loop: Header=BB330_12 Depth=1
	v_bfe_u32 v7, v1, 16, 1
	v_add3_u32 v1, v1, v7, s24
	v_accvgpr_write_b32 a59, v1
                                        ; implicit-def: $vgpr1
; %bb.73:                               ;   in Loop: Header=BB330_12 Depth=1
	s_andn2_saveexec_b64 s[22:23], s[4:5]
; %bb.74:                               ;   in Loop: Header=BB330_12 Depth=1
	v_or_b32_e32 v7, 0x10000, v1
	v_cmp_eq_u32_sdwa s[4:5], v1, v41 src0_sel:WORD_0 src1_sel:DWORD
	s_nop 1
	v_cndmask_b32_e64 v1, v7, v1, s[4:5]
	v_accvgpr_write_b32 a59, v1
; %bb.75:                               ;   in Loop: Header=BB330_12 Depth=1
	s_or_b64 exec, exec, s[22:23]
	v_lshrrev_b32_e32 v0, 24, v0
	v_cvt_f32_fp8_sdwa v0, v0 src0_sel:BYTE_0
                                        ; implicit-def: $agpr60
	s_nop 0
	v_mul_f32_e32 v0, v6, v0
	v_and_b32_e32 v1, 0x7f800000, v0
	v_cmp_ne_u32_e64 s[4:5], s17, v1
	s_and_saveexec_b64 s[22:23], s[4:5]
	s_xor_b64 s[4:5], exec, s[22:23]
; %bb.76:                               ;   in Loop: Header=BB330_12 Depth=1
	v_bfe_u32 v1, v0, 16, 1
	v_add3_u32 v0, v0, v1, s24
	v_accvgpr_write_b32 a60, v0
                                        ; implicit-def: $vgpr0
; %bb.77:                               ;   in Loop: Header=BB330_12 Depth=1
	s_andn2_saveexec_b64 s[22:23], s[4:5]
; %bb.78:                               ;   in Loop: Header=BB330_12 Depth=1
	v_or_b32_e32 v1, 0x10000, v0
	v_cmp_eq_u32_sdwa s[4:5], v0, v41 src0_sel:WORD_0 src1_sel:DWORD
	s_nop 1
	v_cndmask_b32_e64 v0, v1, v0, s[4:5]
	v_accvgpr_write_b32 a60, v0
; %bb.79:                               ;   in Loop: Header=BB330_12 Depth=1
	s_or_b64 exec, exec, s[22:23]
	flat_load_dword v0, v[46:47] offset:1024
                                        ; implicit-def: $agpr61
	s_waitcnt vmcnt(0) lgkmcnt(0)
	v_and_b32_e32 v1, 0xff, v0
	v_cvt_f32_fp8_sdwa v1, v1 src0_sel:BYTE_0
	s_nop 0
	v_mul_f32_e32 v1, v6, v1
	v_and_b32_e32 v7, 0x7f800000, v1
	v_cmp_ne_u32_e64 s[4:5], s17, v7
	s_and_saveexec_b64 s[22:23], s[4:5]
	s_xor_b64 s[4:5], exec, s[22:23]
; %bb.80:                               ;   in Loop: Header=BB330_12 Depth=1
	v_bfe_u32 v7, v1, 16, 1
	v_add3_u32 v1, v1, v7, s24
	v_accvgpr_write_b32 a61, v1
                                        ; implicit-def: $vgpr1
; %bb.81:                               ;   in Loop: Header=BB330_12 Depth=1
	s_andn2_saveexec_b64 s[22:23], s[4:5]
; %bb.82:                               ;   in Loop: Header=BB330_12 Depth=1
	v_or_b32_e32 v7, 0x10000, v1
	v_cmp_eq_u32_sdwa s[4:5], v1, v41 src0_sel:WORD_0 src1_sel:DWORD
	s_nop 1
	v_cndmask_b32_e64 v1, v7, v1, s[4:5]
	v_accvgpr_write_b32 a61, v1
; %bb.83:                               ;   in Loop: Header=BB330_12 Depth=1
	s_or_b64 exec, exec, s[22:23]
	v_bfe_u32 v1, v0, 8, 8
	v_cvt_f32_fp8_sdwa v1, v1 src0_sel:BYTE_0
                                        ; implicit-def: $agpr62
	s_nop 0
	v_mul_f32_e32 v1, v6, v1
	v_and_b32_e32 v7, 0x7f800000, v1
	v_cmp_ne_u32_e64 s[4:5], s17, v7
	s_and_saveexec_b64 s[22:23], s[4:5]
	s_xor_b64 s[4:5], exec, s[22:23]
; %bb.84:                               ;   in Loop: Header=BB330_12 Depth=1
	v_bfe_u32 v7, v1, 16, 1
	v_add3_u32 v1, v1, v7, s24
	v_accvgpr_write_b32 a62, v1
                                        ; implicit-def: $vgpr1
; %bb.85:                               ;   in Loop: Header=BB330_12 Depth=1
	s_andn2_saveexec_b64 s[22:23], s[4:5]
; %bb.86:                               ;   in Loop: Header=BB330_12 Depth=1
	v_or_b32_e32 v7, 0x10000, v1
	v_cmp_eq_u32_sdwa s[4:5], v1, v41 src0_sel:WORD_0 src1_sel:DWORD
	s_nop 1
	v_cndmask_b32_e64 v1, v7, v1, s[4:5]
	v_accvgpr_write_b32 a62, v1
; %bb.87:                               ;   in Loop: Header=BB330_12 Depth=1
	s_or_b64 exec, exec, s[22:23]
	v_bfe_u32 v1, v0, 16, 8
	v_cvt_f32_fp8_sdwa v1, v1 src0_sel:BYTE_0
                                        ; implicit-def: $agpr63
	s_nop 0
	v_mul_f32_e32 v1, v6, v1
	v_and_b32_e32 v7, 0x7f800000, v1
	v_cmp_ne_u32_e64 s[4:5], s17, v7
	s_and_saveexec_b64 s[22:23], s[4:5]
	s_xor_b64 s[4:5], exec, s[22:23]
; %bb.88:                               ;   in Loop: Header=BB330_12 Depth=1
	v_bfe_u32 v7, v1, 16, 1
	v_add3_u32 v1, v1, v7, s24
	v_accvgpr_write_b32 a63, v1
                                        ; implicit-def: $vgpr1
; %bb.89:                               ;   in Loop: Header=BB330_12 Depth=1
	s_andn2_saveexec_b64 s[22:23], s[4:5]
; %bb.90:                               ;   in Loop: Header=BB330_12 Depth=1
	v_or_b32_e32 v7, 0x10000, v1
	v_cmp_eq_u32_sdwa s[4:5], v1, v41 src0_sel:WORD_0 src1_sel:DWORD
	s_nop 1
	v_cndmask_b32_e64 v1, v7, v1, s[4:5]
	v_accvgpr_write_b32 a63, v1
; %bb.91:                               ;   in Loop: Header=BB330_12 Depth=1
	s_or_b64 exec, exec, s[22:23]
	v_lshrrev_b32_e32 v0, 24, v0
	v_cvt_f32_fp8_sdwa v0, v0 src0_sel:BYTE_0
                                        ; implicit-def: $agpr0
	s_nop 0
	v_mul_f32_e32 v0, v6, v0
	v_and_b32_e32 v1, 0x7f800000, v0
	v_cmp_ne_u32_e64 s[4:5], s17, v1
	s_and_saveexec_b64 s[22:23], s[4:5]
	s_xor_b64 s[4:5], exec, s[22:23]
; %bb.92:                               ;   in Loop: Header=BB330_12 Depth=1
	v_bfe_u32 v1, v0, 16, 1
	v_add3_u32 v0, v0, v1, s24
	v_accvgpr_write_b32 a0, v0
                                        ; implicit-def: $vgpr0
; %bb.93:                               ;   in Loop: Header=BB330_12 Depth=1
	s_andn2_saveexec_b64 s[22:23], s[4:5]
; %bb.94:                               ;   in Loop: Header=BB330_12 Depth=1
	v_or_b32_e32 v1, 0x10000, v0
	v_cmp_eq_u32_sdwa s[4:5], v0, v41 src0_sel:WORD_0 src1_sel:DWORD
	s_nop 1
	v_cndmask_b32_e64 v0, v1, v0, s[4:5]
	v_accvgpr_write_b32 a0, v0
; %bb.95:                               ;   in Loop: Header=BB330_12 Depth=1
	s_or_b64 exec, exec, s[22:23]
	flat_load_dword v0, v[46:47] offset:1032
                                        ; implicit-def: $agpr1
	s_waitcnt vmcnt(0) lgkmcnt(0)
	v_and_b32_e32 v1, 0xff, v0
	v_cvt_f32_fp8_sdwa v1, v1 src0_sel:BYTE_0
	s_nop 0
	v_mul_f32_e32 v1, v6, v1
	v_and_b32_e32 v7, 0x7f800000, v1
	v_cmp_ne_u32_e64 s[4:5], s17, v7
	s_and_saveexec_b64 s[22:23], s[4:5]
	s_xor_b64 s[4:5], exec, s[22:23]
; %bb.96:                               ;   in Loop: Header=BB330_12 Depth=1
	v_bfe_u32 v7, v1, 16, 1
	v_add3_u32 v1, v1, v7, s24
	v_accvgpr_write_b32 a1, v1
                                        ; implicit-def: $vgpr1
; %bb.97:                               ;   in Loop: Header=BB330_12 Depth=1
	s_andn2_saveexec_b64 s[22:23], s[4:5]
; %bb.98:                               ;   in Loop: Header=BB330_12 Depth=1
	v_or_b32_e32 v7, 0x10000, v1
	v_cmp_eq_u32_sdwa s[4:5], v1, v41 src0_sel:WORD_0 src1_sel:DWORD
	s_nop 1
	v_cndmask_b32_e64 v1, v7, v1, s[4:5]
	v_accvgpr_write_b32 a1, v1
; %bb.99:                               ;   in Loop: Header=BB330_12 Depth=1
	s_or_b64 exec, exec, s[22:23]
	v_bfe_u32 v1, v0, 8, 8
	v_cvt_f32_fp8_sdwa v1, v1 src0_sel:BYTE_0
                                        ; implicit-def: $agpr26
	s_nop 0
	v_mul_f32_e32 v1, v6, v1
	v_and_b32_e32 v7, 0x7f800000, v1
	v_cmp_ne_u32_e64 s[4:5], s17, v7
	s_and_saveexec_b64 s[22:23], s[4:5]
	s_xor_b64 s[4:5], exec, s[22:23]
; %bb.100:                              ;   in Loop: Header=BB330_12 Depth=1
	v_bfe_u32 v7, v1, 16, 1
	v_add3_u32 v1, v1, v7, s24
	v_accvgpr_write_b32 a26, v1
                                        ; implicit-def: $vgpr1
; %bb.101:                              ;   in Loop: Header=BB330_12 Depth=1
	s_andn2_saveexec_b64 s[22:23], s[4:5]
; %bb.102:                              ;   in Loop: Header=BB330_12 Depth=1
	v_or_b32_e32 v7, 0x10000, v1
	v_cmp_eq_u32_sdwa s[4:5], v1, v41 src0_sel:WORD_0 src1_sel:DWORD
	s_nop 1
	v_cndmask_b32_e64 v1, v7, v1, s[4:5]
	v_accvgpr_write_b32 a26, v1
; %bb.103:                              ;   in Loop: Header=BB330_12 Depth=1
	s_or_b64 exec, exec, s[22:23]
	v_bfe_u32 v1, v0, 16, 8
	v_cvt_f32_fp8_sdwa v1, v1 src0_sel:BYTE_0
                                        ; implicit-def: $agpr24
	s_nop 0
	v_mul_f32_e32 v1, v6, v1
	v_and_b32_e32 v7, 0x7f800000, v1
	v_cmp_ne_u32_e64 s[4:5], s17, v7
	s_and_saveexec_b64 s[22:23], s[4:5]
	s_xor_b64 s[4:5], exec, s[22:23]
; %bb.104:                              ;   in Loop: Header=BB330_12 Depth=1
	v_bfe_u32 v7, v1, 16, 1
	v_add3_u32 v1, v1, v7, s24
	v_accvgpr_write_b32 a24, v1
                                        ; implicit-def: $vgpr1
; %bb.105:                              ;   in Loop: Header=BB330_12 Depth=1
	s_andn2_saveexec_b64 s[22:23], s[4:5]
; %bb.106:                              ;   in Loop: Header=BB330_12 Depth=1
	v_or_b32_e32 v7, 0x10000, v1
	v_cmp_eq_u32_sdwa s[4:5], v1, v41 src0_sel:WORD_0 src1_sel:DWORD
	s_nop 1
	v_cndmask_b32_e64 v1, v7, v1, s[4:5]
	v_accvgpr_write_b32 a24, v1
; %bb.107:                              ;   in Loop: Header=BB330_12 Depth=1
	s_or_b64 exec, exec, s[22:23]
	v_lshrrev_b32_e32 v0, 24, v0
	v_cvt_f32_fp8_sdwa v0, v0 src0_sel:BYTE_0
                                        ; implicit-def: $agpr25
	s_nop 0
	v_mul_f32_e32 v0, v6, v0
	v_and_b32_e32 v1, 0x7f800000, v0
	v_cmp_ne_u32_e64 s[4:5], s17, v1
	s_and_saveexec_b64 s[22:23], s[4:5]
	s_xor_b64 s[4:5], exec, s[22:23]
; %bb.108:                              ;   in Loop: Header=BB330_12 Depth=1
	v_bfe_u32 v1, v0, 16, 1
	v_add3_u32 v0, v0, v1, s24
	v_accvgpr_write_b32 a25, v0
                                        ; implicit-def: $vgpr0
; %bb.109:                              ;   in Loop: Header=BB330_12 Depth=1
	s_andn2_saveexec_b64 s[22:23], s[4:5]
; %bb.110:                              ;   in Loop: Header=BB330_12 Depth=1
	v_or_b32_e32 v1, 0x10000, v0
	v_cmp_eq_u32_sdwa s[4:5], v0, v41 src0_sel:WORD_0 src1_sel:DWORD
	s_nop 1
	v_cndmask_b32_e64 v0, v1, v0, s[4:5]
	v_accvgpr_write_b32 a25, v0
; %bb.111:                              ;   in Loop: Header=BB330_12 Depth=1
	s_or_b64 exec, exec, s[22:23]
	flat_load_dword v0, v[46:47] offset:1536
                                        ; implicit-def: $agpr21
	s_waitcnt vmcnt(0) lgkmcnt(0)
	v_and_b32_e32 v1, 0xff, v0
	v_cvt_f32_fp8_sdwa v1, v1 src0_sel:BYTE_0
	s_nop 0
	v_mul_f32_e32 v1, v6, v1
	v_and_b32_e32 v7, 0x7f800000, v1
	v_cmp_ne_u32_e64 s[4:5], s17, v7
	s_and_saveexec_b64 s[22:23], s[4:5]
	s_xor_b64 s[4:5], exec, s[22:23]
; %bb.112:                              ;   in Loop: Header=BB330_12 Depth=1
	v_bfe_u32 v7, v1, 16, 1
	v_add3_u32 v1, v1, v7, s24
	v_accvgpr_write_b32 a21, v1
                                        ; implicit-def: $vgpr1
; %bb.113:                              ;   in Loop: Header=BB330_12 Depth=1
	s_andn2_saveexec_b64 s[22:23], s[4:5]
; %bb.114:                              ;   in Loop: Header=BB330_12 Depth=1
	v_or_b32_e32 v7, 0x10000, v1
	v_cmp_eq_u32_sdwa s[4:5], v1, v41 src0_sel:WORD_0 src1_sel:DWORD
	s_nop 1
	v_cndmask_b32_e64 v1, v7, v1, s[4:5]
	v_accvgpr_write_b32 a21, v1
; %bb.115:                              ;   in Loop: Header=BB330_12 Depth=1
	s_or_b64 exec, exec, s[22:23]
	v_bfe_u32 v1, v0, 8, 8
	v_cvt_f32_fp8_sdwa v1, v1 src0_sel:BYTE_0
                                        ; implicit-def: $agpr23
	s_nop 0
	v_mul_f32_e32 v1, v6, v1
	v_and_b32_e32 v7, 0x7f800000, v1
	v_cmp_ne_u32_e64 s[4:5], s17, v7
	s_and_saveexec_b64 s[22:23], s[4:5]
	s_xor_b64 s[4:5], exec, s[22:23]
; %bb.116:                              ;   in Loop: Header=BB330_12 Depth=1
	v_bfe_u32 v7, v1, 16, 1
	v_add3_u32 v1, v1, v7, s24
	v_accvgpr_write_b32 a23, v1
                                        ; implicit-def: $vgpr1
; %bb.117:                              ;   in Loop: Header=BB330_12 Depth=1
	s_andn2_saveexec_b64 s[22:23], s[4:5]
; %bb.118:                              ;   in Loop: Header=BB330_12 Depth=1
	v_or_b32_e32 v7, 0x10000, v1
	v_cmp_eq_u32_sdwa s[4:5], v1, v41 src0_sel:WORD_0 src1_sel:DWORD
	s_nop 1
	v_cndmask_b32_e64 v1, v7, v1, s[4:5]
	v_accvgpr_write_b32 a23, v1
; %bb.119:                              ;   in Loop: Header=BB330_12 Depth=1
	s_or_b64 exec, exec, s[22:23]
	v_bfe_u32 v1, v0, 16, 8
	v_cvt_f32_fp8_sdwa v1, v1 src0_sel:BYTE_0
                                        ; implicit-def: $agpr22
	s_nop 0
	v_mul_f32_e32 v1, v6, v1
	v_and_b32_e32 v7, 0x7f800000, v1
	v_cmp_ne_u32_e64 s[4:5], s17, v7
	s_and_saveexec_b64 s[22:23], s[4:5]
	s_xor_b64 s[4:5], exec, s[22:23]
; %bb.120:                              ;   in Loop: Header=BB330_12 Depth=1
	v_bfe_u32 v7, v1, 16, 1
	v_add3_u32 v1, v1, v7, s24
	v_accvgpr_write_b32 a22, v1
                                        ; implicit-def: $vgpr1
; %bb.121:                              ;   in Loop: Header=BB330_12 Depth=1
	s_andn2_saveexec_b64 s[22:23], s[4:5]
; %bb.122:                              ;   in Loop: Header=BB330_12 Depth=1
	v_or_b32_e32 v7, 0x10000, v1
	v_cmp_eq_u32_sdwa s[4:5], v1, v41 src0_sel:WORD_0 src1_sel:DWORD
	s_nop 1
	v_cndmask_b32_e64 v1, v7, v1, s[4:5]
	v_accvgpr_write_b32 a22, v1
; %bb.123:                              ;   in Loop: Header=BB330_12 Depth=1
	s_or_b64 exec, exec, s[22:23]
	v_lshrrev_b32_e32 v0, 24, v0
	v_cvt_f32_fp8_sdwa v0, v0 src0_sel:BYTE_0
                                        ; implicit-def: $agpr30
	s_nop 0
	v_mul_f32_e32 v0, v6, v0
	v_and_b32_e32 v1, 0x7f800000, v0
	v_cmp_ne_u32_e64 s[4:5], s17, v1
	s_and_saveexec_b64 s[22:23], s[4:5]
	s_xor_b64 s[4:5], exec, s[22:23]
; %bb.124:                              ;   in Loop: Header=BB330_12 Depth=1
	v_bfe_u32 v1, v0, 16, 1
	v_add3_u32 v0, v0, v1, s24
	v_accvgpr_write_b32 a30, v0
                                        ; implicit-def: $vgpr0
; %bb.125:                              ;   in Loop: Header=BB330_12 Depth=1
	s_andn2_saveexec_b64 s[22:23], s[4:5]
; %bb.126:                              ;   in Loop: Header=BB330_12 Depth=1
	v_or_b32_e32 v1, 0x10000, v0
	v_cmp_eq_u32_sdwa s[4:5], v0, v41 src0_sel:WORD_0 src1_sel:DWORD
	s_nop 1
	v_cndmask_b32_e64 v0, v1, v0, s[4:5]
	v_accvgpr_write_b32 a30, v0
; %bb.127:                              ;   in Loop: Header=BB330_12 Depth=1
	s_or_b64 exec, exec, s[22:23]
	flat_load_dword v0, v[46:47] offset:1544
                                        ; implicit-def: $agpr14
	s_waitcnt vmcnt(0) lgkmcnt(0)
	v_and_b32_e32 v1, 0xff, v0
	v_cvt_f32_fp8_sdwa v1, v1 src0_sel:BYTE_0
	s_nop 0
	v_mul_f32_e32 v1, v6, v1
	v_and_b32_e32 v7, 0x7f800000, v1
	v_cmp_ne_u32_e64 s[4:5], s17, v7
	s_and_saveexec_b64 s[22:23], s[4:5]
	s_xor_b64 s[4:5], exec, s[22:23]
; %bb.128:                              ;   in Loop: Header=BB330_12 Depth=1
	v_bfe_u32 v7, v1, 16, 1
	v_add3_u32 v1, v1, v7, s24
	v_accvgpr_write_b32 a14, v1
                                        ; implicit-def: $vgpr1
; %bb.129:                              ;   in Loop: Header=BB330_12 Depth=1
	s_andn2_saveexec_b64 s[22:23], s[4:5]
; %bb.130:                              ;   in Loop: Header=BB330_12 Depth=1
	v_or_b32_e32 v7, 0x10000, v1
	v_cmp_eq_u32_sdwa s[4:5], v1, v41 src0_sel:WORD_0 src1_sel:DWORD
	s_nop 1
	v_cndmask_b32_e64 v1, v7, v1, s[4:5]
	v_accvgpr_write_b32 a14, v1
; %bb.131:                              ;   in Loop: Header=BB330_12 Depth=1
	s_or_b64 exec, exec, s[22:23]
	v_bfe_u32 v1, v0, 8, 8
	v_cvt_f32_fp8_sdwa v1, v1 src0_sel:BYTE_0
                                        ; implicit-def: $agpr20
	s_nop 0
	v_mul_f32_e32 v1, v6, v1
	v_and_b32_e32 v7, 0x7f800000, v1
	v_cmp_ne_u32_e64 s[4:5], s17, v7
	s_and_saveexec_b64 s[22:23], s[4:5]
	s_xor_b64 s[4:5], exec, s[22:23]
; %bb.132:                              ;   in Loop: Header=BB330_12 Depth=1
	v_bfe_u32 v7, v1, 16, 1
	v_add3_u32 v1, v1, v7, s24
	v_accvgpr_write_b32 a20, v1
                                        ; implicit-def: $vgpr1
; %bb.133:                              ;   in Loop: Header=BB330_12 Depth=1
	s_andn2_saveexec_b64 s[22:23], s[4:5]
; %bb.134:                              ;   in Loop: Header=BB330_12 Depth=1
	v_or_b32_e32 v7, 0x10000, v1
	v_cmp_eq_u32_sdwa s[4:5], v1, v41 src0_sel:WORD_0 src1_sel:DWORD
	s_nop 1
	v_cndmask_b32_e64 v1, v7, v1, s[4:5]
	v_accvgpr_write_b32 a20, v1
; %bb.135:                              ;   in Loop: Header=BB330_12 Depth=1
	s_or_b64 exec, exec, s[22:23]
	v_bfe_u32 v1, v0, 16, 8
	v_cvt_f32_fp8_sdwa v1, v1 src0_sel:BYTE_0
                                        ; implicit-def: $agpr18
	s_nop 0
	v_mul_f32_e32 v1, v6, v1
	v_and_b32_e32 v7, 0x7f800000, v1
	v_cmp_ne_u32_e64 s[4:5], s17, v7
	s_and_saveexec_b64 s[22:23], s[4:5]
	s_xor_b64 s[4:5], exec, s[22:23]
; %bb.136:                              ;   in Loop: Header=BB330_12 Depth=1
	v_bfe_u32 v7, v1, 16, 1
	v_add3_u32 v1, v1, v7, s24
	v_accvgpr_write_b32 a18, v1
                                        ; implicit-def: $vgpr1
; %bb.137:                              ;   in Loop: Header=BB330_12 Depth=1
	s_andn2_saveexec_b64 s[22:23], s[4:5]
; %bb.138:                              ;   in Loop: Header=BB330_12 Depth=1
	v_or_b32_e32 v7, 0x10000, v1
	v_cmp_eq_u32_sdwa s[4:5], v1, v41 src0_sel:WORD_0 src1_sel:DWORD
	s_nop 1
	v_cndmask_b32_e64 v1, v7, v1, s[4:5]
	v_accvgpr_write_b32 a18, v1
; %bb.139:                              ;   in Loop: Header=BB330_12 Depth=1
	s_or_b64 exec, exec, s[22:23]
	v_lshrrev_b32_e32 v0, 24, v0
	v_cvt_f32_fp8_sdwa v0, v0 src0_sel:BYTE_0
                                        ; implicit-def: $agpr19
	s_nop 0
	v_mul_f32_e32 v0, v6, v0
	v_and_b32_e32 v1, 0x7f800000, v0
	v_cmp_ne_u32_e64 s[4:5], s17, v1
	s_and_saveexec_b64 s[22:23], s[4:5]
	s_xor_b64 s[4:5], exec, s[22:23]
; %bb.140:                              ;   in Loop: Header=BB330_12 Depth=1
	v_bfe_u32 v1, v0, 16, 1
	v_add3_u32 v0, v0, v1, s24
	v_accvgpr_write_b32 a19, v0
                                        ; implicit-def: $vgpr0
; %bb.141:                              ;   in Loop: Header=BB330_12 Depth=1
	s_andn2_saveexec_b64 s[22:23], s[4:5]
; %bb.142:                              ;   in Loop: Header=BB330_12 Depth=1
	v_or_b32_e32 v1, 0x10000, v0
	v_cmp_eq_u32_sdwa s[4:5], v0, v41 src0_sel:WORD_0 src1_sel:DWORD
	s_nop 1
	v_cndmask_b32_e64 v0, v1, v0, s[4:5]
	v_accvgpr_write_b32 a19, v0
; %bb.143:                              ;   in Loop: Header=BB330_12 Depth=1
	s_or_b64 exec, exec, s[22:23]
	flat_load_dword v1, v[46:47] offset:2048
                                        ; implicit-def: $agpr15
	s_waitcnt vmcnt(0) lgkmcnt(0)
	v_and_b32_e32 v0, 0xff, v1
	v_cvt_f32_fp8_sdwa v0, v0 src0_sel:BYTE_0
	s_nop 0
	v_mul_f32_e32 v0, v6, v0
	v_and_b32_e32 v7, 0x7f800000, v0
	v_cmp_ne_u32_e64 s[4:5], s17, v7
	s_and_saveexec_b64 s[22:23], s[4:5]
	s_xor_b64 s[4:5], exec, s[22:23]
; %bb.144:                              ;   in Loop: Header=BB330_12 Depth=1
	v_bfe_u32 v7, v0, 16, 1
	v_add3_u32 v0, v0, v7, s24
	v_accvgpr_write_b32 a15, v0
                                        ; implicit-def: $vgpr0
; %bb.145:                              ;   in Loop: Header=BB330_12 Depth=1
	s_andn2_saveexec_b64 s[22:23], s[4:5]
; %bb.146:                              ;   in Loop: Header=BB330_12 Depth=1
	v_or_b32_e32 v7, 0x10000, v0
	v_cmp_eq_u32_sdwa s[4:5], v0, v41 src0_sel:WORD_0 src1_sel:DWORD
	s_nop 1
	v_cndmask_b32_e64 v0, v7, v0, s[4:5]
	v_accvgpr_write_b32 a15, v0
; %bb.147:                              ;   in Loop: Header=BB330_12 Depth=1
	s_or_b64 exec, exec, s[22:23]
	v_bfe_u32 v0, v1, 8, 8
	v_cvt_f32_fp8_sdwa v0, v0 src0_sel:BYTE_0
                                        ; implicit-def: $agpr16
	s_nop 0
	v_mul_f32_e32 v0, v6, v0
	v_and_b32_e32 v7, 0x7f800000, v0
	v_cmp_ne_u32_e64 s[4:5], s17, v7
	s_and_saveexec_b64 s[22:23], s[4:5]
	s_xor_b64 s[4:5], exec, s[22:23]
; %bb.148:                              ;   in Loop: Header=BB330_12 Depth=1
	v_bfe_u32 v7, v0, 16, 1
	v_add3_u32 v0, v0, v7, s24
	v_accvgpr_write_b32 a16, v0
                                        ; implicit-def: $vgpr0
; %bb.149:                              ;   in Loop: Header=BB330_12 Depth=1
	s_andn2_saveexec_b64 s[22:23], s[4:5]
; %bb.150:                              ;   in Loop: Header=BB330_12 Depth=1
	v_or_b32_e32 v7, 0x10000, v0
	v_cmp_eq_u32_sdwa s[4:5], v0, v41 src0_sel:WORD_0 src1_sel:DWORD
	s_nop 1
	v_cndmask_b32_e64 v0, v7, v0, s[4:5]
	v_accvgpr_write_b32 a16, v0
; %bb.151:                              ;   in Loop: Header=BB330_12 Depth=1
	s_or_b64 exec, exec, s[22:23]
	v_bfe_u32 v0, v1, 16, 8
	v_cvt_f32_fp8_sdwa v0, v0 src0_sel:BYTE_0
                                        ; implicit-def: $agpr17
	s_nop 0
	v_mul_f32_e32 v7, v6, v0
	v_and_b32_e32 v0, 0x7f800000, v7
	v_cmp_ne_u32_e64 s[4:5], s17, v0
	s_and_saveexec_b64 s[22:23], s[4:5]
	s_xor_b64 s[4:5], exec, s[22:23]
; %bb.152:                              ;   in Loop: Header=BB330_12 Depth=1
	v_bfe_u32 v0, v7, 16, 1
	v_add3_u32 v0, v7, v0, s24
	v_accvgpr_write_b32 a17, v0
                                        ; implicit-def: $vgpr7
; %bb.153:                              ;   in Loop: Header=BB330_12 Depth=1
	s_andn2_saveexec_b64 s[22:23], s[4:5]
; %bb.154:                              ;   in Loop: Header=BB330_12 Depth=1
	v_or_b32_e32 v0, 0x10000, v7
	v_cmp_eq_u32_sdwa s[4:5], v7, v41 src0_sel:WORD_0 src1_sel:DWORD
	s_nop 1
	v_cndmask_b32_e64 v0, v0, v7, s[4:5]
	v_accvgpr_write_b32 a17, v0
; %bb.155:                              ;   in Loop: Header=BB330_12 Depth=1
	s_or_b64 exec, exec, s[22:23]
	v_lshrrev_b32_e32 v1, 24, v1
	v_cvt_f32_fp8_sdwa v1, v1 src0_sel:BYTE_0
                                        ; implicit-def: $agpr2
	s_nop 0
	v_mul_f32_e32 v1, v6, v1
	v_and_b32_e32 v7, 0x7f800000, v1
	v_cmp_ne_u32_e64 s[4:5], s17, v7
	s_and_saveexec_b64 s[22:23], s[4:5]
	s_xor_b64 s[4:5], exec, s[22:23]
; %bb.156:                              ;   in Loop: Header=BB330_12 Depth=1
	v_bfe_u32 v7, v1, 16, 1
	v_add3_u32 v0, v1, v7, s24
	v_accvgpr_write_b32 a2, v0
                                        ; implicit-def: $vgpr1
; %bb.157:                              ;   in Loop: Header=BB330_12 Depth=1
	s_andn2_saveexec_b64 s[22:23], s[4:5]
; %bb.158:                              ;   in Loop: Header=BB330_12 Depth=1
	v_or_b32_e32 v7, 0x10000, v1
	v_cmp_eq_u32_sdwa s[4:5], v1, v41 src0_sel:WORD_0 src1_sel:DWORD
	s_nop 1
	v_cndmask_b32_e64 v0, v7, v1, s[4:5]
	v_accvgpr_write_b32 a2, v0
; %bb.159:                              ;   in Loop: Header=BB330_12 Depth=1
	s_or_b64 exec, exec, s[22:23]
	flat_load_dword v1, v[46:47] offset:2056
                                        ; implicit-def: $agpr37
	s_waitcnt vmcnt(0) lgkmcnt(0)
	v_and_b32_e32 v7, 0xff, v1
	v_cvt_f32_fp8_sdwa v7, v7 src0_sel:BYTE_0
	s_nop 0
	v_mul_f32_e32 v7, v6, v7
	v_and_b32_e32 v8, 0x7f800000, v7
	v_cmp_ne_u32_e64 s[4:5], s17, v8
	s_and_saveexec_b64 s[22:23], s[4:5]
	s_xor_b64 s[4:5], exec, s[22:23]
; %bb.160:                              ;   in Loop: Header=BB330_12 Depth=1
	v_bfe_u32 v8, v7, 16, 1
	v_add3_u32 v0, v7, v8, s24
	v_accvgpr_write_b32 a37, v0
                                        ; implicit-def: $vgpr7
; %bb.161:                              ;   in Loop: Header=BB330_12 Depth=1
	s_andn2_saveexec_b64 s[22:23], s[4:5]
; %bb.162:                              ;   in Loop: Header=BB330_12 Depth=1
	v_or_b32_e32 v8, 0x10000, v7
	v_cmp_eq_u32_sdwa s[4:5], v7, v41 src0_sel:WORD_0 src1_sel:DWORD
	s_nop 1
	v_cndmask_b32_e64 v0, v8, v7, s[4:5]
	v_accvgpr_write_b32 a37, v0
; %bb.163:                              ;   in Loop: Header=BB330_12 Depth=1
	s_or_b64 exec, exec, s[22:23]
	v_bfe_u32 v7, v1, 8, 8
	v_cvt_f32_fp8_sdwa v7, v7 src0_sel:BYTE_0
                                        ; implicit-def: $agpr32
	s_nop 0
	v_mul_f32_e32 v7, v6, v7
	v_and_b32_e32 v8, 0x7f800000, v7
	v_cmp_ne_u32_e64 s[4:5], s17, v8
	s_and_saveexec_b64 s[22:23], s[4:5]
	s_xor_b64 s[4:5], exec, s[22:23]
; %bb.164:                              ;   in Loop: Header=BB330_12 Depth=1
	v_bfe_u32 v8, v7, 16, 1
	v_add3_u32 v0, v7, v8, s24
	v_accvgpr_write_b32 a32, v0
                                        ; implicit-def: $vgpr7
; %bb.165:                              ;   in Loop: Header=BB330_12 Depth=1
	s_andn2_saveexec_b64 s[22:23], s[4:5]
; %bb.166:                              ;   in Loop: Header=BB330_12 Depth=1
	v_or_b32_e32 v8, 0x10000, v7
	v_cmp_eq_u32_sdwa s[4:5], v7, v41 src0_sel:WORD_0 src1_sel:DWORD
	s_nop 1
	v_cndmask_b32_e64 v0, v8, v7, s[4:5]
	v_accvgpr_write_b32 a32, v0
; %bb.167:                              ;   in Loop: Header=BB330_12 Depth=1
	s_or_b64 exec, exec, s[22:23]
	v_bfe_u32 v7, v1, 16, 8
	v_cvt_f32_fp8_sdwa v7, v7 src0_sel:BYTE_0
                                        ; implicit-def: $agpr4
	s_nop 0
	v_mul_f32_e32 v7, v6, v7
	v_and_b32_e32 v16, 0x7f800000, v7
	v_cmp_ne_u32_e64 s[4:5], s17, v16
	s_and_saveexec_b64 s[22:23], s[4:5]
	s_xor_b64 s[4:5], exec, s[22:23]
; %bb.168:                              ;   in Loop: Header=BB330_12 Depth=1
	v_bfe_u32 v16, v7, 16, 1
	v_add3_u32 v0, v7, v16, s24
	v_accvgpr_write_b32 a4, v0
                                        ; implicit-def: $vgpr7
; %bb.169:                              ;   in Loop: Header=BB330_12 Depth=1
	s_andn2_saveexec_b64 s[22:23], s[4:5]
; %bb.170:                              ;   in Loop: Header=BB330_12 Depth=1
	v_or_b32_e32 v16, 0x10000, v7
	v_cmp_eq_u32_sdwa s[4:5], v7, v41 src0_sel:WORD_0 src1_sel:DWORD
	s_nop 1
	v_cndmask_b32_e64 v0, v16, v7, s[4:5]
	v_accvgpr_write_b32 a4, v0
; %bb.171:                              ;   in Loop: Header=BB330_12 Depth=1
	s_or_b64 exec, exec, s[22:23]
	v_lshrrev_b32_e32 v1, 24, v1
	v_cvt_f32_fp8_sdwa v1, v1 src0_sel:BYTE_0
                                        ; implicit-def: $agpr5
	s_nop 0
	v_mul_f32_e32 v1, v6, v1
	v_and_b32_e32 v7, 0x7f800000, v1
	v_cmp_ne_u32_e64 s[4:5], s17, v7
	s_and_saveexec_b64 s[22:23], s[4:5]
	s_xor_b64 s[4:5], exec, s[22:23]
; %bb.172:                              ;   in Loop: Header=BB330_12 Depth=1
	v_bfe_u32 v7, v1, 16, 1
	v_add3_u32 v0, v1, v7, s24
	v_accvgpr_write_b32 a5, v0
                                        ; implicit-def: $vgpr1
; %bb.173:                              ;   in Loop: Header=BB330_12 Depth=1
	s_andn2_saveexec_b64 s[22:23], s[4:5]
; %bb.174:                              ;   in Loop: Header=BB330_12 Depth=1
	v_or_b32_e32 v7, 0x10000, v1
	v_cmp_eq_u32_sdwa s[4:5], v1, v41 src0_sel:WORD_0 src1_sel:DWORD
	s_nop 1
	v_cndmask_b32_e64 v0, v7, v1, s[4:5]
	v_accvgpr_write_b32 a5, v0
; %bb.175:                              ;   in Loop: Header=BB330_12 Depth=1
	s_or_b64 exec, exec, s[22:23]
	flat_load_dword v7, v[46:47] offset:2560
                                        ; implicit-def: $agpr38
	s_waitcnt vmcnt(0) lgkmcnt(0)
	v_and_b32_e32 v1, 0xff, v7
	v_cvt_f32_fp8_sdwa v1, v1 src0_sel:BYTE_0
	s_nop 0
	v_mul_f32_e32 v1, v6, v1
	v_and_b32_e32 v16, 0x7f800000, v1
	v_cmp_ne_u32_e64 s[4:5], s17, v16
	s_and_saveexec_b64 s[22:23], s[4:5]
	s_xor_b64 s[4:5], exec, s[22:23]
; %bb.176:                              ;   in Loop: Header=BB330_12 Depth=1
	v_bfe_u32 v16, v1, 16, 1
	v_add3_u32 v0, v1, v16, s24
	v_accvgpr_write_b32 a38, v0
                                        ; implicit-def: $vgpr1
; %bb.177:                              ;   in Loop: Header=BB330_12 Depth=1
	s_andn2_saveexec_b64 s[22:23], s[4:5]
; %bb.178:                              ;   in Loop: Header=BB330_12 Depth=1
	v_or_b32_e32 v16, 0x10000, v1
	v_cmp_eq_u32_sdwa s[4:5], v1, v41 src0_sel:WORD_0 src1_sel:DWORD
	s_nop 1
	v_cndmask_b32_e64 v0, v16, v1, s[4:5]
	v_accvgpr_write_b32 a38, v0
; %bb.179:                              ;   in Loop: Header=BB330_12 Depth=1
	s_or_b64 exec, exec, s[22:23]
	v_bfe_u32 v1, v7, 8, 8
	v_cvt_f32_fp8_sdwa v1, v1 src0_sel:BYTE_0
                                        ; implicit-def: $agpr27
	s_nop 0
	v_mul_f32_e32 v1, v6, v1
	v_and_b32_e32 v20, 0x7f800000, v1
	v_cmp_ne_u32_e64 s[4:5], s17, v20
	s_and_saveexec_b64 s[22:23], s[4:5]
	s_xor_b64 s[4:5], exec, s[22:23]
; %bb.180:                              ;   in Loop: Header=BB330_12 Depth=1
	v_bfe_u32 v20, v1, 16, 1
	v_add3_u32 v0, v1, v20, s24
	v_accvgpr_write_b32 a27, v0
                                        ; implicit-def: $vgpr1
; %bb.181:                              ;   in Loop: Header=BB330_12 Depth=1
	s_andn2_saveexec_b64 s[22:23], s[4:5]
; %bb.182:                              ;   in Loop: Header=BB330_12 Depth=1
	v_or_b32_e32 v20, 0x10000, v1
	v_cmp_eq_u32_sdwa s[4:5], v1, v41 src0_sel:WORD_0 src1_sel:DWORD
	s_nop 1
	v_cndmask_b32_e64 v0, v20, v1, s[4:5]
	v_accvgpr_write_b32 a27, v0
; %bb.183:                              ;   in Loop: Header=BB330_12 Depth=1
	s_or_b64 exec, exec, s[22:23]
	v_bfe_u32 v1, v7, 16, 8
	v_cvt_f32_fp8_sdwa v1, v1 src0_sel:BYTE_0
                                        ; implicit-def: $agpr8
	s_nop 0
	v_mul_f32_e32 v20, v6, v1
	v_and_b32_e32 v1, 0x7f800000, v20
	v_cmp_ne_u32_e64 s[4:5], s17, v1
	s_and_saveexec_b64 s[22:23], s[4:5]
	s_xor_b64 s[4:5], exec, s[22:23]
; %bb.184:                              ;   in Loop: Header=BB330_12 Depth=1
	v_bfe_u32 v1, v20, 16, 1
	v_add3_u32 v0, v20, v1, s24
	v_accvgpr_write_b32 a8, v0
                                        ; implicit-def: $vgpr20
; %bb.185:                              ;   in Loop: Header=BB330_12 Depth=1
	s_andn2_saveexec_b64 s[22:23], s[4:5]
; %bb.186:                              ;   in Loop: Header=BB330_12 Depth=1
	v_or_b32_e32 v1, 0x10000, v20
	v_cmp_eq_u32_sdwa s[4:5], v20, v41 src0_sel:WORD_0 src1_sel:DWORD
	s_nop 1
	v_cndmask_b32_e64 v0, v1, v20, s[4:5]
	v_accvgpr_write_b32 a8, v0
; %bb.187:                              ;   in Loop: Header=BB330_12 Depth=1
	s_or_b64 exec, exec, s[22:23]
	v_lshrrev_b32_e32 v7, 24, v7
	v_cvt_f32_fp8_sdwa v7, v7 src0_sel:BYTE_0
                                        ; implicit-def: $agpr6
	s_nop 0
	v_mul_f32_e32 v7, v6, v7
	v_and_b32_e32 v20, 0x7f800000, v7
	v_cmp_ne_u32_e64 s[4:5], s17, v20
	s_and_saveexec_b64 s[22:23], s[4:5]
	s_xor_b64 s[4:5], exec, s[22:23]
; %bb.188:                              ;   in Loop: Header=BB330_12 Depth=1
	v_bfe_u32 v20, v7, 16, 1
	v_add3_u32 v0, v7, v20, s24
	v_accvgpr_write_b32 a6, v0
                                        ; implicit-def: $vgpr7
; %bb.189:                              ;   in Loop: Header=BB330_12 Depth=1
	s_andn2_saveexec_b64 s[22:23], s[4:5]
; %bb.190:                              ;   in Loop: Header=BB330_12 Depth=1
	v_or_b32_e32 v20, 0x10000, v7
	v_cmp_eq_u32_sdwa s[4:5], v7, v41 src0_sel:WORD_0 src1_sel:DWORD
	s_nop 1
	v_cndmask_b32_e64 v0, v20, v7, s[4:5]
	v_accvgpr_write_b32 a6, v0
; %bb.191:                              ;   in Loop: Header=BB330_12 Depth=1
	s_or_b64 exec, exec, s[22:23]
	flat_load_dword v7, v[46:47] offset:2568
                                        ; implicit-def: $agpr13
	s_waitcnt vmcnt(0) lgkmcnt(0)
	v_and_b32_e32 v20, 0xff, v7
	v_cvt_f32_fp8_sdwa v20, v20 src0_sel:BYTE_0
	s_nop 0
	v_mul_f32_e32 v20, v6, v20
	v_and_b32_e32 v21, 0x7f800000, v20
	v_cmp_ne_u32_e64 s[4:5], s17, v21
	s_and_saveexec_b64 s[22:23], s[4:5]
	s_xor_b64 s[4:5], exec, s[22:23]
; %bb.192:                              ;   in Loop: Header=BB330_12 Depth=1
	v_bfe_u32 v21, v20, 16, 1
	v_add3_u32 v0, v20, v21, s24
	v_accvgpr_write_b32 a13, v0
                                        ; implicit-def: $vgpr20
; %bb.193:                              ;   in Loop: Header=BB330_12 Depth=1
	s_andn2_saveexec_b64 s[22:23], s[4:5]
; %bb.194:                              ;   in Loop: Header=BB330_12 Depth=1
	v_or_b32_e32 v21, 0x10000, v20
	v_cmp_eq_u32_sdwa s[4:5], v20, v41 src0_sel:WORD_0 src1_sel:DWORD
	s_nop 1
	v_cndmask_b32_e64 v0, v21, v20, s[4:5]
	v_accvgpr_write_b32 a13, v0
; %bb.195:                              ;   in Loop: Header=BB330_12 Depth=1
	s_or_b64 exec, exec, s[22:23]
	v_bfe_u32 v20, v7, 8, 8
	v_cvt_f32_fp8_sdwa v20, v20 src0_sel:BYTE_0
                                        ; implicit-def: $agpr7
	s_nop 0
	v_mul_f32_e32 v24, v6, v20
	v_and_b32_e32 v20, 0x7f800000, v24
	v_cmp_ne_u32_e64 s[4:5], s17, v20
	s_and_saveexec_b64 s[22:23], s[4:5]
	s_xor_b64 s[4:5], exec, s[22:23]
; %bb.196:                              ;   in Loop: Header=BB330_12 Depth=1
	v_bfe_u32 v20, v24, 16, 1
	v_add3_u32 v0, v24, v20, s24
	v_accvgpr_write_b32 a7, v0
                                        ; implicit-def: $vgpr24
; %bb.197:                              ;   in Loop: Header=BB330_12 Depth=1
	s_andn2_saveexec_b64 s[22:23], s[4:5]
; %bb.198:                              ;   in Loop: Header=BB330_12 Depth=1
	v_or_b32_e32 v20, 0x10000, v24
	v_cmp_eq_u32_sdwa s[4:5], v24, v41 src0_sel:WORD_0 src1_sel:DWORD
	s_nop 1
	v_cndmask_b32_e64 v0, v20, v24, s[4:5]
	v_accvgpr_write_b32 a7, v0
; %bb.199:                              ;   in Loop: Header=BB330_12 Depth=1
	s_or_b64 exec, exec, s[22:23]
	v_bfe_u32 v24, v7, 16, 8
	v_cvt_f32_fp8_sdwa v24, v24 src0_sel:BYTE_0
                                        ; implicit-def: $agpr9
	s_nop 0
	v_mul_f32_e32 v24, v6, v24
	v_and_b32_e32 v26, 0x7f800000, v24
	v_cmp_ne_u32_e64 s[4:5], s17, v26
	s_and_saveexec_b64 s[22:23], s[4:5]
	s_xor_b64 s[4:5], exec, s[22:23]
; %bb.200:                              ;   in Loop: Header=BB330_12 Depth=1
	v_bfe_u32 v26, v24, 16, 1
	v_add3_u32 v0, v24, v26, s24
	v_accvgpr_write_b32 a9, v0
                                        ; implicit-def: $vgpr24
; %bb.201:                              ;   in Loop: Header=BB330_12 Depth=1
	s_andn2_saveexec_b64 s[22:23], s[4:5]
; %bb.202:                              ;   in Loop: Header=BB330_12 Depth=1
	v_or_b32_e32 v26, 0x10000, v24
	v_cmp_eq_u32_sdwa s[4:5], v24, v41 src0_sel:WORD_0 src1_sel:DWORD
	s_nop 1
	v_cndmask_b32_e64 v0, v26, v24, s[4:5]
	v_accvgpr_write_b32 a9, v0
; %bb.203:                              ;   in Loop: Header=BB330_12 Depth=1
	s_or_b64 exec, exec, s[22:23]
	v_lshrrev_b32_e32 v7, 24, v7
	v_cvt_f32_fp8_sdwa v7, v7 src0_sel:BYTE_0
                                        ; implicit-def: $agpr11
	s_nop 0
	v_mul_f32_e32 v7, v6, v7
	v_and_b32_e32 v24, 0x7f800000, v7
	v_cmp_ne_u32_e64 s[4:5], s17, v24
	s_and_saveexec_b64 s[22:23], s[4:5]
	s_xor_b64 s[4:5], exec, s[22:23]
; %bb.204:                              ;   in Loop: Header=BB330_12 Depth=1
	v_bfe_u32 v24, v7, 16, 1
	v_add3_u32 v0, v7, v24, s24
	v_accvgpr_write_b32 a11, v0
                                        ; implicit-def: $vgpr7
; %bb.205:                              ;   in Loop: Header=BB330_12 Depth=1
	s_andn2_saveexec_b64 s[22:23], s[4:5]
; %bb.206:                              ;   in Loop: Header=BB330_12 Depth=1
	v_or_b32_e32 v24, 0x10000, v7
	v_cmp_eq_u32_sdwa s[4:5], v7, v41 src0_sel:WORD_0 src1_sel:DWORD
	s_nop 1
	v_cndmask_b32_e64 v0, v24, v7, s[4:5]
	v_accvgpr_write_b32 a11, v0
; %bb.207:                              ;   in Loop: Header=BB330_12 Depth=1
	s_or_b64 exec, exec, s[22:23]
	flat_load_dword v7, v[46:47] offset:3072
                                        ; implicit-def: $agpr28
	s_waitcnt vmcnt(0) lgkmcnt(0)
	v_and_b32_e32 v24, 0xff, v7
	v_cvt_f32_fp8_sdwa v24, v24 src0_sel:BYTE_0
	s_nop 0
	v_mul_f32_e32 v24, v6, v24
	v_and_b32_e32 v26, 0x7f800000, v24
	v_cmp_ne_u32_e64 s[4:5], s17, v26
	s_and_saveexec_b64 s[22:23], s[4:5]
	s_xor_b64 s[4:5], exec, s[22:23]
; %bb.208:                              ;   in Loop: Header=BB330_12 Depth=1
	v_bfe_u32 v26, v24, 16, 1
	v_add3_u32 v0, v24, v26, s24
	v_accvgpr_write_b32 a28, v0
                                        ; implicit-def: $vgpr24
; %bb.209:                              ;   in Loop: Header=BB330_12 Depth=1
	s_andn2_saveexec_b64 s[22:23], s[4:5]
; %bb.210:                              ;   in Loop: Header=BB330_12 Depth=1
	v_or_b32_e32 v26, 0x10000, v24
	v_cmp_eq_u32_sdwa s[4:5], v24, v41 src0_sel:WORD_0 src1_sel:DWORD
	s_nop 1
	v_cndmask_b32_e64 v0, v26, v24, s[4:5]
	v_accvgpr_write_b32 a28, v0
; %bb.211:                              ;   in Loop: Header=BB330_12 Depth=1
	s_or_b64 exec, exec, s[22:23]
	v_bfe_u32 v24, v7, 8, 8
	v_cvt_f32_fp8_sdwa v24, v24 src0_sel:BYTE_0
                                        ; implicit-def: $vgpr14
	s_nop 0
	v_mul_f32_e32 v24, v6, v24
	v_and_b32_e32 v26, 0x7f800000, v24
	v_cmp_ne_u32_e64 s[4:5], s17, v26
	s_and_saveexec_b64 s[22:23], s[4:5]
	s_xor_b64 s[4:5], exec, s[22:23]
; %bb.212:                              ;   in Loop: Header=BB330_12 Depth=1
	v_bfe_u32 v26, v24, 16, 1
	v_add3_u32 v14, v24, v26, s24
                                        ; implicit-def: $vgpr24
; %bb.213:                              ;   in Loop: Header=BB330_12 Depth=1
	s_andn2_saveexec_b64 s[22:23], s[4:5]
; %bb.214:                              ;   in Loop: Header=BB330_12 Depth=1
	v_or_b32_e32 v26, 0x10000, v24
	v_cmp_eq_u32_sdwa s[4:5], v24, v41 src0_sel:WORD_0 src1_sel:DWORD
	s_nop 1
	v_cndmask_b32_e64 v14, v26, v24, s[4:5]
; %bb.215:                              ;   in Loop: Header=BB330_12 Depth=1
	s_or_b64 exec, exec, s[22:23]
	v_bfe_u32 v24, v7, 16, 8
	v_cvt_f32_fp8_sdwa v24, v24 src0_sel:BYTE_0
                                        ; implicit-def: $vgpr52
	s_nop 0
	v_mul_f32_e32 v24, v6, v24
	v_and_b32_e32 v26, 0x7f800000, v24
	v_cmp_ne_u32_e64 s[4:5], s17, v26
	s_and_saveexec_b64 s[22:23], s[4:5]
	s_xor_b64 s[4:5], exec, s[22:23]
; %bb.216:                              ;   in Loop: Header=BB330_12 Depth=1
	v_bfe_u32 v26, v24, 16, 1
	v_add3_u32 v52, v24, v26, s24
                                        ; implicit-def: $vgpr24
; %bb.217:                              ;   in Loop: Header=BB330_12 Depth=1
	s_andn2_saveexec_b64 s[22:23], s[4:5]
; %bb.218:                              ;   in Loop: Header=BB330_12 Depth=1
	v_or_b32_e32 v26, 0x10000, v24
	v_cmp_eq_u32_sdwa s[4:5], v24, v41 src0_sel:WORD_0 src1_sel:DWORD
	s_nop 1
	v_cndmask_b32_e64 v52, v26, v24, s[4:5]
; %bb.219:                              ;   in Loop: Header=BB330_12 Depth=1
	s_or_b64 exec, exec, s[22:23]
	v_lshrrev_b32_e32 v7, 24, v7
	v_cvt_f32_fp8_sdwa v7, v7 src0_sel:BYTE_0
	s_nop 0
	v_mul_f32_e32 v24, v6, v7
	v_and_b32_e32 v7, 0x7f800000, v24
	v_cmp_ne_u32_e64 s[4:5], s17, v7
                                        ; implicit-def: $vgpr7
	s_and_saveexec_b64 s[22:23], s[4:5]
	s_xor_b64 s[4:5], exec, s[22:23]
; %bb.220:                              ;   in Loop: Header=BB330_12 Depth=1
	v_bfe_u32 v7, v24, 16, 1
	v_add3_u32 v7, v24, v7, s24
                                        ; implicit-def: $vgpr24
; %bb.221:                              ;   in Loop: Header=BB330_12 Depth=1
	s_andn2_saveexec_b64 s[22:23], s[4:5]
; %bb.222:                              ;   in Loop: Header=BB330_12 Depth=1
	v_or_b32_e32 v7, 0x10000, v24
	v_cmp_eq_u32_sdwa s[4:5], v24, v41 src0_sel:WORD_0 src1_sel:DWORD
	s_nop 1
	v_cndmask_b32_e64 v7, v7, v24, s[4:5]
; %bb.223:                              ;   in Loop: Header=BB330_12 Depth=1
	s_or_b64 exec, exec, s[22:23]
	flat_load_dword v24, v[46:47] offset:3080
                                        ; implicit-def: $vgpr46
	s_waitcnt vmcnt(0) lgkmcnt(0)
	v_and_b32_e32 v26, 0xff, v24
	v_cvt_f32_fp8_sdwa v26, v26 src0_sel:BYTE_0
	s_nop 0
	v_mul_f32_e32 v26, v6, v26
	v_and_b32_e32 v53, 0x7f800000, v26
	v_cmp_ne_u32_e64 s[4:5], s17, v53
	s_and_saveexec_b64 s[22:23], s[4:5]
	s_xor_b64 s[4:5], exec, s[22:23]
; %bb.224:                              ;   in Loop: Header=BB330_12 Depth=1
	v_bfe_u32 v53, v26, 16, 1
	v_add3_u32 v46, v26, v53, s24
                                        ; implicit-def: $vgpr26
; %bb.225:                              ;   in Loop: Header=BB330_12 Depth=1
	s_andn2_saveexec_b64 s[22:23], s[4:5]
; %bb.226:                              ;   in Loop: Header=BB330_12 Depth=1
	v_or_b32_e32 v53, 0x10000, v26
	v_cmp_eq_u32_sdwa s[4:5], v26, v41 src0_sel:WORD_0 src1_sel:DWORD
	s_nop 1
	v_cndmask_b32_e64 v46, v53, v26, s[4:5]
; %bb.227:                              ;   in Loop: Header=BB330_12 Depth=1
	s_or_b64 exec, exec, s[22:23]
	v_bfe_u32 v26, v24, 8, 8
	v_cvt_f32_fp8_sdwa v26, v26 src0_sel:BYTE_0
                                        ; implicit-def: $vgpr58
	s_nop 0
	v_mul_f32_e32 v26, v6, v26
	v_and_b32_e32 v53, 0x7f800000, v26
	v_cmp_ne_u32_e64 s[4:5], s17, v53
	s_and_saveexec_b64 s[22:23], s[4:5]
	s_xor_b64 s[4:5], exec, s[22:23]
; %bb.228:                              ;   in Loop: Header=BB330_12 Depth=1
	v_bfe_u32 v53, v26, 16, 1
	v_add3_u32 v58, v26, v53, s24
                                        ; implicit-def: $vgpr26
; %bb.229:                              ;   in Loop: Header=BB330_12 Depth=1
	s_andn2_saveexec_b64 s[22:23], s[4:5]
; %bb.230:                              ;   in Loop: Header=BB330_12 Depth=1
	v_or_b32_e32 v53, 0x10000, v26
	v_cmp_eq_u32_sdwa s[4:5], v26, v41 src0_sel:WORD_0 src1_sel:DWORD
	s_nop 1
	v_cndmask_b32_e64 v58, v53, v26, s[4:5]
; %bb.231:                              ;   in Loop: Header=BB330_12 Depth=1
	s_or_b64 exec, exec, s[22:23]
	v_bfe_u32 v26, v24, 16, 8
	v_cvt_f32_fp8_sdwa v26, v26 src0_sel:BYTE_0
                                        ; implicit-def: $vgpr47
	s_nop 0
	v_mul_f32_e32 v26, v6, v26
	v_and_b32_e32 v53, 0x7f800000, v26
	v_cmp_ne_u32_e64 s[4:5], s17, v53
	s_and_saveexec_b64 s[22:23], s[4:5]
	s_xor_b64 s[4:5], exec, s[22:23]
; %bb.232:                              ;   in Loop: Header=BB330_12 Depth=1
	v_bfe_u32 v53, v26, 16, 1
	v_add3_u32 v47, v26, v53, s24
                                        ; implicit-def: $vgpr26
; %bb.233:                              ;   in Loop: Header=BB330_12 Depth=1
	s_andn2_saveexec_b64 s[22:23], s[4:5]
; %bb.234:                              ;   in Loop: Header=BB330_12 Depth=1
	v_or_b32_e32 v53, 0x10000, v26
	v_cmp_eq_u32_sdwa s[4:5], v26, v41 src0_sel:WORD_0 src1_sel:DWORD
	s_nop 1
	v_cndmask_b32_e64 v47, v53, v26, s[4:5]
; %bb.235:                              ;   in Loop: Header=BB330_12 Depth=1
	s_or_b64 exec, exec, s[22:23]
	v_lshrrev_b32_e32 v24, 24, v24
	v_cvt_f32_fp8_sdwa v24, v24 src0_sel:BYTE_0
	s_nop 0
	v_mul_f32_e32 v24, v6, v24
	v_and_b32_e32 v6, 0x7f800000, v24
	v_cmp_ne_u32_e64 s[4:5], s17, v6
                                        ; implicit-def: $vgpr6
	s_and_saveexec_b64 s[22:23], s[4:5]
	s_xor_b64 s[4:5], exec, s[22:23]
; %bb.236:                              ;   in Loop: Header=BB330_12 Depth=1
	v_bfe_u32 v6, v24, 16, 1
	v_add3_u32 v6, v24, v6, s24
                                        ; implicit-def: $vgpr24
; %bb.237:                              ;   in Loop: Header=BB330_12 Depth=1
	s_or_saveexec_b64 s[22:23], s[4:5]
	v_accvgpr_write_b32 a33, v11
	s_xor_b64 exec, exec, s[22:23]
; %bb.238:                              ;   in Loop: Header=BB330_12 Depth=1
	v_or_b32_e32 v6, 0x10000, v24
	v_cmp_eq_u32_sdwa s[4:5], v24, v41 src0_sel:WORD_0 src1_sel:DWORD
	s_nop 1
	v_cndmask_b32_e64 v6, v6, v24, s[4:5]
; %bb.239:                              ;   in Loop: Header=BB330_12 Depth=1
	s_or_b64 exec, exec, s[22:23]
	v_lshlrev_b32_e32 v53, 16, v48
	v_and_b32_e32 v61, 0xffff0000, v48
	v_lshlrev_b32_e32 v22, 16, v36
	v_lshlrev_b32_e32 v13, 16, v37
	;; [unrolled: 1-line block ×3, first 2 shown]
	v_and_b32_e32 v42, 0xffff0000, v36
	v_and_b32_e32 v43, 0xffff0000, v37
	;; [unrolled: 1-line block ×3, first 2 shown]
	v_lshlrev_b32_e32 v1, 16, v32
	v_lshlrev_b32_e32 v23, 16, v33
	;; [unrolled: 1-line block ×3, first 2 shown]
	v_and_b32_e32 v60, 0xffff0000, v32
	v_and_b32_e32 v57, 0xffff0000, v33
	;; [unrolled: 1-line block ×3, first 2 shown]
	v_lshlrev_b32_e32 v24, 16, v29
	v_and_b32_e32 v26, 0xffff0000, v29
	v_lshlrev_b32_e32 v38, 16, v2
	v_lshlrev_b32_e32 v36, 16, v3
	;; [unrolled: 1-line block ×4, first 2 shown]
	v_and_b32_e32 v48, 0xffff0000, v2
	v_and_b32_e32 v37, 0xffff0000, v3
	v_and_b32_e32 v35, 0xffff0000, v4
	v_and_b32_e32 v32, 0xffff0000, v5
	v_accvgpr_read_b32 v2, a42
	v_accvgpr_read_b32 v5, a45
	v_lshlrev_b32_e32 v25, 16, v49
	v_and_b32_e32 v0, 0xffff0000, v49
	v_lshlrev_b32_e32 v8, 16, v39
	v_and_b32_e32 v27, 0xffff0000, v39
	;; [unrolled: 2-line block ×5, first 2 shown]
	v_and_b32_e32 v2, 0xffff0000, v5
	v_accvgpr_read_b32 v3, a43
	v_accvgpr_read_b32 v4, a44
	v_accvgpr_write_b32 a42, v2
	v_accvgpr_read_b32 v2, a49
	v_lshlrev_b32_e32 v10, 16, v50
	v_lshlrev_b32_e32 v11, 16, v51
	v_and_b32_e32 v56, 0xffff0000, v50
	v_and_b32_e32 v17, 0xffff0000, v51
	v_lshlrev_b32_e32 v62, 16, v28
	v_lshlrev_b32_e32 v50, 16, v30
	v_and_b32_e32 v12, 0xffff0000, v28
	v_and_b32_e32 v51, 0xffff0000, v30
	v_lshlrev_b32_e32 v28, 16, v3
	v_and_b32_e32 v30, 0xffff0000, v3
	v_and_b32_e32 v2, 0xffff0000, v2
	v_accvgpr_read_b32 v3, a41
	v_lshlrev_b32_e32 v15, 16, v4
	v_mul_f32_e32 v2, v10, v2
	v_and_b32_e32 v3, 0xffff0000, v3
	v_accvgpr_write_b32 a43, v15
	v_lshlrev_b32_e32 v15, 16, v5
	v_fmac_f32_e32 v2, v53, v3
	v_accvgpr_read_b32 v3, a50
	v_accvgpr_write_b32 a29, v15
	v_and_b32_e32 v15, 0xffff0000, v4
	v_and_b32_e32 v3, 0xffff0000, v3
	v_accvgpr_read_b32 v4, a46
	v_mul_f32_e32 v3, v56, v3
	v_and_b32_e32 v4, 0xffff0000, v4
	v_fmac_f32_e32 v3, v61, v4
	v_accvgpr_read_b32 v4, a51
	v_and_b32_e32 v4, 0xffff0000, v4
	v_accvgpr_read_b32 v5, a47
	v_mul_f32_e32 v4, v11, v4
	v_and_b32_e32 v5, 0xffff0000, v5
	v_fmac_f32_e32 v4, v25, v5
	v_accvgpr_read_b32 v5, a52
	;; [unrolled: 6-line block ×3, first 2 shown]
	v_and_b32_e32 v0, 0xffff0000, v0
	v_fmac_f32_e32 v2, v22, v0
	v_accvgpr_read_b32 v0, a54
	v_and_b32_e32 v0, 0xffff0000, v0
	v_fmac_f32_e32 v3, v42, v0
	v_accvgpr_read_b32 v0, a55
	;; [unrolled: 3-line block ×11, first 2 shown]
	v_and_b32_e32 v0, 0xffff0000, v0
	v_fmac_f32_e32 v5, v57, v0
	scratch_load_dword v57, off, s32 offset:240 ; 4-byte Folded Reload
	v_accvgpr_read_b32 v0, a1
	v_and_b32_e32 v0, 0xffff0000, v0
	v_fmac_f32_e32 v2, v21, v0
	v_accvgpr_read_b32 v0, a26
	v_and_b32_e32 v0, 0xffff0000, v0
	v_fmac_f32_e32 v3, v54, v0
	;; [unrolled: 3-line block ×6, first 2 shown]
	v_accvgpr_read_b32 v0, a28
	v_and_b32_e32 v55, 0xffff0000, v0
	v_accvgpr_read_b32 v0, a9
	v_and_b32_e32 v60, 0xffff0000, v0
	;; [unrolled: 2-line block ×6, first 2 shown]
	v_accvgpr_read_b32 v0, a6
	v_accvgpr_read_b32 v27, a14
	;; [unrolled: 1-line block ×3, first 2 shown]
	v_and_b32_e32 v1, 0xffff0000, v0
	v_accvgpr_read_b32 v0, a27
	v_accvgpr_read_b32 v10, a32
	;; [unrolled: 1-line block ×4, first 2 shown]
	v_and_b32_e32 v27, 0xffff0000, v27
	v_and_b32_e32 v42, 0xffff0000, v42
	v_accvgpr_read_b32 v43, a30
	v_and_b32_e32 v62, 0xffff0000, v14
	v_and_b32_e32 v23, 0xffff0000, v0
	v_accvgpr_read_b32 v0, a38
	v_and_b32_e32 v14, 0xffff0000, v10
	v_accvgpr_read_b32 v10, a37
	v_accvgpr_read_b32 v11, a17
	v_and_b32_e32 v17, 0xffff0000, v17
	v_and_b32_e32 v19, 0xffff0000, v19
	v_accvgpr_read_b32 v22, a19
	v_and_b32_e32 v43, 0xffff0000, v43
	v_fmac_f32_e32 v4, v24, v42
	v_fmac_f32_e32 v2, v50, v27
	v_and_b32_e32 v16, 0xffff0000, v0
	v_accvgpr_read_b32 v0, a4
	v_and_b32_e32 v10, 0xffff0000, v10
	v_and_b32_e32 v11, 0xffff0000, v11
	v_accvgpr_read_b32 v12, a2
	v_and_b32_e32 v22, 0xffff0000, v22
	v_fmac_f32_e32 v5, v26, v43
	v_fmac_f32_e32 v4, v49, v19
	;; [unrolled: 1-line block ×3, first 2 shown]
	v_and_b32_e32 v0, 0xffff0000, v0
	v_accvgpr_read_b32 v8, a5
	v_and_b32_e32 v12, 0xffff0000, v12
	v_fmac_f32_e32 v5, v39, v22
	v_fmac_f32_e32 v4, v36, v11
	;; [unrolled: 1-line block ×3, first 2 shown]
	v_and_b32_e32 v8, 0xffff0000, v8
	v_fmac_f32_e32 v5, v37, v12
	v_fmac_f32_e32 v4, v29, v0
	;; [unrolled: 1-line block ×3, first 2 shown]
	v_accvgpr_read_b32 v0, a43
	v_accvgpr_read_b32 v25, a20
	v_fmac_f32_e32 v5, v32, v8
	v_fmac_f32_e32 v4, v28, v53
	;; [unrolled: 1-line block ×3, first 2 shown]
	v_accvgpr_read_b32 v0, a29
	v_accvgpr_read_b32 v11, a33
	;; [unrolled: 1-line block ×3, first 2 shown]
	v_and_b32_e32 v25, 0xffff0000, v25
	v_fmac_f32_e32 v5, v30, v1
	v_fmac_f32_e32 v4, v0, v60
	ds_read_b64 v[0:1], v11 offset:102
	v_and_b32_e32 v13, 0xffff0000, v13
	v_fmac_f32_e32 v3, v51, v25
	s_waitcnt vmcnt(0)
	v_and_b32_e32 v42, 64, v57
	v_fmac_f32_e32 v3, v48, v13
	v_accvgpr_read_b32 v8, a42
	v_xor_b32_e32 v24, 1, v57
	v_add_u32_e32 v42, 64, v42
	v_fmac_f32_e32 v3, v35, v14
	v_fmac_f32_e32 v5, v8, v54
	ds_read_u16 v8, v11 offset:110
	v_cmp_lt_i32_e64 s[4:5], v24, v42
	v_accvgpr_read_b32 v61, a39
	v_fmac_f32_e32 v3, v34, v23
	v_and_b32_e32 v7, 0xffff0000, v7
	v_lshlrev_b32_e32 v42, 16, v61
	v_accvgpr_read_b32 v56, a40
	v_cndmask_b32_e64 v24, v57, v24, s[4:5]
	v_and_b32_e32 v57, 0xffff0000, v61
	v_fmac_f32_e32 v3, v15, v20
	s_waitcnt lgkmcnt(1)
	v_lshlrev_b32_e32 v10, 16, v0
	v_and_b32_e32 v58, 0xffff0000, v58
	v_and_b32_e32 v46, 0xffff0000, v46
	;; [unrolled: 1-line block ×3, first 2 shown]
	v_lshlrev_b32_e32 v56, 16, v56
	v_fmac_f32_e32 v2, v42, v55
	v_fmac_f32_e32 v3, v57, v62
	;; [unrolled: 1-line block ×3, first 2 shown]
	v_and_b32_e32 v0, 0xffff0000, v0
	v_lshlrev_b32_e32 v7, 16, v1
	v_and_b32_e32 v47, 0xffff0000, v47
	v_fmac_f32_e32 v4, v56, v52
	v_fmac_f32_e32 v2, v0, v46
	;; [unrolled: 1-line block ×3, first 2 shown]
	v_and_b32_e32 v0, 0xffff0000, v1
	v_and_b32_e32 v6, 0xffff0000, v6
	s_waitcnt lgkmcnt(0)
	v_lshlrev_b32_e32 v1, 16, v8
	v_fmac_f32_e32 v4, v0, v47
	v_add_f32_e32 v0, v2, v3
	v_fmac_f32_e32 v5, v1, v6
	v_add_f32_e32 v0, v0, v4
	v_lshlrev_b32_e32 v24, 2, v24
	v_add_f32_e32 v0, v5, v0
	ds_bpermute_b32 v1, v24, v0
	s_and_saveexec_b64 s[22:23], vcc
	s_cbranch_execz .LBB330_10
; %bb.240:                              ;   in Loop: Header=BB330_12 Depth=1
	scratch_load_dword v2, off, s32 offset:252 ; 4-byte Folded Reload
	scratch_load_dword v3, off, s32 offset:256 ; 4-byte Folded Reload
	;; [unrolled: 1-line block ×3, first 2 shown]
	s_waitcnt lgkmcnt(0)
	v_add_f32_e32 v0, v0, v1
	scratch_load_dword v1, off, s32 offset:248 ; 4-byte Folded Reload
	s_load_dword s4, s[12:13], 0x0
	s_waitcnt vmcnt(3)
	v_add_u32_e32 v2, v2, v18
	v_cvt_f32_i32_e32 v2, v2
	s_waitcnt vmcnt(2)
	v_add_u32_e32 v3, v3, v18
	s_waitcnt vmcnt(1)
	v_mul_f32_e32 v2, v4, v2
	v_cndmask_b32_e64 v2, 0, v2, s[2:3]
	s_waitcnt vmcnt(0)
	v_fmac_f32_e32 v2, v0, v1
	v_accvgpr_read_b32 v0, a3
	s_waitcnt lgkmcnt(0)
	v_add_u32_e32 v4, s4, v63
	v_cmp_lt_i32_e64 s[4:5], v3, v0
	s_nop 1
	v_cndmask_b32_e64 v0, 0, v2, s[4:5]
	ds_write_b32 v4, v0
	v_max_f32_e32 v0, v9, v9
	v_max_f32_e32 v0, v0, v2
	v_cndmask_b32_e64 v9, v9, v0, s[4:5]
	s_branch .LBB330_10
.LBB330_241:
	s_or_b64 exec, exec, s[20:21]
	scratch_load_dwordx2 v[22:23], off, s32 offset:316 ; 8-byte Folded Reload
	scratch_load_dword v26, off, s32 offset:312 ; 4-byte Folded Reload
	scratch_load_dwordx2 v[36:37], off, s32 offset:304 ; 8-byte Folded Reload
	scratch_load_dwordx2 v[30:31], off, s32 offset:296 ; 8-byte Folded Reload
	;; [unrolled: 1-line block ×3, first 2 shown]
	scratch_load_dword v19, off, s32 offset:284 ; 4-byte Folded Reload
	scratch_load_dwordx2 v[24:25], off, s32 offset:276 ; 8-byte Folded Reload
	scratch_load_dword v27, off, s32 offset:272 ; 4-byte Folded Reload
	v_mbcnt_lo_u32_b32 v6, -1, 0
.LBB330_242:
	s_or_b64 exec, exec, s[8:9]
	v_mbcnt_hi_u32_b32 v0, -1, v6
	s_waitcnt lgkmcnt(0)
	v_and_b32_e32 v1, 64, v0
	v_add_u32_e32 v7, 64, v1
	v_xor_b32_e32 v1, 32, v0
	v_cmp_lt_i32_e32 vcc, v1, v7
	v_xor_b32_e32 v4, 16, v0
	v_max_f32_e32 v3, v9, v9
	v_cndmask_b32_e32 v1, v0, v1, vcc
	v_lshlrev_b32_e32 v1, 2, v1
	ds_bpermute_b32 v2, v1, v9
	v_cmp_lt_i32_e32 vcc, v4, v7
	v_xor_b32_e32 v5, 8, v0
	v_xor_b32_e32 v6, 4, v0
	;; [unrolled: 1-line block ×3, first 2 shown]
	s_waitcnt lgkmcnt(0)
	v_max_f32_e32 v2, v2, v2
	v_max_f32_e32 v3, v3, v2
	v_cndmask_b32_e32 v2, v0, v4, vcc
	v_lshlrev_b32_e32 v2, 2, v2
	ds_bpermute_b32 v4, v2, v3
	v_cmp_lt_i32_e32 vcc, v5, v7
	s_lshr_b32 s19, s19, 16
	s_waitcnt lgkmcnt(0)
	v_max_f32_e32 v4, v4, v4
	v_max_f32_e32 v4, v3, v4
	v_cndmask_b32_e32 v3, v0, v5, vcc
	v_lshlrev_b32_e32 v3, 2, v3
	ds_bpermute_b32 v5, v3, v4
	v_cmp_lt_i32_e32 vcc, v6, v7
	s_waitcnt lgkmcnt(0)
	v_max_f32_e32 v5, v5, v5
	v_max_f32_e32 v5, v4, v5
	v_cndmask_b32_e32 v4, v0, v6, vcc
	v_lshlrev_b32_e32 v4, 2, v4
	ds_bpermute_b32 v6, v4, v5
	v_cmp_lt_i32_e32 vcc, v8, v7
	s_waitcnt lgkmcnt(0)
	v_max_f32_e32 v6, v6, v6
	v_max_f32_e32 v6, v5, v6
	v_cndmask_b32_e32 v5, v0, v8, vcc
	v_lshlrev_b32_e32 v16, 2, v5
	scratch_load_dword v5, off, s32 offset:220 ; 4-byte Folded Reload
	ds_bpermute_b32 v8, v16, v6
	s_waitcnt vmcnt(0)
	v_and_b32_e32 v57, 63, v5
	v_accvgpr_read_b32 v5, a12
	v_cmp_eq_u32_e32 vcc, 0, v57
	v_lshlrev_b32_e32 v5, 2, v5
	s_and_saveexec_b64 s[2:3], vcc
	s_cbranch_execz .LBB330_244
; %bb.243:
	s_waitcnt lgkmcnt(0)
	v_max_f32_e32 v8, v8, v8
	v_max_f32_e32 v6, v6, v6
	;; [unrolled: 1-line block ×3, first 2 shown]
	ds_write_b32 v5, v6 offset:224
.LBB330_244:
	s_or_b64 exec, exec, s[2:3]
	v_cmp_gt_u32_e64 s[2:3], 2, v57
	s_waitcnt lgkmcnt(0)
	v_mov_b32_e32 v8, 0xff7fffff
	v_lshlrev_b32_e32 v6, 2, v57
	s_barrier
	s_and_saveexec_b64 s[4:5], s[2:3]
	s_cbranch_execz .LBB330_246
; %bb.245:
	ds_read_b32 v8, v6 offset:224
.LBB330_246:
	s_or_b64 exec, exec, s[4:5]
	v_xor_b32_e32 v9, 1, v0
	v_cmp_lt_i32_e64 s[4:5], v9, v7
	s_nop 1
	v_cndmask_b32_e64 v7, v0, v9, s[4:5]
	v_lshlrev_b32_e32 v17, 2, v7
	s_waitcnt lgkmcnt(0)
	ds_bpermute_b32 v7, v17, v8
	v_max_f32_e32 v8, v8, v8
	v_lshlrev_b32_e32 v0, 2, v0
	v_accvgpr_read_b32 v9, a3
	s_waitcnt lgkmcnt(0)
	v_max_f32_e32 v7, v7, v7
	v_max_f32_e32 v8, v8, v7
	v_and_b32_e32 v7, 0x100, v0
	scratch_load_dword v0, off, s32 offset:192 ; 4-byte Folded Reload
	ds_bpermute_b32 v8, v7, v8
	s_waitcnt vmcnt(0)
	v_lshlrev_b32_e32 v0, 5, v0
	v_min_i32_e32 v0, v0, v9
	scratch_load_dword v9, off, s32 offset:220 ; 4-byte Folded Reload
	s_waitcnt vmcnt(0)
	v_cmp_lt_i32_e64 s[4:5], v9, v0
	v_mov_b32_e32 v9, 0
	s_and_saveexec_b64 s[8:9], s[4:5]
	s_cbranch_execz .LBB330_250
; %bb.247:
	scratch_load_dword v11, off, s32 offset:220 ; 4-byte Folded Reload
	s_ashr_i32 s17, s16, 31
	s_lshl_b64 s[6:7], s[16:17], 2
	s_getpc_b64 s[12:13]
	s_add_u32 s12, s12, llvm.amdgcn.dynlds.offset.table@rel32@lo+4
	s_addc_u32 s13, s13, llvm.amdgcn.dynlds.offset.table@rel32@hi+12
	s_add_u32 s6, s6, s12
	s_addc_u32 s7, s7, s13
	s_load_dword s6, s[6:7], 0x0
	s_mov_b64 s[12:13], 0
	v_mov_b32_e32 v9, 0
	s_waitcnt vmcnt(0) lgkmcnt(0)
	v_lshl_add_u32 v10, v11, 2, s6
.LBB330_248:                            ; =>This Inner Loop Header: Depth=1
	ds_read_b32 v12, v10
	v_add_u32_e32 v11, 0x80, v11
	v_cmp_ge_i32_e64 s[6:7], v11, v0
	s_or_b64 s[12:13], s[6:7], s[12:13]
	s_waitcnt lgkmcnt(0)
	v_sub_f32_e32 v12, v12, v8
	v_mul_f32_e32 v12, 0x3fb8aa3b, v12
	v_exp_f32_e32 v12, v12
	ds_write_b32 v10, v12
	v_add_f32_e32 v9, v9, v12
	v_add_u32_e32 v10, 0x200, v10
	s_andn2_b64 exec, exec, s[12:13]
	s_cbranch_execnz .LBB330_248
; %bb.249:
	s_or_b64 exec, exec, s[12:13]
.LBB330_250:
	s_or_b64 exec, exec, s[8:9]
	ds_bpermute_b32 v1, v1, v9
	s_waitcnt lgkmcnt(0)
	v_add_f32_e32 v1, v9, v1
	ds_bpermute_b32 v2, v2, v1
	s_waitcnt lgkmcnt(0)
	v_add_f32_e32 v1, v1, v2
	;; [unrolled: 3-line block ×6, first 2 shown]
	s_and_saveexec_b64 s[6:7], vcc
	s_cbranch_execz .LBB330_252
; %bb.251:
	ds_write_b32 v5, v1 offset:232
.LBB330_252:
	s_or_b64 exec, exec, s[6:7]
	s_waitcnt lgkmcnt(0)
	s_barrier
	s_and_saveexec_b64 s[6:7], s[2:3]
	s_cbranch_execz .LBB330_254
; %bb.253:
	ds_read_b32 v1, v6 offset:232
.LBB330_254:
	s_or_b64 exec, exec, s[6:7]
	s_waitcnt lgkmcnt(0)
	ds_bpermute_b32 v2, v17, v1
	s_waitcnt lgkmcnt(0)
	v_add_f32_e32 v1, v1, v2
	ds_bpermute_b32 v1, v7, v1
	s_and_saveexec_b64 s[2:3], s[4:5]
	s_cbranch_execz .LBB330_267
; %bb.255:
	s_waitcnt lgkmcnt(0)
	v_add_f32_e32 v1, 0x358637bd, v1
	v_div_scale_f32 v2, s[4:5], v1, v1, 1.0
	v_rcp_f32_e32 v3, v2
	v_div_scale_f32 v4, vcc, 1.0, v1, 1.0
	s_movk_i32 s4, 0x7f
	v_fma_f32 v5, -v2, v3, 1.0
	v_fmac_f32_e32 v3, v5, v3
	v_mul_f32_e32 v5, v4, v3
	v_fma_f32 v6, -v2, v5, v4
	v_fmac_f32_e32 v5, v6, v3
	v_fma_f32 v2, -v2, v5, v4
	v_div_fmas_f32 v2, v2, v3, v5
	v_div_fixup_f32 v2, v2, v1, 1.0
	scratch_load_dword v1, off, s32 offset:220 ; 4-byte Folded Reload
	s_mov_b64 s[6:7], -1
	s_waitcnt vmcnt(0)
	v_xad_u32 v3, v1, -1, v0
	v_cmp_lt_u32_e32 vcc, s4, v3
	s_and_saveexec_b64 s[4:5], vcc
	s_cbranch_execz .LBB330_264
; %bb.256:
	v_lshrrev_b32_e32 v1, 7, v3
	v_add_u32_e32 v5, -1, v1
	v_lshrrev_b32_e32 v4, 1, v5
	v_mov_b32_e32 v3, v2
	v_add_u32_e32 v4, 1, v4
	v_cmp_lt_u32_e32 vcc, 13, v5
	v_mov_b32_e32 v7, 0
	s_and_saveexec_b64 s[6:7], vcc
	s_cbranch_execz .LBB330_260
; %bb.257:
	scratch_load_dword v6, off, s32 offset:220 ; 4-byte Folded Reload
	s_ashr_i32 s17, s16, 31
	s_lshl_b64 s[8:9], s[16:17], 2
	s_getpc_b64 s[12:13]
	s_add_u32 s12, s12, llvm.amdgcn.dynlds.offset.table@rel32@lo+4
	s_addc_u32 s13, s13, llvm.amdgcn.dynlds.offset.table@rel32@hi+12
	s_add_u32 s8, s8, s12
	s_addc_u32 s9, s9, s13
	s_load_dword s8, s[8:9], 0x0
	v_and_b32_e32 v5, -8, v4
	s_mov_b32 s12, 0
	s_waitcnt vmcnt(0) lgkmcnt(0)
	v_lshl_add_u32 v6, v6, 2, s8
	s_mov_b64 s[8:9], 0
.LBB330_258:                            ; =>This Inner Loop Header: Depth=1
	ds_read2st64_b32 v[8:9], v6 offset1:2
	ds_read2st64_b32 v[10:11], v6 offset0:4 offset1:6
	ds_read2st64_b32 v[12:13], v6 offset0:8 offset1:10
	;; [unrolled: 1-line block ×3, first 2 shown]
	v_add_u32_e32 v5, -8, v5
	s_waitcnt lgkmcnt(3)
	v_pk_mul_f32 v[8:9], v[2:3], v[8:9]
	s_waitcnt lgkmcnt(2)
	v_pk_mul_f32 v[10:11], v[2:3], v[10:11]
	ds_write2st64_b32 v6, v8, v9 offset1:2
	ds_write2st64_b32 v6, v10, v11 offset0:4 offset1:6
	ds_read2st64_b32 v[10:11], v6 offset0:16 offset1:18
	s_waitcnt lgkmcnt(4)
	v_pk_mul_f32 v[8:9], v[2:3], v[12:13]
	ds_write2st64_b32 v6, v8, v9 offset0:8 offset1:10
	s_waitcnt lgkmcnt(4)
	v_pk_mul_f32 v[8:9], v[2:3], v[14:15]
	ds_write2st64_b32 v6, v8, v9 offset0:12 offset1:14
	ds_read2st64_b32 v[8:9], v6 offset0:20 offset1:22
	s_waitcnt lgkmcnt(3)
	v_pk_mul_f32 v[10:11], v[2:3], v[10:11]
	ds_read2st64_b32 v[12:13], v6 offset0:24 offset1:26
	ds_write2st64_b32 v6, v10, v11 offset0:16 offset1:18
	ds_read2st64_b32 v[10:11], v6 offset0:28 offset1:30
	s_waitcnt lgkmcnt(3)
	v_pk_mul_f32 v[8:9], v[2:3], v[8:9]
	ds_write2st64_b32 v6, v8, v9 offset0:20 offset1:22
	s_waitcnt lgkmcnt(3)
	v_pk_mul_f32 v[8:9], v[2:3], v[12:13]
	ds_write2st64_b32 v6, v8, v9 offset0:24 offset1:26
	s_waitcnt lgkmcnt(2)
	v_pk_mul_f32 v[8:9], v[2:3], v[10:11]
	s_add_i32 s12, s12, 16
	v_cmp_eq_u32_e32 vcc, 0, v5
	ds_write2st64_b32 v6, v8, v9 offset0:28 offset1:30
	v_add_u32_e32 v6, 0x2000, v6
	s_or_b64 s[8:9], vcc, s[8:9]
	v_mov_b32_e32 v7, s12
	s_andn2_b64 exec, exec, s[8:9]
	s_cbranch_execnz .LBB330_258
; %bb.259:
	s_or_b64 exec, exec, s[8:9]
.LBB330_260:
	s_or_b64 exec, exec, s[6:7]
	v_and_b32_e32 v4, 7, v4
	v_cmp_ne_u32_e32 vcc, 0, v4
	s_and_saveexec_b64 s[6:7], vcc
	s_cbranch_execz .LBB330_263
; %bb.261:
	scratch_load_dword v6, off, s32 offset:220 ; 4-byte Folded Reload
	s_ashr_i32 s17, s16, 31
	s_lshl_b64 s[8:9], s[16:17], 2
	s_getpc_b64 s[12:13]
	s_add_u32 s12, s12, llvm.amdgcn.dynlds.offset.table@rel32@lo+4
	s_addc_u32 s13, s13, llvm.amdgcn.dynlds.offset.table@rel32@hi+12
	s_add_u32 s8, s8, s12
	s_addc_u32 s9, s9, s13
	s_load_dword s8, s[8:9], 0x0
	v_lshlrev_b32_e32 v5, 9, v7
	s_waitcnt vmcnt(0)
	v_lshlrev_b32_e32 v6, 2, v6
	s_waitcnt lgkmcnt(0)
	v_add3_u32 v5, v5, v6, s8
	s_mov_b64 s[8:9], 0
.LBB330_262:                            ; =>This Inner Loop Header: Depth=1
	ds_read2st64_b32 v[6:7], v5 offset1:2
	v_add_u32_e32 v4, -1, v4
	v_cmp_eq_u32_e32 vcc, 0, v4
	s_or_b64 s[8:9], vcc, s[8:9]
	s_waitcnt lgkmcnt(0)
	v_pk_mul_f32 v[6:7], v[2:3], v[6:7]
	ds_write2st64_b32 v5, v6, v7 offset1:2
	v_add_u32_e32 v5, 0x400, v5
	s_andn2_b64 exec, exec, s[8:9]
	s_cbranch_execnz .LBB330_262
.LBB330_263:
	s_or_b64 exec, exec, s[6:7]
	v_add_u32_e32 v3, 1, v1
	scratch_load_dword v1, off, s32 offset:220 ; 4-byte Folded Reload
	v_and_b32_e32 v4, 0x3fffffe, v3
	v_cmp_ne_u32_e32 vcc, v3, v4
	s_orn2_b64 s[6:7], vcc, exec
	s_waitcnt vmcnt(0)
	v_lshl_add_u32 v1, v4, 7, v1
.LBB330_264:
	s_or_b64 exec, exec, s[4:5]
	s_and_b64 exec, exec, s[6:7]
	s_cbranch_execz .LBB330_267
; %bb.265:
	s_ashr_i32 s17, s16, 31
	s_lshl_b64 s[4:5], s[16:17], 2
	s_getpc_b64 s[6:7]
	s_add_u32 s6, s6, llvm.amdgcn.dynlds.offset.table@rel32@lo+4
	s_addc_u32 s7, s7, llvm.amdgcn.dynlds.offset.table@rel32@hi+12
	s_add_u32 s4, s4, s6
	s_addc_u32 s5, s5, s7
	s_load_dword s4, s[4:5], 0x0
	s_waitcnt lgkmcnt(0)
	v_lshl_add_u32 v3, v1, 2, s4
	s_mov_b64 s[4:5], 0
.LBB330_266:                            ; =>This Inner Loop Header: Depth=1
	ds_read_b32 v4, v3
	v_add_u32_e32 v1, 0x80, v1
	v_cmp_ge_i32_e32 vcc, v1, v0
	s_or_b64 s[4:5], vcc, s[4:5]
	s_waitcnt lgkmcnt(0)
	v_mul_f32_e32 v4, v2, v4
	ds_write_b32 v3, v4
	v_add_u32_e32 v3, 0x200, v3
	s_andn2_b64 exec, exec, s[4:5]
	s_cbranch_execnz .LBB330_266
.LBB330_267:
	s_or_b64 exec, exec, s[2:3]
	s_waitcnt lgkmcnt(0)
	s_barrier
	scratch_load_dword v0, off, s32 offset:220 ; 4-byte Folded Reload
	v_mov_b32_e32 v9, 0
	v_mov_b32_e32 v13, 0
	v_mov_b32_e32 v12, 0
	v_mov_b32_e32 v15, 0
	v_mov_b32_e32 v14, 0
	v_mov_b32_e32 v21, 0
	v_mov_b32_e32 v20, 0
	s_waitcnt vmcnt(0)
	v_and_b32_e32 v18, 3, v0
	s_and_saveexec_b64 s[2:3], s[0:1]
	s_cbranch_execz .LBB330_767
; %bb.268:
	scratch_load_dword v3, off, s32 offset:192 ; 4-byte Folded Reload
	v_max_i32_e32 v35, v26, v27
	v_cvt_f32_u32_e32 v2, v35
	v_and_b32_e32 v0, 24, v30
	v_accvgpr_write_b32 a18, v0
	v_lshl_add_u64 v[0:1], v[36:37], 0, v[24:25]
	v_rcp_iflag_f32_e32 v2, v2
	v_and_b32_e32 v24, 0x1f8, v30
	v_mov_b32_e32 v25, 0
	s_ashr_i32 s17, s16, 31
	v_mul_f32_e32 v2, 0x4f7ffffe, v2
	v_cvt_u32_f32_e32 v2, v2
	v_lshl_add_u64 v[0:1], v[0:1], 0, v[24:25]
	s_getpc_b64 s[0:1]
	s_add_u32 s0, s0, llvm.amdgcn.dynlds.offset.table@rel32@lo+4
	s_addc_u32 s1, s1, llvm.amdgcn.dynlds.offset.table@rel32@hi+12
	v_accvgpr_write_b32 a23, v1
	s_lshl_b64 s[4:5], s[16:17], 2
	v_accvgpr_write_b32 a22, v0
	v_lshlrev_b32_e32 v0, 5, v18
	v_accvgpr_read_b32 v1, a12
	v_and_b32_e32 v24, 60, v19
	s_add_u32 s4, s4, s0
	v_lshl_or_b32 v38, v1, 7, v0
	v_lshl_add_u64 v[0:1], v[28:29], 2, v[24:25]
	v_accvgpr_write_b32 a16, v17
	v_accvgpr_write_b32 a15, v16
	s_addc_u32 s5, s5, s1
	v_accvgpr_write_b32 a17, v18
	v_lshl_add_u64 v[10:11], v[22:23], 0, v[0:1]
	s_mov_b64 s[6:7], 0
	s_mov_b32 s17, 0x7f800000
	s_movk_i32 s20, 0x7fff
	v_mov_b32_e32 v20, 0
	v_mov_b32_e32 v21, 0
	;; [unrolled: 1-line block ×7, first 2 shown]
	s_waitcnt vmcnt(0)
	v_add_u32_e32 v3, -1, v3
	v_accvgpr_write_b32 a19, v3
	v_sub_u32_e32 v3, 0, v35
	v_mul_lo_u32 v3, v3, v2
	v_mul_hi_u32 v3, v2, v3
	v_add_u32_e32 v2, v2, v3
	v_accvgpr_write_b32 a20, v2
	scratch_load_dword v2, off, s32 offset:260 ; 4-byte Folded Reload
	s_branch .LBB330_271
.LBB330_269:                            ;   in Loop: Header=BB330_271 Depth=1
	s_or_b64 exec, exec, s[0:1]
	v_and_b32_e32 v33, 0xffff0000, v52
	v_and_b32_e32 v32, 0xffff0000, v5
	v_and_b32_e32 v5, 0xffff0000, v53
	v_and_b32_e32 v4, 0xffff0000, v4
	v_pk_add_f32 v[4:5], v[4:5], v[32:33]
	v_and_b32_e32 v33, 0xffff0000, v41
	v_and_b32_e32 v32, 0xffff0000, v55
	;; [unrolled: 1-line block ×4, first 2 shown]
	v_pk_add_f32 v[32:33], v[52:53], v[32:33]
	v_add_f32_e32 v4, v4, v5
	v_add_f32_e32 v4, v4, v32
	;; [unrolled: 1-line block ×3, first 2 shown]
	v_and_b32_e32 v33, 0xffff0000, v50
	v_and_b32_e32 v32, 0xffff0000, v27
	;; [unrolled: 1-line block ×4, first 2 shown]
	v_add_f32_e32 v13, v13, v4
	v_and_b32_e32 v5, 0xffff0000, v36
	v_and_b32_e32 v4, 0xffff0000, v1
	;; [unrolled: 1-line block ×4, first 2 shown]
	v_pk_add_f32 v[26:27], v[26:27], v[32:33]
	v_pk_add_f32 v[0:1], v[0:1], v[4:5]
	v_add_f32_e32 v4, v26, v27
	v_add_f32_e32 v0, v4, v0
	;; [unrolled: 1-line block ×4, first 2 shown]
	v_and_b32_e32 v0, 0xffff0000, v9
	v_and_b32_e32 v4, 0xffff0000, v8
	;; [unrolled: 1-line block ×8, first 2 shown]
	v_pk_add_f32 v[6:7], v[6:7], v[8:9]
	v_pk_add_f32 v[0:1], v[4:5], v[0:1]
	v_add_f32_e32 v4, v6, v7
	v_add_f32_e32 v0, v4, v0
	v_accvgpr_read_b32 v6, a47
	v_accvgpr_read_b32 v8, a46
	v_add_f32_e32 v0, v0, v1
	v_and_b32_e32 v7, 0xffff0000, v28
	v_and_b32_e32 v6, 0xffff0000, v6
	;; [unrolled: 1-line block ×4, first 2 shown]
	v_add_f32_e32 v15, v15, v0
	v_and_b32_e32 v1, 0xffff0000, v18
	v_and_b32_e32 v0, 0xffff0000, v60
	;; [unrolled: 1-line block ×4, first 2 shown]
	v_pk_add_f32 v[6:7], v[8:9], v[6:7]
	v_pk_add_f32 v[0:1], v[4:5], v[0:1]
	v_add_f32_e32 v4, v6, v7
	v_add_f32_e32 v0, v4, v0
	;; [unrolled: 1-line block ×3, first 2 shown]
	v_accvgpr_read_b32 v6, a41
	v_accvgpr_read_b32 v8, a40
	v_add_f32_e32 v14, v14, v0
	v_accvgpr_read_b32 v0, a45
	v_accvgpr_read_b32 v4, a44
	v_and_b32_e32 v7, 0xffff0000, v6
	v_accvgpr_read_b32 v6, a39
	v_and_b32_e32 v9, 0xffff0000, v8
	;; [unrolled: 2-line block ×5, first 2 shown]
	v_and_b32_e32 v8, 0xffff0000, v8
	v_and_b32_e32 v0, 0xffff0000, v0
	;; [unrolled: 1-line block ×3, first 2 shown]
	v_pk_add_f32 v[6:7], v[8:9], v[6:7]
	v_pk_add_f32 v[0:1], v[4:5], v[0:1]
	v_add_f32_e32 v4, v6, v7
	v_add_f32_e32 v0, v4, v0
	;; [unrolled: 1-line block ×3, first 2 shown]
	v_accvgpr_read_b32 v6, a26
	v_accvgpr_read_b32 v8, a25
	v_add_f32_e32 v21, v21, v0
	v_accvgpr_read_b32 v0, a30
	v_accvgpr_read_b32 v4, a29
	v_and_b32_e32 v7, 0xffff0000, v6
	v_accvgpr_read_b32 v6, a24
	v_and_b32_e32 v9, 0xffff0000, v8
	;; [unrolled: 2-line block ×5, first 2 shown]
	v_and_b32_e32 v8, 0xffff0000, v8
	v_and_b32_e32 v0, 0xffff0000, v0
	v_and_b32_e32 v4, 0xffff0000, v4
	v_pk_add_f32 v[6:7], v[8:9], v[6:7]
	v_pk_add_f32 v[0:1], v[4:5], v[0:1]
	v_add_f32_e32 v4, v6, v7
	v_add_f32_e32 v0, v4, v0
	;; [unrolled: 1-line block ×3, first 2 shown]
	v_and_b32_e32 v7, 0xffff0000, v51
	v_and_b32_e32 v6, 0xffff0000, v3
	;; [unrolled: 1-line block ×4, first 2 shown]
	v_add_f32_e32 v20, v20, v0
	v_and_b32_e32 v1, 0xffff0000, v31
	v_and_b32_e32 v0, 0xffff0000, v44
	;; [unrolled: 1-line block ×4, first 2 shown]
	v_pk_add_f32 v[2:3], v[2:3], v[6:7]
	v_pk_add_f32 v[0:1], v[4:5], v[0:1]
	v_add_f32_e32 v2, v2, v3
	v_add_f32_e32 v0, v2, v0
	;; [unrolled: 1-line block ×3, first 2 shown]
	v_accvgpr_read_b32 v9, a14
	v_add_f32_e32 v9, v9, v0
.LBB330_270:                            ;   in Loop: Header=BB330_271 Depth=1
	s_or_b64 exec, exec, s[8:9]
	scratch_load_dword v0, off, s32 offset:192 ; 4-byte Folded Reload
	v_accvgpr_read_b32 v1, a12
	v_add_u32_e32 v1, 2, v1
	v_mov_b32_e32 v2, v19
	v_add_u32_e32 v2, 64, v2
	v_add_u32_e32 v38, 0x100, v38
	v_accvgpr_write_b32 a12, v1
	v_lshl_add_u64 v[10:11], v[10:11], 0, 8
	s_waitcnt vmcnt(0)
	v_cmp_ge_i32_e32 vcc, v1, v0
	s_or_b64 s[6:7], vcc, s[6:7]
	s_andn2_b64 exec, exec, s[6:7]
	s_cbranch_execz .LBB330_766
.LBB330_271:                            ; =>This Inner Loop Header: Depth=1
	scratch_load_dword v0, off, s32 offset:204 ; 4-byte Folded Reload
	scratch_load_dword v3, off, s32 offset:196 ; 4-byte Folded Reload
	s_waitcnt vmcnt(2)
	v_mov_b32_e32 v19, v2
	v_accvgpr_read_b32 v4, a20
	s_waitcnt vmcnt(1)
	v_mul_hi_u32 v0, v2, v0
	s_waitcnt vmcnt(0)
	v_mul_lo_u32 v1, v0, v3
	v_sub_u32_e32 v1, v2, v1
	v_add_u32_e32 v2, 1, v0
	v_cmp_ge_u32_e32 vcc, v1, v3
	s_nop 1
	v_cndmask_b32_e32 v0, v0, v2, vcc
	v_sub_u32_e32 v2, v1, v3
	v_cndmask_b32_e32 v1, v1, v2, vcc
	v_cmp_ge_u32_e32 vcc, v1, v3
	scratch_load_dword v1, off, s32 offset:200 ; 4-byte Folded Reload
	v_add_u32_e32 v2, 1, v0
	v_cndmask_b32_e32 v0, v0, v2, vcc
	v_accvgpr_read_b32 v2, a10
	s_waitcnt vmcnt(0)
	v_xor_b32_e32 v0, v0, v1
	v_sub_u32_e32 v0, v0, v1
	v_add_u32_e32 v1, v0, v2
	v_sub_u32_e32 v3, 0, v1
	v_ashrrev_i32_e32 v2, 31, v1
	v_max_i32_e32 v1, v1, v3
	v_mul_hi_u32 v3, v1, v4
	v_mul_lo_u32 v3, v3, v35
	v_sub_u32_e32 v1, v1, v3
	v_sub_u32_e32 v3, v1, v35
	v_cmp_ge_u32_e32 vcc, v1, v35
	s_nop 1
	v_cndmask_b32_e32 v1, v1, v3, vcc
	v_sub_u32_e32 v3, v1, v35
	v_cmp_ge_u32_e32 vcc, v1, v35
	s_nop 1
	v_cndmask_b32_e32 v1, v1, v3, vcc
	v_xor_b32_e32 v1, v1, v2
	v_sub_u32_e32 v1, v1, v2
	v_cmp_eq_u32_e32 vcc, 0, v1
	scratch_load_dword v1, off, s32 offset:208 ; 4-byte Folded Reload
	s_waitcnt vmcnt(0)
	v_cmp_gt_i32_e64 s[0:1], v0, v1
	s_or_b64 s[0:1], vcc, s[0:1]
	s_and_saveexec_b64 s[8:9], s[0:1]
	s_cbranch_execz .LBB330_270
; %bb.272:                              ;   in Loop: Header=BB330_271 Depth=1
	flat_load_dword v24, v[10:11]
	s_load_dword s0, s[4:5], 0x0
	v_accvgpr_write_b32 a14, v9
                                        ; implicit-def: $vgpr23
	s_waitcnt lgkmcnt(0)
	v_add_u32_e32 v0, s0, v38
	ds_read2_b64 v[6:9], v0 offset1:1
	ds_read2_b64 v[2:5], v0 offset0:2 offset1:3
	s_waitcnt lgkmcnt(0)
	v_and_b32_e32 v0, 0x7f800000, v6
	v_cmp_ne_u32_e32 vcc, s17, v0
	s_and_saveexec_b64 s[0:1], vcc
	s_xor_b64 s[0:1], exec, s[0:1]
; %bb.273:                              ;   in Loop: Header=BB330_271 Depth=1
	v_bfe_u32 v0, v6, 16, 1
	v_add3_u32 v23, v6, v0, s20
; %bb.274:                              ;   in Loop: Header=BB330_271 Depth=1
	s_andn2_saveexec_b64 s[0:1], s[0:1]
; %bb.275:                              ;   in Loop: Header=BB330_271 Depth=1
	v_or_b32_e32 v0, 0x10000, v6
	v_cmp_eq_u32_sdwa vcc, v6, v25 src0_sel:WORD_0 src1_sel:DWORD
	s_nop 1
	v_cndmask_b32_e32 v23, v0, v6, vcc
; %bb.276:                              ;   in Loop: Header=BB330_271 Depth=1
	s_or_b64 exec, exec, s[0:1]
	v_and_b32_e32 v0, 0x7f800000, v7
	v_cmp_ne_u32_e32 vcc, s17, v0
                                        ; implicit-def: $vgpr22
	s_and_saveexec_b64 s[0:1], vcc
	s_xor_b64 s[0:1], exec, s[0:1]
; %bb.277:                              ;   in Loop: Header=BB330_271 Depth=1
	v_bfe_u32 v0, v7, 16, 1
	v_add3_u32 v22, v7, v0, s20
; %bb.278:                              ;   in Loop: Header=BB330_271 Depth=1
	s_andn2_saveexec_b64 s[0:1], s[0:1]
; %bb.279:                              ;   in Loop: Header=BB330_271 Depth=1
	v_or_b32_e32 v0, 0x10000, v7
	v_cmp_eq_u32_sdwa vcc, v7, v25 src0_sel:WORD_0 src1_sel:DWORD
	s_nop 1
	v_cndmask_b32_e32 v22, v0, v7, vcc
; %bb.280:                              ;   in Loop: Header=BB330_271 Depth=1
	s_or_b64 exec, exec, s[0:1]
	v_and_b32_e32 v0, 0x7f800000, v8
	v_cmp_ne_u32_e32 vcc, s17, v0
                                        ; implicit-def: $vgpr18
	s_and_saveexec_b64 s[0:1], vcc
	s_xor_b64 s[0:1], exec, s[0:1]
; %bb.281:                              ;   in Loop: Header=BB330_271 Depth=1
	v_bfe_u32 v0, v8, 16, 1
	v_add3_u32 v18, v8, v0, s20
; %bb.282:                              ;   in Loop: Header=BB330_271 Depth=1
	s_andn2_saveexec_b64 s[0:1], s[0:1]
; %bb.283:                              ;   in Loop: Header=BB330_271 Depth=1
	v_or_b32_e32 v0, 0x10000, v8
	v_cmp_eq_u32_sdwa vcc, v8, v25 src0_sel:WORD_0 src1_sel:DWORD
	s_nop 1
	v_cndmask_b32_e32 v18, v0, v8, vcc
; %bb.284:                              ;   in Loop: Header=BB330_271 Depth=1
	s_or_b64 exec, exec, s[0:1]
	v_and_b32_e32 v0, 0x7f800000, v9
	v_cmp_ne_u32_e32 vcc, s17, v0
                                        ; implicit-def: $vgpr16
	s_and_saveexec_b64 s[0:1], vcc
	s_xor_b64 s[0:1], exec, s[0:1]
; %bb.285:                              ;   in Loop: Header=BB330_271 Depth=1
	v_bfe_u32 v0, v9, 16, 1
	v_add3_u32 v16, v9, v0, s20
                                        ; implicit-def: $vgpr6_vgpr7_vgpr8_vgpr9
; %bb.286:                              ;   in Loop: Header=BB330_271 Depth=1
	s_andn2_saveexec_b64 s[0:1], s[0:1]
; %bb.287:                              ;   in Loop: Header=BB330_271 Depth=1
	v_or_b32_e32 v0, 0x10000, v9
	v_cmp_eq_u32_sdwa vcc, v9, v25 src0_sel:WORD_0 src1_sel:DWORD
	s_nop 1
	v_cndmask_b32_e32 v16, v0, v9, vcc
; %bb.288:                              ;   in Loop: Header=BB330_271 Depth=1
	s_or_b64 exec, exec, s[0:1]
	v_and_b32_e32 v0, 0x7f800000, v2
	v_cmp_ne_u32_e32 vcc, s17, v0
                                        ; implicit-def: $vgpr7
	s_and_saveexec_b64 s[0:1], vcc
	s_xor_b64 s[0:1], exec, s[0:1]
; %bb.289:                              ;   in Loop: Header=BB330_271 Depth=1
	v_bfe_u32 v0, v2, 16, 1
	v_add3_u32 v7, v2, v0, s20
; %bb.290:                              ;   in Loop: Header=BB330_271 Depth=1
	s_andn2_saveexec_b64 s[0:1], s[0:1]
; %bb.291:                              ;   in Loop: Header=BB330_271 Depth=1
	v_or_b32_e32 v0, 0x10000, v2
	v_cmp_eq_u32_sdwa vcc, v2, v25 src0_sel:WORD_0 src1_sel:DWORD
	s_nop 1
	v_cndmask_b32_e32 v7, v0, v2, vcc
; %bb.292:                              ;   in Loop: Header=BB330_271 Depth=1
	s_or_b64 exec, exec, s[0:1]
	v_and_b32_e32 v0, 0x7f800000, v3
	v_cmp_ne_u32_e32 vcc, s17, v0
                                        ; implicit-def: $vgpr6
	s_and_saveexec_b64 s[0:1], vcc
	s_xor_b64 s[0:1], exec, s[0:1]
; %bb.293:                              ;   in Loop: Header=BB330_271 Depth=1
	v_bfe_u32 v0, v3, 16, 1
	v_add3_u32 v6, v3, v0, s20
; %bb.294:                              ;   in Loop: Header=BB330_271 Depth=1
	s_andn2_saveexec_b64 s[0:1], s[0:1]
; %bb.295:                              ;   in Loop: Header=BB330_271 Depth=1
	v_or_b32_e32 v0, 0x10000, v3
	v_cmp_eq_u32_sdwa vcc, v3, v25 src0_sel:WORD_0 src1_sel:DWORD
	s_nop 1
	v_cndmask_b32_e32 v6, v0, v3, vcc
; %bb.296:                              ;   in Loop: Header=BB330_271 Depth=1
	s_or_b64 exec, exec, s[0:1]
	v_and_b32_e32 v0, 0x7f800000, v4
	v_cmp_ne_u32_e32 vcc, s17, v0
                                        ; implicit-def: $vgpr1
	s_and_saveexec_b64 s[0:1], vcc
	s_xor_b64 s[0:1], exec, s[0:1]
; %bb.297:                              ;   in Loop: Header=BB330_271 Depth=1
	v_bfe_u32 v0, v4, 16, 1
	v_add3_u32 v1, v4, v0, s20
; %bb.298:                              ;   in Loop: Header=BB330_271 Depth=1
	s_andn2_saveexec_b64 s[0:1], s[0:1]
; %bb.299:                              ;   in Loop: Header=BB330_271 Depth=1
	v_or_b32_e32 v0, 0x10000, v4
	v_cmp_eq_u32_sdwa vcc, v4, v25 src0_sel:WORD_0 src1_sel:DWORD
	s_nop 1
	v_cndmask_b32_e32 v1, v0, v4, vcc
; %bb.300:                              ;   in Loop: Header=BB330_271 Depth=1
	s_or_b64 exec, exec, s[0:1]
	v_and_b32_e32 v0, 0x7f800000, v5
	v_cmp_ne_u32_e32 vcc, s17, v0
                                        ; implicit-def: $vgpr0
	s_and_saveexec_b64 s[0:1], vcc
	s_xor_b64 s[0:1], exec, s[0:1]
; %bb.301:                              ;   in Loop: Header=BB330_271 Depth=1
	v_bfe_u32 v0, v5, 16, 1
	v_add3_u32 v0, v5, v0, s20
                                        ; implicit-def: $vgpr2_vgpr3_vgpr4_vgpr5
; %bb.302:                              ;   in Loop: Header=BB330_271 Depth=1
	s_andn2_saveexec_b64 s[0:1], s[0:1]
; %bb.303:                              ;   in Loop: Header=BB330_271 Depth=1
	v_or_b32_e32 v0, 0x10000, v5
	v_cmp_eq_u32_sdwa vcc, v5, v25 src0_sel:WORD_0 src1_sel:DWORD
	s_nop 1
	v_cndmask_b32_e32 v0, v0, v5, vcc
; %bb.304:                              ;   in Loop: Header=BB330_271 Depth=1
	s_or_b64 exec, exec, s[0:1]
	scratch_load_dwordx2 v[2:3], off, s32 offset:212 ; 8-byte Folded Reload
	v_accvgpr_read_b32 v4, a22
	v_accvgpr_read_b32 v5, a23
	s_waitcnt vmcnt(0)
	v_mad_i64_i32 v[2:3], s[0:1], v24, v2, v[4:5]
	flat_load_dwordx2 v[4:5], v[2:3]
	scratch_load_dwordx2 v[8:9], off, s32 offset:224 ; 8-byte Folded Reload
	s_waitcnt vmcnt(0)
	flat_load_dword v24, v[8:9]
	s_waitcnt lgkmcnt(0)
	v_and_b32_e32 v8, 0xff, v4
	v_cvt_f32_fp8_sdwa v8, v8 src0_sel:BYTE_0
	s_waitcnt vmcnt(0)
	v_mul_f32_e32 v9, v24, v8
	v_and_b32_e32 v8, 0x7f800000, v9
	v_cmp_ne_u32_e32 vcc, s17, v8
                                        ; implicit-def: $vgpr8
	s_and_saveexec_b64 s[0:1], vcc
	s_xor_b64 s[0:1], exec, s[0:1]
; %bb.305:                              ;   in Loop: Header=BB330_271 Depth=1
	v_bfe_u32 v8, v9, 16, 1
	v_add3_u32 v8, v9, v8, s20
                                        ; implicit-def: $vgpr9
; %bb.306:                              ;   in Loop: Header=BB330_271 Depth=1
	s_andn2_saveexec_b64 s[0:1], s[0:1]
; %bb.307:                              ;   in Loop: Header=BB330_271 Depth=1
	v_or_b32_e32 v8, 0x10000, v9
	v_cmp_eq_u32_sdwa vcc, v9, v25 src0_sel:WORD_0 src1_sel:DWORD
	s_nop 1
	v_cndmask_b32_e32 v8, v8, v9, vcc
; %bb.308:                              ;   in Loop: Header=BB330_271 Depth=1
	s_or_b64 exec, exec, s[0:1]
	v_bfe_u32 v9, v4, 8, 8
	v_cvt_f32_fp8_sdwa v9, v9 src0_sel:BYTE_0
	s_nop 0
	v_mul_f32_e32 v26, v24, v9
	v_and_b32_e32 v9, 0x7f800000, v26
	v_cmp_ne_u32_e32 vcc, s17, v9
                                        ; implicit-def: $vgpr9
	s_and_saveexec_b64 s[0:1], vcc
	s_xor_b64 s[0:1], exec, s[0:1]
; %bb.309:                              ;   in Loop: Header=BB330_271 Depth=1
	v_bfe_u32 v9, v26, 16, 1
	v_add3_u32 v9, v26, v9, s20
                                        ; implicit-def: $vgpr26
; %bb.310:                              ;   in Loop: Header=BB330_271 Depth=1
	s_andn2_saveexec_b64 s[0:1], s[0:1]
; %bb.311:                              ;   in Loop: Header=BB330_271 Depth=1
	v_or_b32_e32 v9, 0x10000, v26
	v_cmp_eq_u32_sdwa vcc, v26, v25 src0_sel:WORD_0 src1_sel:DWORD
	s_nop 1
	v_cndmask_b32_e32 v9, v9, v26, vcc
; %bb.312:                              ;   in Loop: Header=BB330_271 Depth=1
	s_or_b64 exec, exec, s[0:1]
	v_bfe_u32 v17, v4, 16, 8
	v_cvt_f32_fp8_sdwa v17, v17 src0_sel:BYTE_0
                                        ; implicit-def: $vgpr27
	s_nop 0
	v_mul_f32_e32 v26, v24, v17
	v_and_b32_e32 v17, 0x7f800000, v26
	v_cmp_ne_u32_e32 vcc, s17, v17
	s_and_saveexec_b64 s[0:1], vcc
	s_xor_b64 s[0:1], exec, s[0:1]
; %bb.313:                              ;   in Loop: Header=BB330_271 Depth=1
	v_bfe_u32 v17, v26, 16, 1
	v_add3_u32 v27, v26, v17, s20
                                        ; implicit-def: $vgpr26
; %bb.314:                              ;   in Loop: Header=BB330_271 Depth=1
	s_andn2_saveexec_b64 s[0:1], s[0:1]
; %bb.315:                              ;   in Loop: Header=BB330_271 Depth=1
	v_or_b32_e32 v17, 0x10000, v26
	v_cmp_eq_u32_sdwa vcc, v26, v25 src0_sel:WORD_0 src1_sel:DWORD
	s_nop 1
	v_cndmask_b32_e32 v27, v17, v26, vcc
; %bb.316:                              ;   in Loop: Header=BB330_271 Depth=1
	s_or_b64 exec, exec, s[0:1]
	v_lshrrev_b32_e32 v4, 24, v4
	v_cvt_f32_fp8_sdwa v4, v4 src0_sel:BYTE_0
	s_nop 0
	v_mul_f32_e32 v26, v24, v4
	v_and_b32_e32 v4, 0x7f800000, v26
	v_cmp_ne_u32_e32 vcc, s17, v4
                                        ; implicit-def: $vgpr4
	s_and_saveexec_b64 s[0:1], vcc
	s_xor_b64 s[0:1], exec, s[0:1]
; %bb.317:                              ;   in Loop: Header=BB330_271 Depth=1
	v_bfe_u32 v4, v26, 16, 1
	v_add3_u32 v4, v26, v4, s20
                                        ; implicit-def: $vgpr26
; %bb.318:                              ;   in Loop: Header=BB330_271 Depth=1
	s_andn2_saveexec_b64 s[0:1], s[0:1]
; %bb.319:                              ;   in Loop: Header=BB330_271 Depth=1
	v_or_b32_e32 v4, 0x10000, v26
	v_cmp_eq_u32_sdwa vcc, v26, v25 src0_sel:WORD_0 src1_sel:DWORD
	s_nop 1
	v_cndmask_b32_e32 v4, v4, v26, vcc
; %bb.320:                              ;   in Loop: Header=BB330_271 Depth=1
	s_or_b64 exec, exec, s[0:1]
	v_and_b32_e32 v17, 0xff, v5
	v_cvt_f32_fp8_sdwa v17, v17 src0_sel:BYTE_0
                                        ; implicit-def: $vgpr28
	s_nop 0
	v_mul_f32_e32 v26, v24, v17
	v_and_b32_e32 v17, 0x7f800000, v26
	v_cmp_ne_u32_e32 vcc, s17, v17
	s_and_saveexec_b64 s[0:1], vcc
	s_xor_b64 s[0:1], exec, s[0:1]
; %bb.321:                              ;   in Loop: Header=BB330_271 Depth=1
	v_bfe_u32 v17, v26, 16, 1
	v_add3_u32 v28, v26, v17, s20
                                        ; implicit-def: $vgpr26
; %bb.322:                              ;   in Loop: Header=BB330_271 Depth=1
	s_andn2_saveexec_b64 s[0:1], s[0:1]
; %bb.323:                              ;   in Loop: Header=BB330_271 Depth=1
	v_or_b32_e32 v17, 0x10000, v26
	v_cmp_eq_u32_sdwa vcc, v26, v25 src0_sel:WORD_0 src1_sel:DWORD
	s_nop 1
	v_cndmask_b32_e32 v28, v17, v26, vcc
; %bb.324:                              ;   in Loop: Header=BB330_271 Depth=1
	s_or_b64 exec, exec, s[0:1]
	v_bfe_u32 v17, v5, 8, 8
	v_cvt_f32_fp8_sdwa v17, v17 src0_sel:BYTE_0
                                        ; implicit-def: $vgpr26
	s_nop 0
	v_mul_f32_e32 v29, v24, v17
	v_and_b32_e32 v17, 0x7f800000, v29
	v_cmp_ne_u32_e32 vcc, s17, v17
	s_and_saveexec_b64 s[0:1], vcc
	s_xor_b64 s[0:1], exec, s[0:1]
; %bb.325:                              ;   in Loop: Header=BB330_271 Depth=1
	v_bfe_u32 v17, v29, 16, 1
	v_add3_u32 v26, v29, v17, s20
                                        ; implicit-def: $vgpr29
; %bb.326:                              ;   in Loop: Header=BB330_271 Depth=1
	s_andn2_saveexec_b64 s[0:1], s[0:1]
; %bb.327:                              ;   in Loop: Header=BB330_271 Depth=1
	v_or_b32_e32 v17, 0x10000, v29
	v_cmp_eq_u32_sdwa vcc, v29, v25 src0_sel:WORD_0 src1_sel:DWORD
	s_nop 1
	v_cndmask_b32_e32 v26, v17, v29, vcc
; %bb.328:                              ;   in Loop: Header=BB330_271 Depth=1
	s_or_b64 exec, exec, s[0:1]
	v_bfe_u32 v17, v5, 16, 8
	v_cvt_f32_fp8_sdwa v17, v17 src0_sel:BYTE_0
                                        ; implicit-def: $vgpr30
	s_nop 0
	v_mul_f32_e32 v29, v24, v17
	v_and_b32_e32 v17, 0x7f800000, v29
	v_cmp_ne_u32_e32 vcc, s17, v17
	s_and_saveexec_b64 s[0:1], vcc
	s_xor_b64 s[0:1], exec, s[0:1]
; %bb.329:                              ;   in Loop: Header=BB330_271 Depth=1
	v_bfe_u32 v17, v29, 16, 1
	v_add3_u32 v30, v29, v17, s20
                                        ; implicit-def: $vgpr29
; %bb.330:                              ;   in Loop: Header=BB330_271 Depth=1
	s_andn2_saveexec_b64 s[0:1], s[0:1]
; %bb.331:                              ;   in Loop: Header=BB330_271 Depth=1
	v_or_b32_e32 v17, 0x10000, v29
	v_cmp_eq_u32_sdwa vcc, v29, v25 src0_sel:WORD_0 src1_sel:DWORD
	s_nop 1
	v_cndmask_b32_e32 v30, v17, v29, vcc
; %bb.332:                              ;   in Loop: Header=BB330_271 Depth=1
	s_or_b64 exec, exec, s[0:1]
	v_lshrrev_b32_e32 v5, 24, v5
	v_cvt_f32_fp8_sdwa v5, v5 src0_sel:BYTE_0
                                        ; implicit-def: $vgpr31
	s_nop 0
	v_mul_f32_e32 v5, v24, v5
	v_and_b32_e32 v17, 0x7f800000, v5
	v_cmp_ne_u32_e32 vcc, s17, v17
	s_and_saveexec_b64 s[0:1], vcc
	s_xor_b64 s[0:1], exec, s[0:1]
; %bb.333:                              ;   in Loop: Header=BB330_271 Depth=1
	v_bfe_u32 v17, v5, 16, 1
	v_add3_u32 v31, v5, v17, s20
                                        ; implicit-def: $vgpr5
; %bb.334:                              ;   in Loop: Header=BB330_271 Depth=1
	s_andn2_saveexec_b64 s[0:1], s[0:1]
; %bb.335:                              ;   in Loop: Header=BB330_271 Depth=1
	v_or_b32_e32 v17, 0x10000, v5
	v_cmp_eq_u32_sdwa vcc, v5, v25 src0_sel:WORD_0 src1_sel:DWORD
	s_nop 1
	v_cndmask_b32_e32 v31, v17, v5, vcc
; %bb.336:                              ;   in Loop: Header=BB330_271 Depth=1
	s_or_b64 exec, exec, s[0:1]
	v_accvgpr_read_b32 v5, a12
	v_accvgpr_read_b32 v17, a19
	v_cmp_eq_u32_e32 vcc, v17, v5
	v_mov_b32_e32 v5, v19
	v_accvgpr_read_b32 v17, a18
	v_add_u32_e32 v51, v17, v5
	v_add_u32_e32 v17, 1, v51
	v_accvgpr_write_b32 a37, v17
	v_add_u32_e32 v17, 2, v51
	v_accvgpr_write_b32 a36, v17
	;; [unrolled: 2-line block ×6, first 2 shown]
	v_add_u32_e32 v17, 7, v51
	v_lshrrev_b32_e32 v26, 16, v26
	v_lshrrev_b32_e32 v28, 16, v28
	;; [unrolled: 1-line block ×8, first 2 shown]
	v_accvgpr_write_b32 a31, v17
	s_and_saveexec_b64 s[12:13], vcc
	s_cbranch_execz .LBB330_338
; %bb.337:                              ;   in Loop: Header=BB330_271 Depth=1
	v_accvgpr_read_b32 v17, a3
	v_cmp_lt_i32_e64 s[0:1], v51, v17
	v_accvgpr_read_b32 v30, a37
	s_nop 0
	v_cndmask_b32_e64 v8, 0, v8, s[0:1]
	v_cmp_lt_i32_e64 s[0:1], v30, v17
	v_accvgpr_read_b32 v30, a36
	s_nop 0
	v_cndmask_b32_e64 v9, 0, v9, s[0:1]
	;; [unrolled: 4-line block ×7, first 2 shown]
	v_cmp_lt_i32_e64 s[0:1], v30, v17
	s_nop 1
	v_cndmask_b32_e64 v4, 0, v4, s[0:1]
.LBB330_338:                            ;   in Loop: Header=BB330_271 Depth=1
	s_or_b64 exec, exec, s[12:13]
	v_and_b32_e32 v44, 0xffff0000, v23
	v_lshlrev_b32_e32 v8, 16, v8
	v_mul_f32_e32 v8, v44, v8
	v_and_b32_e32 v17, 0x7f800000, v8
	v_cmp_ne_u32_e64 s[0:1], s17, v17
                                        ; implicit-def: $agpr21
	s_and_saveexec_b64 s[12:13], s[0:1]
	s_xor_b64 s[0:1], exec, s[12:13]
; %bb.339:                              ;   in Loop: Header=BB330_271 Depth=1
	v_bfe_u32 v17, v8, 16, 1
	v_add3_u32 v8, v8, v17, s20
	v_accvgpr_write_b32 a21, v8
                                        ; implicit-def: $vgpr8
; %bb.340:                              ;   in Loop: Header=BB330_271 Depth=1
	s_andn2_saveexec_b64 s[12:13], s[0:1]
; %bb.341:                              ;   in Loop: Header=BB330_271 Depth=1
	v_or_b32_e32 v17, 0x10000, v8
	v_cmp_eq_u32_sdwa s[0:1], v8, v25 src0_sel:WORD_0 src1_sel:DWORD
	s_nop 1
	v_cndmask_b32_e64 v8, v17, v8, s[0:1]
	v_accvgpr_write_b32 a21, v8
; %bb.342:                              ;   in Loop: Header=BB330_271 Depth=1
	s_or_b64 exec, exec, s[12:13]
	v_and_b32_e32 v45, 0xffff0000, v22
	v_lshlrev_b32_e32 v8, 16, v9
	v_mul_f32_e32 v8, v45, v8
	v_and_b32_e32 v9, 0x7f800000, v8
	v_cmp_ne_u32_e64 s[0:1], s17, v9
                                        ; implicit-def: $agpr24
	s_and_saveexec_b64 s[12:13], s[0:1]
	s_xor_b64 s[0:1], exec, s[12:13]
; %bb.343:                              ;   in Loop: Header=BB330_271 Depth=1
	v_bfe_u32 v9, v8, 16, 1
	v_add3_u32 v8, v8, v9, s20
	v_accvgpr_write_b32 a24, v8
                                        ; implicit-def: $vgpr8
; %bb.344:                              ;   in Loop: Header=BB330_271 Depth=1
	s_andn2_saveexec_b64 s[12:13], s[0:1]
; %bb.345:                              ;   in Loop: Header=BB330_271 Depth=1
	v_or_b32_e32 v9, 0x10000, v8
	v_cmp_eq_u32_sdwa s[0:1], v8, v25 src0_sel:WORD_0 src1_sel:DWORD
	s_nop 1
	v_cndmask_b32_e64 v8, v9, v8, s[0:1]
	v_accvgpr_write_b32 a24, v8
; %bb.346:                              ;   in Loop: Header=BB330_271 Depth=1
	s_or_b64 exec, exec, s[12:13]
	v_and_b32_e32 v46, 0xffff0000, v18
	v_lshlrev_b32_e32 v8, 16, v27
	v_mul_f32_e32 v8, v46, v8
	v_and_b32_e32 v9, 0x7f800000, v8
	v_cmp_ne_u32_e64 s[0:1], s17, v9
                                        ; implicit-def: $agpr25
	s_and_saveexec_b64 s[12:13], s[0:1]
	s_xor_b64 s[0:1], exec, s[12:13]
; %bb.347:                              ;   in Loop: Header=BB330_271 Depth=1
	v_bfe_u32 v9, v8, 16, 1
	v_add3_u32 v8, v8, v9, s20
	v_accvgpr_write_b32 a25, v8
                                        ; implicit-def: $vgpr8
; %bb.348:                              ;   in Loop: Header=BB330_271 Depth=1
	s_andn2_saveexec_b64 s[12:13], s[0:1]
; %bb.349:                              ;   in Loop: Header=BB330_271 Depth=1
	v_or_b32_e32 v9, 0x10000, v8
	v_cmp_eq_u32_sdwa s[0:1], v8, v25 src0_sel:WORD_0 src1_sel:DWORD
	s_nop 1
	v_cndmask_b32_e64 v8, v9, v8, s[0:1]
	v_accvgpr_write_b32 a25, v8
; %bb.350:                              ;   in Loop: Header=BB330_271 Depth=1
	s_or_b64 exec, exec, s[12:13]
	v_and_b32_e32 v47, 0xffff0000, v16
	v_lshlrev_b32_e32 v8, 16, v29
	v_mul_f32_e32 v8, v47, v8
	v_and_b32_e32 v9, 0x7f800000, v8
	v_cmp_ne_u32_e64 s[0:1], s17, v9
                                        ; implicit-def: $agpr26
	s_and_saveexec_b64 s[12:13], s[0:1]
	s_xor_b64 s[0:1], exec, s[12:13]
; %bb.351:                              ;   in Loop: Header=BB330_271 Depth=1
	v_bfe_u32 v9, v8, 16, 1
	v_add3_u32 v8, v8, v9, s20
	v_accvgpr_write_b32 a26, v8
                                        ; implicit-def: $vgpr8
; %bb.352:                              ;   in Loop: Header=BB330_271 Depth=1
	s_andn2_saveexec_b64 s[12:13], s[0:1]
; %bb.353:                              ;   in Loop: Header=BB330_271 Depth=1
	v_or_b32_e32 v9, 0x10000, v8
	v_cmp_eq_u32_sdwa s[0:1], v8, v25 src0_sel:WORD_0 src1_sel:DWORD
	s_nop 1
	v_cndmask_b32_e64 v8, v9, v8, s[0:1]
	v_accvgpr_write_b32 a26, v8
; %bb.354:                              ;   in Loop: Header=BB330_271 Depth=1
	s_or_b64 exec, exec, s[12:13]
	v_and_b32_e32 v61, 0xffff0000, v7
	v_lshlrev_b32_e32 v7, 16, v28
	v_mul_f32_e32 v7, v61, v7
	v_and_b32_e32 v8, 0x7f800000, v7
	v_cmp_ne_u32_e64 s[0:1], s17, v8
                                        ; implicit-def: $agpr27
	s_and_saveexec_b64 s[12:13], s[0:1]
	s_xor_b64 s[0:1], exec, s[12:13]
; %bb.355:                              ;   in Loop: Header=BB330_271 Depth=1
	v_bfe_u32 v8, v7, 16, 1
	v_add3_u32 v7, v7, v8, s20
	v_accvgpr_write_b32 a27, v7
                                        ; implicit-def: $vgpr7
; %bb.356:                              ;   in Loop: Header=BB330_271 Depth=1
	s_andn2_saveexec_b64 s[12:13], s[0:1]
; %bb.357:                              ;   in Loop: Header=BB330_271 Depth=1
	v_or_b32_e32 v8, 0x10000, v7
	v_cmp_eq_u32_sdwa s[0:1], v7, v25 src0_sel:WORD_0 src1_sel:DWORD
	s_nop 1
	v_cndmask_b32_e64 v7, v8, v7, s[0:1]
	v_accvgpr_write_b32 a27, v7
; %bb.358:                              ;   in Loop: Header=BB330_271 Depth=1
	s_or_b64 exec, exec, s[12:13]
	v_and_b32_e32 v62, 0xffff0000, v6
	v_lshlrev_b32_e32 v6, 16, v26
	v_mul_f32_e32 v6, v62, v6
	v_and_b32_e32 v7, 0x7f800000, v6
	v_cmp_ne_u32_e64 s[0:1], s17, v7
                                        ; implicit-def: $agpr28
	s_and_saveexec_b64 s[12:13], s[0:1]
	s_xor_b64 s[0:1], exec, s[12:13]
; %bb.359:                              ;   in Loop: Header=BB330_271 Depth=1
	v_bfe_u32 v7, v6, 16, 1
	v_add3_u32 v6, v6, v7, s20
	v_accvgpr_write_b32 a28, v6
                                        ; implicit-def: $vgpr6
; %bb.360:                              ;   in Loop: Header=BB330_271 Depth=1
	s_andn2_saveexec_b64 s[12:13], s[0:1]
; %bb.361:                              ;   in Loop: Header=BB330_271 Depth=1
	v_or_b32_e32 v7, 0x10000, v6
	v_cmp_eq_u32_sdwa s[0:1], v6, v25 src0_sel:WORD_0 src1_sel:DWORD
	s_nop 1
	v_cndmask_b32_e64 v6, v7, v6, s[0:1]
	v_accvgpr_write_b32 a28, v6
; %bb.362:                              ;   in Loop: Header=BB330_271 Depth=1
	s_or_b64 exec, exec, s[12:13]
	v_and_b32_e32 v63, 0xffff0000, v1
	v_lshlrev_b32_e32 v1, 16, v5
	v_mul_f32_e32 v1, v63, v1
	v_and_b32_e32 v5, 0x7f800000, v1
	v_cmp_ne_u32_e64 s[0:1], s17, v5
                                        ; implicit-def: $agpr29
	s_and_saveexec_b64 s[12:13], s[0:1]
	s_xor_b64 s[0:1], exec, s[12:13]
; %bb.363:                              ;   in Loop: Header=BB330_271 Depth=1
	v_bfe_u32 v5, v1, 16, 1
	v_add3_u32 v1, v1, v5, s20
	v_accvgpr_write_b32 a29, v1
                                        ; implicit-def: $vgpr1
; %bb.364:                              ;   in Loop: Header=BB330_271 Depth=1
	s_andn2_saveexec_b64 s[12:13], s[0:1]
; %bb.365:                              ;   in Loop: Header=BB330_271 Depth=1
	v_or_b32_e32 v5, 0x10000, v1
	v_cmp_eq_u32_sdwa s[0:1], v1, v25 src0_sel:WORD_0 src1_sel:DWORD
	s_nop 1
	v_cndmask_b32_e64 v1, v5, v1, s[0:1]
	v_accvgpr_write_b32 a29, v1
; %bb.366:                              ;   in Loop: Header=BB330_271 Depth=1
	s_or_b64 exec, exec, s[12:13]
	v_and_b32_e32 v33, 0xffff0000, v0
	v_lshlrev_b32_e32 v0, 16, v4
	v_mul_f32_e32 v0, v33, v0
	v_and_b32_e32 v1, 0x7f800000, v0
	v_cmp_ne_u32_e64 s[0:1], s17, v1
                                        ; implicit-def: $agpr30
	s_and_saveexec_b64 s[12:13], s[0:1]
	s_xor_b64 s[0:1], exec, s[12:13]
; %bb.367:                              ;   in Loop: Header=BB330_271 Depth=1
	v_bfe_u32 v1, v0, 16, 1
	v_add3_u32 v0, v0, v1, s20
	v_accvgpr_write_b32 a30, v0
                                        ; implicit-def: $vgpr0
; %bb.368:                              ;   in Loop: Header=BB330_271 Depth=1
	s_andn2_saveexec_b64 s[12:13], s[0:1]
; %bb.369:                              ;   in Loop: Header=BB330_271 Depth=1
	v_or_b32_e32 v1, 0x10000, v0
	v_cmp_eq_u32_sdwa s[0:1], v0, v25 src0_sel:WORD_0 src1_sel:DWORD
	s_nop 1
	v_cndmask_b32_e64 v0, v1, v0, s[0:1]
	v_accvgpr_write_b32 a30, v0
; %bb.370:                              ;   in Loop: Header=BB330_271 Depth=1
	s_or_b64 exec, exec, s[12:13]
	flat_load_dwordx2 v[4:5], v[2:3] offset:512
	s_waitcnt vmcnt(0) lgkmcnt(0)
	v_and_b32_e32 v0, 0xff, v4
	v_cvt_f32_fp8_sdwa v0, v0 src0_sel:BYTE_0
	s_nop 0
	v_mul_f32_e32 v1, v24, v0
	v_and_b32_e32 v0, 0x7f800000, v1
	v_cmp_ne_u32_e64 s[0:1], s17, v0
                                        ; implicit-def: $vgpr0
	s_and_saveexec_b64 s[12:13], s[0:1]
	s_xor_b64 s[0:1], exec, s[12:13]
; %bb.371:                              ;   in Loop: Header=BB330_271 Depth=1
	v_bfe_u32 v0, v1, 16, 1
	v_add3_u32 v0, v1, v0, s20
                                        ; implicit-def: $vgpr1
; %bb.372:                              ;   in Loop: Header=BB330_271 Depth=1
	s_andn2_saveexec_b64 s[12:13], s[0:1]
; %bb.373:                              ;   in Loop: Header=BB330_271 Depth=1
	v_or_b32_e32 v0, 0x10000, v1
	v_cmp_eq_u32_sdwa s[0:1], v1, v25 src0_sel:WORD_0 src1_sel:DWORD
	s_nop 1
	v_cndmask_b32_e64 v0, v0, v1, s[0:1]
; %bb.374:                              ;   in Loop: Header=BB330_271 Depth=1
	s_or_b64 exec, exec, s[12:13]
	v_bfe_u32 v1, v4, 8, 8
	v_cvt_f32_fp8_sdwa v1, v1 src0_sel:BYTE_0
	s_nop 0
	v_mul_f32_e32 v6, v24, v1
	v_and_b32_e32 v1, 0x7f800000, v6
	v_cmp_ne_u32_e64 s[0:1], s17, v1
                                        ; implicit-def: $vgpr1
	s_and_saveexec_b64 s[12:13], s[0:1]
	s_xor_b64 s[0:1], exec, s[12:13]
; %bb.375:                              ;   in Loop: Header=BB330_271 Depth=1
	v_bfe_u32 v1, v6, 16, 1
	v_add3_u32 v1, v6, v1, s20
                                        ; implicit-def: $vgpr6
; %bb.376:                              ;   in Loop: Header=BB330_271 Depth=1
	s_andn2_saveexec_b64 s[12:13], s[0:1]
; %bb.377:                              ;   in Loop: Header=BB330_271 Depth=1
	v_or_b32_e32 v1, 0x10000, v6
	v_cmp_eq_u32_sdwa s[0:1], v6, v25 src0_sel:WORD_0 src1_sel:DWORD
	s_nop 1
	v_cndmask_b32_e64 v1, v1, v6, s[0:1]
; %bb.378:                              ;   in Loop: Header=BB330_271 Depth=1
	s_or_b64 exec, exec, s[12:13]
	v_bfe_u32 v6, v4, 16, 8
	v_cvt_f32_fp8_sdwa v6, v6 src0_sel:BYTE_0
	s_nop 0
	v_mul_f32_e32 v7, v24, v6
	v_and_b32_e32 v6, 0x7f800000, v7
	v_cmp_ne_u32_e64 s[0:1], s17, v6
                                        ; implicit-def: $vgpr6
	s_and_saveexec_b64 s[12:13], s[0:1]
	s_xor_b64 s[0:1], exec, s[12:13]
; %bb.379:                              ;   in Loop: Header=BB330_271 Depth=1
	v_bfe_u32 v6, v7, 16, 1
	v_add3_u32 v6, v7, v6, s20
                                        ; implicit-def: $vgpr7
; %bb.380:                              ;   in Loop: Header=BB330_271 Depth=1
	s_andn2_saveexec_b64 s[12:13], s[0:1]
; %bb.381:                              ;   in Loop: Header=BB330_271 Depth=1
	v_or_b32_e32 v6, 0x10000, v7
	v_cmp_eq_u32_sdwa s[0:1], v7, v25 src0_sel:WORD_0 src1_sel:DWORD
	s_nop 1
	v_cndmask_b32_e64 v6, v6, v7, s[0:1]
; %bb.382:                              ;   in Loop: Header=BB330_271 Depth=1
	s_or_b64 exec, exec, s[12:13]
	v_lshrrev_b32_e32 v4, 24, v4
	v_cvt_f32_fp8_sdwa v4, v4 src0_sel:BYTE_0
	s_nop 0
	v_mul_f32_e32 v4, v24, v4
	v_and_b32_e32 v7, 0x7f800000, v4
	v_cmp_ne_u32_e64 s[0:1], s17, v7
                                        ; implicit-def: $vgpr7
	s_and_saveexec_b64 s[12:13], s[0:1]
	s_xor_b64 s[0:1], exec, s[12:13]
; %bb.383:                              ;   in Loop: Header=BB330_271 Depth=1
	v_bfe_u32 v7, v4, 16, 1
	v_add3_u32 v7, v4, v7, s20
                                        ; implicit-def: $vgpr4
; %bb.384:                              ;   in Loop: Header=BB330_271 Depth=1
	s_andn2_saveexec_b64 s[12:13], s[0:1]
; %bb.385:                              ;   in Loop: Header=BB330_271 Depth=1
	v_or_b32_e32 v7, 0x10000, v4
	v_cmp_eq_u32_sdwa s[0:1], v4, v25 src0_sel:WORD_0 src1_sel:DWORD
	s_nop 1
	v_cndmask_b32_e64 v7, v7, v4, s[0:1]
; %bb.386:                              ;   in Loop: Header=BB330_271 Depth=1
	s_or_b64 exec, exec, s[12:13]
	v_and_b32_e32 v4, 0xff, v5
	v_cvt_f32_fp8_sdwa v4, v4 src0_sel:BYTE_0
	s_nop 0
	v_mul_f32_e32 v4, v24, v4
	v_and_b32_e32 v8, 0x7f800000, v4
	v_cmp_ne_u32_e64 s[0:1], s17, v8
                                        ; implicit-def: $vgpr8
	s_and_saveexec_b64 s[12:13], s[0:1]
	s_xor_b64 s[0:1], exec, s[12:13]
; %bb.387:                              ;   in Loop: Header=BB330_271 Depth=1
	v_bfe_u32 v8, v4, 16, 1
	v_add3_u32 v8, v4, v8, s20
                                        ; implicit-def: $vgpr4
; %bb.388:                              ;   in Loop: Header=BB330_271 Depth=1
	s_andn2_saveexec_b64 s[12:13], s[0:1]
; %bb.389:                              ;   in Loop: Header=BB330_271 Depth=1
	v_or_b32_e32 v8, 0x10000, v4
	v_cmp_eq_u32_sdwa s[0:1], v4, v25 src0_sel:WORD_0 src1_sel:DWORD
	s_nop 1
	v_cndmask_b32_e64 v8, v8, v4, s[0:1]
; %bb.390:                              ;   in Loop: Header=BB330_271 Depth=1
	s_or_b64 exec, exec, s[12:13]
	v_bfe_u32 v4, v5, 8, 8
	v_cvt_f32_fp8_sdwa v4, v4 src0_sel:BYTE_0
	s_nop 0
	v_mul_f32_e32 v9, v24, v4
	v_and_b32_e32 v4, 0x7f800000, v9
	v_cmp_ne_u32_e64 s[0:1], s17, v4
                                        ; implicit-def: $vgpr4
	s_and_saveexec_b64 s[12:13], s[0:1]
	s_xor_b64 s[0:1], exec, s[12:13]
; %bb.391:                              ;   in Loop: Header=BB330_271 Depth=1
	v_bfe_u32 v4, v9, 16, 1
	v_add3_u32 v4, v9, v4, s20
                                        ; implicit-def: $vgpr9
; %bb.392:                              ;   in Loop: Header=BB330_271 Depth=1
	s_andn2_saveexec_b64 s[12:13], s[0:1]
; %bb.393:                              ;   in Loop: Header=BB330_271 Depth=1
	v_or_b32_e32 v4, 0x10000, v9
	v_cmp_eq_u32_sdwa s[0:1], v9, v25 src0_sel:WORD_0 src1_sel:DWORD
	s_nop 1
	v_cndmask_b32_e64 v4, v4, v9, s[0:1]
; %bb.394:                              ;   in Loop: Header=BB330_271 Depth=1
	s_or_b64 exec, exec, s[12:13]
	v_bfe_u32 v9, v5, 16, 8
	v_cvt_f32_fp8_sdwa v9, v9 src0_sel:BYTE_0
	s_nop 0
	v_mul_f32_e32 v16, v24, v9
	v_and_b32_e32 v9, 0x7f800000, v16
	v_cmp_ne_u32_e64 s[0:1], s17, v9
                                        ; implicit-def: $vgpr9
	s_and_saveexec_b64 s[12:13], s[0:1]
	s_xor_b64 s[0:1], exec, s[12:13]
; %bb.395:                              ;   in Loop: Header=BB330_271 Depth=1
	v_bfe_u32 v9, v16, 16, 1
	v_add3_u32 v9, v16, v9, s20
                                        ; implicit-def: $vgpr16
; %bb.396:                              ;   in Loop: Header=BB330_271 Depth=1
	s_andn2_saveexec_b64 s[12:13], s[0:1]
; %bb.397:                              ;   in Loop: Header=BB330_271 Depth=1
	v_or_b32_e32 v9, 0x10000, v16
	v_cmp_eq_u32_sdwa s[0:1], v16, v25 src0_sel:WORD_0 src1_sel:DWORD
	s_nop 1
	v_cndmask_b32_e64 v9, v9, v16, s[0:1]
; %bb.398:                              ;   in Loop: Header=BB330_271 Depth=1
	s_or_b64 exec, exec, s[12:13]
	v_lshrrev_b32_e32 v5, 24, v5
	v_cvt_f32_fp8_sdwa v5, v5 src0_sel:BYTE_0
                                        ; implicit-def: $vgpr18
	s_nop 0
	v_mul_f32_e32 v5, v24, v5
	v_and_b32_e32 v16, 0x7f800000, v5
	v_cmp_ne_u32_e64 s[0:1], s17, v16
	s_and_saveexec_b64 s[12:13], s[0:1]
	s_xor_b64 s[0:1], exec, s[12:13]
; %bb.399:                              ;   in Loop: Header=BB330_271 Depth=1
	v_bfe_u32 v16, v5, 16, 1
	v_add3_u32 v18, v5, v16, s20
                                        ; implicit-def: $vgpr5
; %bb.400:                              ;   in Loop: Header=BB330_271 Depth=1
	s_andn2_saveexec_b64 s[12:13], s[0:1]
; %bb.401:                              ;   in Loop: Header=BB330_271 Depth=1
	v_or_b32_e32 v16, 0x10000, v5
	v_cmp_eq_u32_sdwa s[0:1], v5, v25 src0_sel:WORD_0 src1_sel:DWORD
	s_nop 1
	v_cndmask_b32_e64 v18, v16, v5, s[0:1]
; %bb.402:                              ;   in Loop: Header=BB330_271 Depth=1
	s_or_b64 exec, exec, s[12:13]
	v_lshrrev_b32_e32 v4, 16, v4
	v_lshrrev_b32_e32 v5, 16, v8
	;; [unrolled: 1-line block ×8, first 2 shown]
	s_and_saveexec_b64 s[12:13], vcc
	s_cbranch_execz .LBB330_404
; %bb.403:                              ;   in Loop: Header=BB330_271 Depth=1
	v_accvgpr_read_b32 v9, a3
	v_cmp_lt_i32_e64 s[0:1], v51, v9
	v_accvgpr_read_b32 v17, a37
	s_nop 0
	v_cndmask_b32_e64 v16, 0, v16, s[0:1]
	v_cmp_lt_i32_e64 s[0:1], v17, v9
	v_accvgpr_read_b32 v17, a36
	s_nop 0
	v_cndmask_b32_e64 v8, 0, v8, s[0:1]
	;; [unrolled: 4-line block ×7, first 2 shown]
	v_cmp_lt_i32_e64 s[0:1], v17, v9
	s_nop 1
	v_cndmask_b32_e64 v0, 0, v0, s[0:1]
.LBB330_404:                            ;   in Loop: Header=BB330_271 Depth=1
	s_or_b64 exec, exec, s[12:13]
	v_lshlrev_b32_e32 v9, 16, v16
	v_mul_f32_e32 v9, v44, v9
	v_and_b32_e32 v16, 0x7f800000, v9
	v_cmp_ne_u32_e64 s[0:1], s17, v16
                                        ; implicit-def: $agpr38
	s_and_saveexec_b64 s[12:13], s[0:1]
	s_xor_b64 s[0:1], exec, s[12:13]
; %bb.405:                              ;   in Loop: Header=BB330_271 Depth=1
	v_bfe_u32 v16, v9, 16, 1
	v_add3_u32 v9, v9, v16, s20
	v_accvgpr_write_b32 a38, v9
                                        ; implicit-def: $vgpr9
; %bb.406:                              ;   in Loop: Header=BB330_271 Depth=1
	s_andn2_saveexec_b64 s[12:13], s[0:1]
; %bb.407:                              ;   in Loop: Header=BB330_271 Depth=1
	v_or_b32_e32 v16, 0x10000, v9
	v_cmp_eq_u32_sdwa s[0:1], v9, v25 src0_sel:WORD_0 src1_sel:DWORD
	s_nop 1
	v_cndmask_b32_e64 v9, v16, v9, s[0:1]
	v_accvgpr_write_b32 a38, v9
; %bb.408:                              ;   in Loop: Header=BB330_271 Depth=1
	s_or_b64 exec, exec, s[12:13]
	v_lshlrev_b32_e32 v8, 16, v8
	v_mul_f32_e32 v8, v45, v8
	v_and_b32_e32 v9, 0x7f800000, v8
	v_cmp_ne_u32_e64 s[0:1], s17, v9
                                        ; implicit-def: $agpr39
	s_and_saveexec_b64 s[12:13], s[0:1]
	s_xor_b64 s[0:1], exec, s[12:13]
; %bb.409:                              ;   in Loop: Header=BB330_271 Depth=1
	v_bfe_u32 v9, v8, 16, 1
	v_add3_u32 v8, v8, v9, s20
	v_accvgpr_write_b32 a39, v8
                                        ; implicit-def: $vgpr8
; %bb.410:                              ;   in Loop: Header=BB330_271 Depth=1
	s_andn2_saveexec_b64 s[12:13], s[0:1]
; %bb.411:                              ;   in Loop: Header=BB330_271 Depth=1
	v_or_b32_e32 v9, 0x10000, v8
	v_cmp_eq_u32_sdwa s[0:1], v8, v25 src0_sel:WORD_0 src1_sel:DWORD
	s_nop 1
	v_cndmask_b32_e64 v8, v9, v8, s[0:1]
	v_accvgpr_write_b32 a39, v8
; %bb.412:                              ;   in Loop: Header=BB330_271 Depth=1
	s_or_b64 exec, exec, s[12:13]
	v_lshlrev_b32_e32 v6, 16, v6
	v_mul_f32_e32 v6, v46, v6
	v_and_b32_e32 v8, 0x7f800000, v6
	v_cmp_ne_u32_e64 s[0:1], s17, v8
                                        ; implicit-def: $agpr40
	s_and_saveexec_b64 s[12:13], s[0:1]
	s_xor_b64 s[0:1], exec, s[12:13]
; %bb.413:                              ;   in Loop: Header=BB330_271 Depth=1
	v_bfe_u32 v8, v6, 16, 1
	v_add3_u32 v6, v6, v8, s20
	v_accvgpr_write_b32 a40, v6
                                        ; implicit-def: $vgpr6
; %bb.414:                              ;   in Loop: Header=BB330_271 Depth=1
	s_andn2_saveexec_b64 s[12:13], s[0:1]
; %bb.415:                              ;   in Loop: Header=BB330_271 Depth=1
	v_or_b32_e32 v8, 0x10000, v6
	v_cmp_eq_u32_sdwa s[0:1], v6, v25 src0_sel:WORD_0 src1_sel:DWORD
	s_nop 1
	v_cndmask_b32_e64 v6, v8, v6, s[0:1]
	v_accvgpr_write_b32 a40, v6
; %bb.416:                              ;   in Loop: Header=BB330_271 Depth=1
	s_or_b64 exec, exec, s[12:13]
	v_lshlrev_b32_e32 v6, 16, v7
	v_mul_f32_e32 v6, v47, v6
	v_and_b32_e32 v7, 0x7f800000, v6
	v_cmp_ne_u32_e64 s[0:1], s17, v7
                                        ; implicit-def: $agpr41
	s_and_saveexec_b64 s[12:13], s[0:1]
	s_xor_b64 s[0:1], exec, s[12:13]
; %bb.417:                              ;   in Loop: Header=BB330_271 Depth=1
	v_bfe_u32 v7, v6, 16, 1
	v_add3_u32 v6, v6, v7, s20
	v_accvgpr_write_b32 a41, v6
                                        ; implicit-def: $vgpr6
; %bb.418:                              ;   in Loop: Header=BB330_271 Depth=1
	s_andn2_saveexec_b64 s[12:13], s[0:1]
; %bb.419:                              ;   in Loop: Header=BB330_271 Depth=1
	v_or_b32_e32 v7, 0x10000, v6
	v_cmp_eq_u32_sdwa s[0:1], v6, v25 src0_sel:WORD_0 src1_sel:DWORD
	s_nop 1
	v_cndmask_b32_e64 v6, v7, v6, s[0:1]
	v_accvgpr_write_b32 a41, v6
; %bb.420:                              ;   in Loop: Header=BB330_271 Depth=1
	s_or_b64 exec, exec, s[12:13]
	v_lshlrev_b32_e32 v5, 16, v5
	v_mul_f32_e32 v5, v61, v5
	v_and_b32_e32 v6, 0x7f800000, v5
	v_cmp_ne_u32_e64 s[0:1], s17, v6
                                        ; implicit-def: $agpr42
	s_and_saveexec_b64 s[12:13], s[0:1]
	s_xor_b64 s[0:1], exec, s[12:13]
; %bb.421:                              ;   in Loop: Header=BB330_271 Depth=1
	v_bfe_u32 v6, v5, 16, 1
	v_add3_u32 v5, v5, v6, s20
	v_accvgpr_write_b32 a42, v5
                                        ; implicit-def: $vgpr5
; %bb.422:                              ;   in Loop: Header=BB330_271 Depth=1
	s_andn2_saveexec_b64 s[12:13], s[0:1]
; %bb.423:                              ;   in Loop: Header=BB330_271 Depth=1
	v_or_b32_e32 v6, 0x10000, v5
	v_cmp_eq_u32_sdwa s[0:1], v5, v25 src0_sel:WORD_0 src1_sel:DWORD
	s_nop 1
	v_cndmask_b32_e64 v5, v6, v5, s[0:1]
	v_accvgpr_write_b32 a42, v5
; %bb.424:                              ;   in Loop: Header=BB330_271 Depth=1
	s_or_b64 exec, exec, s[12:13]
	v_lshlrev_b32_e32 v4, 16, v4
	v_mul_f32_e32 v4, v62, v4
	v_and_b32_e32 v5, 0x7f800000, v4
	v_cmp_ne_u32_e64 s[0:1], s17, v5
                                        ; implicit-def: $agpr43
	s_and_saveexec_b64 s[12:13], s[0:1]
	s_xor_b64 s[0:1], exec, s[12:13]
; %bb.425:                              ;   in Loop: Header=BB330_271 Depth=1
	v_bfe_u32 v5, v4, 16, 1
	v_add3_u32 v4, v4, v5, s20
	v_accvgpr_write_b32 a43, v4
                                        ; implicit-def: $vgpr4
; %bb.426:                              ;   in Loop: Header=BB330_271 Depth=1
	s_andn2_saveexec_b64 s[12:13], s[0:1]
; %bb.427:                              ;   in Loop: Header=BB330_271 Depth=1
	v_or_b32_e32 v5, 0x10000, v4
	v_cmp_eq_u32_sdwa s[0:1], v4, v25 src0_sel:WORD_0 src1_sel:DWORD
	s_nop 1
	v_cndmask_b32_e64 v4, v5, v4, s[0:1]
	v_accvgpr_write_b32 a43, v4
; %bb.428:                              ;   in Loop: Header=BB330_271 Depth=1
	s_or_b64 exec, exec, s[12:13]
	v_lshlrev_b32_e32 v1, 16, v1
	v_mul_f32_e32 v1, v63, v1
	v_and_b32_e32 v4, 0x7f800000, v1
	v_cmp_ne_u32_e64 s[0:1], s17, v4
                                        ; implicit-def: $agpr44
	s_and_saveexec_b64 s[12:13], s[0:1]
	s_xor_b64 s[0:1], exec, s[12:13]
; %bb.429:                              ;   in Loop: Header=BB330_271 Depth=1
	v_bfe_u32 v4, v1, 16, 1
	v_add3_u32 v1, v1, v4, s20
	v_accvgpr_write_b32 a44, v1
                                        ; implicit-def: $vgpr1
; %bb.430:                              ;   in Loop: Header=BB330_271 Depth=1
	s_andn2_saveexec_b64 s[12:13], s[0:1]
; %bb.431:                              ;   in Loop: Header=BB330_271 Depth=1
	v_or_b32_e32 v4, 0x10000, v1
	v_cmp_eq_u32_sdwa s[0:1], v1, v25 src0_sel:WORD_0 src1_sel:DWORD
	s_nop 1
	v_cndmask_b32_e64 v1, v4, v1, s[0:1]
	v_accvgpr_write_b32 a44, v1
; %bb.432:                              ;   in Loop: Header=BB330_271 Depth=1
	s_or_b64 exec, exec, s[12:13]
	v_lshlrev_b32_e32 v0, 16, v0
	v_mul_f32_e32 v0, v33, v0
	v_and_b32_e32 v1, 0x7f800000, v0
	v_cmp_ne_u32_e64 s[0:1], s17, v1
                                        ; implicit-def: $agpr45
	s_and_saveexec_b64 s[12:13], s[0:1]
	s_xor_b64 s[0:1], exec, s[12:13]
; %bb.433:                              ;   in Loop: Header=BB330_271 Depth=1
	v_bfe_u32 v1, v0, 16, 1
	v_add3_u32 v0, v0, v1, s20
	v_accvgpr_write_b32 a45, v0
                                        ; implicit-def: $vgpr0
; %bb.434:                              ;   in Loop: Header=BB330_271 Depth=1
	s_andn2_saveexec_b64 s[12:13], s[0:1]
; %bb.435:                              ;   in Loop: Header=BB330_271 Depth=1
	v_or_b32_e32 v1, 0x10000, v0
	v_cmp_eq_u32_sdwa s[0:1], v0, v25 src0_sel:WORD_0 src1_sel:DWORD
	s_nop 1
	v_cndmask_b32_e64 v0, v1, v0, s[0:1]
	v_accvgpr_write_b32 a45, v0
; %bb.436:                              ;   in Loop: Header=BB330_271 Depth=1
	s_or_b64 exec, exec, s[12:13]
	flat_load_dwordx2 v[4:5], v[2:3] offset:1024
	s_waitcnt vmcnt(0) lgkmcnt(0)
	v_and_b32_e32 v0, 0xff, v4
	v_cvt_f32_fp8_sdwa v0, v0 src0_sel:BYTE_0
	s_nop 0
	v_mul_f32_e32 v1, v24, v0
	v_and_b32_e32 v0, 0x7f800000, v1
	v_cmp_ne_u32_e64 s[0:1], s17, v0
                                        ; implicit-def: $vgpr0
	s_and_saveexec_b64 s[12:13], s[0:1]
	s_xor_b64 s[0:1], exec, s[12:13]
; %bb.437:                              ;   in Loop: Header=BB330_271 Depth=1
	v_bfe_u32 v0, v1, 16, 1
	v_add3_u32 v0, v1, v0, s20
                                        ; implicit-def: $vgpr1
; %bb.438:                              ;   in Loop: Header=BB330_271 Depth=1
	s_andn2_saveexec_b64 s[12:13], s[0:1]
; %bb.439:                              ;   in Loop: Header=BB330_271 Depth=1
	v_or_b32_e32 v0, 0x10000, v1
	v_cmp_eq_u32_sdwa s[0:1], v1, v25 src0_sel:WORD_0 src1_sel:DWORD
	s_nop 1
	v_cndmask_b32_e64 v0, v0, v1, s[0:1]
; %bb.440:                              ;   in Loop: Header=BB330_271 Depth=1
	s_or_b64 exec, exec, s[12:13]
	v_bfe_u32 v1, v4, 8, 8
	v_cvt_f32_fp8_sdwa v1, v1 src0_sel:BYTE_0
	s_nop 0
	v_mul_f32_e32 v6, v24, v1
	v_and_b32_e32 v1, 0x7f800000, v6
	v_cmp_ne_u32_e64 s[0:1], s17, v1
                                        ; implicit-def: $vgpr1
	s_and_saveexec_b64 s[12:13], s[0:1]
	s_xor_b64 s[0:1], exec, s[12:13]
; %bb.441:                              ;   in Loop: Header=BB330_271 Depth=1
	v_bfe_u32 v1, v6, 16, 1
	v_add3_u32 v1, v6, v1, s20
                                        ; implicit-def: $vgpr6
; %bb.442:                              ;   in Loop: Header=BB330_271 Depth=1
	s_andn2_saveexec_b64 s[12:13], s[0:1]
; %bb.443:                              ;   in Loop: Header=BB330_271 Depth=1
	v_or_b32_e32 v1, 0x10000, v6
	v_cmp_eq_u32_sdwa s[0:1], v6, v25 src0_sel:WORD_0 src1_sel:DWORD
	s_nop 1
	v_cndmask_b32_e64 v1, v1, v6, s[0:1]
; %bb.444:                              ;   in Loop: Header=BB330_271 Depth=1
	s_or_b64 exec, exec, s[12:13]
	v_bfe_u32 v6, v4, 16, 8
	v_cvt_f32_fp8_sdwa v6, v6 src0_sel:BYTE_0
	s_nop 0
	v_mul_f32_e32 v7, v24, v6
	v_and_b32_e32 v6, 0x7f800000, v7
	v_cmp_ne_u32_e64 s[0:1], s17, v6
                                        ; implicit-def: $vgpr6
	s_and_saveexec_b64 s[12:13], s[0:1]
	s_xor_b64 s[0:1], exec, s[12:13]
; %bb.445:                              ;   in Loop: Header=BB330_271 Depth=1
	v_bfe_u32 v6, v7, 16, 1
	v_add3_u32 v6, v7, v6, s20
                                        ; implicit-def: $vgpr7
; %bb.446:                              ;   in Loop: Header=BB330_271 Depth=1
	s_andn2_saveexec_b64 s[12:13], s[0:1]
; %bb.447:                              ;   in Loop: Header=BB330_271 Depth=1
	v_or_b32_e32 v6, 0x10000, v7
	v_cmp_eq_u32_sdwa s[0:1], v7, v25 src0_sel:WORD_0 src1_sel:DWORD
	s_nop 1
	v_cndmask_b32_e64 v6, v6, v7, s[0:1]
; %bb.448:                              ;   in Loop: Header=BB330_271 Depth=1
	s_or_b64 exec, exec, s[12:13]
	v_lshrrev_b32_e32 v4, 24, v4
	v_cvt_f32_fp8_sdwa v4, v4 src0_sel:BYTE_0
	s_nop 0
	v_mul_f32_e32 v4, v24, v4
	v_and_b32_e32 v7, 0x7f800000, v4
	v_cmp_ne_u32_e64 s[0:1], s17, v7
                                        ; implicit-def: $vgpr7
	s_and_saveexec_b64 s[12:13], s[0:1]
	s_xor_b64 s[0:1], exec, s[12:13]
; %bb.449:                              ;   in Loop: Header=BB330_271 Depth=1
	v_bfe_u32 v7, v4, 16, 1
	v_add3_u32 v7, v4, v7, s20
                                        ; implicit-def: $vgpr4
; %bb.450:                              ;   in Loop: Header=BB330_271 Depth=1
	s_andn2_saveexec_b64 s[12:13], s[0:1]
; %bb.451:                              ;   in Loop: Header=BB330_271 Depth=1
	v_or_b32_e32 v7, 0x10000, v4
	v_cmp_eq_u32_sdwa s[0:1], v4, v25 src0_sel:WORD_0 src1_sel:DWORD
	s_nop 1
	v_cndmask_b32_e64 v7, v7, v4, s[0:1]
; %bb.452:                              ;   in Loop: Header=BB330_271 Depth=1
	s_or_b64 exec, exec, s[12:13]
	v_and_b32_e32 v4, 0xff, v5
	v_cvt_f32_fp8_sdwa v4, v4 src0_sel:BYTE_0
	s_nop 0
	v_mul_f32_e32 v4, v24, v4
	v_and_b32_e32 v8, 0x7f800000, v4
	v_cmp_ne_u32_e64 s[0:1], s17, v8
                                        ; implicit-def: $vgpr8
	s_and_saveexec_b64 s[12:13], s[0:1]
	s_xor_b64 s[0:1], exec, s[12:13]
; %bb.453:                              ;   in Loop: Header=BB330_271 Depth=1
	v_bfe_u32 v8, v4, 16, 1
	v_add3_u32 v8, v4, v8, s20
                                        ; implicit-def: $vgpr4
; %bb.454:                              ;   in Loop: Header=BB330_271 Depth=1
	s_andn2_saveexec_b64 s[12:13], s[0:1]
; %bb.455:                              ;   in Loop: Header=BB330_271 Depth=1
	v_or_b32_e32 v8, 0x10000, v4
	v_cmp_eq_u32_sdwa s[0:1], v4, v25 src0_sel:WORD_0 src1_sel:DWORD
	s_nop 1
	v_cndmask_b32_e64 v8, v8, v4, s[0:1]
; %bb.456:                              ;   in Loop: Header=BB330_271 Depth=1
	s_or_b64 exec, exec, s[12:13]
	v_bfe_u32 v4, v5, 8, 8
	v_cvt_f32_fp8_sdwa v4, v4 src0_sel:BYTE_0
	s_nop 0
	v_mul_f32_e32 v9, v24, v4
	v_and_b32_e32 v4, 0x7f800000, v9
	v_cmp_ne_u32_e64 s[0:1], s17, v4
                                        ; implicit-def: $vgpr4
	s_and_saveexec_b64 s[12:13], s[0:1]
	s_xor_b64 s[0:1], exec, s[12:13]
; %bb.457:                              ;   in Loop: Header=BB330_271 Depth=1
	v_bfe_u32 v4, v9, 16, 1
	v_add3_u32 v4, v9, v4, s20
                                        ; implicit-def: $vgpr9
; %bb.458:                              ;   in Loop: Header=BB330_271 Depth=1
	s_andn2_saveexec_b64 s[12:13], s[0:1]
; %bb.459:                              ;   in Loop: Header=BB330_271 Depth=1
	v_or_b32_e32 v4, 0x10000, v9
	v_cmp_eq_u32_sdwa s[0:1], v9, v25 src0_sel:WORD_0 src1_sel:DWORD
	s_nop 1
	v_cndmask_b32_e64 v4, v4, v9, s[0:1]
; %bb.460:                              ;   in Loop: Header=BB330_271 Depth=1
	s_or_b64 exec, exec, s[12:13]
	v_bfe_u32 v9, v5, 16, 8
	v_cvt_f32_fp8_sdwa v9, v9 src0_sel:BYTE_0
	s_nop 0
	v_mul_f32_e32 v16, v24, v9
	v_and_b32_e32 v9, 0x7f800000, v16
	v_cmp_ne_u32_e64 s[0:1], s17, v9
                                        ; implicit-def: $vgpr9
	s_and_saveexec_b64 s[12:13], s[0:1]
	s_xor_b64 s[0:1], exec, s[12:13]
; %bb.461:                              ;   in Loop: Header=BB330_271 Depth=1
	v_bfe_u32 v9, v16, 16, 1
	v_add3_u32 v9, v16, v9, s20
                                        ; implicit-def: $vgpr16
; %bb.462:                              ;   in Loop: Header=BB330_271 Depth=1
	s_andn2_saveexec_b64 s[12:13], s[0:1]
; %bb.463:                              ;   in Loop: Header=BB330_271 Depth=1
	v_or_b32_e32 v9, 0x10000, v16
	v_cmp_eq_u32_sdwa s[0:1], v16, v25 src0_sel:WORD_0 src1_sel:DWORD
	s_nop 1
	v_cndmask_b32_e64 v9, v9, v16, s[0:1]
; %bb.464:                              ;   in Loop: Header=BB330_271 Depth=1
	s_or_b64 exec, exec, s[12:13]
	v_lshrrev_b32_e32 v5, 24, v5
	v_cvt_f32_fp8_sdwa v5, v5 src0_sel:BYTE_0
                                        ; implicit-def: $vgpr18
	s_nop 0
	v_mul_f32_e32 v5, v24, v5
	v_and_b32_e32 v16, 0x7f800000, v5
	v_cmp_ne_u32_e64 s[0:1], s17, v16
	s_and_saveexec_b64 s[12:13], s[0:1]
	s_xor_b64 s[0:1], exec, s[12:13]
; %bb.465:                              ;   in Loop: Header=BB330_271 Depth=1
	v_bfe_u32 v16, v5, 16, 1
	v_add3_u32 v18, v5, v16, s20
                                        ; implicit-def: $vgpr5
; %bb.466:                              ;   in Loop: Header=BB330_271 Depth=1
	s_andn2_saveexec_b64 s[12:13], s[0:1]
; %bb.467:                              ;   in Loop: Header=BB330_271 Depth=1
	v_or_b32_e32 v16, 0x10000, v5
	v_cmp_eq_u32_sdwa s[0:1], v5, v25 src0_sel:WORD_0 src1_sel:DWORD
	s_nop 1
	v_cndmask_b32_e64 v18, v16, v5, s[0:1]
; %bb.468:                              ;   in Loop: Header=BB330_271 Depth=1
	s_or_b64 exec, exec, s[12:13]
	v_lshrrev_b32_e32 v4, 16, v4
	v_lshrrev_b32_e32 v5, 16, v8
	v_lshrrev_b32_e32 v7, 16, v7
	v_lshrrev_b32_e32 v6, 16, v6
	v_lshrrev_b32_e32 v8, 16, v1
	v_lshrrev_b32_e32 v16, 16, v0
	v_lshrrev_b32_e32 v1, 16, v9
	v_lshrrev_b32_e32 v0, 16, v18
	s_and_saveexec_b64 s[12:13], vcc
	s_cbranch_execz .LBB330_470
; %bb.469:                              ;   in Loop: Header=BB330_271 Depth=1
	v_accvgpr_read_b32 v9, a3
	v_cmp_lt_i32_e64 s[0:1], v51, v9
	v_accvgpr_read_b32 v17, a37
	s_nop 0
	v_cndmask_b32_e64 v16, 0, v16, s[0:1]
	v_cmp_lt_i32_e64 s[0:1], v17, v9
	v_accvgpr_read_b32 v17, a36
	s_nop 0
	v_cndmask_b32_e64 v8, 0, v8, s[0:1]
	;; [unrolled: 4-line block ×7, first 2 shown]
	v_cmp_lt_i32_e64 s[0:1], v17, v9
	s_nop 1
	v_cndmask_b32_e64 v0, 0, v0, s[0:1]
.LBB330_470:                            ;   in Loop: Header=BB330_271 Depth=1
	s_or_b64 exec, exec, s[12:13]
	v_lshlrev_b32_e32 v9, 16, v16
	v_mul_f32_e32 v9, v44, v9
	v_and_b32_e32 v16, 0x7f800000, v9
	v_cmp_ne_u32_e64 s[0:1], s17, v16
                                        ; implicit-def: $agpr46
	s_and_saveexec_b64 s[12:13], s[0:1]
	s_xor_b64 s[0:1], exec, s[12:13]
; %bb.471:                              ;   in Loop: Header=BB330_271 Depth=1
	v_bfe_u32 v16, v9, 16, 1
	v_add3_u32 v9, v9, v16, s20
	v_accvgpr_write_b32 a46, v9
                                        ; implicit-def: $vgpr9
; %bb.472:                              ;   in Loop: Header=BB330_271 Depth=1
	s_andn2_saveexec_b64 s[12:13], s[0:1]
; %bb.473:                              ;   in Loop: Header=BB330_271 Depth=1
	v_or_b32_e32 v16, 0x10000, v9
	v_cmp_eq_u32_sdwa s[0:1], v9, v25 src0_sel:WORD_0 src1_sel:DWORD
	s_nop 1
	v_cndmask_b32_e64 v9, v16, v9, s[0:1]
	v_accvgpr_write_b32 a46, v9
; %bb.474:                              ;   in Loop: Header=BB330_271 Depth=1
	s_or_b64 exec, exec, s[12:13]
	v_lshlrev_b32_e32 v8, 16, v8
	v_mul_f32_e32 v8, v45, v8
	v_and_b32_e32 v9, 0x7f800000, v8
	v_cmp_ne_u32_e64 s[0:1], s17, v9
                                        ; implicit-def: $agpr47
	s_and_saveexec_b64 s[12:13], s[0:1]
	s_xor_b64 s[0:1], exec, s[12:13]
; %bb.475:                              ;   in Loop: Header=BB330_271 Depth=1
	v_bfe_u32 v9, v8, 16, 1
	v_add3_u32 v8, v8, v9, s20
	v_accvgpr_write_b32 a47, v8
                                        ; implicit-def: $vgpr8
; %bb.476:                              ;   in Loop: Header=BB330_271 Depth=1
	s_andn2_saveexec_b64 s[12:13], s[0:1]
; %bb.477:                              ;   in Loop: Header=BB330_271 Depth=1
	v_or_b32_e32 v9, 0x10000, v8
	v_cmp_eq_u32_sdwa s[0:1], v8, v25 src0_sel:WORD_0 src1_sel:DWORD
	s_nop 1
	v_cndmask_b32_e64 v8, v9, v8, s[0:1]
	v_accvgpr_write_b32 a47, v8
; %bb.478:                              ;   in Loop: Header=BB330_271 Depth=1
	s_or_b64 exec, exec, s[12:13]
	v_lshlrev_b32_e32 v6, 16, v6
	v_mul_f32_e32 v6, v46, v6
	v_and_b32_e32 v8, 0x7f800000, v6
	v_cmp_ne_u32_e64 s[0:1], s17, v8
                                        ; implicit-def: $vgpr22
	s_and_saveexec_b64 s[12:13], s[0:1]
	s_xor_b64 s[0:1], exec, s[12:13]
; %bb.479:                              ;   in Loop: Header=BB330_271 Depth=1
	v_bfe_u32 v8, v6, 16, 1
	v_add3_u32 v22, v6, v8, s20
                                        ; implicit-def: $vgpr6
; %bb.480:                              ;   in Loop: Header=BB330_271 Depth=1
	s_andn2_saveexec_b64 s[12:13], s[0:1]
; %bb.481:                              ;   in Loop: Header=BB330_271 Depth=1
	v_or_b32_e32 v8, 0x10000, v6
	v_cmp_eq_u32_sdwa s[0:1], v6, v25 src0_sel:WORD_0 src1_sel:DWORD
	s_nop 1
	v_cndmask_b32_e64 v22, v8, v6, s[0:1]
; %bb.482:                              ;   in Loop: Header=BB330_271 Depth=1
	s_or_b64 exec, exec, s[12:13]
	v_lshlrev_b32_e32 v6, 16, v7
	v_mul_f32_e32 v6, v47, v6
	v_and_b32_e32 v7, 0x7f800000, v6
	v_cmp_ne_u32_e64 s[0:1], s17, v7
                                        ; implicit-def: $vgpr28
	s_and_saveexec_b64 s[12:13], s[0:1]
	s_xor_b64 s[0:1], exec, s[12:13]
; %bb.483:                              ;   in Loop: Header=BB330_271 Depth=1
	v_bfe_u32 v7, v6, 16, 1
	v_add3_u32 v28, v6, v7, s20
                                        ; implicit-def: $vgpr6
; %bb.484:                              ;   in Loop: Header=BB330_271 Depth=1
	s_andn2_saveexec_b64 s[12:13], s[0:1]
; %bb.485:                              ;   in Loop: Header=BB330_271 Depth=1
	v_or_b32_e32 v7, 0x10000, v6
	v_cmp_eq_u32_sdwa s[0:1], v6, v25 src0_sel:WORD_0 src1_sel:DWORD
	s_nop 1
	v_cndmask_b32_e64 v28, v7, v6, s[0:1]
; %bb.486:                              ;   in Loop: Header=BB330_271 Depth=1
	s_or_b64 exec, exec, s[12:13]
	v_lshlrev_b32_e32 v5, 16, v5
	v_mul_f32_e32 v5, v61, v5
	v_and_b32_e32 v6, 0x7f800000, v5
	v_cmp_ne_u32_e64 s[0:1], s17, v6
                                        ; implicit-def: $vgpr29
	s_and_saveexec_b64 s[12:13], s[0:1]
	s_xor_b64 s[0:1], exec, s[12:13]
; %bb.487:                              ;   in Loop: Header=BB330_271 Depth=1
	v_bfe_u32 v6, v5, 16, 1
	v_add3_u32 v29, v5, v6, s20
                                        ; implicit-def: $vgpr5
; %bb.488:                              ;   in Loop: Header=BB330_271 Depth=1
	s_andn2_saveexec_b64 s[12:13], s[0:1]
; %bb.489:                              ;   in Loop: Header=BB330_271 Depth=1
	v_or_b32_e32 v6, 0x10000, v5
	v_cmp_eq_u32_sdwa s[0:1], v5, v25 src0_sel:WORD_0 src1_sel:DWORD
	s_nop 1
	v_cndmask_b32_e64 v29, v6, v5, s[0:1]
; %bb.490:                              ;   in Loop: Header=BB330_271 Depth=1
	s_or_b64 exec, exec, s[12:13]
	v_lshlrev_b32_e32 v4, 16, v4
	v_mul_f32_e32 v4, v62, v4
	v_and_b32_e32 v5, 0x7f800000, v4
	v_cmp_ne_u32_e64 s[0:1], s17, v5
                                        ; implicit-def: $vgpr60
	s_and_saveexec_b64 s[12:13], s[0:1]
	s_xor_b64 s[0:1], exec, s[12:13]
; %bb.491:                              ;   in Loop: Header=BB330_271 Depth=1
	v_bfe_u32 v5, v4, 16, 1
	v_add3_u32 v60, v4, v5, s20
                                        ; implicit-def: $vgpr4
; %bb.492:                              ;   in Loop: Header=BB330_271 Depth=1
	s_andn2_saveexec_b64 s[12:13], s[0:1]
; %bb.493:                              ;   in Loop: Header=BB330_271 Depth=1
	v_or_b32_e32 v5, 0x10000, v4
	v_cmp_eq_u32_sdwa s[0:1], v4, v25 src0_sel:WORD_0 src1_sel:DWORD
	s_nop 1
	v_cndmask_b32_e64 v60, v5, v4, s[0:1]
; %bb.494:                              ;   in Loop: Header=BB330_271 Depth=1
	s_or_b64 exec, exec, s[12:13]
	v_lshlrev_b32_e32 v1, 16, v1
	v_mul_f32_e32 v1, v63, v1
	v_and_b32_e32 v4, 0x7f800000, v1
	v_cmp_ne_u32_e64 s[0:1], s17, v4
                                        ; implicit-def: $vgpr58
	s_and_saveexec_b64 s[12:13], s[0:1]
	s_xor_b64 s[0:1], exec, s[12:13]
; %bb.495:                              ;   in Loop: Header=BB330_271 Depth=1
	v_bfe_u32 v4, v1, 16, 1
	v_add3_u32 v58, v1, v4, s20
                                        ; implicit-def: $vgpr1
; %bb.496:                              ;   in Loop: Header=BB330_271 Depth=1
	s_andn2_saveexec_b64 s[12:13], s[0:1]
; %bb.497:                              ;   in Loop: Header=BB330_271 Depth=1
	v_or_b32_e32 v4, 0x10000, v1
	v_cmp_eq_u32_sdwa s[0:1], v1, v25 src0_sel:WORD_0 src1_sel:DWORD
	s_nop 1
	v_cndmask_b32_e64 v58, v4, v1, s[0:1]
; %bb.498:                              ;   in Loop: Header=BB330_271 Depth=1
	s_or_b64 exec, exec, s[12:13]
	v_lshlrev_b32_e32 v0, 16, v0
	v_mul_f32_e32 v0, v33, v0
	v_and_b32_e32 v1, 0x7f800000, v0
	v_cmp_ne_u32_e64 s[0:1], s17, v1
                                        ; implicit-def: $vgpr18
	s_and_saveexec_b64 s[12:13], s[0:1]
	s_xor_b64 s[0:1], exec, s[12:13]
; %bb.499:                              ;   in Loop: Header=BB330_271 Depth=1
	v_bfe_u32 v1, v0, 16, 1
	v_add3_u32 v18, v0, v1, s20
                                        ; implicit-def: $vgpr0
; %bb.500:                              ;   in Loop: Header=BB330_271 Depth=1
	s_andn2_saveexec_b64 s[12:13], s[0:1]
; %bb.501:                              ;   in Loop: Header=BB330_271 Depth=1
	v_or_b32_e32 v1, 0x10000, v0
	v_cmp_eq_u32_sdwa s[0:1], v0, v25 src0_sel:WORD_0 src1_sel:DWORD
	s_nop 1
	v_cndmask_b32_e64 v18, v1, v0, s[0:1]
; %bb.502:                              ;   in Loop: Header=BB330_271 Depth=1
	s_or_b64 exec, exec, s[12:13]
	flat_load_dwordx2 v[4:5], v[2:3] offset:1536
	s_waitcnt vmcnt(0) lgkmcnt(0)
	v_and_b32_e32 v0, 0xff, v4
	v_cvt_f32_fp8_sdwa v0, v0 src0_sel:BYTE_0
	s_nop 0
	v_mul_f32_e32 v1, v24, v0
	v_and_b32_e32 v0, 0x7f800000, v1
	v_cmp_ne_u32_e64 s[0:1], s17, v0
                                        ; implicit-def: $vgpr0
	s_and_saveexec_b64 s[12:13], s[0:1]
	s_xor_b64 s[0:1], exec, s[12:13]
; %bb.503:                              ;   in Loop: Header=BB330_271 Depth=1
	v_bfe_u32 v0, v1, 16, 1
	v_add3_u32 v0, v1, v0, s20
                                        ; implicit-def: $vgpr1
; %bb.504:                              ;   in Loop: Header=BB330_271 Depth=1
	s_andn2_saveexec_b64 s[12:13], s[0:1]
; %bb.505:                              ;   in Loop: Header=BB330_271 Depth=1
	v_or_b32_e32 v0, 0x10000, v1
	v_cmp_eq_u32_sdwa s[0:1], v1, v25 src0_sel:WORD_0 src1_sel:DWORD
	s_nop 1
	v_cndmask_b32_e64 v0, v0, v1, s[0:1]
; %bb.506:                              ;   in Loop: Header=BB330_271 Depth=1
	s_or_b64 exec, exec, s[12:13]
	v_bfe_u32 v1, v4, 8, 8
	v_cvt_f32_fp8_sdwa v1, v1 src0_sel:BYTE_0
	s_nop 0
	v_mul_f32_e32 v6, v24, v1
	v_and_b32_e32 v1, 0x7f800000, v6
	v_cmp_ne_u32_e64 s[0:1], s17, v1
                                        ; implicit-def: $vgpr1
	s_and_saveexec_b64 s[12:13], s[0:1]
	s_xor_b64 s[0:1], exec, s[12:13]
; %bb.507:                              ;   in Loop: Header=BB330_271 Depth=1
	v_bfe_u32 v1, v6, 16, 1
	v_add3_u32 v1, v6, v1, s20
                                        ; implicit-def: $vgpr6
; %bb.508:                              ;   in Loop: Header=BB330_271 Depth=1
	s_andn2_saveexec_b64 s[12:13], s[0:1]
; %bb.509:                              ;   in Loop: Header=BB330_271 Depth=1
	v_or_b32_e32 v1, 0x10000, v6
	v_cmp_eq_u32_sdwa s[0:1], v6, v25 src0_sel:WORD_0 src1_sel:DWORD
	s_nop 1
	v_cndmask_b32_e64 v1, v1, v6, s[0:1]
; %bb.510:                              ;   in Loop: Header=BB330_271 Depth=1
	s_or_b64 exec, exec, s[12:13]
	v_bfe_u32 v6, v4, 16, 8
	v_cvt_f32_fp8_sdwa v6, v6 src0_sel:BYTE_0
	s_nop 0
	v_mul_f32_e32 v7, v24, v6
	v_and_b32_e32 v6, 0x7f800000, v7
	v_cmp_ne_u32_e64 s[0:1], s17, v6
                                        ; implicit-def: $vgpr6
	s_and_saveexec_b64 s[12:13], s[0:1]
	s_xor_b64 s[0:1], exec, s[12:13]
; %bb.511:                              ;   in Loop: Header=BB330_271 Depth=1
	v_bfe_u32 v6, v7, 16, 1
	v_add3_u32 v6, v7, v6, s20
                                        ; implicit-def: $vgpr7
; %bb.512:                              ;   in Loop: Header=BB330_271 Depth=1
	s_andn2_saveexec_b64 s[12:13], s[0:1]
; %bb.513:                              ;   in Loop: Header=BB330_271 Depth=1
	v_or_b32_e32 v6, 0x10000, v7
	v_cmp_eq_u32_sdwa s[0:1], v7, v25 src0_sel:WORD_0 src1_sel:DWORD
	s_nop 1
	v_cndmask_b32_e64 v6, v6, v7, s[0:1]
; %bb.514:                              ;   in Loop: Header=BB330_271 Depth=1
	s_or_b64 exec, exec, s[12:13]
	v_lshrrev_b32_e32 v4, 24, v4
	v_cvt_f32_fp8_sdwa v4, v4 src0_sel:BYTE_0
	s_nop 0
	v_mul_f32_e32 v4, v24, v4
	v_and_b32_e32 v7, 0x7f800000, v4
	v_cmp_ne_u32_e64 s[0:1], s17, v7
                                        ; implicit-def: $vgpr7
	s_and_saveexec_b64 s[12:13], s[0:1]
	s_xor_b64 s[0:1], exec, s[12:13]
; %bb.515:                              ;   in Loop: Header=BB330_271 Depth=1
	v_bfe_u32 v7, v4, 16, 1
	v_add3_u32 v7, v4, v7, s20
                                        ; implicit-def: $vgpr4
; %bb.516:                              ;   in Loop: Header=BB330_271 Depth=1
	s_andn2_saveexec_b64 s[12:13], s[0:1]
; %bb.517:                              ;   in Loop: Header=BB330_271 Depth=1
	v_or_b32_e32 v7, 0x10000, v4
	v_cmp_eq_u32_sdwa s[0:1], v4, v25 src0_sel:WORD_0 src1_sel:DWORD
	s_nop 1
	v_cndmask_b32_e64 v7, v7, v4, s[0:1]
; %bb.518:                              ;   in Loop: Header=BB330_271 Depth=1
	s_or_b64 exec, exec, s[12:13]
	v_and_b32_e32 v4, 0xff, v5
	v_cvt_f32_fp8_sdwa v4, v4 src0_sel:BYTE_0
	s_nop 0
	v_mul_f32_e32 v4, v24, v4
	v_and_b32_e32 v8, 0x7f800000, v4
	v_cmp_ne_u32_e64 s[0:1], s17, v8
                                        ; implicit-def: $vgpr8
	s_and_saveexec_b64 s[12:13], s[0:1]
	s_xor_b64 s[0:1], exec, s[12:13]
; %bb.519:                              ;   in Loop: Header=BB330_271 Depth=1
	v_bfe_u32 v8, v4, 16, 1
	v_add3_u32 v8, v4, v8, s20
                                        ; implicit-def: $vgpr4
; %bb.520:                              ;   in Loop: Header=BB330_271 Depth=1
	s_andn2_saveexec_b64 s[12:13], s[0:1]
; %bb.521:                              ;   in Loop: Header=BB330_271 Depth=1
	v_or_b32_e32 v8, 0x10000, v4
	v_cmp_eq_u32_sdwa s[0:1], v4, v25 src0_sel:WORD_0 src1_sel:DWORD
	s_nop 1
	v_cndmask_b32_e64 v8, v8, v4, s[0:1]
; %bb.522:                              ;   in Loop: Header=BB330_271 Depth=1
	s_or_b64 exec, exec, s[12:13]
	v_bfe_u32 v4, v5, 8, 8
	v_cvt_f32_fp8_sdwa v4, v4 src0_sel:BYTE_0
	s_nop 0
	v_mul_f32_e32 v9, v24, v4
	v_and_b32_e32 v4, 0x7f800000, v9
	v_cmp_ne_u32_e64 s[0:1], s17, v4
                                        ; implicit-def: $vgpr4
	s_and_saveexec_b64 s[12:13], s[0:1]
	s_xor_b64 s[0:1], exec, s[12:13]
; %bb.523:                              ;   in Loop: Header=BB330_271 Depth=1
	v_bfe_u32 v4, v9, 16, 1
	v_add3_u32 v4, v9, v4, s20
                                        ; implicit-def: $vgpr9
; %bb.524:                              ;   in Loop: Header=BB330_271 Depth=1
	s_andn2_saveexec_b64 s[12:13], s[0:1]
; %bb.525:                              ;   in Loop: Header=BB330_271 Depth=1
	v_or_b32_e32 v4, 0x10000, v9
	v_cmp_eq_u32_sdwa s[0:1], v9, v25 src0_sel:WORD_0 src1_sel:DWORD
	s_nop 1
	v_cndmask_b32_e64 v4, v4, v9, s[0:1]
; %bb.526:                              ;   in Loop: Header=BB330_271 Depth=1
	s_or_b64 exec, exec, s[12:13]
	v_bfe_u32 v9, v5, 16, 8
	v_cvt_f32_fp8_sdwa v9, v9 src0_sel:BYTE_0
	s_nop 0
	v_mul_f32_e32 v16, v24, v9
	v_and_b32_e32 v9, 0x7f800000, v16
	v_cmp_ne_u32_e64 s[0:1], s17, v9
                                        ; implicit-def: $vgpr9
	s_and_saveexec_b64 s[12:13], s[0:1]
	s_xor_b64 s[0:1], exec, s[12:13]
; %bb.527:                              ;   in Loop: Header=BB330_271 Depth=1
	v_bfe_u32 v9, v16, 16, 1
	v_add3_u32 v9, v16, v9, s20
                                        ; implicit-def: $vgpr16
; %bb.528:                              ;   in Loop: Header=BB330_271 Depth=1
	s_andn2_saveexec_b64 s[12:13], s[0:1]
; %bb.529:                              ;   in Loop: Header=BB330_271 Depth=1
	v_or_b32_e32 v9, 0x10000, v16
	v_cmp_eq_u32_sdwa s[0:1], v16, v25 src0_sel:WORD_0 src1_sel:DWORD
	s_nop 1
	v_cndmask_b32_e64 v9, v9, v16, s[0:1]
; %bb.530:                              ;   in Loop: Header=BB330_271 Depth=1
	s_or_b64 exec, exec, s[12:13]
	v_lshrrev_b32_e32 v5, 24, v5
	v_cvt_f32_fp8_sdwa v5, v5 src0_sel:BYTE_0
                                        ; implicit-def: $vgpr26
	s_nop 0
	v_mul_f32_e32 v5, v24, v5
	v_and_b32_e32 v16, 0x7f800000, v5
	v_cmp_ne_u32_e64 s[0:1], s17, v16
	s_and_saveexec_b64 s[12:13], s[0:1]
	s_xor_b64 s[0:1], exec, s[12:13]
; %bb.531:                              ;   in Loop: Header=BB330_271 Depth=1
	v_bfe_u32 v16, v5, 16, 1
	v_add3_u32 v26, v5, v16, s20
                                        ; implicit-def: $vgpr5
; %bb.532:                              ;   in Loop: Header=BB330_271 Depth=1
	s_andn2_saveexec_b64 s[12:13], s[0:1]
; %bb.533:                              ;   in Loop: Header=BB330_271 Depth=1
	v_or_b32_e32 v16, 0x10000, v5
	v_cmp_eq_u32_sdwa s[0:1], v5, v25 src0_sel:WORD_0 src1_sel:DWORD
	s_nop 1
	v_cndmask_b32_e64 v26, v16, v5, s[0:1]
; %bb.534:                              ;   in Loop: Header=BB330_271 Depth=1
	s_or_b64 exec, exec, s[12:13]
	v_lshrrev_b32_e32 v4, 16, v4
	v_lshrrev_b32_e32 v5, 16, v8
	;; [unrolled: 1-line block ×8, first 2 shown]
	s_and_saveexec_b64 s[12:13], vcc
	s_cbranch_execz .LBB330_536
; %bb.535:                              ;   in Loop: Header=BB330_271 Depth=1
	v_accvgpr_read_b32 v9, a3
	v_cmp_lt_i32_e64 s[0:1], v51, v9
	v_accvgpr_read_b32 v17, a37
	s_nop 0
	v_cndmask_b32_e64 v16, 0, v16, s[0:1]
	v_cmp_lt_i32_e64 s[0:1], v17, v9
	v_accvgpr_read_b32 v17, a36
	s_nop 0
	v_cndmask_b32_e64 v6, 0, v6, s[0:1]
	;; [unrolled: 4-line block ×7, first 2 shown]
	v_cmp_lt_i32_e64 s[0:1], v17, v9
	s_nop 1
	v_cndmask_b32_e64 v0, 0, v0, s[0:1]
.LBB330_536:                            ;   in Loop: Header=BB330_271 Depth=1
	s_or_b64 exec, exec, s[12:13]
	v_lshlrev_b32_e32 v9, 16, v16
	v_mul_f32_e32 v9, v44, v9
	v_and_b32_e32 v16, 0x7f800000, v9
	v_cmp_ne_u32_e64 s[0:1], s17, v16
                                        ; implicit-def: $vgpr59
	s_and_saveexec_b64 s[12:13], s[0:1]
	s_xor_b64 s[0:1], exec, s[12:13]
; %bb.537:                              ;   in Loop: Header=BB330_271 Depth=1
	v_bfe_u32 v16, v9, 16, 1
	v_add3_u32 v59, v9, v16, s20
                                        ; implicit-def: $vgpr9
; %bb.538:                              ;   in Loop: Header=BB330_271 Depth=1
	s_andn2_saveexec_b64 s[12:13], s[0:1]
; %bb.539:                              ;   in Loop: Header=BB330_271 Depth=1
	v_or_b32_e32 v16, 0x10000, v9
	v_cmp_eq_u32_sdwa s[0:1], v9, v25 src0_sel:WORD_0 src1_sel:DWORD
	s_nop 1
	v_cndmask_b32_e64 v59, v16, v9, s[0:1]
; %bb.540:                              ;   in Loop: Header=BB330_271 Depth=1
	s_or_b64 exec, exec, s[12:13]
	v_lshlrev_b32_e32 v6, 16, v6
	v_mul_f32_e32 v9, v45, v6
	v_and_b32_e32 v6, 0x7f800000, v9
	v_cmp_ne_u32_e64 s[0:1], s17, v6
                                        ; implicit-def: $vgpr6
	s_and_saveexec_b64 s[12:13], s[0:1]
	s_xor_b64 s[0:1], exec, s[12:13]
; %bb.541:                              ;   in Loop: Header=BB330_271 Depth=1
	v_bfe_u32 v6, v9, 16, 1
	v_add3_u32 v6, v9, v6, s20
                                        ; implicit-def: $vgpr9
; %bb.542:                              ;   in Loop: Header=BB330_271 Depth=1
	s_andn2_saveexec_b64 s[12:13], s[0:1]
; %bb.543:                              ;   in Loop: Header=BB330_271 Depth=1
	v_or_b32_e32 v6, 0x10000, v9
	v_cmp_eq_u32_sdwa s[0:1], v9, v25 src0_sel:WORD_0 src1_sel:DWORD
	s_nop 1
	v_cndmask_b32_e64 v6, v6, v9, s[0:1]
; %bb.544:                              ;   in Loop: Header=BB330_271 Depth=1
	s_or_b64 exec, exec, s[12:13]
	v_lshlrev_b32_e32 v7, 16, v7
	v_mul_f32_e32 v9, v46, v7
	v_and_b32_e32 v7, 0x7f800000, v9
	v_cmp_ne_u32_e64 s[0:1], s17, v7
                                        ; implicit-def: $vgpr7
	s_and_saveexec_b64 s[12:13], s[0:1]
	s_xor_b64 s[0:1], exec, s[12:13]
; %bb.545:                              ;   in Loop: Header=BB330_271 Depth=1
	v_bfe_u32 v7, v9, 16, 1
	v_add3_u32 v7, v9, v7, s20
                                        ; implicit-def: $vgpr9
; %bb.546:                              ;   in Loop: Header=BB330_271 Depth=1
	s_andn2_saveexec_b64 s[12:13], s[0:1]
; %bb.547:                              ;   in Loop: Header=BB330_271 Depth=1
	v_or_b32_e32 v7, 0x10000, v9
	v_cmp_eq_u32_sdwa s[0:1], v9, v25 src0_sel:WORD_0 src1_sel:DWORD
	s_nop 1
	v_cndmask_b32_e64 v7, v7, v9, s[0:1]
; %bb.548:                              ;   in Loop: Header=BB330_271 Depth=1
	s_or_b64 exec, exec, s[12:13]
	v_lshlrev_b32_e32 v8, 16, v8
	v_mul_f32_e32 v8, v47, v8
	v_and_b32_e32 v9, 0x7f800000, v8
	v_cmp_ne_u32_e64 s[0:1], s17, v9
                                        ; implicit-def: $vgpr34
	s_and_saveexec_b64 s[12:13], s[0:1]
	s_xor_b64 s[0:1], exec, s[12:13]
; %bb.549:                              ;   in Loop: Header=BB330_271 Depth=1
	v_bfe_u32 v9, v8, 16, 1
	v_add3_u32 v34, v8, v9, s20
                                        ; implicit-def: $vgpr8
; %bb.550:                              ;   in Loop: Header=BB330_271 Depth=1
	s_andn2_saveexec_b64 s[12:13], s[0:1]
; %bb.551:                              ;   in Loop: Header=BB330_271 Depth=1
	v_or_b32_e32 v9, 0x10000, v8
	v_cmp_eq_u32_sdwa s[0:1], v8, v25 src0_sel:WORD_0 src1_sel:DWORD
	s_nop 1
	v_cndmask_b32_e64 v34, v9, v8, s[0:1]
; %bb.552:                              ;   in Loop: Header=BB330_271 Depth=1
	s_or_b64 exec, exec, s[12:13]
	v_lshlrev_b32_e32 v5, 16, v5
	v_mul_f32_e32 v5, v61, v5
	v_and_b32_e32 v8, 0x7f800000, v5
	v_cmp_ne_u32_e64 s[0:1], s17, v8
                                        ; implicit-def: $vgpr8
	s_and_saveexec_b64 s[12:13], s[0:1]
	s_xor_b64 s[0:1], exec, s[12:13]
; %bb.553:                              ;   in Loop: Header=BB330_271 Depth=1
	v_bfe_u32 v8, v5, 16, 1
	v_add3_u32 v8, v5, v8, s20
                                        ; implicit-def: $vgpr5
; %bb.554:                              ;   in Loop: Header=BB330_271 Depth=1
	s_andn2_saveexec_b64 s[12:13], s[0:1]
; %bb.555:                              ;   in Loop: Header=BB330_271 Depth=1
	v_or_b32_e32 v8, 0x10000, v5
	v_cmp_eq_u32_sdwa s[0:1], v5, v25 src0_sel:WORD_0 src1_sel:DWORD
	s_nop 1
	v_cndmask_b32_e64 v8, v8, v5, s[0:1]
; %bb.556:                              ;   in Loop: Header=BB330_271 Depth=1
	s_or_b64 exec, exec, s[12:13]
	v_lshlrev_b32_e32 v4, 16, v4
	v_mul_f32_e32 v4, v62, v4
	v_and_b32_e32 v5, 0x7f800000, v4
	v_cmp_ne_u32_e64 s[0:1], s17, v5
                                        ; implicit-def: $vgpr9
	s_and_saveexec_b64 s[12:13], s[0:1]
	s_xor_b64 s[0:1], exec, s[12:13]
; %bb.557:                              ;   in Loop: Header=BB330_271 Depth=1
	v_bfe_u32 v5, v4, 16, 1
	v_add3_u32 v9, v4, v5, s20
                                        ; implicit-def: $vgpr4
; %bb.558:                              ;   in Loop: Header=BB330_271 Depth=1
	s_andn2_saveexec_b64 s[12:13], s[0:1]
; %bb.559:                              ;   in Loop: Header=BB330_271 Depth=1
	v_or_b32_e32 v5, 0x10000, v4
	v_cmp_eq_u32_sdwa s[0:1], v4, v25 src0_sel:WORD_0 src1_sel:DWORD
	s_nop 1
	v_cndmask_b32_e64 v9, v5, v4, s[0:1]
; %bb.560:                              ;   in Loop: Header=BB330_271 Depth=1
	s_or_b64 exec, exec, s[12:13]
	v_lshlrev_b32_e32 v1, 16, v1
	v_mul_f32_e32 v1, v63, v1
	v_and_b32_e32 v4, 0x7f800000, v1
	v_cmp_ne_u32_e64 s[0:1], s17, v4
                                        ; implicit-def: $vgpr39
	s_and_saveexec_b64 s[12:13], s[0:1]
	s_xor_b64 s[0:1], exec, s[12:13]
; %bb.561:                              ;   in Loop: Header=BB330_271 Depth=1
	v_bfe_u32 v4, v1, 16, 1
	v_add3_u32 v39, v1, v4, s20
                                        ; implicit-def: $vgpr1
; %bb.562:                              ;   in Loop: Header=BB330_271 Depth=1
	s_andn2_saveexec_b64 s[12:13], s[0:1]
; %bb.563:                              ;   in Loop: Header=BB330_271 Depth=1
	v_or_b32_e32 v4, 0x10000, v1
	v_cmp_eq_u32_sdwa s[0:1], v1, v25 src0_sel:WORD_0 src1_sel:DWORD
	s_nop 1
	v_cndmask_b32_e64 v39, v4, v1, s[0:1]
; %bb.564:                              ;   in Loop: Header=BB330_271 Depth=1
	s_or_b64 exec, exec, s[12:13]
	v_lshlrev_b32_e32 v0, 16, v0
	v_mul_f32_e32 v0, v33, v0
	v_and_b32_e32 v1, 0x7f800000, v0
	v_cmp_ne_u32_e64 s[0:1], s17, v1
                                        ; implicit-def: $vgpr48
	s_and_saveexec_b64 s[12:13], s[0:1]
	s_xor_b64 s[0:1], exec, s[12:13]
; %bb.565:                              ;   in Loop: Header=BB330_271 Depth=1
	v_bfe_u32 v1, v0, 16, 1
	v_add3_u32 v48, v0, v1, s20
                                        ; implicit-def: $vgpr0
; %bb.566:                              ;   in Loop: Header=BB330_271 Depth=1
	s_andn2_saveexec_b64 s[12:13], s[0:1]
; %bb.567:                              ;   in Loop: Header=BB330_271 Depth=1
	v_or_b32_e32 v1, 0x10000, v0
	v_cmp_eq_u32_sdwa s[0:1], v0, v25 src0_sel:WORD_0 src1_sel:DWORD
	s_nop 1
	v_cndmask_b32_e64 v48, v1, v0, s[0:1]
; %bb.568:                              ;   in Loop: Header=BB330_271 Depth=1
	s_or_b64 exec, exec, s[12:13]
	flat_load_dwordx2 v[4:5], v[2:3] offset:2048
	s_waitcnt vmcnt(0) lgkmcnt(0)
	v_and_b32_e32 v0, 0xff, v4
	v_cvt_f32_fp8_sdwa v0, v0 src0_sel:BYTE_0
	s_nop 0
	v_mul_f32_e32 v1, v24, v0
	v_and_b32_e32 v0, 0x7f800000, v1
	v_cmp_ne_u32_e64 s[0:1], s17, v0
                                        ; implicit-def: $vgpr0
	s_and_saveexec_b64 s[12:13], s[0:1]
	s_xor_b64 s[0:1], exec, s[12:13]
; %bb.569:                              ;   in Loop: Header=BB330_271 Depth=1
	v_bfe_u32 v0, v1, 16, 1
	v_add3_u32 v0, v1, v0, s20
                                        ; implicit-def: $vgpr1
; %bb.570:                              ;   in Loop: Header=BB330_271 Depth=1
	s_andn2_saveexec_b64 s[12:13], s[0:1]
; %bb.571:                              ;   in Loop: Header=BB330_271 Depth=1
	v_or_b32_e32 v0, 0x10000, v1
	v_cmp_eq_u32_sdwa s[0:1], v1, v25 src0_sel:WORD_0 src1_sel:DWORD
	s_nop 1
	v_cndmask_b32_e64 v0, v0, v1, s[0:1]
; %bb.572:                              ;   in Loop: Header=BB330_271 Depth=1
	s_or_b64 exec, exec, s[12:13]
	v_bfe_u32 v1, v4, 8, 8
	v_cvt_f32_fp8_sdwa v1, v1 src0_sel:BYTE_0
	s_nop 0
	v_mul_f32_e32 v16, v24, v1
	v_and_b32_e32 v1, 0x7f800000, v16
	v_cmp_ne_u32_e64 s[0:1], s17, v1
                                        ; implicit-def: $vgpr1
	s_and_saveexec_b64 s[12:13], s[0:1]
	s_xor_b64 s[0:1], exec, s[12:13]
; %bb.573:                              ;   in Loop: Header=BB330_271 Depth=1
	v_bfe_u32 v1, v16, 16, 1
	v_add3_u32 v1, v16, v1, s20
                                        ; implicit-def: $vgpr16
; %bb.574:                              ;   in Loop: Header=BB330_271 Depth=1
	s_andn2_saveexec_b64 s[12:13], s[0:1]
; %bb.575:                              ;   in Loop: Header=BB330_271 Depth=1
	v_or_b32_e32 v1, 0x10000, v16
	v_cmp_eq_u32_sdwa s[0:1], v16, v25 src0_sel:WORD_0 src1_sel:DWORD
	s_nop 1
	v_cndmask_b32_e64 v1, v1, v16, s[0:1]
; %bb.576:                              ;   in Loop: Header=BB330_271 Depth=1
	s_or_b64 exec, exec, s[12:13]
	v_bfe_u32 v16, v4, 16, 8
	v_cvt_f32_fp8_sdwa v16, v16 src0_sel:BYTE_0
	s_nop 0
	v_mul_f32_e32 v23, v24, v16
	v_and_b32_e32 v16, 0x7f800000, v23
	v_cmp_ne_u32_e64 s[0:1], s17, v16
                                        ; implicit-def: $vgpr16
	s_and_saveexec_b64 s[12:13], s[0:1]
	s_xor_b64 s[0:1], exec, s[12:13]
; %bb.577:                              ;   in Loop: Header=BB330_271 Depth=1
	v_bfe_u32 v16, v23, 16, 1
	v_add3_u32 v16, v23, v16, s20
                                        ; implicit-def: $vgpr23
; %bb.578:                              ;   in Loop: Header=BB330_271 Depth=1
	s_andn2_saveexec_b64 s[12:13], s[0:1]
; %bb.579:                              ;   in Loop: Header=BB330_271 Depth=1
	v_or_b32_e32 v16, 0x10000, v23
	v_cmp_eq_u32_sdwa s[0:1], v23, v25 src0_sel:WORD_0 src1_sel:DWORD
	s_nop 1
	v_cndmask_b32_e64 v16, v16, v23, s[0:1]
; %bb.580:                              ;   in Loop: Header=BB330_271 Depth=1
	s_or_b64 exec, exec, s[12:13]
	v_lshrrev_b32_e32 v4, 24, v4
	v_cvt_f32_fp8_sdwa v4, v4 src0_sel:BYTE_0
	s_nop 0
	v_mul_f32_e32 v23, v24, v4
	v_and_b32_e32 v4, 0x7f800000, v23
	v_cmp_ne_u32_e64 s[0:1], s17, v4
                                        ; implicit-def: $vgpr4
	s_and_saveexec_b64 s[12:13], s[0:1]
	s_xor_b64 s[0:1], exec, s[12:13]
; %bb.581:                              ;   in Loop: Header=BB330_271 Depth=1
	v_bfe_u32 v4, v23, 16, 1
	v_add3_u32 v4, v23, v4, s20
                                        ; implicit-def: $vgpr23
; %bb.582:                              ;   in Loop: Header=BB330_271 Depth=1
	s_andn2_saveexec_b64 s[12:13], s[0:1]
; %bb.583:                              ;   in Loop: Header=BB330_271 Depth=1
	v_or_b32_e32 v4, 0x10000, v23
	v_cmp_eq_u32_sdwa s[0:1], v23, v25 src0_sel:WORD_0 src1_sel:DWORD
	s_nop 1
	v_cndmask_b32_e64 v4, v4, v23, s[0:1]
; %bb.584:                              ;   in Loop: Header=BB330_271 Depth=1
	s_or_b64 exec, exec, s[12:13]
	v_and_b32_e32 v17, 0xff, v5
	v_cvt_f32_fp8_sdwa v17, v17 src0_sel:BYTE_0
                                        ; implicit-def: $vgpr27
	s_nop 0
	v_mul_f32_e32 v23, v24, v17
	v_and_b32_e32 v17, 0x7f800000, v23
	v_cmp_ne_u32_e64 s[0:1], s17, v17
	s_and_saveexec_b64 s[12:13], s[0:1]
	s_xor_b64 s[0:1], exec, s[12:13]
; %bb.585:                              ;   in Loop: Header=BB330_271 Depth=1
	v_bfe_u32 v17, v23, 16, 1
	v_add3_u32 v27, v23, v17, s20
                                        ; implicit-def: $vgpr23
; %bb.586:                              ;   in Loop: Header=BB330_271 Depth=1
	s_andn2_saveexec_b64 s[12:13], s[0:1]
; %bb.587:                              ;   in Loop: Header=BB330_271 Depth=1
	v_or_b32_e32 v17, 0x10000, v23
	v_cmp_eq_u32_sdwa s[0:1], v23, v25 src0_sel:WORD_0 src1_sel:DWORD
	s_nop 1
	v_cndmask_b32_e64 v27, v17, v23, s[0:1]
; %bb.588:                              ;   in Loop: Header=BB330_271 Depth=1
	s_or_b64 exec, exec, s[12:13]
	v_bfe_u32 v17, v5, 8, 8
	v_cvt_f32_fp8_sdwa v17, v17 src0_sel:BYTE_0
                                        ; implicit-def: $vgpr30
	s_nop 0
	v_mul_f32_e32 v23, v24, v17
	v_and_b32_e32 v17, 0x7f800000, v23
	v_cmp_ne_u32_e64 s[0:1], s17, v17
	s_and_saveexec_b64 s[12:13], s[0:1]
	s_xor_b64 s[0:1], exec, s[12:13]
; %bb.589:                              ;   in Loop: Header=BB330_271 Depth=1
	v_bfe_u32 v17, v23, 16, 1
	v_add3_u32 v30, v23, v17, s20
                                        ; implicit-def: $vgpr23
; %bb.590:                              ;   in Loop: Header=BB330_271 Depth=1
	s_andn2_saveexec_b64 s[12:13], s[0:1]
; %bb.591:                              ;   in Loop: Header=BB330_271 Depth=1
	v_or_b32_e32 v17, 0x10000, v23
	v_cmp_eq_u32_sdwa s[0:1], v23, v25 src0_sel:WORD_0 src1_sel:DWORD
	s_nop 1
	v_cndmask_b32_e64 v30, v17, v23, s[0:1]
; %bb.592:                              ;   in Loop: Header=BB330_271 Depth=1
	s_or_b64 exec, exec, s[12:13]
	v_bfe_u32 v17, v5, 16, 8
	v_cvt_f32_fp8_sdwa v17, v17 src0_sel:BYTE_0
                                        ; implicit-def: $vgpr36
	s_nop 0
	v_mul_f32_e32 v23, v24, v17
	v_and_b32_e32 v17, 0x7f800000, v23
	v_cmp_ne_u32_e64 s[0:1], s17, v17
	s_and_saveexec_b64 s[12:13], s[0:1]
	s_xor_b64 s[0:1], exec, s[12:13]
; %bb.593:                              ;   in Loop: Header=BB330_271 Depth=1
	v_bfe_u32 v17, v23, 16, 1
	v_add3_u32 v36, v23, v17, s20
                                        ; implicit-def: $vgpr23
; %bb.594:                              ;   in Loop: Header=BB330_271 Depth=1
	s_andn2_saveexec_b64 s[12:13], s[0:1]
; %bb.595:                              ;   in Loop: Header=BB330_271 Depth=1
	v_or_b32_e32 v17, 0x10000, v23
	v_cmp_eq_u32_sdwa s[0:1], v23, v25 src0_sel:WORD_0 src1_sel:DWORD
	s_nop 1
	v_cndmask_b32_e64 v36, v17, v23, s[0:1]
; %bb.596:                              ;   in Loop: Header=BB330_271 Depth=1
	s_or_b64 exec, exec, s[12:13]
	v_lshrrev_b32_e32 v5, 24, v5
	v_cvt_f32_fp8_sdwa v5, v5 src0_sel:BYTE_0
                                        ; implicit-def: $vgpr26
	s_nop 0
	v_mul_f32_e32 v5, v24, v5
	v_and_b32_e32 v17, 0x7f800000, v5
	v_cmp_ne_u32_e64 s[0:1], s17, v17
	s_and_saveexec_b64 s[12:13], s[0:1]
	s_xor_b64 s[0:1], exec, s[12:13]
; %bb.597:                              ;   in Loop: Header=BB330_271 Depth=1
	v_bfe_u32 v17, v5, 16, 1
	v_add3_u32 v26, v5, v17, s20
                                        ; implicit-def: $vgpr5
; %bb.598:                              ;   in Loop: Header=BB330_271 Depth=1
	s_andn2_saveexec_b64 s[12:13], s[0:1]
; %bb.599:                              ;   in Loop: Header=BB330_271 Depth=1
	v_or_b32_e32 v17, 0x10000, v5
	v_cmp_eq_u32_sdwa s[0:1], v5, v25 src0_sel:WORD_0 src1_sel:DWORD
	s_nop 1
	v_cndmask_b32_e64 v26, v17, v5, s[0:1]
; %bb.600:                              ;   in Loop: Header=BB330_271 Depth=1
	s_or_b64 exec, exec, s[12:13]
	v_lshrrev_b32_e32 v5, 16, v30
	v_lshrrev_b32_e32 v30, 16, v27
	v_lshrrev_b32_e32 v31, 16, v4
	v_lshrrev_b32_e32 v32, 16, v16
	v_lshrrev_b32_e32 v1, 16, v1
	v_lshrrev_b32_e32 v16, 16, v0
	v_lshrrev_b32_e32 v0, 16, v36
	v_lshrrev_b32_e32 v4, 16, v26
	s_and_saveexec_b64 s[12:13], vcc
	s_cbranch_execz .LBB330_602
; %bb.601:                              ;   in Loop: Header=BB330_271 Depth=1
	v_accvgpr_read_b32 v17, a3
	v_cmp_lt_i32_e64 s[0:1], v51, v17
	v_accvgpr_read_b32 v23, a37
	s_nop 0
	v_cndmask_b32_e64 v16, 0, v16, s[0:1]
	v_cmp_lt_i32_e64 s[0:1], v23, v17
	v_accvgpr_read_b32 v23, a36
	s_nop 0
	v_cndmask_b32_e64 v1, 0, v1, s[0:1]
	;; [unrolled: 4-line block ×7, first 2 shown]
	v_cmp_lt_i32_e64 s[0:1], v23, v17
	s_nop 1
	v_cndmask_b32_e64 v4, 0, v4, s[0:1]
.LBB330_602:                            ;   in Loop: Header=BB330_271 Depth=1
	s_or_b64 exec, exec, s[12:13]
	v_lshlrev_b32_e32 v16, 16, v16
	v_mul_f32_e32 v23, v44, v16
	v_and_b32_e32 v16, 0x7f800000, v23
	v_cmp_ne_u32_e64 s[0:1], s17, v16
                                        ; implicit-def: $vgpr16
	s_and_saveexec_b64 s[12:13], s[0:1]
	s_xor_b64 s[0:1], exec, s[12:13]
; %bb.603:                              ;   in Loop: Header=BB330_271 Depth=1
	v_bfe_u32 v16, v23, 16, 1
	v_add3_u32 v16, v23, v16, s20
                                        ; implicit-def: $vgpr23
; %bb.604:                              ;   in Loop: Header=BB330_271 Depth=1
	s_andn2_saveexec_b64 s[12:13], s[0:1]
; %bb.605:                              ;   in Loop: Header=BB330_271 Depth=1
	v_or_b32_e32 v16, 0x10000, v23
	v_cmp_eq_u32_sdwa s[0:1], v23, v25 src0_sel:WORD_0 src1_sel:DWORD
	s_nop 1
	v_cndmask_b32_e64 v16, v16, v23, s[0:1]
; %bb.606:                              ;   in Loop: Header=BB330_271 Depth=1
	s_or_b64 exec, exec, s[12:13]
	v_lshlrev_b32_e32 v1, 16, v1
	v_mul_f32_e32 v1, v45, v1
	v_and_b32_e32 v17, 0x7f800000, v1
	v_cmp_ne_u32_e64 s[0:1], s17, v17
                                        ; implicit-def: $vgpr27
	s_and_saveexec_b64 s[12:13], s[0:1]
	s_xor_b64 s[0:1], exec, s[12:13]
; %bb.607:                              ;   in Loop: Header=BB330_271 Depth=1
	v_bfe_u32 v17, v1, 16, 1
	v_add3_u32 v27, v1, v17, s20
                                        ; implicit-def: $vgpr1
; %bb.608:                              ;   in Loop: Header=BB330_271 Depth=1
	s_andn2_saveexec_b64 s[12:13], s[0:1]
; %bb.609:                              ;   in Loop: Header=BB330_271 Depth=1
	v_or_b32_e32 v17, 0x10000, v1
	v_cmp_eq_u32_sdwa s[0:1], v1, v25 src0_sel:WORD_0 src1_sel:DWORD
	s_nop 1
	v_cndmask_b32_e64 v27, v17, v1, s[0:1]
; %bb.610:                              ;   in Loop: Header=BB330_271 Depth=1
	s_or_b64 exec, exec, s[12:13]
	v_lshlrev_b32_e32 v1, 16, v32
	v_mul_f32_e32 v1, v46, v1
	v_and_b32_e32 v17, 0x7f800000, v1
	v_cmp_ne_u32_e64 s[0:1], s17, v17
                                        ; implicit-def: $vgpr49
	s_and_saveexec_b64 s[12:13], s[0:1]
	s_xor_b64 s[0:1], exec, s[12:13]
; %bb.611:                              ;   in Loop: Header=BB330_271 Depth=1
	v_bfe_u32 v17, v1, 16, 1
	v_add3_u32 v49, v1, v17, s20
                                        ; implicit-def: $vgpr1
; %bb.612:                              ;   in Loop: Header=BB330_271 Depth=1
	s_andn2_saveexec_b64 s[12:13], s[0:1]
; %bb.613:                              ;   in Loop: Header=BB330_271 Depth=1
	v_or_b32_e32 v17, 0x10000, v1
	v_cmp_eq_u32_sdwa s[0:1], v1, v25 src0_sel:WORD_0 src1_sel:DWORD
	s_nop 1
	v_cndmask_b32_e64 v49, v17, v1, s[0:1]
; %bb.614:                              ;   in Loop: Header=BB330_271 Depth=1
	s_or_b64 exec, exec, s[12:13]
	v_lshlrev_b32_e32 v1, 16, v31
	v_mul_f32_e32 v1, v47, v1
	v_and_b32_e32 v17, 0x7f800000, v1
	v_cmp_ne_u32_e64 s[0:1], s17, v17
                                        ; implicit-def: $vgpr50
	s_and_saveexec_b64 s[12:13], s[0:1]
	s_xor_b64 s[0:1], exec, s[12:13]
; %bb.615:                              ;   in Loop: Header=BB330_271 Depth=1
	v_bfe_u32 v17, v1, 16, 1
	v_add3_u32 v50, v1, v17, s20
                                        ; implicit-def: $vgpr1
; %bb.616:                              ;   in Loop: Header=BB330_271 Depth=1
	s_andn2_saveexec_b64 s[12:13], s[0:1]
; %bb.617:                              ;   in Loop: Header=BB330_271 Depth=1
	v_or_b32_e32 v17, 0x10000, v1
	v_cmp_eq_u32_sdwa s[0:1], v1, v25 src0_sel:WORD_0 src1_sel:DWORD
	s_nop 1
	v_cndmask_b32_e64 v50, v17, v1, s[0:1]
; %bb.618:                              ;   in Loop: Header=BB330_271 Depth=1
	s_or_b64 exec, exec, s[12:13]
	v_lshlrev_b32_e32 v1, 16, v30
	v_mul_f32_e32 v1, v61, v1
	v_and_b32_e32 v17, 0x7f800000, v1
	v_cmp_ne_u32_e64 s[0:1], s17, v17
                                        ; implicit-def: $vgpr30
	s_and_saveexec_b64 s[12:13], s[0:1]
	s_xor_b64 s[0:1], exec, s[12:13]
; %bb.619:                              ;   in Loop: Header=BB330_271 Depth=1
	v_bfe_u32 v17, v1, 16, 1
	v_add3_u32 v30, v1, v17, s20
                                        ; implicit-def: $vgpr1
; %bb.620:                              ;   in Loop: Header=BB330_271 Depth=1
	s_andn2_saveexec_b64 s[12:13], s[0:1]
; %bb.621:                              ;   in Loop: Header=BB330_271 Depth=1
	v_or_b32_e32 v17, 0x10000, v1
	v_cmp_eq_u32_sdwa s[0:1], v1, v25 src0_sel:WORD_0 src1_sel:DWORD
	s_nop 1
	v_cndmask_b32_e64 v30, v17, v1, s[0:1]
; %bb.622:                              ;   in Loop: Header=BB330_271 Depth=1
	s_or_b64 exec, exec, s[12:13]
	v_lshlrev_b32_e32 v1, 16, v5
	v_mul_f32_e32 v5, v62, v1
	v_and_b32_e32 v1, 0x7f800000, v5
	v_cmp_ne_u32_e64 s[0:1], s17, v1
                                        ; implicit-def: $vgpr1
	s_and_saveexec_b64 s[12:13], s[0:1]
	s_xor_b64 s[0:1], exec, s[12:13]
; %bb.623:                              ;   in Loop: Header=BB330_271 Depth=1
	v_bfe_u32 v1, v5, 16, 1
	v_add3_u32 v1, v5, v1, s20
                                        ; implicit-def: $vgpr5
; %bb.624:                              ;   in Loop: Header=BB330_271 Depth=1
	s_andn2_saveexec_b64 s[12:13], s[0:1]
; %bb.625:                              ;   in Loop: Header=BB330_271 Depth=1
	v_or_b32_e32 v1, 0x10000, v5
	v_cmp_eq_u32_sdwa s[0:1], v5, v25 src0_sel:WORD_0 src1_sel:DWORD
	s_nop 1
	v_cndmask_b32_e64 v1, v1, v5, s[0:1]
; %bb.626:                              ;   in Loop: Header=BB330_271 Depth=1
	s_or_b64 exec, exec, s[12:13]
	v_lshlrev_b32_e32 v0, 16, v0
	v_mul_f32_e32 v5, v63, v0
	v_and_b32_e32 v0, 0x7f800000, v5
	v_cmp_ne_u32_e64 s[0:1], s17, v0
                                        ; implicit-def: $vgpr0
	s_and_saveexec_b64 s[12:13], s[0:1]
	s_xor_b64 s[0:1], exec, s[12:13]
; %bb.627:                              ;   in Loop: Header=BB330_271 Depth=1
	v_bfe_u32 v0, v5, 16, 1
	v_add3_u32 v0, v5, v0, s20
                                        ; implicit-def: $vgpr5
; %bb.628:                              ;   in Loop: Header=BB330_271 Depth=1
	s_andn2_saveexec_b64 s[12:13], s[0:1]
; %bb.629:                              ;   in Loop: Header=BB330_271 Depth=1
	v_or_b32_e32 v0, 0x10000, v5
	v_cmp_eq_u32_sdwa s[0:1], v5, v25 src0_sel:WORD_0 src1_sel:DWORD
	s_nop 1
	v_cndmask_b32_e64 v0, v0, v5, s[0:1]
; %bb.630:                              ;   in Loop: Header=BB330_271 Depth=1
	s_or_b64 exec, exec, s[12:13]
	v_lshlrev_b32_e32 v4, 16, v4
	v_mul_f32_e32 v4, v33, v4
	v_and_b32_e32 v5, 0x7f800000, v4
	v_cmp_ne_u32_e64 s[0:1], s17, v5
                                        ; implicit-def: $vgpr36
	s_and_saveexec_b64 s[12:13], s[0:1]
	s_xor_b64 s[0:1], exec, s[12:13]
; %bb.631:                              ;   in Loop: Header=BB330_271 Depth=1
	v_bfe_u32 v5, v4, 16, 1
	v_add3_u32 v36, v4, v5, s20
                                        ; implicit-def: $vgpr4
; %bb.632:                              ;   in Loop: Header=BB330_271 Depth=1
	s_andn2_saveexec_b64 s[12:13], s[0:1]
; %bb.633:                              ;   in Loop: Header=BB330_271 Depth=1
	v_or_b32_e32 v5, 0x10000, v4
	v_cmp_eq_u32_sdwa s[0:1], v4, v25 src0_sel:WORD_0 src1_sel:DWORD
	s_nop 1
	v_cndmask_b32_e64 v36, v5, v4, s[0:1]
; %bb.634:                              ;   in Loop: Header=BB330_271 Depth=1
	s_or_b64 exec, exec, s[12:13]
	flat_load_dwordx2 v[4:5], v[2:3] offset:2560
                                        ; implicit-def: $vgpr52
	s_waitcnt vmcnt(0) lgkmcnt(0)
	v_and_b32_e32 v17, 0xff, v4
	v_cvt_f32_fp8_sdwa v17, v17 src0_sel:BYTE_0
	s_nop 0
	v_mul_f32_e32 v23, v24, v17
	v_and_b32_e32 v17, 0x7f800000, v23
	v_cmp_ne_u32_e64 s[0:1], s17, v17
	s_and_saveexec_b64 s[12:13], s[0:1]
	s_xor_b64 s[0:1], exec, s[12:13]
; %bb.635:                              ;   in Loop: Header=BB330_271 Depth=1
	v_bfe_u32 v17, v23, 16, 1
	v_add3_u32 v52, v23, v17, s20
                                        ; implicit-def: $vgpr23
; %bb.636:                              ;   in Loop: Header=BB330_271 Depth=1
	s_andn2_saveexec_b64 s[12:13], s[0:1]
; %bb.637:                              ;   in Loop: Header=BB330_271 Depth=1
	v_or_b32_e32 v17, 0x10000, v23
	v_cmp_eq_u32_sdwa s[0:1], v23, v25 src0_sel:WORD_0 src1_sel:DWORD
	s_nop 1
	v_cndmask_b32_e64 v52, v17, v23, s[0:1]
; %bb.638:                              ;   in Loop: Header=BB330_271 Depth=1
	s_or_b64 exec, exec, s[12:13]
	v_bfe_u32 v17, v4, 8, 8
	v_cvt_f32_fp8_sdwa v17, v17 src0_sel:BYTE_0
                                        ; implicit-def: $vgpr37
	s_nop 0
	v_mul_f32_e32 v23, v24, v17
	v_and_b32_e32 v17, 0x7f800000, v23
	v_cmp_ne_u32_e64 s[0:1], s17, v17
	s_and_saveexec_b64 s[12:13], s[0:1]
	s_xor_b64 s[0:1], exec, s[12:13]
; %bb.639:                              ;   in Loop: Header=BB330_271 Depth=1
	v_bfe_u32 v17, v23, 16, 1
	v_add3_u32 v37, v23, v17, s20
                                        ; implicit-def: $vgpr23
; %bb.640:                              ;   in Loop: Header=BB330_271 Depth=1
	s_andn2_saveexec_b64 s[12:13], s[0:1]
; %bb.641:                              ;   in Loop: Header=BB330_271 Depth=1
	v_or_b32_e32 v17, 0x10000, v23
	v_cmp_eq_u32_sdwa s[0:1], v23, v25 src0_sel:WORD_0 src1_sel:DWORD
	s_nop 1
	v_cndmask_b32_e64 v37, v17, v23, s[0:1]
; %bb.642:                              ;   in Loop: Header=BB330_271 Depth=1
	s_or_b64 exec, exec, s[12:13]
	v_bfe_u32 v17, v4, 16, 8
	v_cvt_f32_fp8_sdwa v17, v17 src0_sel:BYTE_0
                                        ; implicit-def: $vgpr53
	s_nop 0
	v_mul_f32_e32 v23, v24, v17
	v_and_b32_e32 v17, 0x7f800000, v23
	v_cmp_ne_u32_e64 s[0:1], s17, v17
	s_and_saveexec_b64 s[12:13], s[0:1]
	s_xor_b64 s[0:1], exec, s[12:13]
; %bb.643:                              ;   in Loop: Header=BB330_271 Depth=1
	v_bfe_u32 v17, v23, 16, 1
	v_add3_u32 v53, v23, v17, s20
                                        ; implicit-def: $vgpr23
; %bb.644:                              ;   in Loop: Header=BB330_271 Depth=1
	s_andn2_saveexec_b64 s[12:13], s[0:1]
; %bb.645:                              ;   in Loop: Header=BB330_271 Depth=1
	v_or_b32_e32 v17, 0x10000, v23
	v_cmp_eq_u32_sdwa s[0:1], v23, v25 src0_sel:WORD_0 src1_sel:DWORD
	s_nop 1
	v_cndmask_b32_e64 v53, v17, v23, s[0:1]
; %bb.646:                              ;   in Loop: Header=BB330_271 Depth=1
	s_or_b64 exec, exec, s[12:13]
	v_lshrrev_b32_e32 v4, 24, v4
	v_cvt_f32_fp8_sdwa v4, v4 src0_sel:BYTE_0
	s_nop 0
	v_mul_f32_e32 v23, v24, v4
	v_and_b32_e32 v4, 0x7f800000, v23
	v_cmp_ne_u32_e64 s[0:1], s17, v4
                                        ; implicit-def: $vgpr4
	s_and_saveexec_b64 s[12:13], s[0:1]
	s_xor_b64 s[0:1], exec, s[12:13]
; %bb.647:                              ;   in Loop: Header=BB330_271 Depth=1
	v_bfe_u32 v4, v23, 16, 1
	v_add3_u32 v4, v23, v4, s20
                                        ; implicit-def: $vgpr23
; %bb.648:                              ;   in Loop: Header=BB330_271 Depth=1
	s_andn2_saveexec_b64 s[12:13], s[0:1]
; %bb.649:                              ;   in Loop: Header=BB330_271 Depth=1
	v_or_b32_e32 v4, 0x10000, v23
	v_cmp_eq_u32_sdwa s[0:1], v23, v25 src0_sel:WORD_0 src1_sel:DWORD
	s_nop 1
	v_cndmask_b32_e64 v4, v4, v23, s[0:1]
; %bb.650:                              ;   in Loop: Header=BB330_271 Depth=1
	s_or_b64 exec, exec, s[12:13]
	v_and_b32_e32 v17, 0xff, v5
	v_cvt_f32_fp8_sdwa v17, v17 src0_sel:BYTE_0
                                        ; implicit-def: $vgpr31
	s_nop 0
	v_mul_f32_e32 v23, v24, v17
	v_and_b32_e32 v17, 0x7f800000, v23
	v_cmp_ne_u32_e64 s[0:1], s17, v17
	s_and_saveexec_b64 s[12:13], s[0:1]
	s_xor_b64 s[0:1], exec, s[12:13]
; %bb.651:                              ;   in Loop: Header=BB330_271 Depth=1
	v_bfe_u32 v17, v23, 16, 1
	v_add3_u32 v31, v23, v17, s20
                                        ; implicit-def: $vgpr23
; %bb.652:                              ;   in Loop: Header=BB330_271 Depth=1
	s_andn2_saveexec_b64 s[12:13], s[0:1]
; %bb.653:                              ;   in Loop: Header=BB330_271 Depth=1
	v_or_b32_e32 v17, 0x10000, v23
	v_cmp_eq_u32_sdwa s[0:1], v23, v25 src0_sel:WORD_0 src1_sel:DWORD
	s_nop 1
	v_cndmask_b32_e64 v31, v17, v23, s[0:1]
; %bb.654:                              ;   in Loop: Header=BB330_271 Depth=1
	s_or_b64 exec, exec, s[12:13]
	v_bfe_u32 v17, v5, 8, 8
	v_cvt_f32_fp8_sdwa v17, v17 src0_sel:BYTE_0
                                        ; implicit-def: $vgpr32
	s_nop 0
	v_mul_f32_e32 v23, v24, v17
	v_and_b32_e32 v17, 0x7f800000, v23
	v_cmp_ne_u32_e64 s[0:1], s17, v17
	s_and_saveexec_b64 s[12:13], s[0:1]
	s_xor_b64 s[0:1], exec, s[12:13]
; %bb.655:                              ;   in Loop: Header=BB330_271 Depth=1
	v_bfe_u32 v17, v23, 16, 1
	v_add3_u32 v32, v23, v17, s20
                                        ; implicit-def: $vgpr23
; %bb.656:                              ;   in Loop: Header=BB330_271 Depth=1
	s_andn2_saveexec_b64 s[12:13], s[0:1]
; %bb.657:                              ;   in Loop: Header=BB330_271 Depth=1
	v_or_b32_e32 v17, 0x10000, v23
	v_cmp_eq_u32_sdwa s[0:1], v23, v25 src0_sel:WORD_0 src1_sel:DWORD
	s_nop 1
	v_cndmask_b32_e64 v32, v17, v23, s[0:1]
; %bb.658:                              ;   in Loop: Header=BB330_271 Depth=1
	s_or_b64 exec, exec, s[12:13]
	v_bfe_u32 v17, v5, 16, 8
	v_cvt_f32_fp8_sdwa v17, v17 src0_sel:BYTE_0
                                        ; implicit-def: $vgpr40
	s_nop 0
	v_mul_f32_e32 v23, v24, v17
	v_and_b32_e32 v17, 0x7f800000, v23
	v_cmp_ne_u32_e64 s[0:1], s17, v17
	s_and_saveexec_b64 s[12:13], s[0:1]
	s_xor_b64 s[0:1], exec, s[12:13]
; %bb.659:                              ;   in Loop: Header=BB330_271 Depth=1
	v_bfe_u32 v17, v23, 16, 1
	v_add3_u32 v40, v23, v17, s20
                                        ; implicit-def: $vgpr23
; %bb.660:                              ;   in Loop: Header=BB330_271 Depth=1
	s_andn2_saveexec_b64 s[12:13], s[0:1]
; %bb.661:                              ;   in Loop: Header=BB330_271 Depth=1
	v_or_b32_e32 v17, 0x10000, v23
	v_cmp_eq_u32_sdwa s[0:1], v23, v25 src0_sel:WORD_0 src1_sel:DWORD
	s_nop 1
	v_cndmask_b32_e64 v40, v17, v23, s[0:1]
; %bb.662:                              ;   in Loop: Header=BB330_271 Depth=1
	s_or_b64 exec, exec, s[12:13]
	v_lshrrev_b32_e32 v5, 24, v5
	v_cvt_f32_fp8_sdwa v5, v5 src0_sel:BYTE_0
                                        ; implicit-def: $vgpr26
	s_nop 0
	v_mul_f32_e32 v5, v24, v5
	v_and_b32_e32 v17, 0x7f800000, v5
	v_cmp_ne_u32_e64 s[0:1], s17, v17
	s_and_saveexec_b64 s[12:13], s[0:1]
	s_xor_b64 s[0:1], exec, s[12:13]
; %bb.663:                              ;   in Loop: Header=BB330_271 Depth=1
	v_bfe_u32 v17, v5, 16, 1
	v_add3_u32 v26, v5, v17, s20
                                        ; implicit-def: $vgpr5
; %bb.664:                              ;   in Loop: Header=BB330_271 Depth=1
	s_andn2_saveexec_b64 s[12:13], s[0:1]
; %bb.665:                              ;   in Loop: Header=BB330_271 Depth=1
	v_or_b32_e32 v17, 0x10000, v5
	v_cmp_eq_u32_sdwa s[0:1], v5, v25 src0_sel:WORD_0 src1_sel:DWORD
	s_nop 1
	v_cndmask_b32_e64 v26, v17, v5, s[0:1]
; %bb.666:                              ;   in Loop: Header=BB330_271 Depth=1
	s_or_b64 exec, exec, s[12:13]
	v_lshrrev_b32_e32 v55, 16, v32
	v_lshrrev_b32_e32 v54, 16, v31
	;; [unrolled: 1-line block ×8, first 2 shown]
	s_and_saveexec_b64 s[12:13], vcc
	s_cbranch_execz .LBB330_668
; %bb.667:                              ;   in Loop: Header=BB330_271 Depth=1
	v_accvgpr_read_b32 v17, a3
	v_cmp_lt_i32_e64 s[0:1], v51, v17
	v_accvgpr_read_b32 v23, a37
	s_nop 0
	v_cndmask_b32_e64 v4, 0, v4, s[0:1]
	v_cmp_lt_i32_e64 s[0:1], v23, v17
	v_accvgpr_read_b32 v23, a36
	s_nop 0
	v_cndmask_b32_e64 v5, 0, v5, s[0:1]
	;; [unrolled: 4-line block ×7, first 2 shown]
	v_cmp_lt_i32_e64 s[0:1], v23, v17
	s_nop 1
	v_cndmask_b32_e64 v41, 0, v41, s[0:1]
.LBB330_668:                            ;   in Loop: Header=BB330_271 Depth=1
	s_or_b64 exec, exec, s[12:13]
	v_lshlrev_b32_e32 v4, 16, v4
	v_mul_f32_e32 v23, v44, v4
	v_and_b32_e32 v4, 0x7f800000, v23
	v_cmp_ne_u32_e64 s[0:1], s17, v4
                                        ; implicit-def: $vgpr4
	s_and_saveexec_b64 s[12:13], s[0:1]
	s_xor_b64 s[0:1], exec, s[12:13]
; %bb.669:                              ;   in Loop: Header=BB330_271 Depth=1
	v_bfe_u32 v4, v23, 16, 1
	v_add3_u32 v4, v23, v4, s20
                                        ; implicit-def: $vgpr23
; %bb.670:                              ;   in Loop: Header=BB330_271 Depth=1
	s_andn2_saveexec_b64 s[12:13], s[0:1]
; %bb.671:                              ;   in Loop: Header=BB330_271 Depth=1
	v_or_b32_e32 v4, 0x10000, v23
	v_cmp_eq_u32_sdwa s[0:1], v23, v25 src0_sel:WORD_0 src1_sel:DWORD
	s_nop 1
	v_cndmask_b32_e64 v4, v4, v23, s[0:1]
; %bb.672:                              ;   in Loop: Header=BB330_271 Depth=1
	s_or_b64 exec, exec, s[12:13]
	v_lshlrev_b32_e32 v5, 16, v5
	v_mul_f32_e32 v23, v45, v5
	v_and_b32_e32 v5, 0x7f800000, v23
	v_cmp_ne_u32_e64 s[0:1], s17, v5
                                        ; implicit-def: $vgpr5
	s_and_saveexec_b64 s[12:13], s[0:1]
	s_xor_b64 s[0:1], exec, s[12:13]
; %bb.673:                              ;   in Loop: Header=BB330_271 Depth=1
	v_bfe_u32 v5, v23, 16, 1
	v_add3_u32 v5, v23, v5, s20
                                        ; implicit-def: $vgpr23
; %bb.674:                              ;   in Loop: Header=BB330_271 Depth=1
	s_andn2_saveexec_b64 s[12:13], s[0:1]
; %bb.675:                              ;   in Loop: Header=BB330_271 Depth=1
	v_or_b32_e32 v5, 0x10000, v23
	v_cmp_eq_u32_sdwa s[0:1], v23, v25 src0_sel:WORD_0 src1_sel:DWORD
	s_nop 1
	v_cndmask_b32_e64 v5, v5, v23, s[0:1]
; %bb.676:                              ;   in Loop: Header=BB330_271 Depth=1
	s_or_b64 exec, exec, s[12:13]
	v_lshlrev_b32_e32 v17, 16, v32
	v_mul_f32_e32 v23, v46, v17
	v_and_b32_e32 v17, 0x7f800000, v23
	v_cmp_ne_u32_e64 s[0:1], s17, v17
                                        ; implicit-def: $vgpr53
	s_and_saveexec_b64 s[12:13], s[0:1]
	s_xor_b64 s[0:1], exec, s[12:13]
; %bb.677:                              ;   in Loop: Header=BB330_271 Depth=1
	v_bfe_u32 v17, v23, 16, 1
	v_add3_u32 v53, v23, v17, s20
                                        ; implicit-def: $vgpr23
; %bb.678:                              ;   in Loop: Header=BB330_271 Depth=1
	s_andn2_saveexec_b64 s[12:13], s[0:1]
; %bb.679:                              ;   in Loop: Header=BB330_271 Depth=1
	v_or_b32_e32 v17, 0x10000, v23
	v_cmp_eq_u32_sdwa s[0:1], v23, v25 src0_sel:WORD_0 src1_sel:DWORD
	s_nop 1
	v_cndmask_b32_e64 v53, v17, v23, s[0:1]
; %bb.680:                              ;   in Loop: Header=BB330_271 Depth=1
	s_or_b64 exec, exec, s[12:13]
	v_lshlrev_b32_e32 v17, 16, v31
	v_mul_f32_e32 v23, v47, v17
	v_and_b32_e32 v17, 0x7f800000, v23
	v_cmp_ne_u32_e64 s[0:1], s17, v17
                                        ; implicit-def: $vgpr52
	s_and_saveexec_b64 s[12:13], s[0:1]
	s_xor_b64 s[0:1], exec, s[12:13]
; %bb.681:                              ;   in Loop: Header=BB330_271 Depth=1
	v_bfe_u32 v17, v23, 16, 1
	v_add3_u32 v52, v23, v17, s20
                                        ; implicit-def: $vgpr23
; %bb.682:                              ;   in Loop: Header=BB330_271 Depth=1
	s_andn2_saveexec_b64 s[12:13], s[0:1]
; %bb.683:                              ;   in Loop: Header=BB330_271 Depth=1
	v_or_b32_e32 v17, 0x10000, v23
	v_cmp_eq_u32_sdwa s[0:1], v23, v25 src0_sel:WORD_0 src1_sel:DWORD
	s_nop 1
	v_cndmask_b32_e64 v52, v17, v23, s[0:1]
; %bb.684:                              ;   in Loop: Header=BB330_271 Depth=1
	s_or_b64 exec, exec, s[12:13]
	v_lshlrev_b32_e32 v17, 16, v54
	v_mul_f32_e32 v23, v61, v17
	v_and_b32_e32 v17, 0x7f800000, v23
	v_cmp_ne_u32_e64 s[0:1], s17, v17
                                        ; implicit-def: $vgpr54
	s_and_saveexec_b64 s[12:13], s[0:1]
	s_xor_b64 s[0:1], exec, s[12:13]
; %bb.685:                              ;   in Loop: Header=BB330_271 Depth=1
	v_bfe_u32 v17, v23, 16, 1
	v_add3_u32 v54, v23, v17, s20
                                        ; implicit-def: $vgpr23
; %bb.686:                              ;   in Loop: Header=BB330_271 Depth=1
	s_andn2_saveexec_b64 s[12:13], s[0:1]
; %bb.687:                              ;   in Loop: Header=BB330_271 Depth=1
	v_or_b32_e32 v17, 0x10000, v23
	v_cmp_eq_u32_sdwa s[0:1], v23, v25 src0_sel:WORD_0 src1_sel:DWORD
	s_nop 1
	v_cndmask_b32_e64 v54, v17, v23, s[0:1]
; %bb.688:                              ;   in Loop: Header=BB330_271 Depth=1
	s_or_b64 exec, exec, s[12:13]
	v_lshlrev_b32_e32 v17, 16, v55
	v_mul_f32_e32 v23, v62, v17
	v_and_b32_e32 v17, 0x7f800000, v23
	v_cmp_ne_u32_e64 s[0:1], s17, v17
                                        ; implicit-def: $vgpr55
	s_and_saveexec_b64 s[12:13], s[0:1]
	s_xor_b64 s[0:1], exec, s[12:13]
; %bb.689:                              ;   in Loop: Header=BB330_271 Depth=1
	v_bfe_u32 v17, v23, 16, 1
	v_add3_u32 v55, v23, v17, s20
                                        ; implicit-def: $vgpr23
; %bb.690:                              ;   in Loop: Header=BB330_271 Depth=1
	s_andn2_saveexec_b64 s[12:13], s[0:1]
; %bb.691:                              ;   in Loop: Header=BB330_271 Depth=1
	v_or_b32_e32 v17, 0x10000, v23
	v_cmp_eq_u32_sdwa s[0:1], v23, v25 src0_sel:WORD_0 src1_sel:DWORD
	s_nop 1
	v_cndmask_b32_e64 v55, v17, v23, s[0:1]
; %bb.692:                              ;   in Loop: Header=BB330_271 Depth=1
	s_or_b64 exec, exec, s[12:13]
	v_lshlrev_b32_e32 v17, 16, v40
	v_mul_f32_e32 v23, v63, v17
	v_and_b32_e32 v17, 0x7f800000, v23
	v_cmp_ne_u32_e64 s[0:1], s17, v17
                                        ; implicit-def: $vgpr40
	s_and_saveexec_b64 s[12:13], s[0:1]
	s_xor_b64 s[0:1], exec, s[12:13]
; %bb.693:                              ;   in Loop: Header=BB330_271 Depth=1
	v_bfe_u32 v17, v23, 16, 1
	v_add3_u32 v40, v23, v17, s20
                                        ; implicit-def: $vgpr23
; %bb.694:                              ;   in Loop: Header=BB330_271 Depth=1
	s_andn2_saveexec_b64 s[12:13], s[0:1]
; %bb.695:                              ;   in Loop: Header=BB330_271 Depth=1
	v_or_b32_e32 v17, 0x10000, v23
	v_cmp_eq_u32_sdwa s[0:1], v23, v25 src0_sel:WORD_0 src1_sel:DWORD
	s_nop 1
	v_cndmask_b32_e64 v40, v17, v23, s[0:1]
; %bb.696:                              ;   in Loop: Header=BB330_271 Depth=1
	s_or_b64 exec, exec, s[12:13]
	v_lshlrev_b32_e32 v17, 16, v41
	v_mul_f32_e32 v23, v33, v17
	v_and_b32_e32 v17, 0x7f800000, v23
	v_cmp_ne_u32_e64 s[0:1], s17, v17
                                        ; implicit-def: $vgpr41
	s_and_saveexec_b64 s[12:13], s[0:1]
	s_xor_b64 s[0:1], exec, s[12:13]
; %bb.697:                              ;   in Loop: Header=BB330_271 Depth=1
	v_bfe_u32 v17, v23, 16, 1
	v_add3_u32 v41, v23, v17, s20
                                        ; implicit-def: $vgpr23
; %bb.698:                              ;   in Loop: Header=BB330_271 Depth=1
	s_andn2_saveexec_b64 s[12:13], s[0:1]
; %bb.699:                              ;   in Loop: Header=BB330_271 Depth=1
	v_or_b32_e32 v17, 0x10000, v23
	v_cmp_eq_u32_sdwa s[0:1], v23, v25 src0_sel:WORD_0 src1_sel:DWORD
	s_nop 1
	v_cndmask_b32_e64 v41, v17, v23, s[0:1]
; %bb.700:                              ;   in Loop: Header=BB330_271 Depth=1
	s_or_b64 exec, exec, s[12:13]
	flat_load_dwordx2 v[2:3], v[2:3] offset:3072
                                        ; implicit-def: $vgpr42
	s_waitcnt vmcnt(0) lgkmcnt(0)
	v_and_b32_e32 v17, 0xff, v2
	v_cvt_f32_fp8_sdwa v17, v17 src0_sel:BYTE_0
	s_nop 0
	v_mul_f32_e32 v23, v24, v17
	v_and_b32_e32 v17, 0x7f800000, v23
	v_cmp_ne_u32_e64 s[0:1], s17, v17
	s_and_saveexec_b64 s[12:13], s[0:1]
	s_xor_b64 s[0:1], exec, s[12:13]
; %bb.701:                              ;   in Loop: Header=BB330_271 Depth=1
	v_bfe_u32 v17, v23, 16, 1
	v_add3_u32 v42, v23, v17, s20
                                        ; implicit-def: $vgpr23
; %bb.702:                              ;   in Loop: Header=BB330_271 Depth=1
	s_andn2_saveexec_b64 s[12:13], s[0:1]
; %bb.703:                              ;   in Loop: Header=BB330_271 Depth=1
	v_or_b32_e32 v17, 0x10000, v23
	v_cmp_eq_u32_sdwa s[0:1], v23, v25 src0_sel:WORD_0 src1_sel:DWORD
	s_nop 1
	v_cndmask_b32_e64 v42, v17, v23, s[0:1]
; %bb.704:                              ;   in Loop: Header=BB330_271 Depth=1
	s_or_b64 exec, exec, s[12:13]
	v_bfe_u32 v17, v2, 8, 8
	v_cvt_f32_fp8_sdwa v17, v17 src0_sel:BYTE_0
                                        ; implicit-def: $vgpr37
	s_nop 0
	v_mul_f32_e32 v23, v24, v17
	v_and_b32_e32 v17, 0x7f800000, v23
	v_cmp_ne_u32_e64 s[0:1], s17, v17
	s_and_saveexec_b64 s[12:13], s[0:1]
	s_xor_b64 s[0:1], exec, s[12:13]
; %bb.705:                              ;   in Loop: Header=BB330_271 Depth=1
	v_bfe_u32 v17, v23, 16, 1
	v_add3_u32 v37, v23, v17, s20
                                        ; implicit-def: $vgpr23
; %bb.706:                              ;   in Loop: Header=BB330_271 Depth=1
	s_andn2_saveexec_b64 s[12:13], s[0:1]
; %bb.707:                              ;   in Loop: Header=BB330_271 Depth=1
	v_or_b32_e32 v17, 0x10000, v23
	v_cmp_eq_u32_sdwa s[0:1], v23, v25 src0_sel:WORD_0 src1_sel:DWORD
	s_nop 1
	v_cndmask_b32_e64 v37, v17, v23, s[0:1]
; %bb.708:                              ;   in Loop: Header=BB330_271 Depth=1
	s_or_b64 exec, exec, s[12:13]
	v_bfe_u32 v17, v2, 16, 8
	v_cvt_f32_fp8_sdwa v17, v17 src0_sel:BYTE_0
                                        ; implicit-def: $vgpr43
	s_nop 0
	v_mul_f32_e32 v23, v24, v17
	v_and_b32_e32 v17, 0x7f800000, v23
	v_cmp_ne_u32_e64 s[0:1], s17, v17
	s_and_saveexec_b64 s[12:13], s[0:1]
	s_xor_b64 s[0:1], exec, s[12:13]
; %bb.709:                              ;   in Loop: Header=BB330_271 Depth=1
	v_bfe_u32 v17, v23, 16, 1
	v_add3_u32 v43, v23, v17, s20
                                        ; implicit-def: $vgpr23
; %bb.710:                              ;   in Loop: Header=BB330_271 Depth=1
	s_andn2_saveexec_b64 s[12:13], s[0:1]
; %bb.711:                              ;   in Loop: Header=BB330_271 Depth=1
	v_or_b32_e32 v17, 0x10000, v23
	v_cmp_eq_u32_sdwa s[0:1], v23, v25 src0_sel:WORD_0 src1_sel:DWORD
	s_nop 1
	v_cndmask_b32_e64 v43, v17, v23, s[0:1]
; %bb.712:                              ;   in Loop: Header=BB330_271 Depth=1
	s_or_b64 exec, exec, s[12:13]
	v_lshrrev_b32_e32 v2, 24, v2
	v_cvt_f32_fp8_sdwa v2, v2 src0_sel:BYTE_0
	s_nop 0
	v_mul_f32_e32 v23, v24, v2
	v_and_b32_e32 v2, 0x7f800000, v23
	v_cmp_ne_u32_e64 s[0:1], s17, v2
                                        ; implicit-def: $vgpr2
	s_and_saveexec_b64 s[12:13], s[0:1]
	s_xor_b64 s[0:1], exec, s[12:13]
; %bb.713:                              ;   in Loop: Header=BB330_271 Depth=1
	v_bfe_u32 v2, v23, 16, 1
	v_add3_u32 v2, v23, v2, s20
                                        ; implicit-def: $vgpr23
; %bb.714:                              ;   in Loop: Header=BB330_271 Depth=1
	s_andn2_saveexec_b64 s[12:13], s[0:1]
; %bb.715:                              ;   in Loop: Header=BB330_271 Depth=1
	v_or_b32_e32 v2, 0x10000, v23
	v_cmp_eq_u32_sdwa s[0:1], v23, v25 src0_sel:WORD_0 src1_sel:DWORD
	s_nop 1
	v_cndmask_b32_e64 v2, v2, v23, s[0:1]
; %bb.716:                              ;   in Loop: Header=BB330_271 Depth=1
	s_or_b64 exec, exec, s[12:13]
	v_and_b32_e32 v17, 0xff, v3
	v_cvt_f32_fp8_sdwa v17, v17 src0_sel:BYTE_0
                                        ; implicit-def: $vgpr31
	s_nop 0
	v_mul_f32_e32 v23, v24, v17
	v_and_b32_e32 v17, 0x7f800000, v23
	v_cmp_ne_u32_e64 s[0:1], s17, v17
	s_and_saveexec_b64 s[12:13], s[0:1]
	s_xor_b64 s[0:1], exec, s[12:13]
; %bb.717:                              ;   in Loop: Header=BB330_271 Depth=1
	v_bfe_u32 v17, v23, 16, 1
	v_add3_u32 v31, v23, v17, s20
                                        ; implicit-def: $vgpr23
; %bb.718:                              ;   in Loop: Header=BB330_271 Depth=1
	s_andn2_saveexec_b64 s[12:13], s[0:1]
; %bb.719:                              ;   in Loop: Header=BB330_271 Depth=1
	v_or_b32_e32 v17, 0x10000, v23
	v_cmp_eq_u32_sdwa s[0:1], v23, v25 src0_sel:WORD_0 src1_sel:DWORD
	s_nop 1
	v_cndmask_b32_e64 v31, v17, v23, s[0:1]
; %bb.720:                              ;   in Loop: Header=BB330_271 Depth=1
	s_or_b64 exec, exec, s[12:13]
	v_bfe_u32 v17, v3, 8, 8
	v_cvt_f32_fp8_sdwa v17, v17 src0_sel:BYTE_0
                                        ; implicit-def: $vgpr32
	s_nop 0
	v_mul_f32_e32 v23, v24, v17
	v_and_b32_e32 v17, 0x7f800000, v23
	v_cmp_ne_u32_e64 s[0:1], s17, v17
	s_and_saveexec_b64 s[12:13], s[0:1]
	s_xor_b64 s[0:1], exec, s[12:13]
; %bb.721:                              ;   in Loop: Header=BB330_271 Depth=1
	v_bfe_u32 v17, v23, 16, 1
	v_add3_u32 v32, v23, v17, s20
                                        ; implicit-def: $vgpr23
; %bb.722:                              ;   in Loop: Header=BB330_271 Depth=1
	s_andn2_saveexec_b64 s[12:13], s[0:1]
; %bb.723:                              ;   in Loop: Header=BB330_271 Depth=1
	v_or_b32_e32 v17, 0x10000, v23
	v_cmp_eq_u32_sdwa s[0:1], v23, v25 src0_sel:WORD_0 src1_sel:DWORD
	s_nop 1
	v_cndmask_b32_e64 v32, v17, v23, s[0:1]
; %bb.724:                              ;   in Loop: Header=BB330_271 Depth=1
	s_or_b64 exec, exec, s[12:13]
	v_bfe_u32 v17, v3, 16, 8
	v_cvt_f32_fp8_sdwa v17, v17 src0_sel:BYTE_0
                                        ; implicit-def: $vgpr26
	s_nop 0
	v_mul_f32_e32 v23, v24, v17
	v_and_b32_e32 v17, 0x7f800000, v23
	v_cmp_ne_u32_e64 s[0:1], s17, v17
	s_and_saveexec_b64 s[12:13], s[0:1]
	s_xor_b64 s[0:1], exec, s[12:13]
; %bb.725:                              ;   in Loop: Header=BB330_271 Depth=1
	v_bfe_u32 v17, v23, 16, 1
	v_add3_u32 v26, v23, v17, s20
                                        ; implicit-def: $vgpr23
; %bb.726:                              ;   in Loop: Header=BB330_271 Depth=1
	s_andn2_saveexec_b64 s[12:13], s[0:1]
; %bb.727:                              ;   in Loop: Header=BB330_271 Depth=1
	v_or_b32_e32 v17, 0x10000, v23
	v_cmp_eq_u32_sdwa s[0:1], v23, v25 src0_sel:WORD_0 src1_sel:DWORD
	s_nop 1
	v_cndmask_b32_e64 v26, v17, v23, s[0:1]
; %bb.728:                              ;   in Loop: Header=BB330_271 Depth=1
	s_or_b64 exec, exec, s[12:13]
	v_lshrrev_b32_e32 v3, 24, v3
	v_cvt_f32_fp8_sdwa v3, v3 src0_sel:BYTE_0
                                        ; implicit-def: $vgpr23
	s_nop 0
	v_mul_f32_e32 v3, v24, v3
	v_and_b32_e32 v17, 0x7f800000, v3
	v_cmp_ne_u32_e64 s[0:1], s17, v17
	s_and_saveexec_b64 s[12:13], s[0:1]
	s_xor_b64 s[0:1], exec, s[12:13]
; %bb.729:                              ;   in Loop: Header=BB330_271 Depth=1
	v_bfe_u32 v17, v3, 16, 1
	v_add3_u32 v23, v3, v17, s20
                                        ; implicit-def: $vgpr3
; %bb.730:                              ;   in Loop: Header=BB330_271 Depth=1
	s_andn2_saveexec_b64 s[12:13], s[0:1]
; %bb.731:                              ;   in Loop: Header=BB330_271 Depth=1
	v_or_b32_e32 v17, 0x10000, v3
	v_cmp_eq_u32_sdwa s[0:1], v3, v25 src0_sel:WORD_0 src1_sel:DWORD
	s_nop 1
	v_cndmask_b32_e64 v23, v17, v3, s[0:1]
; %bb.732:                              ;   in Loop: Header=BB330_271 Depth=1
	s_or_b64 exec, exec, s[12:13]
	v_lshrrev_b32_e32 v56, 16, v32
	v_lshrrev_b32_e32 v31, 16, v31
	;; [unrolled: 1-line block ×8, first 2 shown]
	s_and_saveexec_b64 s[0:1], vcc
	s_cbranch_execz .LBB330_734
; %bb.733:                              ;   in Loop: Header=BB330_271 Depth=1
	v_accvgpr_read_b32 v17, a3
	v_cmp_lt_i32_e32 vcc, v51, v17
	v_accvgpr_read_b32 v23, a37
	s_nop 0
	v_cndmask_b32_e32 v2, 0, v2, vcc
	v_cmp_lt_i32_e32 vcc, v23, v17
	v_accvgpr_read_b32 v23, a36
	s_nop 0
	v_cndmask_b32_e32 v3, 0, v3, vcc
	v_cmp_lt_i32_e32 vcc, v23, v17
	v_accvgpr_read_b32 v23, a35
	s_nop 0
	v_cndmask_b32_e32 v24, 0, v24, vcc
	v_cmp_lt_i32_e32 vcc, v23, v17
	v_accvgpr_read_b32 v23, a34
	s_nop 0
	v_cndmask_b32_e32 v32, 0, v32, vcc
	v_cmp_lt_i32_e32 vcc, v23, v17
	v_accvgpr_read_b32 v23, a33
	s_nop 0
	v_cndmask_b32_e32 v31, 0, v31, vcc
	v_cmp_lt_i32_e32 vcc, v23, v17
	v_accvgpr_read_b32 v23, a32
	s_nop 0
	v_cndmask_b32_e32 v56, 0, v56, vcc
	v_cmp_lt_i32_e32 vcc, v23, v17
	v_accvgpr_read_b32 v23, a31
	s_nop 0
	v_cndmask_b32_e32 v37, 0, v37, vcc
	v_cmp_lt_i32_e32 vcc, v23, v17
	s_nop 1
	v_cndmask_b32_e32 v42, 0, v42, vcc
.LBB330_734:                            ;   in Loop: Header=BB330_271 Depth=1
	s_or_b64 exec, exec, s[0:1]
	v_lshlrev_b32_e32 v2, 16, v2
	v_mul_f32_e32 v23, v44, v2
	v_and_b32_e32 v2, 0x7f800000, v23
	v_cmp_ne_u32_e32 vcc, s17, v2
                                        ; implicit-def: $vgpr2
	s_and_saveexec_b64 s[0:1], vcc
	s_xor_b64 s[0:1], exec, s[0:1]
; %bb.735:                              ;   in Loop: Header=BB330_271 Depth=1
	v_bfe_u32 v2, v23, 16, 1
	v_add3_u32 v2, v23, v2, s20
                                        ; implicit-def: $vgpr23
; %bb.736:                              ;   in Loop: Header=BB330_271 Depth=1
	s_andn2_saveexec_b64 s[0:1], s[0:1]
; %bb.737:                              ;   in Loop: Header=BB330_271 Depth=1
	v_or_b32_e32 v2, 0x10000, v23
	v_cmp_eq_u32_sdwa vcc, v23, v25 src0_sel:WORD_0 src1_sel:DWORD
	s_nop 1
	v_cndmask_b32_e32 v2, v2, v23, vcc
; %bb.738:                              ;   in Loop: Header=BB330_271 Depth=1
	s_or_b64 exec, exec, s[0:1]
	v_lshlrev_b32_e32 v3, 16, v3
	v_mul_f32_e32 v23, v45, v3
	v_and_b32_e32 v3, 0x7f800000, v23
	v_cmp_ne_u32_e32 vcc, s17, v3
                                        ; implicit-def: $vgpr3
	s_and_saveexec_b64 s[0:1], vcc
	s_xor_b64 s[0:1], exec, s[0:1]
; %bb.739:                              ;   in Loop: Header=BB330_271 Depth=1
	v_bfe_u32 v3, v23, 16, 1
	v_add3_u32 v3, v23, v3, s20
                                        ; implicit-def: $vgpr23
; %bb.740:                              ;   in Loop: Header=BB330_271 Depth=1
	s_andn2_saveexec_b64 s[0:1], s[0:1]
; %bb.741:                              ;   in Loop: Header=BB330_271 Depth=1
	v_or_b32_e32 v3, 0x10000, v23
	v_cmp_eq_u32_sdwa vcc, v23, v25 src0_sel:WORD_0 src1_sel:DWORD
	s_nop 1
	v_cndmask_b32_e32 v3, v3, v23, vcc
; %bb.742:                              ;   in Loop: Header=BB330_271 Depth=1
	s_or_b64 exec, exec, s[0:1]
	v_lshlrev_b32_e32 v17, 16, v24
	v_mul_f32_e32 v23, v46, v17
	v_and_b32_e32 v17, 0x7f800000, v23
	v_cmp_ne_u32_e32 vcc, s17, v17
                                        ; implicit-def: $vgpr24
	s_and_saveexec_b64 s[0:1], vcc
	s_xor_b64 s[0:1], exec, s[0:1]
; %bb.743:                              ;   in Loop: Header=BB330_271 Depth=1
	v_bfe_u32 v17, v23, 16, 1
	v_add3_u32 v24, v23, v17, s20
                                        ; implicit-def: $vgpr23
; %bb.744:                              ;   in Loop: Header=BB330_271 Depth=1
	s_andn2_saveexec_b64 s[0:1], s[0:1]
; %bb.745:                              ;   in Loop: Header=BB330_271 Depth=1
	v_or_b32_e32 v17, 0x10000, v23
	v_cmp_eq_u32_sdwa vcc, v23, v25 src0_sel:WORD_0 src1_sel:DWORD
	s_nop 1
	v_cndmask_b32_e32 v24, v17, v23, vcc
; %bb.746:                              ;   in Loop: Header=BB330_271 Depth=1
	s_or_b64 exec, exec, s[0:1]
	v_lshlrev_b32_e32 v17, 16, v32
	v_mul_f32_e32 v23, v47, v17
	v_and_b32_e32 v17, 0x7f800000, v23
	v_cmp_ne_u32_e32 vcc, s17, v17
                                        ; implicit-def: $vgpr51
	s_and_saveexec_b64 s[0:1], vcc
	s_xor_b64 s[0:1], exec, s[0:1]
; %bb.747:                              ;   in Loop: Header=BB330_271 Depth=1
	v_bfe_u32 v17, v23, 16, 1
	v_add3_u32 v51, v23, v17, s20
                                        ; implicit-def: $vgpr23
; %bb.748:                              ;   in Loop: Header=BB330_271 Depth=1
	s_andn2_saveexec_b64 s[0:1], s[0:1]
; %bb.749:                              ;   in Loop: Header=BB330_271 Depth=1
	v_or_b32_e32 v17, 0x10000, v23
	v_cmp_eq_u32_sdwa vcc, v23, v25 src0_sel:WORD_0 src1_sel:DWORD
	s_nop 1
	v_cndmask_b32_e32 v51, v17, v23, vcc
; %bb.750:                              ;   in Loop: Header=BB330_271 Depth=1
	s_or_b64 exec, exec, s[0:1]
	v_lshlrev_b32_e32 v17, 16, v31
	v_mul_f32_e32 v23, v61, v17
	v_and_b32_e32 v17, 0x7f800000, v23
	v_cmp_ne_u32_e32 vcc, s17, v17
                                        ; implicit-def: $vgpr43
	s_and_saveexec_b64 s[0:1], vcc
	s_xor_b64 s[0:1], exec, s[0:1]
; %bb.751:                              ;   in Loop: Header=BB330_271 Depth=1
	v_bfe_u32 v17, v23, 16, 1
	v_add3_u32 v43, v23, v17, s20
                                        ; implicit-def: $vgpr23
; %bb.752:                              ;   in Loop: Header=BB330_271 Depth=1
	s_andn2_saveexec_b64 s[0:1], s[0:1]
; %bb.753:                              ;   in Loop: Header=BB330_271 Depth=1
	v_or_b32_e32 v17, 0x10000, v23
	v_cmp_eq_u32_sdwa vcc, v23, v25 src0_sel:WORD_0 src1_sel:DWORD
	s_nop 1
	v_cndmask_b32_e32 v43, v17, v23, vcc
; %bb.754:                              ;   in Loop: Header=BB330_271 Depth=1
	s_or_b64 exec, exec, s[0:1]
	v_lshlrev_b32_e32 v17, 16, v56
	v_mul_f32_e32 v23, v62, v17
	v_and_b32_e32 v17, 0x7f800000, v23
	v_cmp_ne_u32_e32 vcc, s17, v17
                                        ; implicit-def: $vgpr44
	s_and_saveexec_b64 s[0:1], vcc
	s_xor_b64 s[0:1], exec, s[0:1]
; %bb.755:                              ;   in Loop: Header=BB330_271 Depth=1
	v_bfe_u32 v17, v23, 16, 1
	v_add3_u32 v44, v23, v17, s20
                                        ; implicit-def: $vgpr23
; %bb.756:                              ;   in Loop: Header=BB330_271 Depth=1
	s_andn2_saveexec_b64 s[0:1], s[0:1]
; %bb.757:                              ;   in Loop: Header=BB330_271 Depth=1
	v_or_b32_e32 v17, 0x10000, v23
	v_cmp_eq_u32_sdwa vcc, v23, v25 src0_sel:WORD_0 src1_sel:DWORD
	s_nop 1
	v_cndmask_b32_e32 v44, v17, v23, vcc
; %bb.758:                              ;   in Loop: Header=BB330_271 Depth=1
	s_or_b64 exec, exec, s[0:1]
	v_lshlrev_b32_e32 v17, 16, v37
	v_mul_f32_e32 v23, v63, v17
	v_and_b32_e32 v17, 0x7f800000, v23
	v_cmp_ne_u32_e32 vcc, s17, v17
                                        ; implicit-def: $vgpr37
	s_and_saveexec_b64 s[0:1], vcc
	s_xor_b64 s[0:1], exec, s[0:1]
; %bb.759:                              ;   in Loop: Header=BB330_271 Depth=1
	v_bfe_u32 v17, v23, 16, 1
	v_add3_u32 v37, v23, v17, s20
                                        ; implicit-def: $vgpr23
; %bb.760:                              ;   in Loop: Header=BB330_271 Depth=1
	s_andn2_saveexec_b64 s[0:1], s[0:1]
; %bb.761:                              ;   in Loop: Header=BB330_271 Depth=1
	v_or_b32_e32 v17, 0x10000, v23
	v_cmp_eq_u32_sdwa vcc, v23, v25 src0_sel:WORD_0 src1_sel:DWORD
	s_nop 1
	v_cndmask_b32_e32 v37, v17, v23, vcc
; %bb.762:                              ;   in Loop: Header=BB330_271 Depth=1
	s_or_b64 exec, exec, s[0:1]
	v_lshlrev_b32_e32 v17, 16, v42
	v_mul_f32_e32 v23, v33, v17
	v_and_b32_e32 v17, 0x7f800000, v23
	v_cmp_ne_u32_e32 vcc, s17, v17
                                        ; implicit-def: $vgpr31
	s_and_saveexec_b64 s[0:1], vcc
	s_xor_b64 s[0:1], exec, s[0:1]
; %bb.763:                              ;   in Loop: Header=BB330_271 Depth=1
	v_bfe_u32 v17, v23, 16, 1
	v_add3_u32 v31, v23, v17, s20
                                        ; implicit-def: $vgpr23
; %bb.764:                              ;   in Loop: Header=BB330_271 Depth=1
	s_andn2_saveexec_b64 s[0:1], s[0:1]
	s_cbranch_execz .LBB330_269
; %bb.765:                              ;   in Loop: Header=BB330_271 Depth=1
	v_or_b32_e32 v17, 0x10000, v23
	v_cmp_eq_u32_sdwa vcc, v23, v25 src0_sel:WORD_0 src1_sel:DWORD
	s_nop 1
	v_cndmask_b32_e32 v31, v17, v23, vcc
	s_branch .LBB330_269
.LBB330_766:
	s_or_b64 exec, exec, s[6:7]
	v_accvgpr_read_b32 v16, a15
	v_accvgpr_read_b32 v17, a16
	;; [unrolled: 1-line block ×3, first 2 shown]
.LBB330_767:
	s_or_b64 exec, exec, s[2:3]
	ds_bpermute_b32 v0, v16, v20
	ds_bpermute_b32 v1, v16, v21
	ds_bpermute_b32 v2, v16, v14
	ds_bpermute_b32 v3, v16, v15
	ds_bpermute_b32 v8, v16, v9
	s_waitcnt lgkmcnt(0)
	v_pk_add_f32 v[0:1], v[20:21], v[0:1]
	ds_bpermute_b32 v4, v17, v0
	ds_bpermute_b32 v5, v17, v1
	v_pk_add_f32 v[2:3], v[14:15], v[2:3]
	v_add_f32_e32 v14, v9, v8
	s_barrier
	s_waitcnt lgkmcnt(0)
	v_pk_add_f32 v[8:9], v[0:1], v[4:5]
	scratch_load_dword v0, off, s32 offset:220 ; 4-byte Folded Reload
	ds_bpermute_b32 v6, v16, v12
	ds_bpermute_b32 v7, v16, v13
	;; [unrolled: 1-line block ×5, first 2 shown]
	s_waitcnt lgkmcnt(3)
	v_pk_add_f32 v[6:7], v[12:13], v[6:7]
	ds_bpermute_b32 v12, v17, v6
	ds_bpermute_b32 v13, v17, v7
	s_waitcnt lgkmcnt(3)
	v_pk_add_f32 v[4:5], v[2:3], v[10:11]
	s_waitcnt lgkmcnt(0)
	v_pk_add_f32 v[2:3], v[6:7], v[12:13]
	v_add_f32_e32 v6, v14, v15
	s_waitcnt vmcnt(0)
	v_and_b32_e32 v0, 0x3c3, v0
	v_cmp_eq_u32_e32 vcc, 64, v0
	s_and_saveexec_b64 s[0:1], vcc
	s_cbranch_execz .LBB330_769
; %bb.768:
	s_ashr_i32 s17, s16, 31
	s_lshl_b64 s[2:3], s[16:17], 2
	s_getpc_b64 s[4:5]
	s_add_u32 s4, s4, llvm.amdgcn.dynlds.offset.table@rel32@lo+4
	s_addc_u32 s5, s5, llvm.amdgcn.dynlds.offset.table@rel32@hi+12
	s_add_u32 s2, s2, s4
	s_addc_u32 s3, s3, s5
	s_load_dword s2, s[2:3], 0x0
	s_waitcnt lgkmcnt(0)
	v_add_u32_e32 v0, s2, v57
	ds_write2_b32 v0, v8, v9 offset1:16
	ds_write2_b32 v0, v4, v5 offset0:32 offset1:48
	ds_write2_b32 v0, v2, v3 offset0:64 offset1:80
	ds_write_b32 v0, v6 offset:384
.LBB330_769:
	s_or_b64 exec, exec, s[0:1]
	s_waitcnt lgkmcnt(0)
	s_barrier
	scratch_load_dword v0, off, s32 offset:220 ; 4-byte Folded Reload
	s_waitcnt vmcnt(0)
	v_cmp_gt_u32_e32 vcc, 64, v0
	s_and_saveexec_b64 s[2:3], vcc
	s_cbranch_execz .LBB330_779
; %bb.770:
	scratch_load_dword v0, off, s32 offset:220 ; 4-byte Folded Reload
	v_cmp_eq_u32_e64 s[0:1], 0, v18
	s_waitcnt vmcnt(0)
	v_lshrrev_b32_e32 v0, 2, v0
	s_and_saveexec_b64 s[4:5], s[0:1]
	s_cbranch_execnz .LBB330_811
; %bb.771:
	s_or_b64 exec, exec, s[4:5]
	s_and_saveexec_b64 s[4:5], s[0:1]
	s_cbranch_execnz .LBB330_812
.LBB330_772:
	s_or_b64 exec, exec, s[4:5]
	s_and_saveexec_b64 s[4:5], s[0:1]
	s_cbranch_execnz .LBB330_813
.LBB330_773:
	s_or_b64 exec, exec, s[4:5]
	s_and_saveexec_b64 s[4:5], s[0:1]
	s_cbranch_execnz .LBB330_814
.LBB330_774:
	s_or_b64 exec, exec, s[4:5]
	s_and_saveexec_b64 s[4:5], s[0:1]
	s_cbranch_execnz .LBB330_815
.LBB330_775:
	s_or_b64 exec, exec, s[4:5]
	s_and_saveexec_b64 s[4:5], s[0:1]
	s_cbranch_execnz .LBB330_816
.LBB330_776:
	s_or_b64 exec, exec, s[4:5]
	s_and_saveexec_b64 s[4:5], s[0:1]
	s_cbranch_execz .LBB330_778
.LBB330_777:
	s_ashr_i32 s17, s16, 31
	s_lshl_b64 s[0:1], s[16:17], 2
	s_getpc_b64 s[6:7]
	s_add_u32 s6, s6, llvm.amdgcn.dynlds.offset.table@rel32@lo+4
	s_addc_u32 s7, s7, llvm.amdgcn.dynlds.offset.table@rel32@hi+12
	s_add_u32 s0, s0, s6
	s_addc_u32 s1, s1, s7
	s_load_dword s0, s[0:1], 0x0
	s_waitcnt lgkmcnt(0)
	v_lshl_add_u32 v0, v0, 2, s0
	ds_read_b32 v0, v0 offset:384
	s_waitcnt lgkmcnt(0)
	v_add_f32_e32 v6, v6, v0
.LBB330_778:
	s_or_b64 exec, exec, s[4:5]
.LBB330_779:
	s_or_b64 exec, exec, s[2:3]
	s_barrier
	s_and_saveexec_b64 s[0:1], vcc
	s_cbranch_execz .LBB330_810
; %bb.780:
	v_cmp_eq_u32_e32 vcc, 0, v18
	s_and_b64 exec, exec, vcc
	s_cbranch_execz .LBB330_810
; %bb.781:
	s_mov_b32 s2, 0x7f800000
	v_and_b32_e32 v0, 0x7f800000, v8
	v_cmp_ne_u32_e32 vcc, s2, v0
                                        ; implicit-def: $vgpr0
	s_and_saveexec_b64 s[2:3], vcc
	s_xor_b64 s[2:3], exec, s[2:3]
; %bb.782:
	v_bfe_u32 v0, v8, 16, 1
	s_movk_i32 s4, 0x7fff
	v_add3_u32 v0, v8, v0, s4
; %bb.783:
	s_andn2_saveexec_b64 s[2:3], s[2:3]
; %bb.784:
	v_mov_b32_e32 v0, 0
	v_or_b32_e32 v1, 0x10000, v8
	v_cmp_eq_u32_sdwa vcc, v8, v0 src0_sel:WORD_0 src1_sel:DWORD
	s_nop 1
	v_cndmask_b32_e32 v0, v1, v8, vcc
; %bb.785:
	s_or_b64 exec, exec, s[2:3]
	scratch_load_dwordx2 v[10:11], off, s32 offset:264 ; 8-byte Folded Reload
	scratch_load_dword v1, off, s32 offset:220 ; 4-byte Folded Reload
	v_cmp_ne_u16_e64 s[2:3], s19, 0
	s_cmp_lg_u64 s[2:3], 0
	s_addc_u32 s4, s15, 0
	s_mul_i32 s2, s4, s10
	s_mul_i32 s2, s2, s11
	s_mulk_i32 s2, 0x70
	s_mul_i32 s4, s18, s4
	s_mul_i32 s6, s14, 0x70
	s_ashr_i32 s3, s2, 31
	s_ashr_i32 s5, s4, 31
	;; [unrolled: 1-line block ×3, first 2 shown]
	s_lshl_b64 s[2:3], s[2:3], 1
	s_lshl_b64 s[4:5], s[4:5], 1
	;; [unrolled: 1-line block ×3, first 2 shown]
	s_add_u32 s4, s6, s4
	s_addc_u32 s5, s7, s5
	s_add_u32 s2, s4, s2
	s_addc_u32 s3, s5, s3
	v_mov_b32_e32 v13, 0
	s_waitcnt vmcnt(1)
	v_lshl_add_u64 v[10:11], s[2:3], 0, v[10:11]
	s_waitcnt vmcnt(0)
	v_lshrrev_b32_e32 v1, 1, v1
	v_and_b32_e32 v12, 0x1fe, v1
	v_lshl_add_u64 v[10:11], v[10:11], 0, v[12:13]
	flat_store_short_d16_hi v[10:11], v0
	s_mov_b32 s2, 0x7f800000
	v_and_b32_e32 v0, 0x7f800000, v9
	v_cmp_ne_u32_e32 vcc, s2, v0
                                        ; implicit-def: $vgpr0
	s_and_saveexec_b64 s[2:3], vcc
	s_xor_b64 s[2:3], exec, s[2:3]
; %bb.786:
	v_bfe_u32 v0, v9, 16, 1
	s_movk_i32 s4, 0x7fff
	v_add3_u32 v0, v9, v0, s4
; %bb.787:
	s_andn2_saveexec_b64 s[2:3], s[2:3]
; %bb.788:
	v_mov_b32_e32 v0, 0
	v_or_b32_e32 v1, 0x10000, v9
	v_cmp_eq_u32_sdwa vcc, v9, v0 src0_sel:WORD_0 src1_sel:DWORD
	s_nop 1
	v_cndmask_b32_e32 v0, v1, v9, vcc
; %bb.789:
	s_or_b64 exec, exec, s[2:3]
	flat_store_short_d16_hi v[10:11], v0 offset:32
	s_mov_b32 s2, 0x7f800000
	v_and_b32_e32 v0, 0x7f800000, v4
	v_cmp_ne_u32_e32 vcc, s2, v0
                                        ; implicit-def: $vgpr0
	s_and_saveexec_b64 s[2:3], vcc
	s_xor_b64 s[2:3], exec, s[2:3]
; %bb.790:
	v_bfe_u32 v0, v4, 16, 1
	s_movk_i32 s4, 0x7fff
	v_add3_u32 v0, v4, v0, s4
; %bb.791:
	s_andn2_saveexec_b64 s[2:3], s[2:3]
; %bb.792:
	v_mov_b32_e32 v0, 0
	v_or_b32_e32 v1, 0x10000, v4
	v_cmp_eq_u32_sdwa vcc, v4, v0 src0_sel:WORD_0 src1_sel:DWORD
	s_nop 1
	v_cndmask_b32_e32 v0, v1, v4, vcc
; %bb.793:
	s_or_b64 exec, exec, s[2:3]
	flat_store_short_d16_hi v[10:11], v0 offset:64
	;; [unrolled: 21-line block ×5, first 2 shown]
	s_mov_b32 s2, 0x7f800000
	v_and_b32_e32 v0, 0x7f800000, v6
	v_cmp_ne_u32_e32 vcc, s2, v0
                                        ; implicit-def: $vgpr7
	s_and_saveexec_b64 s[2:3], vcc
	s_xor_b64 s[2:3], exec, s[2:3]
; %bb.806:
	v_bfe_u32 v0, v6, 16, 1
	s_movk_i32 s4, 0x7fff
	v_add3_u32 v7, v6, v0, s4
                                        ; implicit-def: $vgpr0_vgpr1_vgpr2_vgpr3_vgpr4_vgpr5_vgpr6
; %bb.807:
	s_andn2_saveexec_b64 s[2:3], s[2:3]
; %bb.808:
	v_mov_b32_e32 v0, 0
	v_or_b32_e32 v1, 0x10000, v6
	v_cmp_eq_u32_sdwa vcc, v6, v0 src0_sel:WORD_0 src1_sel:DWORD
	s_nop 1
	v_cndmask_b32_e32 v7, v1, v6, vcc
; %bb.809:
	s_or_b64 exec, exec, s[2:3]
	flat_store_short_d16_hi v[10:11], v7 offset:192
.LBB330_810:
	s_or_b64 exec, exec, s[0:1]
	scratch_load_dword a63, off, s32        ; 4-byte Folded Reload
	scratch_load_dword a62, off, s32 offset:4 ; 4-byte Folded Reload
	scratch_load_dword a61, off, s32 offset:8 ; 4-byte Folded Reload
	;; [unrolled: 1-line block ×47, first 2 shown]
	s_waitcnt vmcnt(0) lgkmcnt(0)
	s_setpc_b64 s[30:31]
.LBB330_811:
	s_ashr_i32 s17, s16, 31
	s_lshl_b64 s[6:7], s[16:17], 2
	s_getpc_b64 s[8:9]
	s_add_u32 s8, s8, llvm.amdgcn.dynlds.offset.table@rel32@lo+4
	s_addc_u32 s9, s9, llvm.amdgcn.dynlds.offset.table@rel32@hi+12
	s_add_u32 s6, s6, s8
	s_addc_u32 s7, s7, s9
	s_load_dword s6, s[6:7], 0x0
	s_waitcnt lgkmcnt(0)
	v_lshl_add_u32 v1, v0, 2, s6
	ds_read_b32 v1, v1
	s_waitcnt lgkmcnt(0)
	v_add_f32_e32 v8, v8, v1
	s_or_b64 exec, exec, s[4:5]
	s_and_saveexec_b64 s[4:5], s[0:1]
	s_cbranch_execz .LBB330_772
.LBB330_812:
	s_ashr_i32 s17, s16, 31
	s_lshl_b64 s[6:7], s[16:17], 2
	s_getpc_b64 s[8:9]
	s_add_u32 s8, s8, llvm.amdgcn.dynlds.offset.table@rel32@lo+4
	s_addc_u32 s9, s9, llvm.amdgcn.dynlds.offset.table@rel32@hi+12
	s_add_u32 s6, s6, s8
	s_addc_u32 s7, s7, s9
	s_load_dword s6, s[6:7], 0x0
	s_waitcnt lgkmcnt(0)
	v_lshl_add_u32 v1, v0, 2, s6
	ds_read_b32 v1, v1 offset:64
	s_waitcnt lgkmcnt(0)
	v_add_f32_e32 v9, v9, v1
	s_or_b64 exec, exec, s[4:5]
	s_and_saveexec_b64 s[4:5], s[0:1]
	s_cbranch_execz .LBB330_773
.LBB330_813:
	s_ashr_i32 s17, s16, 31
	s_lshl_b64 s[6:7], s[16:17], 2
	s_getpc_b64 s[8:9]
	s_add_u32 s8, s8, llvm.amdgcn.dynlds.offset.table@rel32@lo+4
	s_addc_u32 s9, s9, llvm.amdgcn.dynlds.offset.table@rel32@hi+12
	s_add_u32 s6, s6, s8
	s_addc_u32 s7, s7, s9
	s_load_dword s6, s[6:7], 0x0
	s_waitcnt lgkmcnt(0)
	v_lshl_add_u32 v1, v0, 2, s6
	ds_read_b32 v1, v1 offset:128
	s_waitcnt lgkmcnt(0)
	v_add_f32_e32 v4, v4, v1
	s_or_b64 exec, exec, s[4:5]
	s_and_saveexec_b64 s[4:5], s[0:1]
	s_cbranch_execz .LBB330_774
.LBB330_814:
	s_ashr_i32 s17, s16, 31
	s_lshl_b64 s[6:7], s[16:17], 2
	s_getpc_b64 s[8:9]
	s_add_u32 s8, s8, llvm.amdgcn.dynlds.offset.table@rel32@lo+4
	s_addc_u32 s9, s9, llvm.amdgcn.dynlds.offset.table@rel32@hi+12
	s_add_u32 s6, s6, s8
	s_addc_u32 s7, s7, s9
	s_load_dword s6, s[6:7], 0x0
	s_waitcnt lgkmcnt(0)
	v_lshl_add_u32 v1, v0, 2, s6
	ds_read_b32 v1, v1 offset:192
	s_waitcnt lgkmcnt(0)
	v_add_f32_e32 v5, v5, v1
	s_or_b64 exec, exec, s[4:5]
	s_and_saveexec_b64 s[4:5], s[0:1]
	s_cbranch_execz .LBB330_775
.LBB330_815:
	s_ashr_i32 s17, s16, 31
	s_lshl_b64 s[6:7], s[16:17], 2
	s_getpc_b64 s[8:9]
	s_add_u32 s8, s8, llvm.amdgcn.dynlds.offset.table@rel32@lo+4
	s_addc_u32 s9, s9, llvm.amdgcn.dynlds.offset.table@rel32@hi+12
	s_add_u32 s6, s6, s8
	s_addc_u32 s7, s7, s9
	s_load_dword s6, s[6:7], 0x0
	s_waitcnt lgkmcnt(0)
	v_lshl_add_u32 v1, v0, 2, s6
	ds_read_b32 v1, v1 offset:256
	s_waitcnt lgkmcnt(0)
	v_add_f32_e32 v2, v2, v1
	s_or_b64 exec, exec, s[4:5]
	s_and_saveexec_b64 s[4:5], s[0:1]
	s_cbranch_execz .LBB330_776
.LBB330_816:
	s_ashr_i32 s17, s16, 31
	s_lshl_b64 s[6:7], s[16:17], 2
	s_getpc_b64 s[8:9]
	s_add_u32 s8, s8, llvm.amdgcn.dynlds.offset.table@rel32@lo+4
	s_addc_u32 s9, s9, llvm.amdgcn.dynlds.offset.table@rel32@hi+12
	s_add_u32 s6, s6, s8
	s_addc_u32 s7, s7, s9
	s_load_dword s6, s[6:7], 0x0
	s_waitcnt lgkmcnt(0)
	v_lshl_add_u32 v1, v0, 2, s6
	ds_read_b32 v1, v1 offset:320
	s_waitcnt lgkmcnt(0)
	v_add_f32_e32 v3, v3, v1
	s_or_b64 exec, exec, s[4:5]
	s_and_saveexec_b64 s[4:5], s[0:1]
	s_cbranch_execnz .LBB330_777
	s_branch .LBB330_778
.Lfunc_end330:
	.size	_ZN4vllm22paged_attention_kernelI14__hip_bfloat16hLi112ELi32ELi128ELNS_18Fp8KVCacheDataTypeE1ELb1ELi0EEEvPfS3_PT_PKS4_PKT0_SA_ifPKiSC_iPKfiiiSE_SE_iiiii, .Lfunc_end330-_ZN4vllm22paged_attention_kernelI14__hip_bfloat16hLi112ELi32ELi128ELNS_18Fp8KVCacheDataTypeE1ELb1ELi0EEEvPfS3_PT_PKS4_PKT0_SA_ifPKiSC_iPKfiiiSE_SE_iiiii
                                        ; -- End function
	.section	.AMDGPU.csdata,"",@progbits
; Function info:
; codeLenInByte = 29208
; NumSgprs: 39
; NumVgprs: 64
; NumAgprs: 64
; TotalNumVgprs: 128
; ScratchSize: 328
; MemoryBound: 0
	.section	.text._ZN4vllm25paged_attention_v1_kernelI14__hip_bfloat16hLi112ELi32ELi128ELNS_18Fp8KVCacheDataTypeE1ELb1EEEvPT_PKS3_PKT0_S9_ifPKiSB_iPKfiiiSD_SD_iiiii,"axG",@progbits,_ZN4vllm25paged_attention_v1_kernelI14__hip_bfloat16hLi112ELi32ELi128ELNS_18Fp8KVCacheDataTypeE1ELb1EEEvPT_PKS3_PKT0_S9_ifPKiSB_iPKfiiiSD_SD_iiiii,comdat
	.protected	_ZN4vllm25paged_attention_v1_kernelI14__hip_bfloat16hLi112ELi32ELi128ELNS_18Fp8KVCacheDataTypeE1ELb1EEEvPT_PKS3_PKT0_S9_ifPKiSB_iPKfiiiSD_SD_iiiii ; -- Begin function _ZN4vllm25paged_attention_v1_kernelI14__hip_bfloat16hLi112ELi32ELi128ELNS_18Fp8KVCacheDataTypeE1ELb1EEEvPT_PKS3_PKT0_S9_ifPKiSB_iPKfiiiSD_SD_iiiii
	.globl	_ZN4vllm25paged_attention_v1_kernelI14__hip_bfloat16hLi112ELi32ELi128ELNS_18Fp8KVCacheDataTypeE1ELb1EEEvPT_PKS3_PKT0_S9_ifPKiSB_iPKfiiiSD_SD_iiiii
	.p2align	8
	.type	_ZN4vllm25paged_attention_v1_kernelI14__hip_bfloat16hLi112ELi32ELi128ELNS_18Fp8KVCacheDataTypeE1ELb1EEEvPT_PKS3_PKT0_S9_ifPKiSB_iPKfiiiSD_SD_iiiii,@function
_ZN4vllm25paged_attention_v1_kernelI14__hip_bfloat16hLi112ELi32ELi128ELNS_18Fp8KVCacheDataTypeE1ELb1EEEvPT_PKS3_PKT0_S9_ifPKiSB_iPKfiiiSD_SD_iiiii: ; @_ZN4vllm25paged_attention_v1_kernelI14__hip_bfloat16hLi112ELi32ELi128ELNS_18Fp8KVCacheDataTypeE1ELb1EEEvPT_PKS3_PKT0_S9_ifPKiSB_iPKfiiiSD_SD_iiiii
; %bb.0:
	s_load_dwordx8 s[16:23], s[0:1], 0x0
	s_load_dwordx4 s[36:39], s[0:1], 0x20
	s_load_dwordx2 s[6:7], s[0:1], 0x30
	s_load_dword s5, s[0:1], 0x38
	s_load_dwordx2 s[10:11], s[0:1], 0x40
	s_load_dwordx8 s[24:31], s[0:1], 0x48
	s_waitcnt lgkmcnt(0)
	s_load_dword s27, s[0:1], 0x78
	s_load_dwordx4 s[40:43], s[0:1], 0x68
	s_add_u32 s8, s0, 0x80
	s_addc_u32 s9, s1, 0
	s_mov_b32 s12, s2
	s_mov_b32 s13, s3
	;; [unrolled: 1-line block ×4, first 2 shown]
	v_mov_b32_e32 v31, v0
	v_mov_b32_e32 v0, s16
	;; [unrolled: 1-line block ×25, first 2 shown]
	s_waitcnt lgkmcnt(0)
	v_mov_b32_e32 v24, s40
	v_mov_b32_e32 v25, s41
	;; [unrolled: 1-line block ×5, first 2 shown]
	s_mov_b32 s32, 0
	s_getpc_b64 s[0:1]
	s_add_u32 s0, s0, _ZN4vllm22paged_attention_kernelI14__hip_bfloat16hLi112ELi32ELi128ELNS_18Fp8KVCacheDataTypeE1ELb1ELi0EEEvPfS3_PT_PKS4_PKT0_SA_ifPKiSC_iPKfiiiSE_SE_iiiii@rel32@lo+4
	s_addc_u32 s1, s1, _ZN4vllm22paged_attention_kernelI14__hip_bfloat16hLi112ELi32ELi128ELNS_18Fp8KVCacheDataTypeE1ELb1ELi0EEEvPfS3_PT_PKS4_PKT0_SA_ifPKiSC_iPKfiiiSE_SE_iiiii@rel32@hi+12
	s_swappc_b64 s[30:31], s[0:1]
	s_endpgm
	.section	.rodata,"a",@progbits
	.p2align	6, 0x0
	.amdhsa_kernel _ZN4vllm25paged_attention_v1_kernelI14__hip_bfloat16hLi112ELi32ELi128ELNS_18Fp8KVCacheDataTypeE1ELb1EEEvPT_PKS3_PKT0_S9_ifPKiSB_iPKfiiiSD_SD_iiiii
		.amdhsa_group_segment_fixed_size 240
		.amdhsa_private_segment_fixed_size 328
		.amdhsa_kernarg_size 384
		.amdhsa_user_sgpr_count 2
		.amdhsa_user_sgpr_dispatch_ptr 0
		.amdhsa_user_sgpr_queue_ptr 0
		.amdhsa_user_sgpr_kernarg_segment_ptr 1
		.amdhsa_user_sgpr_dispatch_id 0
		.amdhsa_user_sgpr_kernarg_preload_length 0
		.amdhsa_user_sgpr_kernarg_preload_offset 0
		.amdhsa_user_sgpr_private_segment_size 0
		.amdhsa_uses_dynamic_stack 0
		.amdhsa_enable_private_segment 1
		.amdhsa_system_sgpr_workgroup_id_x 1
		.amdhsa_system_sgpr_workgroup_id_y 1
		.amdhsa_system_sgpr_workgroup_id_z 1
		.amdhsa_system_sgpr_workgroup_info 0
		.amdhsa_system_vgpr_workitem_id 0
		.amdhsa_next_free_vgpr 128
		.amdhsa_next_free_sgpr 44
		.amdhsa_accum_offset 64
		.amdhsa_reserve_vcc 1
		.amdhsa_float_round_mode_32 0
		.amdhsa_float_round_mode_16_64 0
		.amdhsa_float_denorm_mode_32 3
		.amdhsa_float_denorm_mode_16_64 3
		.amdhsa_dx10_clamp 1
		.amdhsa_ieee_mode 1
		.amdhsa_fp16_overflow 0
		.amdhsa_tg_split 0
		.amdhsa_exception_fp_ieee_invalid_op 0
		.amdhsa_exception_fp_denorm_src 0
		.amdhsa_exception_fp_ieee_div_zero 0
		.amdhsa_exception_fp_ieee_overflow 0
		.amdhsa_exception_fp_ieee_underflow 0
		.amdhsa_exception_fp_ieee_inexact 0
		.amdhsa_exception_int_div_zero 0
	.end_amdhsa_kernel
	.section	.text._ZN4vllm25paged_attention_v1_kernelI14__hip_bfloat16hLi112ELi32ELi128ELNS_18Fp8KVCacheDataTypeE1ELb1EEEvPT_PKS3_PKT0_S9_ifPKiSB_iPKfiiiSD_SD_iiiii,"axG",@progbits,_ZN4vllm25paged_attention_v1_kernelI14__hip_bfloat16hLi112ELi32ELi128ELNS_18Fp8KVCacheDataTypeE1ELb1EEEvPT_PKS3_PKT0_S9_ifPKiSB_iPKfiiiSD_SD_iiiii,comdat
.Lfunc_end331:
	.size	_ZN4vllm25paged_attention_v1_kernelI14__hip_bfloat16hLi112ELi32ELi128ELNS_18Fp8KVCacheDataTypeE1ELb1EEEvPT_PKS3_PKT0_S9_ifPKiSB_iPKfiiiSD_SD_iiiii, .Lfunc_end331-_ZN4vllm25paged_attention_v1_kernelI14__hip_bfloat16hLi112ELi32ELi128ELNS_18Fp8KVCacheDataTypeE1ELb1EEEvPT_PKS3_PKT0_S9_ifPKiSB_iPKfiiiSD_SD_iiiii
                                        ; -- End function
	.section	.AMDGPU.csdata,"",@progbits
; Kernel info:
; codeLenInByte = 252
; NumSgprs: 50
; NumVgprs: 64
; NumAgprs: 64
; TotalNumVgprs: 128
; ScratchSize: 328
; MemoryBound: 0
; FloatMode: 240
; IeeeMode: 1
; LDSByteSize: 240 bytes/workgroup (compile time only)
; SGPRBlocks: 6
; VGPRBlocks: 15
; NumSGPRsForWavesPerEU: 50
; NumVGPRsForWavesPerEU: 128
; AccumOffset: 64
; Occupancy: 4
; WaveLimiterHint : 1
; COMPUTE_PGM_RSRC2:SCRATCH_EN: 1
; COMPUTE_PGM_RSRC2:USER_SGPR: 2
; COMPUTE_PGM_RSRC2:TRAP_HANDLER: 0
; COMPUTE_PGM_RSRC2:TGID_X_EN: 1
; COMPUTE_PGM_RSRC2:TGID_Y_EN: 1
; COMPUTE_PGM_RSRC2:TGID_Z_EN: 1
; COMPUTE_PGM_RSRC2:TIDIG_COMP_CNT: 0
; COMPUTE_PGM_RSRC3_GFX90A:ACCUM_OFFSET: 15
; COMPUTE_PGM_RSRC3_GFX90A:TG_SPLIT: 0
	.text
	.p2align	2                               ; -- Begin function _ZN4vllm22paged_attention_kernelI14__hip_bfloat16hLi120ELi32ELi128ELNS_18Fp8KVCacheDataTypeE1ELb1ELi0EEEvPfS3_PT_PKS4_PKT0_SA_ifPKiSC_iPKfiiiSE_SE_iiiii
	.type	_ZN4vllm22paged_attention_kernelI14__hip_bfloat16hLi120ELi32ELi128ELNS_18Fp8KVCacheDataTypeE1ELb1ELi0EEEvPfS3_PT_PKS4_PKT0_SA_ifPKiSC_iPKfiiiSE_SE_iiiii,@function
_ZN4vllm22paged_attention_kernelI14__hip_bfloat16hLi120ELi32ELi128ELNS_18Fp8KVCacheDataTypeE1ELb1ELi0EEEvPfS3_PT_PKS4_PKT0_SA_ifPKiSC_iPKfiiiSE_SE_iiiii: ; @_ZN4vllm22paged_attention_kernelI14__hip_bfloat16hLi120ELi32ELi128ELNS_18Fp8KVCacheDataTypeE1ELb1ELi0EEEvPfS3_PT_PKS4_PKT0_SA_ifPKiSC_iPKfiiiSE_SE_iiiii
; %bb.0:
	s_waitcnt vmcnt(0) expcnt(0) lgkmcnt(0)
	scratch_store_dword off, v40, s32 offset:188 ; 4-byte Folded Spill
	scratch_store_dword off, v41, s32 offset:184 ; 4-byte Folded Spill
	;; [unrolled: 1-line block ×47, first 2 shown]
	scratch_store_dword off, a63, s32       ; 4-byte Folded Spill
	s_mov_b32 s10, s13
	s_ashr_i32 s11, s13, 31
	scratch_store_dwordx2 off, v[22:23], s32 offset:212 ; 8-byte Folded Spill
	scratch_store_dwordx2 off, v[20:21], s32 offset:232 ; 8-byte Folded Spill
	;; [unrolled: 1-line block ×3, first 2 shown]
	scratch_store_dword off, v9, s32 offset:256 ; 4-byte Folded Spill
	scratch_store_dwordx2 off, v[0:1], s32 offset:272 ; 8-byte Folded Spill
	v_lshl_add_u64 v[0:1], s[10:11], 2, v[12:13]
	flat_load_dword a3, v[0:1]
	v_sub_u32_e32 v0, 0, v8
	v_max_i32_e32 v0, v8, v0
	v_cvt_f32_u32_e32 v1, v0
	s_load_dword s0, s[8:9], 0x10
	s_load_dword s2, s[8:9], 0x0
	v_mov_b32_e32 v23, v7
	v_sub_u32_e32 v7, 0, v0
	v_rcp_iflag_f32_e32 v1, v1
	s_waitcnt lgkmcnt(0)
	s_lshr_b32 s0, s0, 16
	s_cmp_lg_u32 s0, 0
	s_cselect_b64 s[0:1], -1, 0
	v_mul_f32_e32 v1, 0x4f7ffffe, v1
	v_cvt_u32_f32_e32 v1, v1
	s_cmp_lg_u64 s[0:1], 0
	s_addc_u32 s11, s2, 0
	s_abs_i32 s0, s11
	v_mul_lo_u32 v7, v7, v1
	v_mul_hi_u32 v7, v1, v7
	v_add_u32_e32 v1, v1, v7
	v_mul_hi_u32 v1, s0, v1
	v_mul_lo_u32 v7, v1, v0
	v_sub_u32_e32 v7, s0, v7
	v_add_u32_e32 v12, 1, v1
	v_cmp_ge_u32_e32 vcc, v7, v0
	v_mov_b32_e32 v22, v6
	v_xor_b32_e32 v6, s11, v8
	v_cndmask_b32_e32 v1, v1, v12, vcc
	v_sub_u32_e32 v12, v7, v0
	v_cndmask_b32_e32 v7, v7, v12, vcc
	v_add_u32_e32 v12, 1, v1
	v_cmp_ge_u32_e32 vcc, v7, v0
	v_ashrrev_i32_e32 v6, 31, v6
	v_mov_b32_e32 v33, v16
	v_cndmask_b32_e32 v0, v1, v12, vcc
	v_xor_b32_e32 v0, v0, v6
	v_sub_u32_e32 v0, v0, v6
	v_sub_u32_e32 v1, 0, v0
	v_max_i32_e32 v1, v0, v1
	v_cvt_f32_u32_e32 v6, v1
	v_sub_u32_e32 v7, 0, v1
	v_mov_b32_e32 v32, v15
	s_abs_i32 s2, s12
	v_rcp_iflag_f32_e32 v6, v6
	s_mov_b32 s16, s15
	v_cmp_ne_u64_e32 vcc, 0, v[32:33]
	v_mul_f32_e32 v6, 0x4f7ffffe, v6
	v_cvt_u32_f32_e32 v6, v6
	v_mul_lo_u32 v7, v7, v6
	v_mul_hi_u32 v7, v6, v7
	v_add_u32_e32 v6, v6, v7
	v_mad_u64_u32 v[12:13], s[0:1], s2, v6, 0
	v_mov_b32_e32 v6, 0
	scratch_store_dword off, v6, s32 offset:252 ; 4-byte Folded Spill
	s_and_saveexec_b64 s[0:1], vcc
	s_cbranch_execz .LBB332_2
; %bb.1:
	s_ashr_i32 s13, s12, 31
	v_lshl_add_u64 v[6:7], s[12:13], 2, v[32:33]
	flat_load_dword v6, v[6:7]
	s_waitcnt vmcnt(0) lgkmcnt(0)
	scratch_store_dword off, v6, s32 offset:252 ; 4-byte Folded Spill
.LBB332_2:
	s_or_b64 exec, exec, s[0:1]
	v_and_b32_e32 v7, 0x3ff, v31
	s_ashr_i32 s3, s12, 31
	v_ashrrev_i32_e32 v6, 31, v0
	v_and_b32_e32 v0, 1, v7
	s_movk_i32 s4, 0x78
	s_mul_i32 s18, s12, 0x78
	v_cmp_gt_u32_e32 vcc, 30, v7
	v_lshlrev_b32_e32 v30, 3, v7
	scratch_store_dword off, v7, s32 offset:268 ; 4-byte Folded Spill
	s_and_saveexec_b64 s[0:1], vcc
	s_cbranch_execz .LBB332_4
; %bb.3:
	v_mul_lo_u32 v16, s10, v17
	v_ashrrev_i32_e32 v17, 31, v16
	v_lshl_add_u64 v[2:3], v[16:17], 1, v[2:3]
	s_ashr_i32 s19, s18, 31
	v_lshl_add_u64 v[2:3], s[18:19], 1, v[2:3]
	v_mov_b32_e32 v31, 0
	v_lshl_add_u64 v[2:3], v[2:3], 0, v[30:31]
	flat_load_dwordx2 v[2:3], v[2:3]
	s_nop 0
	scratch_load_dword v7, off, s32 offset:268 ; 4-byte Folded Reload
	s_waitcnt vmcnt(0)
	v_lshlrev_b32_e32 v7, 2, v7
	v_and_b32_e32 v7, 0xff8, v7
	v_mad_u32_u24 v7, v0, s4, v7
	s_waitcnt lgkmcnt(0)
	ds_write_b64 v7, v[2:3]
.LBB332_4:
	s_or_b64 exec, exec, s[0:1]
	v_mul_lo_u32 v3, v13, v1
	v_sub_u32_e32 v3, s2, v3
	v_xor_b32_e32 v2, s3, v6
	v_add_u32_e32 v6, 1, v13
	v_cmp_ge_u32_e32 vcc, v3, v1
	v_sub_u32_e32 v7, v3, v1
	s_waitcnt lgkmcnt(0)
	v_cndmask_b32_e32 v6, v13, v6, vcc
	v_cndmask_b32_e32 v3, v3, v7, vcc
	v_add_u32_e32 v7, 1, v6
	v_cmp_ge_u32_e32 vcc, v3, v1
	v_sub_u32_e32 v3, 0, v27
	s_barrier
	v_cndmask_b32_e32 v1, v6, v7, vcc
	v_max_i32_e32 v7, v27, v3
	v_cvt_f32_u32_e32 v3, v7
	v_xor_b32_e32 v1, v1, v2
	v_sub_u32_e32 v2, v1, v2
	v_rcp_iflag_f32_e32 v1, v3
	s_waitcnt vmcnt(0)
	v_accvgpr_read_b32 v3, a3
	scratch_store_dword off, v7, s32 offset:196 ; 4-byte Folded Spill
	v_sub_u32_e32 v7, 0, v7
	v_mul_f32_e32 v1, 0x4f7ffffe, v1
	v_cvt_u32_f32_e32 v6, v1
	v_add_u32_e32 v3, -1, v3
	v_sub_u32_e32 v1, 0, v3
	v_max_i32_e32 v1, v3, v1
	v_mul_lo_u32 v7, v7, v6
	v_mul_hi_u32 v7, v6, v7
	v_add_u32_e32 v6, v6, v7
	v_mad_u64_u32 v[12:13], s[0:1], v1, v6, 0
	v_cmp_gt_i32_e32 vcc, 0, v28
	scratch_store_dword off, v6, s32 offset:204 ; 4-byte Folded Spill
                                        ; implicit-def: $agpr10
	s_and_saveexec_b64 s[0:1], vcc
	s_xor_b64 s[0:1], exec, s[0:1]
; %bb.5:
	v_mad_u64_u32 v[6:7], s[2:3], v24, v8, v[2:3]
	v_mul_lo_u32 v6, v6, v28
	v_sub_u32_e32 v6, 1, v6
	v_accvgpr_write_b32 a10, v6
                                        ; implicit-def: $vgpr24
                                        ; implicit-def: $vgpr28
; %bb.6:
	s_or_saveexec_b64 s[0:1], s[0:1]
	v_ashrrev_i32_e32 v3, 31, v3
	v_ashrrev_i32_e32 v6, 31, v27
	scratch_store_dword off, v6, s32 offset:200 ; 4-byte Folded Spill
	s_xor_b64 exec, exec, s[0:1]
; %bb.7:
	v_mul_lo_u32 v6, s11, v24
	v_add_u32_e32 v6, s12, v6
	v_mad_u64_u32 v[6:7], s[2:3], v6, v28, 1
	v_accvgpr_write_b32 a10, v6
; %bb.8:
	s_or_b64 exec, exec, s[0:1]
	s_load_dword s19, s[8:9], 0x14
	s_load_dword s15, s[8:9], 0x8
	scratch_load_dword v6, off, s32 offset:200 ; 4-byte Folded Reload
	scratch_load_dword v16, off, s32 offset:268 ; 4-byte Folded Reload
	;; [unrolled: 1-line block ×3, first 2 shown]
	v_mul_lo_u32 v32, s10, v14
	v_mul_lo_u32 v34, v2, v19
	v_ashrrev_i32_e32 v33, 31, v32
	v_mov_b32_e32 v9, 0xff7fffff
	v_ashrrev_i32_e32 v35, 31, v34
	v_sub_u32_e32 v27, 0, v26
	s_waitcnt vmcnt(2)
	v_xor_b32_e32 v3, v3, v6
	s_waitcnt vmcnt(1)
	v_lshrrev_b32_e32 v31, 4, v16
	s_waitcnt vmcnt(0)
	v_mul_lo_u32 v6, v13, v8
	v_sub_u32_e32 v1, v1, v6
	v_add_u32_e32 v6, 1, v13
	v_cmp_ge_u32_e32 vcc, v1, v8
	v_sub_u32_e32 v7, v1, v8
	s_nop 0
	v_cndmask_b32_e32 v6, v13, v6, vcc
	v_cndmask_b32_e32 v1, v1, v7, vcc
	v_add_u32_e32 v7, 1, v6
	v_cmp_ge_u32_e32 vcc, v1, v8
	s_nop 1
	v_cndmask_b32_e32 v1, v6, v7, vcc
	v_xor_b32_e32 v1, v1, v3
	v_sub_u32_e32 v1, v1, v3
	v_accvgpr_read_b32 v3, a3
	v_add_u32_e32 v3, 31, v3
	v_ashrrev_i32_e32 v6, 31, v3
	v_lshrrev_b32_e32 v6, 27, v6
	v_add_u32_e32 v3, v3, v6
	v_ashrrev_i32_e32 v3, 5, v3
	v_lshrrev_b32_e32 v6, 6, v16
	v_sub_u32_e32 v1, v1, v25
	v_cmp_lt_i32_e64 s[0:1], v6, v3
	scratch_store_dword off, v1, s32 offset:208 ; 4-byte Folded Spill
	v_accvgpr_write_b32 a12, v6
	v_lshlrev_b32_e32 v1, 5, v6
	v_mbcnt_lo_u32_b32 v6, -1, 0
	scratch_store_dword off, v3, s32 offset:192 ; 4-byte Folded Spill
	scratch_store_dword off, v1, s32 offset:280 ; 4-byte Folded Spill
	s_and_saveexec_b64 s[8:9], s[0:1]
	s_cbranch_execz .LBB332_258
; %bb.9:
	v_bfe_u32 v8, v16, 1, 5
	scratch_store_dwordx2 off, v[30:31], s32 offset:316 ; 8-byte Folded Spill
	scratch_store_dwordx2 off, v[22:23], s32 offset:308 ; 8-byte Folded Spill
	scratch_store_dword off, v26, s32 offset:324 ; 4-byte Folded Spill
	scratch_store_dword off, v27, s32 offset:284 ; 4-byte Folded Spill
	v_lshl_add_u64 v[2:3], v[4:5], 0, v[34:35]
	v_lshlrev_b32_e32 v24, 4, v8
	v_mov_b32_e32 v25, 0
	v_cmp_eq_u32_e32 vcc, 0, v0
	v_lshl_add_u64 v[2:3], v[2:3], 0, v[24:25]
	v_lshlrev_b32_e32 v24, 2, v0
	v_mul_u32_u24_e32 v15, 0x78, v0
	scratch_load_dword v0, off, s32 offset:252 ; 4-byte Folded Reload
	v_max_i32_e32 v7, v26, v27
	v_cvt_f32_u32_e32 v1, v7
	s_ashr_i32 s17, s16, 31
	scratch_store_dwordx2 off, v[34:35], s32 offset:288 ; 8-byte Folded Spill
	scratch_store_dwordx2 off, v[2:3], s32 offset:244 ; 8-byte Folded Spill
	v_rcp_iflag_f32_e32 v1, v1
	scratch_store_dword off, v7, s32 offset:228 ; 4-byte Folded Spill
	s_lshl_b64 s[4:5], s[16:17], 2
	v_accvgpr_read_b32 v60, a12
	v_mul_f32_e32 v1, 0x4f7ffffe, v1
	v_cvt_u32_f32_e32 v1, v1
	s_getpc_b64 s[6:7]
	s_add_u32 s6, s6, llvm.amdgcn.dynlds.offset.table@rel32@lo+4
	s_addc_u32 s7, s7, llvm.amdgcn.dynlds.offset.table@rel32@hi+12
	s_add_u32 s12, s4, s6
	s_addc_u32 s13, s5, s7
	v_lshlrev_b32_e32 v58, 5, v60
	s_mov_b64 s[20:21], 0
	s_mov_b32 s17, 0x7f800000
	s_movk_i32 s24, 0x7fff
	v_mov_b32_e32 v9, 0xff7fffff
	s_waitcnt vmcnt(3)
	v_cmp_neq_f32_e64 s[2:3], 0, v0
	v_sub_u32_e32 v0, 0, v7
	v_mul_lo_u32 v0, v0, v1
	v_mul_hi_u32 v0, v1, v0
	v_add_u32_e32 v0, v1, v0
	v_accvgpr_write_b32 a36, v0
	v_accvgpr_read_b32 v0, a3
	v_sub_u32_e32 v0, v8, v0
	v_add_u32_e32 v0, 1, v0
	scratch_store_dword off, v0, s32 offset:260 ; 4-byte Folded Spill
	scratch_store_dword off, v8, s32 offset:264 ; 4-byte Folded Spill
	v_lshlrev_b32_e32 v0, 2, v8
	v_lshl_or_b32 v62, v60, 7, v0
	v_and_b32_e32 v0, 60, v31
	v_mov_b32_e32 v1, v25
	v_lshl_add_u64 v[0:1], v[32:33], 2, v[0:1]
	v_lshl_add_u64 v[44:45], v[10:11], 0, v[0:1]
	v_mbcnt_hi_u32_b32 v0, -1, v6
	scratch_store_dword off, v31, s32 offset:296 ; 4-byte Folded Spill
	scratch_store_dwordx2 off, v[32:33], s32 offset:300 ; 8-byte Folded Spill
	scratch_store_dwordx2 off, v[10:11], s32 offset:328 ; 8-byte Folded Spill
	scratch_store_dword off, v0, s32 offset:240 ; 4-byte Folded Spill
	s_branch .LBB332_12
.LBB332_10:                             ;   in Loop: Header=BB332_12 Depth=1
	s_or_b64 exec, exec, s[22:23]
.LBB332_11:                             ;   in Loop: Header=BB332_12 Depth=1
	s_or_b64 exec, exec, s[6:7]
	scratch_load_dword v0, off, s32 offset:192 ; 4-byte Folded Reload
	v_add_u32_e32 v60, 2, v60
	v_add_u32_e32 v58, 64, v58
	;; [unrolled: 1-line block ×3, first 2 shown]
	v_lshl_add_u64 v[44:45], v[44:45], 0, 8
	s_waitcnt vmcnt(0)
	v_cmp_ge_i32_e64 s[4:5], v60, v0
	s_or_b64 s[20:21], s[4:5], s[20:21]
	s_andn2_b64 exec, exec, s[20:21]
	s_cbranch_execz .LBB332_257
.LBB332_12:                             ; =>This Inner Loop Header: Depth=1
	scratch_load_dword v0, off, s32 offset:204 ; 4-byte Folded Reload
	scratch_load_dword v3, off, s32 offset:196 ; 4-byte Folded Reload
	v_accvgpr_read_b32 v4, a36
	s_waitcnt vmcnt(1)
	v_mul_hi_u32 v0, v58, v0
	s_waitcnt vmcnt(0) lgkmcnt(0)
	v_mul_lo_u32 v1, v0, v3
	v_sub_u32_e32 v1, v58, v1
	v_add_u32_e32 v2, 1, v0
	v_cmp_ge_u32_e64 s[4:5], v1, v3
	s_nop 1
	v_cndmask_b32_e64 v0, v0, v2, s[4:5]
	v_sub_u32_e32 v2, v1, v3
	v_cndmask_b32_e64 v1, v1, v2, s[4:5]
	v_cmp_ge_u32_e64 s[4:5], v1, v3
	scratch_load_dword v1, off, s32 offset:200 ; 4-byte Folded Reload
	v_add_u32_e32 v2, 1, v0
	v_cndmask_b32_e64 v0, v0, v2, s[4:5]
	v_accvgpr_read_b32 v2, a10
	s_waitcnt vmcnt(0)
	v_xor_b32_e32 v0, v0, v1
	v_sub_u32_e32 v0, v0, v1
	v_add_u32_e32 v1, v0, v2
	v_sub_u32_e32 v3, 0, v1
	v_ashrrev_i32_e32 v2, 31, v1
	v_max_i32_e32 v1, v1, v3
	v_mul_hi_u32 v3, v1, v4
	scratch_load_dword v4, off, s32 offset:228 ; 4-byte Folded Reload
	s_waitcnt vmcnt(0)
	v_mul_lo_u32 v3, v3, v4
	v_sub_u32_e32 v1, v1, v3
	v_sub_u32_e32 v3, v1, v4
	v_cmp_ge_u32_e64 s[4:5], v1, v4
	s_nop 1
	v_cndmask_b32_e64 v1, v1, v3, s[4:5]
	v_sub_u32_e32 v3, v1, v4
	v_cmp_ge_u32_e64 s[4:5], v1, v4
	s_nop 1
	v_cndmask_b32_e64 v1, v1, v3, s[4:5]
	v_xor_b32_e32 v1, v1, v2
	v_sub_u32_e32 v1, v1, v2
	v_cmp_ne_u32_e64 s[4:5], 0, v1
	scratch_load_dword v1, off, s32 offset:208 ; 4-byte Folded Reload
	s_waitcnt vmcnt(0)
	v_cmp_le_i32_e64 s[6:7], v0, v1
	s_and_b64 s[4:5], s[4:5], s[6:7]
	s_and_b64 s[22:23], vcc, s[4:5]
	s_and_saveexec_b64 s[6:7], s[22:23]
	s_cbranch_execz .LBB332_14
; %bb.13:                               ;   in Loop: Header=BB332_12 Depth=1
	s_load_dword s22, s[12:13], 0x0
	v_mov_b32_e32 v1, 0xff7fffff
	s_waitcnt lgkmcnt(0)
	v_add_u32_e32 v0, s22, v62
	ds_write_b32 v0, v1
.LBB332_14:                             ;   in Loop: Header=BB332_12 Depth=1
	s_or_b64 exec, exec, s[6:7]
	s_xor_b64 s[4:5], s[4:5], -1
	s_and_saveexec_b64 s[6:7], s[4:5]
	s_cbranch_execz .LBB332_11
; %bb.15:                               ;   in Loop: Header=BB332_12 Depth=1
	flat_load_dword v0, v[44:45]
	scratch_load_dwordx2 v[2:3], off, s32 offset:220 ; 8-byte Folded Reload
	scratch_load_dwordx2 v[4:5], off, s32 offset:244 ; 8-byte Folded Reload
                                        ; implicit-def: $agpr41
	s_waitcnt vmcnt(0) lgkmcnt(0)
	v_mad_i64_i32 v[0:1], s[4:5], v0, v2, v[4:5]
	v_lshl_add_u64 v[46:47], v[0:1], 0, v[24:25]
	flat_load_dword v0, v[46:47]
	scratch_load_dwordx2 v[2:3], off, s32 offset:232 ; 8-byte Folded Reload
	s_waitcnt vmcnt(0) lgkmcnt(0)
	v_and_b32_e32 v1, 0xff, v0
	flat_load_dword v7, v[2:3]
	ds_read2_b64 v[48:51], v15 offset1:1
	ds_read2_b64 v[36:39], v15 offset0:2 offset1:3
	ds_read2_b64 v[32:35], v15 offset0:4 offset1:5
	;; [unrolled: 1-line block ×5, first 2 shown]
	v_cvt_f32_fp8_sdwa v1, v1 src0_sel:BYTE_0
	ds_read_b32 a39, v15 offset:96
	ds_read_u16 a40, v15 offset:100
	s_waitcnt vmcnt(0) lgkmcnt(0)
	v_mul_f32_e32 v1, v7, v1
	v_and_b32_e32 v6, 0x7f800000, v1
	v_cmp_ne_u32_e64 s[4:5], s17, v6
	s_and_saveexec_b64 s[22:23], s[4:5]
	s_xor_b64 s[4:5], exec, s[22:23]
; %bb.16:                               ;   in Loop: Header=BB332_12 Depth=1
	v_bfe_u32 v6, v1, 16, 1
	v_add3_u32 v1, v1, v6, s24
	v_accvgpr_write_b32 a41, v1
                                        ; implicit-def: $vgpr1
; %bb.17:                               ;   in Loop: Header=BB332_12 Depth=1
	s_andn2_saveexec_b64 s[22:23], s[4:5]
; %bb.18:                               ;   in Loop: Header=BB332_12 Depth=1
	v_or_b32_e32 v6, 0x10000, v1
	v_cmp_eq_u32_sdwa s[4:5], v1, v25 src0_sel:WORD_0 src1_sel:DWORD
	s_nop 1
	v_cndmask_b32_e64 v1, v6, v1, s[4:5]
	v_accvgpr_write_b32 a41, v1
; %bb.19:                               ;   in Loop: Header=BB332_12 Depth=1
	s_or_b64 exec, exec, s[22:23]
	v_bfe_u32 v1, v0, 8, 8
	v_cvt_f32_fp8_sdwa v1, v1 src0_sel:BYTE_0
                                        ; implicit-def: $agpr46
	s_nop 0
	v_mul_f32_e32 v1, v7, v1
	v_and_b32_e32 v6, 0x7f800000, v1
	v_cmp_ne_u32_e64 s[4:5], s17, v6
	s_and_saveexec_b64 s[22:23], s[4:5]
	s_xor_b64 s[4:5], exec, s[22:23]
; %bb.20:                               ;   in Loop: Header=BB332_12 Depth=1
	v_bfe_u32 v6, v1, 16, 1
	v_add3_u32 v1, v1, v6, s24
	v_accvgpr_write_b32 a46, v1
                                        ; implicit-def: $vgpr1
; %bb.21:                               ;   in Loop: Header=BB332_12 Depth=1
	s_andn2_saveexec_b64 s[22:23], s[4:5]
; %bb.22:                               ;   in Loop: Header=BB332_12 Depth=1
	v_or_b32_e32 v6, 0x10000, v1
	v_cmp_eq_u32_sdwa s[4:5], v1, v25 src0_sel:WORD_0 src1_sel:DWORD
	s_nop 1
	v_cndmask_b32_e64 v1, v6, v1, s[4:5]
	v_accvgpr_write_b32 a46, v1
; %bb.23:                               ;   in Loop: Header=BB332_12 Depth=1
	s_or_b64 exec, exec, s[22:23]
	v_bfe_u32 v1, v0, 16, 8
	v_cvt_f32_fp8_sdwa v1, v1 src0_sel:BYTE_0
                                        ; implicit-def: $agpr47
	s_nop 0
	v_mul_f32_e32 v1, v7, v1
	v_and_b32_e32 v6, 0x7f800000, v1
	v_cmp_ne_u32_e64 s[4:5], s17, v6
	s_and_saveexec_b64 s[22:23], s[4:5]
	s_xor_b64 s[4:5], exec, s[22:23]
; %bb.24:                               ;   in Loop: Header=BB332_12 Depth=1
	v_bfe_u32 v6, v1, 16, 1
	v_add3_u32 v1, v1, v6, s24
	v_accvgpr_write_b32 a47, v1
                                        ; implicit-def: $vgpr1
; %bb.25:                               ;   in Loop: Header=BB332_12 Depth=1
	s_andn2_saveexec_b64 s[22:23], s[4:5]
; %bb.26:                               ;   in Loop: Header=BB332_12 Depth=1
	v_or_b32_e32 v6, 0x10000, v1
	v_cmp_eq_u32_sdwa s[4:5], v1, v25 src0_sel:WORD_0 src1_sel:DWORD
	s_nop 1
	v_cndmask_b32_e64 v1, v6, v1, s[4:5]
	v_accvgpr_write_b32 a47, v1
; %bb.27:                               ;   in Loop: Header=BB332_12 Depth=1
	s_or_b64 exec, exec, s[22:23]
	v_lshrrev_b32_e32 v0, 24, v0
	v_cvt_f32_fp8_sdwa v0, v0 src0_sel:BYTE_0
                                        ; implicit-def: $agpr48
	s_nop 0
	v_mul_f32_e32 v0, v7, v0
	v_and_b32_e32 v1, 0x7f800000, v0
	v_cmp_ne_u32_e64 s[4:5], s17, v1
	s_and_saveexec_b64 s[22:23], s[4:5]
	s_xor_b64 s[4:5], exec, s[22:23]
; %bb.28:                               ;   in Loop: Header=BB332_12 Depth=1
	v_bfe_u32 v1, v0, 16, 1
	v_add3_u32 v0, v0, v1, s24
	v_accvgpr_write_b32 a48, v0
                                        ; implicit-def: $vgpr0
; %bb.29:                               ;   in Loop: Header=BB332_12 Depth=1
	s_andn2_saveexec_b64 s[22:23], s[4:5]
; %bb.30:                               ;   in Loop: Header=BB332_12 Depth=1
	v_or_b32_e32 v1, 0x10000, v0
	v_cmp_eq_u32_sdwa s[4:5], v0, v25 src0_sel:WORD_0 src1_sel:DWORD
	s_nop 1
	v_cndmask_b32_e64 v0, v1, v0, s[4:5]
	v_accvgpr_write_b32 a48, v0
; %bb.31:                               ;   in Loop: Header=BB332_12 Depth=1
	s_or_b64 exec, exec, s[22:23]
	flat_load_dword v0, v[46:47] offset:8
                                        ; implicit-def: $agpr49
	s_waitcnt vmcnt(0) lgkmcnt(0)
	v_and_b32_e32 v1, 0xff, v0
	v_cvt_f32_fp8_sdwa v1, v1 src0_sel:BYTE_0
	s_nop 0
	v_mul_f32_e32 v1, v7, v1
	v_and_b32_e32 v6, 0x7f800000, v1
	v_cmp_ne_u32_e64 s[4:5], s17, v6
	s_and_saveexec_b64 s[22:23], s[4:5]
	s_xor_b64 s[4:5], exec, s[22:23]
; %bb.32:                               ;   in Loop: Header=BB332_12 Depth=1
	v_bfe_u32 v6, v1, 16, 1
	v_add3_u32 v1, v1, v6, s24
	v_accvgpr_write_b32 a49, v1
                                        ; implicit-def: $vgpr1
; %bb.33:                               ;   in Loop: Header=BB332_12 Depth=1
	s_andn2_saveexec_b64 s[22:23], s[4:5]
; %bb.34:                               ;   in Loop: Header=BB332_12 Depth=1
	v_or_b32_e32 v6, 0x10000, v1
	v_cmp_eq_u32_sdwa s[4:5], v1, v25 src0_sel:WORD_0 src1_sel:DWORD
	s_nop 1
	v_cndmask_b32_e64 v1, v6, v1, s[4:5]
	v_accvgpr_write_b32 a49, v1
; %bb.35:                               ;   in Loop: Header=BB332_12 Depth=1
	s_or_b64 exec, exec, s[22:23]
	v_bfe_u32 v1, v0, 8, 8
	v_cvt_f32_fp8_sdwa v1, v1 src0_sel:BYTE_0
                                        ; implicit-def: $agpr50
	s_nop 0
	v_mul_f32_e32 v1, v7, v1
	v_and_b32_e32 v6, 0x7f800000, v1
	v_cmp_ne_u32_e64 s[4:5], s17, v6
	s_and_saveexec_b64 s[22:23], s[4:5]
	s_xor_b64 s[4:5], exec, s[22:23]
; %bb.36:                               ;   in Loop: Header=BB332_12 Depth=1
	v_bfe_u32 v6, v1, 16, 1
	v_add3_u32 v1, v1, v6, s24
	v_accvgpr_write_b32 a50, v1
                                        ; implicit-def: $vgpr1
; %bb.37:                               ;   in Loop: Header=BB332_12 Depth=1
	s_andn2_saveexec_b64 s[22:23], s[4:5]
; %bb.38:                               ;   in Loop: Header=BB332_12 Depth=1
	v_or_b32_e32 v6, 0x10000, v1
	v_cmp_eq_u32_sdwa s[4:5], v1, v25 src0_sel:WORD_0 src1_sel:DWORD
	s_nop 1
	v_cndmask_b32_e64 v1, v6, v1, s[4:5]
	v_accvgpr_write_b32 a50, v1
; %bb.39:                               ;   in Loop: Header=BB332_12 Depth=1
	s_or_b64 exec, exec, s[22:23]
	v_bfe_u32 v1, v0, 16, 8
	v_cvt_f32_fp8_sdwa v1, v1 src0_sel:BYTE_0
                                        ; implicit-def: $agpr51
	s_nop 0
	v_mul_f32_e32 v1, v7, v1
	v_and_b32_e32 v6, 0x7f800000, v1
	v_cmp_ne_u32_e64 s[4:5], s17, v6
	s_and_saveexec_b64 s[22:23], s[4:5]
	s_xor_b64 s[4:5], exec, s[22:23]
; %bb.40:                               ;   in Loop: Header=BB332_12 Depth=1
	v_bfe_u32 v6, v1, 16, 1
	v_add3_u32 v1, v1, v6, s24
	v_accvgpr_write_b32 a51, v1
                                        ; implicit-def: $vgpr1
; %bb.41:                               ;   in Loop: Header=BB332_12 Depth=1
	s_andn2_saveexec_b64 s[22:23], s[4:5]
; %bb.42:                               ;   in Loop: Header=BB332_12 Depth=1
	v_or_b32_e32 v6, 0x10000, v1
	v_cmp_eq_u32_sdwa s[4:5], v1, v25 src0_sel:WORD_0 src1_sel:DWORD
	s_nop 1
	v_cndmask_b32_e64 v1, v6, v1, s[4:5]
	v_accvgpr_write_b32 a51, v1
; %bb.43:                               ;   in Loop: Header=BB332_12 Depth=1
	s_or_b64 exec, exec, s[22:23]
	v_lshrrev_b32_e32 v0, 24, v0
	v_cvt_f32_fp8_sdwa v0, v0 src0_sel:BYTE_0
                                        ; implicit-def: $agpr52
	s_nop 0
	v_mul_f32_e32 v0, v7, v0
	v_and_b32_e32 v1, 0x7f800000, v0
	v_cmp_ne_u32_e64 s[4:5], s17, v1
	s_and_saveexec_b64 s[22:23], s[4:5]
	s_xor_b64 s[4:5], exec, s[22:23]
; %bb.44:                               ;   in Loop: Header=BB332_12 Depth=1
	v_bfe_u32 v1, v0, 16, 1
	v_add3_u32 v0, v0, v1, s24
	v_accvgpr_write_b32 a52, v0
                                        ; implicit-def: $vgpr0
; %bb.45:                               ;   in Loop: Header=BB332_12 Depth=1
	s_andn2_saveexec_b64 s[22:23], s[4:5]
; %bb.46:                               ;   in Loop: Header=BB332_12 Depth=1
	v_or_b32_e32 v1, 0x10000, v0
	v_cmp_eq_u32_sdwa s[4:5], v0, v25 src0_sel:WORD_0 src1_sel:DWORD
	s_nop 1
	v_cndmask_b32_e64 v0, v1, v0, s[4:5]
	v_accvgpr_write_b32 a52, v0
; %bb.47:                               ;   in Loop: Header=BB332_12 Depth=1
	s_or_b64 exec, exec, s[22:23]
	flat_load_dword v0, v[46:47] offset:512
                                        ; implicit-def: $agpr53
	s_waitcnt vmcnt(0) lgkmcnt(0)
	v_and_b32_e32 v1, 0xff, v0
	v_cvt_f32_fp8_sdwa v1, v1 src0_sel:BYTE_0
	s_nop 0
	v_mul_f32_e32 v1, v7, v1
	v_and_b32_e32 v6, 0x7f800000, v1
	v_cmp_ne_u32_e64 s[4:5], s17, v6
	s_and_saveexec_b64 s[22:23], s[4:5]
	s_xor_b64 s[4:5], exec, s[22:23]
; %bb.48:                               ;   in Loop: Header=BB332_12 Depth=1
	v_bfe_u32 v6, v1, 16, 1
	v_add3_u32 v1, v1, v6, s24
	v_accvgpr_write_b32 a53, v1
                                        ; implicit-def: $vgpr1
; %bb.49:                               ;   in Loop: Header=BB332_12 Depth=1
	s_andn2_saveexec_b64 s[22:23], s[4:5]
; %bb.50:                               ;   in Loop: Header=BB332_12 Depth=1
	v_or_b32_e32 v6, 0x10000, v1
	v_cmp_eq_u32_sdwa s[4:5], v1, v25 src0_sel:WORD_0 src1_sel:DWORD
	s_nop 1
	v_cndmask_b32_e64 v1, v6, v1, s[4:5]
	v_accvgpr_write_b32 a53, v1
; %bb.51:                               ;   in Loop: Header=BB332_12 Depth=1
	s_or_b64 exec, exec, s[22:23]
	v_bfe_u32 v1, v0, 8, 8
	v_cvt_f32_fp8_sdwa v1, v1 src0_sel:BYTE_0
                                        ; implicit-def: $agpr54
	s_nop 0
	v_mul_f32_e32 v1, v7, v1
	v_and_b32_e32 v6, 0x7f800000, v1
	v_cmp_ne_u32_e64 s[4:5], s17, v6
	s_and_saveexec_b64 s[22:23], s[4:5]
	s_xor_b64 s[4:5], exec, s[22:23]
; %bb.52:                               ;   in Loop: Header=BB332_12 Depth=1
	v_bfe_u32 v6, v1, 16, 1
	v_add3_u32 v1, v1, v6, s24
	v_accvgpr_write_b32 a54, v1
                                        ; implicit-def: $vgpr1
; %bb.53:                               ;   in Loop: Header=BB332_12 Depth=1
	s_andn2_saveexec_b64 s[22:23], s[4:5]
; %bb.54:                               ;   in Loop: Header=BB332_12 Depth=1
	v_or_b32_e32 v6, 0x10000, v1
	v_cmp_eq_u32_sdwa s[4:5], v1, v25 src0_sel:WORD_0 src1_sel:DWORD
	s_nop 1
	v_cndmask_b32_e64 v1, v6, v1, s[4:5]
	v_accvgpr_write_b32 a54, v1
; %bb.55:                               ;   in Loop: Header=BB332_12 Depth=1
	s_or_b64 exec, exec, s[22:23]
	v_bfe_u32 v1, v0, 16, 8
	v_cvt_f32_fp8_sdwa v1, v1 src0_sel:BYTE_0
                                        ; implicit-def: $agpr55
	s_nop 0
	v_mul_f32_e32 v1, v7, v1
	v_and_b32_e32 v6, 0x7f800000, v1
	v_cmp_ne_u32_e64 s[4:5], s17, v6
	s_and_saveexec_b64 s[22:23], s[4:5]
	s_xor_b64 s[4:5], exec, s[22:23]
; %bb.56:                               ;   in Loop: Header=BB332_12 Depth=1
	v_bfe_u32 v6, v1, 16, 1
	v_add3_u32 v1, v1, v6, s24
	v_accvgpr_write_b32 a55, v1
                                        ; implicit-def: $vgpr1
; %bb.57:                               ;   in Loop: Header=BB332_12 Depth=1
	s_andn2_saveexec_b64 s[22:23], s[4:5]
; %bb.58:                               ;   in Loop: Header=BB332_12 Depth=1
	v_or_b32_e32 v6, 0x10000, v1
	v_cmp_eq_u32_sdwa s[4:5], v1, v25 src0_sel:WORD_0 src1_sel:DWORD
	s_nop 1
	v_cndmask_b32_e64 v1, v6, v1, s[4:5]
	v_accvgpr_write_b32 a55, v1
; %bb.59:                               ;   in Loop: Header=BB332_12 Depth=1
	s_or_b64 exec, exec, s[22:23]
	v_lshrrev_b32_e32 v0, 24, v0
	v_cvt_f32_fp8_sdwa v0, v0 src0_sel:BYTE_0
                                        ; implicit-def: $agpr56
	s_nop 0
	v_mul_f32_e32 v0, v7, v0
	v_and_b32_e32 v1, 0x7f800000, v0
	v_cmp_ne_u32_e64 s[4:5], s17, v1
	s_and_saveexec_b64 s[22:23], s[4:5]
	s_xor_b64 s[4:5], exec, s[22:23]
; %bb.60:                               ;   in Loop: Header=BB332_12 Depth=1
	v_bfe_u32 v1, v0, 16, 1
	v_add3_u32 v0, v0, v1, s24
	v_accvgpr_write_b32 a56, v0
                                        ; implicit-def: $vgpr0
; %bb.61:                               ;   in Loop: Header=BB332_12 Depth=1
	s_andn2_saveexec_b64 s[22:23], s[4:5]
; %bb.62:                               ;   in Loop: Header=BB332_12 Depth=1
	v_or_b32_e32 v1, 0x10000, v0
	v_cmp_eq_u32_sdwa s[4:5], v0, v25 src0_sel:WORD_0 src1_sel:DWORD
	s_nop 1
	v_cndmask_b32_e64 v0, v1, v0, s[4:5]
	v_accvgpr_write_b32 a56, v0
; %bb.63:                               ;   in Loop: Header=BB332_12 Depth=1
	s_or_b64 exec, exec, s[22:23]
	flat_load_dword v0, v[46:47] offset:520
                                        ; implicit-def: $agpr57
	s_waitcnt vmcnt(0) lgkmcnt(0)
	v_and_b32_e32 v1, 0xff, v0
	v_cvt_f32_fp8_sdwa v1, v1 src0_sel:BYTE_0
	s_nop 0
	v_mul_f32_e32 v1, v7, v1
	v_and_b32_e32 v6, 0x7f800000, v1
	v_cmp_ne_u32_e64 s[4:5], s17, v6
	s_and_saveexec_b64 s[22:23], s[4:5]
	s_xor_b64 s[4:5], exec, s[22:23]
; %bb.64:                               ;   in Loop: Header=BB332_12 Depth=1
	v_bfe_u32 v6, v1, 16, 1
	v_add3_u32 v1, v1, v6, s24
	v_accvgpr_write_b32 a57, v1
                                        ; implicit-def: $vgpr1
; %bb.65:                               ;   in Loop: Header=BB332_12 Depth=1
	s_andn2_saveexec_b64 s[22:23], s[4:5]
; %bb.66:                               ;   in Loop: Header=BB332_12 Depth=1
	v_or_b32_e32 v6, 0x10000, v1
	v_cmp_eq_u32_sdwa s[4:5], v1, v25 src0_sel:WORD_0 src1_sel:DWORD
	s_nop 1
	v_cndmask_b32_e64 v1, v6, v1, s[4:5]
	v_accvgpr_write_b32 a57, v1
; %bb.67:                               ;   in Loop: Header=BB332_12 Depth=1
	s_or_b64 exec, exec, s[22:23]
	v_bfe_u32 v1, v0, 8, 8
	v_cvt_f32_fp8_sdwa v1, v1 src0_sel:BYTE_0
                                        ; implicit-def: $agpr58
	s_nop 0
	v_mul_f32_e32 v1, v7, v1
	v_and_b32_e32 v6, 0x7f800000, v1
	v_cmp_ne_u32_e64 s[4:5], s17, v6
	s_and_saveexec_b64 s[22:23], s[4:5]
	s_xor_b64 s[4:5], exec, s[22:23]
; %bb.68:                               ;   in Loop: Header=BB332_12 Depth=1
	v_bfe_u32 v6, v1, 16, 1
	v_add3_u32 v1, v1, v6, s24
	v_accvgpr_write_b32 a58, v1
                                        ; implicit-def: $vgpr1
; %bb.69:                               ;   in Loop: Header=BB332_12 Depth=1
	s_andn2_saveexec_b64 s[22:23], s[4:5]
; %bb.70:                               ;   in Loop: Header=BB332_12 Depth=1
	v_or_b32_e32 v6, 0x10000, v1
	v_cmp_eq_u32_sdwa s[4:5], v1, v25 src0_sel:WORD_0 src1_sel:DWORD
	s_nop 1
	v_cndmask_b32_e64 v1, v6, v1, s[4:5]
	v_accvgpr_write_b32 a58, v1
; %bb.71:                               ;   in Loop: Header=BB332_12 Depth=1
	s_or_b64 exec, exec, s[22:23]
	v_bfe_u32 v1, v0, 16, 8
	v_cvt_f32_fp8_sdwa v1, v1 src0_sel:BYTE_0
                                        ; implicit-def: $agpr59
	s_nop 0
	v_mul_f32_e32 v1, v7, v1
	v_and_b32_e32 v6, 0x7f800000, v1
	v_cmp_ne_u32_e64 s[4:5], s17, v6
	s_and_saveexec_b64 s[22:23], s[4:5]
	s_xor_b64 s[4:5], exec, s[22:23]
; %bb.72:                               ;   in Loop: Header=BB332_12 Depth=1
	v_bfe_u32 v6, v1, 16, 1
	v_add3_u32 v1, v1, v6, s24
	v_accvgpr_write_b32 a59, v1
                                        ; implicit-def: $vgpr1
; %bb.73:                               ;   in Loop: Header=BB332_12 Depth=1
	s_andn2_saveexec_b64 s[22:23], s[4:5]
; %bb.74:                               ;   in Loop: Header=BB332_12 Depth=1
	v_or_b32_e32 v6, 0x10000, v1
	v_cmp_eq_u32_sdwa s[4:5], v1, v25 src0_sel:WORD_0 src1_sel:DWORD
	s_nop 1
	v_cndmask_b32_e64 v1, v6, v1, s[4:5]
	v_accvgpr_write_b32 a59, v1
; %bb.75:                               ;   in Loop: Header=BB332_12 Depth=1
	s_or_b64 exec, exec, s[22:23]
	v_lshrrev_b32_e32 v0, 24, v0
	v_cvt_f32_fp8_sdwa v0, v0 src0_sel:BYTE_0
                                        ; implicit-def: $agpr60
	s_nop 0
	v_mul_f32_e32 v0, v7, v0
	v_and_b32_e32 v1, 0x7f800000, v0
	v_cmp_ne_u32_e64 s[4:5], s17, v1
	s_and_saveexec_b64 s[22:23], s[4:5]
	s_xor_b64 s[4:5], exec, s[22:23]
; %bb.76:                               ;   in Loop: Header=BB332_12 Depth=1
	v_bfe_u32 v1, v0, 16, 1
	v_add3_u32 v0, v0, v1, s24
	v_accvgpr_write_b32 a60, v0
                                        ; implicit-def: $vgpr0
; %bb.77:                               ;   in Loop: Header=BB332_12 Depth=1
	s_andn2_saveexec_b64 s[22:23], s[4:5]
; %bb.78:                               ;   in Loop: Header=BB332_12 Depth=1
	v_or_b32_e32 v1, 0x10000, v0
	v_cmp_eq_u32_sdwa s[4:5], v0, v25 src0_sel:WORD_0 src1_sel:DWORD
	s_nop 1
	v_cndmask_b32_e64 v0, v1, v0, s[4:5]
	v_accvgpr_write_b32 a60, v0
; %bb.79:                               ;   in Loop: Header=BB332_12 Depth=1
	s_or_b64 exec, exec, s[22:23]
	flat_load_dword v0, v[46:47] offset:1024
                                        ; implicit-def: $agpr61
	s_waitcnt vmcnt(0) lgkmcnt(0)
	v_and_b32_e32 v1, 0xff, v0
	v_cvt_f32_fp8_sdwa v1, v1 src0_sel:BYTE_0
	s_nop 0
	v_mul_f32_e32 v1, v7, v1
	v_and_b32_e32 v6, 0x7f800000, v1
	v_cmp_ne_u32_e64 s[4:5], s17, v6
	s_and_saveexec_b64 s[22:23], s[4:5]
	s_xor_b64 s[4:5], exec, s[22:23]
; %bb.80:                               ;   in Loop: Header=BB332_12 Depth=1
	v_bfe_u32 v6, v1, 16, 1
	v_add3_u32 v1, v1, v6, s24
	v_accvgpr_write_b32 a61, v1
                                        ; implicit-def: $vgpr1
; %bb.81:                               ;   in Loop: Header=BB332_12 Depth=1
	s_andn2_saveexec_b64 s[22:23], s[4:5]
; %bb.82:                               ;   in Loop: Header=BB332_12 Depth=1
	v_or_b32_e32 v6, 0x10000, v1
	v_cmp_eq_u32_sdwa s[4:5], v1, v25 src0_sel:WORD_0 src1_sel:DWORD
	s_nop 1
	v_cndmask_b32_e64 v1, v6, v1, s[4:5]
	v_accvgpr_write_b32 a61, v1
; %bb.83:                               ;   in Loop: Header=BB332_12 Depth=1
	s_or_b64 exec, exec, s[22:23]
	v_bfe_u32 v1, v0, 8, 8
	v_cvt_f32_fp8_sdwa v1, v1 src0_sel:BYTE_0
                                        ; implicit-def: $agpr62
	s_nop 0
	v_mul_f32_e32 v1, v7, v1
	v_and_b32_e32 v6, 0x7f800000, v1
	v_cmp_ne_u32_e64 s[4:5], s17, v6
	s_and_saveexec_b64 s[22:23], s[4:5]
	s_xor_b64 s[4:5], exec, s[22:23]
; %bb.84:                               ;   in Loop: Header=BB332_12 Depth=1
	v_bfe_u32 v6, v1, 16, 1
	v_add3_u32 v1, v1, v6, s24
	v_accvgpr_write_b32 a62, v1
                                        ; implicit-def: $vgpr1
; %bb.85:                               ;   in Loop: Header=BB332_12 Depth=1
	s_andn2_saveexec_b64 s[22:23], s[4:5]
; %bb.86:                               ;   in Loop: Header=BB332_12 Depth=1
	v_or_b32_e32 v6, 0x10000, v1
	v_cmp_eq_u32_sdwa s[4:5], v1, v25 src0_sel:WORD_0 src1_sel:DWORD
	s_nop 1
	v_cndmask_b32_e64 v1, v6, v1, s[4:5]
	v_accvgpr_write_b32 a62, v1
; %bb.87:                               ;   in Loop: Header=BB332_12 Depth=1
	s_or_b64 exec, exec, s[22:23]
	v_bfe_u32 v1, v0, 16, 8
	v_cvt_f32_fp8_sdwa v1, v1 src0_sel:BYTE_0
                                        ; implicit-def: $agpr63
	s_nop 0
	v_mul_f32_e32 v1, v7, v1
	v_and_b32_e32 v6, 0x7f800000, v1
	v_cmp_ne_u32_e64 s[4:5], s17, v6
	s_and_saveexec_b64 s[22:23], s[4:5]
	s_xor_b64 s[4:5], exec, s[22:23]
; %bb.88:                               ;   in Loop: Header=BB332_12 Depth=1
	v_bfe_u32 v6, v1, 16, 1
	v_add3_u32 v1, v1, v6, s24
	v_accvgpr_write_b32 a63, v1
                                        ; implicit-def: $vgpr1
; %bb.89:                               ;   in Loop: Header=BB332_12 Depth=1
	s_andn2_saveexec_b64 s[22:23], s[4:5]
; %bb.90:                               ;   in Loop: Header=BB332_12 Depth=1
	v_or_b32_e32 v6, 0x10000, v1
	v_cmp_eq_u32_sdwa s[4:5], v1, v25 src0_sel:WORD_0 src1_sel:DWORD
	s_nop 1
	v_cndmask_b32_e64 v1, v6, v1, s[4:5]
	v_accvgpr_write_b32 a63, v1
; %bb.91:                               ;   in Loop: Header=BB332_12 Depth=1
	s_or_b64 exec, exec, s[22:23]
	v_lshrrev_b32_e32 v0, 24, v0
	v_cvt_f32_fp8_sdwa v0, v0 src0_sel:BYTE_0
                                        ; implicit-def: $agpr0
	s_nop 0
	v_mul_f32_e32 v0, v7, v0
	v_and_b32_e32 v1, 0x7f800000, v0
	v_cmp_ne_u32_e64 s[4:5], s17, v1
	s_and_saveexec_b64 s[22:23], s[4:5]
	s_xor_b64 s[4:5], exec, s[22:23]
; %bb.92:                               ;   in Loop: Header=BB332_12 Depth=1
	v_bfe_u32 v1, v0, 16, 1
	v_add3_u32 v0, v0, v1, s24
	v_accvgpr_write_b32 a0, v0
                                        ; implicit-def: $vgpr0
; %bb.93:                               ;   in Loop: Header=BB332_12 Depth=1
	s_andn2_saveexec_b64 s[22:23], s[4:5]
; %bb.94:                               ;   in Loop: Header=BB332_12 Depth=1
	v_or_b32_e32 v1, 0x10000, v0
	v_cmp_eq_u32_sdwa s[4:5], v0, v25 src0_sel:WORD_0 src1_sel:DWORD
	s_nop 1
	v_cndmask_b32_e64 v0, v1, v0, s[4:5]
	v_accvgpr_write_b32 a0, v0
; %bb.95:                               ;   in Loop: Header=BB332_12 Depth=1
	s_or_b64 exec, exec, s[22:23]
	flat_load_dword v0, v[46:47] offset:1032
                                        ; implicit-def: $agpr1
	s_waitcnt vmcnt(0) lgkmcnt(0)
	v_and_b32_e32 v1, 0xff, v0
	v_cvt_f32_fp8_sdwa v1, v1 src0_sel:BYTE_0
	s_nop 0
	v_mul_f32_e32 v1, v7, v1
	v_and_b32_e32 v6, 0x7f800000, v1
	v_cmp_ne_u32_e64 s[4:5], s17, v6
	s_and_saveexec_b64 s[22:23], s[4:5]
	s_xor_b64 s[4:5], exec, s[22:23]
; %bb.96:                               ;   in Loop: Header=BB332_12 Depth=1
	v_bfe_u32 v6, v1, 16, 1
	v_add3_u32 v1, v1, v6, s24
	v_accvgpr_write_b32 a1, v1
                                        ; implicit-def: $vgpr1
; %bb.97:                               ;   in Loop: Header=BB332_12 Depth=1
	s_andn2_saveexec_b64 s[22:23], s[4:5]
; %bb.98:                               ;   in Loop: Header=BB332_12 Depth=1
	v_or_b32_e32 v6, 0x10000, v1
	v_cmp_eq_u32_sdwa s[4:5], v1, v25 src0_sel:WORD_0 src1_sel:DWORD
	s_nop 1
	v_cndmask_b32_e64 v1, v6, v1, s[4:5]
	v_accvgpr_write_b32 a1, v1
; %bb.99:                               ;   in Loop: Header=BB332_12 Depth=1
	s_or_b64 exec, exec, s[22:23]
	v_bfe_u32 v1, v0, 8, 8
	v_cvt_f32_fp8_sdwa v1, v1 src0_sel:BYTE_0
                                        ; implicit-def: $agpr24
	s_nop 0
	v_mul_f32_e32 v1, v7, v1
	v_and_b32_e32 v6, 0x7f800000, v1
	v_cmp_ne_u32_e64 s[4:5], s17, v6
	s_and_saveexec_b64 s[22:23], s[4:5]
	s_xor_b64 s[4:5], exec, s[22:23]
; %bb.100:                              ;   in Loop: Header=BB332_12 Depth=1
	v_bfe_u32 v6, v1, 16, 1
	v_add3_u32 v1, v1, v6, s24
	v_accvgpr_write_b32 a24, v1
                                        ; implicit-def: $vgpr1
; %bb.101:                              ;   in Loop: Header=BB332_12 Depth=1
	s_andn2_saveexec_b64 s[22:23], s[4:5]
; %bb.102:                              ;   in Loop: Header=BB332_12 Depth=1
	v_or_b32_e32 v6, 0x10000, v1
	v_cmp_eq_u32_sdwa s[4:5], v1, v25 src0_sel:WORD_0 src1_sel:DWORD
	s_nop 1
	v_cndmask_b32_e64 v1, v6, v1, s[4:5]
	v_accvgpr_write_b32 a24, v1
; %bb.103:                              ;   in Loop: Header=BB332_12 Depth=1
	s_or_b64 exec, exec, s[22:23]
	v_bfe_u32 v1, v0, 16, 8
	v_cvt_f32_fp8_sdwa v1, v1 src0_sel:BYTE_0
                                        ; implicit-def: $agpr26
	s_nop 0
	v_mul_f32_e32 v1, v7, v1
	v_and_b32_e32 v6, 0x7f800000, v1
	v_cmp_ne_u32_e64 s[4:5], s17, v6
	s_and_saveexec_b64 s[22:23], s[4:5]
	s_xor_b64 s[4:5], exec, s[22:23]
; %bb.104:                              ;   in Loop: Header=BB332_12 Depth=1
	v_bfe_u32 v6, v1, 16, 1
	v_add3_u32 v1, v1, v6, s24
	v_accvgpr_write_b32 a26, v1
                                        ; implicit-def: $vgpr1
; %bb.105:                              ;   in Loop: Header=BB332_12 Depth=1
	s_andn2_saveexec_b64 s[22:23], s[4:5]
; %bb.106:                              ;   in Loop: Header=BB332_12 Depth=1
	v_or_b32_e32 v6, 0x10000, v1
	v_cmp_eq_u32_sdwa s[4:5], v1, v25 src0_sel:WORD_0 src1_sel:DWORD
	s_nop 1
	v_cndmask_b32_e64 v1, v6, v1, s[4:5]
	v_accvgpr_write_b32 a26, v1
; %bb.107:                              ;   in Loop: Header=BB332_12 Depth=1
	s_or_b64 exec, exec, s[22:23]
	v_lshrrev_b32_e32 v0, 24, v0
	v_cvt_f32_fp8_sdwa v0, v0 src0_sel:BYTE_0
                                        ; implicit-def: $agpr27
	s_nop 0
	v_mul_f32_e32 v0, v7, v0
	v_and_b32_e32 v1, 0x7f800000, v0
	v_cmp_ne_u32_e64 s[4:5], s17, v1
	s_and_saveexec_b64 s[22:23], s[4:5]
	s_xor_b64 s[4:5], exec, s[22:23]
; %bb.108:                              ;   in Loop: Header=BB332_12 Depth=1
	v_bfe_u32 v1, v0, 16, 1
	v_add3_u32 v0, v0, v1, s24
	v_accvgpr_write_b32 a27, v0
                                        ; implicit-def: $vgpr0
; %bb.109:                              ;   in Loop: Header=BB332_12 Depth=1
	s_andn2_saveexec_b64 s[22:23], s[4:5]
; %bb.110:                              ;   in Loop: Header=BB332_12 Depth=1
	v_or_b32_e32 v1, 0x10000, v0
	v_cmp_eq_u32_sdwa s[4:5], v0, v25 src0_sel:WORD_0 src1_sel:DWORD
	s_nop 1
	v_cndmask_b32_e64 v0, v1, v0, s[4:5]
	v_accvgpr_write_b32 a27, v0
; %bb.111:                              ;   in Loop: Header=BB332_12 Depth=1
	s_or_b64 exec, exec, s[22:23]
	flat_load_dword v0, v[46:47] offset:1536
                                        ; implicit-def: $agpr21
	s_waitcnt vmcnt(0) lgkmcnt(0)
	v_and_b32_e32 v1, 0xff, v0
	v_cvt_f32_fp8_sdwa v1, v1 src0_sel:BYTE_0
	s_nop 0
	v_mul_f32_e32 v1, v7, v1
	v_and_b32_e32 v6, 0x7f800000, v1
	v_cmp_ne_u32_e64 s[4:5], s17, v6
	s_and_saveexec_b64 s[22:23], s[4:5]
	s_xor_b64 s[4:5], exec, s[22:23]
; %bb.112:                              ;   in Loop: Header=BB332_12 Depth=1
	v_bfe_u32 v6, v1, 16, 1
	v_add3_u32 v1, v1, v6, s24
	v_accvgpr_write_b32 a21, v1
                                        ; implicit-def: $vgpr1
; %bb.113:                              ;   in Loop: Header=BB332_12 Depth=1
	s_andn2_saveexec_b64 s[22:23], s[4:5]
; %bb.114:                              ;   in Loop: Header=BB332_12 Depth=1
	v_or_b32_e32 v6, 0x10000, v1
	v_cmp_eq_u32_sdwa s[4:5], v1, v25 src0_sel:WORD_0 src1_sel:DWORD
	s_nop 1
	v_cndmask_b32_e64 v1, v6, v1, s[4:5]
	v_accvgpr_write_b32 a21, v1
; %bb.115:                              ;   in Loop: Header=BB332_12 Depth=1
	s_or_b64 exec, exec, s[22:23]
	v_bfe_u32 v1, v0, 8, 8
	v_cvt_f32_fp8_sdwa v1, v1 src0_sel:BYTE_0
                                        ; implicit-def: $agpr22
	s_nop 0
	v_mul_f32_e32 v1, v7, v1
	v_and_b32_e32 v6, 0x7f800000, v1
	v_cmp_ne_u32_e64 s[4:5], s17, v6
	s_and_saveexec_b64 s[22:23], s[4:5]
	s_xor_b64 s[4:5], exec, s[22:23]
; %bb.116:                              ;   in Loop: Header=BB332_12 Depth=1
	v_bfe_u32 v6, v1, 16, 1
	v_add3_u32 v1, v1, v6, s24
	v_accvgpr_write_b32 a22, v1
                                        ; implicit-def: $vgpr1
; %bb.117:                              ;   in Loop: Header=BB332_12 Depth=1
	s_andn2_saveexec_b64 s[22:23], s[4:5]
; %bb.118:                              ;   in Loop: Header=BB332_12 Depth=1
	v_or_b32_e32 v6, 0x10000, v1
	v_cmp_eq_u32_sdwa s[4:5], v1, v25 src0_sel:WORD_0 src1_sel:DWORD
	s_nop 1
	v_cndmask_b32_e64 v1, v6, v1, s[4:5]
	v_accvgpr_write_b32 a22, v1
; %bb.119:                              ;   in Loop: Header=BB332_12 Depth=1
	s_or_b64 exec, exec, s[22:23]
	v_bfe_u32 v1, v0, 16, 8
	v_cvt_f32_fp8_sdwa v1, v1 src0_sel:BYTE_0
                                        ; implicit-def: $agpr23
	s_nop 0
	v_mul_f32_e32 v1, v7, v1
	v_and_b32_e32 v6, 0x7f800000, v1
	v_cmp_ne_u32_e64 s[4:5], s17, v6
	s_and_saveexec_b64 s[22:23], s[4:5]
	s_xor_b64 s[4:5], exec, s[22:23]
; %bb.120:                              ;   in Loop: Header=BB332_12 Depth=1
	v_bfe_u32 v6, v1, 16, 1
	v_add3_u32 v1, v1, v6, s24
	v_accvgpr_write_b32 a23, v1
                                        ; implicit-def: $vgpr1
; %bb.121:                              ;   in Loop: Header=BB332_12 Depth=1
	s_andn2_saveexec_b64 s[22:23], s[4:5]
; %bb.122:                              ;   in Loop: Header=BB332_12 Depth=1
	v_or_b32_e32 v6, 0x10000, v1
	v_cmp_eq_u32_sdwa s[4:5], v1, v25 src0_sel:WORD_0 src1_sel:DWORD
	s_nop 1
	v_cndmask_b32_e64 v1, v6, v1, s[4:5]
	v_accvgpr_write_b32 a23, v1
; %bb.123:                              ;   in Loop: Header=BB332_12 Depth=1
	s_or_b64 exec, exec, s[22:23]
	v_lshrrev_b32_e32 v0, 24, v0
	v_cvt_f32_fp8_sdwa v0, v0 src0_sel:BYTE_0
                                        ; implicit-def: $agpr2
	s_nop 0
	v_mul_f32_e32 v0, v7, v0
	v_and_b32_e32 v1, 0x7f800000, v0
	v_cmp_ne_u32_e64 s[4:5], s17, v1
	s_and_saveexec_b64 s[22:23], s[4:5]
	s_xor_b64 s[4:5], exec, s[22:23]
; %bb.124:                              ;   in Loop: Header=BB332_12 Depth=1
	v_bfe_u32 v1, v0, 16, 1
	v_add3_u32 v0, v0, v1, s24
	v_accvgpr_write_b32 a2, v0
                                        ; implicit-def: $vgpr0
; %bb.125:                              ;   in Loop: Header=BB332_12 Depth=1
	s_andn2_saveexec_b64 s[22:23], s[4:5]
; %bb.126:                              ;   in Loop: Header=BB332_12 Depth=1
	v_or_b32_e32 v1, 0x10000, v0
	v_cmp_eq_u32_sdwa s[4:5], v0, v25 src0_sel:WORD_0 src1_sel:DWORD
	s_nop 1
	v_cndmask_b32_e64 v0, v1, v0, s[4:5]
	v_accvgpr_write_b32 a2, v0
; %bb.127:                              ;   in Loop: Header=BB332_12 Depth=1
	s_or_b64 exec, exec, s[22:23]
	flat_load_dword v0, v[46:47] offset:1544
                                        ; implicit-def: $agpr30
	s_waitcnt vmcnt(0) lgkmcnt(0)
	v_and_b32_e32 v1, 0xff, v0
	v_cvt_f32_fp8_sdwa v1, v1 src0_sel:BYTE_0
	s_nop 0
	v_mul_f32_e32 v1, v7, v1
	v_and_b32_e32 v6, 0x7f800000, v1
	v_cmp_ne_u32_e64 s[4:5], s17, v6
	s_and_saveexec_b64 s[22:23], s[4:5]
	s_xor_b64 s[4:5], exec, s[22:23]
; %bb.128:                              ;   in Loop: Header=BB332_12 Depth=1
	v_bfe_u32 v6, v1, 16, 1
	v_add3_u32 v1, v1, v6, s24
	v_accvgpr_write_b32 a30, v1
                                        ; implicit-def: $vgpr1
; %bb.129:                              ;   in Loop: Header=BB332_12 Depth=1
	s_andn2_saveexec_b64 s[22:23], s[4:5]
; %bb.130:                              ;   in Loop: Header=BB332_12 Depth=1
	v_or_b32_e32 v6, 0x10000, v1
	v_cmp_eq_u32_sdwa s[4:5], v1, v25 src0_sel:WORD_0 src1_sel:DWORD
	s_nop 1
	v_cndmask_b32_e64 v1, v6, v1, s[4:5]
	v_accvgpr_write_b32 a30, v1
; %bb.131:                              ;   in Loop: Header=BB332_12 Depth=1
	s_or_b64 exec, exec, s[22:23]
	v_bfe_u32 v1, v0, 8, 8
	v_cvt_f32_fp8_sdwa v1, v1 src0_sel:BYTE_0
                                        ; implicit-def: $agpr14
	s_nop 0
	v_mul_f32_e32 v1, v7, v1
	v_and_b32_e32 v6, 0x7f800000, v1
	v_cmp_ne_u32_e64 s[4:5], s17, v6
	s_and_saveexec_b64 s[22:23], s[4:5]
	s_xor_b64 s[4:5], exec, s[22:23]
; %bb.132:                              ;   in Loop: Header=BB332_12 Depth=1
	v_bfe_u32 v6, v1, 16, 1
	v_add3_u32 v1, v1, v6, s24
	v_accvgpr_write_b32 a14, v1
                                        ; implicit-def: $vgpr1
; %bb.133:                              ;   in Loop: Header=BB332_12 Depth=1
	s_andn2_saveexec_b64 s[22:23], s[4:5]
; %bb.134:                              ;   in Loop: Header=BB332_12 Depth=1
	v_or_b32_e32 v6, 0x10000, v1
	v_cmp_eq_u32_sdwa s[4:5], v1, v25 src0_sel:WORD_0 src1_sel:DWORD
	s_nop 1
	v_cndmask_b32_e64 v1, v6, v1, s[4:5]
	v_accvgpr_write_b32 a14, v1
; %bb.135:                              ;   in Loop: Header=BB332_12 Depth=1
	s_or_b64 exec, exec, s[22:23]
	v_bfe_u32 v1, v0, 16, 8
	v_cvt_f32_fp8_sdwa v1, v1 src0_sel:BYTE_0
                                        ; implicit-def: $agpr18
	s_nop 0
	v_mul_f32_e32 v1, v7, v1
	v_and_b32_e32 v6, 0x7f800000, v1
	v_cmp_ne_u32_e64 s[4:5], s17, v6
	s_and_saveexec_b64 s[22:23], s[4:5]
	s_xor_b64 s[4:5], exec, s[22:23]
; %bb.136:                              ;   in Loop: Header=BB332_12 Depth=1
	v_bfe_u32 v6, v1, 16, 1
	v_add3_u32 v1, v1, v6, s24
	v_accvgpr_write_b32 a18, v1
                                        ; implicit-def: $vgpr1
; %bb.137:                              ;   in Loop: Header=BB332_12 Depth=1
	s_andn2_saveexec_b64 s[22:23], s[4:5]
; %bb.138:                              ;   in Loop: Header=BB332_12 Depth=1
	v_or_b32_e32 v6, 0x10000, v1
	v_cmp_eq_u32_sdwa s[4:5], v1, v25 src0_sel:WORD_0 src1_sel:DWORD
	s_nop 1
	v_cndmask_b32_e64 v1, v6, v1, s[4:5]
	v_accvgpr_write_b32 a18, v1
; %bb.139:                              ;   in Loop: Header=BB332_12 Depth=1
	s_or_b64 exec, exec, s[22:23]
	v_lshrrev_b32_e32 v0, 24, v0
	v_cvt_f32_fp8_sdwa v0, v0 src0_sel:BYTE_0
                                        ; implicit-def: $agpr19
	s_nop 0
	v_mul_f32_e32 v0, v7, v0
	v_and_b32_e32 v1, 0x7f800000, v0
	v_cmp_ne_u32_e64 s[4:5], s17, v1
	s_and_saveexec_b64 s[22:23], s[4:5]
	s_xor_b64 s[4:5], exec, s[22:23]
; %bb.140:                              ;   in Loop: Header=BB332_12 Depth=1
	v_bfe_u32 v1, v0, 16, 1
	v_add3_u32 v0, v0, v1, s24
	v_accvgpr_write_b32 a19, v0
                                        ; implicit-def: $vgpr0
; %bb.141:                              ;   in Loop: Header=BB332_12 Depth=1
	s_andn2_saveexec_b64 s[22:23], s[4:5]
; %bb.142:                              ;   in Loop: Header=BB332_12 Depth=1
	v_or_b32_e32 v1, 0x10000, v0
	v_cmp_eq_u32_sdwa s[4:5], v0, v25 src0_sel:WORD_0 src1_sel:DWORD
	s_nop 1
	v_cndmask_b32_e64 v0, v1, v0, s[4:5]
	v_accvgpr_write_b32 a19, v0
; %bb.143:                              ;   in Loop: Header=BB332_12 Depth=1
	s_or_b64 exec, exec, s[22:23]
	flat_load_dword v0, v[46:47] offset:2048
                                        ; implicit-def: $agpr20
	s_waitcnt vmcnt(0) lgkmcnt(0)
	v_and_b32_e32 v1, 0xff, v0
	v_cvt_f32_fp8_sdwa v1, v1 src0_sel:BYTE_0
	s_nop 0
	v_mul_f32_e32 v1, v7, v1
	v_and_b32_e32 v6, 0x7f800000, v1
	v_cmp_ne_u32_e64 s[4:5], s17, v6
	s_and_saveexec_b64 s[22:23], s[4:5]
	s_xor_b64 s[4:5], exec, s[22:23]
; %bb.144:                              ;   in Loop: Header=BB332_12 Depth=1
	v_bfe_u32 v6, v1, 16, 1
	v_add3_u32 v1, v1, v6, s24
	v_accvgpr_write_b32 a20, v1
                                        ; implicit-def: $vgpr1
; %bb.145:                              ;   in Loop: Header=BB332_12 Depth=1
	s_andn2_saveexec_b64 s[22:23], s[4:5]
; %bb.146:                              ;   in Loop: Header=BB332_12 Depth=1
	v_or_b32_e32 v6, 0x10000, v1
	v_cmp_eq_u32_sdwa s[4:5], v1, v25 src0_sel:WORD_0 src1_sel:DWORD
	s_nop 1
	v_cndmask_b32_e64 v1, v6, v1, s[4:5]
	v_accvgpr_write_b32 a20, v1
; %bb.147:                              ;   in Loop: Header=BB332_12 Depth=1
	s_or_b64 exec, exec, s[22:23]
	v_bfe_u32 v1, v0, 8, 8
	v_cvt_f32_fp8_sdwa v1, v1 src0_sel:BYTE_0
                                        ; implicit-def: $agpr15
	s_nop 0
	v_mul_f32_e32 v1, v7, v1
	v_and_b32_e32 v6, 0x7f800000, v1
	v_cmp_ne_u32_e64 s[4:5], s17, v6
	s_and_saveexec_b64 s[22:23], s[4:5]
	s_xor_b64 s[4:5], exec, s[22:23]
; %bb.148:                              ;   in Loop: Header=BB332_12 Depth=1
	v_bfe_u32 v6, v1, 16, 1
	v_add3_u32 v1, v1, v6, s24
	v_accvgpr_write_b32 a15, v1
                                        ; implicit-def: $vgpr1
; %bb.149:                              ;   in Loop: Header=BB332_12 Depth=1
	s_andn2_saveexec_b64 s[22:23], s[4:5]
; %bb.150:                              ;   in Loop: Header=BB332_12 Depth=1
	v_or_b32_e32 v6, 0x10000, v1
	v_cmp_eq_u32_sdwa s[4:5], v1, v25 src0_sel:WORD_0 src1_sel:DWORD
	s_nop 1
	v_cndmask_b32_e64 v1, v6, v1, s[4:5]
	v_accvgpr_write_b32 a15, v1
; %bb.151:                              ;   in Loop: Header=BB332_12 Depth=1
	s_or_b64 exec, exec, s[22:23]
	v_bfe_u32 v1, v0, 16, 8
	v_cvt_f32_fp8_sdwa v1, v1 src0_sel:BYTE_0
                                        ; implicit-def: $agpr16
	s_nop 0
	v_mul_f32_e32 v1, v7, v1
	v_and_b32_e32 v6, 0x7f800000, v1
	v_cmp_ne_u32_e64 s[4:5], s17, v6
	s_and_saveexec_b64 s[22:23], s[4:5]
	s_xor_b64 s[4:5], exec, s[22:23]
; %bb.152:                              ;   in Loop: Header=BB332_12 Depth=1
	v_bfe_u32 v6, v1, 16, 1
	v_add3_u32 v1, v1, v6, s24
	v_accvgpr_write_b32 a16, v1
                                        ; implicit-def: $vgpr1
; %bb.153:                              ;   in Loop: Header=BB332_12 Depth=1
	s_andn2_saveexec_b64 s[22:23], s[4:5]
; %bb.154:                              ;   in Loop: Header=BB332_12 Depth=1
	v_or_b32_e32 v6, 0x10000, v1
	v_cmp_eq_u32_sdwa s[4:5], v1, v25 src0_sel:WORD_0 src1_sel:DWORD
	s_nop 1
	v_cndmask_b32_e64 v1, v6, v1, s[4:5]
	v_accvgpr_write_b32 a16, v1
; %bb.155:                              ;   in Loop: Header=BB332_12 Depth=1
	s_or_b64 exec, exec, s[22:23]
	v_lshrrev_b32_e32 v0, 24, v0
	v_cvt_f32_fp8_sdwa v0, v0 src0_sel:BYTE_0
                                        ; implicit-def: $agpr17
	s_nop 0
	v_mul_f32_e32 v0, v7, v0
	v_and_b32_e32 v1, 0x7f800000, v0
	v_cmp_ne_u32_e64 s[4:5], s17, v1
	s_and_saveexec_b64 s[22:23], s[4:5]
	s_xor_b64 s[4:5], exec, s[22:23]
; %bb.156:                              ;   in Loop: Header=BB332_12 Depth=1
	v_bfe_u32 v1, v0, 16, 1
	v_add3_u32 v0, v0, v1, s24
	v_accvgpr_write_b32 a17, v0
                                        ; implicit-def: $vgpr0
; %bb.157:                              ;   in Loop: Header=BB332_12 Depth=1
	s_andn2_saveexec_b64 s[22:23], s[4:5]
; %bb.158:                              ;   in Loop: Header=BB332_12 Depth=1
	v_or_b32_e32 v1, 0x10000, v0
	v_cmp_eq_u32_sdwa s[4:5], v0, v25 src0_sel:WORD_0 src1_sel:DWORD
	s_nop 1
	v_cndmask_b32_e64 v0, v1, v0, s[4:5]
	v_accvgpr_write_b32 a17, v0
; %bb.159:                              ;   in Loop: Header=BB332_12 Depth=1
	s_or_b64 exec, exec, s[22:23]
	flat_load_dword v0, v[46:47] offset:2056
                                        ; implicit-def: $agpr37
	s_waitcnt vmcnt(0) lgkmcnt(0)
	v_and_b32_e32 v1, 0xff, v0
	v_cvt_f32_fp8_sdwa v1, v1 src0_sel:BYTE_0
	s_nop 0
	v_mul_f32_e32 v1, v7, v1
	v_and_b32_e32 v6, 0x7f800000, v1
	v_cmp_ne_u32_e64 s[4:5], s17, v6
	s_and_saveexec_b64 s[22:23], s[4:5]
	s_xor_b64 s[4:5], exec, s[22:23]
; %bb.160:                              ;   in Loop: Header=BB332_12 Depth=1
	v_bfe_u32 v6, v1, 16, 1
	v_add3_u32 v1, v1, v6, s24
	v_accvgpr_write_b32 a37, v1
                                        ; implicit-def: $vgpr1
; %bb.161:                              ;   in Loop: Header=BB332_12 Depth=1
	s_andn2_saveexec_b64 s[22:23], s[4:5]
; %bb.162:                              ;   in Loop: Header=BB332_12 Depth=1
	v_or_b32_e32 v6, 0x10000, v1
	v_cmp_eq_u32_sdwa s[4:5], v1, v25 src0_sel:WORD_0 src1_sel:DWORD
	s_nop 1
	v_cndmask_b32_e64 v1, v6, v1, s[4:5]
	v_accvgpr_write_b32 a37, v1
; %bb.163:                              ;   in Loop: Header=BB332_12 Depth=1
	s_or_b64 exec, exec, s[22:23]
	v_bfe_u32 v1, v0, 8, 8
	v_cvt_f32_fp8_sdwa v1, v1 src0_sel:BYTE_0
                                        ; implicit-def: $agpr32
	s_nop 0
	v_mul_f32_e32 v1, v7, v1
	v_and_b32_e32 v6, 0x7f800000, v1
	v_cmp_ne_u32_e64 s[4:5], s17, v6
	s_and_saveexec_b64 s[22:23], s[4:5]
	s_xor_b64 s[4:5], exec, s[22:23]
; %bb.164:                              ;   in Loop: Header=BB332_12 Depth=1
	v_bfe_u32 v6, v1, 16, 1
	v_add3_u32 v1, v1, v6, s24
	v_accvgpr_write_b32 a32, v1
                                        ; implicit-def: $vgpr1
; %bb.165:                              ;   in Loop: Header=BB332_12 Depth=1
	s_andn2_saveexec_b64 s[22:23], s[4:5]
; %bb.166:                              ;   in Loop: Header=BB332_12 Depth=1
	v_or_b32_e32 v6, 0x10000, v1
	v_cmp_eq_u32_sdwa s[4:5], v1, v25 src0_sel:WORD_0 src1_sel:DWORD
	s_nop 1
	v_cndmask_b32_e64 v1, v6, v1, s[4:5]
	v_accvgpr_write_b32 a32, v1
; %bb.167:                              ;   in Loop: Header=BB332_12 Depth=1
	s_or_b64 exec, exec, s[22:23]
	v_bfe_u32 v1, v0, 16, 8
	v_cvt_f32_fp8_sdwa v1, v1 src0_sel:BYTE_0
                                        ; implicit-def: $agpr38
	s_nop 0
	v_mul_f32_e32 v1, v7, v1
	v_and_b32_e32 v6, 0x7f800000, v1
	v_cmp_ne_u32_e64 s[4:5], s17, v6
	s_and_saveexec_b64 s[22:23], s[4:5]
	s_xor_b64 s[4:5], exec, s[22:23]
; %bb.168:                              ;   in Loop: Header=BB332_12 Depth=1
	v_bfe_u32 v6, v1, 16, 1
	v_add3_u32 v1, v1, v6, s24
	v_accvgpr_write_b32 a38, v1
                                        ; implicit-def: $vgpr1
; %bb.169:                              ;   in Loop: Header=BB332_12 Depth=1
	s_andn2_saveexec_b64 s[22:23], s[4:5]
; %bb.170:                              ;   in Loop: Header=BB332_12 Depth=1
	v_or_b32_e32 v6, 0x10000, v1
	v_cmp_eq_u32_sdwa s[4:5], v1, v25 src0_sel:WORD_0 src1_sel:DWORD
	s_nop 1
	v_cndmask_b32_e64 v1, v6, v1, s[4:5]
	v_accvgpr_write_b32 a38, v1
; %bb.171:                              ;   in Loop: Header=BB332_12 Depth=1
	s_or_b64 exec, exec, s[22:23]
	v_lshrrev_b32_e32 v0, 24, v0
	v_cvt_f32_fp8_sdwa v0, v0 src0_sel:BYTE_0
                                        ; implicit-def: $agpr25
	s_nop 0
	v_mul_f32_e32 v0, v7, v0
	v_and_b32_e32 v1, 0x7f800000, v0
	v_cmp_ne_u32_e64 s[4:5], s17, v1
	s_and_saveexec_b64 s[22:23], s[4:5]
	s_xor_b64 s[4:5], exec, s[22:23]
; %bb.172:                              ;   in Loop: Header=BB332_12 Depth=1
	v_bfe_u32 v1, v0, 16, 1
	v_add3_u32 v0, v0, v1, s24
	v_accvgpr_write_b32 a25, v0
                                        ; implicit-def: $vgpr0
; %bb.173:                              ;   in Loop: Header=BB332_12 Depth=1
	s_andn2_saveexec_b64 s[22:23], s[4:5]
; %bb.174:                              ;   in Loop: Header=BB332_12 Depth=1
	v_or_b32_e32 v1, 0x10000, v0
	v_cmp_eq_u32_sdwa s[4:5], v0, v25 src0_sel:WORD_0 src1_sel:DWORD
	s_nop 1
	v_cndmask_b32_e64 v0, v1, v0, s[4:5]
	v_accvgpr_write_b32 a25, v0
; %bb.175:                              ;   in Loop: Header=BB332_12 Depth=1
	s_or_b64 exec, exec, s[22:23]
	flat_load_dword v1, v[46:47] offset:2560
                                        ; implicit-def: $agpr8
	s_waitcnt vmcnt(0) lgkmcnt(0)
	v_and_b32_e32 v0, 0xff, v1
	v_cvt_f32_fp8_sdwa v0, v0 src0_sel:BYTE_0
	s_nop 0
	v_mul_f32_e32 v0, v7, v0
	v_and_b32_e32 v6, 0x7f800000, v0
	v_cmp_ne_u32_e64 s[4:5], s17, v6
	s_and_saveexec_b64 s[22:23], s[4:5]
	s_xor_b64 s[4:5], exec, s[22:23]
; %bb.176:                              ;   in Loop: Header=BB332_12 Depth=1
	v_bfe_u32 v6, v0, 16, 1
	v_add3_u32 v0, v0, v6, s24
	v_accvgpr_write_b32 a8, v0
                                        ; implicit-def: $vgpr0
; %bb.177:                              ;   in Loop: Header=BB332_12 Depth=1
	s_andn2_saveexec_b64 s[22:23], s[4:5]
; %bb.178:                              ;   in Loop: Header=BB332_12 Depth=1
	v_or_b32_e32 v6, 0x10000, v0
	v_cmp_eq_u32_sdwa s[4:5], v0, v25 src0_sel:WORD_0 src1_sel:DWORD
	s_nop 1
	v_cndmask_b32_e64 v0, v6, v0, s[4:5]
	v_accvgpr_write_b32 a8, v0
; %bb.179:                              ;   in Loop: Header=BB332_12 Depth=1
	s_or_b64 exec, exec, s[22:23]
	v_bfe_u32 v0, v1, 8, 8
	v_cvt_f32_fp8_sdwa v0, v0 src0_sel:BYTE_0
                                        ; implicit-def: $agpr13
	s_nop 0
	v_mul_f32_e32 v0, v7, v0
	v_and_b32_e32 v6, 0x7f800000, v0
	v_cmp_ne_u32_e64 s[4:5], s17, v6
	s_and_saveexec_b64 s[22:23], s[4:5]
	s_xor_b64 s[4:5], exec, s[22:23]
; %bb.180:                              ;   in Loop: Header=BB332_12 Depth=1
	v_bfe_u32 v6, v0, 16, 1
	v_add3_u32 v0, v0, v6, s24
	v_accvgpr_write_b32 a13, v0
                                        ; implicit-def: $vgpr0
; %bb.181:                              ;   in Loop: Header=BB332_12 Depth=1
	s_andn2_saveexec_b64 s[22:23], s[4:5]
; %bb.182:                              ;   in Loop: Header=BB332_12 Depth=1
	v_or_b32_e32 v6, 0x10000, v0
	v_cmp_eq_u32_sdwa s[4:5], v0, v25 src0_sel:WORD_0 src1_sel:DWORD
	s_nop 1
	v_cndmask_b32_e64 v0, v6, v0, s[4:5]
	v_accvgpr_write_b32 a13, v0
; %bb.183:                              ;   in Loop: Header=BB332_12 Depth=1
	s_or_b64 exec, exec, s[22:23]
	v_bfe_u32 v0, v1, 16, 8
	v_cvt_f32_fp8_sdwa v0, v0 src0_sel:BYTE_0
                                        ; implicit-def: $agpr4
	s_nop 0
	v_mul_f32_e32 v6, v7, v0
	v_and_b32_e32 v0, 0x7f800000, v6
	v_cmp_ne_u32_e64 s[4:5], s17, v0
	s_and_saveexec_b64 s[22:23], s[4:5]
	s_xor_b64 s[4:5], exec, s[22:23]
; %bb.184:                              ;   in Loop: Header=BB332_12 Depth=1
	v_bfe_u32 v0, v6, 16, 1
	v_add3_u32 v0, v6, v0, s24
	v_accvgpr_write_b32 a4, v0
                                        ; implicit-def: $vgpr6
; %bb.185:                              ;   in Loop: Header=BB332_12 Depth=1
	s_andn2_saveexec_b64 s[22:23], s[4:5]
; %bb.186:                              ;   in Loop: Header=BB332_12 Depth=1
	v_or_b32_e32 v0, 0x10000, v6
	v_cmp_eq_u32_sdwa s[4:5], v6, v25 src0_sel:WORD_0 src1_sel:DWORD
	s_nop 1
	v_cndmask_b32_e64 v0, v0, v6, s[4:5]
	v_accvgpr_write_b32 a4, v0
; %bb.187:                              ;   in Loop: Header=BB332_12 Depth=1
	s_or_b64 exec, exec, s[22:23]
	v_lshrrev_b32_e32 v1, 24, v1
	v_cvt_f32_fp8_sdwa v1, v1 src0_sel:BYTE_0
                                        ; implicit-def: $agpr5
	s_nop 0
	v_mul_f32_e32 v1, v7, v1
	v_and_b32_e32 v6, 0x7f800000, v1
	v_cmp_ne_u32_e64 s[4:5], s17, v6
	s_and_saveexec_b64 s[22:23], s[4:5]
	s_xor_b64 s[4:5], exec, s[22:23]
; %bb.188:                              ;   in Loop: Header=BB332_12 Depth=1
	v_bfe_u32 v6, v1, 16, 1
	v_add3_u32 v0, v1, v6, s24
	v_accvgpr_write_b32 a5, v0
                                        ; implicit-def: $vgpr1
; %bb.189:                              ;   in Loop: Header=BB332_12 Depth=1
	s_andn2_saveexec_b64 s[22:23], s[4:5]
; %bb.190:                              ;   in Loop: Header=BB332_12 Depth=1
	v_or_b32_e32 v6, 0x10000, v1
	v_cmp_eq_u32_sdwa s[4:5], v1, v25 src0_sel:WORD_0 src1_sel:DWORD
	s_nop 1
	v_cndmask_b32_e64 v0, v6, v1, s[4:5]
	v_accvgpr_write_b32 a5, v0
; %bb.191:                              ;   in Loop: Header=BB332_12 Depth=1
	s_or_b64 exec, exec, s[22:23]
	flat_load_dword v1, v[46:47] offset:2568
                                        ; implicit-def: $agpr6
	s_waitcnt vmcnt(0) lgkmcnt(0)
	v_and_b32_e32 v6, 0xff, v1
	v_cvt_f32_fp8_sdwa v6, v6 src0_sel:BYTE_0
	s_nop 0
	v_mul_f32_e32 v6, v7, v6
	v_and_b32_e32 v16, 0x7f800000, v6
	v_cmp_ne_u32_e64 s[4:5], s17, v16
	s_and_saveexec_b64 s[22:23], s[4:5]
	s_xor_b64 s[4:5], exec, s[22:23]
; %bb.192:                              ;   in Loop: Header=BB332_12 Depth=1
	v_bfe_u32 v16, v6, 16, 1
	v_add3_u32 v0, v6, v16, s24
	v_accvgpr_write_b32 a6, v0
                                        ; implicit-def: $vgpr6
; %bb.193:                              ;   in Loop: Header=BB332_12 Depth=1
	s_andn2_saveexec_b64 s[22:23], s[4:5]
; %bb.194:                              ;   in Loop: Header=BB332_12 Depth=1
	v_or_b32_e32 v16, 0x10000, v6
	v_cmp_eq_u32_sdwa s[4:5], v6, v25 src0_sel:WORD_0 src1_sel:DWORD
	s_nop 1
	v_cndmask_b32_e64 v0, v16, v6, s[4:5]
	v_accvgpr_write_b32 a6, v0
; %bb.195:                              ;   in Loop: Header=BB332_12 Depth=1
	s_or_b64 exec, exec, s[22:23]
	v_bfe_u32 v6, v1, 8, 8
	v_cvt_f32_fp8_sdwa v6, v6 src0_sel:BYTE_0
                                        ; implicit-def: $agpr7
	s_nop 0
	v_mul_f32_e32 v6, v7, v6
	v_and_b32_e32 v16, 0x7f800000, v6
	v_cmp_ne_u32_e64 s[4:5], s17, v16
	s_and_saveexec_b64 s[22:23], s[4:5]
	s_xor_b64 s[4:5], exec, s[22:23]
; %bb.196:                              ;   in Loop: Header=BB332_12 Depth=1
	v_bfe_u32 v16, v6, 16, 1
	v_add3_u32 v0, v6, v16, s24
	v_accvgpr_write_b32 a7, v0
                                        ; implicit-def: $vgpr6
; %bb.197:                              ;   in Loop: Header=BB332_12 Depth=1
	s_andn2_saveexec_b64 s[22:23], s[4:5]
; %bb.198:                              ;   in Loop: Header=BB332_12 Depth=1
	v_or_b32_e32 v16, 0x10000, v6
	v_cmp_eq_u32_sdwa s[4:5], v6, v25 src0_sel:WORD_0 src1_sel:DWORD
	s_nop 1
	v_cndmask_b32_e64 v0, v16, v6, s[4:5]
	v_accvgpr_write_b32 a7, v0
; %bb.199:                              ;   in Loop: Header=BB332_12 Depth=1
	s_or_b64 exec, exec, s[22:23]
	v_bfe_u32 v6, v1, 16, 8
	v_cvt_f32_fp8_sdwa v6, v6 src0_sel:BYTE_0
                                        ; implicit-def: $agpr9
	s_nop 0
	v_mul_f32_e32 v6, v7, v6
	v_and_b32_e32 v16, 0x7f800000, v6
	v_cmp_ne_u32_e64 s[4:5], s17, v16
	s_and_saveexec_b64 s[22:23], s[4:5]
	s_xor_b64 s[4:5], exec, s[22:23]
; %bb.200:                              ;   in Loop: Header=BB332_12 Depth=1
	v_bfe_u32 v16, v6, 16, 1
	v_add3_u32 v0, v6, v16, s24
	v_accvgpr_write_b32 a9, v0
                                        ; implicit-def: $vgpr6
; %bb.201:                              ;   in Loop: Header=BB332_12 Depth=1
	s_andn2_saveexec_b64 s[22:23], s[4:5]
; %bb.202:                              ;   in Loop: Header=BB332_12 Depth=1
	v_or_b32_e32 v16, 0x10000, v6
	v_cmp_eq_u32_sdwa s[4:5], v6, v25 src0_sel:WORD_0 src1_sel:DWORD
	s_nop 1
	v_cndmask_b32_e64 v0, v16, v6, s[4:5]
	v_accvgpr_write_b32 a9, v0
; %bb.203:                              ;   in Loop: Header=BB332_12 Depth=1
	s_or_b64 exec, exec, s[22:23]
	v_lshrrev_b32_e32 v1, 24, v1
	v_cvt_f32_fp8_sdwa v1, v1 src0_sel:BYTE_0
                                        ; implicit-def: $agpr11
	s_nop 0
	v_mul_f32_e32 v6, v7, v1
	v_and_b32_e32 v1, 0x7f800000, v6
	v_cmp_ne_u32_e64 s[4:5], s17, v1
	s_and_saveexec_b64 s[22:23], s[4:5]
	s_xor_b64 s[4:5], exec, s[22:23]
; %bb.204:                              ;   in Loop: Header=BB332_12 Depth=1
	v_bfe_u32 v1, v6, 16, 1
	v_add3_u32 v0, v6, v1, s24
	v_accvgpr_write_b32 a11, v0
                                        ; implicit-def: $vgpr6
; %bb.205:                              ;   in Loop: Header=BB332_12 Depth=1
	s_andn2_saveexec_b64 s[22:23], s[4:5]
; %bb.206:                              ;   in Loop: Header=BB332_12 Depth=1
	v_or_b32_e32 v1, 0x10000, v6
	v_cmp_eq_u32_sdwa s[4:5], v6, v25 src0_sel:WORD_0 src1_sel:DWORD
	s_nop 1
	v_cndmask_b32_e64 v0, v1, v6, s[4:5]
	v_accvgpr_write_b32 a11, v0
; %bb.207:                              ;   in Loop: Header=BB332_12 Depth=1
	s_or_b64 exec, exec, s[22:23]
	flat_load_dword v6, v[46:47] offset:3072
                                        ; implicit-def: $agpr28
	s_waitcnt vmcnt(0) lgkmcnt(0)
	v_and_b32_e32 v16, 0xff, v6
	v_cvt_f32_fp8_sdwa v16, v16 src0_sel:BYTE_0
	s_nop 0
	v_mul_f32_e32 v16, v7, v16
	v_and_b32_e32 v17, 0x7f800000, v16
	v_cmp_ne_u32_e64 s[4:5], s17, v17
	s_and_saveexec_b64 s[22:23], s[4:5]
	s_xor_b64 s[4:5], exec, s[22:23]
; %bb.208:                              ;   in Loop: Header=BB332_12 Depth=1
	v_bfe_u32 v17, v16, 16, 1
	v_add3_u32 v0, v16, v17, s24
	v_accvgpr_write_b32 a28, v0
                                        ; implicit-def: $vgpr16
; %bb.209:                              ;   in Loop: Header=BB332_12 Depth=1
	s_andn2_saveexec_b64 s[22:23], s[4:5]
; %bb.210:                              ;   in Loop: Header=BB332_12 Depth=1
	v_or_b32_e32 v17, 0x10000, v16
	v_cmp_eq_u32_sdwa s[4:5], v16, v25 src0_sel:WORD_0 src1_sel:DWORD
	s_nop 1
	v_cndmask_b32_e64 v0, v17, v16, s[4:5]
	v_accvgpr_write_b32 a28, v0
; %bb.211:                              ;   in Loop: Header=BB332_12 Depth=1
	s_or_b64 exec, exec, s[22:23]
	v_bfe_u32 v16, v6, 8, 8
	v_cvt_f32_fp8_sdwa v16, v16 src0_sel:BYTE_0
                                        ; implicit-def: $agpr29
	s_nop 0
	v_mul_f32_e32 v16, v7, v16
	v_and_b32_e32 v22, 0x7f800000, v16
	v_cmp_ne_u32_e64 s[4:5], s17, v22
	s_and_saveexec_b64 s[22:23], s[4:5]
	s_xor_b64 s[4:5], exec, s[22:23]
; %bb.212:                              ;   in Loop: Header=BB332_12 Depth=1
	v_bfe_u32 v22, v16, 16, 1
	v_add3_u32 v0, v16, v22, s24
	v_accvgpr_write_b32 a29, v0
                                        ; implicit-def: $vgpr16
; %bb.213:                              ;   in Loop: Header=BB332_12 Depth=1
	s_andn2_saveexec_b64 s[22:23], s[4:5]
; %bb.214:                              ;   in Loop: Header=BB332_12 Depth=1
	v_or_b32_e32 v22, 0x10000, v16
	v_cmp_eq_u32_sdwa s[4:5], v16, v25 src0_sel:WORD_0 src1_sel:DWORD
	s_nop 1
	v_cndmask_b32_e64 v0, v22, v16, s[4:5]
	v_accvgpr_write_b32 a29, v0
; %bb.215:                              ;   in Loop: Header=BB332_12 Depth=1
	s_or_b64 exec, exec, s[22:23]
	v_bfe_u32 v16, v6, 16, 8
	v_cvt_f32_fp8_sdwa v16, v16 src0_sel:BYTE_0
                                        ; implicit-def: $agpr31
	s_nop 0
	v_mul_f32_e32 v16, v7, v16
	v_and_b32_e32 v22, 0x7f800000, v16
	v_cmp_ne_u32_e64 s[4:5], s17, v22
	s_and_saveexec_b64 s[22:23], s[4:5]
	s_xor_b64 s[4:5], exec, s[22:23]
; %bb.216:                              ;   in Loop: Header=BB332_12 Depth=1
	v_bfe_u32 v22, v16, 16, 1
	v_add3_u32 v0, v16, v22, s24
	v_accvgpr_write_b32 a31, v0
                                        ; implicit-def: $vgpr16
; %bb.217:                              ;   in Loop: Header=BB332_12 Depth=1
	s_andn2_saveexec_b64 s[22:23], s[4:5]
; %bb.218:                              ;   in Loop: Header=BB332_12 Depth=1
	v_or_b32_e32 v22, 0x10000, v16
	v_cmp_eq_u32_sdwa s[4:5], v16, v25 src0_sel:WORD_0 src1_sel:DWORD
	s_nop 1
	v_cndmask_b32_e64 v0, v22, v16, s[4:5]
	v_accvgpr_write_b32 a31, v0
; %bb.219:                              ;   in Loop: Header=BB332_12 Depth=1
	s_or_b64 exec, exec, s[22:23]
	v_lshrrev_b32_e32 v6, 24, v6
	v_cvt_f32_fp8_sdwa v6, v6 src0_sel:BYTE_0
                                        ; implicit-def: $agpr34
	s_nop 0
	v_mul_f32_e32 v6, v7, v6
	v_and_b32_e32 v16, 0x7f800000, v6
	v_cmp_ne_u32_e64 s[4:5], s17, v16
	s_and_saveexec_b64 s[22:23], s[4:5]
	s_xor_b64 s[4:5], exec, s[22:23]
; %bb.220:                              ;   in Loop: Header=BB332_12 Depth=1
	v_bfe_u32 v16, v6, 16, 1
	v_add3_u32 v0, v6, v16, s24
	v_accvgpr_write_b32 a34, v0
                                        ; implicit-def: $vgpr6
; %bb.221:                              ;   in Loop: Header=BB332_12 Depth=1
	s_andn2_saveexec_b64 s[22:23], s[4:5]
; %bb.222:                              ;   in Loop: Header=BB332_12 Depth=1
	v_or_b32_e32 v16, 0x10000, v6
	v_cmp_eq_u32_sdwa s[4:5], v6, v25 src0_sel:WORD_0 src1_sel:DWORD
	s_nop 1
	v_cndmask_b32_e64 v0, v16, v6, s[4:5]
	v_accvgpr_write_b32 a34, v0
; %bb.223:                              ;   in Loop: Header=BB332_12 Depth=1
	s_or_b64 exec, exec, s[22:23]
	flat_load_dword v16, v[46:47] offset:3080
                                        ; implicit-def: $agpr35
	s_waitcnt vmcnt(0) lgkmcnt(0)
	v_and_b32_e32 v6, 0xff, v16
	v_cvt_f32_fp8_sdwa v6, v6 src0_sel:BYTE_0
	s_nop 0
	v_mul_f32_e32 v6, v7, v6
	v_and_b32_e32 v26, 0x7f800000, v6
	v_cmp_ne_u32_e64 s[4:5], s17, v26
	s_and_saveexec_b64 s[22:23], s[4:5]
	s_xor_b64 s[4:5], exec, s[22:23]
; %bb.224:                              ;   in Loop: Header=BB332_12 Depth=1
	v_bfe_u32 v26, v6, 16, 1
	v_add3_u32 v0, v6, v26, s24
	v_accvgpr_write_b32 a35, v0
                                        ; implicit-def: $vgpr6
; %bb.225:                              ;   in Loop: Header=BB332_12 Depth=1
	s_andn2_saveexec_b64 s[22:23], s[4:5]
; %bb.226:                              ;   in Loop: Header=BB332_12 Depth=1
	v_or_b32_e32 v26, 0x10000, v6
	v_cmp_eq_u32_sdwa s[4:5], v6, v25 src0_sel:WORD_0 src1_sel:DWORD
	s_nop 1
	v_cndmask_b32_e64 v0, v26, v6, s[4:5]
	v_accvgpr_write_b32 a35, v0
; %bb.227:                              ;   in Loop: Header=BB332_12 Depth=1
	s_or_b64 exec, exec, s[22:23]
	v_bfe_u32 v6, v16, 8, 8
	v_cvt_f32_fp8_sdwa v6, v6 src0_sel:BYTE_0
                                        ; implicit-def: $vgpr14
	s_nop 0
	v_mul_f32_e32 v6, v7, v6
	v_and_b32_e32 v53, 0x7f800000, v6
	v_cmp_ne_u32_e64 s[4:5], s17, v53
	s_and_saveexec_b64 s[22:23], s[4:5]
	s_xor_b64 s[4:5], exec, s[22:23]
; %bb.228:                              ;   in Loop: Header=BB332_12 Depth=1
	v_bfe_u32 v53, v6, 16, 1
	v_add3_u32 v14, v6, v53, s24
                                        ; implicit-def: $vgpr6
; %bb.229:                              ;   in Loop: Header=BB332_12 Depth=1
	s_andn2_saveexec_b64 s[22:23], s[4:5]
; %bb.230:                              ;   in Loop: Header=BB332_12 Depth=1
	v_or_b32_e32 v53, 0x10000, v6
	v_cmp_eq_u32_sdwa s[4:5], v6, v25 src0_sel:WORD_0 src1_sel:DWORD
	s_nop 1
	v_cndmask_b32_e64 v14, v53, v6, s[4:5]
; %bb.231:                              ;   in Loop: Header=BB332_12 Depth=1
	s_or_b64 exec, exec, s[22:23]
	v_bfe_u32 v6, v16, 16, 8
	v_cvt_f32_fp8_sdwa v6, v6 src0_sel:BYTE_0
	s_nop 0
	v_mul_f32_e32 v40, v7, v6
	v_and_b32_e32 v6, 0x7f800000, v40
	v_cmp_ne_u32_e64 s[4:5], s17, v6
                                        ; implicit-def: $vgpr6
	s_and_saveexec_b64 s[22:23], s[4:5]
	s_xor_b64 s[4:5], exec, s[22:23]
; %bb.232:                              ;   in Loop: Header=BB332_12 Depth=1
	v_bfe_u32 v6, v40, 16, 1
	v_add3_u32 v6, v40, v6, s24
                                        ; implicit-def: $vgpr40
; %bb.233:                              ;   in Loop: Header=BB332_12 Depth=1
	s_andn2_saveexec_b64 s[22:23], s[4:5]
; %bb.234:                              ;   in Loop: Header=BB332_12 Depth=1
	v_or_b32_e32 v6, 0x10000, v40
	v_cmp_eq_u32_sdwa s[4:5], v40, v25 src0_sel:WORD_0 src1_sel:DWORD
	s_nop 1
	v_cndmask_b32_e64 v6, v6, v40, s[4:5]
; %bb.235:                              ;   in Loop: Header=BB332_12 Depth=1
	s_or_b64 exec, exec, s[22:23]
	v_lshrrev_b32_e32 v16, 24, v16
	v_cvt_f32_fp8_sdwa v16, v16 src0_sel:BYTE_0
	s_nop 0
	v_mul_f32_e32 v40, v7, v16
	v_and_b32_e32 v16, 0x7f800000, v40
	v_cmp_ne_u32_e64 s[4:5], s17, v16
                                        ; implicit-def: $vgpr16
	s_and_saveexec_b64 s[22:23], s[4:5]
	s_xor_b64 s[4:5], exec, s[22:23]
; %bb.236:                              ;   in Loop: Header=BB332_12 Depth=1
	v_bfe_u32 v16, v40, 16, 1
	v_add3_u32 v16, v40, v16, s24
                                        ; implicit-def: $vgpr40
; %bb.237:                              ;   in Loop: Header=BB332_12 Depth=1
	s_andn2_saveexec_b64 s[22:23], s[4:5]
; %bb.238:                              ;   in Loop: Header=BB332_12 Depth=1
	v_or_b32_e32 v16, 0x10000, v40
	v_cmp_eq_u32_sdwa s[4:5], v40, v25 src0_sel:WORD_0 src1_sel:DWORD
	s_nop 1
	v_cndmask_b32_e64 v16, v16, v40, s[4:5]
; %bb.239:                              ;   in Loop: Header=BB332_12 Depth=1
	s_or_b64 exec, exec, s[22:23]
	flat_load_dword v40, v[46:47] offset:3584
	s_waitcnt vmcnt(0) lgkmcnt(0)
	v_and_b32_e32 v41, 0xff, v40
	v_cvt_f32_fp8_sdwa v41, v41 src0_sel:BYTE_0
	s_nop 0
	v_mul_f32_e32 v41, v7, v41
	v_and_b32_e32 v46, 0x7f800000, v41
	v_cmp_ne_u32_e64 s[4:5], s17, v46
                                        ; implicit-def: $vgpr46
	s_and_saveexec_b64 s[22:23], s[4:5]
	s_xor_b64 s[4:5], exec, s[22:23]
; %bb.240:                              ;   in Loop: Header=BB332_12 Depth=1
	v_bfe_u32 v46, v41, 16, 1
	v_add3_u32 v46, v41, v46, s24
                                        ; implicit-def: $vgpr41
; %bb.241:                              ;   in Loop: Header=BB332_12 Depth=1
	s_andn2_saveexec_b64 s[22:23], s[4:5]
; %bb.242:                              ;   in Loop: Header=BB332_12 Depth=1
	v_or_b32_e32 v46, 0x10000, v41
	v_cmp_eq_u32_sdwa s[4:5], v41, v25 src0_sel:WORD_0 src1_sel:DWORD
	s_nop 1
	v_cndmask_b32_e64 v46, v46, v41, s[4:5]
; %bb.243:                              ;   in Loop: Header=BB332_12 Depth=1
	s_or_b64 exec, exec, s[22:23]
	v_bfe_u32 v41, v40, 8, 8
	v_cvt_f32_fp8_sdwa v41, v41 src0_sel:BYTE_0
                                        ; implicit-def: $vgpr59
	s_nop 0
	v_mul_f32_e32 v41, v7, v41
	v_and_b32_e32 v47, 0x7f800000, v41
	v_cmp_ne_u32_e64 s[4:5], s17, v47
	s_and_saveexec_b64 s[22:23], s[4:5]
	s_xor_b64 s[4:5], exec, s[22:23]
; %bb.244:                              ;   in Loop: Header=BB332_12 Depth=1
	v_bfe_u32 v47, v41, 16, 1
	v_add3_u32 v59, v41, v47, s24
                                        ; implicit-def: $vgpr41
; %bb.245:                              ;   in Loop: Header=BB332_12 Depth=1
	s_andn2_saveexec_b64 s[22:23], s[4:5]
; %bb.246:                              ;   in Loop: Header=BB332_12 Depth=1
	v_or_b32_e32 v47, 0x10000, v41
	v_cmp_eq_u32_sdwa s[4:5], v41, v25 src0_sel:WORD_0 src1_sel:DWORD
	s_nop 1
	v_cndmask_b32_e64 v59, v47, v41, s[4:5]
; %bb.247:                              ;   in Loop: Header=BB332_12 Depth=1
	s_or_b64 exec, exec, s[22:23]
	v_bfe_u32 v41, v40, 16, 8
	v_cvt_f32_fp8_sdwa v41, v41 src0_sel:BYTE_0
	s_nop 0
	v_mul_f32_e32 v41, v7, v41
	v_and_b32_e32 v47, 0x7f800000, v41
	v_cmp_ne_u32_e64 s[4:5], s17, v47
                                        ; implicit-def: $vgpr47
	s_and_saveexec_b64 s[22:23], s[4:5]
	s_xor_b64 s[4:5], exec, s[22:23]
; %bb.248:                              ;   in Loop: Header=BB332_12 Depth=1
	v_bfe_u32 v47, v41, 16, 1
	v_add3_u32 v47, v41, v47, s24
                                        ; implicit-def: $vgpr41
; %bb.249:                              ;   in Loop: Header=BB332_12 Depth=1
	s_andn2_saveexec_b64 s[22:23], s[4:5]
; %bb.250:                              ;   in Loop: Header=BB332_12 Depth=1
	v_or_b32_e32 v47, 0x10000, v41
	v_cmp_eq_u32_sdwa s[4:5], v41, v25 src0_sel:WORD_0 src1_sel:DWORD
	s_nop 1
	v_cndmask_b32_e64 v47, v47, v41, s[4:5]
; %bb.251:                              ;   in Loop: Header=BB332_12 Depth=1
	s_or_b64 exec, exec, s[22:23]
	v_lshrrev_b32_e32 v40, 24, v40
	v_cvt_f32_fp8_sdwa v40, v40 src0_sel:BYTE_0
	s_nop 0
	v_mul_f32_e32 v40, v7, v40
	v_and_b32_e32 v7, 0x7f800000, v40
	v_cmp_ne_u32_e64 s[4:5], s17, v7
                                        ; implicit-def: $vgpr7
	s_and_saveexec_b64 s[22:23], s[4:5]
	s_xor_b64 s[4:5], exec, s[22:23]
; %bb.252:                              ;   in Loop: Header=BB332_12 Depth=1
	v_bfe_u32 v7, v40, 16, 1
	v_add3_u32 v7, v40, v7, s24
                                        ; implicit-def: $vgpr40
; %bb.253:                              ;   in Loop: Header=BB332_12 Depth=1
	s_or_saveexec_b64 s[22:23], s[4:5]
	v_accvgpr_write_b32 a33, v15
	s_xor_b64 exec, exec, s[22:23]
; %bb.254:                              ;   in Loop: Header=BB332_12 Depth=1
	v_or_b32_e32 v7, 0x10000, v40
	v_cmp_eq_u32_sdwa s[4:5], v40, v25 src0_sel:WORD_0 src1_sel:DWORD
	s_nop 1
	v_cndmask_b32_e64 v7, v7, v40, s[4:5]
; %bb.255:                              ;   in Loop: Header=BB332_12 Depth=1
	s_or_b64 exec, exec, s[22:23]
	v_lshlrev_b32_e32 v56, 16, v36
	v_lshlrev_b32_e32 v19, 16, v37
	;; [unrolled: 1-line block ×4, first 2 shown]
	v_and_b32_e32 v42, 0xffff0000, v36
	v_and_b32_e32 v43, 0xffff0000, v37
	;; [unrolled: 1-line block ×4, first 2 shown]
	v_lshlrev_b32_e32 v55, 16, v32
	v_lshlrev_b32_e32 v20, 16, v33
	;; [unrolled: 1-line block ×3, first 2 shown]
	v_and_b32_e32 v17, 0xffff0000, v32
	v_and_b32_e32 v61, 0xffff0000, v33
	;; [unrolled: 1-line block ×3, first 2 shown]
	v_lshlrev_b32_e32 v26, 16, v29
	v_and_b32_e32 v12, 0xffff0000, v29
	v_lshlrev_b32_e32 v39, 16, v2
	v_lshlrev_b32_e32 v36, 16, v3
	;; [unrolled: 1-line block ×4, first 2 shown]
	v_and_b32_e32 v38, 0xffff0000, v2
	v_and_b32_e32 v37, 0xffff0000, v3
	v_and_b32_e32 v35, 0xffff0000, v4
	v_and_b32_e32 v32, 0xffff0000, v5
	v_accvgpr_read_b32 v2, a42
	v_accvgpr_read_b32 v5, a45
	v_lshlrev_b32_e32 v10, 16, v48
	v_lshlrev_b32_e32 v52, 16, v50
	v_and_b32_e32 v27, 0xffff0000, v48
	v_and_b32_e32 v18, 0xffff0000, v50
	v_lshlrev_b32_e32 v23, 16, v34
	v_and_b32_e32 v54, 0xffff0000, v34
	v_lshlrev_b32_e32 v48, 16, v31
	;; [unrolled: 2-line block ×3, first 2 shown]
	v_and_b32_e32 v34, 0xffff0000, v2
	v_and_b32_e32 v2, 0xffff0000, v5
	v_accvgpr_read_b32 v3, a43
	v_accvgpr_read_b32 v4, a44
	v_accvgpr_write_b32 a43, v2
	v_accvgpr_read_b32 v2, a49
	v_lshlrev_b32_e32 v22, 16, v28
	v_lshlrev_b32_e32 v41, 16, v30
	v_and_b32_e32 v53, 0xffff0000, v28
	v_and_b32_e32 v40, 0xffff0000, v30
	v_lshlrev_b32_e32 v28, 16, v3
	v_and_b32_e32 v30, 0xffff0000, v3
	v_and_b32_e32 v2, 0xffff0000, v2
	v_accvgpr_read_b32 v3, a41
	v_lshlrev_b32_e32 v15, 16, v4
	v_mul_f32_e32 v2, v52, v2
	v_and_b32_e32 v3, 0xffff0000, v3
	v_accvgpr_write_b32 a44, v15
	v_lshlrev_b32_e32 v15, 16, v5
	v_fmac_f32_e32 v2, v10, v3
	v_accvgpr_read_b32 v3, a50
	v_accvgpr_write_b32 a42, v15
	v_and_b32_e32 v15, 0xffff0000, v4
	v_and_b32_e32 v3, 0xffff0000, v3
	v_accvgpr_read_b32 v4, a46
	v_mul_f32_e32 v3, v18, v3
	v_and_b32_e32 v4, 0xffff0000, v4
	v_fmac_f32_e32 v3, v27, v4
	v_accvgpr_read_b32 v4, a51
	v_lshlrev_b32_e32 v63, 16, v51
	v_and_b32_e32 v4, 0xffff0000, v4
	v_accvgpr_read_b32 v5, a47
	v_lshlrev_b32_e32 v11, 16, v49
	v_mul_f32_e32 v4, v63, v4
	v_and_b32_e32 v5, 0xffff0000, v5
	v_fmac_f32_e32 v4, v11, v5
	v_accvgpr_read_b32 v5, a52
	v_and_b32_e32 v51, 0xffff0000, v51
	v_and_b32_e32 v5, 0xffff0000, v5
	v_accvgpr_read_b32 v10, a48
	v_and_b32_e32 v49, 0xffff0000, v49
	v_mul_f32_e32 v5, v51, v5
	v_and_b32_e32 v10, 0xffff0000, v10
	v_fmac_f32_e32 v5, v49, v10
	v_accvgpr_read_b32 v10, a53
	v_and_b32_e32 v10, 0xffff0000, v10
	v_fmac_f32_e32 v2, v56, v10
	v_accvgpr_read_b32 v10, a54
	;; [unrolled: 3-line block ×12, first 2 shown]
	v_and_b32_e32 v0, 0xffff0000, v0
	v_fmac_f32_e32 v5, v61, v0
	scratch_load_dword v61, off, s32 offset:240 ; 4-byte Folded Reload
	v_accvgpr_read_b32 v0, a1
	v_and_b32_e32 v0, 0xffff0000, v0
	v_fmac_f32_e32 v2, v23, v0
	v_accvgpr_read_b32 v0, a24
	v_and_b32_e32 v0, 0xffff0000, v0
	v_fmac_f32_e32 v3, v54, v0
	;; [unrolled: 3-line block ×8, first 2 shown]
	v_accvgpr_read_b32 v0, a35
	v_and_b32_e32 v26, 0xffff0000, v0
	v_accvgpr_read_b32 v0, a31
	v_and_b32_e32 v53, 0xffff0000, v0
	;; [unrolled: 2-line block ×4, first 2 shown]
	v_accvgpr_read_b32 v0, a28
	v_accvgpr_read_b32 v43, a14
	v_and_b32_e32 v17, 0xffff0000, v0
	v_accvgpr_read_b32 v0, a9
	v_accvgpr_read_b32 v10, a25
	;; [unrolled: 1-line block ×3, first 2 shown]
	v_and_b32_e32 v43, 0xffff0000, v43
	v_and_b32_e32 v51, 0xffff0000, v46
	;; [unrolled: 1-line block ×6, first 2 shown]
	v_accvgpr_read_b32 v0, a11
	v_and_b32_e32 v14, 0xffff0000, v10
	v_accvgpr_read_b32 v10, a32
	v_and_b32_e32 v18, 0xffff0000, v18
	v_fmac_f32_e32 v3, v40, v43
	v_and_b32_e32 v1, 0xffff0000, v0
	v_accvgpr_read_b32 v0, a7
	v_accvgpr_read_b32 v8, a13
	v_and_b32_e32 v10, 0xffff0000, v10
	v_accvgpr_read_b32 v52, a19
	v_accvgpr_read_b32 v56, a30
	v_fmac_f32_e32 v3, v38, v18
	v_and_b32_e32 v20, 0xffff0000, v0
	v_accvgpr_read_b32 v0, a6
	v_and_b32_e32 v21, 0xffff0000, v8
	v_accvgpr_read_b32 v13, a17
	v_accvgpr_read_b32 v19, a20
	;; [unrolled: 1-line block ×3, first 2 shown]
	v_and_b32_e32 v52, 0xffff0000, v52
	v_and_b32_e32 v56, 0xffff0000, v56
	v_fmac_f32_e32 v3, v35, v10
	v_and_b32_e32 v55, 0xffff0000, v0
	v_accvgpr_read_b32 v0, a4
	v_accvgpr_read_b32 v8, a8
	;; [unrolled: 1-line block ×4, first 2 shown]
	v_and_b32_e32 v13, 0xffff0000, v13
	v_and_b32_e32 v19, 0xffff0000, v19
	;; [unrolled: 1-line block ×3, first 2 shown]
	v_fmac_f32_e32 v2, v41, v56
	v_fmac_f32_e32 v5, v50, v52
	;; [unrolled: 1-line block ×3, first 2 shown]
	v_and_b32_e32 v49, 0xffff0000, v59
	v_and_b32_e32 v59, 0xffff0000, v0
	v_accvgpr_read_b32 v0, a5
	v_and_b32_e32 v42, 0xffff0000, v8
	v_accvgpr_read_b32 v8, a38
	v_and_b32_e32 v11, 0xffff0000, v11
	v_and_b32_e32 v12, 0xffff0000, v12
	v_fmac_f32_e32 v4, v48, v27
	v_fmac_f32_e32 v2, v39, v19
	;; [unrolled: 1-line block ×4, first 2 shown]
	v_accvgpr_read_b32 v15, a33
	v_and_b32_e32 v0, 0xffff0000, v0
	v_and_b32_e32 v8, 0xffff0000, v8
	v_fmac_f32_e32 v4, v36, v12
	v_fmac_f32_e32 v2, v33, v11
	v_fmac_f32_e32 v5, v32, v14
	ds_read_b128 v[10:13], v15 offset:102
	v_fmac_f32_e32 v4, v29, v8
	v_fmac_f32_e32 v2, v31, v42
	;; [unrolled: 1-line block ×3, first 2 shown]
	v_accvgpr_read_b32 v0, a44
	v_fmac_f32_e32 v4, v28, v59
	v_fmac_f32_e32 v2, v0, v55
	v_accvgpr_read_b32 v0, a42
	s_waitcnt vmcnt(0)
	v_and_b32_e32 v56, 64, v61
	v_fmac_f32_e32 v4, v0, v23
	v_accvgpr_read_b32 v0, a43
	v_xor_b32_e32 v41, 1, v61
	v_add_u32_e32 v56, 64, v56
	v_accvgpr_read_b32 v63, a39
	v_fmac_f32_e32 v5, v0, v1
	ds_read_u16 v0, v15 offset:118
	v_cmp_lt_i32_e64 s[4:5], v41, v56
	v_lshlrev_b32_e32 v56, 16, v63
	v_accvgpr_read_b32 v57, a40
	v_and_b32_e32 v63, 0xffff0000, v63
	s_waitcnt lgkmcnt(1)
	v_lshlrev_b32_e32 v1, 16, v10
	v_lshlrev_b32_e32 v57, 16, v57
	v_fmac_f32_e32 v2, v56, v17
	v_fmac_f32_e32 v3, v63, v54
	v_fmac_f32_e32 v5, v1, v22
	v_and_b32_e32 v1, 0xffff0000, v10
	v_lshlrev_b32_e32 v8, 16, v11
	v_fmac_f32_e32 v4, v57, v53
	v_fmac_f32_e32 v2, v1, v26
	;; [unrolled: 1-line block ×3, first 2 shown]
	v_and_b32_e32 v1, 0xffff0000, v11
	v_lshlrev_b32_e32 v8, 16, v12
	v_fmac_f32_e32 v4, v1, v46
	v_fmac_f32_e32 v5, v8, v6
	v_and_b32_e32 v1, 0xffff0000, v12
	v_lshlrev_b32_e32 v6, 16, v13
	v_cndmask_b32_e64 v41, v61, v41, s[4:5]
	v_and_b32_e32 v47, 0xffff0000, v47
	v_and_b32_e32 v61, 0xffff0000, v7
	v_fmac_f32_e32 v2, v1, v51
	v_fmac_f32_e32 v3, v6, v49
	v_and_b32_e32 v1, 0xffff0000, v13
	s_waitcnt lgkmcnt(0)
	v_lshlrev_b32_e32 v0, 16, v0
	v_fmac_f32_e32 v4, v1, v47
	v_fmac_f32_e32 v5, v0, v61
	v_add_f32_e32 v0, v2, v3
	v_add_f32_e32 v0, v0, v4
	v_lshlrev_b32_e32 v7, 2, v41
	v_add_f32_e32 v0, v5, v0
	ds_bpermute_b32 v1, v7, v0
	s_and_saveexec_b64 s[22:23], vcc
	s_cbranch_execz .LBB332_10
; %bb.256:                              ;   in Loop: Header=BB332_12 Depth=1
	scratch_load_dword v2, off, s32 offset:260 ; 4-byte Folded Reload
	scratch_load_dword v3, off, s32 offset:264 ; 4-byte Folded Reload
	scratch_load_dword v4, off, s32 offset:252 ; 4-byte Folded Reload
	s_waitcnt lgkmcnt(0)
	v_add_f32_e32 v0, v0, v1
	scratch_load_dword v1, off, s32 offset:256 ; 4-byte Folded Reload
	s_load_dword s4, s[12:13], 0x0
	s_waitcnt vmcnt(3)
	v_add_u32_e32 v2, v2, v58
	v_cvt_f32_i32_e32 v2, v2
	s_waitcnt vmcnt(2)
	v_add_u32_e32 v3, v3, v58
	s_waitcnt vmcnt(1)
	v_mul_f32_e32 v2, v4, v2
	v_cndmask_b32_e64 v2, 0, v2, s[2:3]
	s_waitcnt vmcnt(0)
	v_fmac_f32_e32 v2, v0, v1
	v_accvgpr_read_b32 v0, a3
	s_waitcnt lgkmcnt(0)
	v_add_u32_e32 v4, s4, v62
	v_cmp_lt_i32_e64 s[4:5], v3, v0
	s_nop 1
	v_cndmask_b32_e64 v0, 0, v2, s[4:5]
	ds_write_b32 v4, v0
	v_max_f32_e32 v0, v9, v9
	v_max_f32_e32 v0, v0, v2
	v_cndmask_b32_e64 v9, v9, v0, s[4:5]
	s_branch .LBB332_10
.LBB332_257:
	s_or_b64 exec, exec, s[20:21]
	scratch_load_dword v16, off, s32 offset:268 ; 4-byte Folded Reload
	scratch_load_dwordx2 v[10:11], off, s32 offset:328 ; 8-byte Folded Reload
	scratch_load_dword v26, off, s32 offset:324 ; 4-byte Folded Reload
	scratch_load_dwordx2 v[22:23], off, s32 offset:308 ; 8-byte Folded Reload
	scratch_load_dwordx2 v[30:31], off, s32 offset:316 ; 8-byte Folded Reload
	;; [unrolled: 1-line block ×3, first 2 shown]
	scratch_load_dword v31, off, s32 offset:296 ; 4-byte Folded Reload
	scratch_load_dword v27, off, s32 offset:284 ; 4-byte Folded Reload
	scratch_load_dwordx2 v[34:35], off, s32 offset:288 ; 8-byte Folded Reload
	v_mbcnt_lo_u32_b32 v6, -1, 0
.LBB332_258:
	s_or_b64 exec, exec, s[8:9]
	s_waitcnt lgkmcnt(0)
	v_mbcnt_hi_u32_b32 v1, -1, v6
	v_and_b32_e32 v0, 64, v1
	v_add_u32_e32 v8, 64, v0
	v_xor_b32_e32 v0, 32, v1
	v_cmp_lt_i32_e32 vcc, v0, v8
	v_xor_b32_e32 v4, 16, v1
	v_max_f32_e32 v3, v9, v9
	v_cndmask_b32_e32 v0, v1, v0, vcc
	v_lshlrev_b32_e32 v2, 2, v0
	ds_bpermute_b32 v0, v2, v9
	v_cmp_lt_i32_e32 vcc, v4, v8
	v_xor_b32_e32 v5, 8, v1
	v_xor_b32_e32 v6, 4, v1
	;; [unrolled: 1-line block ×3, first 2 shown]
	s_waitcnt lgkmcnt(0)
	v_max_f32_e32 v0, v0, v0
	v_max_f32_e32 v0, v3, v0
	v_cndmask_b32_e32 v3, v1, v4, vcc
	v_lshlrev_b32_e32 v3, 2, v3
	ds_bpermute_b32 v4, v3, v0
	v_cmp_lt_i32_e32 vcc, v5, v8
	s_lshr_b32 s19, s19, 16
	s_waitcnt lgkmcnt(0)
	v_max_f32_e32 v4, v4, v4
	v_max_f32_e32 v0, v0, v4
	v_cndmask_b32_e32 v4, v1, v5, vcc
	v_lshlrev_b32_e32 v4, 2, v4
	ds_bpermute_b32 v5, v4, v0
	v_cmp_lt_i32_e32 vcc, v6, v8
	s_waitcnt lgkmcnt(0)
	v_max_f32_e32 v5, v5, v5
	v_max_f32_e32 v0, v0, v5
	v_cndmask_b32_e32 v5, v1, v6, vcc
	v_lshlrev_b32_e32 v5, 2, v5
	ds_bpermute_b32 v6, v5, v0
	v_cmp_lt_i32_e32 vcc, v9, v8
	s_waitcnt lgkmcnt(0)
	v_max_f32_e32 v6, v6, v6
	v_max_f32_e32 v7, v0, v6
	v_cndmask_b32_e32 v0, v1, v9, vcc
	v_lshlrev_b32_e32 v57, 2, v0
	ds_bpermute_b32 v9, v57, v7
	s_waitcnt vmcnt(8)
	v_and_b32_e32 v0, 63, v16
	v_accvgpr_read_b32 v6, a12
	v_cmp_eq_u32_e32 vcc, 0, v0
	v_lshlrev_b32_e32 v6, 2, v6
	s_and_saveexec_b64 s[2:3], vcc
	s_cbranch_execz .LBB332_260
; %bb.259:
	s_waitcnt lgkmcnt(0)
	v_max_f32_e32 v9, v9, v9
	v_max_f32_e32 v7, v7, v7
	;; [unrolled: 1-line block ×3, first 2 shown]
	ds_write_b32 v6, v7 offset:240
.LBB332_260:
	s_or_b64 exec, exec, s[2:3]
	v_cmp_gt_u32_e64 s[2:3], 2, v0
	s_waitcnt lgkmcnt(0)
	v_mov_b32_e32 v9, 0xff7fffff
	v_lshlrev_b32_e32 v7, 2, v0
	s_barrier
	s_and_saveexec_b64 s[4:5], s[2:3]
	s_cbranch_execz .LBB332_262
; %bb.261:
	ds_read_b32 v9, v7 offset:240
.LBB332_262:
	s_or_b64 exec, exec, s[4:5]
	v_xor_b32_e32 v12, 1, v1
	v_cmp_lt_i32_e64 s[4:5], v12, v8
	v_mov_b32_e32 v14, 0
	s_nop 0
	v_cndmask_b32_e64 v8, v1, v12, s[4:5]
	v_lshlrev_b32_e32 v17, 2, v8
	s_waitcnt lgkmcnt(0)
	ds_bpermute_b32 v8, v17, v9
	v_max_f32_e32 v9, v9, v9
	v_lshlrev_b32_e32 v1, 2, v1
	v_accvgpr_read_b32 v12, a3
	s_waitcnt lgkmcnt(0)
	v_max_f32_e32 v8, v8, v8
	v_max_f32_e32 v9, v9, v8
	v_and_b32_e32 v8, 0x100, v1
	scratch_load_dword v1, off, s32 offset:192 ; 4-byte Folded Reload
	ds_bpermute_b32 v9, v8, v9
	s_waitcnt vmcnt(0)
	v_lshlrev_b32_e32 v1, 5, v1
	v_min_i32_e32 v1, v1, v12
	v_cmp_lt_i32_e64 s[4:5], v16, v1
	s_and_saveexec_b64 s[8:9], s[4:5]
	s_cbranch_execz .LBB332_266
; %bb.263:
	s_ashr_i32 s17, s16, 31
	s_lshl_b64 s[6:7], s[16:17], 2
	s_getpc_b64 s[12:13]
	s_add_u32 s12, s12, llvm.amdgcn.dynlds.offset.table@rel32@lo+4
	s_addc_u32 s13, s13, llvm.amdgcn.dynlds.offset.table@rel32@hi+12
	s_add_u32 s6, s6, s12
	s_addc_u32 s7, s7, s13
	s_load_dword s6, s[6:7], 0x0
	s_mov_b64 s[12:13], 0
	v_mov_b32_e32 v14, 0
	v_mov_b32_e32 v12, v16
	s_waitcnt lgkmcnt(0)
	v_lshl_add_u32 v15, v16, 2, s6
.LBB332_264:                            ; =>This Inner Loop Header: Depth=1
	ds_read_b32 v13, v15
	v_add_u32_e32 v12, 0x80, v12
	v_cmp_ge_i32_e64 s[6:7], v12, v1
	s_or_b64 s[12:13], s[6:7], s[12:13]
	s_waitcnt lgkmcnt(0)
	v_sub_f32_e32 v13, v13, v9
	v_mul_f32_e32 v13, 0x3fb8aa3b, v13
	v_exp_f32_e32 v13, v13
	ds_write_b32 v15, v13
	v_add_f32_e32 v14, v14, v13
	v_add_u32_e32 v15, 0x200, v15
	s_andn2_b64 exec, exec, s[12:13]
	s_cbranch_execnz .LBB332_264
; %bb.265:
	s_or_b64 exec, exec, s[12:13]
.LBB332_266:
	s_or_b64 exec, exec, s[8:9]
	ds_bpermute_b32 v2, v2, v14
	s_waitcnt lgkmcnt(0)
	v_add_f32_e32 v2, v14, v2
	ds_bpermute_b32 v3, v3, v2
	s_waitcnt lgkmcnt(0)
	v_add_f32_e32 v2, v2, v3
	;; [unrolled: 3-line block ×6, first 2 shown]
	s_and_saveexec_b64 s[6:7], vcc
	s_cbranch_execz .LBB332_268
; %bb.267:
	ds_write_b32 v6, v2 offset:248
.LBB332_268:
	s_or_b64 exec, exec, s[6:7]
	s_waitcnt lgkmcnt(0)
	s_barrier
	s_and_saveexec_b64 s[6:7], s[2:3]
	s_cbranch_execz .LBB332_270
; %bb.269:
	ds_read_b32 v2, v7 offset:248
.LBB332_270:
	s_or_b64 exec, exec, s[6:7]
	s_waitcnt lgkmcnt(0)
	ds_bpermute_b32 v3, v17, v2
	s_waitcnt lgkmcnt(0)
	v_add_f32_e32 v2, v2, v3
	ds_bpermute_b32 v2, v8, v2
	s_and_saveexec_b64 s[2:3], s[4:5]
	s_cbranch_execz .LBB332_283
; %bb.271:
	s_waitcnt lgkmcnt(0)
	v_add_f32_e32 v2, 0x358637bd, v2
	v_div_scale_f32 v3, s[4:5], v2, v2, 1.0
	v_rcp_f32_e32 v4, v3
	v_div_scale_f32 v5, vcc, 1.0, v2, 1.0
	s_movk_i32 s4, 0x7f
	v_fma_f32 v6, -v3, v4, 1.0
	v_fmac_f32_e32 v4, v6, v4
	v_mul_f32_e32 v6, v5, v4
	v_fma_f32 v7, -v3, v6, v5
	v_fmac_f32_e32 v6, v7, v4
	v_fma_f32 v3, -v3, v6, v5
	v_div_fmas_f32 v3, v3, v4, v6
	v_xad_u32 v4, v16, -1, v1
	v_div_fixup_f32 v2, v3, v2, 1.0
	v_cmp_lt_u32_e32 vcc, s4, v4
	s_mov_b64 s[6:7], -1
	v_mov_b32_e32 v3, v16
	s_and_saveexec_b64 s[4:5], vcc
	s_cbranch_execz .LBB332_280
; %bb.272:
	v_lshrrev_b32_e32 v4, 7, v4
	v_add_u32_e32 v6, -1, v4
	v_lshrrev_b32_e32 v5, 1, v6
	v_mov_b32_e32 v3, v2
	v_add_u32_e32 v5, 1, v5
	v_cmp_lt_u32_e32 vcc, 13, v6
	v_mov_b32_e32 v8, 0
	s_and_saveexec_b64 s[6:7], vcc
	s_cbranch_execz .LBB332_276
; %bb.273:
	s_ashr_i32 s17, s16, 31
	s_lshl_b64 s[8:9], s[16:17], 2
	s_getpc_b64 s[12:13]
	s_add_u32 s12, s12, llvm.amdgcn.dynlds.offset.table@rel32@lo+4
	s_addc_u32 s13, s13, llvm.amdgcn.dynlds.offset.table@rel32@hi+12
	s_add_u32 s8, s8, s12
	s_addc_u32 s9, s9, s13
	s_load_dword s8, s[8:9], 0x0
	v_and_b32_e32 v6, -8, v5
	s_mov_b32 s12, 0
	s_waitcnt lgkmcnt(0)
	v_lshl_add_u32 v7, v16, 2, s8
	s_mov_b64 s[8:9], 0
.LBB332_274:                            ; =>This Inner Loop Header: Depth=1
	ds_read2st64_b32 v[8:9], v7 offset1:2
	ds_read2st64_b32 v[18:19], v7 offset0:4 offset1:6
	ds_read2st64_b32 v[12:13], v7 offset0:8 offset1:10
	;; [unrolled: 1-line block ×3, first 2 shown]
	v_add_u32_e32 v6, -8, v6
	s_waitcnt lgkmcnt(3)
	v_pk_mul_f32 v[8:9], v[2:3], v[8:9]
	s_waitcnt lgkmcnt(2)
	v_pk_mul_f32 v[18:19], v[2:3], v[18:19]
	ds_write2st64_b32 v7, v8, v9 offset1:2
	ds_write2st64_b32 v7, v18, v19 offset0:4 offset1:6
	s_waitcnt lgkmcnt(3)
	v_pk_mul_f32 v[8:9], v[2:3], v[12:13]
	ds_read2st64_b32 v[12:13], v7 offset0:16 offset1:18
	ds_write2st64_b32 v7, v8, v9 offset0:8 offset1:10
	s_waitcnt lgkmcnt(4)
	v_pk_mul_f32 v[8:9], v[2:3], v[14:15]
	ds_write2st64_b32 v7, v8, v9 offset0:12 offset1:14
	ds_read2st64_b32 v[8:9], v7 offset0:20 offset1:22
	s_waitcnt lgkmcnt(3)
	v_pk_mul_f32 v[14:15], v[2:3], v[12:13]
	ds_read2st64_b32 v[12:13], v7 offset0:24 offset1:26
	ds_write2st64_b32 v7, v14, v15 offset0:16 offset1:18
	ds_read2st64_b32 v[14:15], v7 offset0:28 offset1:30
	s_waitcnt lgkmcnt(3)
	v_pk_mul_f32 v[8:9], v[2:3], v[8:9]
	ds_write2st64_b32 v7, v8, v9 offset0:20 offset1:22
	s_waitcnt lgkmcnt(3)
	v_pk_mul_f32 v[8:9], v[2:3], v[12:13]
	ds_write2st64_b32 v7, v8, v9 offset0:24 offset1:26
	s_waitcnt lgkmcnt(2)
	v_pk_mul_f32 v[8:9], v[2:3], v[14:15]
	s_add_i32 s12, s12, 16
	v_cmp_eq_u32_e32 vcc, 0, v6
	ds_write2st64_b32 v7, v8, v9 offset0:28 offset1:30
	v_add_u32_e32 v7, 0x2000, v7
	s_or_b64 s[8:9], vcc, s[8:9]
	v_mov_b32_e32 v8, s12
	s_andn2_b64 exec, exec, s[8:9]
	s_cbranch_execnz .LBB332_274
; %bb.275:
	s_or_b64 exec, exec, s[8:9]
.LBB332_276:
	s_or_b64 exec, exec, s[6:7]
	v_and_b32_e32 v5, 7, v5
	v_cmp_ne_u32_e32 vcc, 0, v5
	s_and_saveexec_b64 s[6:7], vcc
	s_cbranch_execz .LBB332_279
; %bb.277:
	s_ashr_i32 s17, s16, 31
	s_lshl_b64 s[8:9], s[16:17], 2
	s_getpc_b64 s[12:13]
	s_add_u32 s12, s12, llvm.amdgcn.dynlds.offset.table@rel32@lo+4
	s_addc_u32 s13, s13, llvm.amdgcn.dynlds.offset.table@rel32@hi+12
	s_add_u32 s8, s8, s12
	s_addc_u32 s9, s9, s13
	s_load_dword s8, s[8:9], 0x0
	v_lshlrev_b32_e32 v6, 9, v8
	v_lshlrev_b32_e32 v7, 2, v16
	s_waitcnt lgkmcnt(0)
	v_add3_u32 v6, v6, v7, s8
	s_mov_b64 s[8:9], 0
.LBB332_278:                            ; =>This Inner Loop Header: Depth=1
	ds_read2st64_b32 v[8:9], v6 offset1:2
	v_add_u32_e32 v5, -1, v5
	v_cmp_eq_u32_e32 vcc, 0, v5
	s_or_b64 s[8:9], vcc, s[8:9]
	s_waitcnt lgkmcnt(0)
	v_pk_mul_f32 v[8:9], v[2:3], v[8:9]
	ds_write2st64_b32 v6, v8, v9 offset1:2
	v_add_u32_e32 v6, 0x400, v6
	s_andn2_b64 exec, exec, s[8:9]
	s_cbranch_execnz .LBB332_278
.LBB332_279:
	s_or_b64 exec, exec, s[6:7]
	v_add_u32_e32 v4, 1, v4
	v_and_b32_e32 v5, 0x3fffffe, v4
	v_cmp_ne_u32_e32 vcc, v4, v5
	v_lshl_add_u32 v3, v5, 7, v16
	s_orn2_b64 s[6:7], vcc, exec
.LBB332_280:
	s_or_b64 exec, exec, s[4:5]
	s_and_b64 exec, exec, s[6:7]
	s_cbranch_execz .LBB332_283
; %bb.281:
	s_ashr_i32 s17, s16, 31
	s_lshl_b64 s[4:5], s[16:17], 2
	s_getpc_b64 s[6:7]
	s_add_u32 s6, s6, llvm.amdgcn.dynlds.offset.table@rel32@lo+4
	s_addc_u32 s7, s7, llvm.amdgcn.dynlds.offset.table@rel32@hi+12
	s_add_u32 s4, s4, s6
	s_addc_u32 s5, s5, s7
	s_load_dword s4, s[4:5], 0x0
	s_waitcnt lgkmcnt(0)
	v_lshl_add_u32 v4, v3, 2, s4
	s_mov_b64 s[4:5], 0
.LBB332_282:                            ; =>This Inner Loop Header: Depth=1
	ds_read_b32 v5, v4
	v_add_u32_e32 v3, 0x80, v3
	v_cmp_ge_i32_e32 vcc, v3, v1
	s_or_b64 s[4:5], vcc, s[4:5]
	s_waitcnt lgkmcnt(0)
	v_mul_f32_e32 v5, v2, v5
	ds_write_b32 v4, v5
	v_add_u32_e32 v4, 0x200, v4
	s_andn2_b64 exec, exec, s[4:5]
	s_cbranch_execnz .LBB332_282
.LBB332_283:
	s_or_b64 exec, exec, s[2:3]
	v_mov_b32_e32 v21, 0
	v_lshrrev_b32_e32 v19, 2, v0
	v_and_b32_e32 v18, 3, v16
	v_mov_b32_e32 v20, 0
	v_mov_b32_e32 v15, 0
	v_mov_b32_e32 v14, 0
	v_mov_b32_e32 v25, 0
	v_mov_b32_e32 v24, 0
	v_mov_b32_e32 v29, 0
	v_mov_b32_e32 v28, 0
	s_waitcnt lgkmcnt(0)
	s_barrier
	s_and_saveexec_b64 s[4:5], s[0:1]
	s_cbranch_execz .LBB332_851
; %bb.284:
	v_lshl_add_u64 v[0:1], v[22:23], 0, v[34:35]
	v_accvgpr_write_b32 a23, v1
	v_accvgpr_write_b32 a22, v0
	scratch_load_dword v1, off, s32 offset:192 ; 4-byte Folded Reload
	v_max_i32_e32 v38, v26, v27
	v_mov_b32_e32 v27, 0
	v_and_b32_e32 v2, 24, v30
	v_mov_b32_e32 v3, v27
	v_lshl_or_b32 v26, v19, 5, v2
	v_accvgpr_write_b32 a20, v2
	v_cvt_f32_u32_e32 v0, v38
	s_movk_i32 s0, 0x78
	s_ashr_i32 s17, s16, 31
	v_accvgpr_write_b32 a15, v17
	v_rcp_iflag_f32_e32 v0, v0
	v_accvgpr_write_b32 a17, v19
	v_accvgpr_write_b32 a16, v18
	s_mov_b64 s[8:9], 0
	v_mul_f32_e32 v0, 0x4f7ffffe, v0
	v_cvt_u32_f32_e32 v0, v0
	s_movk_i32 s24, 0x7fff
	v_mov_b32_e32 v28, v27
	v_mov_b32_e32 v29, v27
	;; [unrolled: 1-line block ×8, first 2 shown]
	s_waitcnt vmcnt(0)
	v_add_u32_e32 v1, -1, v1
	v_accvgpr_write_b32 a21, v1
	v_or_b32_e32 v1, 0x70, v19
	v_lshl_or_b32 v2, v1, 5, v2
	v_accvgpr_write_b32 a25, v3
	v_accvgpr_write_b32 a24, v2
	scratch_load_dword v2, off, s32 offset:280 ; 4-byte Folded Reload
	v_cmp_gt_u32_e32 vcc, s0, v1
	v_sub_u32_e32 v1, 0, v38
	v_mul_lo_u32 v1, v1, v0
	v_mul_hi_u32 v1, v0, v1
	v_add_u32_e32 v0, v0, v1
	v_accvgpr_write_b32 a26, v0
	s_lshl_b64 s[0:1], s[16:17], 2
	v_lshlrev_b32_e32 v0, 5, v18
	v_accvgpr_read_b32 v1, a12
	s_getpc_b64 s[2:3]
	s_add_u32 s2, s2, llvm.amdgcn.dynlds.offset.table@rel32@lo+4
	s_addc_u32 s3, s3, llvm.amdgcn.dynlds.offset.table@rel32@hi+12
	v_lshl_or_b32 v48, v1, 7, v0
	v_and_b32_e32 v0, 60, v31
	v_mov_b32_e32 v1, v27
	s_add_u32 s6, s0, s2
	v_lshl_add_u64 v[0:1], v[32:33], 2, v[0:1]
	s_addc_u32 s7, s1, s3
	v_lshl_add_u64 v[10:11], v[10:11], 0, v[0:1]
	s_mov_b32 s17, 0x7f800000
	s_branch .LBB332_288
.LBB332_285:                            ;   in Loop: Header=BB332_288 Depth=1
	s_or_b64 exec, exec, s[2:3]
	v_and_b32_e32 v42, 0xffff0000, v13
	v_and_b32_e32 v13, 0xffff0000, v3
	;; [unrolled: 1-line block ×8, first 2 shown]
	v_pk_add_f32 v[2:3], v[2:3], v[40:41]
	v_pk_add_f32 v[12:13], v[12:13], v[42:43]
	v_add_f32_e32 v1, v2, v3
	v_add_f32_e32 v1, v1, v12
	v_accvgpr_read_b32 v2, a18
	v_add_f32_e32 v1, v1, v13
	v_accvgpr_read_b32 v3, a19
	v_add_f32_e32 v3, v3, v1
	v_accvgpr_write_b32 a19, v3
	v_accvgpr_write_b32 a18, v2
.LBB332_286:                            ;   in Loop: Header=BB332_288 Depth=1
	s_or_b64 exec, exec, s[20:21]
	v_accvgpr_read_b32 v1, a29
	v_and_b32_e32 v3, 0xffff0000, v1
	v_accvgpr_read_b32 v1, a27
	v_and_b32_e32 v2, 0xffff0000, v1
	;; [unrolled: 2-line block ×4, first 2 shown]
	v_accvgpr_read_b32 v1, a33
	v_pk_add_f32 v[2:3], v[12:13], v[2:3]
	v_and_b32_e32 v13, 0xffff0000, v1
	v_accvgpr_read_b32 v1, a31
	v_and_b32_e32 v12, 0xffff0000, v1
	v_accvgpr_read_b32 v1, a32
	;; [unrolled: 2-line block ×3, first 2 shown]
	v_and_b32_e32 v20, 0xffff0000, v1
	v_pk_add_f32 v[12:13], v[20:21], v[12:13]
	v_add_f32_e32 v1, v2, v3
	v_add_f32_e32 v1, v1, v12
	;; [unrolled: 1-line block ×4, first 2 shown]
	v_accvgpr_read_b32 v1, a41
	v_and_b32_e32 v3, 0xffff0000, v1
	v_accvgpr_read_b32 v1, a39
	v_and_b32_e32 v2, 0xffff0000, v1
	;; [unrolled: 2-line block ×8, first 2 shown]
	v_pk_add_f32 v[20:21], v[40:41], v[20:21]
	v_pk_add_f32 v[2:3], v[12:13], v[2:3]
	v_add_f32_e32 v1, v20, v21
	v_add_f32_e32 v1, v1, v2
	;; [unrolled: 1-line block ×4, first 2 shown]
	v_accvgpr_read_b32 v1, a49
	v_and_b32_e32 v3, 0xffff0000, v1
	v_accvgpr_read_b32 v1, a47
	v_and_b32_e32 v2, 0xffff0000, v1
	;; [unrolled: 2-line block ×8, first 2 shown]
	v_pk_add_f32 v[20:21], v[40:41], v[20:21]
	v_pk_add_f32 v[2:3], v[12:13], v[2:3]
	v_add_f32_e32 v1, v20, v21
	v_add_f32_e32 v1, v1, v2
	;; [unrolled: 1-line block ×4, first 2 shown]
	v_accvgpr_read_b32 v1, a51
	v_and_b32_e32 v2, 0xffff0000, v9
	v_and_b32_e32 v9, 0xffff0000, v8
	;; [unrolled: 1-line block ×3, first 2 shown]
	v_accvgpr_read_b32 v1, a52
	v_and_b32_e32 v21, 0xffff0000, v1
	v_accvgpr_read_b32 v1, a50
	v_and_b32_e32 v20, 0xffff0000, v1
	v_and_b32_e32 v3, 0xffff0000, v50
	;; [unrolled: 1-line block ×4, first 2 shown]
	v_pk_add_f32 v[8:9], v[20:21], v[8:9]
	v_pk_add_f32 v[2:3], v[12:13], v[2:3]
	v_add_f32_e32 v1, v8, v9
	v_add_f32_e32 v1, v1, v2
	v_and_b32_e32 v2, 0xffff0000, v16
	v_and_b32_e32 v13, 0xffff0000, v54
	;; [unrolled: 1-line block ×5, first 2 shown]
	v_add_f32_e32 v1, v1, v3
	v_and_b32_e32 v3, 0xffff0000, v63
	v_and_b32_e32 v9, 0xffff0000, v59
	;; [unrolled: 1-line block ×3, first 2 shown]
	v_pk_add_f32 v[12:13], v[16:17], v[12:13]
	v_add_f32_e32 v25, v25, v1
	v_pk_add_f32 v[2:3], v[8:9], v[2:3]
	v_add_f32_e32 v1, v12, v13
	v_add_f32_e32 v1, v1, v2
	v_add_f32_e32 v1, v1, v3
	v_and_b32_e32 v9, 0xffff0000, v36
	v_and_b32_e32 v8, 0xffff0000, v7
	;; [unrolled: 1-line block ×4, first 2 shown]
	v_add_f32_e32 v14, v14, v1
	v_and_b32_e32 v1, 0xffff0000, v56
	v_and_b32_e32 v0, 0xffff0000, v0
	;; [unrolled: 1-line block ×4, first 2 shown]
	v_pk_add_f32 v[6:7], v[6:7], v[8:9]
	v_pk_add_f32 v[0:1], v[2:3], v[0:1]
	v_add_f32_e32 v2, v6, v7
	v_add_f32_e32 v0, v2, v0
	;; [unrolled: 1-line block ×3, first 2 shown]
	v_and_b32_e32 v7, 0xffff0000, v33
	v_and_b32_e32 v6, 0xffff0000, v5
	v_and_b32_e32 v5, 0xffff0000, v53
	v_and_b32_e32 v4, 0xffff0000, v4
	v_add_f32_e32 v15, v15, v0
	v_and_b32_e32 v1, 0xffff0000, v32
	v_and_b32_e32 v0, 0xffff0000, v30
	;; [unrolled: 1-line block ×4, first 2 shown]
	v_pk_add_f32 v[4:5], v[4:5], v[6:7]
	v_pk_add_f32 v[0:1], v[2:3], v[0:1]
	v_add_f32_e32 v2, v4, v5
	v_add_f32_e32 v0, v2, v0
	v_accvgpr_read_b32 v21, a19
	v_add_f32_e32 v0, v0, v1
	v_accvgpr_read_b32 v20, a18
	v_add_f32_e32 v20, v20, v0
.LBB332_287:                            ;   in Loop: Header=BB332_288 Depth=1
	s_or_b64 exec, exec, s[12:13]
	scratch_load_dword v0, off, s32 offset:192 ; 4-byte Folded Reload
	v_accvgpr_read_b32 v1, a12
	v_add_u32_e32 v1, 2, v1
	v_mov_b32_e32 v2, v52
	v_add_u32_e32 v2, 64, v2
	v_add_u32_e32 v48, 0x100, v48
	v_accvgpr_write_b32 a12, v1
	v_lshl_add_u64 v[10:11], v[10:11], 0, 8
	s_waitcnt vmcnt(0)
	v_cmp_ge_i32_e64 s[0:1], v1, v0
	s_or_b64 s[8:9], s[0:1], s[8:9]
	s_andn2_b64 exec, exec, s[8:9]
	s_cbranch_execz .LBB332_850
.LBB332_288:                            ; =>This Inner Loop Header: Depth=1
	scratch_load_dword v0, off, s32 offset:204 ; 4-byte Folded Reload
	scratch_load_dword v3, off, s32 offset:196 ; 4-byte Folded Reload
	s_waitcnt vmcnt(2)
	v_mov_b32_e32 v52, v2
	v_accvgpr_read_b32 v4, a26
	s_waitcnt vmcnt(1)
	v_mul_hi_u32 v0, v2, v0
	s_waitcnt vmcnt(0)
	v_mul_lo_u32 v1, v0, v3
	v_sub_u32_e32 v1, v2, v1
	v_add_u32_e32 v2, 1, v0
	v_cmp_ge_u32_e64 s[0:1], v1, v3
	s_nop 1
	v_cndmask_b32_e64 v0, v0, v2, s[0:1]
	v_sub_u32_e32 v2, v1, v3
	v_cndmask_b32_e64 v1, v1, v2, s[0:1]
	v_cmp_ge_u32_e64 s[0:1], v1, v3
	scratch_load_dword v1, off, s32 offset:200 ; 4-byte Folded Reload
	v_add_u32_e32 v2, 1, v0
	v_cndmask_b32_e64 v0, v0, v2, s[0:1]
	v_accvgpr_read_b32 v2, a10
	s_waitcnt vmcnt(0)
	v_xor_b32_e32 v0, v0, v1
	v_sub_u32_e32 v0, v0, v1
	v_add_u32_e32 v1, v0, v2
	v_sub_u32_e32 v3, 0, v1
	v_ashrrev_i32_e32 v2, 31, v1
	v_max_i32_e32 v1, v1, v3
	v_mul_hi_u32 v3, v1, v4
	v_mul_lo_u32 v3, v3, v38
	v_sub_u32_e32 v1, v1, v3
	v_sub_u32_e32 v3, v1, v38
	v_cmp_ge_u32_e64 s[0:1], v1, v38
	s_nop 1
	v_cndmask_b32_e64 v1, v1, v3, s[0:1]
	v_sub_u32_e32 v3, v1, v38
	v_cmp_ge_u32_e64 s[0:1], v1, v38
	s_nop 1
	v_cndmask_b32_e64 v1, v1, v3, s[0:1]
	v_xor_b32_e32 v1, v1, v2
	v_sub_u32_e32 v1, v1, v2
	v_cmp_eq_u32_e64 s[0:1], 0, v1
	scratch_load_dword v1, off, s32 offset:208 ; 4-byte Folded Reload
	s_waitcnt vmcnt(0)
	v_cmp_gt_i32_e64 s[2:3], v0, v1
	s_or_b64 s[0:1], s[0:1], s[2:3]
	s_and_saveexec_b64 s[12:13], s[0:1]
	s_cbranch_execz .LBB332_287
; %bb.289:                              ;   in Loop: Header=BB332_288 Depth=1
	v_accvgpr_write_b32 a18, v20
	v_accvgpr_write_b32 a19, v21
	flat_load_dword v21, v[10:11]
	s_load_dword s0, s[6:7], 0x0
                                        ; implicit-def: $vgpr20
	s_waitcnt lgkmcnt(0)
	v_add_u32_e32 v0, s0, v48
	ds_read2_b64 v[6:9], v0 offset1:1
	ds_read2_b64 v[2:5], v0 offset0:2 offset1:3
	s_waitcnt lgkmcnt(0)
	v_and_b32_e32 v0, 0x7f800000, v6
	v_cmp_ne_u32_e64 s[0:1], s17, v0
	s_and_saveexec_b64 s[2:3], s[0:1]
	s_xor_b64 s[0:1], exec, s[2:3]
; %bb.290:                              ;   in Loop: Header=BB332_288 Depth=1
	v_bfe_u32 v0, v6, 16, 1
	v_add3_u32 v20, v6, v0, s24
; %bb.291:                              ;   in Loop: Header=BB332_288 Depth=1
	s_andn2_saveexec_b64 s[2:3], s[0:1]
; %bb.292:                              ;   in Loop: Header=BB332_288 Depth=1
	v_or_b32_e32 v0, 0x10000, v6
	v_cmp_eq_u32_sdwa s[0:1], v6, v27 src0_sel:WORD_0 src1_sel:DWORD
	s_nop 1
	v_cndmask_b32_e64 v20, v0, v6, s[0:1]
; %bb.293:                              ;   in Loop: Header=BB332_288 Depth=1
	s_or_b64 exec, exec, s[2:3]
	v_and_b32_e32 v0, 0x7f800000, v7
	v_cmp_ne_u32_e64 s[0:1], s17, v0
                                        ; implicit-def: $vgpr18
	s_and_saveexec_b64 s[2:3], s[0:1]
	s_xor_b64 s[0:1], exec, s[2:3]
; %bb.294:                              ;   in Loop: Header=BB332_288 Depth=1
	v_bfe_u32 v0, v7, 16, 1
	v_add3_u32 v18, v7, v0, s24
; %bb.295:                              ;   in Loop: Header=BB332_288 Depth=1
	s_andn2_saveexec_b64 s[2:3], s[0:1]
; %bb.296:                              ;   in Loop: Header=BB332_288 Depth=1
	v_or_b32_e32 v0, 0x10000, v7
	v_cmp_eq_u32_sdwa s[0:1], v7, v27 src0_sel:WORD_0 src1_sel:DWORD
	s_nop 1
	v_cndmask_b32_e64 v18, v0, v7, s[0:1]
; %bb.297:                              ;   in Loop: Header=BB332_288 Depth=1
	s_or_b64 exec, exec, s[2:3]
	v_and_b32_e32 v0, 0x7f800000, v8
	v_cmp_ne_u32_e64 s[0:1], s17, v0
                                        ; implicit-def: $vgpr17
	s_and_saveexec_b64 s[2:3], s[0:1]
	s_xor_b64 s[0:1], exec, s[2:3]
; %bb.298:                              ;   in Loop: Header=BB332_288 Depth=1
	v_bfe_u32 v0, v8, 16, 1
	v_add3_u32 v17, v8, v0, s24
; %bb.299:                              ;   in Loop: Header=BB332_288 Depth=1
	s_andn2_saveexec_b64 s[2:3], s[0:1]
; %bb.300:                              ;   in Loop: Header=BB332_288 Depth=1
	v_or_b32_e32 v0, 0x10000, v8
	v_cmp_eq_u32_sdwa s[0:1], v8, v27 src0_sel:WORD_0 src1_sel:DWORD
	s_nop 1
	v_cndmask_b32_e64 v17, v0, v8, s[0:1]
; %bb.301:                              ;   in Loop: Header=BB332_288 Depth=1
	s_or_b64 exec, exec, s[2:3]
	v_and_b32_e32 v0, 0x7f800000, v9
	v_cmp_ne_u32_e64 s[0:1], s17, v0
                                        ; implicit-def: $vgpr16
	s_and_saveexec_b64 s[2:3], s[0:1]
	s_xor_b64 s[0:1], exec, s[2:3]
; %bb.302:                              ;   in Loop: Header=BB332_288 Depth=1
	v_bfe_u32 v0, v9, 16, 1
	v_add3_u32 v16, v9, v0, s24
                                        ; implicit-def: $vgpr6_vgpr7_vgpr8_vgpr9
; %bb.303:                              ;   in Loop: Header=BB332_288 Depth=1
	s_andn2_saveexec_b64 s[2:3], s[0:1]
; %bb.304:                              ;   in Loop: Header=BB332_288 Depth=1
	v_or_b32_e32 v0, 0x10000, v9
	v_cmp_eq_u32_sdwa s[0:1], v9, v27 src0_sel:WORD_0 src1_sel:DWORD
	s_nop 1
	v_cndmask_b32_e64 v16, v0, v9, s[0:1]
; %bb.305:                              ;   in Loop: Header=BB332_288 Depth=1
	s_or_b64 exec, exec, s[2:3]
	v_and_b32_e32 v0, 0x7f800000, v2
	v_cmp_ne_u32_e64 s[0:1], s17, v0
                                        ; implicit-def: $vgpr9
	s_and_saveexec_b64 s[2:3], s[0:1]
	s_xor_b64 s[0:1], exec, s[2:3]
; %bb.306:                              ;   in Loop: Header=BB332_288 Depth=1
	v_bfe_u32 v0, v2, 16, 1
	v_add3_u32 v9, v2, v0, s24
; %bb.307:                              ;   in Loop: Header=BB332_288 Depth=1
	s_andn2_saveexec_b64 s[2:3], s[0:1]
; %bb.308:                              ;   in Loop: Header=BB332_288 Depth=1
	v_or_b32_e32 v0, 0x10000, v2
	v_cmp_eq_u32_sdwa s[0:1], v2, v27 src0_sel:WORD_0 src1_sel:DWORD
	s_nop 1
	v_cndmask_b32_e64 v9, v0, v2, s[0:1]
; %bb.309:                              ;   in Loop: Header=BB332_288 Depth=1
	s_or_b64 exec, exec, s[2:3]
	v_and_b32_e32 v0, 0x7f800000, v3
	v_cmp_ne_u32_e64 s[0:1], s17, v0
                                        ; implicit-def: $vgpr8
	s_and_saveexec_b64 s[2:3], s[0:1]
	s_xor_b64 s[0:1], exec, s[2:3]
; %bb.310:                              ;   in Loop: Header=BB332_288 Depth=1
	v_bfe_u32 v0, v3, 16, 1
	v_add3_u32 v8, v3, v0, s24
; %bb.311:                              ;   in Loop: Header=BB332_288 Depth=1
	s_andn2_saveexec_b64 s[2:3], s[0:1]
; %bb.312:                              ;   in Loop: Header=BB332_288 Depth=1
	v_or_b32_e32 v0, 0x10000, v3
	v_cmp_eq_u32_sdwa s[0:1], v3, v27 src0_sel:WORD_0 src1_sel:DWORD
	s_nop 1
	v_cndmask_b32_e64 v8, v0, v3, s[0:1]
; %bb.313:                              ;   in Loop: Header=BB332_288 Depth=1
	s_or_b64 exec, exec, s[2:3]
	v_and_b32_e32 v0, 0x7f800000, v4
	v_cmp_ne_u32_e64 s[0:1], s17, v0
                                        ; implicit-def: $vgpr1
	s_and_saveexec_b64 s[2:3], s[0:1]
	s_xor_b64 s[0:1], exec, s[2:3]
; %bb.314:                              ;   in Loop: Header=BB332_288 Depth=1
	v_bfe_u32 v0, v4, 16, 1
	v_add3_u32 v1, v4, v0, s24
; %bb.315:                              ;   in Loop: Header=BB332_288 Depth=1
	s_andn2_saveexec_b64 s[2:3], s[0:1]
; %bb.316:                              ;   in Loop: Header=BB332_288 Depth=1
	v_or_b32_e32 v0, 0x10000, v4
	v_cmp_eq_u32_sdwa s[0:1], v4, v27 src0_sel:WORD_0 src1_sel:DWORD
	s_nop 1
	v_cndmask_b32_e64 v1, v0, v4, s[0:1]
; %bb.317:                              ;   in Loop: Header=BB332_288 Depth=1
	s_or_b64 exec, exec, s[2:3]
	v_and_b32_e32 v0, 0x7f800000, v5
	v_cmp_ne_u32_e64 s[0:1], s17, v0
                                        ; implicit-def: $vgpr0
	s_and_saveexec_b64 s[2:3], s[0:1]
	s_xor_b64 s[0:1], exec, s[2:3]
; %bb.318:                              ;   in Loop: Header=BB332_288 Depth=1
	v_bfe_u32 v0, v5, 16, 1
	v_add3_u32 v0, v5, v0, s24
                                        ; implicit-def: $vgpr2_vgpr3_vgpr4_vgpr5
; %bb.319:                              ;   in Loop: Header=BB332_288 Depth=1
	s_andn2_saveexec_b64 s[2:3], s[0:1]
; %bb.320:                              ;   in Loop: Header=BB332_288 Depth=1
	v_or_b32_e32 v0, 0x10000, v5
	v_cmp_eq_u32_sdwa s[0:1], v5, v27 src0_sel:WORD_0 src1_sel:DWORD
	s_nop 1
	v_cndmask_b32_e64 v0, v0, v5, s[0:1]
; %bb.321:                              ;   in Loop: Header=BB332_288 Depth=1
	s_or_b64 exec, exec, s[2:3]
	scratch_load_dwordx2 v[2:3], off, s32 offset:220 ; 8-byte Folded Reload
	v_accvgpr_read_b32 v4, a22
	v_accvgpr_read_b32 v5, a23
	s_waitcnt vmcnt(0)
	v_mad_i64_i32 v[2:3], s[0:1], v21, v2, v[4:5]
	v_lshl_add_u64 v[4:5], v[2:3], 0, v[26:27]
	flat_load_dwordx2 v[6:7], v[4:5]
	scratch_load_dwordx2 v[12:13], off, s32 offset:212 ; 8-byte Folded Reload
                                        ; implicit-def: $vgpr21
	s_waitcnt vmcnt(0)
	flat_load_dword v23, v[12:13]
	s_waitcnt lgkmcnt(0)
	v_and_b32_e32 v12, 0xff, v6
	v_cvt_f32_fp8_sdwa v12, v12 src0_sel:BYTE_0
	s_waitcnt vmcnt(0)
	v_mul_f32_e32 v12, v23, v12
	v_and_b32_e32 v13, 0x7f800000, v12
	v_cmp_ne_u32_e64 s[0:1], s17, v13
	s_and_saveexec_b64 s[2:3], s[0:1]
	s_xor_b64 s[0:1], exec, s[2:3]
; %bb.322:                              ;   in Loop: Header=BB332_288 Depth=1
	v_bfe_u32 v13, v12, 16, 1
	v_add3_u32 v21, v12, v13, s24
                                        ; implicit-def: $vgpr12
; %bb.323:                              ;   in Loop: Header=BB332_288 Depth=1
	s_andn2_saveexec_b64 s[2:3], s[0:1]
; %bb.324:                              ;   in Loop: Header=BB332_288 Depth=1
	v_or_b32_e32 v13, 0x10000, v12
	v_cmp_eq_u32_sdwa s[0:1], v12, v27 src0_sel:WORD_0 src1_sel:DWORD
	s_nop 1
	v_cndmask_b32_e64 v21, v13, v12, s[0:1]
; %bb.325:                              ;   in Loop: Header=BB332_288 Depth=1
	s_or_b64 exec, exec, s[2:3]
	v_bfe_u32 v12, v6, 8, 8
	v_cvt_f32_fp8_sdwa v12, v12 src0_sel:BYTE_0
                                        ; implicit-def: $vgpr22
	s_nop 0
	v_mul_f32_e32 v12, v23, v12
	v_and_b32_e32 v13, 0x7f800000, v12
	v_cmp_ne_u32_e64 s[0:1], s17, v13
	s_and_saveexec_b64 s[2:3], s[0:1]
	s_xor_b64 s[0:1], exec, s[2:3]
; %bb.326:                              ;   in Loop: Header=BB332_288 Depth=1
	v_bfe_u32 v13, v12, 16, 1
	v_add3_u32 v22, v12, v13, s24
                                        ; implicit-def: $vgpr12
; %bb.327:                              ;   in Loop: Header=BB332_288 Depth=1
	s_andn2_saveexec_b64 s[2:3], s[0:1]
; %bb.328:                              ;   in Loop: Header=BB332_288 Depth=1
	v_or_b32_e32 v13, 0x10000, v12
	v_cmp_eq_u32_sdwa s[0:1], v12, v27 src0_sel:WORD_0 src1_sel:DWORD
	s_nop 1
	v_cndmask_b32_e64 v22, v13, v12, s[0:1]
; %bb.329:                              ;   in Loop: Header=BB332_288 Depth=1
	s_or_b64 exec, exec, s[2:3]
	v_bfe_u32 v12, v6, 16, 8
	v_cvt_f32_fp8_sdwa v12, v12 src0_sel:BYTE_0
                                        ; implicit-def: $vgpr31
	s_nop 0
	v_mul_f32_e32 v12, v23, v12
	v_and_b32_e32 v13, 0x7f800000, v12
	v_cmp_ne_u32_e64 s[0:1], s17, v13
	s_and_saveexec_b64 s[2:3], s[0:1]
	s_xor_b64 s[0:1], exec, s[2:3]
; %bb.330:                              ;   in Loop: Header=BB332_288 Depth=1
	v_bfe_u32 v13, v12, 16, 1
	v_add3_u32 v31, v12, v13, s24
                                        ; implicit-def: $vgpr12
; %bb.331:                              ;   in Loop: Header=BB332_288 Depth=1
	s_andn2_saveexec_b64 s[2:3], s[0:1]
; %bb.332:                              ;   in Loop: Header=BB332_288 Depth=1
	v_or_b32_e32 v13, 0x10000, v12
	v_cmp_eq_u32_sdwa s[0:1], v12, v27 src0_sel:WORD_0 src1_sel:DWORD
	s_nop 1
	v_cndmask_b32_e64 v31, v13, v12, s[0:1]
; %bb.333:                              ;   in Loop: Header=BB332_288 Depth=1
	s_or_b64 exec, exec, s[2:3]
	v_lshrrev_b32_e32 v6, 24, v6
	v_cvt_f32_fp8_sdwa v6, v6 src0_sel:BYTE_0
	s_nop 0
	v_mul_f32_e32 v12, v23, v6
	v_and_b32_e32 v6, 0x7f800000, v12
	v_cmp_ne_u32_e64 s[0:1], s17, v6
                                        ; implicit-def: $vgpr6
	s_and_saveexec_b64 s[2:3], s[0:1]
	s_xor_b64 s[0:1], exec, s[2:3]
; %bb.334:                              ;   in Loop: Header=BB332_288 Depth=1
	v_bfe_u32 v6, v12, 16, 1
	v_add3_u32 v6, v12, v6, s24
                                        ; implicit-def: $vgpr12
; %bb.335:                              ;   in Loop: Header=BB332_288 Depth=1
	s_andn2_saveexec_b64 s[2:3], s[0:1]
; %bb.336:                              ;   in Loop: Header=BB332_288 Depth=1
	v_or_b32_e32 v6, 0x10000, v12
	v_cmp_eq_u32_sdwa s[0:1], v12, v27 src0_sel:WORD_0 src1_sel:DWORD
	s_nop 1
	v_cndmask_b32_e64 v6, v6, v12, s[0:1]
; %bb.337:                              ;   in Loop: Header=BB332_288 Depth=1
	s_or_b64 exec, exec, s[2:3]
	v_and_b32_e32 v12, 0xff, v7
	v_cvt_f32_fp8_sdwa v12, v12 src0_sel:BYTE_0
	s_nop 0
	v_mul_f32_e32 v13, v23, v12
	v_and_b32_e32 v12, 0x7f800000, v13
	v_cmp_ne_u32_e64 s[0:1], s17, v12
                                        ; implicit-def: $vgpr12
	s_and_saveexec_b64 s[2:3], s[0:1]
	s_xor_b64 s[0:1], exec, s[2:3]
; %bb.338:                              ;   in Loop: Header=BB332_288 Depth=1
	v_bfe_u32 v12, v13, 16, 1
	v_add3_u32 v12, v13, v12, s24
                                        ; implicit-def: $vgpr13
; %bb.339:                              ;   in Loop: Header=BB332_288 Depth=1
	s_andn2_saveexec_b64 s[2:3], s[0:1]
; %bb.340:                              ;   in Loop: Header=BB332_288 Depth=1
	v_or_b32_e32 v12, 0x10000, v13
	v_cmp_eq_u32_sdwa s[0:1], v13, v27 src0_sel:WORD_0 src1_sel:DWORD
	s_nop 1
	v_cndmask_b32_e64 v12, v12, v13, s[0:1]
; %bb.341:                              ;   in Loop: Header=BB332_288 Depth=1
	s_or_b64 exec, exec, s[2:3]
	v_bfe_u32 v13, v7, 8, 8
	v_cvt_f32_fp8_sdwa v13, v13 src0_sel:BYTE_0
	s_nop 0
	v_mul_f32_e32 v30, v23, v13
	v_and_b32_e32 v13, 0x7f800000, v30
	v_cmp_ne_u32_e64 s[0:1], s17, v13
                                        ; implicit-def: $vgpr13
	s_and_saveexec_b64 s[2:3], s[0:1]
	s_xor_b64 s[0:1], exec, s[2:3]
; %bb.342:                              ;   in Loop: Header=BB332_288 Depth=1
	v_bfe_u32 v13, v30, 16, 1
	v_add3_u32 v13, v30, v13, s24
                                        ; implicit-def: $vgpr30
; %bb.343:                              ;   in Loop: Header=BB332_288 Depth=1
	s_andn2_saveexec_b64 s[2:3], s[0:1]
; %bb.344:                              ;   in Loop: Header=BB332_288 Depth=1
	v_or_b32_e32 v13, 0x10000, v30
	v_cmp_eq_u32_sdwa s[0:1], v30, v27 src0_sel:WORD_0 src1_sel:DWORD
	s_nop 1
	v_cndmask_b32_e64 v13, v13, v30, s[0:1]
; %bb.345:                              ;   in Loop: Header=BB332_288 Depth=1
	s_or_b64 exec, exec, s[2:3]
	v_bfe_u32 v19, v7, 16, 8
	v_cvt_f32_fp8_sdwa v19, v19 src0_sel:BYTE_0
                                        ; implicit-def: $vgpr34
	s_nop 0
	v_mul_f32_e32 v30, v23, v19
	v_and_b32_e32 v19, 0x7f800000, v30
	v_cmp_ne_u32_e64 s[0:1], s17, v19
	s_and_saveexec_b64 s[2:3], s[0:1]
	s_xor_b64 s[0:1], exec, s[2:3]
; %bb.346:                              ;   in Loop: Header=BB332_288 Depth=1
	v_bfe_u32 v19, v30, 16, 1
	v_add3_u32 v34, v30, v19, s24
                                        ; implicit-def: $vgpr30
; %bb.347:                              ;   in Loop: Header=BB332_288 Depth=1
	s_andn2_saveexec_b64 s[2:3], s[0:1]
; %bb.348:                              ;   in Loop: Header=BB332_288 Depth=1
	v_or_b32_e32 v19, 0x10000, v30
	v_cmp_eq_u32_sdwa s[0:1], v30, v27 src0_sel:WORD_0 src1_sel:DWORD
	s_nop 1
	v_cndmask_b32_e64 v34, v19, v30, s[0:1]
; %bb.349:                              ;   in Loop: Header=BB332_288 Depth=1
	s_or_b64 exec, exec, s[2:3]
	v_lshrrev_b32_e32 v7, 24, v7
	v_cvt_f32_fp8_sdwa v7, v7 src0_sel:BYTE_0
                                        ; implicit-def: $vgpr35
	s_nop 0
	v_mul_f32_e32 v7, v23, v7
	v_and_b32_e32 v19, 0x7f800000, v7
	v_cmp_ne_u32_e64 s[0:1], s17, v19
	s_and_saveexec_b64 s[2:3], s[0:1]
	s_xor_b64 s[0:1], exec, s[2:3]
; %bb.350:                              ;   in Loop: Header=BB332_288 Depth=1
	v_bfe_u32 v19, v7, 16, 1
	v_add3_u32 v35, v7, v19, s24
                                        ; implicit-def: $vgpr7
; %bb.351:                              ;   in Loop: Header=BB332_288 Depth=1
	s_andn2_saveexec_b64 s[2:3], s[0:1]
; %bb.352:                              ;   in Loop: Header=BB332_288 Depth=1
	v_or_b32_e32 v19, 0x10000, v7
	v_cmp_eq_u32_sdwa s[0:1], v7, v27 src0_sel:WORD_0 src1_sel:DWORD
	s_nop 1
	v_cndmask_b32_e64 v35, v19, v7, s[0:1]
; %bb.353:                              ;   in Loop: Header=BB332_288 Depth=1
	s_or_b64 exec, exec, s[2:3]
	v_accvgpr_read_b32 v7, a12
	v_accvgpr_read_b32 v19, a21
	v_cmp_eq_u32_e64 s[0:1], v19, v7
	v_mov_b32_e32 v7, v52
	v_accvgpr_read_b32 v19, a20
	v_add_u32_e32 v40, v19, v7
	v_lshrrev_b32_e32 v30, 16, v13
	v_lshrrev_b32_e32 v32, 16, v12
	;; [unrolled: 1-line block ×8, first 2 shown]
	s_and_saveexec_b64 s[20:21], s[0:1]
	s_cbranch_execz .LBB332_355
; %bb.354:                              ;   in Loop: Header=BB332_288 Depth=1
	v_accvgpr_read_b32 v22, a3
	v_cmp_lt_i32_e64 s[2:3], v40, v22
	v_add_u32_e32 v19, 1, v40
	s_nop 0
	v_cndmask_b32_e64 v21, 0, v21, s[2:3]
	v_cmp_lt_i32_e64 s[2:3], v19, v22
	v_add_u32_e32 v19, 2, v40
	s_nop 0
	v_cndmask_b32_e64 v13, 0, v13, s[2:3]
	;; [unrolled: 4-line block ×7, first 2 shown]
	v_cmp_lt_i32_e64 s[2:3], v19, v22
	s_nop 1
	v_cndmask_b32_e64 v6, 0, v6, s[2:3]
.LBB332_355:                            ;   in Loop: Header=BB332_288 Depth=1
	s_or_b64 exec, exec, s[20:21]
	v_and_b32_e32 v41, 0xffff0000, v20
	v_lshlrev_b32_e32 v19, 16, v21
	v_mul_f32_e32 v20, v41, v19
	v_and_b32_e32 v19, 0x7f800000, v20
	v_cmp_ne_u32_e64 s[2:3], s17, v19
                                        ; implicit-def: $agpr14
	s_and_saveexec_b64 s[20:21], s[2:3]
	s_xor_b64 s[2:3], exec, s[20:21]
; %bb.356:                              ;   in Loop: Header=BB332_288 Depth=1
	v_bfe_u32 v19, v20, 16, 1
	v_add3_u32 v19, v20, v19, s24
	v_accvgpr_write_b32 a14, v19
                                        ; implicit-def: $vgpr20
; %bb.357:                              ;   in Loop: Header=BB332_288 Depth=1
	s_andn2_saveexec_b64 s[20:21], s[2:3]
; %bb.358:                              ;   in Loop: Header=BB332_288 Depth=1
	v_or_b32_e32 v19, 0x10000, v20
	v_cmp_eq_u32_sdwa s[2:3], v20, v27 src0_sel:WORD_0 src1_sel:DWORD
	s_nop 1
	v_cndmask_b32_e64 v19, v19, v20, s[2:3]
	v_accvgpr_write_b32 a14, v19
; %bb.359:                              ;   in Loop: Header=BB332_288 Depth=1
	s_or_b64 exec, exec, s[20:21]
	v_and_b32_e32 v42, 0xffff0000, v18
	v_lshlrev_b32_e32 v13, 16, v13
	v_mul_f32_e32 v13, v42, v13
	v_and_b32_e32 v18, 0x7f800000, v13
	v_cmp_ne_u32_e64 s[2:3], s17, v18
                                        ; implicit-def: $agpr27
	s_and_saveexec_b64 s[20:21], s[2:3]
	s_xor_b64 s[2:3], exec, s[20:21]
; %bb.360:                              ;   in Loop: Header=BB332_288 Depth=1
	v_bfe_u32 v18, v13, 16, 1
	v_add3_u32 v13, v13, v18, s24
	v_accvgpr_write_b32 a27, v13
                                        ; implicit-def: $vgpr13
; %bb.361:                              ;   in Loop: Header=BB332_288 Depth=1
	s_andn2_saveexec_b64 s[20:21], s[2:3]
; %bb.362:                              ;   in Loop: Header=BB332_288 Depth=1
	v_or_b32_e32 v18, 0x10000, v13
	v_cmp_eq_u32_sdwa s[2:3], v13, v27 src0_sel:WORD_0 src1_sel:DWORD
	s_nop 1
	v_cndmask_b32_e64 v13, v18, v13, s[2:3]
	v_accvgpr_write_b32 a27, v13
; %bb.363:                              ;   in Loop: Header=BB332_288 Depth=1
	s_or_b64 exec, exec, s[20:21]
	v_and_b32_e32 v43, 0xffff0000, v17
	v_lshlrev_b32_e32 v12, 16, v12
	v_mul_f32_e32 v12, v43, v12
	v_and_b32_e32 v13, 0x7f800000, v12
	v_cmp_ne_u32_e64 s[2:3], s17, v13
                                        ; implicit-def: $agpr28
	s_and_saveexec_b64 s[20:21], s[2:3]
	s_xor_b64 s[2:3], exec, s[20:21]
; %bb.364:                              ;   in Loop: Header=BB332_288 Depth=1
	v_bfe_u32 v13, v12, 16, 1
	v_add3_u32 v12, v12, v13, s24
	v_accvgpr_write_b32 a28, v12
                                        ; implicit-def: $vgpr12
; %bb.365:                              ;   in Loop: Header=BB332_288 Depth=1
	s_andn2_saveexec_b64 s[20:21], s[2:3]
; %bb.366:                              ;   in Loop: Header=BB332_288 Depth=1
	v_or_b32_e32 v13, 0x10000, v12
	v_cmp_eq_u32_sdwa s[2:3], v12, v27 src0_sel:WORD_0 src1_sel:DWORD
	s_nop 1
	v_cndmask_b32_e64 v12, v13, v12, s[2:3]
	v_accvgpr_write_b32 a28, v12
; %bb.367:                              ;   in Loop: Header=BB332_288 Depth=1
	s_or_b64 exec, exec, s[20:21]
	v_and_b32_e32 v44, 0xffff0000, v16
	v_lshlrev_b32_e32 v12, 16, v33
	v_mul_f32_e32 v12, v44, v12
	v_and_b32_e32 v13, 0x7f800000, v12
	v_cmp_ne_u32_e64 s[2:3], s17, v13
                                        ; implicit-def: $agpr29
	s_and_saveexec_b64 s[20:21], s[2:3]
	s_xor_b64 s[2:3], exec, s[20:21]
; %bb.368:                              ;   in Loop: Header=BB332_288 Depth=1
	v_bfe_u32 v13, v12, 16, 1
	v_add3_u32 v12, v12, v13, s24
	v_accvgpr_write_b32 a29, v12
                                        ; implicit-def: $vgpr12
; %bb.369:                              ;   in Loop: Header=BB332_288 Depth=1
	s_andn2_saveexec_b64 s[20:21], s[2:3]
; %bb.370:                              ;   in Loop: Header=BB332_288 Depth=1
	v_or_b32_e32 v13, 0x10000, v12
	v_cmp_eq_u32_sdwa s[2:3], v12, v27 src0_sel:WORD_0 src1_sel:DWORD
	s_nop 1
	v_cndmask_b32_e64 v12, v13, v12, s[2:3]
	v_accvgpr_write_b32 a29, v12
; %bb.371:                              ;   in Loop: Header=BB332_288 Depth=1
	s_or_b64 exec, exec, s[20:21]
	v_and_b32_e32 v45, 0xffff0000, v9
	v_lshlrev_b32_e32 v9, 16, v32
	v_mul_f32_e32 v9, v45, v9
	v_and_b32_e32 v12, 0x7f800000, v9
	v_cmp_ne_u32_e64 s[2:3], s17, v12
                                        ; implicit-def: $agpr30
	s_and_saveexec_b64 s[20:21], s[2:3]
	s_xor_b64 s[2:3], exec, s[20:21]
; %bb.372:                              ;   in Loop: Header=BB332_288 Depth=1
	v_bfe_u32 v12, v9, 16, 1
	v_add3_u32 v9, v9, v12, s24
	v_accvgpr_write_b32 a30, v9
                                        ; implicit-def: $vgpr9
; %bb.373:                              ;   in Loop: Header=BB332_288 Depth=1
	s_andn2_saveexec_b64 s[20:21], s[2:3]
; %bb.374:                              ;   in Loop: Header=BB332_288 Depth=1
	v_or_b32_e32 v12, 0x10000, v9
	v_cmp_eq_u32_sdwa s[2:3], v9, v27 src0_sel:WORD_0 src1_sel:DWORD
	s_nop 1
	v_cndmask_b32_e64 v9, v12, v9, s[2:3]
	v_accvgpr_write_b32 a30, v9
; %bb.375:                              ;   in Loop: Header=BB332_288 Depth=1
	s_or_b64 exec, exec, s[20:21]
	v_and_b32_e32 v46, 0xffff0000, v8
	v_lshlrev_b32_e32 v8, 16, v30
	v_mul_f32_e32 v8, v46, v8
	v_and_b32_e32 v9, 0x7f800000, v8
	v_cmp_ne_u32_e64 s[2:3], s17, v9
                                        ; implicit-def: $agpr31
	s_and_saveexec_b64 s[20:21], s[2:3]
	s_xor_b64 s[2:3], exec, s[20:21]
; %bb.376:                              ;   in Loop: Header=BB332_288 Depth=1
	v_bfe_u32 v9, v8, 16, 1
	v_add3_u32 v8, v8, v9, s24
	v_accvgpr_write_b32 a31, v8
                                        ; implicit-def: $vgpr8
; %bb.377:                              ;   in Loop: Header=BB332_288 Depth=1
	s_andn2_saveexec_b64 s[20:21], s[2:3]
; %bb.378:                              ;   in Loop: Header=BB332_288 Depth=1
	v_or_b32_e32 v9, 0x10000, v8
	v_cmp_eq_u32_sdwa s[2:3], v8, v27 src0_sel:WORD_0 src1_sel:DWORD
	s_nop 1
	v_cndmask_b32_e64 v8, v9, v8, s[2:3]
	v_accvgpr_write_b32 a31, v8
; %bb.379:                              ;   in Loop: Header=BB332_288 Depth=1
	s_or_b64 exec, exec, s[20:21]
	v_and_b32_e32 v47, 0xffff0000, v1
	v_lshlrev_b32_e32 v1, 16, v7
	v_mul_f32_e32 v1, v47, v1
	v_and_b32_e32 v7, 0x7f800000, v1
	v_cmp_ne_u32_e64 s[2:3], s17, v7
                                        ; implicit-def: $agpr32
	s_and_saveexec_b64 s[20:21], s[2:3]
	s_xor_b64 s[2:3], exec, s[20:21]
; %bb.380:                              ;   in Loop: Header=BB332_288 Depth=1
	v_bfe_u32 v7, v1, 16, 1
	v_add3_u32 v1, v1, v7, s24
	v_accvgpr_write_b32 a32, v1
                                        ; implicit-def: $vgpr1
; %bb.381:                              ;   in Loop: Header=BB332_288 Depth=1
	s_andn2_saveexec_b64 s[20:21], s[2:3]
; %bb.382:                              ;   in Loop: Header=BB332_288 Depth=1
	v_or_b32_e32 v7, 0x10000, v1
	v_cmp_eq_u32_sdwa s[2:3], v1, v27 src0_sel:WORD_0 src1_sel:DWORD
	s_nop 1
	v_cndmask_b32_e64 v1, v7, v1, s[2:3]
	v_accvgpr_write_b32 a32, v1
; %bb.383:                              ;   in Loop: Header=BB332_288 Depth=1
	s_or_b64 exec, exec, s[20:21]
	v_and_b32_e32 v62, 0xffff0000, v0
	v_lshlrev_b32_e32 v0, 16, v6
	v_mul_f32_e32 v0, v62, v0
	v_and_b32_e32 v1, 0x7f800000, v0
	v_cmp_ne_u32_e64 s[2:3], s17, v1
                                        ; implicit-def: $agpr33
	s_and_saveexec_b64 s[20:21], s[2:3]
	s_xor_b64 s[2:3], exec, s[20:21]
; %bb.384:                              ;   in Loop: Header=BB332_288 Depth=1
	v_bfe_u32 v1, v0, 16, 1
	v_add3_u32 v0, v0, v1, s24
	v_accvgpr_write_b32 a33, v0
                                        ; implicit-def: $vgpr0
; %bb.385:                              ;   in Loop: Header=BB332_288 Depth=1
	s_andn2_saveexec_b64 s[20:21], s[2:3]
; %bb.386:                              ;   in Loop: Header=BB332_288 Depth=1
	v_or_b32_e32 v1, 0x10000, v0
	v_cmp_eq_u32_sdwa s[2:3], v0, v27 src0_sel:WORD_0 src1_sel:DWORD
	s_nop 1
	v_cndmask_b32_e64 v0, v1, v0, s[2:3]
	v_accvgpr_write_b32 a33, v0
; %bb.387:                              ;   in Loop: Header=BB332_288 Depth=1
	s_or_b64 exec, exec, s[20:21]
	flat_load_dwordx2 v[6:7], v[4:5] offset:512
	s_waitcnt vmcnt(0) lgkmcnt(0)
	v_and_b32_e32 v0, 0xff, v6
	v_cvt_f32_fp8_sdwa v0, v0 src0_sel:BYTE_0
	s_nop 0
	v_mul_f32_e32 v1, v23, v0
	v_and_b32_e32 v0, 0x7f800000, v1
	v_cmp_ne_u32_e64 s[2:3], s17, v0
                                        ; implicit-def: $vgpr0
	s_and_saveexec_b64 s[20:21], s[2:3]
	s_xor_b64 s[2:3], exec, s[20:21]
; %bb.388:                              ;   in Loop: Header=BB332_288 Depth=1
	v_bfe_u32 v0, v1, 16, 1
	v_add3_u32 v0, v1, v0, s24
                                        ; implicit-def: $vgpr1
; %bb.389:                              ;   in Loop: Header=BB332_288 Depth=1
	s_andn2_saveexec_b64 s[20:21], s[2:3]
; %bb.390:                              ;   in Loop: Header=BB332_288 Depth=1
	v_or_b32_e32 v0, 0x10000, v1
	v_cmp_eq_u32_sdwa s[2:3], v1, v27 src0_sel:WORD_0 src1_sel:DWORD
	s_nop 1
	v_cndmask_b32_e64 v0, v0, v1, s[2:3]
; %bb.391:                              ;   in Loop: Header=BB332_288 Depth=1
	s_or_b64 exec, exec, s[20:21]
	v_bfe_u32 v1, v6, 8, 8
	v_cvt_f32_fp8_sdwa v1, v1 src0_sel:BYTE_0
	s_nop 0
	v_mul_f32_e32 v8, v23, v1
	v_and_b32_e32 v1, 0x7f800000, v8
	v_cmp_ne_u32_e64 s[2:3], s17, v1
                                        ; implicit-def: $vgpr1
	s_and_saveexec_b64 s[20:21], s[2:3]
	s_xor_b64 s[2:3], exec, s[20:21]
; %bb.392:                              ;   in Loop: Header=BB332_288 Depth=1
	v_bfe_u32 v1, v8, 16, 1
	v_add3_u32 v1, v8, v1, s24
                                        ; implicit-def: $vgpr8
; %bb.393:                              ;   in Loop: Header=BB332_288 Depth=1
	s_andn2_saveexec_b64 s[20:21], s[2:3]
; %bb.394:                              ;   in Loop: Header=BB332_288 Depth=1
	v_or_b32_e32 v1, 0x10000, v8
	v_cmp_eq_u32_sdwa s[2:3], v8, v27 src0_sel:WORD_0 src1_sel:DWORD
	s_nop 1
	v_cndmask_b32_e64 v1, v1, v8, s[2:3]
; %bb.395:                              ;   in Loop: Header=BB332_288 Depth=1
	s_or_b64 exec, exec, s[20:21]
	v_bfe_u32 v8, v6, 16, 8
	v_cvt_f32_fp8_sdwa v8, v8 src0_sel:BYTE_0
	s_nop 0
	v_mul_f32_e32 v9, v23, v8
	v_and_b32_e32 v8, 0x7f800000, v9
	v_cmp_ne_u32_e64 s[2:3], s17, v8
                                        ; implicit-def: $vgpr8
	s_and_saveexec_b64 s[20:21], s[2:3]
	s_xor_b64 s[2:3], exec, s[20:21]
; %bb.396:                              ;   in Loop: Header=BB332_288 Depth=1
	v_bfe_u32 v8, v9, 16, 1
	v_add3_u32 v8, v9, v8, s24
                                        ; implicit-def: $vgpr9
; %bb.397:                              ;   in Loop: Header=BB332_288 Depth=1
	s_andn2_saveexec_b64 s[20:21], s[2:3]
; %bb.398:                              ;   in Loop: Header=BB332_288 Depth=1
	v_or_b32_e32 v8, 0x10000, v9
	v_cmp_eq_u32_sdwa s[2:3], v9, v27 src0_sel:WORD_0 src1_sel:DWORD
	s_nop 1
	v_cndmask_b32_e64 v8, v8, v9, s[2:3]
; %bb.399:                              ;   in Loop: Header=BB332_288 Depth=1
	s_or_b64 exec, exec, s[20:21]
	v_lshrrev_b32_e32 v6, 24, v6
	v_cvt_f32_fp8_sdwa v6, v6 src0_sel:BYTE_0
	s_nop 0
	v_mul_f32_e32 v6, v23, v6
	v_and_b32_e32 v9, 0x7f800000, v6
	v_cmp_ne_u32_e64 s[2:3], s17, v9
                                        ; implicit-def: $vgpr9
	s_and_saveexec_b64 s[20:21], s[2:3]
	s_xor_b64 s[2:3], exec, s[20:21]
; %bb.400:                              ;   in Loop: Header=BB332_288 Depth=1
	v_bfe_u32 v9, v6, 16, 1
	v_add3_u32 v9, v6, v9, s24
                                        ; implicit-def: $vgpr6
; %bb.401:                              ;   in Loop: Header=BB332_288 Depth=1
	s_andn2_saveexec_b64 s[20:21], s[2:3]
; %bb.402:                              ;   in Loop: Header=BB332_288 Depth=1
	v_or_b32_e32 v9, 0x10000, v6
	v_cmp_eq_u32_sdwa s[2:3], v6, v27 src0_sel:WORD_0 src1_sel:DWORD
	s_nop 1
	v_cndmask_b32_e64 v9, v9, v6, s[2:3]
; %bb.403:                              ;   in Loop: Header=BB332_288 Depth=1
	s_or_b64 exec, exec, s[20:21]
	v_and_b32_e32 v6, 0xff, v7
	v_cvt_f32_fp8_sdwa v6, v6 src0_sel:BYTE_0
	s_nop 0
	v_mul_f32_e32 v6, v23, v6
	v_and_b32_e32 v12, 0x7f800000, v6
	v_cmp_ne_u32_e64 s[2:3], s17, v12
                                        ; implicit-def: $vgpr12
	s_and_saveexec_b64 s[20:21], s[2:3]
	s_xor_b64 s[2:3], exec, s[20:21]
; %bb.404:                              ;   in Loop: Header=BB332_288 Depth=1
	v_bfe_u32 v12, v6, 16, 1
	v_add3_u32 v12, v6, v12, s24
                                        ; implicit-def: $vgpr6
; %bb.405:                              ;   in Loop: Header=BB332_288 Depth=1
	s_andn2_saveexec_b64 s[20:21], s[2:3]
; %bb.406:                              ;   in Loop: Header=BB332_288 Depth=1
	v_or_b32_e32 v12, 0x10000, v6
	v_cmp_eq_u32_sdwa s[2:3], v6, v27 src0_sel:WORD_0 src1_sel:DWORD
	s_nop 1
	v_cndmask_b32_e64 v12, v12, v6, s[2:3]
; %bb.407:                              ;   in Loop: Header=BB332_288 Depth=1
	s_or_b64 exec, exec, s[20:21]
	v_bfe_u32 v6, v7, 8, 8
	v_cvt_f32_fp8_sdwa v6, v6 src0_sel:BYTE_0
	s_nop 0
	v_mul_f32_e32 v13, v23, v6
	v_and_b32_e32 v6, 0x7f800000, v13
	v_cmp_ne_u32_e64 s[2:3], s17, v6
                                        ; implicit-def: $vgpr6
	s_and_saveexec_b64 s[20:21], s[2:3]
	s_xor_b64 s[2:3], exec, s[20:21]
; %bb.408:                              ;   in Loop: Header=BB332_288 Depth=1
	v_bfe_u32 v6, v13, 16, 1
	v_add3_u32 v6, v13, v6, s24
                                        ; implicit-def: $vgpr13
; %bb.409:                              ;   in Loop: Header=BB332_288 Depth=1
	s_andn2_saveexec_b64 s[20:21], s[2:3]
; %bb.410:                              ;   in Loop: Header=BB332_288 Depth=1
	v_or_b32_e32 v6, 0x10000, v13
	v_cmp_eq_u32_sdwa s[2:3], v13, v27 src0_sel:WORD_0 src1_sel:DWORD
	s_nop 1
	v_cndmask_b32_e64 v6, v6, v13, s[2:3]
; %bb.411:                              ;   in Loop: Header=BB332_288 Depth=1
	s_or_b64 exec, exec, s[20:21]
	v_bfe_u32 v13, v7, 16, 8
	v_cvt_f32_fp8_sdwa v13, v13 src0_sel:BYTE_0
	s_nop 0
	v_mul_f32_e32 v16, v23, v13
	v_and_b32_e32 v13, 0x7f800000, v16
	v_cmp_ne_u32_e64 s[2:3], s17, v13
                                        ; implicit-def: $vgpr13
	s_and_saveexec_b64 s[20:21], s[2:3]
	s_xor_b64 s[2:3], exec, s[20:21]
; %bb.412:                              ;   in Loop: Header=BB332_288 Depth=1
	v_bfe_u32 v13, v16, 16, 1
	v_add3_u32 v13, v16, v13, s24
                                        ; implicit-def: $vgpr16
; %bb.413:                              ;   in Loop: Header=BB332_288 Depth=1
	s_andn2_saveexec_b64 s[20:21], s[2:3]
; %bb.414:                              ;   in Loop: Header=BB332_288 Depth=1
	v_or_b32_e32 v13, 0x10000, v16
	v_cmp_eq_u32_sdwa s[2:3], v16, v27 src0_sel:WORD_0 src1_sel:DWORD
	s_nop 1
	v_cndmask_b32_e64 v13, v13, v16, s[2:3]
; %bb.415:                              ;   in Loop: Header=BB332_288 Depth=1
	s_or_b64 exec, exec, s[20:21]
	v_lshrrev_b32_e32 v7, 24, v7
	v_cvt_f32_fp8_sdwa v7, v7 src0_sel:BYTE_0
                                        ; implicit-def: $vgpr17
	s_nop 0
	v_mul_f32_e32 v7, v23, v7
	v_and_b32_e32 v16, 0x7f800000, v7
	v_cmp_ne_u32_e64 s[2:3], s17, v16
	s_and_saveexec_b64 s[20:21], s[2:3]
	s_xor_b64 s[2:3], exec, s[20:21]
; %bb.416:                              ;   in Loop: Header=BB332_288 Depth=1
	v_bfe_u32 v16, v7, 16, 1
	v_add3_u32 v17, v7, v16, s24
                                        ; implicit-def: $vgpr7
; %bb.417:                              ;   in Loop: Header=BB332_288 Depth=1
	s_andn2_saveexec_b64 s[20:21], s[2:3]
; %bb.418:                              ;   in Loop: Header=BB332_288 Depth=1
	v_or_b32_e32 v16, 0x10000, v7
	v_cmp_eq_u32_sdwa s[2:3], v7, v27 src0_sel:WORD_0 src1_sel:DWORD
	s_nop 1
	v_cndmask_b32_e64 v17, v16, v7, s[2:3]
; %bb.419:                              ;   in Loop: Header=BB332_288 Depth=1
	s_or_b64 exec, exec, s[20:21]
	v_lshrrev_b32_e32 v6, 16, v6
	v_lshrrev_b32_e32 v7, 16, v12
	;; [unrolled: 1-line block ×8, first 2 shown]
	s_and_saveexec_b64 s[20:21], s[0:1]
	s_cbranch_execz .LBB332_421
; %bb.420:                              ;   in Loop: Header=BB332_288 Depth=1
	v_accvgpr_read_b32 v17, a3
	v_cmp_lt_i32_e64 s[2:3], v40, v17
	v_add_u32_e32 v13, 1, v40
	s_nop 0
	v_cndmask_b32_e64 v16, 0, v16, s[2:3]
	v_cmp_lt_i32_e64 s[2:3], v13, v17
	v_add_u32_e32 v13, 2, v40
	s_nop 0
	v_cndmask_b32_e64 v12, 0, v12, s[2:3]
	;; [unrolled: 4-line block ×7, first 2 shown]
	v_cmp_lt_i32_e64 s[2:3], v13, v17
	s_nop 1
	v_cndmask_b32_e64 v0, 0, v0, s[2:3]
.LBB332_421:                            ;   in Loop: Header=BB332_288 Depth=1
	s_or_b64 exec, exec, s[20:21]
	v_lshlrev_b32_e32 v13, 16, v16
	v_mul_f32_e32 v13, v41, v13
	v_and_b32_e32 v16, 0x7f800000, v13
	v_cmp_ne_u32_e64 s[2:3], s17, v16
                                        ; implicit-def: $agpr34
	s_and_saveexec_b64 s[20:21], s[2:3]
	s_xor_b64 s[2:3], exec, s[20:21]
; %bb.422:                              ;   in Loop: Header=BB332_288 Depth=1
	v_bfe_u32 v16, v13, 16, 1
	v_add3_u32 v13, v13, v16, s24
	v_accvgpr_write_b32 a34, v13
                                        ; implicit-def: $vgpr13
; %bb.423:                              ;   in Loop: Header=BB332_288 Depth=1
	s_andn2_saveexec_b64 s[20:21], s[2:3]
; %bb.424:                              ;   in Loop: Header=BB332_288 Depth=1
	v_or_b32_e32 v16, 0x10000, v13
	v_cmp_eq_u32_sdwa s[2:3], v13, v27 src0_sel:WORD_0 src1_sel:DWORD
	s_nop 1
	v_cndmask_b32_e64 v13, v16, v13, s[2:3]
	v_accvgpr_write_b32 a34, v13
; %bb.425:                              ;   in Loop: Header=BB332_288 Depth=1
	s_or_b64 exec, exec, s[20:21]
	v_lshlrev_b32_e32 v12, 16, v12
	v_mul_f32_e32 v12, v42, v12
	v_and_b32_e32 v13, 0x7f800000, v12
	v_cmp_ne_u32_e64 s[2:3], s17, v13
                                        ; implicit-def: $agpr35
	s_and_saveexec_b64 s[20:21], s[2:3]
	s_xor_b64 s[2:3], exec, s[20:21]
; %bb.426:                              ;   in Loop: Header=BB332_288 Depth=1
	v_bfe_u32 v13, v12, 16, 1
	v_add3_u32 v12, v12, v13, s24
	v_accvgpr_write_b32 a35, v12
                                        ; implicit-def: $vgpr12
; %bb.427:                              ;   in Loop: Header=BB332_288 Depth=1
	s_andn2_saveexec_b64 s[20:21], s[2:3]
; %bb.428:                              ;   in Loop: Header=BB332_288 Depth=1
	v_or_b32_e32 v13, 0x10000, v12
	v_cmp_eq_u32_sdwa s[2:3], v12, v27 src0_sel:WORD_0 src1_sel:DWORD
	s_nop 1
	v_cndmask_b32_e64 v12, v13, v12, s[2:3]
	v_accvgpr_write_b32 a35, v12
; %bb.429:                              ;   in Loop: Header=BB332_288 Depth=1
	s_or_b64 exec, exec, s[20:21]
	v_lshlrev_b32_e32 v8, 16, v8
	v_mul_f32_e32 v8, v43, v8
	v_and_b32_e32 v12, 0x7f800000, v8
	v_cmp_ne_u32_e64 s[2:3], s17, v12
                                        ; implicit-def: $agpr36
	s_and_saveexec_b64 s[20:21], s[2:3]
	s_xor_b64 s[2:3], exec, s[20:21]
; %bb.430:                              ;   in Loop: Header=BB332_288 Depth=1
	v_bfe_u32 v12, v8, 16, 1
	v_add3_u32 v8, v8, v12, s24
	v_accvgpr_write_b32 a36, v8
                                        ; implicit-def: $vgpr8
; %bb.431:                              ;   in Loop: Header=BB332_288 Depth=1
	s_andn2_saveexec_b64 s[20:21], s[2:3]
; %bb.432:                              ;   in Loop: Header=BB332_288 Depth=1
	v_or_b32_e32 v12, 0x10000, v8
	v_cmp_eq_u32_sdwa s[2:3], v8, v27 src0_sel:WORD_0 src1_sel:DWORD
	s_nop 1
	v_cndmask_b32_e64 v8, v12, v8, s[2:3]
	v_accvgpr_write_b32 a36, v8
; %bb.433:                              ;   in Loop: Header=BB332_288 Depth=1
	s_or_b64 exec, exec, s[20:21]
	v_lshlrev_b32_e32 v8, 16, v9
	v_mul_f32_e32 v8, v44, v8
	v_and_b32_e32 v9, 0x7f800000, v8
	v_cmp_ne_u32_e64 s[2:3], s17, v9
                                        ; implicit-def: $agpr37
	s_and_saveexec_b64 s[20:21], s[2:3]
	s_xor_b64 s[2:3], exec, s[20:21]
; %bb.434:                              ;   in Loop: Header=BB332_288 Depth=1
	v_bfe_u32 v9, v8, 16, 1
	v_add3_u32 v8, v8, v9, s24
	v_accvgpr_write_b32 a37, v8
                                        ; implicit-def: $vgpr8
; %bb.435:                              ;   in Loop: Header=BB332_288 Depth=1
	s_andn2_saveexec_b64 s[20:21], s[2:3]
; %bb.436:                              ;   in Loop: Header=BB332_288 Depth=1
	v_or_b32_e32 v9, 0x10000, v8
	v_cmp_eq_u32_sdwa s[2:3], v8, v27 src0_sel:WORD_0 src1_sel:DWORD
	s_nop 1
	v_cndmask_b32_e64 v8, v9, v8, s[2:3]
	v_accvgpr_write_b32 a37, v8
; %bb.437:                              ;   in Loop: Header=BB332_288 Depth=1
	s_or_b64 exec, exec, s[20:21]
	v_lshlrev_b32_e32 v7, 16, v7
	v_mul_f32_e32 v7, v45, v7
	v_and_b32_e32 v8, 0x7f800000, v7
	v_cmp_ne_u32_e64 s[2:3], s17, v8
                                        ; implicit-def: $agpr38
	s_and_saveexec_b64 s[20:21], s[2:3]
	s_xor_b64 s[2:3], exec, s[20:21]
; %bb.438:                              ;   in Loop: Header=BB332_288 Depth=1
	v_bfe_u32 v8, v7, 16, 1
	v_add3_u32 v7, v7, v8, s24
	v_accvgpr_write_b32 a38, v7
                                        ; implicit-def: $vgpr7
; %bb.439:                              ;   in Loop: Header=BB332_288 Depth=1
	s_andn2_saveexec_b64 s[20:21], s[2:3]
; %bb.440:                              ;   in Loop: Header=BB332_288 Depth=1
	v_or_b32_e32 v8, 0x10000, v7
	v_cmp_eq_u32_sdwa s[2:3], v7, v27 src0_sel:WORD_0 src1_sel:DWORD
	s_nop 1
	v_cndmask_b32_e64 v7, v8, v7, s[2:3]
	v_accvgpr_write_b32 a38, v7
; %bb.441:                              ;   in Loop: Header=BB332_288 Depth=1
	s_or_b64 exec, exec, s[20:21]
	v_lshlrev_b32_e32 v6, 16, v6
	v_mul_f32_e32 v6, v46, v6
	v_and_b32_e32 v7, 0x7f800000, v6
	v_cmp_ne_u32_e64 s[2:3], s17, v7
                                        ; implicit-def: $agpr39
	s_and_saveexec_b64 s[20:21], s[2:3]
	s_xor_b64 s[2:3], exec, s[20:21]
; %bb.442:                              ;   in Loop: Header=BB332_288 Depth=1
	v_bfe_u32 v7, v6, 16, 1
	v_add3_u32 v6, v6, v7, s24
	v_accvgpr_write_b32 a39, v6
                                        ; implicit-def: $vgpr6
; %bb.443:                              ;   in Loop: Header=BB332_288 Depth=1
	s_andn2_saveexec_b64 s[20:21], s[2:3]
; %bb.444:                              ;   in Loop: Header=BB332_288 Depth=1
	v_or_b32_e32 v7, 0x10000, v6
	v_cmp_eq_u32_sdwa s[2:3], v6, v27 src0_sel:WORD_0 src1_sel:DWORD
	s_nop 1
	v_cndmask_b32_e64 v6, v7, v6, s[2:3]
	v_accvgpr_write_b32 a39, v6
; %bb.445:                              ;   in Loop: Header=BB332_288 Depth=1
	s_or_b64 exec, exec, s[20:21]
	v_lshlrev_b32_e32 v1, 16, v1
	v_mul_f32_e32 v1, v47, v1
	v_and_b32_e32 v6, 0x7f800000, v1
	v_cmp_ne_u32_e64 s[2:3], s17, v6
                                        ; implicit-def: $agpr40
	s_and_saveexec_b64 s[20:21], s[2:3]
	s_xor_b64 s[2:3], exec, s[20:21]
; %bb.446:                              ;   in Loop: Header=BB332_288 Depth=1
	v_bfe_u32 v6, v1, 16, 1
	v_add3_u32 v1, v1, v6, s24
	v_accvgpr_write_b32 a40, v1
                                        ; implicit-def: $vgpr1
; %bb.447:                              ;   in Loop: Header=BB332_288 Depth=1
	s_andn2_saveexec_b64 s[20:21], s[2:3]
; %bb.448:                              ;   in Loop: Header=BB332_288 Depth=1
	v_or_b32_e32 v6, 0x10000, v1
	v_cmp_eq_u32_sdwa s[2:3], v1, v27 src0_sel:WORD_0 src1_sel:DWORD
	s_nop 1
	v_cndmask_b32_e64 v1, v6, v1, s[2:3]
	v_accvgpr_write_b32 a40, v1
; %bb.449:                              ;   in Loop: Header=BB332_288 Depth=1
	s_or_b64 exec, exec, s[20:21]
	v_lshlrev_b32_e32 v0, 16, v0
	v_mul_f32_e32 v0, v62, v0
	v_and_b32_e32 v1, 0x7f800000, v0
	v_cmp_ne_u32_e64 s[2:3], s17, v1
                                        ; implicit-def: $agpr41
	s_and_saveexec_b64 s[20:21], s[2:3]
	s_xor_b64 s[2:3], exec, s[20:21]
; %bb.450:                              ;   in Loop: Header=BB332_288 Depth=1
	v_bfe_u32 v1, v0, 16, 1
	v_add3_u32 v0, v0, v1, s24
	v_accvgpr_write_b32 a41, v0
                                        ; implicit-def: $vgpr0
; %bb.451:                              ;   in Loop: Header=BB332_288 Depth=1
	s_andn2_saveexec_b64 s[20:21], s[2:3]
; %bb.452:                              ;   in Loop: Header=BB332_288 Depth=1
	v_or_b32_e32 v1, 0x10000, v0
	v_cmp_eq_u32_sdwa s[2:3], v0, v27 src0_sel:WORD_0 src1_sel:DWORD
	s_nop 1
	v_cndmask_b32_e64 v0, v1, v0, s[2:3]
	v_accvgpr_write_b32 a41, v0
; %bb.453:                              ;   in Loop: Header=BB332_288 Depth=1
	s_or_b64 exec, exec, s[20:21]
	flat_load_dwordx2 v[6:7], v[4:5] offset:1024
	s_waitcnt vmcnt(0) lgkmcnt(0)
	v_and_b32_e32 v0, 0xff, v6
	v_cvt_f32_fp8_sdwa v0, v0 src0_sel:BYTE_0
	s_nop 0
	v_mul_f32_e32 v1, v23, v0
	v_and_b32_e32 v0, 0x7f800000, v1
	v_cmp_ne_u32_e64 s[2:3], s17, v0
                                        ; implicit-def: $vgpr0
	s_and_saveexec_b64 s[20:21], s[2:3]
	s_xor_b64 s[2:3], exec, s[20:21]
; %bb.454:                              ;   in Loop: Header=BB332_288 Depth=1
	v_bfe_u32 v0, v1, 16, 1
	v_add3_u32 v0, v1, v0, s24
                                        ; implicit-def: $vgpr1
; %bb.455:                              ;   in Loop: Header=BB332_288 Depth=1
	s_andn2_saveexec_b64 s[20:21], s[2:3]
; %bb.456:                              ;   in Loop: Header=BB332_288 Depth=1
	v_or_b32_e32 v0, 0x10000, v1
	v_cmp_eq_u32_sdwa s[2:3], v1, v27 src0_sel:WORD_0 src1_sel:DWORD
	s_nop 1
	v_cndmask_b32_e64 v0, v0, v1, s[2:3]
; %bb.457:                              ;   in Loop: Header=BB332_288 Depth=1
	s_or_b64 exec, exec, s[20:21]
	v_bfe_u32 v1, v6, 8, 8
	v_cvt_f32_fp8_sdwa v1, v1 src0_sel:BYTE_0
	s_nop 0
	v_mul_f32_e32 v8, v23, v1
	v_and_b32_e32 v1, 0x7f800000, v8
	v_cmp_ne_u32_e64 s[2:3], s17, v1
                                        ; implicit-def: $vgpr1
	s_and_saveexec_b64 s[20:21], s[2:3]
	s_xor_b64 s[2:3], exec, s[20:21]
; %bb.458:                              ;   in Loop: Header=BB332_288 Depth=1
	v_bfe_u32 v1, v8, 16, 1
	v_add3_u32 v1, v8, v1, s24
                                        ; implicit-def: $vgpr8
; %bb.459:                              ;   in Loop: Header=BB332_288 Depth=1
	s_andn2_saveexec_b64 s[20:21], s[2:3]
; %bb.460:                              ;   in Loop: Header=BB332_288 Depth=1
	v_or_b32_e32 v1, 0x10000, v8
	v_cmp_eq_u32_sdwa s[2:3], v8, v27 src0_sel:WORD_0 src1_sel:DWORD
	s_nop 1
	v_cndmask_b32_e64 v1, v1, v8, s[2:3]
; %bb.461:                              ;   in Loop: Header=BB332_288 Depth=1
	s_or_b64 exec, exec, s[20:21]
	v_bfe_u32 v8, v6, 16, 8
	v_cvt_f32_fp8_sdwa v8, v8 src0_sel:BYTE_0
	s_nop 0
	v_mul_f32_e32 v9, v23, v8
	v_and_b32_e32 v8, 0x7f800000, v9
	v_cmp_ne_u32_e64 s[2:3], s17, v8
                                        ; implicit-def: $vgpr8
	s_and_saveexec_b64 s[20:21], s[2:3]
	s_xor_b64 s[2:3], exec, s[20:21]
; %bb.462:                              ;   in Loop: Header=BB332_288 Depth=1
	v_bfe_u32 v8, v9, 16, 1
	v_add3_u32 v8, v9, v8, s24
                                        ; implicit-def: $vgpr9
; %bb.463:                              ;   in Loop: Header=BB332_288 Depth=1
	s_andn2_saveexec_b64 s[20:21], s[2:3]
; %bb.464:                              ;   in Loop: Header=BB332_288 Depth=1
	v_or_b32_e32 v8, 0x10000, v9
	v_cmp_eq_u32_sdwa s[2:3], v9, v27 src0_sel:WORD_0 src1_sel:DWORD
	s_nop 1
	v_cndmask_b32_e64 v8, v8, v9, s[2:3]
; %bb.465:                              ;   in Loop: Header=BB332_288 Depth=1
	s_or_b64 exec, exec, s[20:21]
	v_lshrrev_b32_e32 v6, 24, v6
	v_cvt_f32_fp8_sdwa v6, v6 src0_sel:BYTE_0
	s_nop 0
	v_mul_f32_e32 v6, v23, v6
	v_and_b32_e32 v9, 0x7f800000, v6
	v_cmp_ne_u32_e64 s[2:3], s17, v9
                                        ; implicit-def: $vgpr9
	s_and_saveexec_b64 s[20:21], s[2:3]
	s_xor_b64 s[2:3], exec, s[20:21]
; %bb.466:                              ;   in Loop: Header=BB332_288 Depth=1
	v_bfe_u32 v9, v6, 16, 1
	v_add3_u32 v9, v6, v9, s24
                                        ; implicit-def: $vgpr6
; %bb.467:                              ;   in Loop: Header=BB332_288 Depth=1
	s_andn2_saveexec_b64 s[20:21], s[2:3]
; %bb.468:                              ;   in Loop: Header=BB332_288 Depth=1
	v_or_b32_e32 v9, 0x10000, v6
	v_cmp_eq_u32_sdwa s[2:3], v6, v27 src0_sel:WORD_0 src1_sel:DWORD
	s_nop 1
	v_cndmask_b32_e64 v9, v9, v6, s[2:3]
; %bb.469:                              ;   in Loop: Header=BB332_288 Depth=1
	s_or_b64 exec, exec, s[20:21]
	v_and_b32_e32 v6, 0xff, v7
	v_cvt_f32_fp8_sdwa v6, v6 src0_sel:BYTE_0
	s_nop 0
	v_mul_f32_e32 v6, v23, v6
	v_and_b32_e32 v12, 0x7f800000, v6
	v_cmp_ne_u32_e64 s[2:3], s17, v12
                                        ; implicit-def: $vgpr12
	s_and_saveexec_b64 s[20:21], s[2:3]
	s_xor_b64 s[2:3], exec, s[20:21]
; %bb.470:                              ;   in Loop: Header=BB332_288 Depth=1
	v_bfe_u32 v12, v6, 16, 1
	v_add3_u32 v12, v6, v12, s24
                                        ; implicit-def: $vgpr6
; %bb.471:                              ;   in Loop: Header=BB332_288 Depth=1
	s_andn2_saveexec_b64 s[20:21], s[2:3]
; %bb.472:                              ;   in Loop: Header=BB332_288 Depth=1
	v_or_b32_e32 v12, 0x10000, v6
	v_cmp_eq_u32_sdwa s[2:3], v6, v27 src0_sel:WORD_0 src1_sel:DWORD
	s_nop 1
	v_cndmask_b32_e64 v12, v12, v6, s[2:3]
; %bb.473:                              ;   in Loop: Header=BB332_288 Depth=1
	s_or_b64 exec, exec, s[20:21]
	v_bfe_u32 v6, v7, 8, 8
	v_cvt_f32_fp8_sdwa v6, v6 src0_sel:BYTE_0
	s_nop 0
	v_mul_f32_e32 v13, v23, v6
	v_and_b32_e32 v6, 0x7f800000, v13
	v_cmp_ne_u32_e64 s[2:3], s17, v6
                                        ; implicit-def: $vgpr6
	s_and_saveexec_b64 s[20:21], s[2:3]
	s_xor_b64 s[2:3], exec, s[20:21]
; %bb.474:                              ;   in Loop: Header=BB332_288 Depth=1
	v_bfe_u32 v6, v13, 16, 1
	v_add3_u32 v6, v13, v6, s24
                                        ; implicit-def: $vgpr13
; %bb.475:                              ;   in Loop: Header=BB332_288 Depth=1
	s_andn2_saveexec_b64 s[20:21], s[2:3]
; %bb.476:                              ;   in Loop: Header=BB332_288 Depth=1
	v_or_b32_e32 v6, 0x10000, v13
	v_cmp_eq_u32_sdwa s[2:3], v13, v27 src0_sel:WORD_0 src1_sel:DWORD
	s_nop 1
	v_cndmask_b32_e64 v6, v6, v13, s[2:3]
; %bb.477:                              ;   in Loop: Header=BB332_288 Depth=1
	s_or_b64 exec, exec, s[20:21]
	v_bfe_u32 v13, v7, 16, 8
	v_cvt_f32_fp8_sdwa v13, v13 src0_sel:BYTE_0
	s_nop 0
	v_mul_f32_e32 v16, v23, v13
	v_and_b32_e32 v13, 0x7f800000, v16
	v_cmp_ne_u32_e64 s[2:3], s17, v13
                                        ; implicit-def: $vgpr13
	s_and_saveexec_b64 s[20:21], s[2:3]
	s_xor_b64 s[2:3], exec, s[20:21]
; %bb.478:                              ;   in Loop: Header=BB332_288 Depth=1
	v_bfe_u32 v13, v16, 16, 1
	v_add3_u32 v13, v16, v13, s24
                                        ; implicit-def: $vgpr16
; %bb.479:                              ;   in Loop: Header=BB332_288 Depth=1
	s_andn2_saveexec_b64 s[20:21], s[2:3]
; %bb.480:                              ;   in Loop: Header=BB332_288 Depth=1
	v_or_b32_e32 v13, 0x10000, v16
	v_cmp_eq_u32_sdwa s[2:3], v16, v27 src0_sel:WORD_0 src1_sel:DWORD
	s_nop 1
	v_cndmask_b32_e64 v13, v13, v16, s[2:3]
; %bb.481:                              ;   in Loop: Header=BB332_288 Depth=1
	s_or_b64 exec, exec, s[20:21]
	v_lshrrev_b32_e32 v7, 24, v7
	v_cvt_f32_fp8_sdwa v7, v7 src0_sel:BYTE_0
                                        ; implicit-def: $vgpr17
	s_nop 0
	v_mul_f32_e32 v7, v23, v7
	v_and_b32_e32 v16, 0x7f800000, v7
	v_cmp_ne_u32_e64 s[2:3], s17, v16
	s_and_saveexec_b64 s[20:21], s[2:3]
	s_xor_b64 s[2:3], exec, s[20:21]
; %bb.482:                              ;   in Loop: Header=BB332_288 Depth=1
	v_bfe_u32 v16, v7, 16, 1
	v_add3_u32 v17, v7, v16, s24
                                        ; implicit-def: $vgpr7
; %bb.483:                              ;   in Loop: Header=BB332_288 Depth=1
	s_andn2_saveexec_b64 s[20:21], s[2:3]
; %bb.484:                              ;   in Loop: Header=BB332_288 Depth=1
	v_or_b32_e32 v16, 0x10000, v7
	v_cmp_eq_u32_sdwa s[2:3], v7, v27 src0_sel:WORD_0 src1_sel:DWORD
	s_nop 1
	v_cndmask_b32_e64 v17, v16, v7, s[2:3]
; %bb.485:                              ;   in Loop: Header=BB332_288 Depth=1
	s_or_b64 exec, exec, s[20:21]
	v_lshrrev_b32_e32 v6, 16, v6
	v_lshrrev_b32_e32 v7, 16, v12
	;; [unrolled: 1-line block ×8, first 2 shown]
	s_and_saveexec_b64 s[20:21], s[0:1]
	s_cbranch_execz .LBB332_487
; %bb.486:                              ;   in Loop: Header=BB332_288 Depth=1
	v_accvgpr_read_b32 v17, a3
	v_cmp_lt_i32_e64 s[2:3], v40, v17
	v_add_u32_e32 v13, 1, v40
	s_nop 0
	v_cndmask_b32_e64 v16, 0, v16, s[2:3]
	v_cmp_lt_i32_e64 s[2:3], v13, v17
	v_add_u32_e32 v13, 2, v40
	s_nop 0
	v_cndmask_b32_e64 v12, 0, v12, s[2:3]
	;; [unrolled: 4-line block ×7, first 2 shown]
	v_cmp_lt_i32_e64 s[2:3], v13, v17
	s_nop 1
	v_cndmask_b32_e64 v0, 0, v0, s[2:3]
.LBB332_487:                            ;   in Loop: Header=BB332_288 Depth=1
	s_or_b64 exec, exec, s[20:21]
	v_lshlrev_b32_e32 v13, 16, v16
	v_mul_f32_e32 v13, v41, v13
	v_and_b32_e32 v16, 0x7f800000, v13
	v_cmp_ne_u32_e64 s[2:3], s17, v16
                                        ; implicit-def: $agpr42
	s_and_saveexec_b64 s[20:21], s[2:3]
	s_xor_b64 s[2:3], exec, s[20:21]
; %bb.488:                              ;   in Loop: Header=BB332_288 Depth=1
	v_bfe_u32 v16, v13, 16, 1
	v_add3_u32 v13, v13, v16, s24
	v_accvgpr_write_b32 a42, v13
                                        ; implicit-def: $vgpr13
; %bb.489:                              ;   in Loop: Header=BB332_288 Depth=1
	s_andn2_saveexec_b64 s[20:21], s[2:3]
; %bb.490:                              ;   in Loop: Header=BB332_288 Depth=1
	v_or_b32_e32 v16, 0x10000, v13
	v_cmp_eq_u32_sdwa s[2:3], v13, v27 src0_sel:WORD_0 src1_sel:DWORD
	s_nop 1
	v_cndmask_b32_e64 v13, v16, v13, s[2:3]
	v_accvgpr_write_b32 a42, v13
; %bb.491:                              ;   in Loop: Header=BB332_288 Depth=1
	s_or_b64 exec, exec, s[20:21]
	v_lshlrev_b32_e32 v12, 16, v12
	v_mul_f32_e32 v12, v42, v12
	v_and_b32_e32 v13, 0x7f800000, v12
	v_cmp_ne_u32_e64 s[2:3], s17, v13
                                        ; implicit-def: $agpr43
	s_and_saveexec_b64 s[20:21], s[2:3]
	s_xor_b64 s[2:3], exec, s[20:21]
; %bb.492:                              ;   in Loop: Header=BB332_288 Depth=1
	v_bfe_u32 v13, v12, 16, 1
	v_add3_u32 v12, v12, v13, s24
	v_accvgpr_write_b32 a43, v12
                                        ; implicit-def: $vgpr12
; %bb.493:                              ;   in Loop: Header=BB332_288 Depth=1
	s_andn2_saveexec_b64 s[20:21], s[2:3]
; %bb.494:                              ;   in Loop: Header=BB332_288 Depth=1
	v_or_b32_e32 v13, 0x10000, v12
	v_cmp_eq_u32_sdwa s[2:3], v12, v27 src0_sel:WORD_0 src1_sel:DWORD
	s_nop 1
	v_cndmask_b32_e64 v12, v13, v12, s[2:3]
	v_accvgpr_write_b32 a43, v12
; %bb.495:                              ;   in Loop: Header=BB332_288 Depth=1
	s_or_b64 exec, exec, s[20:21]
	v_lshlrev_b32_e32 v8, 16, v8
	v_mul_f32_e32 v8, v43, v8
	v_and_b32_e32 v12, 0x7f800000, v8
	v_cmp_ne_u32_e64 s[2:3], s17, v12
                                        ; implicit-def: $agpr44
	s_and_saveexec_b64 s[20:21], s[2:3]
	s_xor_b64 s[2:3], exec, s[20:21]
; %bb.496:                              ;   in Loop: Header=BB332_288 Depth=1
	v_bfe_u32 v12, v8, 16, 1
	v_add3_u32 v8, v8, v12, s24
	v_accvgpr_write_b32 a44, v8
                                        ; implicit-def: $vgpr8
; %bb.497:                              ;   in Loop: Header=BB332_288 Depth=1
	s_andn2_saveexec_b64 s[20:21], s[2:3]
; %bb.498:                              ;   in Loop: Header=BB332_288 Depth=1
	v_or_b32_e32 v12, 0x10000, v8
	v_cmp_eq_u32_sdwa s[2:3], v8, v27 src0_sel:WORD_0 src1_sel:DWORD
	s_nop 1
	v_cndmask_b32_e64 v8, v12, v8, s[2:3]
	v_accvgpr_write_b32 a44, v8
; %bb.499:                              ;   in Loop: Header=BB332_288 Depth=1
	s_or_b64 exec, exec, s[20:21]
	v_lshlrev_b32_e32 v8, 16, v9
	v_mul_f32_e32 v8, v44, v8
	v_and_b32_e32 v9, 0x7f800000, v8
	v_cmp_ne_u32_e64 s[2:3], s17, v9
                                        ; implicit-def: $agpr45
	s_and_saveexec_b64 s[20:21], s[2:3]
	s_xor_b64 s[2:3], exec, s[20:21]
; %bb.500:                              ;   in Loop: Header=BB332_288 Depth=1
	v_bfe_u32 v9, v8, 16, 1
	v_add3_u32 v8, v8, v9, s24
	v_accvgpr_write_b32 a45, v8
                                        ; implicit-def: $vgpr8
; %bb.501:                              ;   in Loop: Header=BB332_288 Depth=1
	s_andn2_saveexec_b64 s[20:21], s[2:3]
; %bb.502:                              ;   in Loop: Header=BB332_288 Depth=1
	v_or_b32_e32 v9, 0x10000, v8
	v_cmp_eq_u32_sdwa s[2:3], v8, v27 src0_sel:WORD_0 src1_sel:DWORD
	s_nop 1
	v_cndmask_b32_e64 v8, v9, v8, s[2:3]
	v_accvgpr_write_b32 a45, v8
; %bb.503:                              ;   in Loop: Header=BB332_288 Depth=1
	s_or_b64 exec, exec, s[20:21]
	v_lshlrev_b32_e32 v7, 16, v7
	v_mul_f32_e32 v7, v45, v7
	v_and_b32_e32 v8, 0x7f800000, v7
	v_cmp_ne_u32_e64 s[2:3], s17, v8
                                        ; implicit-def: $agpr46
	s_and_saveexec_b64 s[20:21], s[2:3]
	s_xor_b64 s[2:3], exec, s[20:21]
; %bb.504:                              ;   in Loop: Header=BB332_288 Depth=1
	v_bfe_u32 v8, v7, 16, 1
	v_add3_u32 v7, v7, v8, s24
	v_accvgpr_write_b32 a46, v7
                                        ; implicit-def: $vgpr7
; %bb.505:                              ;   in Loop: Header=BB332_288 Depth=1
	s_andn2_saveexec_b64 s[20:21], s[2:3]
; %bb.506:                              ;   in Loop: Header=BB332_288 Depth=1
	v_or_b32_e32 v8, 0x10000, v7
	v_cmp_eq_u32_sdwa s[2:3], v7, v27 src0_sel:WORD_0 src1_sel:DWORD
	s_nop 1
	v_cndmask_b32_e64 v7, v8, v7, s[2:3]
	v_accvgpr_write_b32 a46, v7
; %bb.507:                              ;   in Loop: Header=BB332_288 Depth=1
	s_or_b64 exec, exec, s[20:21]
	v_lshlrev_b32_e32 v6, 16, v6
	v_mul_f32_e32 v6, v46, v6
	v_and_b32_e32 v7, 0x7f800000, v6
	v_cmp_ne_u32_e64 s[2:3], s17, v7
                                        ; implicit-def: $agpr47
	s_and_saveexec_b64 s[20:21], s[2:3]
	s_xor_b64 s[2:3], exec, s[20:21]
; %bb.508:                              ;   in Loop: Header=BB332_288 Depth=1
	v_bfe_u32 v7, v6, 16, 1
	v_add3_u32 v6, v6, v7, s24
	v_accvgpr_write_b32 a47, v6
                                        ; implicit-def: $vgpr6
; %bb.509:                              ;   in Loop: Header=BB332_288 Depth=1
	s_andn2_saveexec_b64 s[20:21], s[2:3]
; %bb.510:                              ;   in Loop: Header=BB332_288 Depth=1
	v_or_b32_e32 v7, 0x10000, v6
	v_cmp_eq_u32_sdwa s[2:3], v6, v27 src0_sel:WORD_0 src1_sel:DWORD
	s_nop 1
	v_cndmask_b32_e64 v6, v7, v6, s[2:3]
	v_accvgpr_write_b32 a47, v6
; %bb.511:                              ;   in Loop: Header=BB332_288 Depth=1
	s_or_b64 exec, exec, s[20:21]
	v_lshlrev_b32_e32 v1, 16, v1
	v_mul_f32_e32 v1, v47, v1
	v_and_b32_e32 v6, 0x7f800000, v1
	v_cmp_ne_u32_e64 s[2:3], s17, v6
                                        ; implicit-def: $agpr48
	s_and_saveexec_b64 s[20:21], s[2:3]
	s_xor_b64 s[2:3], exec, s[20:21]
; %bb.512:                              ;   in Loop: Header=BB332_288 Depth=1
	v_bfe_u32 v6, v1, 16, 1
	v_add3_u32 v1, v1, v6, s24
	v_accvgpr_write_b32 a48, v1
                                        ; implicit-def: $vgpr1
; %bb.513:                              ;   in Loop: Header=BB332_288 Depth=1
	s_andn2_saveexec_b64 s[20:21], s[2:3]
; %bb.514:                              ;   in Loop: Header=BB332_288 Depth=1
	v_or_b32_e32 v6, 0x10000, v1
	v_cmp_eq_u32_sdwa s[2:3], v1, v27 src0_sel:WORD_0 src1_sel:DWORD
	s_nop 1
	v_cndmask_b32_e64 v1, v6, v1, s[2:3]
	v_accvgpr_write_b32 a48, v1
; %bb.515:                              ;   in Loop: Header=BB332_288 Depth=1
	s_or_b64 exec, exec, s[20:21]
	v_lshlrev_b32_e32 v0, 16, v0
	v_mul_f32_e32 v0, v62, v0
	v_and_b32_e32 v1, 0x7f800000, v0
	v_cmp_ne_u32_e64 s[2:3], s17, v1
                                        ; implicit-def: $agpr49
	s_and_saveexec_b64 s[20:21], s[2:3]
	s_xor_b64 s[2:3], exec, s[20:21]
; %bb.516:                              ;   in Loop: Header=BB332_288 Depth=1
	v_bfe_u32 v1, v0, 16, 1
	v_add3_u32 v0, v0, v1, s24
	v_accvgpr_write_b32 a49, v0
                                        ; implicit-def: $vgpr0
; %bb.517:                              ;   in Loop: Header=BB332_288 Depth=1
	s_andn2_saveexec_b64 s[20:21], s[2:3]
; %bb.518:                              ;   in Loop: Header=BB332_288 Depth=1
	v_or_b32_e32 v1, 0x10000, v0
	v_cmp_eq_u32_sdwa s[2:3], v0, v27 src0_sel:WORD_0 src1_sel:DWORD
	s_nop 1
	v_cndmask_b32_e64 v0, v1, v0, s[2:3]
	v_accvgpr_write_b32 a49, v0
; %bb.519:                              ;   in Loop: Header=BB332_288 Depth=1
	s_or_b64 exec, exec, s[20:21]
	flat_load_dwordx2 v[6:7], v[4:5] offset:1536
	s_waitcnt vmcnt(0) lgkmcnt(0)
	v_and_b32_e32 v0, 0xff, v6
	v_cvt_f32_fp8_sdwa v0, v0 src0_sel:BYTE_0
	s_nop 0
	v_mul_f32_e32 v1, v23, v0
	v_and_b32_e32 v0, 0x7f800000, v1
	v_cmp_ne_u32_e64 s[2:3], s17, v0
                                        ; implicit-def: $vgpr0
	s_and_saveexec_b64 s[20:21], s[2:3]
	s_xor_b64 s[2:3], exec, s[20:21]
; %bb.520:                              ;   in Loop: Header=BB332_288 Depth=1
	v_bfe_u32 v0, v1, 16, 1
	v_add3_u32 v0, v1, v0, s24
                                        ; implicit-def: $vgpr1
; %bb.521:                              ;   in Loop: Header=BB332_288 Depth=1
	s_andn2_saveexec_b64 s[20:21], s[2:3]
; %bb.522:                              ;   in Loop: Header=BB332_288 Depth=1
	v_or_b32_e32 v0, 0x10000, v1
	v_cmp_eq_u32_sdwa s[2:3], v1, v27 src0_sel:WORD_0 src1_sel:DWORD
	s_nop 1
	v_cndmask_b32_e64 v0, v0, v1, s[2:3]
; %bb.523:                              ;   in Loop: Header=BB332_288 Depth=1
	s_or_b64 exec, exec, s[20:21]
	v_bfe_u32 v1, v6, 8, 8
	v_cvt_f32_fp8_sdwa v1, v1 src0_sel:BYTE_0
	s_nop 0
	v_mul_f32_e32 v8, v23, v1
	v_and_b32_e32 v1, 0x7f800000, v8
	v_cmp_ne_u32_e64 s[2:3], s17, v1
                                        ; implicit-def: $vgpr1
	s_and_saveexec_b64 s[20:21], s[2:3]
	s_xor_b64 s[2:3], exec, s[20:21]
; %bb.524:                              ;   in Loop: Header=BB332_288 Depth=1
	v_bfe_u32 v1, v8, 16, 1
	v_add3_u32 v1, v8, v1, s24
                                        ; implicit-def: $vgpr8
; %bb.525:                              ;   in Loop: Header=BB332_288 Depth=1
	s_andn2_saveexec_b64 s[20:21], s[2:3]
; %bb.526:                              ;   in Loop: Header=BB332_288 Depth=1
	v_or_b32_e32 v1, 0x10000, v8
	v_cmp_eq_u32_sdwa s[2:3], v8, v27 src0_sel:WORD_0 src1_sel:DWORD
	s_nop 1
	v_cndmask_b32_e64 v1, v1, v8, s[2:3]
; %bb.527:                              ;   in Loop: Header=BB332_288 Depth=1
	s_or_b64 exec, exec, s[20:21]
	v_bfe_u32 v8, v6, 16, 8
	v_cvt_f32_fp8_sdwa v8, v8 src0_sel:BYTE_0
	s_nop 0
	v_mul_f32_e32 v9, v23, v8
	v_and_b32_e32 v8, 0x7f800000, v9
	v_cmp_ne_u32_e64 s[2:3], s17, v8
                                        ; implicit-def: $vgpr8
	s_and_saveexec_b64 s[20:21], s[2:3]
	s_xor_b64 s[2:3], exec, s[20:21]
; %bb.528:                              ;   in Loop: Header=BB332_288 Depth=1
	v_bfe_u32 v8, v9, 16, 1
	v_add3_u32 v8, v9, v8, s24
                                        ; implicit-def: $vgpr9
; %bb.529:                              ;   in Loop: Header=BB332_288 Depth=1
	s_andn2_saveexec_b64 s[20:21], s[2:3]
; %bb.530:                              ;   in Loop: Header=BB332_288 Depth=1
	v_or_b32_e32 v8, 0x10000, v9
	v_cmp_eq_u32_sdwa s[2:3], v9, v27 src0_sel:WORD_0 src1_sel:DWORD
	s_nop 1
	v_cndmask_b32_e64 v8, v8, v9, s[2:3]
; %bb.531:                              ;   in Loop: Header=BB332_288 Depth=1
	s_or_b64 exec, exec, s[20:21]
	v_lshrrev_b32_e32 v6, 24, v6
	v_cvt_f32_fp8_sdwa v6, v6 src0_sel:BYTE_0
	s_nop 0
	v_mul_f32_e32 v6, v23, v6
	v_and_b32_e32 v9, 0x7f800000, v6
	v_cmp_ne_u32_e64 s[2:3], s17, v9
                                        ; implicit-def: $vgpr9
	s_and_saveexec_b64 s[20:21], s[2:3]
	s_xor_b64 s[2:3], exec, s[20:21]
; %bb.532:                              ;   in Loop: Header=BB332_288 Depth=1
	v_bfe_u32 v9, v6, 16, 1
	v_add3_u32 v9, v6, v9, s24
                                        ; implicit-def: $vgpr6
; %bb.533:                              ;   in Loop: Header=BB332_288 Depth=1
	s_andn2_saveexec_b64 s[20:21], s[2:3]
; %bb.534:                              ;   in Loop: Header=BB332_288 Depth=1
	v_or_b32_e32 v9, 0x10000, v6
	v_cmp_eq_u32_sdwa s[2:3], v6, v27 src0_sel:WORD_0 src1_sel:DWORD
	s_nop 1
	v_cndmask_b32_e64 v9, v9, v6, s[2:3]
; %bb.535:                              ;   in Loop: Header=BB332_288 Depth=1
	s_or_b64 exec, exec, s[20:21]
	v_and_b32_e32 v6, 0xff, v7
	v_cvt_f32_fp8_sdwa v6, v6 src0_sel:BYTE_0
	s_nop 0
	v_mul_f32_e32 v6, v23, v6
	v_and_b32_e32 v12, 0x7f800000, v6
	v_cmp_ne_u32_e64 s[2:3], s17, v12
                                        ; implicit-def: $vgpr12
	s_and_saveexec_b64 s[20:21], s[2:3]
	s_xor_b64 s[2:3], exec, s[20:21]
; %bb.536:                              ;   in Loop: Header=BB332_288 Depth=1
	v_bfe_u32 v12, v6, 16, 1
	v_add3_u32 v12, v6, v12, s24
                                        ; implicit-def: $vgpr6
; %bb.537:                              ;   in Loop: Header=BB332_288 Depth=1
	s_andn2_saveexec_b64 s[20:21], s[2:3]
; %bb.538:                              ;   in Loop: Header=BB332_288 Depth=1
	v_or_b32_e32 v12, 0x10000, v6
	v_cmp_eq_u32_sdwa s[2:3], v6, v27 src0_sel:WORD_0 src1_sel:DWORD
	s_nop 1
	v_cndmask_b32_e64 v12, v12, v6, s[2:3]
; %bb.539:                              ;   in Loop: Header=BB332_288 Depth=1
	s_or_b64 exec, exec, s[20:21]
	v_bfe_u32 v6, v7, 8, 8
	v_cvt_f32_fp8_sdwa v6, v6 src0_sel:BYTE_0
	s_nop 0
	v_mul_f32_e32 v13, v23, v6
	v_and_b32_e32 v6, 0x7f800000, v13
	v_cmp_ne_u32_e64 s[2:3], s17, v6
                                        ; implicit-def: $vgpr6
	s_and_saveexec_b64 s[20:21], s[2:3]
	s_xor_b64 s[2:3], exec, s[20:21]
; %bb.540:                              ;   in Loop: Header=BB332_288 Depth=1
	v_bfe_u32 v6, v13, 16, 1
	v_add3_u32 v6, v13, v6, s24
                                        ; implicit-def: $vgpr13
; %bb.541:                              ;   in Loop: Header=BB332_288 Depth=1
	s_andn2_saveexec_b64 s[20:21], s[2:3]
; %bb.542:                              ;   in Loop: Header=BB332_288 Depth=1
	v_or_b32_e32 v6, 0x10000, v13
	v_cmp_eq_u32_sdwa s[2:3], v13, v27 src0_sel:WORD_0 src1_sel:DWORD
	s_nop 1
	v_cndmask_b32_e64 v6, v6, v13, s[2:3]
; %bb.543:                              ;   in Loop: Header=BB332_288 Depth=1
	s_or_b64 exec, exec, s[20:21]
	v_bfe_u32 v13, v7, 16, 8
	v_cvt_f32_fp8_sdwa v13, v13 src0_sel:BYTE_0
	s_nop 0
	v_mul_f32_e32 v16, v23, v13
	v_and_b32_e32 v13, 0x7f800000, v16
	v_cmp_ne_u32_e64 s[2:3], s17, v13
                                        ; implicit-def: $vgpr13
	s_and_saveexec_b64 s[20:21], s[2:3]
	s_xor_b64 s[2:3], exec, s[20:21]
; %bb.544:                              ;   in Loop: Header=BB332_288 Depth=1
	v_bfe_u32 v13, v16, 16, 1
	v_add3_u32 v13, v16, v13, s24
                                        ; implicit-def: $vgpr16
; %bb.545:                              ;   in Loop: Header=BB332_288 Depth=1
	s_andn2_saveexec_b64 s[20:21], s[2:3]
; %bb.546:                              ;   in Loop: Header=BB332_288 Depth=1
	v_or_b32_e32 v13, 0x10000, v16
	v_cmp_eq_u32_sdwa s[2:3], v16, v27 src0_sel:WORD_0 src1_sel:DWORD
	s_nop 1
	v_cndmask_b32_e64 v13, v13, v16, s[2:3]
; %bb.547:                              ;   in Loop: Header=BB332_288 Depth=1
	s_or_b64 exec, exec, s[20:21]
	v_lshrrev_b32_e32 v7, 24, v7
	v_cvt_f32_fp8_sdwa v7, v7 src0_sel:BYTE_0
                                        ; implicit-def: $vgpr17
	s_nop 0
	v_mul_f32_e32 v7, v23, v7
	v_and_b32_e32 v16, 0x7f800000, v7
	v_cmp_ne_u32_e64 s[2:3], s17, v16
	s_and_saveexec_b64 s[20:21], s[2:3]
	s_xor_b64 s[2:3], exec, s[20:21]
; %bb.548:                              ;   in Loop: Header=BB332_288 Depth=1
	v_bfe_u32 v16, v7, 16, 1
	v_add3_u32 v17, v7, v16, s24
                                        ; implicit-def: $vgpr7
; %bb.549:                              ;   in Loop: Header=BB332_288 Depth=1
	s_andn2_saveexec_b64 s[20:21], s[2:3]
; %bb.550:                              ;   in Loop: Header=BB332_288 Depth=1
	v_or_b32_e32 v16, 0x10000, v7
	v_cmp_eq_u32_sdwa s[2:3], v7, v27 src0_sel:WORD_0 src1_sel:DWORD
	s_nop 1
	v_cndmask_b32_e64 v17, v16, v7, s[2:3]
; %bb.551:                              ;   in Loop: Header=BB332_288 Depth=1
	s_or_b64 exec, exec, s[20:21]
	v_lshrrev_b32_e32 v6, 16, v6
	v_lshrrev_b32_e32 v7, 16, v12
	;; [unrolled: 1-line block ×8, first 2 shown]
	s_and_saveexec_b64 s[20:21], s[0:1]
	s_cbranch_execz .LBB332_553
; %bb.552:                              ;   in Loop: Header=BB332_288 Depth=1
	v_accvgpr_read_b32 v17, a3
	v_cmp_lt_i32_e64 s[2:3], v40, v17
	v_add_u32_e32 v13, 1, v40
	s_nop 0
	v_cndmask_b32_e64 v16, 0, v16, s[2:3]
	v_cmp_lt_i32_e64 s[2:3], v13, v17
	v_add_u32_e32 v13, 2, v40
	s_nop 0
	v_cndmask_b32_e64 v12, 0, v12, s[2:3]
	;; [unrolled: 4-line block ×7, first 2 shown]
	v_cmp_lt_i32_e64 s[2:3], v13, v17
	s_nop 1
	v_cndmask_b32_e64 v0, 0, v0, s[2:3]
.LBB332_553:                            ;   in Loop: Header=BB332_288 Depth=1
	s_or_b64 exec, exec, s[20:21]
	v_lshlrev_b32_e32 v13, 16, v16
	v_mul_f32_e32 v13, v41, v13
	v_and_b32_e32 v16, 0x7f800000, v13
	v_cmp_ne_u32_e64 s[2:3], s17, v16
                                        ; implicit-def: $agpr50
	s_and_saveexec_b64 s[20:21], s[2:3]
	s_xor_b64 s[2:3], exec, s[20:21]
; %bb.554:                              ;   in Loop: Header=BB332_288 Depth=1
	v_bfe_u32 v16, v13, 16, 1
	v_add3_u32 v13, v13, v16, s24
	v_accvgpr_write_b32 a50, v13
                                        ; implicit-def: $vgpr13
; %bb.555:                              ;   in Loop: Header=BB332_288 Depth=1
	s_andn2_saveexec_b64 s[20:21], s[2:3]
; %bb.556:                              ;   in Loop: Header=BB332_288 Depth=1
	v_or_b32_e32 v16, 0x10000, v13
	v_cmp_eq_u32_sdwa s[2:3], v13, v27 src0_sel:WORD_0 src1_sel:DWORD
	s_nop 1
	v_cndmask_b32_e64 v13, v16, v13, s[2:3]
	v_accvgpr_write_b32 a50, v13
; %bb.557:                              ;   in Loop: Header=BB332_288 Depth=1
	s_or_b64 exec, exec, s[20:21]
	v_lshlrev_b32_e32 v12, 16, v12
	v_mul_f32_e32 v12, v42, v12
	v_and_b32_e32 v13, 0x7f800000, v12
	v_cmp_ne_u32_e64 s[2:3], s17, v13
                                        ; implicit-def: $agpr51
	s_and_saveexec_b64 s[20:21], s[2:3]
	s_xor_b64 s[2:3], exec, s[20:21]
; %bb.558:                              ;   in Loop: Header=BB332_288 Depth=1
	v_bfe_u32 v13, v12, 16, 1
	v_add3_u32 v12, v12, v13, s24
	v_accvgpr_write_b32 a51, v12
                                        ; implicit-def: $vgpr12
; %bb.559:                              ;   in Loop: Header=BB332_288 Depth=1
	s_andn2_saveexec_b64 s[20:21], s[2:3]
; %bb.560:                              ;   in Loop: Header=BB332_288 Depth=1
	v_or_b32_e32 v13, 0x10000, v12
	v_cmp_eq_u32_sdwa s[2:3], v12, v27 src0_sel:WORD_0 src1_sel:DWORD
	s_nop 1
	v_cndmask_b32_e64 v12, v13, v12, s[2:3]
	v_accvgpr_write_b32 a51, v12
; %bb.561:                              ;   in Loop: Header=BB332_288 Depth=1
	s_or_b64 exec, exec, s[20:21]
	v_lshlrev_b32_e32 v8, 16, v8
	v_mul_f32_e32 v8, v43, v8
	v_and_b32_e32 v12, 0x7f800000, v8
	v_cmp_ne_u32_e64 s[2:3], s17, v12
                                        ; implicit-def: $agpr52
	s_and_saveexec_b64 s[20:21], s[2:3]
	s_xor_b64 s[2:3], exec, s[20:21]
; %bb.562:                              ;   in Loop: Header=BB332_288 Depth=1
	v_bfe_u32 v12, v8, 16, 1
	v_add3_u32 v8, v8, v12, s24
	v_accvgpr_write_b32 a52, v8
                                        ; implicit-def: $vgpr8
; %bb.563:                              ;   in Loop: Header=BB332_288 Depth=1
	s_andn2_saveexec_b64 s[20:21], s[2:3]
; %bb.564:                              ;   in Loop: Header=BB332_288 Depth=1
	v_or_b32_e32 v12, 0x10000, v8
	v_cmp_eq_u32_sdwa s[2:3], v8, v27 src0_sel:WORD_0 src1_sel:DWORD
	s_nop 1
	v_cndmask_b32_e64 v8, v12, v8, s[2:3]
	v_accvgpr_write_b32 a52, v8
; %bb.565:                              ;   in Loop: Header=BB332_288 Depth=1
	s_or_b64 exec, exec, s[20:21]
	v_lshlrev_b32_e32 v8, 16, v9
	v_mul_f32_e32 v9, v44, v8
	v_and_b32_e32 v8, 0x7f800000, v9
	v_cmp_ne_u32_e64 s[2:3], s17, v8
                                        ; implicit-def: $vgpr8
	s_and_saveexec_b64 s[20:21], s[2:3]
	s_xor_b64 s[2:3], exec, s[20:21]
; %bb.566:                              ;   in Loop: Header=BB332_288 Depth=1
	v_bfe_u32 v8, v9, 16, 1
	v_add3_u32 v8, v9, v8, s24
                                        ; implicit-def: $vgpr9
; %bb.567:                              ;   in Loop: Header=BB332_288 Depth=1
	s_andn2_saveexec_b64 s[20:21], s[2:3]
; %bb.568:                              ;   in Loop: Header=BB332_288 Depth=1
	v_or_b32_e32 v8, 0x10000, v9
	v_cmp_eq_u32_sdwa s[2:3], v9, v27 src0_sel:WORD_0 src1_sel:DWORD
	s_nop 1
	v_cndmask_b32_e64 v8, v8, v9, s[2:3]
; %bb.569:                              ;   in Loop: Header=BB332_288 Depth=1
	s_or_b64 exec, exec, s[20:21]
	v_lshlrev_b32_e32 v7, 16, v7
	v_mul_f32_e32 v7, v45, v7
	v_and_b32_e32 v9, 0x7f800000, v7
	v_cmp_ne_u32_e64 s[2:3], s17, v9
                                        ; implicit-def: $vgpr22
	s_and_saveexec_b64 s[20:21], s[2:3]
	s_xor_b64 s[2:3], exec, s[20:21]
; %bb.570:                              ;   in Loop: Header=BB332_288 Depth=1
	v_bfe_u32 v9, v7, 16, 1
	v_add3_u32 v22, v7, v9, s24
                                        ; implicit-def: $vgpr7
; %bb.571:                              ;   in Loop: Header=BB332_288 Depth=1
	s_andn2_saveexec_b64 s[20:21], s[2:3]
; %bb.572:                              ;   in Loop: Header=BB332_288 Depth=1
	v_or_b32_e32 v9, 0x10000, v7
	v_cmp_eq_u32_sdwa s[2:3], v7, v27 src0_sel:WORD_0 src1_sel:DWORD
	s_nop 1
	v_cndmask_b32_e64 v22, v9, v7, s[2:3]
; %bb.573:                              ;   in Loop: Header=BB332_288 Depth=1
	s_or_b64 exec, exec, s[20:21]
	v_lshlrev_b32_e32 v6, 16, v6
	v_mul_f32_e32 v6, v46, v6
	v_and_b32_e32 v7, 0x7f800000, v6
	v_cmp_ne_u32_e64 s[2:3], s17, v7
                                        ; implicit-def: $vgpr9
	s_and_saveexec_b64 s[20:21], s[2:3]
	s_xor_b64 s[2:3], exec, s[20:21]
; %bb.574:                              ;   in Loop: Header=BB332_288 Depth=1
	v_bfe_u32 v7, v6, 16, 1
	v_add3_u32 v9, v6, v7, s24
                                        ; implicit-def: $vgpr6
; %bb.575:                              ;   in Loop: Header=BB332_288 Depth=1
	s_andn2_saveexec_b64 s[20:21], s[2:3]
; %bb.576:                              ;   in Loop: Header=BB332_288 Depth=1
	v_or_b32_e32 v7, 0x10000, v6
	v_cmp_eq_u32_sdwa s[2:3], v6, v27 src0_sel:WORD_0 src1_sel:DWORD
	s_nop 1
	v_cndmask_b32_e64 v9, v7, v6, s[2:3]
; %bb.577:                              ;   in Loop: Header=BB332_288 Depth=1
	s_or_b64 exec, exec, s[20:21]
	v_lshlrev_b32_e32 v1, 16, v1
	v_mul_f32_e32 v1, v47, v1
	v_and_b32_e32 v6, 0x7f800000, v1
	v_cmp_ne_u32_e64 s[2:3], s17, v6
                                        ; implicit-def: $vgpr49
	s_and_saveexec_b64 s[20:21], s[2:3]
	s_xor_b64 s[2:3], exec, s[20:21]
; %bb.578:                              ;   in Loop: Header=BB332_288 Depth=1
	v_bfe_u32 v6, v1, 16, 1
	v_add3_u32 v49, v1, v6, s24
                                        ; implicit-def: $vgpr1
; %bb.579:                              ;   in Loop: Header=BB332_288 Depth=1
	s_andn2_saveexec_b64 s[20:21], s[2:3]
; %bb.580:                              ;   in Loop: Header=BB332_288 Depth=1
	v_or_b32_e32 v6, 0x10000, v1
	v_cmp_eq_u32_sdwa s[2:3], v1, v27 src0_sel:WORD_0 src1_sel:DWORD
	s_nop 1
	v_cndmask_b32_e64 v49, v6, v1, s[2:3]
; %bb.581:                              ;   in Loop: Header=BB332_288 Depth=1
	s_or_b64 exec, exec, s[20:21]
	v_lshlrev_b32_e32 v0, 16, v0
	v_mul_f32_e32 v0, v62, v0
	v_and_b32_e32 v1, 0x7f800000, v0
	v_cmp_ne_u32_e64 s[2:3], s17, v1
                                        ; implicit-def: $vgpr50
	s_and_saveexec_b64 s[20:21], s[2:3]
	s_xor_b64 s[2:3], exec, s[20:21]
; %bb.582:                              ;   in Loop: Header=BB332_288 Depth=1
	v_bfe_u32 v1, v0, 16, 1
	v_add3_u32 v50, v0, v1, s24
                                        ; implicit-def: $vgpr0
; %bb.583:                              ;   in Loop: Header=BB332_288 Depth=1
	s_andn2_saveexec_b64 s[20:21], s[2:3]
; %bb.584:                              ;   in Loop: Header=BB332_288 Depth=1
	v_or_b32_e32 v1, 0x10000, v0
	v_cmp_eq_u32_sdwa s[2:3], v0, v27 src0_sel:WORD_0 src1_sel:DWORD
	s_nop 1
	v_cndmask_b32_e64 v50, v1, v0, s[2:3]
; %bb.585:                              ;   in Loop: Header=BB332_288 Depth=1
	s_or_b64 exec, exec, s[20:21]
	flat_load_dwordx2 v[6:7], v[4:5] offset:2048
	s_waitcnt vmcnt(0) lgkmcnt(0)
	v_and_b32_e32 v0, 0xff, v6
	v_cvt_f32_fp8_sdwa v0, v0 src0_sel:BYTE_0
	s_nop 0
	v_mul_f32_e32 v1, v23, v0
	v_and_b32_e32 v0, 0x7f800000, v1
	v_cmp_ne_u32_e64 s[2:3], s17, v0
                                        ; implicit-def: $vgpr0
	s_and_saveexec_b64 s[20:21], s[2:3]
	s_xor_b64 s[2:3], exec, s[20:21]
; %bb.586:                              ;   in Loop: Header=BB332_288 Depth=1
	v_bfe_u32 v0, v1, 16, 1
	v_add3_u32 v0, v1, v0, s24
                                        ; implicit-def: $vgpr1
; %bb.587:                              ;   in Loop: Header=BB332_288 Depth=1
	s_andn2_saveexec_b64 s[20:21], s[2:3]
; %bb.588:                              ;   in Loop: Header=BB332_288 Depth=1
	v_or_b32_e32 v0, 0x10000, v1
	v_cmp_eq_u32_sdwa s[2:3], v1, v27 src0_sel:WORD_0 src1_sel:DWORD
	s_nop 1
	v_cndmask_b32_e64 v0, v0, v1, s[2:3]
; %bb.589:                              ;   in Loop: Header=BB332_288 Depth=1
	s_or_b64 exec, exec, s[20:21]
	v_bfe_u32 v1, v6, 8, 8
	v_cvt_f32_fp8_sdwa v1, v1 src0_sel:BYTE_0
	s_nop 0
	v_mul_f32_e32 v12, v23, v1
	v_and_b32_e32 v1, 0x7f800000, v12
	v_cmp_ne_u32_e64 s[2:3], s17, v1
                                        ; implicit-def: $vgpr1
	s_and_saveexec_b64 s[20:21], s[2:3]
	s_xor_b64 s[2:3], exec, s[20:21]
; %bb.590:                              ;   in Loop: Header=BB332_288 Depth=1
	v_bfe_u32 v1, v12, 16, 1
	v_add3_u32 v1, v12, v1, s24
                                        ; implicit-def: $vgpr12
; %bb.591:                              ;   in Loop: Header=BB332_288 Depth=1
	s_andn2_saveexec_b64 s[20:21], s[2:3]
; %bb.592:                              ;   in Loop: Header=BB332_288 Depth=1
	v_or_b32_e32 v1, 0x10000, v12
	v_cmp_eq_u32_sdwa s[2:3], v12, v27 src0_sel:WORD_0 src1_sel:DWORD
	s_nop 1
	v_cndmask_b32_e64 v1, v1, v12, s[2:3]
; %bb.593:                              ;   in Loop: Header=BB332_288 Depth=1
	s_or_b64 exec, exec, s[20:21]
	v_bfe_u32 v12, v6, 16, 8
	v_cvt_f32_fp8_sdwa v12, v12 src0_sel:BYTE_0
                                        ; implicit-def: $vgpr16
	s_nop 0
	v_mul_f32_e32 v12, v23, v12
	v_and_b32_e32 v13, 0x7f800000, v12
	v_cmp_ne_u32_e64 s[2:3], s17, v13
	s_and_saveexec_b64 s[20:21], s[2:3]
	s_xor_b64 s[2:3], exec, s[20:21]
; %bb.594:                              ;   in Loop: Header=BB332_288 Depth=1
	v_bfe_u32 v13, v12, 16, 1
	v_add3_u32 v16, v12, v13, s24
                                        ; implicit-def: $vgpr12
; %bb.595:                              ;   in Loop: Header=BB332_288 Depth=1
	s_andn2_saveexec_b64 s[20:21], s[2:3]
; %bb.596:                              ;   in Loop: Header=BB332_288 Depth=1
	v_or_b32_e32 v13, 0x10000, v12
	v_cmp_eq_u32_sdwa s[2:3], v12, v27 src0_sel:WORD_0 src1_sel:DWORD
	s_nop 1
	v_cndmask_b32_e64 v16, v13, v12, s[2:3]
; %bb.597:                              ;   in Loop: Header=BB332_288 Depth=1
	s_or_b64 exec, exec, s[20:21]
	v_lshrrev_b32_e32 v6, 24, v6
	v_cvt_f32_fp8_sdwa v6, v6 src0_sel:BYTE_0
                                        ; implicit-def: $vgpr18
	s_nop 0
	v_mul_f32_e32 v6, v23, v6
	v_and_b32_e32 v12, 0x7f800000, v6
	v_cmp_ne_u32_e64 s[2:3], s17, v12
	s_and_saveexec_b64 s[20:21], s[2:3]
	s_xor_b64 s[2:3], exec, s[20:21]
; %bb.598:                              ;   in Loop: Header=BB332_288 Depth=1
	v_bfe_u32 v12, v6, 16, 1
	v_add3_u32 v18, v6, v12, s24
                                        ; implicit-def: $vgpr6
; %bb.599:                              ;   in Loop: Header=BB332_288 Depth=1
	s_andn2_saveexec_b64 s[20:21], s[2:3]
; %bb.600:                              ;   in Loop: Header=BB332_288 Depth=1
	v_or_b32_e32 v12, 0x10000, v6
	v_cmp_eq_u32_sdwa s[2:3], v6, v27 src0_sel:WORD_0 src1_sel:DWORD
	s_nop 1
	v_cndmask_b32_e64 v18, v12, v6, s[2:3]
; %bb.601:                              ;   in Loop: Header=BB332_288 Depth=1
	s_or_b64 exec, exec, s[20:21]
	v_and_b32_e32 v6, 0xff, v7
	v_cvt_f32_fp8_sdwa v6, v6 src0_sel:BYTE_0
	s_nop 0
	v_mul_f32_e32 v6, v23, v6
	v_and_b32_e32 v12, 0x7f800000, v6
	v_cmp_ne_u32_e64 s[2:3], s17, v12
                                        ; implicit-def: $vgpr12
	s_and_saveexec_b64 s[20:21], s[2:3]
	s_xor_b64 s[2:3], exec, s[20:21]
; %bb.602:                              ;   in Loop: Header=BB332_288 Depth=1
	v_bfe_u32 v12, v6, 16, 1
	v_add3_u32 v12, v6, v12, s24
                                        ; implicit-def: $vgpr6
; %bb.603:                              ;   in Loop: Header=BB332_288 Depth=1
	s_andn2_saveexec_b64 s[20:21], s[2:3]
; %bb.604:                              ;   in Loop: Header=BB332_288 Depth=1
	v_or_b32_e32 v12, 0x10000, v6
	v_cmp_eq_u32_sdwa s[2:3], v6, v27 src0_sel:WORD_0 src1_sel:DWORD
	s_nop 1
	v_cndmask_b32_e64 v12, v12, v6, s[2:3]
; %bb.605:                              ;   in Loop: Header=BB332_288 Depth=1
	s_or_b64 exec, exec, s[20:21]
	v_bfe_u32 v6, v7, 8, 8
	v_cvt_f32_fp8_sdwa v6, v6 src0_sel:BYTE_0
	s_nop 0
	v_mul_f32_e32 v13, v23, v6
	v_and_b32_e32 v6, 0x7f800000, v13
	v_cmp_ne_u32_e64 s[2:3], s17, v6
                                        ; implicit-def: $vgpr6
	s_and_saveexec_b64 s[20:21], s[2:3]
	s_xor_b64 s[2:3], exec, s[20:21]
; %bb.606:                              ;   in Loop: Header=BB332_288 Depth=1
	v_bfe_u32 v6, v13, 16, 1
	v_add3_u32 v6, v13, v6, s24
                                        ; implicit-def: $vgpr13
; %bb.607:                              ;   in Loop: Header=BB332_288 Depth=1
	s_andn2_saveexec_b64 s[20:21], s[2:3]
; %bb.608:                              ;   in Loop: Header=BB332_288 Depth=1
	v_or_b32_e32 v6, 0x10000, v13
	v_cmp_eq_u32_sdwa s[2:3], v13, v27 src0_sel:WORD_0 src1_sel:DWORD
	s_nop 1
	v_cndmask_b32_e64 v6, v6, v13, s[2:3]
; %bb.609:                              ;   in Loop: Header=BB332_288 Depth=1
	s_or_b64 exec, exec, s[20:21]
	v_bfe_u32 v13, v7, 16, 8
	v_cvt_f32_fp8_sdwa v13, v13 src0_sel:BYTE_0
                                        ; implicit-def: $vgpr20
	s_nop 0
	v_mul_f32_e32 v13, v23, v13
	v_and_b32_e32 v17, 0x7f800000, v13
	v_cmp_ne_u32_e64 s[2:3], s17, v17
	s_and_saveexec_b64 s[20:21], s[2:3]
	s_xor_b64 s[2:3], exec, s[20:21]
; %bb.610:                              ;   in Loop: Header=BB332_288 Depth=1
	v_bfe_u32 v17, v13, 16, 1
	v_add3_u32 v20, v13, v17, s24
                                        ; implicit-def: $vgpr13
; %bb.611:                              ;   in Loop: Header=BB332_288 Depth=1
	s_andn2_saveexec_b64 s[20:21], s[2:3]
; %bb.612:                              ;   in Loop: Header=BB332_288 Depth=1
	v_or_b32_e32 v17, 0x10000, v13
	v_cmp_eq_u32_sdwa s[2:3], v13, v27 src0_sel:WORD_0 src1_sel:DWORD
	s_nop 1
	v_cndmask_b32_e64 v20, v17, v13, s[2:3]
; %bb.613:                              ;   in Loop: Header=BB332_288 Depth=1
	s_or_b64 exec, exec, s[20:21]
	v_lshrrev_b32_e32 v7, 24, v7
	v_cvt_f32_fp8_sdwa v7, v7 src0_sel:BYTE_0
                                        ; implicit-def: $vgpr17
	s_nop 0
	v_mul_f32_e32 v7, v23, v7
	v_and_b32_e32 v13, 0x7f800000, v7
	v_cmp_ne_u32_e64 s[2:3], s17, v13
	s_and_saveexec_b64 s[20:21], s[2:3]
	s_xor_b64 s[2:3], exec, s[20:21]
; %bb.614:                              ;   in Loop: Header=BB332_288 Depth=1
	v_bfe_u32 v13, v7, 16, 1
	v_add3_u32 v17, v7, v13, s24
                                        ; implicit-def: $vgpr7
; %bb.615:                              ;   in Loop: Header=BB332_288 Depth=1
	s_andn2_saveexec_b64 s[20:21], s[2:3]
; %bb.616:                              ;   in Loop: Header=BB332_288 Depth=1
	v_or_b32_e32 v13, 0x10000, v7
	v_cmp_eq_u32_sdwa s[2:3], v7, v27 src0_sel:WORD_0 src1_sel:DWORD
	s_nop 1
	v_cndmask_b32_e64 v17, v13, v7, s[2:3]
; %bb.617:                              ;   in Loop: Header=BB332_288 Depth=1
	s_or_b64 exec, exec, s[20:21]
	v_lshrrev_b32_e32 v6, 16, v6
	v_lshrrev_b32_e32 v7, 16, v12
	;; [unrolled: 1-line block ×8, first 2 shown]
	s_and_saveexec_b64 s[20:21], s[0:1]
	s_cbranch_execz .LBB332_619
; %bb.618:                              ;   in Loop: Header=BB332_288 Depth=1
	v_accvgpr_read_b32 v19, a3
	v_cmp_lt_i32_e64 s[2:3], v40, v19
	v_add_u32_e32 v17, 1, v40
	s_nop 0
	v_cndmask_b32_e64 v16, 0, v16, s[2:3]
	v_cmp_lt_i32_e64 s[2:3], v17, v19
	v_add_u32_e32 v17, 2, v40
	s_nop 0
	v_cndmask_b32_e64 v13, 0, v13, s[2:3]
	;; [unrolled: 4-line block ×7, first 2 shown]
	v_cmp_lt_i32_e64 s[2:3], v17, v19
	s_nop 1
	v_cndmask_b32_e64 v0, 0, v0, s[2:3]
.LBB332_619:                            ;   in Loop: Header=BB332_288 Depth=1
	s_or_b64 exec, exec, s[20:21]
	v_lshlrev_b32_e32 v16, 16, v16
	v_mul_f32_e32 v16, v41, v16
	v_and_b32_e32 v17, 0x7f800000, v16
	v_cmp_ne_u32_e64 s[2:3], s17, v17
                                        ; implicit-def: $vgpr23
	s_and_saveexec_b64 s[20:21], s[2:3]
	s_xor_b64 s[2:3], exec, s[20:21]
; %bb.620:                              ;   in Loop: Header=BB332_288 Depth=1
	v_bfe_u32 v17, v16, 16, 1
	v_add3_u32 v23, v16, v17, s24
                                        ; implicit-def: $vgpr16
; %bb.621:                              ;   in Loop: Header=BB332_288 Depth=1
	s_andn2_saveexec_b64 s[20:21], s[2:3]
; %bb.622:                              ;   in Loop: Header=BB332_288 Depth=1
	v_or_b32_e32 v17, 0x10000, v16
	v_cmp_eq_u32_sdwa s[2:3], v16, v27 src0_sel:WORD_0 src1_sel:DWORD
	s_nop 1
	v_cndmask_b32_e64 v23, v17, v16, s[2:3]
; %bb.623:                              ;   in Loop: Header=BB332_288 Depth=1
	s_or_b64 exec, exec, s[20:21]
	v_lshlrev_b32_e32 v13, 16, v13
	v_mul_f32_e32 v13, v42, v13
	v_and_b32_e32 v16, 0x7f800000, v13
	v_cmp_ne_u32_e64 s[2:3], s17, v16
                                        ; implicit-def: $vgpr51
	s_and_saveexec_b64 s[20:21], s[2:3]
	s_xor_b64 s[2:3], exec, s[20:21]
; %bb.624:                              ;   in Loop: Header=BB332_288 Depth=1
	v_bfe_u32 v16, v13, 16, 1
	v_add3_u32 v51, v13, v16, s24
                                        ; implicit-def: $vgpr13
; %bb.625:                              ;   in Loop: Header=BB332_288 Depth=1
	s_andn2_saveexec_b64 s[20:21], s[2:3]
; %bb.626:                              ;   in Loop: Header=BB332_288 Depth=1
	v_or_b32_e32 v16, 0x10000, v13
	v_cmp_eq_u32_sdwa s[2:3], v13, v27 src0_sel:WORD_0 src1_sel:DWORD
	s_nop 1
	v_cndmask_b32_e64 v51, v16, v13, s[2:3]
; %bb.627:                              ;   in Loop: Header=BB332_288 Depth=1
	s_or_b64 exec, exec, s[20:21]
	v_lshlrev_b32_e32 v12, 16, v12
	v_mul_f32_e32 v12, v43, v12
	v_and_b32_e32 v13, 0x7f800000, v12
	v_cmp_ne_u32_e64 s[2:3], s17, v13
                                        ; implicit-def: $vgpr60
	s_and_saveexec_b64 s[20:21], s[2:3]
	s_xor_b64 s[2:3], exec, s[20:21]
; %bb.628:                              ;   in Loop: Header=BB332_288 Depth=1
	v_bfe_u32 v13, v12, 16, 1
	v_add3_u32 v60, v12, v13, s24
                                        ; implicit-def: $vgpr12
; %bb.629:                              ;   in Loop: Header=BB332_288 Depth=1
	s_andn2_saveexec_b64 s[20:21], s[2:3]
; %bb.630:                              ;   in Loop: Header=BB332_288 Depth=1
	v_or_b32_e32 v13, 0x10000, v12
	v_cmp_eq_u32_sdwa s[2:3], v12, v27 src0_sel:WORD_0 src1_sel:DWORD
	s_nop 1
	v_cndmask_b32_e64 v60, v13, v12, s[2:3]
; %bb.631:                              ;   in Loop: Header=BB332_288 Depth=1
	s_or_b64 exec, exec, s[20:21]
	v_lshlrev_b32_e32 v12, 16, v18
	v_mul_f32_e32 v12, v44, v12
	v_and_b32_e32 v13, 0x7f800000, v12
	v_cmp_ne_u32_e64 s[2:3], s17, v13
                                        ; implicit-def: $vgpr54
	s_and_saveexec_b64 s[20:21], s[2:3]
	s_xor_b64 s[2:3], exec, s[20:21]
; %bb.632:                              ;   in Loop: Header=BB332_288 Depth=1
	v_bfe_u32 v13, v12, 16, 1
	v_add3_u32 v54, v12, v13, s24
                                        ; implicit-def: $vgpr12
; %bb.633:                              ;   in Loop: Header=BB332_288 Depth=1
	s_andn2_saveexec_b64 s[20:21], s[2:3]
; %bb.634:                              ;   in Loop: Header=BB332_288 Depth=1
	v_or_b32_e32 v13, 0x10000, v12
	v_cmp_eq_u32_sdwa s[2:3], v12, v27 src0_sel:WORD_0 src1_sel:DWORD
	s_nop 1
	v_cndmask_b32_e64 v54, v13, v12, s[2:3]
; %bb.635:                              ;   in Loop: Header=BB332_288 Depth=1
	s_or_b64 exec, exec, s[20:21]
	v_lshlrev_b32_e32 v7, 16, v7
	v_mul_f32_e32 v7, v45, v7
	v_and_b32_e32 v12, 0x7f800000, v7
	v_cmp_ne_u32_e64 s[2:3], s17, v12
                                        ; implicit-def: $vgpr55
	s_and_saveexec_b64 s[20:21], s[2:3]
	s_xor_b64 s[2:3], exec, s[20:21]
; %bb.636:                              ;   in Loop: Header=BB332_288 Depth=1
	v_bfe_u32 v12, v7, 16, 1
	v_add3_u32 v55, v7, v12, s24
                                        ; implicit-def: $vgpr7
; %bb.637:                              ;   in Loop: Header=BB332_288 Depth=1
	s_andn2_saveexec_b64 s[20:21], s[2:3]
; %bb.638:                              ;   in Loop: Header=BB332_288 Depth=1
	v_or_b32_e32 v12, 0x10000, v7
	v_cmp_eq_u32_sdwa s[2:3], v7, v27 src0_sel:WORD_0 src1_sel:DWORD
	s_nop 1
	v_cndmask_b32_e64 v55, v12, v7, s[2:3]
; %bb.639:                              ;   in Loop: Header=BB332_288 Depth=1
	s_or_b64 exec, exec, s[20:21]
	v_lshlrev_b32_e32 v6, 16, v6
	v_mul_f32_e32 v6, v46, v6
	v_and_b32_e32 v7, 0x7f800000, v6
	v_cmp_ne_u32_e64 s[2:3], s17, v7
                                        ; implicit-def: $vgpr16
	s_and_saveexec_b64 s[20:21], s[2:3]
	s_xor_b64 s[2:3], exec, s[20:21]
; %bb.640:                              ;   in Loop: Header=BB332_288 Depth=1
	v_bfe_u32 v7, v6, 16, 1
	v_add3_u32 v16, v6, v7, s24
                                        ; implicit-def: $vgpr6
; %bb.641:                              ;   in Loop: Header=BB332_288 Depth=1
	s_andn2_saveexec_b64 s[20:21], s[2:3]
; %bb.642:                              ;   in Loop: Header=BB332_288 Depth=1
	v_or_b32_e32 v7, 0x10000, v6
	v_cmp_eq_u32_sdwa s[2:3], v6, v27 src0_sel:WORD_0 src1_sel:DWORD
	s_nop 1
	v_cndmask_b32_e64 v16, v7, v6, s[2:3]
; %bb.643:                              ;   in Loop: Header=BB332_288 Depth=1
	s_or_b64 exec, exec, s[20:21]
	v_lshlrev_b32_e32 v1, 16, v1
	v_mul_f32_e32 v1, v47, v1
	v_and_b32_e32 v6, 0x7f800000, v1
	v_cmp_ne_u32_e64 s[2:3], s17, v6
                                        ; implicit-def: $vgpr59
	s_and_saveexec_b64 s[20:21], s[2:3]
	s_xor_b64 s[2:3], exec, s[20:21]
; %bb.644:                              ;   in Loop: Header=BB332_288 Depth=1
	v_bfe_u32 v6, v1, 16, 1
	v_add3_u32 v59, v1, v6, s24
                                        ; implicit-def: $vgpr1
; %bb.645:                              ;   in Loop: Header=BB332_288 Depth=1
	s_andn2_saveexec_b64 s[20:21], s[2:3]
; %bb.646:                              ;   in Loop: Header=BB332_288 Depth=1
	v_or_b32_e32 v6, 0x10000, v1
	v_cmp_eq_u32_sdwa s[2:3], v1, v27 src0_sel:WORD_0 src1_sel:DWORD
	s_nop 1
	v_cndmask_b32_e64 v59, v6, v1, s[2:3]
; %bb.647:                              ;   in Loop: Header=BB332_288 Depth=1
	s_or_b64 exec, exec, s[20:21]
	v_lshlrev_b32_e32 v0, 16, v0
	v_mul_f32_e32 v0, v62, v0
	v_and_b32_e32 v1, 0x7f800000, v0
	v_cmp_ne_u32_e64 s[2:3], s17, v1
                                        ; implicit-def: $vgpr63
	s_and_saveexec_b64 s[20:21], s[2:3]
	s_xor_b64 s[2:3], exec, s[20:21]
; %bb.648:                              ;   in Loop: Header=BB332_288 Depth=1
	v_bfe_u32 v1, v0, 16, 1
	v_add3_u32 v63, v0, v1, s24
                                        ; implicit-def: $vgpr0
; %bb.649:                              ;   in Loop: Header=BB332_288 Depth=1
	s_andn2_saveexec_b64 s[20:21], s[2:3]
; %bb.650:                              ;   in Loop: Header=BB332_288 Depth=1
	v_or_b32_e32 v1, 0x10000, v0
	v_cmp_eq_u32_sdwa s[2:3], v0, v27 src0_sel:WORD_0 src1_sel:DWORD
	s_nop 1
	v_cndmask_b32_e64 v63, v1, v0, s[2:3]
; %bb.651:                              ;   in Loop: Header=BB332_288 Depth=1
	s_or_b64 exec, exec, s[20:21]
	flat_load_dwordx2 v[6:7], v[4:5] offset:2560
	scratch_load_dwordx2 v[0:1], off, s32 offset:212 ; 8-byte Folded Reload
	s_waitcnt vmcnt(0)
	flat_load_dword v1, v[0:1]
	s_waitcnt lgkmcnt(0)
	v_and_b32_e32 v0, 0xff, v6
	v_cvt_f32_fp8_sdwa v0, v0 src0_sel:BYTE_0
	s_waitcnt vmcnt(0)
	v_mul_f32_e32 v12, v1, v0
	v_and_b32_e32 v0, 0x7f800000, v12
	v_cmp_ne_u32_e64 s[2:3], s17, v0
                                        ; implicit-def: $vgpr0
	s_and_saveexec_b64 s[20:21], s[2:3]
	s_xor_b64 s[2:3], exec, s[20:21]
; %bb.652:                              ;   in Loop: Header=BB332_288 Depth=1
	v_bfe_u32 v0, v12, 16, 1
	v_add3_u32 v0, v12, v0, s24
                                        ; implicit-def: $vgpr12
; %bb.653:                              ;   in Loop: Header=BB332_288 Depth=1
	s_andn2_saveexec_b64 s[20:21], s[2:3]
; %bb.654:                              ;   in Loop: Header=BB332_288 Depth=1
	v_or_b32_e32 v0, 0x10000, v12
	v_cmp_eq_u32_sdwa s[2:3], v12, v27 src0_sel:WORD_0 src1_sel:DWORD
	s_nop 1
	v_cndmask_b32_e64 v0, v0, v12, s[2:3]
; %bb.655:                              ;   in Loop: Header=BB332_288 Depth=1
	s_or_b64 exec, exec, s[20:21]
	v_bfe_u32 v12, v6, 8, 8
	v_cvt_f32_fp8_sdwa v12, v12 src0_sel:BYTE_0
                                        ; implicit-def: $vgpr20
	s_nop 0
	v_mul_f32_e32 v12, v1, v12
	v_and_b32_e32 v13, 0x7f800000, v12
	v_cmp_ne_u32_e64 s[2:3], s17, v13
	s_and_saveexec_b64 s[20:21], s[2:3]
	s_xor_b64 s[2:3], exec, s[20:21]
; %bb.656:                              ;   in Loop: Header=BB332_288 Depth=1
	v_bfe_u32 v13, v12, 16, 1
	v_add3_u32 v20, v12, v13, s24
                                        ; implicit-def: $vgpr12
; %bb.657:                              ;   in Loop: Header=BB332_288 Depth=1
	s_andn2_saveexec_b64 s[20:21], s[2:3]
; %bb.658:                              ;   in Loop: Header=BB332_288 Depth=1
	v_or_b32_e32 v13, 0x10000, v12
	v_cmp_eq_u32_sdwa s[2:3], v12, v27 src0_sel:WORD_0 src1_sel:DWORD
	s_nop 1
	v_cndmask_b32_e64 v20, v13, v12, s[2:3]
; %bb.659:                              ;   in Loop: Header=BB332_288 Depth=1
	s_or_b64 exec, exec, s[20:21]
	v_bfe_u32 v12, v6, 16, 8
	v_cvt_f32_fp8_sdwa v12, v12 src0_sel:BYTE_0
                                        ; implicit-def: $vgpr30
	s_nop 0
	v_mul_f32_e32 v12, v1, v12
	v_and_b32_e32 v13, 0x7f800000, v12
	v_cmp_ne_u32_e64 s[2:3], s17, v13
	s_and_saveexec_b64 s[20:21], s[2:3]
	s_xor_b64 s[2:3], exec, s[20:21]
; %bb.660:                              ;   in Loop: Header=BB332_288 Depth=1
	v_bfe_u32 v13, v12, 16, 1
	v_add3_u32 v30, v12, v13, s24
                                        ; implicit-def: $vgpr12
; %bb.661:                              ;   in Loop: Header=BB332_288 Depth=1
	s_andn2_saveexec_b64 s[20:21], s[2:3]
; %bb.662:                              ;   in Loop: Header=BB332_288 Depth=1
	v_or_b32_e32 v13, 0x10000, v12
	v_cmp_eq_u32_sdwa s[2:3], v12, v27 src0_sel:WORD_0 src1_sel:DWORD
	s_nop 1
	v_cndmask_b32_e64 v30, v13, v12, s[2:3]
; %bb.663:                              ;   in Loop: Header=BB332_288 Depth=1
	s_or_b64 exec, exec, s[20:21]
	v_lshrrev_b32_e32 v6, 24, v6
	v_cvt_f32_fp8_sdwa v6, v6 src0_sel:BYTE_0
	s_nop 0
	v_mul_f32_e32 v12, v1, v6
	v_and_b32_e32 v6, 0x7f800000, v12
	v_cmp_ne_u32_e64 s[2:3], s17, v6
                                        ; implicit-def: $vgpr6
	s_and_saveexec_b64 s[20:21], s[2:3]
	s_xor_b64 s[2:3], exec, s[20:21]
; %bb.664:                              ;   in Loop: Header=BB332_288 Depth=1
	v_bfe_u32 v6, v12, 16, 1
	v_add3_u32 v6, v12, v6, s24
                                        ; implicit-def: $vgpr12
; %bb.665:                              ;   in Loop: Header=BB332_288 Depth=1
	s_andn2_saveexec_b64 s[20:21], s[2:3]
; %bb.666:                              ;   in Loop: Header=BB332_288 Depth=1
	v_or_b32_e32 v6, 0x10000, v12
	v_cmp_eq_u32_sdwa s[2:3], v12, v27 src0_sel:WORD_0 src1_sel:DWORD
	s_nop 1
	v_cndmask_b32_e64 v6, v6, v12, s[2:3]
; %bb.667:                              ;   in Loop: Header=BB332_288 Depth=1
	s_or_b64 exec, exec, s[20:21]
	v_and_b32_e32 v12, 0xff, v7
	v_cvt_f32_fp8_sdwa v12, v12 src0_sel:BYTE_0
	s_nop 0
	v_mul_f32_e32 v13, v1, v12
	v_and_b32_e32 v12, 0x7f800000, v13
	v_cmp_ne_u32_e64 s[2:3], s17, v12
                                        ; implicit-def: $vgpr12
	s_and_saveexec_b64 s[20:21], s[2:3]
	s_xor_b64 s[2:3], exec, s[20:21]
; %bb.668:                              ;   in Loop: Header=BB332_288 Depth=1
	v_bfe_u32 v12, v13, 16, 1
	v_add3_u32 v12, v13, v12, s24
                                        ; implicit-def: $vgpr13
; %bb.669:                              ;   in Loop: Header=BB332_288 Depth=1
	s_andn2_saveexec_b64 s[20:21], s[2:3]
; %bb.670:                              ;   in Loop: Header=BB332_288 Depth=1
	v_or_b32_e32 v12, 0x10000, v13
	v_cmp_eq_u32_sdwa s[2:3], v13, v27 src0_sel:WORD_0 src1_sel:DWORD
	s_nop 1
	v_cndmask_b32_e64 v12, v12, v13, s[2:3]
; %bb.671:                              ;   in Loop: Header=BB332_288 Depth=1
	s_or_b64 exec, exec, s[20:21]
	v_bfe_u32 v13, v7, 8, 8
	v_cvt_f32_fp8_sdwa v13, v13 src0_sel:BYTE_0
	s_nop 0
	v_mul_f32_e32 v17, v1, v13
	v_and_b32_e32 v13, 0x7f800000, v17
	v_cmp_ne_u32_e64 s[2:3], s17, v13
                                        ; implicit-def: $vgpr13
	s_and_saveexec_b64 s[20:21], s[2:3]
	s_xor_b64 s[2:3], exec, s[20:21]
; %bb.672:                              ;   in Loop: Header=BB332_288 Depth=1
	v_bfe_u32 v13, v17, 16, 1
	v_add3_u32 v13, v17, v13, s24
                                        ; implicit-def: $vgpr17
; %bb.673:                              ;   in Loop: Header=BB332_288 Depth=1
	s_andn2_saveexec_b64 s[20:21], s[2:3]
; %bb.674:                              ;   in Loop: Header=BB332_288 Depth=1
	v_or_b32_e32 v13, 0x10000, v17
	v_cmp_eq_u32_sdwa s[2:3], v17, v27 src0_sel:WORD_0 src1_sel:DWORD
	s_nop 1
	v_cndmask_b32_e64 v13, v13, v17, s[2:3]
; %bb.675:                              ;   in Loop: Header=BB332_288 Depth=1
	s_or_b64 exec, exec, s[20:21]
	v_bfe_u32 v17, v7, 16, 8
	v_cvt_f32_fp8_sdwa v17, v17 src0_sel:BYTE_0
                                        ; implicit-def: $vgpr32
	s_nop 0
	v_mul_f32_e32 v17, v1, v17
	v_and_b32_e32 v18, 0x7f800000, v17
	v_cmp_ne_u32_e64 s[2:3], s17, v18
	s_and_saveexec_b64 s[20:21], s[2:3]
	s_xor_b64 s[2:3], exec, s[20:21]
; %bb.676:                              ;   in Loop: Header=BB332_288 Depth=1
	v_bfe_u32 v18, v17, 16, 1
	v_add3_u32 v32, v17, v18, s24
                                        ; implicit-def: $vgpr17
; %bb.677:                              ;   in Loop: Header=BB332_288 Depth=1
	s_andn2_saveexec_b64 s[20:21], s[2:3]
; %bb.678:                              ;   in Loop: Header=BB332_288 Depth=1
	v_or_b32_e32 v18, 0x10000, v17
	v_cmp_eq_u32_sdwa s[2:3], v17, v27 src0_sel:WORD_0 src1_sel:DWORD
	s_nop 1
	v_cndmask_b32_e64 v32, v18, v17, s[2:3]
; %bb.679:                              ;   in Loop: Header=BB332_288 Depth=1
	s_or_b64 exec, exec, s[20:21]
	v_lshrrev_b32_e32 v7, 24, v7
	v_cvt_f32_fp8_sdwa v7, v7 src0_sel:BYTE_0
	s_nop 0
	v_mul_f32_e32 v7, v1, v7
	v_and_b32_e32 v17, 0x7f800000, v7
	v_cmp_ne_u32_e64 s[2:3], s17, v17
                                        ; implicit-def: $vgpr17
	s_and_saveexec_b64 s[20:21], s[2:3]
	s_xor_b64 s[2:3], exec, s[20:21]
; %bb.680:                              ;   in Loop: Header=BB332_288 Depth=1
	v_bfe_u32 v17, v7, 16, 1
	v_add3_u32 v17, v7, v17, s24
                                        ; implicit-def: $vgpr7
; %bb.681:                              ;   in Loop: Header=BB332_288 Depth=1
	s_andn2_saveexec_b64 s[20:21], s[2:3]
; %bb.682:                              ;   in Loop: Header=BB332_288 Depth=1
	v_or_b32_e32 v17, 0x10000, v7
	v_cmp_eq_u32_sdwa s[2:3], v7, v27 src0_sel:WORD_0 src1_sel:DWORD
	s_nop 1
	v_cndmask_b32_e64 v17, v17, v7, s[2:3]
; %bb.683:                              ;   in Loop: Header=BB332_288 Depth=1
	s_or_b64 exec, exec, s[20:21]
	v_lshrrev_b32_e32 v21, 16, v13
	v_lshrrev_b32_e32 v31, 16, v12
	;; [unrolled: 1-line block ×8, first 2 shown]
	s_and_saveexec_b64 s[20:21], s[0:1]
	s_cbranch_execz .LBB332_685
; %bb.684:                              ;   in Loop: Header=BB332_288 Depth=1
	v_accvgpr_read_b32 v13, a3
	v_cmp_lt_i32_e64 s[2:3], v40, v13
	v_add_u32_e32 v6, 1, v40
	s_nop 0
	v_cndmask_b32_e64 v0, 0, v0, s[2:3]
	v_cmp_lt_i32_e64 s[2:3], v6, v13
	v_add_u32_e32 v6, 2, v40
	s_nop 0
	v_cndmask_b32_e64 v7, 0, v7, s[2:3]
	;; [unrolled: 4-line block ×7, first 2 shown]
	v_cmp_lt_i32_e64 s[2:3], v6, v13
	s_nop 1
	v_cndmask_b32_e64 v30, 0, v30, s[2:3]
.LBB332_685:                            ;   in Loop: Header=BB332_288 Depth=1
	s_or_b64 exec, exec, s[20:21]
	v_lshlrev_b32_e32 v0, 16, v0
	v_mul_f32_e32 v0, v41, v0
	v_and_b32_e32 v6, 0x7f800000, v0
	v_cmp_ne_u32_e64 s[2:3], s17, v6
                                        ; implicit-def: $vgpr6
	s_and_saveexec_b64 s[20:21], s[2:3]
	s_xor_b64 s[2:3], exec, s[20:21]
; %bb.686:                              ;   in Loop: Header=BB332_288 Depth=1
	v_bfe_u32 v6, v0, 16, 1
	v_add3_u32 v6, v0, v6, s24
                                        ; implicit-def: $vgpr0
; %bb.687:                              ;   in Loop: Header=BB332_288 Depth=1
	s_andn2_saveexec_b64 s[20:21], s[2:3]
; %bb.688:                              ;   in Loop: Header=BB332_288 Depth=1
	v_or_b32_e32 v6, 0x10000, v0
	v_cmp_eq_u32_sdwa s[2:3], v0, v27 src0_sel:WORD_0 src1_sel:DWORD
	s_nop 1
	v_cndmask_b32_e64 v6, v6, v0, s[2:3]
; %bb.689:                              ;   in Loop: Header=BB332_288 Depth=1
	s_or_b64 exec, exec, s[20:21]
	v_lshlrev_b32_e32 v0, 16, v7
	v_mul_f32_e32 v0, v42, v0
	v_and_b32_e32 v7, 0x7f800000, v0
	v_cmp_ne_u32_e64 s[2:3], s17, v7
                                        ; implicit-def: $vgpr7
	s_and_saveexec_b64 s[20:21], s[2:3]
	s_xor_b64 s[2:3], exec, s[20:21]
; %bb.690:                              ;   in Loop: Header=BB332_288 Depth=1
	v_bfe_u32 v7, v0, 16, 1
	v_add3_u32 v7, v0, v7, s24
                                        ; implicit-def: $vgpr0
; %bb.691:                              ;   in Loop: Header=BB332_288 Depth=1
	s_andn2_saveexec_b64 s[20:21], s[2:3]
; %bb.692:                              ;   in Loop: Header=BB332_288 Depth=1
	v_or_b32_e32 v7, 0x10000, v0
	v_cmp_eq_u32_sdwa s[2:3], v0, v27 src0_sel:WORD_0 src1_sel:DWORD
	s_nop 1
	v_cndmask_b32_e64 v7, v7, v0, s[2:3]
; %bb.693:                              ;   in Loop: Header=BB332_288 Depth=1
	s_or_b64 exec, exec, s[20:21]
	v_lshlrev_b32_e32 v0, 16, v12
	v_mul_f32_e32 v0, v43, v0
	v_and_b32_e32 v12, 0x7f800000, v0
	v_cmp_ne_u32_e64 s[2:3], s17, v12
                                        ; implicit-def: $vgpr35
	s_and_saveexec_b64 s[20:21], s[2:3]
	s_xor_b64 s[2:3], exec, s[20:21]
; %bb.694:                              ;   in Loop: Header=BB332_288 Depth=1
	v_bfe_u32 v12, v0, 16, 1
	v_add3_u32 v35, v0, v12, s24
                                        ; implicit-def: $vgpr0
; %bb.695:                              ;   in Loop: Header=BB332_288 Depth=1
	s_andn2_saveexec_b64 s[20:21], s[2:3]
; %bb.696:                              ;   in Loop: Header=BB332_288 Depth=1
	v_or_b32_e32 v12, 0x10000, v0
	v_cmp_eq_u32_sdwa s[2:3], v0, v27 src0_sel:WORD_0 src1_sel:DWORD
	s_nop 1
	v_cndmask_b32_e64 v35, v12, v0, s[2:3]
; %bb.697:                              ;   in Loop: Header=BB332_288 Depth=1
	s_or_b64 exec, exec, s[20:21]
	v_lshlrev_b32_e32 v0, 16, v18
	v_mul_f32_e32 v0, v44, v0
	v_and_b32_e32 v12, 0x7f800000, v0
	v_cmp_ne_u32_e64 s[2:3], s17, v12
                                        ; implicit-def: $vgpr36
	s_and_saveexec_b64 s[20:21], s[2:3]
	s_xor_b64 s[2:3], exec, s[20:21]
; %bb.698:                              ;   in Loop: Header=BB332_288 Depth=1
	v_bfe_u32 v12, v0, 16, 1
	v_add3_u32 v36, v0, v12, s24
                                        ; implicit-def: $vgpr0
; %bb.699:                              ;   in Loop: Header=BB332_288 Depth=1
	s_andn2_saveexec_b64 s[20:21], s[2:3]
; %bb.700:                              ;   in Loop: Header=BB332_288 Depth=1
	v_or_b32_e32 v12, 0x10000, v0
	v_cmp_eq_u32_sdwa s[2:3], v0, v27 src0_sel:WORD_0 src1_sel:DWORD
	s_nop 1
	v_cndmask_b32_e64 v36, v12, v0, s[2:3]
; %bb.701:                              ;   in Loop: Header=BB332_288 Depth=1
	s_or_b64 exec, exec, s[20:21]
	v_lshlrev_b32_e32 v0, 16, v31
	v_mul_f32_e32 v0, v45, v0
	v_and_b32_e32 v12, 0x7f800000, v0
	v_cmp_ne_u32_e64 s[2:3], s17, v12
                                        ; implicit-def: $vgpr39
	s_and_saveexec_b64 s[20:21], s[2:3]
	s_xor_b64 s[2:3], exec, s[20:21]
; %bb.702:                              ;   in Loop: Header=BB332_288 Depth=1
	v_bfe_u32 v12, v0, 16, 1
	v_add3_u32 v39, v0, v12, s24
                                        ; implicit-def: $vgpr0
; %bb.703:                              ;   in Loop: Header=BB332_288 Depth=1
	s_andn2_saveexec_b64 s[20:21], s[2:3]
; %bb.704:                              ;   in Loop: Header=BB332_288 Depth=1
	v_or_b32_e32 v12, 0x10000, v0
	v_cmp_eq_u32_sdwa s[2:3], v0, v27 src0_sel:WORD_0 src1_sel:DWORD
	s_nop 1
	v_cndmask_b32_e64 v39, v12, v0, s[2:3]
; %bb.705:                              ;   in Loop: Header=BB332_288 Depth=1
	s_or_b64 exec, exec, s[20:21]
	v_lshlrev_b32_e32 v0, 16, v21
	v_mul_f32_e32 v12, v46, v0
	v_and_b32_e32 v0, 0x7f800000, v12
	v_cmp_ne_u32_e64 s[2:3], s17, v0
                                        ; implicit-def: $vgpr0
	s_and_saveexec_b64 s[20:21], s[2:3]
	s_xor_b64 s[2:3], exec, s[20:21]
; %bb.706:                              ;   in Loop: Header=BB332_288 Depth=1
	v_bfe_u32 v0, v12, 16, 1
	v_add3_u32 v0, v12, v0, s24
                                        ; implicit-def: $vgpr12
; %bb.707:                              ;   in Loop: Header=BB332_288 Depth=1
	s_andn2_saveexec_b64 s[20:21], s[2:3]
; %bb.708:                              ;   in Loop: Header=BB332_288 Depth=1
	v_or_b32_e32 v0, 0x10000, v12
	v_cmp_eq_u32_sdwa s[2:3], v12, v27 src0_sel:WORD_0 src1_sel:DWORD
	s_nop 1
	v_cndmask_b32_e64 v0, v0, v12, s[2:3]
; %bb.709:                              ;   in Loop: Header=BB332_288 Depth=1
	s_or_b64 exec, exec, s[20:21]
	v_lshlrev_b32_e32 v12, 16, v20
	v_mul_f32_e32 v12, v47, v12
	v_and_b32_e32 v13, 0x7f800000, v12
	v_cmp_ne_u32_e64 s[2:3], s17, v13
                                        ; implicit-def: $vgpr37
	s_and_saveexec_b64 s[20:21], s[2:3]
	s_xor_b64 s[2:3], exec, s[20:21]
; %bb.710:                              ;   in Loop: Header=BB332_288 Depth=1
	v_bfe_u32 v13, v12, 16, 1
	v_add3_u32 v37, v12, v13, s24
                                        ; implicit-def: $vgpr12
; %bb.711:                              ;   in Loop: Header=BB332_288 Depth=1
	s_andn2_saveexec_b64 s[20:21], s[2:3]
; %bb.712:                              ;   in Loop: Header=BB332_288 Depth=1
	v_or_b32_e32 v13, 0x10000, v12
	v_cmp_eq_u32_sdwa s[2:3], v12, v27 src0_sel:WORD_0 src1_sel:DWORD
	s_nop 1
	v_cndmask_b32_e64 v37, v13, v12, s[2:3]
; %bb.713:                              ;   in Loop: Header=BB332_288 Depth=1
	s_or_b64 exec, exec, s[20:21]
	v_lshlrev_b32_e32 v12, 16, v30
	v_mul_f32_e32 v12, v62, v12
	v_and_b32_e32 v13, 0x7f800000, v12
	v_cmp_ne_u32_e64 s[2:3], s17, v13
                                        ; implicit-def: $vgpr56
	s_and_saveexec_b64 s[20:21], s[2:3]
	s_xor_b64 s[2:3], exec, s[20:21]
; %bb.714:                              ;   in Loop: Header=BB332_288 Depth=1
	v_bfe_u32 v13, v12, 16, 1
	v_add3_u32 v56, v12, v13, s24
                                        ; implicit-def: $vgpr12
; %bb.715:                              ;   in Loop: Header=BB332_288 Depth=1
	s_andn2_saveexec_b64 s[20:21], s[2:3]
; %bb.716:                              ;   in Loop: Header=BB332_288 Depth=1
	v_or_b32_e32 v13, 0x10000, v12
	v_cmp_eq_u32_sdwa s[2:3], v12, v27 src0_sel:WORD_0 src1_sel:DWORD
	s_nop 1
	v_cndmask_b32_e64 v56, v13, v12, s[2:3]
; %bb.717:                              ;   in Loop: Header=BB332_288 Depth=1
	s_or_b64 exec, exec, s[20:21]
	flat_load_dwordx2 v[4:5], v[4:5] offset:3072
                                        ; implicit-def: $vgpr20
	s_waitcnt vmcnt(0) lgkmcnt(0)
	v_and_b32_e32 v12, 0xff, v4
	v_cvt_f32_fp8_sdwa v12, v12 src0_sel:BYTE_0
	s_nop 0
	v_mul_f32_e32 v12, v1, v12
	v_and_b32_e32 v13, 0x7f800000, v12
	v_cmp_ne_u32_e64 s[2:3], s17, v13
	s_and_saveexec_b64 s[20:21], s[2:3]
	s_xor_b64 s[2:3], exec, s[20:21]
; %bb.718:                              ;   in Loop: Header=BB332_288 Depth=1
	v_bfe_u32 v13, v12, 16, 1
	v_add3_u32 v20, v12, v13, s24
                                        ; implicit-def: $vgpr12
; %bb.719:                              ;   in Loop: Header=BB332_288 Depth=1
	s_andn2_saveexec_b64 s[20:21], s[2:3]
; %bb.720:                              ;   in Loop: Header=BB332_288 Depth=1
	v_or_b32_e32 v13, 0x10000, v12
	v_cmp_eq_u32_sdwa s[2:3], v12, v27 src0_sel:WORD_0 src1_sel:DWORD
	s_nop 1
	v_cndmask_b32_e64 v20, v13, v12, s[2:3]
; %bb.721:                              ;   in Loop: Header=BB332_288 Depth=1
	s_or_b64 exec, exec, s[20:21]
	v_bfe_u32 v12, v4, 8, 8
	v_cvt_f32_fp8_sdwa v12, v12 src0_sel:BYTE_0
                                        ; implicit-def: $vgpr30
	s_nop 0
	v_mul_f32_e32 v12, v1, v12
	v_and_b32_e32 v13, 0x7f800000, v12
	v_cmp_ne_u32_e64 s[2:3], s17, v13
	s_and_saveexec_b64 s[20:21], s[2:3]
	s_xor_b64 s[2:3], exec, s[20:21]
; %bb.722:                              ;   in Loop: Header=BB332_288 Depth=1
	v_bfe_u32 v13, v12, 16, 1
	v_add3_u32 v30, v12, v13, s24
                                        ; implicit-def: $vgpr12
; %bb.723:                              ;   in Loop: Header=BB332_288 Depth=1
	s_andn2_saveexec_b64 s[20:21], s[2:3]
; %bb.724:                              ;   in Loop: Header=BB332_288 Depth=1
	v_or_b32_e32 v13, 0x10000, v12
	v_cmp_eq_u32_sdwa s[2:3], v12, v27 src0_sel:WORD_0 src1_sel:DWORD
	s_nop 1
	v_cndmask_b32_e64 v30, v13, v12, s[2:3]
; %bb.725:                              ;   in Loop: Header=BB332_288 Depth=1
	s_or_b64 exec, exec, s[20:21]
	v_bfe_u32 v12, v4, 16, 8
	v_cvt_f32_fp8_sdwa v12, v12 src0_sel:BYTE_0
                                        ; implicit-def: $vgpr31
	s_nop 0
	v_mul_f32_e32 v12, v1, v12
	v_and_b32_e32 v13, 0x7f800000, v12
	v_cmp_ne_u32_e64 s[2:3], s17, v13
	s_and_saveexec_b64 s[20:21], s[2:3]
	s_xor_b64 s[2:3], exec, s[20:21]
; %bb.726:                              ;   in Loop: Header=BB332_288 Depth=1
	v_bfe_u32 v13, v12, 16, 1
	v_add3_u32 v31, v12, v13, s24
                                        ; implicit-def: $vgpr12
; %bb.727:                              ;   in Loop: Header=BB332_288 Depth=1
	s_andn2_saveexec_b64 s[20:21], s[2:3]
; %bb.728:                              ;   in Loop: Header=BB332_288 Depth=1
	v_or_b32_e32 v13, 0x10000, v12
	v_cmp_eq_u32_sdwa s[2:3], v12, v27 src0_sel:WORD_0 src1_sel:DWORD
	s_nop 1
	v_cndmask_b32_e64 v31, v13, v12, s[2:3]
; %bb.729:                              ;   in Loop: Header=BB332_288 Depth=1
	s_or_b64 exec, exec, s[20:21]
	v_lshrrev_b32_e32 v4, 24, v4
	v_cvt_f32_fp8_sdwa v4, v4 src0_sel:BYTE_0
	s_nop 0
	v_mul_f32_e32 v12, v1, v4
	v_and_b32_e32 v4, 0x7f800000, v12
	v_cmp_ne_u32_e64 s[2:3], s17, v4
                                        ; implicit-def: $vgpr4
	s_and_saveexec_b64 s[20:21], s[2:3]
	s_xor_b64 s[2:3], exec, s[20:21]
; %bb.730:                              ;   in Loop: Header=BB332_288 Depth=1
	v_bfe_u32 v4, v12, 16, 1
	v_add3_u32 v4, v12, v4, s24
                                        ; implicit-def: $vgpr12
; %bb.731:                              ;   in Loop: Header=BB332_288 Depth=1
	s_andn2_saveexec_b64 s[20:21], s[2:3]
; %bb.732:                              ;   in Loop: Header=BB332_288 Depth=1
	v_or_b32_e32 v4, 0x10000, v12
	v_cmp_eq_u32_sdwa s[2:3], v12, v27 src0_sel:WORD_0 src1_sel:DWORD
	s_nop 1
	v_cndmask_b32_e64 v4, v4, v12, s[2:3]
; %bb.733:                              ;   in Loop: Header=BB332_288 Depth=1
	s_or_b64 exec, exec, s[20:21]
	v_and_b32_e32 v12, 0xff, v5
	v_cvt_f32_fp8_sdwa v12, v12 src0_sel:BYTE_0
	s_nop 0
	v_mul_f32_e32 v13, v1, v12
	v_and_b32_e32 v12, 0x7f800000, v13
	v_cmp_ne_u32_e64 s[2:3], s17, v12
                                        ; implicit-def: $vgpr12
	s_and_saveexec_b64 s[20:21], s[2:3]
	s_xor_b64 s[2:3], exec, s[20:21]
; %bb.734:                              ;   in Loop: Header=BB332_288 Depth=1
	v_bfe_u32 v12, v13, 16, 1
	v_add3_u32 v12, v13, v12, s24
                                        ; implicit-def: $vgpr13
; %bb.735:                              ;   in Loop: Header=BB332_288 Depth=1
	s_andn2_saveexec_b64 s[20:21], s[2:3]
; %bb.736:                              ;   in Loop: Header=BB332_288 Depth=1
	v_or_b32_e32 v12, 0x10000, v13
	v_cmp_eq_u32_sdwa s[2:3], v13, v27 src0_sel:WORD_0 src1_sel:DWORD
	s_nop 1
	v_cndmask_b32_e64 v12, v12, v13, s[2:3]
; %bb.737:                              ;   in Loop: Header=BB332_288 Depth=1
	s_or_b64 exec, exec, s[20:21]
	v_bfe_u32 v13, v5, 8, 8
	v_cvt_f32_fp8_sdwa v13, v13 src0_sel:BYTE_0
	s_nop 0
	v_mul_f32_e32 v17, v1, v13
	v_and_b32_e32 v13, 0x7f800000, v17
	v_cmp_ne_u32_e64 s[2:3], s17, v13
                                        ; implicit-def: $vgpr13
	s_and_saveexec_b64 s[20:21], s[2:3]
	s_xor_b64 s[2:3], exec, s[20:21]
; %bb.738:                              ;   in Loop: Header=BB332_288 Depth=1
	v_bfe_u32 v13, v17, 16, 1
	v_add3_u32 v13, v17, v13, s24
                                        ; implicit-def: $vgpr17
; %bb.739:                              ;   in Loop: Header=BB332_288 Depth=1
	s_andn2_saveexec_b64 s[20:21], s[2:3]
; %bb.740:                              ;   in Loop: Header=BB332_288 Depth=1
	v_or_b32_e32 v13, 0x10000, v17
	v_cmp_eq_u32_sdwa s[2:3], v17, v27 src0_sel:WORD_0 src1_sel:DWORD
	s_nop 1
	v_cndmask_b32_e64 v13, v13, v17, s[2:3]
; %bb.741:                              ;   in Loop: Header=BB332_288 Depth=1
	s_or_b64 exec, exec, s[20:21]
	v_bfe_u32 v17, v5, 16, 8
	v_cvt_f32_fp8_sdwa v17, v17 src0_sel:BYTE_0
                                        ; implicit-def: $vgpr32
	s_nop 0
	v_mul_f32_e32 v17, v1, v17
	v_and_b32_e32 v18, 0x7f800000, v17
	v_cmp_ne_u32_e64 s[2:3], s17, v18
	s_and_saveexec_b64 s[20:21], s[2:3]
	s_xor_b64 s[2:3], exec, s[20:21]
; %bb.742:                              ;   in Loop: Header=BB332_288 Depth=1
	v_bfe_u32 v18, v17, 16, 1
	v_add3_u32 v32, v17, v18, s24
                                        ; implicit-def: $vgpr17
; %bb.743:                              ;   in Loop: Header=BB332_288 Depth=1
	s_andn2_saveexec_b64 s[20:21], s[2:3]
; %bb.744:                              ;   in Loop: Header=BB332_288 Depth=1
	v_or_b32_e32 v18, 0x10000, v17
	v_cmp_eq_u32_sdwa s[2:3], v17, v27 src0_sel:WORD_0 src1_sel:DWORD
	s_nop 1
	v_cndmask_b32_e64 v32, v18, v17, s[2:3]
; %bb.745:                              ;   in Loop: Header=BB332_288 Depth=1
	s_or_b64 exec, exec, s[20:21]
	v_lshrrev_b32_e32 v5, 24, v5
	v_cvt_f32_fp8_sdwa v5, v5 src0_sel:BYTE_0
	s_nop 0
	v_mul_f32_e32 v5, v1, v5
	v_and_b32_e32 v17, 0x7f800000, v5
	v_cmp_ne_u32_e64 s[2:3], s17, v17
                                        ; implicit-def: $vgpr17
	s_and_saveexec_b64 s[20:21], s[2:3]
	s_xor_b64 s[2:3], exec, s[20:21]
; %bb.746:                              ;   in Loop: Header=BB332_288 Depth=1
	v_bfe_u32 v17, v5, 16, 1
	v_add3_u32 v17, v5, v17, s24
                                        ; implicit-def: $vgpr5
; %bb.747:                              ;   in Loop: Header=BB332_288 Depth=1
	s_andn2_saveexec_b64 s[20:21], s[2:3]
; %bb.748:                              ;   in Loop: Header=BB332_288 Depth=1
	v_or_b32_e32 v17, 0x10000, v5
	v_cmp_eq_u32_sdwa s[2:3], v5, v27 src0_sel:WORD_0 src1_sel:DWORD
	s_nop 1
	v_cndmask_b32_e64 v17, v17, v5, s[2:3]
; %bb.749:                              ;   in Loop: Header=BB332_288 Depth=1
	s_or_b64 exec, exec, s[20:21]
	v_lshrrev_b32_e32 v21, 16, v13
	v_lshrrev_b32_e32 v34, 16, v12
	;; [unrolled: 1-line block ×8, first 2 shown]
	s_and_saveexec_b64 s[20:21], s[0:1]
	s_cbranch_execz .LBB332_751
; %bb.750:                              ;   in Loop: Header=BB332_288 Depth=1
	v_accvgpr_read_b32 v17, a3
	v_cmp_lt_i32_e64 s[2:3], v40, v17
	v_add_u32_e32 v13, 1, v40
	s_nop 0
	v_cndmask_b32_e64 v4, 0, v4, s[2:3]
	v_cmp_lt_i32_e64 s[2:3], v13, v17
	v_add_u32_e32 v13, 2, v40
	s_nop 0
	v_cndmask_b32_e64 v5, 0, v5, s[2:3]
	;; [unrolled: 4-line block ×7, first 2 shown]
	v_cmp_lt_i32_e64 s[2:3], v13, v17
	s_nop 1
	v_cndmask_b32_e64 v32, 0, v32, s[2:3]
.LBB332_751:                            ;   in Loop: Header=BB332_288 Depth=1
	s_or_b64 exec, exec, s[20:21]
	v_lshlrev_b32_e32 v4, 16, v4
	v_mul_f32_e32 v13, v41, v4
	v_and_b32_e32 v4, 0x7f800000, v13
	v_cmp_ne_u32_e64 s[2:3], s17, v4
                                        ; implicit-def: $vgpr4
	s_and_saveexec_b64 s[20:21], s[2:3]
	s_xor_b64 s[2:3], exec, s[20:21]
; %bb.752:                              ;   in Loop: Header=BB332_288 Depth=1
	v_bfe_u32 v4, v13, 16, 1
	v_add3_u32 v4, v13, v4, s24
                                        ; implicit-def: $vgpr13
; %bb.753:                              ;   in Loop: Header=BB332_288 Depth=1
	s_andn2_saveexec_b64 s[20:21], s[2:3]
; %bb.754:                              ;   in Loop: Header=BB332_288 Depth=1
	v_or_b32_e32 v4, 0x10000, v13
	v_cmp_eq_u32_sdwa s[2:3], v13, v27 src0_sel:WORD_0 src1_sel:DWORD
	s_nop 1
	v_cndmask_b32_e64 v4, v4, v13, s[2:3]
; %bb.755:                              ;   in Loop: Header=BB332_288 Depth=1
	s_or_b64 exec, exec, s[20:21]
	v_lshlrev_b32_e32 v5, 16, v5
	v_mul_f32_e32 v13, v42, v5
	v_and_b32_e32 v5, 0x7f800000, v13
	v_cmp_ne_u32_e64 s[2:3], s17, v5
                                        ; implicit-def: $vgpr5
	s_and_saveexec_b64 s[20:21], s[2:3]
	s_xor_b64 s[2:3], exec, s[20:21]
; %bb.756:                              ;   in Loop: Header=BB332_288 Depth=1
	v_bfe_u32 v5, v13, 16, 1
	v_add3_u32 v5, v13, v5, s24
                                        ; implicit-def: $vgpr13
; %bb.757:                              ;   in Loop: Header=BB332_288 Depth=1
	s_andn2_saveexec_b64 s[20:21], s[2:3]
; %bb.758:                              ;   in Loop: Header=BB332_288 Depth=1
	v_or_b32_e32 v5, 0x10000, v13
	v_cmp_eq_u32_sdwa s[2:3], v13, v27 src0_sel:WORD_0 src1_sel:DWORD
	s_nop 1
	v_cndmask_b32_e64 v5, v5, v13, s[2:3]
; %bb.759:                              ;   in Loop: Header=BB332_288 Depth=1
	s_or_b64 exec, exec, s[20:21]
	v_lshlrev_b32_e32 v12, 16, v12
	v_mul_f32_e32 v12, v43, v12
	v_and_b32_e32 v13, 0x7f800000, v12
	v_cmp_ne_u32_e64 s[2:3], s17, v13
                                        ; implicit-def: $vgpr53
	s_and_saveexec_b64 s[20:21], s[2:3]
	s_xor_b64 s[2:3], exec, s[20:21]
; %bb.760:                              ;   in Loop: Header=BB332_288 Depth=1
	v_bfe_u32 v13, v12, 16, 1
	v_add3_u32 v53, v12, v13, s24
                                        ; implicit-def: $vgpr12
; %bb.761:                              ;   in Loop: Header=BB332_288 Depth=1
	s_andn2_saveexec_b64 s[20:21], s[2:3]
; %bb.762:                              ;   in Loop: Header=BB332_288 Depth=1
	v_or_b32_e32 v13, 0x10000, v12
	v_cmp_eq_u32_sdwa s[2:3], v12, v27 src0_sel:WORD_0 src1_sel:DWORD
	s_nop 1
	v_cndmask_b32_e64 v53, v13, v12, s[2:3]
; %bb.763:                              ;   in Loop: Header=BB332_288 Depth=1
	s_or_b64 exec, exec, s[20:21]
	v_lshlrev_b32_e32 v12, 16, v18
	v_mul_f32_e32 v12, v44, v12
	v_and_b32_e32 v13, 0x7f800000, v12
	v_cmp_ne_u32_e64 s[2:3], s17, v13
                                        ; implicit-def: $vgpr33
	s_and_saveexec_b64 s[20:21], s[2:3]
	s_xor_b64 s[2:3], exec, s[20:21]
; %bb.764:                              ;   in Loop: Header=BB332_288 Depth=1
	v_bfe_u32 v13, v12, 16, 1
	v_add3_u32 v33, v12, v13, s24
                                        ; implicit-def: $vgpr12
; %bb.765:                              ;   in Loop: Header=BB332_288 Depth=1
	s_andn2_saveexec_b64 s[20:21], s[2:3]
; %bb.766:                              ;   in Loop: Header=BB332_288 Depth=1
	v_or_b32_e32 v13, 0x10000, v12
	v_cmp_eq_u32_sdwa s[2:3], v12, v27 src0_sel:WORD_0 src1_sel:DWORD
	s_nop 1
	v_cndmask_b32_e64 v33, v13, v12, s[2:3]
; %bb.767:                              ;   in Loop: Header=BB332_288 Depth=1
	s_or_b64 exec, exec, s[20:21]
	v_lshlrev_b32_e32 v12, 16, v34
	v_mul_f32_e32 v12, v45, v12
	v_and_b32_e32 v13, 0x7f800000, v12
	v_cmp_ne_u32_e64 s[2:3], s17, v13
                                        ; implicit-def: $vgpr34
	s_and_saveexec_b64 s[20:21], s[2:3]
	s_xor_b64 s[2:3], exec, s[20:21]
; %bb.768:                              ;   in Loop: Header=BB332_288 Depth=1
	v_bfe_u32 v13, v12, 16, 1
	v_add3_u32 v34, v12, v13, s24
                                        ; implicit-def: $vgpr12
; %bb.769:                              ;   in Loop: Header=BB332_288 Depth=1
	s_andn2_saveexec_b64 s[20:21], s[2:3]
; %bb.770:                              ;   in Loop: Header=BB332_288 Depth=1
	v_or_b32_e32 v13, 0x10000, v12
	v_cmp_eq_u32_sdwa s[2:3], v12, v27 src0_sel:WORD_0 src1_sel:DWORD
	s_nop 1
	v_cndmask_b32_e64 v34, v13, v12, s[2:3]
; %bb.771:                              ;   in Loop: Header=BB332_288 Depth=1
	s_or_b64 exec, exec, s[20:21]
	v_lshlrev_b32_e32 v12, 16, v21
	v_mul_f32_e32 v12, v46, v12
	v_and_b32_e32 v13, 0x7f800000, v12
	v_cmp_ne_u32_e64 s[2:3], s17, v13
                                        ; implicit-def: $vgpr30
	s_and_saveexec_b64 s[20:21], s[2:3]
	s_xor_b64 s[2:3], exec, s[20:21]
; %bb.772:                              ;   in Loop: Header=BB332_288 Depth=1
	v_bfe_u32 v13, v12, 16, 1
	v_add3_u32 v30, v12, v13, s24
                                        ; implicit-def: $vgpr12
; %bb.773:                              ;   in Loop: Header=BB332_288 Depth=1
	s_andn2_saveexec_b64 s[20:21], s[2:3]
; %bb.774:                              ;   in Loop: Header=BB332_288 Depth=1
	v_or_b32_e32 v13, 0x10000, v12
	v_cmp_eq_u32_sdwa s[2:3], v12, v27 src0_sel:WORD_0 src1_sel:DWORD
	s_nop 1
	v_cndmask_b32_e64 v30, v13, v12, s[2:3]
; %bb.775:                              ;   in Loop: Header=BB332_288 Depth=1
	s_or_b64 exec, exec, s[20:21]
	v_lshlrev_b32_e32 v12, 16, v20
	v_mul_f32_e32 v12, v47, v12
	v_and_b32_e32 v13, 0x7f800000, v12
	v_cmp_ne_u32_e64 s[2:3], s17, v13
                                        ; implicit-def: $vgpr31
	s_and_saveexec_b64 s[20:21], s[2:3]
	s_xor_b64 s[2:3], exec, s[20:21]
; %bb.776:                              ;   in Loop: Header=BB332_288 Depth=1
	v_bfe_u32 v13, v12, 16, 1
	v_add3_u32 v31, v12, v13, s24
                                        ; implicit-def: $vgpr12
; %bb.777:                              ;   in Loop: Header=BB332_288 Depth=1
	s_andn2_saveexec_b64 s[20:21], s[2:3]
; %bb.778:                              ;   in Loop: Header=BB332_288 Depth=1
	v_or_b32_e32 v13, 0x10000, v12
	v_cmp_eq_u32_sdwa s[2:3], v12, v27 src0_sel:WORD_0 src1_sel:DWORD
	s_nop 1
	v_cndmask_b32_e64 v31, v13, v12, s[2:3]
; %bb.779:                              ;   in Loop: Header=BB332_288 Depth=1
	s_or_b64 exec, exec, s[20:21]
	v_lshlrev_b32_e32 v12, 16, v32
	v_mul_f32_e32 v12, v62, v12
	v_and_b32_e32 v13, 0x7f800000, v12
	v_cmp_ne_u32_e64 s[2:3], s17, v13
                                        ; implicit-def: $vgpr32
	s_and_saveexec_b64 s[20:21], s[2:3]
	s_xor_b64 s[2:3], exec, s[20:21]
	s_cbranch_execnz .LBB332_782
; %bb.780:                              ;   in Loop: Header=BB332_288 Depth=1
	s_andn2_saveexec_b64 s[20:21], s[2:3]
	s_cbranch_execnz .LBB332_783
.LBB332_781:                            ;   in Loop: Header=BB332_288 Depth=1
	s_or_b64 exec, exec, s[20:21]
	s_and_saveexec_b64 s[20:21], vcc
	s_cbranch_execz .LBB332_286
	s_branch .LBB332_784
.LBB332_782:                            ;   in Loop: Header=BB332_288 Depth=1
	v_bfe_u32 v13, v12, 16, 1
	v_add3_u32 v32, v12, v13, s24
                                        ; implicit-def: $vgpr12
	s_andn2_saveexec_b64 s[20:21], s[2:3]
	s_cbranch_execz .LBB332_781
.LBB332_783:                            ;   in Loop: Header=BB332_288 Depth=1
	v_or_b32_e32 v13, 0x10000, v12
	v_cmp_eq_u32_sdwa s[2:3], v12, v27 src0_sel:WORD_0 src1_sel:DWORD
	s_nop 1
	v_cndmask_b32_e64 v32, v13, v12, s[2:3]
	s_or_b64 exec, exec, s[20:21]
	s_and_saveexec_b64 s[20:21], vcc
	s_cbranch_execz .LBB332_286
.LBB332_784:                            ;   in Loop: Header=BB332_288 Depth=1
	v_accvgpr_read_b32 v12, a24
	v_accvgpr_read_b32 v13, a25
	v_lshl_add_u64 v[2:3], v[2:3], 0, v[12:13]
	flat_load_dwordx2 v[2:3], v[2:3]
                                        ; implicit-def: $vgpr20
	s_waitcnt vmcnt(0) lgkmcnt(0)
	v_and_b32_e32 v12, 0xff, v2
	v_cvt_f32_fp8_sdwa v12, v12 src0_sel:BYTE_0
	s_nop 0
	v_mul_f32_e32 v12, v1, v12
	v_and_b32_e32 v13, 0x7f800000, v12
	v_cmp_ne_u32_e64 s[2:3], s17, v13
	s_and_saveexec_b64 s[22:23], s[2:3]
	s_xor_b64 s[2:3], exec, s[22:23]
; %bb.785:                              ;   in Loop: Header=BB332_288 Depth=1
	v_bfe_u32 v13, v12, 16, 1
	v_add3_u32 v20, v12, v13, s24
                                        ; implicit-def: $vgpr12
; %bb.786:                              ;   in Loop: Header=BB332_288 Depth=1
	s_andn2_saveexec_b64 s[22:23], s[2:3]
; %bb.787:                              ;   in Loop: Header=BB332_288 Depth=1
	v_or_b32_e32 v13, 0x10000, v12
	v_cmp_eq_u32_sdwa s[2:3], v12, v27 src0_sel:WORD_0 src1_sel:DWORD
	s_nop 1
	v_cndmask_b32_e64 v20, v13, v12, s[2:3]
; %bb.788:                              ;   in Loop: Header=BB332_288 Depth=1
	s_or_b64 exec, exec, s[22:23]
	v_bfe_u32 v12, v2, 8, 8
	v_cvt_f32_fp8_sdwa v12, v12 src0_sel:BYTE_0
                                        ; implicit-def: $vgpr21
	s_nop 0
	v_mul_f32_e32 v12, v1, v12
	v_and_b32_e32 v13, 0x7f800000, v12
	v_cmp_ne_u32_e64 s[2:3], s17, v13
	s_and_saveexec_b64 s[22:23], s[2:3]
	s_xor_b64 s[2:3], exec, s[22:23]
; %bb.789:                              ;   in Loop: Header=BB332_288 Depth=1
	v_bfe_u32 v13, v12, 16, 1
	v_add3_u32 v21, v12, v13, s24
                                        ; implicit-def: $vgpr12
; %bb.790:                              ;   in Loop: Header=BB332_288 Depth=1
	s_andn2_saveexec_b64 s[22:23], s[2:3]
; %bb.791:                              ;   in Loop: Header=BB332_288 Depth=1
	v_or_b32_e32 v13, 0x10000, v12
	v_cmp_eq_u32_sdwa s[2:3], v12, v27 src0_sel:WORD_0 src1_sel:DWORD
	s_nop 1
	v_cndmask_b32_e64 v21, v13, v12, s[2:3]
; %bb.792:                              ;   in Loop: Header=BB332_288 Depth=1
	s_or_b64 exec, exec, s[22:23]
	v_bfe_u32 v12, v2, 16, 8
	v_cvt_f32_fp8_sdwa v12, v12 src0_sel:BYTE_0
                                        ; implicit-def: $vgpr58
	s_nop 0
	v_mul_f32_e32 v12, v1, v12
	v_and_b32_e32 v13, 0x7f800000, v12
	v_cmp_ne_u32_e64 s[2:3], s17, v13
	s_and_saveexec_b64 s[22:23], s[2:3]
	s_xor_b64 s[2:3], exec, s[22:23]
; %bb.793:                              ;   in Loop: Header=BB332_288 Depth=1
	v_bfe_u32 v13, v12, 16, 1
	v_add3_u32 v58, v12, v13, s24
                                        ; implicit-def: $vgpr12
; %bb.794:                              ;   in Loop: Header=BB332_288 Depth=1
	s_andn2_saveexec_b64 s[22:23], s[2:3]
; %bb.795:                              ;   in Loop: Header=BB332_288 Depth=1
	v_or_b32_e32 v13, 0x10000, v12
	v_cmp_eq_u32_sdwa s[2:3], v12, v27 src0_sel:WORD_0 src1_sel:DWORD
	s_nop 1
	v_cndmask_b32_e64 v58, v13, v12, s[2:3]
; %bb.796:                              ;   in Loop: Header=BB332_288 Depth=1
	s_or_b64 exec, exec, s[22:23]
	v_lshrrev_b32_e32 v2, 24, v2
	v_cvt_f32_fp8_sdwa v2, v2 src0_sel:BYTE_0
	s_nop 0
	v_mul_f32_e32 v12, v1, v2
	v_and_b32_e32 v2, 0x7f800000, v12
	v_cmp_ne_u32_e64 s[2:3], s17, v2
                                        ; implicit-def: $vgpr2
	s_and_saveexec_b64 s[22:23], s[2:3]
	s_xor_b64 s[2:3], exec, s[22:23]
; %bb.797:                              ;   in Loop: Header=BB332_288 Depth=1
	v_bfe_u32 v2, v12, 16, 1
	v_add3_u32 v2, v12, v2, s24
                                        ; implicit-def: $vgpr12
; %bb.798:                              ;   in Loop: Header=BB332_288 Depth=1
	s_andn2_saveexec_b64 s[22:23], s[2:3]
; %bb.799:                              ;   in Loop: Header=BB332_288 Depth=1
	v_or_b32_e32 v2, 0x10000, v12
	v_cmp_eq_u32_sdwa s[2:3], v12, v27 src0_sel:WORD_0 src1_sel:DWORD
	s_nop 1
	v_cndmask_b32_e64 v2, v2, v12, s[2:3]
; %bb.800:                              ;   in Loop: Header=BB332_288 Depth=1
	s_or_b64 exec, exec, s[22:23]
	v_and_b32_e32 v12, 0xff, v3
	v_cvt_f32_fp8_sdwa v12, v12 src0_sel:BYTE_0
	s_nop 0
	v_mul_f32_e32 v13, v1, v12
	v_and_b32_e32 v12, 0x7f800000, v13
	v_cmp_ne_u32_e64 s[2:3], s17, v12
                                        ; implicit-def: $vgpr12
	s_and_saveexec_b64 s[22:23], s[2:3]
	s_xor_b64 s[2:3], exec, s[22:23]
; %bb.801:                              ;   in Loop: Header=BB332_288 Depth=1
	v_bfe_u32 v12, v13, 16, 1
	v_add3_u32 v12, v13, v12, s24
                                        ; implicit-def: $vgpr13
; %bb.802:                              ;   in Loop: Header=BB332_288 Depth=1
	s_andn2_saveexec_b64 s[22:23], s[2:3]
; %bb.803:                              ;   in Loop: Header=BB332_288 Depth=1
	v_or_b32_e32 v12, 0x10000, v13
	v_cmp_eq_u32_sdwa s[2:3], v13, v27 src0_sel:WORD_0 src1_sel:DWORD
	s_nop 1
	v_cndmask_b32_e64 v12, v12, v13, s[2:3]
; %bb.804:                              ;   in Loop: Header=BB332_288 Depth=1
	s_or_b64 exec, exec, s[22:23]
	v_bfe_u32 v13, v3, 8, 8
	v_cvt_f32_fp8_sdwa v13, v13 src0_sel:BYTE_0
	s_nop 0
	v_mul_f32_e32 v17, v1, v13
	v_and_b32_e32 v13, 0x7f800000, v17
	v_cmp_ne_u32_e64 s[2:3], s17, v13
                                        ; implicit-def: $vgpr13
	s_and_saveexec_b64 s[22:23], s[2:3]
	s_xor_b64 s[2:3], exec, s[22:23]
; %bb.805:                              ;   in Loop: Header=BB332_288 Depth=1
	v_bfe_u32 v13, v17, 16, 1
	v_add3_u32 v13, v17, v13, s24
                                        ; implicit-def: $vgpr17
; %bb.806:                              ;   in Loop: Header=BB332_288 Depth=1
	s_andn2_saveexec_b64 s[22:23], s[2:3]
; %bb.807:                              ;   in Loop: Header=BB332_288 Depth=1
	v_or_b32_e32 v13, 0x10000, v17
	v_cmp_eq_u32_sdwa s[2:3], v17, v27 src0_sel:WORD_0 src1_sel:DWORD
	s_nop 1
	v_cndmask_b32_e64 v13, v13, v17, s[2:3]
; %bb.808:                              ;   in Loop: Header=BB332_288 Depth=1
	s_or_b64 exec, exec, s[22:23]
	v_bfe_u32 v17, v3, 16, 8
	v_cvt_f32_fp8_sdwa v17, v17 src0_sel:BYTE_0
	s_nop 0
	v_mul_f32_e32 v18, v1, v17
	v_and_b32_e32 v17, 0x7f800000, v18
	v_cmp_ne_u32_e64 s[2:3], s17, v17
                                        ; implicit-def: $vgpr17
	s_and_saveexec_b64 s[22:23], s[2:3]
	s_xor_b64 s[2:3], exec, s[22:23]
; %bb.809:                              ;   in Loop: Header=BB332_288 Depth=1
	v_bfe_u32 v17, v18, 16, 1
	v_add3_u32 v17, v18, v17, s24
                                        ; implicit-def: $vgpr18
; %bb.810:                              ;   in Loop: Header=BB332_288 Depth=1
	s_andn2_saveexec_b64 s[22:23], s[2:3]
; %bb.811:                              ;   in Loop: Header=BB332_288 Depth=1
	v_or_b32_e32 v17, 0x10000, v18
	v_cmp_eq_u32_sdwa s[2:3], v18, v27 src0_sel:WORD_0 src1_sel:DWORD
	s_nop 1
	v_cndmask_b32_e64 v17, v17, v18, s[2:3]
; %bb.812:                              ;   in Loop: Header=BB332_288 Depth=1
	s_or_b64 exec, exec, s[22:23]
	v_lshrrev_b32_e32 v3, 24, v3
	v_cvt_f32_fp8_sdwa v3, v3 src0_sel:BYTE_0
	s_nop 0
	v_mul_f32_e32 v3, v1, v3
	v_and_b32_e32 v1, 0x7f800000, v3
	v_cmp_ne_u32_e64 s[2:3], s17, v1
                                        ; implicit-def: $vgpr1
	s_and_saveexec_b64 s[22:23], s[2:3]
	s_xor_b64 s[2:3], exec, s[22:23]
; %bb.813:                              ;   in Loop: Header=BB332_288 Depth=1
	v_bfe_u32 v1, v3, 16, 1
	v_add3_u32 v1, v3, v1, s24
                                        ; implicit-def: $vgpr3
; %bb.814:                              ;   in Loop: Header=BB332_288 Depth=1
	s_andn2_saveexec_b64 s[22:23], s[2:3]
; %bb.815:                              ;   in Loop: Header=BB332_288 Depth=1
	v_or_b32_e32 v1, 0x10000, v3
	v_cmp_eq_u32_sdwa s[2:3], v3, v27 src0_sel:WORD_0 src1_sel:DWORD
	s_nop 1
	v_cndmask_b32_e64 v1, v1, v3, s[2:3]
; %bb.816:                              ;   in Loop: Header=BB332_288 Depth=1
	s_or_b64 exec, exec, s[22:23]
	v_lshrrev_b32_e32 v61, 16, v13
	v_lshrrev_b32_e32 v18, 16, v12
	;; [unrolled: 1-line block ×8, first 2 shown]
	s_and_saveexec_b64 s[2:3], s[0:1]
	s_cbranch_execz .LBB332_818
; %bb.817:                              ;   in Loop: Header=BB332_288 Depth=1
	v_accvgpr_read_b32 v19, a3
	v_cmp_lt_i32_e64 s[0:1], v40, v19
	v_add_u32_e32 v17, 1, v40
	s_nop 0
	v_cndmask_b32_e64 v2, 0, v2, s[0:1]
	v_cmp_lt_i32_e64 s[0:1], v17, v19
	v_add_u32_e32 v17, 2, v40
	s_nop 0
	v_cndmask_b32_e64 v21, 0, v21, s[0:1]
	;; [unrolled: 4-line block ×7, first 2 shown]
	v_cmp_lt_i32_e64 s[0:1], v17, v19
	s_nop 1
	v_cndmask_b32_e64 v1, 0, v1, s[0:1]
.LBB332_818:                            ;   in Loop: Header=BB332_288 Depth=1
	s_or_b64 exec, exec, s[2:3]
	v_lshlrev_b32_e32 v2, 16, v2
	v_mul_f32_e32 v17, v41, v2
	v_and_b32_e32 v2, 0x7f800000, v17
	v_cmp_ne_u32_e64 s[0:1], s17, v2
                                        ; implicit-def: $vgpr2
	s_and_saveexec_b64 s[2:3], s[0:1]
	s_xor_b64 s[0:1], exec, s[2:3]
; %bb.819:                              ;   in Loop: Header=BB332_288 Depth=1
	v_bfe_u32 v2, v17, 16, 1
	v_add3_u32 v2, v17, v2, s24
                                        ; implicit-def: $vgpr17
; %bb.820:                              ;   in Loop: Header=BB332_288 Depth=1
	s_andn2_saveexec_b64 s[2:3], s[0:1]
; %bb.821:                              ;   in Loop: Header=BB332_288 Depth=1
	v_or_b32_e32 v2, 0x10000, v17
	v_cmp_eq_u32_sdwa s[0:1], v17, v27 src0_sel:WORD_0 src1_sel:DWORD
	s_nop 1
	v_cndmask_b32_e64 v2, v2, v17, s[0:1]
; %bb.822:                              ;   in Loop: Header=BB332_288 Depth=1
	s_or_b64 exec, exec, s[2:3]
	v_lshlrev_b32_e32 v17, 16, v21
	v_mul_f32_e32 v17, v42, v17
	v_and_b32_e32 v19, 0x7f800000, v17
	v_cmp_ne_u32_e64 s[0:1], s17, v19
                                        ; implicit-def: $vgpr20
	s_and_saveexec_b64 s[2:3], s[0:1]
	s_xor_b64 s[0:1], exec, s[2:3]
; %bb.823:                              ;   in Loop: Header=BB332_288 Depth=1
	v_bfe_u32 v19, v17, 16, 1
	v_add3_u32 v20, v17, v19, s24
                                        ; implicit-def: $vgpr17
; %bb.824:                              ;   in Loop: Header=BB332_288 Depth=1
	s_andn2_saveexec_b64 s[2:3], s[0:1]
; %bb.825:                              ;   in Loop: Header=BB332_288 Depth=1
	v_or_b32_e32 v19, 0x10000, v17
	v_cmp_eq_u32_sdwa s[0:1], v17, v27 src0_sel:WORD_0 src1_sel:DWORD
	s_nop 1
	v_cndmask_b32_e64 v20, v19, v17, s[0:1]
; %bb.826:                              ;   in Loop: Header=BB332_288 Depth=1
	s_or_b64 exec, exec, s[2:3]
	v_lshlrev_b32_e32 v13, 16, v13
	v_mul_f32_e32 v13, v43, v13
	v_and_b32_e32 v17, 0x7f800000, v13
	v_cmp_ne_u32_e64 s[0:1], s17, v17
                                        ; implicit-def: $vgpr21
	s_and_saveexec_b64 s[2:3], s[0:1]
	s_xor_b64 s[0:1], exec, s[2:3]
; %bb.827:                              ;   in Loop: Header=BB332_288 Depth=1
	v_bfe_u32 v17, v13, 16, 1
	v_add3_u32 v21, v13, v17, s24
                                        ; implicit-def: $vgpr13
; %bb.828:                              ;   in Loop: Header=BB332_288 Depth=1
	s_andn2_saveexec_b64 s[2:3], s[0:1]
; %bb.829:                              ;   in Loop: Header=BB332_288 Depth=1
	v_or_b32_e32 v17, 0x10000, v13
	v_cmp_eq_u32_sdwa s[0:1], v13, v27 src0_sel:WORD_0 src1_sel:DWORD
	s_nop 1
	v_cndmask_b32_e64 v21, v17, v13, s[0:1]
; %bb.830:                              ;   in Loop: Header=BB332_288 Depth=1
	s_or_b64 exec, exec, s[2:3]
	v_lshlrev_b32_e32 v12, 16, v12
	v_mul_f32_e32 v12, v44, v12
	v_and_b32_e32 v13, 0x7f800000, v12
	v_cmp_ne_u32_e64 s[0:1], s17, v13
                                        ; implicit-def: $vgpr40
	s_and_saveexec_b64 s[2:3], s[0:1]
	s_xor_b64 s[0:1], exec, s[2:3]
; %bb.831:                              ;   in Loop: Header=BB332_288 Depth=1
	v_bfe_u32 v13, v12, 16, 1
	v_add3_u32 v40, v12, v13, s24
                                        ; implicit-def: $vgpr12
; %bb.832:                              ;   in Loop: Header=BB332_288 Depth=1
	s_andn2_saveexec_b64 s[2:3], s[0:1]
; %bb.833:                              ;   in Loop: Header=BB332_288 Depth=1
	v_or_b32_e32 v13, 0x10000, v12
	v_cmp_eq_u32_sdwa s[0:1], v12, v27 src0_sel:WORD_0 src1_sel:DWORD
	s_nop 1
	v_cndmask_b32_e64 v40, v13, v12, s[0:1]
; %bb.834:                              ;   in Loop: Header=BB332_288 Depth=1
	s_or_b64 exec, exec, s[2:3]
	v_lshlrev_b32_e32 v12, 16, v18
	v_mul_f32_e32 v13, v45, v12
	v_and_b32_e32 v12, 0x7f800000, v13
	v_cmp_ne_u32_e64 s[0:1], s17, v12
                                        ; implicit-def: $vgpr12
	s_and_saveexec_b64 s[2:3], s[0:1]
	s_xor_b64 s[0:1], exec, s[2:3]
; %bb.835:                              ;   in Loop: Header=BB332_288 Depth=1
	v_bfe_u32 v12, v13, 16, 1
	v_add3_u32 v12, v13, v12, s24
                                        ; implicit-def: $vgpr13
; %bb.836:                              ;   in Loop: Header=BB332_288 Depth=1
	s_andn2_saveexec_b64 s[2:3], s[0:1]
; %bb.837:                              ;   in Loop: Header=BB332_288 Depth=1
	v_or_b32_e32 v12, 0x10000, v13
	v_cmp_eq_u32_sdwa s[0:1], v13, v27 src0_sel:WORD_0 src1_sel:DWORD
	s_nop 1
	v_cndmask_b32_e64 v12, v12, v13, s[0:1]
; %bb.838:                              ;   in Loop: Header=BB332_288 Depth=1
	s_or_b64 exec, exec, s[2:3]
	v_lshlrev_b32_e32 v13, 16, v61
	v_mul_f32_e32 v17, v46, v13
	v_and_b32_e32 v13, 0x7f800000, v17
	v_cmp_ne_u32_e64 s[0:1], s17, v13
                                        ; implicit-def: $vgpr13
	s_and_saveexec_b64 s[2:3], s[0:1]
	s_xor_b64 s[0:1], exec, s[2:3]
; %bb.839:                              ;   in Loop: Header=BB332_288 Depth=1
	v_bfe_u32 v13, v17, 16, 1
	v_add3_u32 v13, v17, v13, s24
                                        ; implicit-def: $vgpr17
; %bb.840:                              ;   in Loop: Header=BB332_288 Depth=1
	s_andn2_saveexec_b64 s[2:3], s[0:1]
; %bb.841:                              ;   in Loop: Header=BB332_288 Depth=1
	v_or_b32_e32 v13, 0x10000, v17
	v_cmp_eq_u32_sdwa s[0:1], v17, v27 src0_sel:WORD_0 src1_sel:DWORD
	s_nop 1
	v_cndmask_b32_e64 v13, v13, v17, s[0:1]
; %bb.842:                              ;   in Loop: Header=BB332_288 Depth=1
	s_or_b64 exec, exec, s[2:3]
	v_lshlrev_b32_e32 v3, 16, v3
	v_mul_f32_e32 v17, v47, v3
	v_and_b32_e32 v3, 0x7f800000, v17
	v_cmp_ne_u32_e64 s[0:1], s17, v3
                                        ; implicit-def: $vgpr3
	s_and_saveexec_b64 s[2:3], s[0:1]
	s_xor_b64 s[0:1], exec, s[2:3]
; %bb.843:                              ;   in Loop: Header=BB332_288 Depth=1
	v_bfe_u32 v3, v17, 16, 1
	v_add3_u32 v3, v17, v3, s24
                                        ; implicit-def: $vgpr17
; %bb.844:                              ;   in Loop: Header=BB332_288 Depth=1
	s_andn2_saveexec_b64 s[2:3], s[0:1]
; %bb.845:                              ;   in Loop: Header=BB332_288 Depth=1
	v_or_b32_e32 v3, 0x10000, v17
	v_cmp_eq_u32_sdwa s[0:1], v17, v27 src0_sel:WORD_0 src1_sel:DWORD
	s_nop 1
	v_cndmask_b32_e64 v3, v3, v17, s[0:1]
; %bb.846:                              ;   in Loop: Header=BB332_288 Depth=1
	s_or_b64 exec, exec, s[2:3]
	v_lshlrev_b32_e32 v1, 16, v1
	v_mul_f32_e32 v1, v62, v1
	v_and_b32_e32 v17, 0x7f800000, v1
	v_cmp_ne_u32_e64 s[0:1], s17, v17
                                        ; implicit-def: $vgpr17
	s_and_saveexec_b64 s[2:3], s[0:1]
	s_xor_b64 s[0:1], exec, s[2:3]
; %bb.847:                              ;   in Loop: Header=BB332_288 Depth=1
	v_bfe_u32 v17, v1, 16, 1
	v_add3_u32 v17, v1, v17, s24
                                        ; implicit-def: $vgpr1
; %bb.848:                              ;   in Loop: Header=BB332_288 Depth=1
	s_andn2_saveexec_b64 s[2:3], s[0:1]
	s_cbranch_execz .LBB332_285
; %bb.849:                              ;   in Loop: Header=BB332_288 Depth=1
	v_or_b32_e32 v17, 0x10000, v1
	v_cmp_eq_u32_sdwa s[0:1], v1, v27 src0_sel:WORD_0 src1_sel:DWORD
	s_nop 1
	v_cndmask_b32_e64 v17, v17, v1, s[0:1]
	s_branch .LBB332_285
.LBB332_850:
	s_or_b64 exec, exec, s[8:9]
	v_accvgpr_read_b32 v17, a15
	v_accvgpr_read_b32 v18, a16
	;; [unrolled: 1-line block ×3, first 2 shown]
.LBB332_851:
	s_or_b64 exec, exec, s[4:5]
	ds_bpermute_b32 v0, v57, v28
	ds_bpermute_b32 v1, v57, v29
	;; [unrolled: 1-line block ×6, first 2 shown]
	s_waitcnt lgkmcnt(4)
	v_pk_add_f32 v[0:1], v[28:29], v[0:1]
	ds_bpermute_b32 v4, v17, v0
	ds_bpermute_b32 v5, v17, v1
	s_waitcnt lgkmcnt(4)
	v_pk_add_f32 v[6:7], v[14:15], v[6:7]
	s_waitcnt lgkmcnt(2)
	v_pk_add_f32 v[14:15], v[20:21], v[8:9]
	s_waitcnt lgkmcnt(0)
	s_barrier
	v_pk_add_f32 v[8:9], v[0:1], v[4:5]
	scratch_load_dword v1, off, s32 offset:268 ; 4-byte Folded Reload
	ds_bpermute_b32 v2, v57, v24
	ds_bpermute_b32 v3, v57, v25
	;; [unrolled: 1-line block ×5, first 2 shown]
	s_waitcnt lgkmcnt(3)
	v_pk_add_f32 v[2:3], v[24:25], v[2:3]
	ds_bpermute_b32 v10, v17, v2
	ds_bpermute_b32 v11, v17, v3
	ds_bpermute_b32 v17, v17, v15
	s_waitcnt lgkmcnt(1)
	v_pk_add_f32 v[4:5], v[2:3], v[10:11]
	v_pk_add_f32 v[2:3], v[6:7], v[12:13]
	s_waitcnt lgkmcnt(0)
	v_pk_add_f32 v[6:7], v[14:15], v[16:17]
	s_waitcnt vmcnt(0)
	v_and_b32_e32 v0, 0x3c0, v1
	v_cmp_eq_u32_e32 vcc, 64, v0
	s_and_saveexec_b64 s[2:3], vcc
	s_cbranch_execz .LBB332_856
; %bb.852:
	v_cmp_eq_u32_e32 vcc, 0, v18
	s_and_saveexec_b64 s[0:1], vcc
	s_cbranch_execz .LBB332_854
; %bb.853:
	s_ashr_i32 s17, s16, 31
	s_lshl_b64 s[4:5], s[16:17], 2
	s_getpc_b64 s[6:7]
	s_add_u32 s6, s6, llvm.amdgcn.dynlds.offset.table@rel32@lo+4
	s_addc_u32 s7, s7, llvm.amdgcn.dynlds.offset.table@rel32@hi+12
	s_add_u32 s4, s4, s6
	s_addc_u32 s5, s5, s7
	s_load_dword s4, s[4:5], 0x0
	s_waitcnt lgkmcnt(0)
	v_lshl_add_u32 v0, v19, 2, s4
	ds_write2_b32 v0, v8, v9 offset1:16
	ds_write2_b32 v0, v4, v5 offset0:32 offset1:48
	ds_write2_b32 v0, v2, v3 offset0:64 offset1:80
	ds_write_b32 v0, v6 offset:384
.LBB332_854:
	s_or_b64 exec, exec, s[0:1]
	v_or_b32_e32 v0, 0x70, v19
	s_movk_i32 s0, 0x78
	v_cmp_gt_u32_e64 s[0:1], s0, v0
	s_and_b64 s[0:1], vcc, s[0:1]
	s_and_b64 exec, exec, s[0:1]
	s_cbranch_execz .LBB332_856
; %bb.855:
	s_ashr_i32 s17, s16, 31
	s_lshl_b64 s[0:1], s[16:17], 2
	s_getpc_b64 s[4:5]
	s_add_u32 s4, s4, llvm.amdgcn.dynlds.offset.table@rel32@lo+4
	s_addc_u32 s5, s5, llvm.amdgcn.dynlds.offset.table@rel32@hi+12
	s_add_u32 s0, s0, s4
	s_addc_u32 s1, s1, s5
	s_load_dword s0, s[0:1], 0x0
	s_waitcnt lgkmcnt(0)
	v_lshl_add_u32 v0, v19, 2, s0
	ds_write_b32 v0, v7 offset:448
.LBB332_856:
	s_or_b64 exec, exec, s[2:3]
	v_cmp_gt_u32_e32 vcc, 64, v1
	v_lshrrev_b32_e32 v12, 2, v1
	s_waitcnt lgkmcnt(0)
	s_barrier
	s_and_saveexec_b64 s[4:5], vcc
	s_cbranch_execz .LBB332_868
; %bb.857:
	v_cmp_eq_u32_e64 s[0:1], 0, v18
	s_and_saveexec_b64 s[2:3], s[0:1]
	s_cbranch_execnz .LBB332_906
; %bb.858:
	s_or_b64 exec, exec, s[2:3]
	s_and_saveexec_b64 s[2:3], s[0:1]
	s_cbranch_execnz .LBB332_907
.LBB332_859:
	s_or_b64 exec, exec, s[2:3]
	s_and_saveexec_b64 s[2:3], s[0:1]
	s_cbranch_execnz .LBB332_908
.LBB332_860:
	s_or_b64 exec, exec, s[2:3]
	s_and_saveexec_b64 s[2:3], s[0:1]
	s_cbranch_execnz .LBB332_909
.LBB332_861:
	s_or_b64 exec, exec, s[2:3]
	s_and_saveexec_b64 s[2:3], s[0:1]
	s_cbranch_execnz .LBB332_910
.LBB332_862:
	s_or_b64 exec, exec, s[2:3]
	s_and_saveexec_b64 s[2:3], s[0:1]
	s_cbranch_execnz .LBB332_911
.LBB332_863:
	s_or_b64 exec, exec, s[2:3]
	s_and_saveexec_b64 s[2:3], s[0:1]
	s_cbranch_execz .LBB332_865
.LBB332_864:
	s_ashr_i32 s17, s16, 31
	s_lshl_b64 s[6:7], s[16:17], 2
	s_getpc_b64 s[8:9]
	s_add_u32 s8, s8, llvm.amdgcn.dynlds.offset.table@rel32@lo+4
	s_addc_u32 s9, s9, llvm.amdgcn.dynlds.offset.table@rel32@hi+12
	s_add_u32 s6, s6, s8
	s_addc_u32 s7, s7, s9
	s_load_dword s6, s[6:7], 0x0
	s_waitcnt lgkmcnt(0)
	v_lshl_add_u32 v0, v12, 2, s6
	ds_read_b32 v0, v0 offset:384
	s_waitcnt lgkmcnt(0)
	v_add_f32_e32 v6, v6, v0
.LBB332_865:
	s_or_b64 exec, exec, s[2:3]
	v_or_b32_e32 v0, 0x70, v12
	s_movk_i32 s2, 0x78
	v_cmp_gt_u32_e64 s[2:3], s2, v0
	s_and_b64 s[2:3], s[0:1], s[2:3]
	s_and_saveexec_b64 s[0:1], s[2:3]
	s_cbranch_execz .LBB332_867
; %bb.866:
	s_ashr_i32 s17, s16, 31
	s_lshl_b64 s[2:3], s[16:17], 2
	s_getpc_b64 s[6:7]
	s_add_u32 s6, s6, llvm.amdgcn.dynlds.offset.table@rel32@lo+4
	s_addc_u32 s7, s7, llvm.amdgcn.dynlds.offset.table@rel32@hi+12
	s_add_u32 s2, s2, s6
	s_addc_u32 s3, s3, s7
	s_load_dword s2, s[2:3], 0x0
	s_waitcnt lgkmcnt(0)
	v_lshl_add_u32 v0, v12, 2, s2
	ds_read_b32 v0, v0 offset:448
	s_waitcnt lgkmcnt(0)
	v_add_f32_e32 v7, v7, v0
.LBB332_867:
	s_or_b64 exec, exec, s[0:1]
.LBB332_868:
	s_or_b64 exec, exec, s[4:5]
	s_barrier
	s_and_saveexec_b64 s[2:3], vcc
	s_cbranch_execz .LBB332_905
; %bb.869:
	scratch_load_dwordx2 v[0:1], off, s32 offset:272 ; 8-byte Folded Reload
	v_cmp_ne_u16_e64 s[0:1], s19, 0
	s_cmp_lg_u64 s[0:1], 0
	s_addc_u32 s4, s15, 0
	s_mul_i32 s0, s4, s10
	s_mul_i32 s0, s0, s11
	s_mulk_i32 s0, 0x78
	s_mul_i32 s4, s18, s4
	s_mul_i32 s6, s14, 0x78
	s_ashr_i32 s1, s0, 31
	s_ashr_i32 s5, s4, 31
	;; [unrolled: 1-line block ×3, first 2 shown]
	s_lshl_b64 s[0:1], s[0:1], 1
	s_lshl_b64 s[4:5], s[4:5], 1
	;; [unrolled: 1-line block ×3, first 2 shown]
	s_add_u32 s4, s6, s4
	s_addc_u32 s5, s7, s5
	s_add_u32 s0, s4, s0
	s_addc_u32 s1, s5, s1
	v_cmp_eq_u32_e32 vcc, 0, v18
	s_waitcnt vmcnt(0)
	v_lshl_add_u64 v[10:11], s[0:1], 0, v[0:1]
	s_and_saveexec_b64 s[4:5], vcc
	s_cbranch_execz .LBB332_899
; %bb.870:
	s_mov_b32 s0, 0x7f800000
	v_and_b32_e32 v0, 0x7f800000, v8
	v_cmp_ne_u32_e64 s[0:1], s0, v0
                                        ; implicit-def: $vgpr13
	s_and_saveexec_b64 s[6:7], s[0:1]
	s_xor_b64 s[0:1], exec, s[6:7]
; %bb.871:
	v_bfe_u32 v0, v8, 16, 1
	s_movk_i32 s6, 0x7fff
	v_add3_u32 v13, v8, v0, s6
; %bb.872:
	s_andn2_saveexec_b64 s[6:7], s[0:1]
; %bb.873:
	v_mov_b32_e32 v0, 0
	v_or_b32_e32 v1, 0x10000, v8
	v_cmp_eq_u32_sdwa s[0:1], v8, v0 src0_sel:WORD_0 src1_sel:DWORD
	s_nop 1
	v_cndmask_b32_e64 v13, v1, v8, s[0:1]
; %bb.874:
	s_or_b64 exec, exec, s[6:7]
	v_lshlrev_b32_e32 v0, 1, v12
	v_mov_b32_e32 v1, 0
	s_mov_b32 s0, 0x7f800000
	v_and_b32_e32 v8, 0x7f800000, v9
	v_lshl_add_u64 v[0:1], v[10:11], 0, v[0:1]
	v_cmp_ne_u32_e64 s[0:1], s0, v8
	flat_store_short_d16_hi v[0:1], v13
                                        ; implicit-def: $vgpr8
	s_and_saveexec_b64 s[6:7], s[0:1]
	s_xor_b64 s[0:1], exec, s[6:7]
; %bb.875:
	v_bfe_u32 v8, v9, 16, 1
	s_movk_i32 s6, 0x7fff
	v_add3_u32 v8, v9, v8, s6
; %bb.876:
	s_andn2_saveexec_b64 s[6:7], s[0:1]
; %bb.877:
	v_mov_b32_e32 v8, 0
	v_or_b32_e32 v13, 0x10000, v9
	v_cmp_eq_u32_sdwa s[0:1], v9, v8 src0_sel:WORD_0 src1_sel:DWORD
	s_nop 1
	v_cndmask_b32_e64 v8, v13, v9, s[0:1]
; %bb.878:
	s_or_b64 exec, exec, s[6:7]
	flat_store_short_d16_hi v[0:1], v8 offset:32
	s_mov_b32 s0, 0x7f800000
	v_and_b32_e32 v8, 0x7f800000, v4
	v_cmp_ne_u32_e64 s[0:1], s0, v8
                                        ; implicit-def: $vgpr8
	s_and_saveexec_b64 s[6:7], s[0:1]
	s_xor_b64 s[0:1], exec, s[6:7]
; %bb.879:
	v_bfe_u32 v8, v4, 16, 1
	s_movk_i32 s6, 0x7fff
	v_add3_u32 v8, v4, v8, s6
; %bb.880:
	s_andn2_saveexec_b64 s[6:7], s[0:1]
; %bb.881:
	v_mov_b32_e32 v8, 0
	v_or_b32_e32 v9, 0x10000, v4
	v_cmp_eq_u32_sdwa s[0:1], v4, v8 src0_sel:WORD_0 src1_sel:DWORD
	s_nop 1
	v_cndmask_b32_e64 v8, v9, v4, s[0:1]
; %bb.882:
	s_or_b64 exec, exec, s[6:7]
	s_mov_b32 s0, 0x7f800000
	v_and_b32_e32 v4, 0x7f800000, v5
	v_cmp_ne_u32_e64 s[0:1], s0, v4
	flat_store_short_d16_hi v[0:1], v8 offset:64
                                        ; implicit-def: $vgpr4
	s_and_saveexec_b64 s[6:7], s[0:1]
	s_xor_b64 s[0:1], exec, s[6:7]
; %bb.883:
	v_bfe_u32 v4, v5, 16, 1
	s_movk_i32 s6, 0x7fff
	v_add3_u32 v4, v5, v4, s6
; %bb.884:
	s_andn2_saveexec_b64 s[6:7], s[0:1]
; %bb.885:
	v_mov_b32_e32 v4, 0
	v_or_b32_e32 v8, 0x10000, v5
	v_cmp_eq_u32_sdwa s[0:1], v5, v4 src0_sel:WORD_0 src1_sel:DWORD
	s_nop 1
	v_cndmask_b32_e64 v4, v8, v5, s[0:1]
; %bb.886:
	s_or_b64 exec, exec, s[6:7]
	flat_store_short_d16_hi v[0:1], v4 offset:96
	s_mov_b32 s0, 0x7f800000
	v_and_b32_e32 v4, 0x7f800000, v2
	v_cmp_ne_u32_e64 s[0:1], s0, v4
                                        ; implicit-def: $vgpr4
	s_and_saveexec_b64 s[6:7], s[0:1]
	s_xor_b64 s[0:1], exec, s[6:7]
; %bb.887:
	v_bfe_u32 v4, v2, 16, 1
	s_movk_i32 s6, 0x7fff
	v_add3_u32 v4, v2, v4, s6
; %bb.888:
	s_andn2_saveexec_b64 s[6:7], s[0:1]
; %bb.889:
	v_mov_b32_e32 v4, 0
	v_or_b32_e32 v5, 0x10000, v2
	v_cmp_eq_u32_sdwa s[0:1], v2, v4 src0_sel:WORD_0 src1_sel:DWORD
	s_nop 1
	v_cndmask_b32_e64 v4, v5, v2, s[0:1]
; %bb.890:
	s_or_b64 exec, exec, s[6:7]
	s_mov_b32 s0, 0x7f800000
	v_and_b32_e32 v2, 0x7f800000, v3
	v_cmp_ne_u32_e64 s[0:1], s0, v2
	flat_store_short_d16_hi v[0:1], v4 offset:128
                                        ; implicit-def: $vgpr2
	s_and_saveexec_b64 s[6:7], s[0:1]
	s_xor_b64 s[0:1], exec, s[6:7]
; %bb.891:
	v_bfe_u32 v2, v3, 16, 1
	s_movk_i32 s6, 0x7fff
	v_add3_u32 v2, v3, v2, s6
; %bb.892:
	s_andn2_saveexec_b64 s[6:7], s[0:1]
; %bb.893:
	v_mov_b32_e32 v2, 0
	v_or_b32_e32 v4, 0x10000, v3
	v_cmp_eq_u32_sdwa s[0:1], v3, v2 src0_sel:WORD_0 src1_sel:DWORD
	s_nop 1
	v_cndmask_b32_e64 v2, v4, v3, s[0:1]
; %bb.894:
	s_or_b64 exec, exec, s[6:7]
	flat_store_short_d16_hi v[0:1], v2 offset:160
	s_mov_b32 s0, 0x7f800000
	v_and_b32_e32 v2, 0x7f800000, v6
	v_cmp_ne_u32_e64 s[0:1], s0, v2
                                        ; implicit-def: $vgpr2
	s_and_saveexec_b64 s[6:7], s[0:1]
	s_xor_b64 s[0:1], exec, s[6:7]
; %bb.895:
	v_bfe_u32 v2, v6, 16, 1
	s_movk_i32 s6, 0x7fff
	v_add3_u32 v2, v6, v2, s6
; %bb.896:
	s_andn2_saveexec_b64 s[6:7], s[0:1]
; %bb.897:
	v_mov_b32_e32 v2, 0
	v_or_b32_e32 v3, 0x10000, v6
	v_cmp_eq_u32_sdwa s[0:1], v6, v2 src0_sel:WORD_0 src1_sel:DWORD
	s_nop 1
	v_cndmask_b32_e64 v2, v3, v6, s[0:1]
; %bb.898:
	s_or_b64 exec, exec, s[6:7]
	flat_store_short_d16_hi v[0:1], v2 offset:192
.LBB332_899:
	s_or_b64 exec, exec, s[4:5]
	v_or_b32_e32 v0, 0x70, v12
	s_movk_i32 s0, 0x78
	v_cmp_gt_u32_e64 s[0:1], s0, v0
	s_and_b64 s[0:1], vcc, s[0:1]
	s_and_b64 exec, exec, s[0:1]
	s_cbranch_execz .LBB332_905
; %bb.900:
	s_mov_b32 s0, 0x7f800000
	v_and_b32_e32 v0, 0x7f800000, v7
	v_cmp_ne_u32_e32 vcc, s0, v0
                                        ; implicit-def: $vgpr8
	s_and_saveexec_b64 s[0:1], vcc
	s_xor_b64 s[0:1], exec, s[0:1]
; %bb.901:
	v_bfe_u32 v0, v7, 16, 1
	s_movk_i32 s4, 0x7fff
	v_add3_u32 v8, v7, v0, s4
                                        ; implicit-def: $vgpr0_vgpr1_vgpr2_vgpr3_vgpr4_vgpr5_vgpr6_vgpr7
; %bb.902:
	s_andn2_saveexec_b64 s[0:1], s[0:1]
; %bb.903:
	v_mov_b32_e32 v0, 0
	v_or_b32_e32 v1, 0x10000, v7
	v_cmp_eq_u32_sdwa vcc, v7, v0 src0_sel:WORD_0 src1_sel:DWORD
	s_nop 1
	v_cndmask_b32_e32 v8, v1, v7, vcc
; %bb.904:
	s_or_b64 exec, exec, s[0:1]
	v_lshlrev_b32_e32 v0, 1, v12
	v_mov_b32_e32 v1, 0
	v_lshl_add_u64 v[0:1], v[10:11], 0, v[0:1]
	flat_store_short_d16_hi v[0:1], v8 offset:224
.LBB332_905:
	s_or_b64 exec, exec, s[2:3]
	scratch_load_dword a63, off, s32        ; 4-byte Folded Reload
	scratch_load_dword a62, off, s32 offset:4 ; 4-byte Folded Reload
	scratch_load_dword a61, off, s32 offset:8 ; 4-byte Folded Reload
	;; [unrolled: 1-line block ×47, first 2 shown]
	s_waitcnt vmcnt(0) lgkmcnt(0)
	s_setpc_b64 s[30:31]
.LBB332_906:
	s_ashr_i32 s17, s16, 31
	s_lshl_b64 s[6:7], s[16:17], 2
	s_getpc_b64 s[8:9]
	s_add_u32 s8, s8, llvm.amdgcn.dynlds.offset.table@rel32@lo+4
	s_addc_u32 s9, s9, llvm.amdgcn.dynlds.offset.table@rel32@hi+12
	s_add_u32 s6, s6, s8
	s_addc_u32 s7, s7, s9
	s_load_dword s6, s[6:7], 0x0
	s_waitcnt lgkmcnt(0)
	v_lshl_add_u32 v0, v12, 2, s6
	ds_read_b32 v0, v0
	s_waitcnt lgkmcnt(0)
	v_add_f32_e32 v8, v8, v0
	s_or_b64 exec, exec, s[2:3]
	s_and_saveexec_b64 s[2:3], s[0:1]
	s_cbranch_execz .LBB332_859
.LBB332_907:
	s_ashr_i32 s17, s16, 31
	s_lshl_b64 s[6:7], s[16:17], 2
	s_getpc_b64 s[8:9]
	s_add_u32 s8, s8, llvm.amdgcn.dynlds.offset.table@rel32@lo+4
	s_addc_u32 s9, s9, llvm.amdgcn.dynlds.offset.table@rel32@hi+12
	s_add_u32 s6, s6, s8
	s_addc_u32 s7, s7, s9
	s_load_dword s6, s[6:7], 0x0
	s_waitcnt lgkmcnt(0)
	v_lshl_add_u32 v0, v12, 2, s6
	ds_read_b32 v0, v0 offset:64
	s_waitcnt lgkmcnt(0)
	v_add_f32_e32 v9, v9, v0
	s_or_b64 exec, exec, s[2:3]
	s_and_saveexec_b64 s[2:3], s[0:1]
	s_cbranch_execz .LBB332_860
.LBB332_908:
	s_ashr_i32 s17, s16, 31
	s_lshl_b64 s[6:7], s[16:17], 2
	s_getpc_b64 s[8:9]
	s_add_u32 s8, s8, llvm.amdgcn.dynlds.offset.table@rel32@lo+4
	s_addc_u32 s9, s9, llvm.amdgcn.dynlds.offset.table@rel32@hi+12
	s_add_u32 s6, s6, s8
	s_addc_u32 s7, s7, s9
	s_load_dword s6, s[6:7], 0x0
	s_waitcnt lgkmcnt(0)
	v_lshl_add_u32 v0, v12, 2, s6
	ds_read_b32 v0, v0 offset:128
	s_waitcnt lgkmcnt(0)
	v_add_f32_e32 v4, v4, v0
	s_or_b64 exec, exec, s[2:3]
	s_and_saveexec_b64 s[2:3], s[0:1]
	s_cbranch_execz .LBB332_861
.LBB332_909:
	s_ashr_i32 s17, s16, 31
	s_lshl_b64 s[6:7], s[16:17], 2
	s_getpc_b64 s[8:9]
	s_add_u32 s8, s8, llvm.amdgcn.dynlds.offset.table@rel32@lo+4
	s_addc_u32 s9, s9, llvm.amdgcn.dynlds.offset.table@rel32@hi+12
	s_add_u32 s6, s6, s8
	s_addc_u32 s7, s7, s9
	s_load_dword s6, s[6:7], 0x0
	s_waitcnt lgkmcnt(0)
	v_lshl_add_u32 v0, v12, 2, s6
	ds_read_b32 v0, v0 offset:192
	s_waitcnt lgkmcnt(0)
	v_add_f32_e32 v5, v5, v0
	s_or_b64 exec, exec, s[2:3]
	s_and_saveexec_b64 s[2:3], s[0:1]
	s_cbranch_execz .LBB332_862
.LBB332_910:
	s_ashr_i32 s17, s16, 31
	s_lshl_b64 s[6:7], s[16:17], 2
	s_getpc_b64 s[8:9]
	s_add_u32 s8, s8, llvm.amdgcn.dynlds.offset.table@rel32@lo+4
	s_addc_u32 s9, s9, llvm.amdgcn.dynlds.offset.table@rel32@hi+12
	s_add_u32 s6, s6, s8
	s_addc_u32 s7, s7, s9
	s_load_dword s6, s[6:7], 0x0
	s_waitcnt lgkmcnt(0)
	v_lshl_add_u32 v0, v12, 2, s6
	ds_read_b32 v0, v0 offset:256
	s_waitcnt lgkmcnt(0)
	v_add_f32_e32 v2, v2, v0
	s_or_b64 exec, exec, s[2:3]
	s_and_saveexec_b64 s[2:3], s[0:1]
	s_cbranch_execz .LBB332_863
.LBB332_911:
	s_ashr_i32 s17, s16, 31
	s_lshl_b64 s[6:7], s[16:17], 2
	s_getpc_b64 s[8:9]
	s_add_u32 s8, s8, llvm.amdgcn.dynlds.offset.table@rel32@lo+4
	s_addc_u32 s9, s9, llvm.amdgcn.dynlds.offset.table@rel32@hi+12
	s_add_u32 s6, s6, s8
	s_addc_u32 s7, s7, s9
	s_load_dword s6, s[6:7], 0x0
	s_waitcnt lgkmcnt(0)
	v_lshl_add_u32 v0, v12, 2, s6
	ds_read_b32 v0, v0 offset:320
	s_waitcnt lgkmcnt(0)
	v_add_f32_e32 v3, v3, v0
	s_or_b64 exec, exec, s[2:3]
	s_and_saveexec_b64 s[2:3], s[0:1]
	s_cbranch_execnz .LBB332_864
	s_branch .LBB332_865
.Lfunc_end332:
	.size	_ZN4vllm22paged_attention_kernelI14__hip_bfloat16hLi120ELi32ELi128ELNS_18Fp8KVCacheDataTypeE1ELb1ELi0EEEvPfS3_PT_PKS4_PKT0_SA_ifPKiSC_iPKfiiiSE_SE_iiiii, .Lfunc_end332-_ZN4vllm22paged_attention_kernelI14__hip_bfloat16hLi120ELi32ELi128ELNS_18Fp8KVCacheDataTypeE1ELb1ELi0EEEvPfS3_PT_PKS4_PKT0_SA_ifPKiSC_iPKfiiiSE_SE_iiiii
                                        ; -- End function
	.section	.AMDGPU.csdata,"",@progbits
; Function info:
; codeLenInByte = 32344
; NumSgprs: 39
; NumVgprs: 64
; NumAgprs: 64
; TotalNumVgprs: 128
; ScratchSize: 340
; MemoryBound: 0
	.section	.text._ZN4vllm25paged_attention_v1_kernelI14__hip_bfloat16hLi120ELi32ELi128ELNS_18Fp8KVCacheDataTypeE1ELb1EEEvPT_PKS3_PKT0_S9_ifPKiSB_iPKfiiiSD_SD_iiiii,"axG",@progbits,_ZN4vllm25paged_attention_v1_kernelI14__hip_bfloat16hLi120ELi32ELi128ELNS_18Fp8KVCacheDataTypeE1ELb1EEEvPT_PKS3_PKT0_S9_ifPKiSB_iPKfiiiSD_SD_iiiii,comdat
	.protected	_ZN4vllm25paged_attention_v1_kernelI14__hip_bfloat16hLi120ELi32ELi128ELNS_18Fp8KVCacheDataTypeE1ELb1EEEvPT_PKS3_PKT0_S9_ifPKiSB_iPKfiiiSD_SD_iiiii ; -- Begin function _ZN4vllm25paged_attention_v1_kernelI14__hip_bfloat16hLi120ELi32ELi128ELNS_18Fp8KVCacheDataTypeE1ELb1EEEvPT_PKS3_PKT0_S9_ifPKiSB_iPKfiiiSD_SD_iiiii
	.globl	_ZN4vllm25paged_attention_v1_kernelI14__hip_bfloat16hLi120ELi32ELi128ELNS_18Fp8KVCacheDataTypeE1ELb1EEEvPT_PKS3_PKT0_S9_ifPKiSB_iPKfiiiSD_SD_iiiii
	.p2align	8
	.type	_ZN4vllm25paged_attention_v1_kernelI14__hip_bfloat16hLi120ELi32ELi128ELNS_18Fp8KVCacheDataTypeE1ELb1EEEvPT_PKS3_PKT0_S9_ifPKiSB_iPKfiiiSD_SD_iiiii,@function
_ZN4vllm25paged_attention_v1_kernelI14__hip_bfloat16hLi120ELi32ELi128ELNS_18Fp8KVCacheDataTypeE1ELb1EEEvPT_PKS3_PKT0_S9_ifPKiSB_iPKfiiiSD_SD_iiiii: ; @_ZN4vllm25paged_attention_v1_kernelI14__hip_bfloat16hLi120ELi32ELi128ELNS_18Fp8KVCacheDataTypeE1ELb1EEEvPT_PKS3_PKT0_S9_ifPKiSB_iPKfiiiSD_SD_iiiii
; %bb.0:
	s_load_dwordx8 s[16:23], s[0:1], 0x0
	s_load_dwordx4 s[36:39], s[0:1], 0x20
	s_load_dwordx2 s[6:7], s[0:1], 0x30
	s_load_dword s5, s[0:1], 0x38
	s_load_dwordx2 s[10:11], s[0:1], 0x40
	s_load_dwordx8 s[24:31], s[0:1], 0x48
	s_waitcnt lgkmcnt(0)
	s_load_dword s27, s[0:1], 0x78
	s_load_dwordx4 s[40:43], s[0:1], 0x68
	s_add_u32 s8, s0, 0x80
	s_addc_u32 s9, s1, 0
	s_mov_b32 s12, s2
	s_mov_b32 s13, s3
	s_mov_b32 s14, s4
	s_mov_b32 s15, 5
	v_mov_b32_e32 v31, v0
	v_mov_b32_e32 v0, s16
	;; [unrolled: 1-line block ×25, first 2 shown]
	s_waitcnt lgkmcnt(0)
	v_mov_b32_e32 v24, s40
	v_mov_b32_e32 v25, s41
	;; [unrolled: 1-line block ×5, first 2 shown]
	s_mov_b32 s32, 0
	s_getpc_b64 s[0:1]
	s_add_u32 s0, s0, _ZN4vllm22paged_attention_kernelI14__hip_bfloat16hLi120ELi32ELi128ELNS_18Fp8KVCacheDataTypeE1ELb1ELi0EEEvPfS3_PT_PKS4_PKT0_SA_ifPKiSC_iPKfiiiSE_SE_iiiii@rel32@lo+4
	s_addc_u32 s1, s1, _ZN4vllm22paged_attention_kernelI14__hip_bfloat16hLi120ELi32ELi128ELNS_18Fp8KVCacheDataTypeE1ELb1ELi0EEEvPfS3_PT_PKS4_PKT0_SA_ifPKiSC_iPKfiiiSE_SE_iiiii@rel32@hi+12
	s_swappc_b64 s[30:31], s[0:1]
	s_endpgm
	.section	.rodata,"a",@progbits
	.p2align	6, 0x0
	.amdhsa_kernel _ZN4vllm25paged_attention_v1_kernelI14__hip_bfloat16hLi120ELi32ELi128ELNS_18Fp8KVCacheDataTypeE1ELb1EEEvPT_PKS3_PKT0_S9_ifPKiSB_iPKfiiiSD_SD_iiiii
		.amdhsa_group_segment_fixed_size 256
		.amdhsa_private_segment_fixed_size 340
		.amdhsa_kernarg_size 384
		.amdhsa_user_sgpr_count 2
		.amdhsa_user_sgpr_dispatch_ptr 0
		.amdhsa_user_sgpr_queue_ptr 0
		.amdhsa_user_sgpr_kernarg_segment_ptr 1
		.amdhsa_user_sgpr_dispatch_id 0
		.amdhsa_user_sgpr_kernarg_preload_length 0
		.amdhsa_user_sgpr_kernarg_preload_offset 0
		.amdhsa_user_sgpr_private_segment_size 0
		.amdhsa_uses_dynamic_stack 0
		.amdhsa_enable_private_segment 1
		.amdhsa_system_sgpr_workgroup_id_x 1
		.amdhsa_system_sgpr_workgroup_id_y 1
		.amdhsa_system_sgpr_workgroup_id_z 1
		.amdhsa_system_sgpr_workgroup_info 0
		.amdhsa_system_vgpr_workitem_id 0
		.amdhsa_next_free_vgpr 128
		.amdhsa_next_free_sgpr 44
		.amdhsa_accum_offset 64
		.amdhsa_reserve_vcc 1
		.amdhsa_float_round_mode_32 0
		.amdhsa_float_round_mode_16_64 0
		.amdhsa_float_denorm_mode_32 3
		.amdhsa_float_denorm_mode_16_64 3
		.amdhsa_dx10_clamp 1
		.amdhsa_ieee_mode 1
		.amdhsa_fp16_overflow 0
		.amdhsa_tg_split 0
		.amdhsa_exception_fp_ieee_invalid_op 0
		.amdhsa_exception_fp_denorm_src 0
		.amdhsa_exception_fp_ieee_div_zero 0
		.amdhsa_exception_fp_ieee_overflow 0
		.amdhsa_exception_fp_ieee_underflow 0
		.amdhsa_exception_fp_ieee_inexact 0
		.amdhsa_exception_int_div_zero 0
	.end_amdhsa_kernel
	.section	.text._ZN4vllm25paged_attention_v1_kernelI14__hip_bfloat16hLi120ELi32ELi128ELNS_18Fp8KVCacheDataTypeE1ELb1EEEvPT_PKS3_PKT0_S9_ifPKiSB_iPKfiiiSD_SD_iiiii,"axG",@progbits,_ZN4vllm25paged_attention_v1_kernelI14__hip_bfloat16hLi120ELi32ELi128ELNS_18Fp8KVCacheDataTypeE1ELb1EEEvPT_PKS3_PKT0_S9_ifPKiSB_iPKfiiiSD_SD_iiiii,comdat
.Lfunc_end333:
	.size	_ZN4vllm25paged_attention_v1_kernelI14__hip_bfloat16hLi120ELi32ELi128ELNS_18Fp8KVCacheDataTypeE1ELb1EEEvPT_PKS3_PKT0_S9_ifPKiSB_iPKfiiiSD_SD_iiiii, .Lfunc_end333-_ZN4vllm25paged_attention_v1_kernelI14__hip_bfloat16hLi120ELi32ELi128ELNS_18Fp8KVCacheDataTypeE1ELb1EEEvPT_PKS3_PKT0_S9_ifPKiSB_iPKfiiiSD_SD_iiiii
                                        ; -- End function
	.section	.AMDGPU.csdata,"",@progbits
; Kernel info:
; codeLenInByte = 252
; NumSgprs: 50
; NumVgprs: 64
; NumAgprs: 64
; TotalNumVgprs: 128
; ScratchSize: 340
; MemoryBound: 0
; FloatMode: 240
; IeeeMode: 1
; LDSByteSize: 256 bytes/workgroup (compile time only)
; SGPRBlocks: 6
; VGPRBlocks: 15
; NumSGPRsForWavesPerEU: 50
; NumVGPRsForWavesPerEU: 128
; AccumOffset: 64
; Occupancy: 4
; WaveLimiterHint : 1
; COMPUTE_PGM_RSRC2:SCRATCH_EN: 1
; COMPUTE_PGM_RSRC2:USER_SGPR: 2
; COMPUTE_PGM_RSRC2:TRAP_HANDLER: 0
; COMPUTE_PGM_RSRC2:TGID_X_EN: 1
; COMPUTE_PGM_RSRC2:TGID_Y_EN: 1
; COMPUTE_PGM_RSRC2:TGID_Z_EN: 1
; COMPUTE_PGM_RSRC2:TIDIG_COMP_CNT: 0
; COMPUTE_PGM_RSRC3_GFX90A:ACCUM_OFFSET: 15
; COMPUTE_PGM_RSRC3_GFX90A:TG_SPLIT: 0
	.text
	.p2align	2                               ; -- Begin function _ZN4vllm22paged_attention_kernelI14__hip_bfloat16hLi128ELi32ELi128ELNS_18Fp8KVCacheDataTypeE1ELb1ELi0EEEvPfS3_PT_PKS4_PKT0_SA_ifPKiSC_iPKfiiiSE_SE_iiiii
	.type	_ZN4vllm22paged_attention_kernelI14__hip_bfloat16hLi128ELi32ELi128ELNS_18Fp8KVCacheDataTypeE1ELb1ELi0EEEvPfS3_PT_PKS4_PKT0_SA_ifPKiSC_iPKfiiiSE_SE_iiiii,@function
_ZN4vllm22paged_attention_kernelI14__hip_bfloat16hLi128ELi32ELi128ELNS_18Fp8KVCacheDataTypeE1ELb1ELi0EEEvPfS3_PT_PKS4_PKT0_SA_ifPKiSC_iPKfiiiSE_SE_iiiii: ; @_ZN4vllm22paged_attention_kernelI14__hip_bfloat16hLi128ELi32ELi128ELNS_18Fp8KVCacheDataTypeE1ELb1ELi0EEEvPfS3_PT_PKS4_PKT0_SA_ifPKiSC_iPKfiiiSE_SE_iiiii
; %bb.0:
	s_waitcnt vmcnt(0) expcnt(0) lgkmcnt(0)
	scratch_store_dword off, v40, s32 offset:188 ; 4-byte Folded Spill
	scratch_store_dword off, v41, s32 offset:184 ; 4-byte Folded Spill
	scratch_store_dword off, v42, s32 offset:180 ; 4-byte Folded Spill
	scratch_store_dword off, v43, s32 offset:176 ; 4-byte Folded Spill
	scratch_store_dword off, v44, s32 offset:172 ; 4-byte Folded Spill
	scratch_store_dword off, v45, s32 offset:168 ; 4-byte Folded Spill
	scratch_store_dword off, v46, s32 offset:164 ; 4-byte Folded Spill
	scratch_store_dword off, v47, s32 offset:160 ; 4-byte Folded Spill
	scratch_store_dword off, v56, s32 offset:156 ; 4-byte Folded Spill
	scratch_store_dword off, v57, s32 offset:152 ; 4-byte Folded Spill
	scratch_store_dword off, v58, s32 offset:148 ; 4-byte Folded Spill
	scratch_store_dword off, v59, s32 offset:144 ; 4-byte Folded Spill
	scratch_store_dword off, v60, s32 offset:140 ; 4-byte Folded Spill
	scratch_store_dword off, v61, s32 offset:136 ; 4-byte Folded Spill
	scratch_store_dword off, v62, s32 offset:132 ; 4-byte Folded Spill
	scratch_store_dword off, v63, s32 offset:128 ; 4-byte Folded Spill
	scratch_store_dword off, a32, s32 offset:124 ; 4-byte Folded Spill
	scratch_store_dword off, a33, s32 offset:120 ; 4-byte Folded Spill
	scratch_store_dword off, a34, s32 offset:116 ; 4-byte Folded Spill
	scratch_store_dword off, a35, s32 offset:112 ; 4-byte Folded Spill
	scratch_store_dword off, a36, s32 offset:108 ; 4-byte Folded Spill
	scratch_store_dword off, a37, s32 offset:104 ; 4-byte Folded Spill
	scratch_store_dword off, a38, s32 offset:100 ; 4-byte Folded Spill
	scratch_store_dword off, a39, s32 offset:96 ; 4-byte Folded Spill
	scratch_store_dword off, a40, s32 offset:92 ; 4-byte Folded Spill
	scratch_store_dword off, a41, s32 offset:88 ; 4-byte Folded Spill
	scratch_store_dword off, a42, s32 offset:84 ; 4-byte Folded Spill
	scratch_store_dword off, a43, s32 offset:80 ; 4-byte Folded Spill
	scratch_store_dword off, a44, s32 offset:76 ; 4-byte Folded Spill
	scratch_store_dword off, a45, s32 offset:72 ; 4-byte Folded Spill
	scratch_store_dword off, a46, s32 offset:68 ; 4-byte Folded Spill
	scratch_store_dword off, a47, s32 offset:64 ; 4-byte Folded Spill
	scratch_store_dword off, a48, s32 offset:60 ; 4-byte Folded Spill
	scratch_store_dword off, a49, s32 offset:56 ; 4-byte Folded Spill
	scratch_store_dword off, a50, s32 offset:52 ; 4-byte Folded Spill
	scratch_store_dword off, a51, s32 offset:48 ; 4-byte Folded Spill
	scratch_store_dword off, a52, s32 offset:44 ; 4-byte Folded Spill
	scratch_store_dword off, a53, s32 offset:40 ; 4-byte Folded Spill
	scratch_store_dword off, a54, s32 offset:36 ; 4-byte Folded Spill
	scratch_store_dword off, a55, s32 offset:32 ; 4-byte Folded Spill
	scratch_store_dword off, a56, s32 offset:28 ; 4-byte Folded Spill
	scratch_store_dword off, a57, s32 offset:24 ; 4-byte Folded Spill
	scratch_store_dword off, a58, s32 offset:20 ; 4-byte Folded Spill
	scratch_store_dword off, a59, s32 offset:16 ; 4-byte Folded Spill
	scratch_store_dword off, a60, s32 offset:12 ; 4-byte Folded Spill
	scratch_store_dword off, a61, s32 offset:8 ; 4-byte Folded Spill
	scratch_store_dword off, a62, s32 offset:4 ; 4-byte Folded Spill
	scratch_store_dword off, a63, s32       ; 4-byte Folded Spill
	s_mov_b32 s10, s13
	s_ashr_i32 s11, s13, 31
	scratch_store_dwordx2 off, v[22:23], s32 offset:248 ; 8-byte Folded Spill
	scratch_store_dwordx2 off, v[20:21], s32 offset:256 ; 8-byte Folded Spill
	;; [unrolled: 1-line block ×3, first 2 shown]
	scratch_store_dword off, v9, s32 offset:280 ; 4-byte Folded Spill
	scratch_store_dwordx2 off, v[0:1], s32 offset:300 ; 8-byte Folded Spill
	v_lshl_add_u64 v[0:1], s[10:11], 2, v[12:13]
	flat_load_dword v0, v[0:1]
	v_mov_b32_e32 v23, v7
	v_mov_b32_e32 v22, v6
	;; [unrolled: 1-line block ×4, first 2 shown]
	s_mov_b32 s16, s15
	s_waitcnt vmcnt(0) lgkmcnt(0)
	scratch_store_dword off, v0, s32 offset:192 ; 4-byte Folded Spill
	v_sub_u32_e32 v0, 0, v8
	v_max_i32_e32 v0, v8, v0
	v_cvt_f32_u32_e32 v1, v0
	s_load_dword s0, s[8:9], 0x10
	s_load_dword s2, s[8:9], 0x0
	v_sub_u32_e32 v7, 0, v0
	v_rcp_iflag_f32_e32 v1, v1
	s_waitcnt lgkmcnt(0)
	s_lshr_b32 s0, s0, 16
	s_cmp_lg_u32 s0, 0
	s_cselect_b64 s[0:1], -1, 0
	v_mul_f32_e32 v1, 0x4f7ffffe, v1
	v_cvt_u32_f32_e32 v1, v1
	s_cmp_lg_u64 s[0:1], 0
	s_addc_u32 s11, s2, 0
	s_abs_i32 s0, s11
	v_mul_lo_u32 v7, v7, v1
	v_mul_hi_u32 v7, v1, v7
	v_add_u32_e32 v1, v1, v7
	v_mul_hi_u32 v1, s0, v1
	v_mul_lo_u32 v7, v1, v0
	v_sub_u32_e32 v7, s0, v7
	v_add_u32_e32 v9, 1, v1
	v_cmp_ge_u32_e32 vcc, v7, v0
	v_xor_b32_e32 v6, s11, v8
	v_ashrrev_i32_e32 v6, 31, v6
	v_cndmask_b32_e32 v1, v1, v9, vcc
	v_sub_u32_e32 v9, v7, v0
	v_cndmask_b32_e32 v7, v7, v9, vcc
	v_add_u32_e32 v9, 1, v1
	v_cmp_ge_u32_e32 vcc, v7, v0
	s_abs_i32 s2, s12
	s_nop 0
	v_cndmask_b32_e32 v0, v1, v9, vcc
	v_xor_b32_e32 v0, v0, v6
	v_sub_u32_e32 v0, v0, v6
	v_sub_u32_e32 v1, 0, v0
	v_max_i32_e32 v1, v0, v1
	v_cvt_f32_u32_e32 v6, v1
	v_sub_u32_e32 v7, 0, v1
	v_cmp_ne_u64_e32 vcc, 0, v[32:33]
	v_rcp_iflag_f32_e32 v6, v6
	s_nop 0
	v_mul_f32_e32 v6, 0x4f7ffffe, v6
	v_cvt_u32_f32_e32 v6, v6
	v_mul_lo_u32 v7, v7, v6
	v_mul_hi_u32 v7, v6, v7
	v_add_u32_e32 v6, v6, v7
	v_mad_u64_u32 v[12:13], s[0:1], s2, v6, 0
	v_mov_b32_e32 v6, 0
	scratch_store_dword off, v6, s32 offset:276 ; 4-byte Folded Spill
	s_and_saveexec_b64 s[0:1], vcc
	s_cbranch_execz .LBB334_2
; %bb.1:
	s_ashr_i32 s13, s12, 31
	v_lshl_add_u64 v[6:7], s[12:13], 2, v[32:33]
	flat_load_dword v6, v[6:7]
	s_waitcnt vmcnt(0) lgkmcnt(0)
	scratch_store_dword off, v6, s32 offset:276 ; 4-byte Folded Spill
.LBB334_2:
	s_or_b64 exec, exec, s[0:1]
	v_and_b32_e32 v7, 0x3ff, v31
	s_ashr_i32 s3, s12, 31
	v_ashrrev_i32_e32 v6, 31, v0
	v_and_b32_e32 v0, 1, v7
	s_lshl_b32 s18, s12, 7
	v_cmp_gt_u32_e32 vcc, 32, v7
	v_lshlrev_b32_e32 v30, 3, v7
	scratch_store_dword off, v7, s32 offset:292 ; 4-byte Folded Spill
	s_and_saveexec_b64 s[0:1], vcc
	s_cbranch_execz .LBB334_4
; %bb.3:
	v_mul_lo_u32 v16, s10, v17
	v_ashrrev_i32_e32 v17, 31, v16
	v_lshl_add_u64 v[2:3], v[16:17], 1, v[2:3]
	s_ashr_i32 s19, s18, 31
	v_lshl_add_u64 v[2:3], s[18:19], 1, v[2:3]
	v_mov_b32_e32 v31, 0
	v_lshl_add_u64 v[2:3], v[2:3], 0, v[30:31]
	flat_load_dwordx2 v[2:3], v[2:3]
	s_nop 0
	scratch_load_dword v7, off, s32 offset:292 ; 4-byte Folded Reload
	s_waitcnt vmcnt(0)
	v_lshlrev_b32_e32 v7, 2, v7
	v_and_b32_e32 v7, 0xff8, v7
	v_lshl_add_u32 v7, v0, 7, v7
	s_waitcnt lgkmcnt(0)
	ds_write_b64 v7, v[2:3]
.LBB334_4:
	s_or_b64 exec, exec, s[0:1]
	v_mul_lo_u32 v3, v13, v1
	v_sub_u32_e32 v3, s2, v3
	v_xor_b32_e32 v2, s3, v6
	v_add_u32_e32 v6, 1, v13
	v_cmp_ge_u32_e32 vcc, v3, v1
	v_sub_u32_e32 v7, v3, v1
	s_waitcnt lgkmcnt(0)
	v_cndmask_b32_e32 v6, v13, v6, vcc
	v_cndmask_b32_e32 v3, v3, v7, vcc
	v_add_u32_e32 v7, 1, v6
	v_cmp_ge_u32_e32 vcc, v3, v1
	v_sub_u32_e32 v3, 0, v27
	s_barrier
	v_cndmask_b32_e32 v1, v6, v7, vcc
	v_max_i32_e32 v7, v27, v3
	v_cvt_f32_u32_e32 v3, v7
	v_xor_b32_e32 v1, v1, v2
	v_sub_u32_e32 v2, v1, v2
	v_rcp_iflag_f32_e32 v1, v3
	scratch_load_dword v3, off, s32 offset:192 ; 4-byte Folded Reload
	v_cmp_gt_i32_e32 vcc, 0, v28
	scratch_store_dword off, v7, s32 offset:200 ; 4-byte Folded Spill
	v_mul_f32_e32 v1, 0x4f7ffffe, v1
	v_cvt_u32_f32_e32 v6, v1
	v_sub_u32_e32 v7, 0, v7
	v_mul_lo_u32 v7, v7, v6
	v_mul_hi_u32 v7, v6, v7
	v_add_u32_e32 v6, v6, v7
	scratch_store_dword off, v6, s32 offset:216 ; 4-byte Folded Spill
	s_waitcnt vmcnt(2)
	v_add_u32_e32 v3, -1, v3
	v_sub_u32_e32 v1, 0, v3
	v_max_i32_e32 v1, v3, v1
	v_mad_u64_u32 v[12:13], s[0:1], v1, v6, 0
                                        ; implicit-def: $vgpr6
	scratch_store_dwordx2 off, v[6:7], s32 offset:208 ; 8-byte Folded Spill
	s_and_saveexec_b64 s[0:1], vcc
	s_xor_b64 s[0:1], exec, s[0:1]
	s_cbranch_execz .LBB334_6
; %bb.5:
	v_mad_u64_u32 v[6:7], s[2:3], v24, v8, v[2:3]
	v_mul_lo_u32 v6, v6, v28
	v_sub_u32_e32 v6, 1, v6
	scratch_store_dwordx2 off, v[6:7], s32 offset:208 ; 8-byte Folded Spill
                                        ; implicit-def: $vgpr24
                                        ; implicit-def: $vgpr28
.LBB334_6:
	s_or_saveexec_b64 s[0:1], s[0:1]
	v_ashrrev_i32_e32 v3, 31, v3
	v_ashrrev_i32_e32 v6, 31, v27
	scratch_store_dword off, v6, s32 offset:204 ; 4-byte Folded Spill
	s_xor_b64 exec, exec, s[0:1]
	s_cbranch_execz .LBB334_8
; %bb.7:
	v_mul_lo_u32 v6, s11, v24
	v_add_u32_e32 v6, s12, v6
	v_mad_u64_u32 v[6:7], s[2:3], v6, v28, 1
	scratch_store_dwordx2 off, v[6:7], s32 offset:208 ; 8-byte Folded Spill
.LBB334_8:
	s_or_b64 exec, exec, s[0:1]
	s_load_dword s19, s[8:9], 0x14
	s_load_dword s15, s[8:9], 0x8
	scratch_load_dword v6, off, s32 offset:204 ; 4-byte Folded Reload
	scratch_load_dword v8, off, s32 offset:200 ; 4-byte Folded Reload
	v_mul_lo_u32 v28, s10, v14
	v_mul_lo_u32 v32, v2, v19
	v_ashrrev_i32_e32 v29, 31, v28
	v_ashrrev_i32_e32 v33, 31, v32
	v_sub_u32_e32 v27, 0, v26
	scratch_load_dword v16, off, s32 offset:292 ; 4-byte Folded Reload
	s_waitcnt vmcnt(2)
	v_xor_b32_e32 v3, v3, v6
	s_waitcnt vmcnt(1)
	v_mul_lo_u32 v6, v13, v8
	v_sub_u32_e32 v1, v1, v6
	v_add_u32_e32 v6, 1, v13
	v_cmp_ge_u32_e32 vcc, v1, v8
	v_sub_u32_e32 v7, v1, v8
	s_waitcnt vmcnt(0)
	v_lshrrev_b32_e32 v31, 4, v16
	v_cndmask_b32_e32 v6, v13, v6, vcc
	v_cndmask_b32_e32 v1, v1, v7, vcc
	v_add_u32_e32 v7, 1, v6
	v_cmp_ge_u32_e32 vcc, v1, v8
	s_nop 1
	v_cndmask_b32_e32 v1, v6, v7, vcc
	v_xor_b32_e32 v1, v1, v3
	v_sub_u32_e32 v1, v1, v3
	scratch_load_dword v3, off, s32 offset:192 ; 4-byte Folded Reload
	v_sub_u32_e32 v1, v1, v25
	scratch_store_dword off, v1, s32 offset:220 ; 4-byte Folded Spill
	s_waitcnt vmcnt(1)
	v_add_u32_e32 v3, 31, v3
	v_ashrrev_i32_e32 v6, 31, v3
	v_lshrrev_b32_e32 v6, 27, v6
	v_add_u32_e32 v3, v3, v6
	v_ashrrev_i32_e32 v3, 5, v3
	v_lshrrev_b32_e32 v6, 6, v16
	scratch_store_dword off, v3, s32 offset:196 ; 4-byte Folded Spill
	v_cmp_lt_i32_e64 s[0:1], v6, v3
	v_mov_b32_e32 v3, 0xff7fffff
	v_accvgpr_write_b32 a12, v6
	v_lshlrev_b32_e32 v1, 5, v6
	v_mbcnt_lo_u32_b32 v6, -1, 0
	scratch_store_dword off, v1, s32 offset:296 ; 4-byte Folded Spill
	s_and_saveexec_b64 s[8:9], s[0:1]
	s_cbranch_execz .LBB334_274
; %bb.9:
	v_bfe_u32 v8, v16, 1, 5
	scratch_store_dwordx2 off, v[30:31], s32 offset:340 ; 8-byte Folded Spill
	scratch_store_dwordx2 off, v[22:23], s32 offset:332 ; 8-byte Folded Spill
	scratch_store_dword off, v26, s32 offset:348 ; 4-byte Folded Spill
	scratch_store_dword off, v27, s32 offset:308 ; 4-byte Folded Spill
	v_lshl_add_u64 v[2:3], v[4:5], 0, v[32:33]
	v_lshlrev_b32_e32 v24, 4, v8
	v_mov_b32_e32 v25, 0
	v_cmp_eq_u32_e32 vcc, 0, v0
	v_lshl_add_u64 v[2:3], v[2:3], 0, v[24:25]
	v_lshlrev_b32_e32 v24, 2, v0
	v_lshlrev_b32_e32 v16, 7, v0
	scratch_load_dword v0, off, s32 offset:276 ; 4-byte Folded Reload
	v_max_i32_e32 v7, v26, v27
	v_cvt_f32_u32_e32 v1, v7
	scratch_store_dwordx2 off, v[32:33], s32 offset:312 ; 8-byte Folded Spill
	scratch_store_dwordx2 off, v[2:3], s32 offset:268 ; 8-byte Folded Spill
	scratch_store_dword off, v7, s32 offset:232 ; 4-byte Folded Spill
	v_rcp_iflag_f32_e32 v1, v1
	s_ashr_i32 s17, s16, 31
	v_accvgpr_read_b32 v60, a12
	s_lshl_b64 s[4:5], s[16:17], 2
	v_mul_f32_e32 v1, 0x4f7ffffe, v1
	v_cvt_u32_f32_e32 v1, v1
	s_getpc_b64 s[6:7]
	s_add_u32 s6, s6, llvm.amdgcn.dynlds.offset.table@rel32@lo+4
	s_addc_u32 s7, s7, llvm.amdgcn.dynlds.offset.table@rel32@hi+12
	s_add_u32 s12, s4, s6
	s_addc_u32 s13, s5, s7
	v_lshlrev_b32_e32 v58, 5, v60
	s_mov_b64 s[20:21], 0
	s_mov_b32 s17, 0x7f800000
	s_movk_i32 s24, 0x7fff
	s_waitcnt vmcnt(3)
	v_cmp_neq_f32_e64 s[2:3], 0, v0
	v_sub_u32_e32 v0, 0, v7
	v_mul_lo_u32 v0, v0, v1
	v_mul_hi_u32 v0, v1, v0
	v_add_u32_e32 v0, v1, v0
	scratch_store_dwordx2 off, v[0:1], s32 offset:236 ; 8-byte Folded Spill
	scratch_load_dword v0, off, s32 offset:192 ; 4-byte Folded Reload
	v_mov_b32_e32 v1, v25
	s_waitcnt vmcnt(0)
	v_sub_u32_e32 v0, v8, v0
	v_add_u32_e32 v0, 1, v0
	scratch_store_dword off, v0, s32 offset:284 ; 4-byte Folded Spill
	scratch_store_dword off, v8, s32 offset:288 ; 4-byte Folded Spill
	v_lshlrev_b32_e32 v0, 2, v8
	v_lshl_or_b32 v62, v60, 7, v0
	v_and_b32_e32 v0, 60, v31
	v_lshl_add_u64 v[0:1], v[28:29], 2, v[0:1]
	v_lshl_add_u64 v[44:45], v[10:11], 0, v[0:1]
	v_mbcnt_hi_u32_b32 v0, -1, v6
	scratch_store_dword off, v0, s32 offset:264 ; 4-byte Folded Spill
	v_mov_b32_e32 v0, 0xff7fffff
	scratch_store_dword off, v31, s32 offset:320 ; 4-byte Folded Spill
	scratch_store_dwordx2 off, v[28:29], s32 offset:324 ; 8-byte Folded Spill
	scratch_store_dwordx2 off, v[10:11], s32 offset:352 ; 8-byte Folded Spill
	scratch_store_dword off, v0, s32 offset:244 ; 4-byte Folded Spill
	s_branch .LBB334_12
.LBB334_10:                             ;   in Loop: Header=BB334_12 Depth=1
	s_or_b64 exec, exec, s[22:23]
.LBB334_11:                             ;   in Loop: Header=BB334_12 Depth=1
	s_or_b64 exec, exec, s[6:7]
	s_waitcnt lgkmcnt(0)
	scratch_load_dword v0, off, s32 offset:196 ; 4-byte Folded Reload
	v_add_u32_e32 v60, 2, v60
	v_add_u32_e32 v58, 64, v58
	;; [unrolled: 1-line block ×3, first 2 shown]
	v_lshl_add_u64 v[44:45], v[44:45], 0, 8
	s_waitcnt vmcnt(0)
	v_cmp_ge_i32_e64 s[4:5], v60, v0
	s_or_b64 s[20:21], s[4:5], s[20:21]
	s_andn2_b64 exec, exec, s[20:21]
	s_cbranch_execz .LBB334_273
.LBB334_12:                             ; =>This Inner Loop Header: Depth=1
	scratch_load_dword v0, off, s32 offset:216 ; 4-byte Folded Reload
	scratch_load_dword v3, off, s32 offset:200 ; 4-byte Folded Reload
	scratch_load_dwordx2 v[4:5], off, s32 offset:236 ; 8-byte Folded Reload
	s_waitcnt vmcnt(2)
	v_mul_hi_u32 v0, v58, v0
	s_waitcnt vmcnt(1)
	v_mul_lo_u32 v1, v0, v3
	v_sub_u32_e32 v1, v58, v1
	v_add_u32_e32 v2, 1, v0
	v_cmp_ge_u32_e64 s[4:5], v1, v3
	s_nop 1
	v_cndmask_b32_e64 v0, v0, v2, s[4:5]
	v_sub_u32_e32 v2, v1, v3
	v_cndmask_b32_e64 v1, v1, v2, s[4:5]
	v_cmp_ge_u32_e64 s[4:5], v1, v3
	scratch_load_dword v1, off, s32 offset:204 ; 4-byte Folded Reload
	v_add_u32_e32 v2, 1, v0
	v_cndmask_b32_e64 v0, v0, v2, s[4:5]
	scratch_load_dwordx2 v[2:3], off, s32 offset:208 ; 8-byte Folded Reload
	s_waitcnt vmcnt(1)
	v_xor_b32_e32 v0, v0, v1
	v_sub_u32_e32 v0, v0, v1
	s_waitcnt vmcnt(0)
	v_add_u32_e32 v1, v0, v2
	v_sub_u32_e32 v3, 0, v1
	v_ashrrev_i32_e32 v2, 31, v1
	v_max_i32_e32 v1, v1, v3
	v_mul_hi_u32 v3, v1, v4
	scratch_load_dword v4, off, s32 offset:232 ; 4-byte Folded Reload
	s_waitcnt vmcnt(0)
	v_mul_lo_u32 v3, v3, v4
	v_sub_u32_e32 v1, v1, v3
	v_sub_u32_e32 v3, v1, v4
	v_cmp_ge_u32_e64 s[4:5], v1, v4
	s_nop 1
	v_cndmask_b32_e64 v1, v1, v3, s[4:5]
	v_sub_u32_e32 v3, v1, v4
	v_cmp_ge_u32_e64 s[4:5], v1, v4
	s_nop 1
	v_cndmask_b32_e64 v1, v1, v3, s[4:5]
	v_xor_b32_e32 v1, v1, v2
	v_sub_u32_e32 v1, v1, v2
	v_cmp_ne_u32_e64 s[4:5], 0, v1
	scratch_load_dword v1, off, s32 offset:220 ; 4-byte Folded Reload
	s_waitcnt vmcnt(0)
	v_cmp_le_i32_e64 s[6:7], v0, v1
	s_and_b64 s[4:5], s[4:5], s[6:7]
	s_and_b64 s[22:23], vcc, s[4:5]
	s_and_saveexec_b64 s[6:7], s[22:23]
	s_cbranch_execz .LBB334_14
; %bb.13:                               ;   in Loop: Header=BB334_12 Depth=1
	s_load_dword s22, s[12:13], 0x0
	v_mov_b32_e32 v1, 0xff7fffff
	s_waitcnt lgkmcnt(0)
	v_add_u32_e32 v0, s22, v62
	ds_write_b32 v0, v1
.LBB334_14:                             ;   in Loop: Header=BB334_12 Depth=1
	s_or_b64 exec, exec, s[6:7]
	s_xor_b64 s[4:5], s[4:5], -1
	s_and_saveexec_b64 s[6:7], s[4:5]
	s_cbranch_execz .LBB334_11
; %bb.15:                               ;   in Loop: Header=BB334_12 Depth=1
	flat_load_dword v0, v[44:45]
	scratch_load_dwordx2 v[2:3], off, s32 offset:224 ; 8-byte Folded Reload
	scratch_load_dwordx2 v[4:5], off, s32 offset:268 ; 8-byte Folded Reload
                                        ; implicit-def: $agpr41
	s_waitcnt vmcnt(0) lgkmcnt(0)
	v_mad_i64_i32 v[0:1], s[4:5], v0, v2, v[4:5]
	v_lshl_add_u64 v[46:47], v[0:1], 0, v[24:25]
	flat_load_dword v0, v[46:47]
	scratch_load_dwordx2 v[2:3], off, s32 offset:256 ; 8-byte Folded Reload
	s_waitcnt vmcnt(0) lgkmcnt(0)
	v_and_b32_e32 v1, 0xff, v0
	flat_load_dword v6, v[2:3]
	ds_read_b128 v[48:51], v16
	ds_read_b128 v[36:39], v16 offset:16
	ds_read_b128 v[32:35], v16 offset:32
	;; [unrolled: 1-line block ×5, first 2 shown]
	v_cvt_f32_fp8_sdwa v1, v1 src0_sel:BYTE_0
	ds_read_b32 a39, v16 offset:96
	ds_read_u16 a40, v16 offset:100
	s_waitcnt vmcnt(0) lgkmcnt(0)
	v_mul_f32_e32 v1, v6, v1
	v_and_b32_e32 v7, 0x7f800000, v1
	v_cmp_ne_u32_e64 s[4:5], s17, v7
	s_and_saveexec_b64 s[22:23], s[4:5]
	s_xor_b64 s[4:5], exec, s[22:23]
; %bb.16:                               ;   in Loop: Header=BB334_12 Depth=1
	v_bfe_u32 v7, v1, 16, 1
	v_add3_u32 v1, v1, v7, s24
	v_accvgpr_write_b32 a41, v1
                                        ; implicit-def: $vgpr1
; %bb.17:                               ;   in Loop: Header=BB334_12 Depth=1
	s_andn2_saveexec_b64 s[22:23], s[4:5]
; %bb.18:                               ;   in Loop: Header=BB334_12 Depth=1
	v_or_b32_e32 v7, 0x10000, v1
	v_cmp_eq_u32_sdwa s[4:5], v1, v25 src0_sel:WORD_0 src1_sel:DWORD
	s_nop 1
	v_cndmask_b32_e64 v1, v7, v1, s[4:5]
	v_accvgpr_write_b32 a41, v1
; %bb.19:                               ;   in Loop: Header=BB334_12 Depth=1
	s_or_b64 exec, exec, s[22:23]
	v_bfe_u32 v1, v0, 8, 8
	v_cvt_f32_fp8_sdwa v1, v1 src0_sel:BYTE_0
                                        ; implicit-def: $agpr46
	s_nop 0
	v_mul_f32_e32 v1, v6, v1
	v_and_b32_e32 v7, 0x7f800000, v1
	v_cmp_ne_u32_e64 s[4:5], s17, v7
	s_and_saveexec_b64 s[22:23], s[4:5]
	s_xor_b64 s[4:5], exec, s[22:23]
; %bb.20:                               ;   in Loop: Header=BB334_12 Depth=1
	v_bfe_u32 v7, v1, 16, 1
	v_add3_u32 v1, v1, v7, s24
	v_accvgpr_write_b32 a46, v1
                                        ; implicit-def: $vgpr1
; %bb.21:                               ;   in Loop: Header=BB334_12 Depth=1
	s_andn2_saveexec_b64 s[22:23], s[4:5]
; %bb.22:                               ;   in Loop: Header=BB334_12 Depth=1
	v_or_b32_e32 v7, 0x10000, v1
	v_cmp_eq_u32_sdwa s[4:5], v1, v25 src0_sel:WORD_0 src1_sel:DWORD
	s_nop 1
	v_cndmask_b32_e64 v1, v7, v1, s[4:5]
	v_accvgpr_write_b32 a46, v1
; %bb.23:                               ;   in Loop: Header=BB334_12 Depth=1
	s_or_b64 exec, exec, s[22:23]
	v_bfe_u32 v1, v0, 16, 8
	v_cvt_f32_fp8_sdwa v1, v1 src0_sel:BYTE_0
                                        ; implicit-def: $agpr47
	s_nop 0
	v_mul_f32_e32 v1, v6, v1
	v_and_b32_e32 v7, 0x7f800000, v1
	v_cmp_ne_u32_e64 s[4:5], s17, v7
	s_and_saveexec_b64 s[22:23], s[4:5]
	s_xor_b64 s[4:5], exec, s[22:23]
; %bb.24:                               ;   in Loop: Header=BB334_12 Depth=1
	v_bfe_u32 v7, v1, 16, 1
	v_add3_u32 v1, v1, v7, s24
	v_accvgpr_write_b32 a47, v1
                                        ; implicit-def: $vgpr1
; %bb.25:                               ;   in Loop: Header=BB334_12 Depth=1
	s_andn2_saveexec_b64 s[22:23], s[4:5]
; %bb.26:                               ;   in Loop: Header=BB334_12 Depth=1
	v_or_b32_e32 v7, 0x10000, v1
	v_cmp_eq_u32_sdwa s[4:5], v1, v25 src0_sel:WORD_0 src1_sel:DWORD
	s_nop 1
	v_cndmask_b32_e64 v1, v7, v1, s[4:5]
	v_accvgpr_write_b32 a47, v1
; %bb.27:                               ;   in Loop: Header=BB334_12 Depth=1
	s_or_b64 exec, exec, s[22:23]
	v_lshrrev_b32_e32 v0, 24, v0
	v_cvt_f32_fp8_sdwa v0, v0 src0_sel:BYTE_0
                                        ; implicit-def: $agpr48
	s_nop 0
	v_mul_f32_e32 v0, v6, v0
	v_and_b32_e32 v1, 0x7f800000, v0
	v_cmp_ne_u32_e64 s[4:5], s17, v1
	s_and_saveexec_b64 s[22:23], s[4:5]
	s_xor_b64 s[4:5], exec, s[22:23]
; %bb.28:                               ;   in Loop: Header=BB334_12 Depth=1
	v_bfe_u32 v1, v0, 16, 1
	v_add3_u32 v0, v0, v1, s24
	v_accvgpr_write_b32 a48, v0
                                        ; implicit-def: $vgpr0
; %bb.29:                               ;   in Loop: Header=BB334_12 Depth=1
	s_andn2_saveexec_b64 s[22:23], s[4:5]
; %bb.30:                               ;   in Loop: Header=BB334_12 Depth=1
	v_or_b32_e32 v1, 0x10000, v0
	v_cmp_eq_u32_sdwa s[4:5], v0, v25 src0_sel:WORD_0 src1_sel:DWORD
	s_nop 1
	v_cndmask_b32_e64 v0, v1, v0, s[4:5]
	v_accvgpr_write_b32 a48, v0
; %bb.31:                               ;   in Loop: Header=BB334_12 Depth=1
	s_or_b64 exec, exec, s[22:23]
	flat_load_dword v0, v[46:47] offset:8
                                        ; implicit-def: $agpr49
	s_waitcnt vmcnt(0) lgkmcnt(0)
	v_and_b32_e32 v1, 0xff, v0
	v_cvt_f32_fp8_sdwa v1, v1 src0_sel:BYTE_0
	s_nop 0
	v_mul_f32_e32 v1, v6, v1
	v_and_b32_e32 v7, 0x7f800000, v1
	v_cmp_ne_u32_e64 s[4:5], s17, v7
	s_and_saveexec_b64 s[22:23], s[4:5]
	s_xor_b64 s[4:5], exec, s[22:23]
; %bb.32:                               ;   in Loop: Header=BB334_12 Depth=1
	v_bfe_u32 v7, v1, 16, 1
	v_add3_u32 v1, v1, v7, s24
	v_accvgpr_write_b32 a49, v1
                                        ; implicit-def: $vgpr1
; %bb.33:                               ;   in Loop: Header=BB334_12 Depth=1
	s_andn2_saveexec_b64 s[22:23], s[4:5]
; %bb.34:                               ;   in Loop: Header=BB334_12 Depth=1
	v_or_b32_e32 v7, 0x10000, v1
	v_cmp_eq_u32_sdwa s[4:5], v1, v25 src0_sel:WORD_0 src1_sel:DWORD
	s_nop 1
	v_cndmask_b32_e64 v1, v7, v1, s[4:5]
	v_accvgpr_write_b32 a49, v1
; %bb.35:                               ;   in Loop: Header=BB334_12 Depth=1
	s_or_b64 exec, exec, s[22:23]
	v_bfe_u32 v1, v0, 8, 8
	v_cvt_f32_fp8_sdwa v1, v1 src0_sel:BYTE_0
                                        ; implicit-def: $agpr50
	s_nop 0
	v_mul_f32_e32 v1, v6, v1
	v_and_b32_e32 v7, 0x7f800000, v1
	v_cmp_ne_u32_e64 s[4:5], s17, v7
	s_and_saveexec_b64 s[22:23], s[4:5]
	s_xor_b64 s[4:5], exec, s[22:23]
; %bb.36:                               ;   in Loop: Header=BB334_12 Depth=1
	v_bfe_u32 v7, v1, 16, 1
	v_add3_u32 v1, v1, v7, s24
	v_accvgpr_write_b32 a50, v1
                                        ; implicit-def: $vgpr1
; %bb.37:                               ;   in Loop: Header=BB334_12 Depth=1
	s_andn2_saveexec_b64 s[22:23], s[4:5]
; %bb.38:                               ;   in Loop: Header=BB334_12 Depth=1
	v_or_b32_e32 v7, 0x10000, v1
	v_cmp_eq_u32_sdwa s[4:5], v1, v25 src0_sel:WORD_0 src1_sel:DWORD
	s_nop 1
	v_cndmask_b32_e64 v1, v7, v1, s[4:5]
	v_accvgpr_write_b32 a50, v1
; %bb.39:                               ;   in Loop: Header=BB334_12 Depth=1
	s_or_b64 exec, exec, s[22:23]
	v_bfe_u32 v1, v0, 16, 8
	v_cvt_f32_fp8_sdwa v1, v1 src0_sel:BYTE_0
                                        ; implicit-def: $agpr51
	s_nop 0
	v_mul_f32_e32 v1, v6, v1
	v_and_b32_e32 v7, 0x7f800000, v1
	v_cmp_ne_u32_e64 s[4:5], s17, v7
	s_and_saveexec_b64 s[22:23], s[4:5]
	s_xor_b64 s[4:5], exec, s[22:23]
; %bb.40:                               ;   in Loop: Header=BB334_12 Depth=1
	v_bfe_u32 v7, v1, 16, 1
	v_add3_u32 v1, v1, v7, s24
	v_accvgpr_write_b32 a51, v1
                                        ; implicit-def: $vgpr1
; %bb.41:                               ;   in Loop: Header=BB334_12 Depth=1
	s_andn2_saveexec_b64 s[22:23], s[4:5]
; %bb.42:                               ;   in Loop: Header=BB334_12 Depth=1
	v_or_b32_e32 v7, 0x10000, v1
	v_cmp_eq_u32_sdwa s[4:5], v1, v25 src0_sel:WORD_0 src1_sel:DWORD
	s_nop 1
	v_cndmask_b32_e64 v1, v7, v1, s[4:5]
	v_accvgpr_write_b32 a51, v1
; %bb.43:                               ;   in Loop: Header=BB334_12 Depth=1
	s_or_b64 exec, exec, s[22:23]
	v_lshrrev_b32_e32 v0, 24, v0
	v_cvt_f32_fp8_sdwa v0, v0 src0_sel:BYTE_0
                                        ; implicit-def: $agpr52
	s_nop 0
	v_mul_f32_e32 v0, v6, v0
	v_and_b32_e32 v1, 0x7f800000, v0
	v_cmp_ne_u32_e64 s[4:5], s17, v1
	s_and_saveexec_b64 s[22:23], s[4:5]
	s_xor_b64 s[4:5], exec, s[22:23]
; %bb.44:                               ;   in Loop: Header=BB334_12 Depth=1
	v_bfe_u32 v1, v0, 16, 1
	v_add3_u32 v0, v0, v1, s24
	v_accvgpr_write_b32 a52, v0
                                        ; implicit-def: $vgpr0
; %bb.45:                               ;   in Loop: Header=BB334_12 Depth=1
	s_andn2_saveexec_b64 s[22:23], s[4:5]
; %bb.46:                               ;   in Loop: Header=BB334_12 Depth=1
	v_or_b32_e32 v1, 0x10000, v0
	v_cmp_eq_u32_sdwa s[4:5], v0, v25 src0_sel:WORD_0 src1_sel:DWORD
	s_nop 1
	v_cndmask_b32_e64 v0, v1, v0, s[4:5]
	v_accvgpr_write_b32 a52, v0
; %bb.47:                               ;   in Loop: Header=BB334_12 Depth=1
	s_or_b64 exec, exec, s[22:23]
	flat_load_dword v0, v[46:47] offset:512
                                        ; implicit-def: $agpr53
	s_waitcnt vmcnt(0) lgkmcnt(0)
	v_and_b32_e32 v1, 0xff, v0
	v_cvt_f32_fp8_sdwa v1, v1 src0_sel:BYTE_0
	s_nop 0
	v_mul_f32_e32 v1, v6, v1
	v_and_b32_e32 v7, 0x7f800000, v1
	v_cmp_ne_u32_e64 s[4:5], s17, v7
	s_and_saveexec_b64 s[22:23], s[4:5]
	s_xor_b64 s[4:5], exec, s[22:23]
; %bb.48:                               ;   in Loop: Header=BB334_12 Depth=1
	v_bfe_u32 v7, v1, 16, 1
	v_add3_u32 v1, v1, v7, s24
	v_accvgpr_write_b32 a53, v1
                                        ; implicit-def: $vgpr1
; %bb.49:                               ;   in Loop: Header=BB334_12 Depth=1
	s_andn2_saveexec_b64 s[22:23], s[4:5]
; %bb.50:                               ;   in Loop: Header=BB334_12 Depth=1
	v_or_b32_e32 v7, 0x10000, v1
	v_cmp_eq_u32_sdwa s[4:5], v1, v25 src0_sel:WORD_0 src1_sel:DWORD
	s_nop 1
	v_cndmask_b32_e64 v1, v7, v1, s[4:5]
	v_accvgpr_write_b32 a53, v1
; %bb.51:                               ;   in Loop: Header=BB334_12 Depth=1
	s_or_b64 exec, exec, s[22:23]
	v_bfe_u32 v1, v0, 8, 8
	v_cvt_f32_fp8_sdwa v1, v1 src0_sel:BYTE_0
                                        ; implicit-def: $agpr54
	s_nop 0
	v_mul_f32_e32 v1, v6, v1
	v_and_b32_e32 v7, 0x7f800000, v1
	v_cmp_ne_u32_e64 s[4:5], s17, v7
	s_and_saveexec_b64 s[22:23], s[4:5]
	s_xor_b64 s[4:5], exec, s[22:23]
; %bb.52:                               ;   in Loop: Header=BB334_12 Depth=1
	v_bfe_u32 v7, v1, 16, 1
	v_add3_u32 v1, v1, v7, s24
	v_accvgpr_write_b32 a54, v1
                                        ; implicit-def: $vgpr1
; %bb.53:                               ;   in Loop: Header=BB334_12 Depth=1
	s_andn2_saveexec_b64 s[22:23], s[4:5]
; %bb.54:                               ;   in Loop: Header=BB334_12 Depth=1
	v_or_b32_e32 v7, 0x10000, v1
	v_cmp_eq_u32_sdwa s[4:5], v1, v25 src0_sel:WORD_0 src1_sel:DWORD
	s_nop 1
	v_cndmask_b32_e64 v1, v7, v1, s[4:5]
	v_accvgpr_write_b32 a54, v1
; %bb.55:                               ;   in Loop: Header=BB334_12 Depth=1
	s_or_b64 exec, exec, s[22:23]
	v_bfe_u32 v1, v0, 16, 8
	v_cvt_f32_fp8_sdwa v1, v1 src0_sel:BYTE_0
                                        ; implicit-def: $agpr55
	s_nop 0
	v_mul_f32_e32 v1, v6, v1
	v_and_b32_e32 v7, 0x7f800000, v1
	v_cmp_ne_u32_e64 s[4:5], s17, v7
	s_and_saveexec_b64 s[22:23], s[4:5]
	s_xor_b64 s[4:5], exec, s[22:23]
; %bb.56:                               ;   in Loop: Header=BB334_12 Depth=1
	v_bfe_u32 v7, v1, 16, 1
	v_add3_u32 v1, v1, v7, s24
	v_accvgpr_write_b32 a55, v1
                                        ; implicit-def: $vgpr1
; %bb.57:                               ;   in Loop: Header=BB334_12 Depth=1
	s_andn2_saveexec_b64 s[22:23], s[4:5]
; %bb.58:                               ;   in Loop: Header=BB334_12 Depth=1
	v_or_b32_e32 v7, 0x10000, v1
	v_cmp_eq_u32_sdwa s[4:5], v1, v25 src0_sel:WORD_0 src1_sel:DWORD
	s_nop 1
	v_cndmask_b32_e64 v1, v7, v1, s[4:5]
	v_accvgpr_write_b32 a55, v1
; %bb.59:                               ;   in Loop: Header=BB334_12 Depth=1
	s_or_b64 exec, exec, s[22:23]
	v_lshrrev_b32_e32 v0, 24, v0
	v_cvt_f32_fp8_sdwa v0, v0 src0_sel:BYTE_0
                                        ; implicit-def: $agpr56
	s_nop 0
	v_mul_f32_e32 v0, v6, v0
	v_and_b32_e32 v1, 0x7f800000, v0
	v_cmp_ne_u32_e64 s[4:5], s17, v1
	s_and_saveexec_b64 s[22:23], s[4:5]
	s_xor_b64 s[4:5], exec, s[22:23]
; %bb.60:                               ;   in Loop: Header=BB334_12 Depth=1
	v_bfe_u32 v1, v0, 16, 1
	v_add3_u32 v0, v0, v1, s24
	v_accvgpr_write_b32 a56, v0
                                        ; implicit-def: $vgpr0
; %bb.61:                               ;   in Loop: Header=BB334_12 Depth=1
	s_andn2_saveexec_b64 s[22:23], s[4:5]
; %bb.62:                               ;   in Loop: Header=BB334_12 Depth=1
	v_or_b32_e32 v1, 0x10000, v0
	v_cmp_eq_u32_sdwa s[4:5], v0, v25 src0_sel:WORD_0 src1_sel:DWORD
	s_nop 1
	v_cndmask_b32_e64 v0, v1, v0, s[4:5]
	v_accvgpr_write_b32 a56, v0
; %bb.63:                               ;   in Loop: Header=BB334_12 Depth=1
	s_or_b64 exec, exec, s[22:23]
	flat_load_dword v0, v[46:47] offset:520
                                        ; implicit-def: $agpr57
	s_waitcnt vmcnt(0) lgkmcnt(0)
	v_and_b32_e32 v1, 0xff, v0
	v_cvt_f32_fp8_sdwa v1, v1 src0_sel:BYTE_0
	s_nop 0
	v_mul_f32_e32 v1, v6, v1
	v_and_b32_e32 v7, 0x7f800000, v1
	v_cmp_ne_u32_e64 s[4:5], s17, v7
	s_and_saveexec_b64 s[22:23], s[4:5]
	s_xor_b64 s[4:5], exec, s[22:23]
; %bb.64:                               ;   in Loop: Header=BB334_12 Depth=1
	v_bfe_u32 v7, v1, 16, 1
	v_add3_u32 v1, v1, v7, s24
	v_accvgpr_write_b32 a57, v1
                                        ; implicit-def: $vgpr1
; %bb.65:                               ;   in Loop: Header=BB334_12 Depth=1
	s_andn2_saveexec_b64 s[22:23], s[4:5]
; %bb.66:                               ;   in Loop: Header=BB334_12 Depth=1
	v_or_b32_e32 v7, 0x10000, v1
	v_cmp_eq_u32_sdwa s[4:5], v1, v25 src0_sel:WORD_0 src1_sel:DWORD
	s_nop 1
	v_cndmask_b32_e64 v1, v7, v1, s[4:5]
	v_accvgpr_write_b32 a57, v1
; %bb.67:                               ;   in Loop: Header=BB334_12 Depth=1
	s_or_b64 exec, exec, s[22:23]
	v_bfe_u32 v1, v0, 8, 8
	v_cvt_f32_fp8_sdwa v1, v1 src0_sel:BYTE_0
                                        ; implicit-def: $agpr58
	s_nop 0
	v_mul_f32_e32 v1, v6, v1
	v_and_b32_e32 v7, 0x7f800000, v1
	v_cmp_ne_u32_e64 s[4:5], s17, v7
	s_and_saveexec_b64 s[22:23], s[4:5]
	s_xor_b64 s[4:5], exec, s[22:23]
; %bb.68:                               ;   in Loop: Header=BB334_12 Depth=1
	v_bfe_u32 v7, v1, 16, 1
	v_add3_u32 v1, v1, v7, s24
	v_accvgpr_write_b32 a58, v1
                                        ; implicit-def: $vgpr1
; %bb.69:                               ;   in Loop: Header=BB334_12 Depth=1
	s_andn2_saveexec_b64 s[22:23], s[4:5]
; %bb.70:                               ;   in Loop: Header=BB334_12 Depth=1
	v_or_b32_e32 v7, 0x10000, v1
	v_cmp_eq_u32_sdwa s[4:5], v1, v25 src0_sel:WORD_0 src1_sel:DWORD
	s_nop 1
	v_cndmask_b32_e64 v1, v7, v1, s[4:5]
	v_accvgpr_write_b32 a58, v1
; %bb.71:                               ;   in Loop: Header=BB334_12 Depth=1
	s_or_b64 exec, exec, s[22:23]
	v_bfe_u32 v1, v0, 16, 8
	v_cvt_f32_fp8_sdwa v1, v1 src0_sel:BYTE_0
                                        ; implicit-def: $agpr59
	s_nop 0
	v_mul_f32_e32 v1, v6, v1
	v_and_b32_e32 v7, 0x7f800000, v1
	v_cmp_ne_u32_e64 s[4:5], s17, v7
	s_and_saveexec_b64 s[22:23], s[4:5]
	s_xor_b64 s[4:5], exec, s[22:23]
; %bb.72:                               ;   in Loop: Header=BB334_12 Depth=1
	v_bfe_u32 v7, v1, 16, 1
	v_add3_u32 v1, v1, v7, s24
	v_accvgpr_write_b32 a59, v1
                                        ; implicit-def: $vgpr1
; %bb.73:                               ;   in Loop: Header=BB334_12 Depth=1
	s_andn2_saveexec_b64 s[22:23], s[4:5]
; %bb.74:                               ;   in Loop: Header=BB334_12 Depth=1
	v_or_b32_e32 v7, 0x10000, v1
	v_cmp_eq_u32_sdwa s[4:5], v1, v25 src0_sel:WORD_0 src1_sel:DWORD
	s_nop 1
	v_cndmask_b32_e64 v1, v7, v1, s[4:5]
	v_accvgpr_write_b32 a59, v1
; %bb.75:                               ;   in Loop: Header=BB334_12 Depth=1
	s_or_b64 exec, exec, s[22:23]
	v_lshrrev_b32_e32 v0, 24, v0
	v_cvt_f32_fp8_sdwa v0, v0 src0_sel:BYTE_0
                                        ; implicit-def: $agpr60
	s_nop 0
	v_mul_f32_e32 v0, v6, v0
	v_and_b32_e32 v1, 0x7f800000, v0
	v_cmp_ne_u32_e64 s[4:5], s17, v1
	s_and_saveexec_b64 s[22:23], s[4:5]
	s_xor_b64 s[4:5], exec, s[22:23]
; %bb.76:                               ;   in Loop: Header=BB334_12 Depth=1
	v_bfe_u32 v1, v0, 16, 1
	v_add3_u32 v0, v0, v1, s24
	v_accvgpr_write_b32 a60, v0
                                        ; implicit-def: $vgpr0
; %bb.77:                               ;   in Loop: Header=BB334_12 Depth=1
	s_andn2_saveexec_b64 s[22:23], s[4:5]
; %bb.78:                               ;   in Loop: Header=BB334_12 Depth=1
	v_or_b32_e32 v1, 0x10000, v0
	v_cmp_eq_u32_sdwa s[4:5], v0, v25 src0_sel:WORD_0 src1_sel:DWORD
	s_nop 1
	v_cndmask_b32_e64 v0, v1, v0, s[4:5]
	v_accvgpr_write_b32 a60, v0
; %bb.79:                               ;   in Loop: Header=BB334_12 Depth=1
	s_or_b64 exec, exec, s[22:23]
	flat_load_dword v0, v[46:47] offset:1024
                                        ; implicit-def: $agpr61
	s_waitcnt vmcnt(0) lgkmcnt(0)
	v_and_b32_e32 v1, 0xff, v0
	v_cvt_f32_fp8_sdwa v1, v1 src0_sel:BYTE_0
	s_nop 0
	v_mul_f32_e32 v1, v6, v1
	v_and_b32_e32 v7, 0x7f800000, v1
	v_cmp_ne_u32_e64 s[4:5], s17, v7
	s_and_saveexec_b64 s[22:23], s[4:5]
	s_xor_b64 s[4:5], exec, s[22:23]
; %bb.80:                               ;   in Loop: Header=BB334_12 Depth=1
	v_bfe_u32 v7, v1, 16, 1
	v_add3_u32 v1, v1, v7, s24
	v_accvgpr_write_b32 a61, v1
                                        ; implicit-def: $vgpr1
; %bb.81:                               ;   in Loop: Header=BB334_12 Depth=1
	s_andn2_saveexec_b64 s[22:23], s[4:5]
; %bb.82:                               ;   in Loop: Header=BB334_12 Depth=1
	v_or_b32_e32 v7, 0x10000, v1
	v_cmp_eq_u32_sdwa s[4:5], v1, v25 src0_sel:WORD_0 src1_sel:DWORD
	s_nop 1
	v_cndmask_b32_e64 v1, v7, v1, s[4:5]
	v_accvgpr_write_b32 a61, v1
; %bb.83:                               ;   in Loop: Header=BB334_12 Depth=1
	s_or_b64 exec, exec, s[22:23]
	v_bfe_u32 v1, v0, 8, 8
	v_cvt_f32_fp8_sdwa v1, v1 src0_sel:BYTE_0
                                        ; implicit-def: $agpr62
	s_nop 0
	v_mul_f32_e32 v1, v6, v1
	v_and_b32_e32 v7, 0x7f800000, v1
	v_cmp_ne_u32_e64 s[4:5], s17, v7
	s_and_saveexec_b64 s[22:23], s[4:5]
	s_xor_b64 s[4:5], exec, s[22:23]
; %bb.84:                               ;   in Loop: Header=BB334_12 Depth=1
	v_bfe_u32 v7, v1, 16, 1
	v_add3_u32 v1, v1, v7, s24
	v_accvgpr_write_b32 a62, v1
                                        ; implicit-def: $vgpr1
; %bb.85:                               ;   in Loop: Header=BB334_12 Depth=1
	s_andn2_saveexec_b64 s[22:23], s[4:5]
; %bb.86:                               ;   in Loop: Header=BB334_12 Depth=1
	v_or_b32_e32 v7, 0x10000, v1
	v_cmp_eq_u32_sdwa s[4:5], v1, v25 src0_sel:WORD_0 src1_sel:DWORD
	s_nop 1
	v_cndmask_b32_e64 v1, v7, v1, s[4:5]
	v_accvgpr_write_b32 a62, v1
; %bb.87:                               ;   in Loop: Header=BB334_12 Depth=1
	s_or_b64 exec, exec, s[22:23]
	v_bfe_u32 v1, v0, 16, 8
	v_cvt_f32_fp8_sdwa v1, v1 src0_sel:BYTE_0
                                        ; implicit-def: $agpr63
	s_nop 0
	v_mul_f32_e32 v1, v6, v1
	v_and_b32_e32 v7, 0x7f800000, v1
	v_cmp_ne_u32_e64 s[4:5], s17, v7
	s_and_saveexec_b64 s[22:23], s[4:5]
	s_xor_b64 s[4:5], exec, s[22:23]
; %bb.88:                               ;   in Loop: Header=BB334_12 Depth=1
	v_bfe_u32 v7, v1, 16, 1
	v_add3_u32 v1, v1, v7, s24
	v_accvgpr_write_b32 a63, v1
                                        ; implicit-def: $vgpr1
; %bb.89:                               ;   in Loop: Header=BB334_12 Depth=1
	s_andn2_saveexec_b64 s[22:23], s[4:5]
; %bb.90:                               ;   in Loop: Header=BB334_12 Depth=1
	v_or_b32_e32 v7, 0x10000, v1
	v_cmp_eq_u32_sdwa s[4:5], v1, v25 src0_sel:WORD_0 src1_sel:DWORD
	s_nop 1
	v_cndmask_b32_e64 v1, v7, v1, s[4:5]
	v_accvgpr_write_b32 a63, v1
; %bb.91:                               ;   in Loop: Header=BB334_12 Depth=1
	s_or_b64 exec, exec, s[22:23]
	v_lshrrev_b32_e32 v0, 24, v0
	v_cvt_f32_fp8_sdwa v0, v0 src0_sel:BYTE_0
                                        ; implicit-def: $agpr0
	s_nop 0
	v_mul_f32_e32 v0, v6, v0
	v_and_b32_e32 v1, 0x7f800000, v0
	v_cmp_ne_u32_e64 s[4:5], s17, v1
	s_and_saveexec_b64 s[22:23], s[4:5]
	s_xor_b64 s[4:5], exec, s[22:23]
; %bb.92:                               ;   in Loop: Header=BB334_12 Depth=1
	v_bfe_u32 v1, v0, 16, 1
	v_add3_u32 v0, v0, v1, s24
	v_accvgpr_write_b32 a0, v0
                                        ; implicit-def: $vgpr0
; %bb.93:                               ;   in Loop: Header=BB334_12 Depth=1
	s_andn2_saveexec_b64 s[22:23], s[4:5]
; %bb.94:                               ;   in Loop: Header=BB334_12 Depth=1
	v_or_b32_e32 v1, 0x10000, v0
	v_cmp_eq_u32_sdwa s[4:5], v0, v25 src0_sel:WORD_0 src1_sel:DWORD
	s_nop 1
	v_cndmask_b32_e64 v0, v1, v0, s[4:5]
	v_accvgpr_write_b32 a0, v0
; %bb.95:                               ;   in Loop: Header=BB334_12 Depth=1
	s_or_b64 exec, exec, s[22:23]
	flat_load_dword v0, v[46:47] offset:1032
                                        ; implicit-def: $agpr1
	s_waitcnt vmcnt(0) lgkmcnt(0)
	v_and_b32_e32 v1, 0xff, v0
	v_cvt_f32_fp8_sdwa v1, v1 src0_sel:BYTE_0
	s_nop 0
	v_mul_f32_e32 v1, v6, v1
	v_and_b32_e32 v7, 0x7f800000, v1
	v_cmp_ne_u32_e64 s[4:5], s17, v7
	s_and_saveexec_b64 s[22:23], s[4:5]
	s_xor_b64 s[4:5], exec, s[22:23]
; %bb.96:                               ;   in Loop: Header=BB334_12 Depth=1
	v_bfe_u32 v7, v1, 16, 1
	v_add3_u32 v1, v1, v7, s24
	v_accvgpr_write_b32 a1, v1
                                        ; implicit-def: $vgpr1
; %bb.97:                               ;   in Loop: Header=BB334_12 Depth=1
	s_andn2_saveexec_b64 s[22:23], s[4:5]
; %bb.98:                               ;   in Loop: Header=BB334_12 Depth=1
	v_or_b32_e32 v7, 0x10000, v1
	v_cmp_eq_u32_sdwa s[4:5], v1, v25 src0_sel:WORD_0 src1_sel:DWORD
	s_nop 1
	v_cndmask_b32_e64 v1, v7, v1, s[4:5]
	v_accvgpr_write_b32 a1, v1
; %bb.99:                               ;   in Loop: Header=BB334_12 Depth=1
	s_or_b64 exec, exec, s[22:23]
	v_bfe_u32 v1, v0, 8, 8
	v_cvt_f32_fp8_sdwa v1, v1 src0_sel:BYTE_0
                                        ; implicit-def: $agpr26
	s_nop 0
	v_mul_f32_e32 v1, v6, v1
	v_and_b32_e32 v7, 0x7f800000, v1
	v_cmp_ne_u32_e64 s[4:5], s17, v7
	s_and_saveexec_b64 s[22:23], s[4:5]
	s_xor_b64 s[4:5], exec, s[22:23]
; %bb.100:                              ;   in Loop: Header=BB334_12 Depth=1
	v_bfe_u32 v7, v1, 16, 1
	v_add3_u32 v1, v1, v7, s24
	v_accvgpr_write_b32 a26, v1
                                        ; implicit-def: $vgpr1
; %bb.101:                              ;   in Loop: Header=BB334_12 Depth=1
	s_andn2_saveexec_b64 s[22:23], s[4:5]
; %bb.102:                              ;   in Loop: Header=BB334_12 Depth=1
	v_or_b32_e32 v7, 0x10000, v1
	v_cmp_eq_u32_sdwa s[4:5], v1, v25 src0_sel:WORD_0 src1_sel:DWORD
	s_nop 1
	v_cndmask_b32_e64 v1, v7, v1, s[4:5]
	v_accvgpr_write_b32 a26, v1
; %bb.103:                              ;   in Loop: Header=BB334_12 Depth=1
	s_or_b64 exec, exec, s[22:23]
	v_bfe_u32 v1, v0, 16, 8
	v_cvt_f32_fp8_sdwa v1, v1 src0_sel:BYTE_0
                                        ; implicit-def: $agpr24
	s_nop 0
	v_mul_f32_e32 v1, v6, v1
	v_and_b32_e32 v7, 0x7f800000, v1
	v_cmp_ne_u32_e64 s[4:5], s17, v7
	s_and_saveexec_b64 s[22:23], s[4:5]
	s_xor_b64 s[4:5], exec, s[22:23]
; %bb.104:                              ;   in Loop: Header=BB334_12 Depth=1
	v_bfe_u32 v7, v1, 16, 1
	v_add3_u32 v1, v1, v7, s24
	v_accvgpr_write_b32 a24, v1
                                        ; implicit-def: $vgpr1
; %bb.105:                              ;   in Loop: Header=BB334_12 Depth=1
	s_andn2_saveexec_b64 s[22:23], s[4:5]
; %bb.106:                              ;   in Loop: Header=BB334_12 Depth=1
	v_or_b32_e32 v7, 0x10000, v1
	v_cmp_eq_u32_sdwa s[4:5], v1, v25 src0_sel:WORD_0 src1_sel:DWORD
	s_nop 1
	v_cndmask_b32_e64 v1, v7, v1, s[4:5]
	v_accvgpr_write_b32 a24, v1
; %bb.107:                              ;   in Loop: Header=BB334_12 Depth=1
	s_or_b64 exec, exec, s[22:23]
	v_lshrrev_b32_e32 v0, 24, v0
	v_cvt_f32_fp8_sdwa v0, v0 src0_sel:BYTE_0
                                        ; implicit-def: $agpr25
	s_nop 0
	v_mul_f32_e32 v0, v6, v0
	v_and_b32_e32 v1, 0x7f800000, v0
	v_cmp_ne_u32_e64 s[4:5], s17, v1
	s_and_saveexec_b64 s[22:23], s[4:5]
	s_xor_b64 s[4:5], exec, s[22:23]
; %bb.108:                              ;   in Loop: Header=BB334_12 Depth=1
	v_bfe_u32 v1, v0, 16, 1
	v_add3_u32 v0, v0, v1, s24
	v_accvgpr_write_b32 a25, v0
                                        ; implicit-def: $vgpr0
; %bb.109:                              ;   in Loop: Header=BB334_12 Depth=1
	s_andn2_saveexec_b64 s[22:23], s[4:5]
; %bb.110:                              ;   in Loop: Header=BB334_12 Depth=1
	v_or_b32_e32 v1, 0x10000, v0
	v_cmp_eq_u32_sdwa s[4:5], v0, v25 src0_sel:WORD_0 src1_sel:DWORD
	s_nop 1
	v_cndmask_b32_e64 v0, v1, v0, s[4:5]
	v_accvgpr_write_b32 a25, v0
; %bb.111:                              ;   in Loop: Header=BB334_12 Depth=1
	s_or_b64 exec, exec, s[22:23]
	flat_load_dword v0, v[46:47] offset:1536
                                        ; implicit-def: $agpr21
	s_waitcnt vmcnt(0) lgkmcnt(0)
	v_and_b32_e32 v1, 0xff, v0
	v_cvt_f32_fp8_sdwa v1, v1 src0_sel:BYTE_0
	s_nop 0
	v_mul_f32_e32 v1, v6, v1
	v_and_b32_e32 v7, 0x7f800000, v1
	v_cmp_ne_u32_e64 s[4:5], s17, v7
	s_and_saveexec_b64 s[22:23], s[4:5]
	s_xor_b64 s[4:5], exec, s[22:23]
; %bb.112:                              ;   in Loop: Header=BB334_12 Depth=1
	v_bfe_u32 v7, v1, 16, 1
	v_add3_u32 v1, v1, v7, s24
	v_accvgpr_write_b32 a21, v1
                                        ; implicit-def: $vgpr1
; %bb.113:                              ;   in Loop: Header=BB334_12 Depth=1
	s_andn2_saveexec_b64 s[22:23], s[4:5]
; %bb.114:                              ;   in Loop: Header=BB334_12 Depth=1
	v_or_b32_e32 v7, 0x10000, v1
	v_cmp_eq_u32_sdwa s[4:5], v1, v25 src0_sel:WORD_0 src1_sel:DWORD
	s_nop 1
	v_cndmask_b32_e64 v1, v7, v1, s[4:5]
	v_accvgpr_write_b32 a21, v1
; %bb.115:                              ;   in Loop: Header=BB334_12 Depth=1
	s_or_b64 exec, exec, s[22:23]
	v_bfe_u32 v1, v0, 8, 8
	v_cvt_f32_fp8_sdwa v1, v1 src0_sel:BYTE_0
                                        ; implicit-def: $agpr22
	s_nop 0
	v_mul_f32_e32 v1, v6, v1
	v_and_b32_e32 v7, 0x7f800000, v1
	v_cmp_ne_u32_e64 s[4:5], s17, v7
	s_and_saveexec_b64 s[22:23], s[4:5]
	s_xor_b64 s[4:5], exec, s[22:23]
; %bb.116:                              ;   in Loop: Header=BB334_12 Depth=1
	v_bfe_u32 v7, v1, 16, 1
	v_add3_u32 v1, v1, v7, s24
	v_accvgpr_write_b32 a22, v1
                                        ; implicit-def: $vgpr1
; %bb.117:                              ;   in Loop: Header=BB334_12 Depth=1
	s_andn2_saveexec_b64 s[22:23], s[4:5]
; %bb.118:                              ;   in Loop: Header=BB334_12 Depth=1
	v_or_b32_e32 v7, 0x10000, v1
	v_cmp_eq_u32_sdwa s[4:5], v1, v25 src0_sel:WORD_0 src1_sel:DWORD
	s_nop 1
	v_cndmask_b32_e64 v1, v7, v1, s[4:5]
	v_accvgpr_write_b32 a22, v1
; %bb.119:                              ;   in Loop: Header=BB334_12 Depth=1
	s_or_b64 exec, exec, s[22:23]
	v_bfe_u32 v1, v0, 16, 8
	v_cvt_f32_fp8_sdwa v1, v1 src0_sel:BYTE_0
                                        ; implicit-def: $agpr23
	s_nop 0
	v_mul_f32_e32 v1, v6, v1
	v_and_b32_e32 v7, 0x7f800000, v1
	v_cmp_ne_u32_e64 s[4:5], s17, v7
	s_and_saveexec_b64 s[22:23], s[4:5]
	s_xor_b64 s[4:5], exec, s[22:23]
; %bb.120:                              ;   in Loop: Header=BB334_12 Depth=1
	v_bfe_u32 v7, v1, 16, 1
	v_add3_u32 v1, v1, v7, s24
	v_accvgpr_write_b32 a23, v1
                                        ; implicit-def: $vgpr1
; %bb.121:                              ;   in Loop: Header=BB334_12 Depth=1
	s_andn2_saveexec_b64 s[22:23], s[4:5]
; %bb.122:                              ;   in Loop: Header=BB334_12 Depth=1
	v_or_b32_e32 v7, 0x10000, v1
	v_cmp_eq_u32_sdwa s[4:5], v1, v25 src0_sel:WORD_0 src1_sel:DWORD
	s_nop 1
	v_cndmask_b32_e64 v1, v7, v1, s[4:5]
	v_accvgpr_write_b32 a23, v1
; %bb.123:                              ;   in Loop: Header=BB334_12 Depth=1
	s_or_b64 exec, exec, s[22:23]
	v_lshrrev_b32_e32 v0, 24, v0
	v_cvt_f32_fp8_sdwa v0, v0 src0_sel:BYTE_0
                                        ; implicit-def: $agpr30
	s_nop 0
	v_mul_f32_e32 v0, v6, v0
	v_and_b32_e32 v1, 0x7f800000, v0
	v_cmp_ne_u32_e64 s[4:5], s17, v1
	s_and_saveexec_b64 s[22:23], s[4:5]
	s_xor_b64 s[4:5], exec, s[22:23]
; %bb.124:                              ;   in Loop: Header=BB334_12 Depth=1
	v_bfe_u32 v1, v0, 16, 1
	v_add3_u32 v0, v0, v1, s24
	v_accvgpr_write_b32 a30, v0
                                        ; implicit-def: $vgpr0
; %bb.125:                              ;   in Loop: Header=BB334_12 Depth=1
	s_andn2_saveexec_b64 s[22:23], s[4:5]
; %bb.126:                              ;   in Loop: Header=BB334_12 Depth=1
	v_or_b32_e32 v1, 0x10000, v0
	v_cmp_eq_u32_sdwa s[4:5], v0, v25 src0_sel:WORD_0 src1_sel:DWORD
	s_nop 1
	v_cndmask_b32_e64 v0, v1, v0, s[4:5]
	v_accvgpr_write_b32 a30, v0
; %bb.127:                              ;   in Loop: Header=BB334_12 Depth=1
	s_or_b64 exec, exec, s[22:23]
	flat_load_dword v0, v[46:47] offset:1544
                                        ; implicit-def: $agpr14
	s_waitcnt vmcnt(0) lgkmcnt(0)
	v_and_b32_e32 v1, 0xff, v0
	v_cvt_f32_fp8_sdwa v1, v1 src0_sel:BYTE_0
	s_nop 0
	v_mul_f32_e32 v1, v6, v1
	v_and_b32_e32 v7, 0x7f800000, v1
	v_cmp_ne_u32_e64 s[4:5], s17, v7
	s_and_saveexec_b64 s[22:23], s[4:5]
	s_xor_b64 s[4:5], exec, s[22:23]
; %bb.128:                              ;   in Loop: Header=BB334_12 Depth=1
	v_bfe_u32 v7, v1, 16, 1
	v_add3_u32 v1, v1, v7, s24
	v_accvgpr_write_b32 a14, v1
                                        ; implicit-def: $vgpr1
; %bb.129:                              ;   in Loop: Header=BB334_12 Depth=1
	s_andn2_saveexec_b64 s[22:23], s[4:5]
; %bb.130:                              ;   in Loop: Header=BB334_12 Depth=1
	v_or_b32_e32 v7, 0x10000, v1
	v_cmp_eq_u32_sdwa s[4:5], v1, v25 src0_sel:WORD_0 src1_sel:DWORD
	s_nop 1
	v_cndmask_b32_e64 v1, v7, v1, s[4:5]
	v_accvgpr_write_b32 a14, v1
; %bb.131:                              ;   in Loop: Header=BB334_12 Depth=1
	s_or_b64 exec, exec, s[22:23]
	v_bfe_u32 v1, v0, 8, 8
	v_cvt_f32_fp8_sdwa v1, v1 src0_sel:BYTE_0
                                        ; implicit-def: $agpr18
	s_nop 0
	v_mul_f32_e32 v1, v6, v1
	v_and_b32_e32 v7, 0x7f800000, v1
	v_cmp_ne_u32_e64 s[4:5], s17, v7
	s_and_saveexec_b64 s[22:23], s[4:5]
	s_xor_b64 s[4:5], exec, s[22:23]
; %bb.132:                              ;   in Loop: Header=BB334_12 Depth=1
	v_bfe_u32 v7, v1, 16, 1
	v_add3_u32 v1, v1, v7, s24
	v_accvgpr_write_b32 a18, v1
                                        ; implicit-def: $vgpr1
; %bb.133:                              ;   in Loop: Header=BB334_12 Depth=1
	s_andn2_saveexec_b64 s[22:23], s[4:5]
; %bb.134:                              ;   in Loop: Header=BB334_12 Depth=1
	v_or_b32_e32 v7, 0x10000, v1
	v_cmp_eq_u32_sdwa s[4:5], v1, v25 src0_sel:WORD_0 src1_sel:DWORD
	s_nop 1
	v_cndmask_b32_e64 v1, v7, v1, s[4:5]
	v_accvgpr_write_b32 a18, v1
; %bb.135:                              ;   in Loop: Header=BB334_12 Depth=1
	s_or_b64 exec, exec, s[22:23]
	v_bfe_u32 v1, v0, 16, 8
	v_cvt_f32_fp8_sdwa v1, v1 src0_sel:BYTE_0
                                        ; implicit-def: $agpr2
	s_nop 0
	v_mul_f32_e32 v1, v6, v1
	v_and_b32_e32 v7, 0x7f800000, v1
	v_cmp_ne_u32_e64 s[4:5], s17, v7
	s_and_saveexec_b64 s[22:23], s[4:5]
	s_xor_b64 s[4:5], exec, s[22:23]
; %bb.136:                              ;   in Loop: Header=BB334_12 Depth=1
	v_bfe_u32 v7, v1, 16, 1
	v_add3_u32 v1, v1, v7, s24
	v_accvgpr_write_b32 a2, v1
                                        ; implicit-def: $vgpr1
; %bb.137:                              ;   in Loop: Header=BB334_12 Depth=1
	s_andn2_saveexec_b64 s[22:23], s[4:5]
; %bb.138:                              ;   in Loop: Header=BB334_12 Depth=1
	v_or_b32_e32 v7, 0x10000, v1
	v_cmp_eq_u32_sdwa s[4:5], v1, v25 src0_sel:WORD_0 src1_sel:DWORD
	s_nop 1
	v_cndmask_b32_e64 v1, v7, v1, s[4:5]
	v_accvgpr_write_b32 a2, v1
; %bb.139:                              ;   in Loop: Header=BB334_12 Depth=1
	s_or_b64 exec, exec, s[22:23]
	v_lshrrev_b32_e32 v0, 24, v0
	v_cvt_f32_fp8_sdwa v0, v0 src0_sel:BYTE_0
                                        ; implicit-def: $agpr19
	s_nop 0
	v_mul_f32_e32 v0, v6, v0
	v_and_b32_e32 v1, 0x7f800000, v0
	v_cmp_ne_u32_e64 s[4:5], s17, v1
	s_and_saveexec_b64 s[22:23], s[4:5]
	s_xor_b64 s[4:5], exec, s[22:23]
; %bb.140:                              ;   in Loop: Header=BB334_12 Depth=1
	v_bfe_u32 v1, v0, 16, 1
	v_add3_u32 v0, v0, v1, s24
	v_accvgpr_write_b32 a19, v0
                                        ; implicit-def: $vgpr0
; %bb.141:                              ;   in Loop: Header=BB334_12 Depth=1
	s_andn2_saveexec_b64 s[22:23], s[4:5]
; %bb.142:                              ;   in Loop: Header=BB334_12 Depth=1
	v_or_b32_e32 v1, 0x10000, v0
	v_cmp_eq_u32_sdwa s[4:5], v0, v25 src0_sel:WORD_0 src1_sel:DWORD
	s_nop 1
	v_cndmask_b32_e64 v0, v1, v0, s[4:5]
	v_accvgpr_write_b32 a19, v0
; %bb.143:                              ;   in Loop: Header=BB334_12 Depth=1
	s_or_b64 exec, exec, s[22:23]
	flat_load_dword v0, v[46:47] offset:2048
                                        ; implicit-def: $agpr20
	s_waitcnt vmcnt(0) lgkmcnt(0)
	v_and_b32_e32 v1, 0xff, v0
	v_cvt_f32_fp8_sdwa v1, v1 src0_sel:BYTE_0
	s_nop 0
	v_mul_f32_e32 v1, v6, v1
	v_and_b32_e32 v7, 0x7f800000, v1
	v_cmp_ne_u32_e64 s[4:5], s17, v7
	s_and_saveexec_b64 s[22:23], s[4:5]
	s_xor_b64 s[4:5], exec, s[22:23]
; %bb.144:                              ;   in Loop: Header=BB334_12 Depth=1
	v_bfe_u32 v7, v1, 16, 1
	v_add3_u32 v1, v1, v7, s24
	v_accvgpr_write_b32 a20, v1
                                        ; implicit-def: $vgpr1
; %bb.145:                              ;   in Loop: Header=BB334_12 Depth=1
	s_andn2_saveexec_b64 s[22:23], s[4:5]
; %bb.146:                              ;   in Loop: Header=BB334_12 Depth=1
	v_or_b32_e32 v7, 0x10000, v1
	v_cmp_eq_u32_sdwa s[4:5], v1, v25 src0_sel:WORD_0 src1_sel:DWORD
	s_nop 1
	v_cndmask_b32_e64 v1, v7, v1, s[4:5]
	v_accvgpr_write_b32 a20, v1
; %bb.147:                              ;   in Loop: Header=BB334_12 Depth=1
	s_or_b64 exec, exec, s[22:23]
	v_bfe_u32 v1, v0, 8, 8
	v_cvt_f32_fp8_sdwa v1, v1 src0_sel:BYTE_0
                                        ; implicit-def: $agpr15
	s_nop 0
	v_mul_f32_e32 v1, v6, v1
	v_and_b32_e32 v7, 0x7f800000, v1
	v_cmp_ne_u32_e64 s[4:5], s17, v7
	s_and_saveexec_b64 s[22:23], s[4:5]
	s_xor_b64 s[4:5], exec, s[22:23]
; %bb.148:                              ;   in Loop: Header=BB334_12 Depth=1
	v_bfe_u32 v7, v1, 16, 1
	v_add3_u32 v1, v1, v7, s24
	v_accvgpr_write_b32 a15, v1
                                        ; implicit-def: $vgpr1
; %bb.149:                              ;   in Loop: Header=BB334_12 Depth=1
	s_andn2_saveexec_b64 s[22:23], s[4:5]
; %bb.150:                              ;   in Loop: Header=BB334_12 Depth=1
	v_or_b32_e32 v7, 0x10000, v1
	v_cmp_eq_u32_sdwa s[4:5], v1, v25 src0_sel:WORD_0 src1_sel:DWORD
	s_nop 1
	v_cndmask_b32_e64 v1, v7, v1, s[4:5]
	v_accvgpr_write_b32 a15, v1
; %bb.151:                              ;   in Loop: Header=BB334_12 Depth=1
	s_or_b64 exec, exec, s[22:23]
	v_bfe_u32 v1, v0, 16, 8
	v_cvt_f32_fp8_sdwa v1, v1 src0_sel:BYTE_0
                                        ; implicit-def: $agpr16
	s_nop 0
	v_mul_f32_e32 v1, v6, v1
	v_and_b32_e32 v7, 0x7f800000, v1
	v_cmp_ne_u32_e64 s[4:5], s17, v7
	s_and_saveexec_b64 s[22:23], s[4:5]
	s_xor_b64 s[4:5], exec, s[22:23]
; %bb.152:                              ;   in Loop: Header=BB334_12 Depth=1
	v_bfe_u32 v7, v1, 16, 1
	v_add3_u32 v1, v1, v7, s24
	v_accvgpr_write_b32 a16, v1
                                        ; implicit-def: $vgpr1
; %bb.153:                              ;   in Loop: Header=BB334_12 Depth=1
	s_andn2_saveexec_b64 s[22:23], s[4:5]
; %bb.154:                              ;   in Loop: Header=BB334_12 Depth=1
	v_or_b32_e32 v7, 0x10000, v1
	v_cmp_eq_u32_sdwa s[4:5], v1, v25 src0_sel:WORD_0 src1_sel:DWORD
	s_nop 1
	v_cndmask_b32_e64 v1, v7, v1, s[4:5]
	v_accvgpr_write_b32 a16, v1
; %bb.155:                              ;   in Loop: Header=BB334_12 Depth=1
	s_or_b64 exec, exec, s[22:23]
	v_lshrrev_b32_e32 v0, 24, v0
	v_cvt_f32_fp8_sdwa v0, v0 src0_sel:BYTE_0
                                        ; implicit-def: $agpr17
	s_nop 0
	v_mul_f32_e32 v0, v6, v0
	v_and_b32_e32 v1, 0x7f800000, v0
	v_cmp_ne_u32_e64 s[4:5], s17, v1
	s_and_saveexec_b64 s[22:23], s[4:5]
	s_xor_b64 s[4:5], exec, s[22:23]
; %bb.156:                              ;   in Loop: Header=BB334_12 Depth=1
	v_bfe_u32 v1, v0, 16, 1
	v_add3_u32 v0, v0, v1, s24
	v_accvgpr_write_b32 a17, v0
                                        ; implicit-def: $vgpr0
; %bb.157:                              ;   in Loop: Header=BB334_12 Depth=1
	s_andn2_saveexec_b64 s[22:23], s[4:5]
; %bb.158:                              ;   in Loop: Header=BB334_12 Depth=1
	v_or_b32_e32 v1, 0x10000, v0
	v_cmp_eq_u32_sdwa s[4:5], v0, v25 src0_sel:WORD_0 src1_sel:DWORD
	s_nop 1
	v_cndmask_b32_e64 v0, v1, v0, s[4:5]
	v_accvgpr_write_b32 a17, v0
; %bb.159:                              ;   in Loop: Header=BB334_12 Depth=1
	s_or_b64 exec, exec, s[22:23]
	flat_load_dword v0, v[46:47] offset:2056
                                        ; implicit-def: $agpr37
	s_waitcnt vmcnt(0) lgkmcnt(0)
	v_and_b32_e32 v1, 0xff, v0
	v_cvt_f32_fp8_sdwa v1, v1 src0_sel:BYTE_0
	s_nop 0
	v_mul_f32_e32 v1, v6, v1
	v_and_b32_e32 v7, 0x7f800000, v1
	v_cmp_ne_u32_e64 s[4:5], s17, v7
	s_and_saveexec_b64 s[22:23], s[4:5]
	s_xor_b64 s[4:5], exec, s[22:23]
; %bb.160:                              ;   in Loop: Header=BB334_12 Depth=1
	v_bfe_u32 v7, v1, 16, 1
	v_add3_u32 v1, v1, v7, s24
	v_accvgpr_write_b32 a37, v1
                                        ; implicit-def: $vgpr1
; %bb.161:                              ;   in Loop: Header=BB334_12 Depth=1
	s_andn2_saveexec_b64 s[22:23], s[4:5]
; %bb.162:                              ;   in Loop: Header=BB334_12 Depth=1
	v_or_b32_e32 v7, 0x10000, v1
	v_cmp_eq_u32_sdwa s[4:5], v1, v25 src0_sel:WORD_0 src1_sel:DWORD
	s_nop 1
	v_cndmask_b32_e64 v1, v7, v1, s[4:5]
	v_accvgpr_write_b32 a37, v1
; %bb.163:                              ;   in Loop: Header=BB334_12 Depth=1
	s_or_b64 exec, exec, s[22:23]
	v_bfe_u32 v1, v0, 8, 8
	v_cvt_f32_fp8_sdwa v1, v1 src0_sel:BYTE_0
                                        ; implicit-def: $agpr32
	s_nop 0
	v_mul_f32_e32 v1, v6, v1
	v_and_b32_e32 v7, 0x7f800000, v1
	v_cmp_ne_u32_e64 s[4:5], s17, v7
	s_and_saveexec_b64 s[22:23], s[4:5]
	s_xor_b64 s[4:5], exec, s[22:23]
; %bb.164:                              ;   in Loop: Header=BB334_12 Depth=1
	v_bfe_u32 v7, v1, 16, 1
	v_add3_u32 v1, v1, v7, s24
	v_accvgpr_write_b32 a32, v1
                                        ; implicit-def: $vgpr1
; %bb.165:                              ;   in Loop: Header=BB334_12 Depth=1
	s_andn2_saveexec_b64 s[22:23], s[4:5]
; %bb.166:                              ;   in Loop: Header=BB334_12 Depth=1
	v_or_b32_e32 v7, 0x10000, v1
	v_cmp_eq_u32_sdwa s[4:5], v1, v25 src0_sel:WORD_0 src1_sel:DWORD
	s_nop 1
	v_cndmask_b32_e64 v1, v7, v1, s[4:5]
	v_accvgpr_write_b32 a32, v1
; %bb.167:                              ;   in Loop: Header=BB334_12 Depth=1
	s_or_b64 exec, exec, s[22:23]
	v_bfe_u32 v1, v0, 16, 8
	v_cvt_f32_fp8_sdwa v1, v1 src0_sel:BYTE_0
                                        ; implicit-def: $agpr4
	s_nop 0
	v_mul_f32_e32 v1, v6, v1
	v_and_b32_e32 v7, 0x7f800000, v1
	v_cmp_ne_u32_e64 s[4:5], s17, v7
	s_and_saveexec_b64 s[22:23], s[4:5]
	s_xor_b64 s[4:5], exec, s[22:23]
; %bb.168:                              ;   in Loop: Header=BB334_12 Depth=1
	v_bfe_u32 v7, v1, 16, 1
	v_add3_u32 v1, v1, v7, s24
	v_accvgpr_write_b32 a4, v1
                                        ; implicit-def: $vgpr1
; %bb.169:                              ;   in Loop: Header=BB334_12 Depth=1
	s_andn2_saveexec_b64 s[22:23], s[4:5]
; %bb.170:                              ;   in Loop: Header=BB334_12 Depth=1
	v_or_b32_e32 v7, 0x10000, v1
	v_cmp_eq_u32_sdwa s[4:5], v1, v25 src0_sel:WORD_0 src1_sel:DWORD
	s_nop 1
	v_cndmask_b32_e64 v1, v7, v1, s[4:5]
	v_accvgpr_write_b32 a4, v1
; %bb.171:                              ;   in Loop: Header=BB334_12 Depth=1
	s_or_b64 exec, exec, s[22:23]
	v_lshrrev_b32_e32 v0, 24, v0
	v_cvt_f32_fp8_sdwa v0, v0 src0_sel:BYTE_0
                                        ; implicit-def: $agpr5
	s_nop 0
	v_mul_f32_e32 v0, v6, v0
	v_and_b32_e32 v1, 0x7f800000, v0
	v_cmp_ne_u32_e64 s[4:5], s17, v1
	s_and_saveexec_b64 s[22:23], s[4:5]
	s_xor_b64 s[4:5], exec, s[22:23]
; %bb.172:                              ;   in Loop: Header=BB334_12 Depth=1
	v_bfe_u32 v1, v0, 16, 1
	v_add3_u32 v0, v0, v1, s24
	v_accvgpr_write_b32 a5, v0
                                        ; implicit-def: $vgpr0
; %bb.173:                              ;   in Loop: Header=BB334_12 Depth=1
	s_andn2_saveexec_b64 s[22:23], s[4:5]
; %bb.174:                              ;   in Loop: Header=BB334_12 Depth=1
	v_or_b32_e32 v1, 0x10000, v0
	v_cmp_eq_u32_sdwa s[4:5], v0, v25 src0_sel:WORD_0 src1_sel:DWORD
	s_nop 1
	v_cndmask_b32_e64 v0, v1, v0, s[4:5]
	v_accvgpr_write_b32 a5, v0
; %bb.175:                              ;   in Loop: Header=BB334_12 Depth=1
	s_or_b64 exec, exec, s[22:23]
	flat_load_dword v1, v[46:47] offset:2560
                                        ; implicit-def: $agpr38
	s_waitcnt vmcnt(0) lgkmcnt(0)
	v_and_b32_e32 v0, 0xff, v1
	v_cvt_f32_fp8_sdwa v0, v0 src0_sel:BYTE_0
	s_nop 0
	v_mul_f32_e32 v0, v6, v0
	v_and_b32_e32 v7, 0x7f800000, v0
	v_cmp_ne_u32_e64 s[4:5], s17, v7
	s_and_saveexec_b64 s[22:23], s[4:5]
	s_xor_b64 s[4:5], exec, s[22:23]
; %bb.176:                              ;   in Loop: Header=BB334_12 Depth=1
	v_bfe_u32 v7, v0, 16, 1
	v_add3_u32 v0, v0, v7, s24
	v_accvgpr_write_b32 a38, v0
                                        ; implicit-def: $vgpr0
; %bb.177:                              ;   in Loop: Header=BB334_12 Depth=1
	s_andn2_saveexec_b64 s[22:23], s[4:5]
; %bb.178:                              ;   in Loop: Header=BB334_12 Depth=1
	v_or_b32_e32 v7, 0x10000, v0
	v_cmp_eq_u32_sdwa s[4:5], v0, v25 src0_sel:WORD_0 src1_sel:DWORD
	s_nop 1
	v_cndmask_b32_e64 v0, v7, v0, s[4:5]
	v_accvgpr_write_b32 a38, v0
; %bb.179:                              ;   in Loop: Header=BB334_12 Depth=1
	s_or_b64 exec, exec, s[22:23]
	v_bfe_u32 v0, v1, 8, 8
	v_cvt_f32_fp8_sdwa v0, v0 src0_sel:BYTE_0
                                        ; implicit-def: $agpr27
	s_nop 0
	v_mul_f32_e32 v0, v6, v0
	v_and_b32_e32 v7, 0x7f800000, v0
	v_cmp_ne_u32_e64 s[4:5], s17, v7
	s_and_saveexec_b64 s[22:23], s[4:5]
	s_xor_b64 s[4:5], exec, s[22:23]
; %bb.180:                              ;   in Loop: Header=BB334_12 Depth=1
	v_bfe_u32 v7, v0, 16, 1
	v_add3_u32 v0, v0, v7, s24
	v_accvgpr_write_b32 a27, v0
                                        ; implicit-def: $vgpr0
; %bb.181:                              ;   in Loop: Header=BB334_12 Depth=1
	s_andn2_saveexec_b64 s[22:23], s[4:5]
; %bb.182:                              ;   in Loop: Header=BB334_12 Depth=1
	v_or_b32_e32 v7, 0x10000, v0
	v_cmp_eq_u32_sdwa s[4:5], v0, v25 src0_sel:WORD_0 src1_sel:DWORD
	s_nop 1
	v_cndmask_b32_e64 v0, v7, v0, s[4:5]
	v_accvgpr_write_b32 a27, v0
; %bb.183:                              ;   in Loop: Header=BB334_12 Depth=1
	s_or_b64 exec, exec, s[22:23]
	v_bfe_u32 v0, v1, 16, 8
	v_cvt_f32_fp8_sdwa v0, v0 src0_sel:BYTE_0
                                        ; implicit-def: $agpr8
	s_nop 0
	v_mul_f32_e32 v7, v6, v0
	v_and_b32_e32 v0, 0x7f800000, v7
	v_cmp_ne_u32_e64 s[4:5], s17, v0
	s_and_saveexec_b64 s[22:23], s[4:5]
	s_xor_b64 s[4:5], exec, s[22:23]
; %bb.184:                              ;   in Loop: Header=BB334_12 Depth=1
	v_bfe_u32 v0, v7, 16, 1
	v_add3_u32 v0, v7, v0, s24
	v_accvgpr_write_b32 a8, v0
                                        ; implicit-def: $vgpr7
; %bb.185:                              ;   in Loop: Header=BB334_12 Depth=1
	s_andn2_saveexec_b64 s[22:23], s[4:5]
; %bb.186:                              ;   in Loop: Header=BB334_12 Depth=1
	v_or_b32_e32 v0, 0x10000, v7
	v_cmp_eq_u32_sdwa s[4:5], v7, v25 src0_sel:WORD_0 src1_sel:DWORD
	s_nop 1
	v_cndmask_b32_e64 v0, v0, v7, s[4:5]
	v_accvgpr_write_b32 a8, v0
; %bb.187:                              ;   in Loop: Header=BB334_12 Depth=1
	s_or_b64 exec, exec, s[22:23]
	v_lshrrev_b32_e32 v1, 24, v1
	v_cvt_f32_fp8_sdwa v1, v1 src0_sel:BYTE_0
                                        ; implicit-def: $agpr13
	s_nop 0
	v_mul_f32_e32 v1, v6, v1
	v_and_b32_e32 v7, 0x7f800000, v1
	v_cmp_ne_u32_e64 s[4:5], s17, v7
	s_and_saveexec_b64 s[22:23], s[4:5]
	s_xor_b64 s[4:5], exec, s[22:23]
; %bb.188:                              ;   in Loop: Header=BB334_12 Depth=1
	v_bfe_u32 v7, v1, 16, 1
	v_add3_u32 v0, v1, v7, s24
	v_accvgpr_write_b32 a13, v0
                                        ; implicit-def: $vgpr1
; %bb.189:                              ;   in Loop: Header=BB334_12 Depth=1
	s_andn2_saveexec_b64 s[22:23], s[4:5]
; %bb.190:                              ;   in Loop: Header=BB334_12 Depth=1
	v_or_b32_e32 v7, 0x10000, v1
	v_cmp_eq_u32_sdwa s[4:5], v1, v25 src0_sel:WORD_0 src1_sel:DWORD
	s_nop 1
	v_cndmask_b32_e64 v0, v7, v1, s[4:5]
	v_accvgpr_write_b32 a13, v0
; %bb.191:                              ;   in Loop: Header=BB334_12 Depth=1
	s_or_b64 exec, exec, s[22:23]
	flat_load_dword v7, v[46:47] offset:2568
                                        ; implicit-def: $agpr6
	s_waitcnt vmcnt(0) lgkmcnt(0)
	v_and_b32_e32 v1, 0xff, v7
	v_cvt_f32_fp8_sdwa v1, v1 src0_sel:BYTE_0
	s_nop 0
	v_mul_f32_e32 v1, v6, v1
	v_and_b32_e32 v10, 0x7f800000, v1
	v_cmp_ne_u32_e64 s[4:5], s17, v10
	s_and_saveexec_b64 s[22:23], s[4:5]
	s_xor_b64 s[4:5], exec, s[22:23]
; %bb.192:                              ;   in Loop: Header=BB334_12 Depth=1
	v_bfe_u32 v10, v1, 16, 1
	v_add3_u32 v0, v1, v10, s24
	v_accvgpr_write_b32 a6, v0
                                        ; implicit-def: $vgpr1
; %bb.193:                              ;   in Loop: Header=BB334_12 Depth=1
	s_andn2_saveexec_b64 s[22:23], s[4:5]
; %bb.194:                              ;   in Loop: Header=BB334_12 Depth=1
	v_or_b32_e32 v10, 0x10000, v1
	v_cmp_eq_u32_sdwa s[4:5], v1, v25 src0_sel:WORD_0 src1_sel:DWORD
	s_nop 1
	v_cndmask_b32_e64 v0, v10, v1, s[4:5]
	v_accvgpr_write_b32 a6, v0
; %bb.195:                              ;   in Loop: Header=BB334_12 Depth=1
	s_or_b64 exec, exec, s[22:23]
	v_bfe_u32 v1, v7, 8, 8
	v_cvt_f32_fp8_sdwa v1, v1 src0_sel:BYTE_0
                                        ; implicit-def: $agpr7
	s_nop 0
	v_mul_f32_e32 v1, v6, v1
	v_and_b32_e32 v10, 0x7f800000, v1
	v_cmp_ne_u32_e64 s[4:5], s17, v10
	s_and_saveexec_b64 s[22:23], s[4:5]
	s_xor_b64 s[4:5], exec, s[22:23]
; %bb.196:                              ;   in Loop: Header=BB334_12 Depth=1
	v_bfe_u32 v10, v1, 16, 1
	v_add3_u32 v0, v1, v10, s24
	v_accvgpr_write_b32 a7, v0
                                        ; implicit-def: $vgpr1
; %bb.197:                              ;   in Loop: Header=BB334_12 Depth=1
	s_andn2_saveexec_b64 s[22:23], s[4:5]
; %bb.198:                              ;   in Loop: Header=BB334_12 Depth=1
	v_or_b32_e32 v10, 0x10000, v1
	v_cmp_eq_u32_sdwa s[4:5], v1, v25 src0_sel:WORD_0 src1_sel:DWORD
	s_nop 1
	v_cndmask_b32_e64 v0, v10, v1, s[4:5]
	v_accvgpr_write_b32 a7, v0
; %bb.199:                              ;   in Loop: Header=BB334_12 Depth=1
	s_or_b64 exec, exec, s[22:23]
	v_bfe_u32 v1, v7, 16, 8
	v_cvt_f32_fp8_sdwa v1, v1 src0_sel:BYTE_0
                                        ; implicit-def: $agpr9
	s_nop 0
	v_mul_f32_e32 v10, v6, v1
	v_and_b32_e32 v1, 0x7f800000, v10
	v_cmp_ne_u32_e64 s[4:5], s17, v1
	s_and_saveexec_b64 s[22:23], s[4:5]
	s_xor_b64 s[4:5], exec, s[22:23]
; %bb.200:                              ;   in Loop: Header=BB334_12 Depth=1
	v_bfe_u32 v1, v10, 16, 1
	v_add3_u32 v0, v10, v1, s24
	v_accvgpr_write_b32 a9, v0
                                        ; implicit-def: $vgpr10
; %bb.201:                              ;   in Loop: Header=BB334_12 Depth=1
	s_andn2_saveexec_b64 s[22:23], s[4:5]
; %bb.202:                              ;   in Loop: Header=BB334_12 Depth=1
	v_or_b32_e32 v1, 0x10000, v10
	v_cmp_eq_u32_sdwa s[4:5], v10, v25 src0_sel:WORD_0 src1_sel:DWORD
	s_nop 1
	v_cndmask_b32_e64 v0, v1, v10, s[4:5]
	v_accvgpr_write_b32 a9, v0
; %bb.203:                              ;   in Loop: Header=BB334_12 Depth=1
	s_or_b64 exec, exec, s[22:23]
	v_lshrrev_b32_e32 v7, 24, v7
	v_cvt_f32_fp8_sdwa v7, v7 src0_sel:BYTE_0
                                        ; implicit-def: $agpr11
	s_nop 0
	v_mul_f32_e32 v7, v6, v7
	v_and_b32_e32 v10, 0x7f800000, v7
	v_cmp_ne_u32_e64 s[4:5], s17, v10
	s_and_saveexec_b64 s[22:23], s[4:5]
	s_xor_b64 s[4:5], exec, s[22:23]
; %bb.204:                              ;   in Loop: Header=BB334_12 Depth=1
	v_bfe_u32 v10, v7, 16, 1
	v_add3_u32 v0, v7, v10, s24
	v_accvgpr_write_b32 a11, v0
                                        ; implicit-def: $vgpr7
; %bb.205:                              ;   in Loop: Header=BB334_12 Depth=1
	s_andn2_saveexec_b64 s[22:23], s[4:5]
; %bb.206:                              ;   in Loop: Header=BB334_12 Depth=1
	v_or_b32_e32 v10, 0x10000, v7
	v_cmp_eq_u32_sdwa s[4:5], v7, v25 src0_sel:WORD_0 src1_sel:DWORD
	s_nop 1
	v_cndmask_b32_e64 v0, v10, v7, s[4:5]
	v_accvgpr_write_b32 a11, v0
; %bb.207:                              ;   in Loop: Header=BB334_12 Depth=1
	s_or_b64 exec, exec, s[22:23]
	flat_load_dword v7, v[46:47] offset:3072
                                        ; implicit-def: $agpr28
	s_waitcnt vmcnt(0) lgkmcnt(0)
	v_and_b32_e32 v10, 0xff, v7
	v_cvt_f32_fp8_sdwa v10, v10 src0_sel:BYTE_0
	s_nop 0
	v_mul_f32_e32 v10, v6, v10
	v_and_b32_e32 v11, 0x7f800000, v10
	v_cmp_ne_u32_e64 s[4:5], s17, v11
	s_and_saveexec_b64 s[22:23], s[4:5]
	s_xor_b64 s[4:5], exec, s[22:23]
; %bb.208:                              ;   in Loop: Header=BB334_12 Depth=1
	v_bfe_u32 v11, v10, 16, 1
	v_add3_u32 v0, v10, v11, s24
	v_accvgpr_write_b32 a28, v0
                                        ; implicit-def: $vgpr10
; %bb.209:                              ;   in Loop: Header=BB334_12 Depth=1
	s_andn2_saveexec_b64 s[22:23], s[4:5]
; %bb.210:                              ;   in Loop: Header=BB334_12 Depth=1
	v_or_b32_e32 v11, 0x10000, v10
	v_cmp_eq_u32_sdwa s[4:5], v10, v25 src0_sel:WORD_0 src1_sel:DWORD
	s_nop 1
	v_cndmask_b32_e64 v0, v11, v10, s[4:5]
	v_accvgpr_write_b32 a28, v0
; %bb.211:                              ;   in Loop: Header=BB334_12 Depth=1
	s_or_b64 exec, exec, s[22:23]
	v_bfe_u32 v10, v7, 8, 8
	v_cvt_f32_fp8_sdwa v10, v10 src0_sel:BYTE_0
                                        ; implicit-def: $agpr29
	s_nop 0
	v_mul_f32_e32 v10, v6, v10
	v_and_b32_e32 v11, 0x7f800000, v10
	v_cmp_ne_u32_e64 s[4:5], s17, v11
	s_and_saveexec_b64 s[22:23], s[4:5]
	s_xor_b64 s[4:5], exec, s[22:23]
; %bb.212:                              ;   in Loop: Header=BB334_12 Depth=1
	v_bfe_u32 v11, v10, 16, 1
	v_add3_u32 v0, v10, v11, s24
	v_accvgpr_write_b32 a29, v0
                                        ; implicit-def: $vgpr10
; %bb.213:                              ;   in Loop: Header=BB334_12 Depth=1
	s_andn2_saveexec_b64 s[22:23], s[4:5]
; %bb.214:                              ;   in Loop: Header=BB334_12 Depth=1
	v_or_b32_e32 v11, 0x10000, v10
	v_cmp_eq_u32_sdwa s[4:5], v10, v25 src0_sel:WORD_0 src1_sel:DWORD
	s_nop 1
	v_cndmask_b32_e64 v0, v11, v10, s[4:5]
	v_accvgpr_write_b32 a29, v0
; %bb.215:                              ;   in Loop: Header=BB334_12 Depth=1
	s_or_b64 exec, exec, s[22:23]
	v_bfe_u32 v10, v7, 16, 8
	v_cvt_f32_fp8_sdwa v10, v10 src0_sel:BYTE_0
                                        ; implicit-def: $agpr31
	s_nop 0
	v_mul_f32_e32 v10, v6, v10
	v_and_b32_e32 v11, 0x7f800000, v10
	v_cmp_ne_u32_e64 s[4:5], s17, v11
	s_and_saveexec_b64 s[22:23], s[4:5]
	s_xor_b64 s[4:5], exec, s[22:23]
; %bb.216:                              ;   in Loop: Header=BB334_12 Depth=1
	v_bfe_u32 v11, v10, 16, 1
	v_add3_u32 v0, v10, v11, s24
	v_accvgpr_write_b32 a31, v0
                                        ; implicit-def: $vgpr10
; %bb.217:                              ;   in Loop: Header=BB334_12 Depth=1
	s_andn2_saveexec_b64 s[22:23], s[4:5]
; %bb.218:                              ;   in Loop: Header=BB334_12 Depth=1
	v_or_b32_e32 v11, 0x10000, v10
	v_cmp_eq_u32_sdwa s[4:5], v10, v25 src0_sel:WORD_0 src1_sel:DWORD
	s_nop 1
	v_cndmask_b32_e64 v0, v11, v10, s[4:5]
	v_accvgpr_write_b32 a31, v0
; %bb.219:                              ;   in Loop: Header=BB334_12 Depth=1
	s_or_b64 exec, exec, s[22:23]
	v_lshrrev_b32_e32 v7, 24, v7
	v_cvt_f32_fp8_sdwa v7, v7 src0_sel:BYTE_0
                                        ; implicit-def: $agpr34
	s_nop 0
	v_mul_f32_e32 v7, v6, v7
	v_and_b32_e32 v10, 0x7f800000, v7
	v_cmp_ne_u32_e64 s[4:5], s17, v10
	s_and_saveexec_b64 s[22:23], s[4:5]
	s_xor_b64 s[4:5], exec, s[22:23]
; %bb.220:                              ;   in Loop: Header=BB334_12 Depth=1
	v_bfe_u32 v10, v7, 16, 1
	v_add3_u32 v0, v7, v10, s24
	v_accvgpr_write_b32 a34, v0
                                        ; implicit-def: $vgpr7
; %bb.221:                              ;   in Loop: Header=BB334_12 Depth=1
	s_andn2_saveexec_b64 s[22:23], s[4:5]
; %bb.222:                              ;   in Loop: Header=BB334_12 Depth=1
	v_or_b32_e32 v10, 0x10000, v7
	v_cmp_eq_u32_sdwa s[4:5], v7, v25 src0_sel:WORD_0 src1_sel:DWORD
	s_nop 1
	v_cndmask_b32_e64 v0, v10, v7, s[4:5]
	v_accvgpr_write_b32 a34, v0
; %bb.223:                              ;   in Loop: Header=BB334_12 Depth=1
	s_or_b64 exec, exec, s[22:23]
	flat_load_dword v10, v[46:47] offset:3080
                                        ; implicit-def: $agpr35
	s_waitcnt vmcnt(0) lgkmcnt(0)
	v_and_b32_e32 v7, 0xff, v10
	v_cvt_f32_fp8_sdwa v7, v7 src0_sel:BYTE_0
	s_nop 0
	v_mul_f32_e32 v11, v6, v7
	v_and_b32_e32 v7, 0x7f800000, v11
	v_cmp_ne_u32_e64 s[4:5], s17, v7
	s_and_saveexec_b64 s[22:23], s[4:5]
	s_xor_b64 s[4:5], exec, s[22:23]
; %bb.224:                              ;   in Loop: Header=BB334_12 Depth=1
	v_bfe_u32 v7, v11, 16, 1
	v_add3_u32 v0, v11, v7, s24
	v_accvgpr_write_b32 a35, v0
                                        ; implicit-def: $vgpr11
; %bb.225:                              ;   in Loop: Header=BB334_12 Depth=1
	s_andn2_saveexec_b64 s[22:23], s[4:5]
; %bb.226:                              ;   in Loop: Header=BB334_12 Depth=1
	v_or_b32_e32 v7, 0x10000, v11
	v_cmp_eq_u32_sdwa s[4:5], v11, v25 src0_sel:WORD_0 src1_sel:DWORD
	s_nop 1
	v_cndmask_b32_e64 v0, v7, v11, s[4:5]
	v_accvgpr_write_b32 a35, v0
; %bb.227:                              ;   in Loop: Header=BB334_12 Depth=1
	s_or_b64 exec, exec, s[22:23]
	v_bfe_u32 v11, v10, 8, 8
	v_cvt_f32_fp8_sdwa v11, v11 src0_sel:BYTE_0
                                        ; implicit-def: $agpr10
	s_nop 0
	v_mul_f32_e32 v11, v6, v11
	v_and_b32_e32 v18, 0x7f800000, v11
	v_cmp_ne_u32_e64 s[4:5], s17, v18
	s_and_saveexec_b64 s[22:23], s[4:5]
	s_xor_b64 s[4:5], exec, s[22:23]
; %bb.228:                              ;   in Loop: Header=BB334_12 Depth=1
	v_bfe_u32 v18, v11, 16, 1
	v_add3_u32 v0, v11, v18, s24
	v_accvgpr_write_b32 a10, v0
                                        ; implicit-def: $vgpr11
; %bb.229:                              ;   in Loop: Header=BB334_12 Depth=1
	s_andn2_saveexec_b64 s[22:23], s[4:5]
; %bb.230:                              ;   in Loop: Header=BB334_12 Depth=1
	v_or_b32_e32 v18, 0x10000, v11
	v_cmp_eq_u32_sdwa s[4:5], v11, v25 src0_sel:WORD_0 src1_sel:DWORD
	s_nop 1
	v_cndmask_b32_e64 v0, v18, v11, s[4:5]
	v_accvgpr_write_b32 a10, v0
; %bb.231:                              ;   in Loop: Header=BB334_12 Depth=1
	s_or_b64 exec, exec, s[22:23]
	v_bfe_u32 v11, v10, 16, 8
	v_cvt_f32_fp8_sdwa v11, v11 src0_sel:BYTE_0
                                        ; implicit-def: $agpr3
	s_nop 0
	v_mul_f32_e32 v11, v6, v11
	v_and_b32_e32 v18, 0x7f800000, v11
	v_cmp_ne_u32_e64 s[4:5], s17, v18
	s_and_saveexec_b64 s[22:23], s[4:5]
	s_xor_b64 s[4:5], exec, s[22:23]
; %bb.232:                              ;   in Loop: Header=BB334_12 Depth=1
	v_bfe_u32 v18, v11, 16, 1
	v_add3_u32 v0, v11, v18, s24
	v_accvgpr_write_b32 a3, v0
                                        ; implicit-def: $vgpr11
; %bb.233:                              ;   in Loop: Header=BB334_12 Depth=1
	s_andn2_saveexec_b64 s[22:23], s[4:5]
; %bb.234:                              ;   in Loop: Header=BB334_12 Depth=1
	v_or_b32_e32 v18, 0x10000, v11
	v_cmp_eq_u32_sdwa s[4:5], v11, v25 src0_sel:WORD_0 src1_sel:DWORD
	s_nop 1
	v_cndmask_b32_e64 v0, v18, v11, s[4:5]
	v_accvgpr_write_b32 a3, v0
; %bb.235:                              ;   in Loop: Header=BB334_12 Depth=1
	s_or_b64 exec, exec, s[22:23]
	v_lshrrev_b32_e32 v10, 24, v10
	v_cvt_f32_fp8_sdwa v10, v10 src0_sel:BYTE_0
                                        ; implicit-def: $agpr36
	s_nop 0
	v_mul_f32_e32 v10, v6, v10
	v_and_b32_e32 v11, 0x7f800000, v10
	v_cmp_ne_u32_e64 s[4:5], s17, v11
	s_and_saveexec_b64 s[22:23], s[4:5]
	s_xor_b64 s[4:5], exec, s[22:23]
; %bb.236:                              ;   in Loop: Header=BB334_12 Depth=1
	v_bfe_u32 v11, v10, 16, 1
	v_add3_u32 v0, v10, v11, s24
	v_accvgpr_write_b32 a36, v0
                                        ; implicit-def: $vgpr10
; %bb.237:                              ;   in Loop: Header=BB334_12 Depth=1
	s_andn2_saveexec_b64 s[22:23], s[4:5]
; %bb.238:                              ;   in Loop: Header=BB334_12 Depth=1
	v_or_b32_e32 v11, 0x10000, v10
	v_cmp_eq_u32_sdwa s[4:5], v10, v25 src0_sel:WORD_0 src1_sel:DWORD
	s_nop 1
	v_cndmask_b32_e64 v0, v11, v10, s[4:5]
	v_accvgpr_write_b32 a36, v0
; %bb.239:                              ;   in Loop: Header=BB334_12 Depth=1
	s_or_b64 exec, exec, s[22:23]
	flat_load_dword v10, v[46:47] offset:3584
                                        ; implicit-def: $vgpr14
	s_waitcnt vmcnt(0) lgkmcnt(0)
	v_and_b32_e32 v11, 0xff, v10
	v_cvt_f32_fp8_sdwa v11, v11 src0_sel:BYTE_0
	s_nop 0
	v_mul_f32_e32 v11, v6, v11
	v_and_b32_e32 v18, 0x7f800000, v11
	v_cmp_ne_u32_e64 s[4:5], s17, v18
	s_and_saveexec_b64 s[22:23], s[4:5]
	s_xor_b64 s[4:5], exec, s[22:23]
; %bb.240:                              ;   in Loop: Header=BB334_12 Depth=1
	v_bfe_u32 v18, v11, 16, 1
	v_add3_u32 v14, v11, v18, s24
                                        ; implicit-def: $vgpr11
; %bb.241:                              ;   in Loop: Header=BB334_12 Depth=1
	s_andn2_saveexec_b64 s[22:23], s[4:5]
; %bb.242:                              ;   in Loop: Header=BB334_12 Depth=1
	v_or_b32_e32 v18, 0x10000, v11
	v_cmp_eq_u32_sdwa s[4:5], v11, v25 src0_sel:WORD_0 src1_sel:DWORD
	s_nop 1
	v_cndmask_b32_e64 v14, v18, v11, s[4:5]
; %bb.243:                              ;   in Loop: Header=BB334_12 Depth=1
	s_or_b64 exec, exec, s[22:23]
	v_bfe_u32 v11, v10, 8, 8
	v_cvt_f32_fp8_sdwa v11, v11 src0_sel:BYTE_0
                                        ; implicit-def: $vgpr53
	s_nop 0
	v_mul_f32_e32 v11, v6, v11
	v_and_b32_e32 v18, 0x7f800000, v11
	v_cmp_ne_u32_e64 s[4:5], s17, v18
	s_and_saveexec_b64 s[22:23], s[4:5]
	s_xor_b64 s[4:5], exec, s[22:23]
; %bb.244:                              ;   in Loop: Header=BB334_12 Depth=1
	v_bfe_u32 v18, v11, 16, 1
	v_add3_u32 v53, v11, v18, s24
                                        ; implicit-def: $vgpr11
; %bb.245:                              ;   in Loop: Header=BB334_12 Depth=1
	s_andn2_saveexec_b64 s[22:23], s[4:5]
; %bb.246:                              ;   in Loop: Header=BB334_12 Depth=1
	v_or_b32_e32 v18, 0x10000, v11
	v_cmp_eq_u32_sdwa s[4:5], v11, v25 src0_sel:WORD_0 src1_sel:DWORD
	s_nop 1
	v_cndmask_b32_e64 v53, v18, v11, s[4:5]
; %bb.247:                              ;   in Loop: Header=BB334_12 Depth=1
	s_or_b64 exec, exec, s[22:23]
	v_bfe_u32 v11, v10, 16, 8
	v_cvt_f32_fp8_sdwa v11, v11 src0_sel:BYTE_0
                                        ; implicit-def: $vgpr59
	s_nop 0
	v_mul_f32_e32 v11, v6, v11
	v_and_b32_e32 v18, 0x7f800000, v11
	v_cmp_ne_u32_e64 s[4:5], s17, v18
	s_and_saveexec_b64 s[22:23], s[4:5]
	s_xor_b64 s[4:5], exec, s[22:23]
; %bb.248:                              ;   in Loop: Header=BB334_12 Depth=1
	v_bfe_u32 v18, v11, 16, 1
	v_add3_u32 v59, v11, v18, s24
                                        ; implicit-def: $vgpr11
; %bb.249:                              ;   in Loop: Header=BB334_12 Depth=1
	s_andn2_saveexec_b64 s[22:23], s[4:5]
; %bb.250:                              ;   in Loop: Header=BB334_12 Depth=1
	v_or_b32_e32 v18, 0x10000, v11
	v_cmp_eq_u32_sdwa s[4:5], v11, v25 src0_sel:WORD_0 src1_sel:DWORD
	s_nop 1
	v_cndmask_b32_e64 v59, v18, v11, s[4:5]
; %bb.251:                              ;   in Loop: Header=BB334_12 Depth=1
	s_or_b64 exec, exec, s[22:23]
	v_lshrrev_b32_e32 v10, 24, v10
	v_cvt_f32_fp8_sdwa v10, v10 src0_sel:BYTE_0
	s_nop 0
	v_mul_f32_e32 v11, v6, v10
	v_and_b32_e32 v10, 0x7f800000, v11
	v_cmp_ne_u32_e64 s[4:5], s17, v10
                                        ; implicit-def: $vgpr10
	s_and_saveexec_b64 s[22:23], s[4:5]
	s_xor_b64 s[4:5], exec, s[22:23]
; %bb.252:                              ;   in Loop: Header=BB334_12 Depth=1
	v_bfe_u32 v10, v11, 16, 1
	v_add3_u32 v10, v11, v10, s24
                                        ; implicit-def: $vgpr11
; %bb.253:                              ;   in Loop: Header=BB334_12 Depth=1
	s_andn2_saveexec_b64 s[22:23], s[4:5]
; %bb.254:                              ;   in Loop: Header=BB334_12 Depth=1
	v_or_b32_e32 v10, 0x10000, v11
	v_cmp_eq_u32_sdwa s[4:5], v11, v25 src0_sel:WORD_0 src1_sel:DWORD
	s_nop 1
	v_cndmask_b32_e64 v10, v10, v11, s[4:5]
; %bb.255:                              ;   in Loop: Header=BB334_12 Depth=1
	s_or_b64 exec, exec, s[22:23]
	flat_load_dword v63, v[46:47] offset:3592
                                        ; implicit-def: $vgpr46
	s_waitcnt vmcnt(0) lgkmcnt(0)
	v_and_b32_e32 v11, 0xff, v63
	v_cvt_f32_fp8_sdwa v11, v11 src0_sel:BYTE_0
	s_nop 0
	v_mul_f32_e32 v11, v6, v11
	v_and_b32_e32 v18, 0x7f800000, v11
	v_cmp_ne_u32_e64 s[4:5], s17, v18
	s_and_saveexec_b64 s[22:23], s[4:5]
	s_xor_b64 s[4:5], exec, s[22:23]
; %bb.256:                              ;   in Loop: Header=BB334_12 Depth=1
	v_bfe_u32 v18, v11, 16, 1
	v_add3_u32 v46, v11, v18, s24
                                        ; implicit-def: $vgpr11
; %bb.257:                              ;   in Loop: Header=BB334_12 Depth=1
	s_andn2_saveexec_b64 s[22:23], s[4:5]
; %bb.258:                              ;   in Loop: Header=BB334_12 Depth=1
	v_or_b32_e32 v18, 0x10000, v11
	v_cmp_eq_u32_sdwa s[4:5], v11, v25 src0_sel:WORD_0 src1_sel:DWORD
	s_nop 1
	v_cndmask_b32_e64 v46, v18, v11, s[4:5]
; %bb.259:                              ;   in Loop: Header=BB334_12 Depth=1
	s_or_b64 exec, exec, s[22:23]
	v_bfe_u32 v11, v63, 8, 8
	v_cvt_f32_fp8_sdwa v11, v11 src0_sel:BYTE_0
	s_nop 0
	v_mul_f32_e32 v47, v6, v11
	v_and_b32_e32 v11, 0x7f800000, v47
	v_cmp_ne_u32_e64 s[4:5], s17, v11
                                        ; implicit-def: $vgpr11
	s_and_saveexec_b64 s[22:23], s[4:5]
	s_xor_b64 s[4:5], exec, s[22:23]
; %bb.260:                              ;   in Loop: Header=BB334_12 Depth=1
	v_bfe_u32 v11, v47, 16, 1
	v_add3_u32 v11, v47, v11, s24
                                        ; implicit-def: $vgpr47
; %bb.261:                              ;   in Loop: Header=BB334_12 Depth=1
	s_andn2_saveexec_b64 s[22:23], s[4:5]
; %bb.262:                              ;   in Loop: Header=BB334_12 Depth=1
	v_or_b32_e32 v11, 0x10000, v47
	v_cmp_eq_u32_sdwa s[4:5], v47, v25 src0_sel:WORD_0 src1_sel:DWORD
	s_nop 1
	v_cndmask_b32_e64 v11, v11, v47, s[4:5]
; %bb.263:                              ;   in Loop: Header=BB334_12 Depth=1
	s_or_b64 exec, exec, s[22:23]
	v_bfe_u32 v18, v63, 16, 8
	v_cvt_f32_fp8_sdwa v18, v18 src0_sel:BYTE_0
	s_nop 0
	v_mul_f32_e32 v18, v6, v18
	v_and_b32_e32 v47, 0x7f800000, v18
	v_cmp_ne_u32_e64 s[4:5], s17, v47
                                        ; implicit-def: $vgpr47
	s_and_saveexec_b64 s[22:23], s[4:5]
	s_xor_b64 s[4:5], exec, s[22:23]
; %bb.264:                              ;   in Loop: Header=BB334_12 Depth=1
	v_bfe_u32 v47, v18, 16, 1
	v_add3_u32 v47, v18, v47, s24
                                        ; implicit-def: $vgpr18
; %bb.265:                              ;   in Loop: Header=BB334_12 Depth=1
	s_andn2_saveexec_b64 s[22:23], s[4:5]
; %bb.266:                              ;   in Loop: Header=BB334_12 Depth=1
	v_or_b32_e32 v47, 0x10000, v18
	v_cmp_eq_u32_sdwa s[4:5], v18, v25 src0_sel:WORD_0 src1_sel:DWORD
	s_nop 1
	v_cndmask_b32_e64 v47, v47, v18, s[4:5]
; %bb.267:                              ;   in Loop: Header=BB334_12 Depth=1
	s_or_b64 exec, exec, s[22:23]
	v_lshrrev_b32_e32 v18, 24, v63
	v_cvt_f32_fp8_sdwa v18, v18 src0_sel:BYTE_0
	s_nop 0
	v_mul_f32_e32 v18, v6, v18
	v_and_b32_e32 v6, 0x7f800000, v18
	v_cmp_ne_u32_e64 s[4:5], s17, v6
                                        ; implicit-def: $vgpr6
	s_and_saveexec_b64 s[22:23], s[4:5]
	s_xor_b64 s[4:5], exec, s[22:23]
; %bb.268:                              ;   in Loop: Header=BB334_12 Depth=1
	v_bfe_u32 v6, v18, 16, 1
	v_add3_u32 v6, v18, v6, s24
                                        ; implicit-def: $vgpr18
; %bb.269:                              ;   in Loop: Header=BB334_12 Depth=1
	s_or_saveexec_b64 s[22:23], s[4:5]
	v_accvgpr_write_b32 a33, v16
	s_xor_b64 exec, exec, s[22:23]
; %bb.270:                              ;   in Loop: Header=BB334_12 Depth=1
	v_or_b32_e32 v6, 0x10000, v18
	v_cmp_eq_u32_sdwa s[4:5], v18, v25 src0_sel:WORD_0 src1_sel:DWORD
	s_nop 1
	v_cndmask_b32_e64 v6, v6, v18, s[4:5]
; %bb.271:                              ;   in Loop: Header=BB334_12 Depth=1
	s_or_b64 exec, exec, s[22:23]
	v_lshlrev_b32_e32 v18, 16, v48
	v_and_b32_e32 v16, 0xffff0000, v48
	v_lshlrev_b32_e32 v43, 16, v36
	v_lshlrev_b32_e32 v56, 16, v37
	;; [unrolled: 1-line block ×3, first 2 shown]
	v_and_b32_e32 v21, 0xffff0000, v36
	v_and_b32_e32 v20, 0xffff0000, v37
	;; [unrolled: 1-line block ×3, first 2 shown]
	v_lshlrev_b32_e32 v1, 16, v32
	v_lshlrev_b32_e32 v17, 16, v33
	;; [unrolled: 1-line block ×3, first 2 shown]
	v_and_b32_e32 v61, 0xffff0000, v32
	v_and_b32_e32 v52, 0xffff0000, v33
	;; [unrolled: 1-line block ×3, first 2 shown]
	v_lshlrev_b32_e32 v40, 16, v29
	v_and_b32_e32 v12, 0xffff0000, v29
	v_lshlrev_b32_e32 v39, 16, v2
	v_lshlrev_b32_e32 v37, 16, v3
	;; [unrolled: 1-line block ×4, first 2 shown]
	v_and_b32_e32 v48, 0xffff0000, v2
	v_and_b32_e32 v36, 0xffff0000, v3
	;; [unrolled: 1-line block ×4, first 2 shown]
	v_accvgpr_read_b32 v2, a42
	v_accvgpr_read_b32 v5, a45
	v_lshlrev_b32_e32 v8, 16, v50
	v_and_b32_e32 v42, 0xffff0000, v50
	v_lshlrev_b32_e32 v54, 16, v34
	v_and_b32_e32 v7, 0xffff0000, v34
	;; [unrolled: 2-line block ×4, first 2 shown]
	v_and_b32_e32 v2, 0xffff0000, v5
	v_accvgpr_read_b32 v3, a43
	v_accvgpr_read_b32 v4, a44
	v_accvgpr_write_b32 a43, v2
	v_accvgpr_read_b32 v2, a49
	v_lshlrev_b32_e32 v26, 16, v28
	v_lshlrev_b32_e32 v57, 16, v30
	v_and_b32_e32 v41, 0xffff0000, v28
	v_and_b32_e32 v13, 0xffff0000, v30
	v_lshlrev_b32_e32 v28, 16, v3
	v_and_b32_e32 v30, 0xffff0000, v3
	v_and_b32_e32 v2, 0xffff0000, v2
	v_accvgpr_read_b32 v3, a41
	v_lshlrev_b32_e32 v15, 16, v4
	v_mul_f32_e32 v2, v8, v2
	v_and_b32_e32 v3, 0xffff0000, v3
	v_accvgpr_write_b32 a44, v15
	v_lshlrev_b32_e32 v15, 16, v5
	v_fmac_f32_e32 v2, v18, v3
	v_accvgpr_read_b32 v3, a50
	v_accvgpr_write_b32 a42, v15
	v_and_b32_e32 v15, 0xffff0000, v4
	v_and_b32_e32 v3, 0xffff0000, v3
	v_accvgpr_read_b32 v4, a46
	v_mul_f32_e32 v3, v42, v3
	v_and_b32_e32 v4, 0xffff0000, v4
	v_fmac_f32_e32 v3, v16, v4
	v_accvgpr_read_b32 v4, a51
	v_lshlrev_b32_e32 v22, 16, v51
	v_and_b32_e32 v4, 0xffff0000, v4
	v_accvgpr_read_b32 v5, a47
	v_lshlrev_b32_e32 v9, 16, v49
	v_mul_f32_e32 v4, v22, v4
	v_and_b32_e32 v5, 0xffff0000, v5
	v_fmac_f32_e32 v4, v9, v5
	v_accvgpr_read_b32 v5, a52
	v_and_b32_e32 v51, 0xffff0000, v51
	v_and_b32_e32 v5, 0xffff0000, v5
	v_accvgpr_read_b32 v8, a48
	v_and_b32_e32 v49, 0xffff0000, v49
	v_mul_f32_e32 v5, v51, v5
	v_and_b32_e32 v8, 0xffff0000, v8
	v_fmac_f32_e32 v5, v49, v8
	v_accvgpr_read_b32 v8, a53
	v_and_b32_e32 v8, 0xffff0000, v8
	v_fmac_f32_e32 v2, v43, v8
	v_accvgpr_read_b32 v8, a54
	;; [unrolled: 3-line block ×5, first 2 shown]
	v_lshlrev_b32_e32 v19, 16, v38
	v_and_b32_e32 v8, 0xffff0000, v8
	v_fmac_f32_e32 v2, v19, v8
	v_accvgpr_read_b32 v8, a58
	v_and_b32_e32 v38, 0xffff0000, v38
	v_and_b32_e32 v8, 0xffff0000, v8
	v_fmac_f32_e32 v3, v38, v8
	v_accvgpr_read_b32 v8, a59
	v_and_b32_e32 v8, 0xffff0000, v8
	v_fmac_f32_e32 v4, v0, v8
	v_accvgpr_read_b32 v0, a60
	;; [unrolled: 3-line block ×4, first 2 shown]
	v_and_b32_e32 v0, 0xffff0000, v0
	v_fmac_f32_e32 v3, v61, v0
	scratch_load_dword v61, off, s32 offset:264 ; 4-byte Folded Reload
	v_accvgpr_read_b32 v0, a63
	v_and_b32_e32 v0, 0xffff0000, v0
	v_fmac_f32_e32 v4, v17, v0
	v_accvgpr_read_b32 v0, a0
	v_and_b32_e32 v0, 0xffff0000, v0
	v_fmac_f32_e32 v5, v52, v0
	v_accvgpr_read_b32 v0, a1
	v_and_b32_e32 v0, 0xffff0000, v0
	v_fmac_f32_e32 v2, v54, v0
	v_accvgpr_read_b32 v0, a26
	v_and_b32_e32 v0, 0xffff0000, v0
	v_fmac_f32_e32 v3, v7, v0
	v_accvgpr_read_b32 v0, a24
	v_and_b32_e32 v0, 0xffff0000, v0
	v_fmac_f32_e32 v4, v55, v0
	v_accvgpr_read_b32 v0, a25
	v_and_b32_e32 v0, 0xffff0000, v0
	v_fmac_f32_e32 v5, v23, v0
	v_accvgpr_read_b32 v0, a21
	v_and_b32_e32 v0, 0xffff0000, v0
	v_fmac_f32_e32 v2, v26, v0
	v_accvgpr_read_b32 v0, a22
	v_and_b32_e32 v0, 0xffff0000, v0
	v_fmac_f32_e32 v3, v41, v0
	v_accvgpr_read_b32 v0, a23
	v_and_b32_e32 v0, 0xffff0000, v0
	v_fmac_f32_e32 v4, v40, v0
	v_accvgpr_read_b32 v0, a30
	v_and_b32_e32 v0, 0xffff0000, v0
	v_fmac_f32_e32 v5, v12, v0
	v_accvgpr_read_b32 v0, a14
	v_and_b32_e32 v0, 0xffff0000, v0
	v_fmac_f32_e32 v2, v57, v0
	v_accvgpr_read_b32 v0, a18
	v_and_b32_e32 v0, 0xffff0000, v0
	v_fmac_f32_e32 v3, v13, v0
	v_accvgpr_read_b32 v0, a3
	v_and_b32_e32 v41, 0xffff0000, v0
	v_accvgpr_read_b32 v0, a36
	v_and_b32_e32 v26, 0xffff0000, v0
	;; [unrolled: 2-line block ×9, first 2 shown]
	v_and_b32_e32 v46, 0xffff0000, v0
	v_accvgpr_read_b32 v0, a11
	v_and_b32_e32 v1, 0xffff0000, v0
	v_accvgpr_read_b32 v0, a7
	;; [unrolled: 2-line block ×10, first 2 shown]
	v_and_b32_e32 v51, 0xffff0000, v53
	v_and_b32_e32 v53, 0xffff0000, v14
	;; [unrolled: 1-line block ×3, first 2 shown]
	v_accvgpr_read_b32 v0, a37
	v_and_b32_e32 v16, 0xffff0000, v0
	v_accvgpr_read_b32 v0, a16
	v_and_b32_e32 v18, 0xffff0000, v0
	v_accvgpr_read_b32 v0, a17
	v_and_b32_e32 v19, 0xffff0000, v0
	v_accvgpr_read_b32 v0, a15
	v_and_b32_e32 v22, 0xffff0000, v0
	v_accvgpr_read_b32 v0, a20
	v_and_b32_e32 v42, 0xffff0000, v0
	v_accvgpr_read_b32 v0, a2
	v_and_b32_e32 v0, 0xffff0000, v0
	v_accvgpr_read_b32 v8, a19
	v_and_b32_e32 v56, 0xffff0000, v8
	v_fmac_f32_e32 v4, v63, v0
	v_fmac_f32_e32 v2, v39, v42
	;; [unrolled: 1-line block ×9, first 2 shown]
	v_accvgpr_read_b32 v9, a44
	v_fmac_f32_e32 v3, v35, v14
	v_fmac_f32_e32 v5, v32, v13
	v_fmac_f32_e32 v4, v28, v27
	v_fmac_f32_e32 v2, v9, v20
	v_accvgpr_read_b32 v9, a42
	v_fmac_f32_e32 v3, v34, v43
	v_fmac_f32_e32 v5, v30, v21
	;; [unrolled: 1-line block ×3, first 2 shown]
	v_accvgpr_read_b32 v9, a43
	v_accvgpr_read_b32 v16, a33
	v_fmac_f32_e32 v3, v15, v17
	v_fmac_f32_e32 v5, v9, v1
	ds_read_b128 v[12:15], v16 offset:102
	ds_read_b64 v[20:21], v16 offset:118
	ds_read_u16 v1, v16 offset:126
	s_waitcnt vmcnt(0)
	v_and_b32_e32 v8, 64, v61
	v_xor_b32_e32 v0, 1, v61
	v_add_u32_e32 v8, 64, v8
	v_accvgpr_read_b32 v63, a39
	v_cmp_lt_i32_e64 s[4:5], v0, v8
	v_lshlrev_b32_e32 v57, 16, v63
	v_accvgpr_read_b32 v8, a40
	s_waitcnt lgkmcnt(2)
	v_lshlrev_b32_e32 v9, 16, v12
	v_and_b32_e32 v49, 0xffff0000, v59
	v_lshlrev_b32_e32 v59, 16, v8
	v_and_b32_e32 v8, 0xffff0000, v47
	v_and_b32_e32 v47, 0xffff0000, v63
	v_fmac_f32_e32 v2, v57, v54
	v_fmac_f32_e32 v5, v9, v52
	v_and_b32_e32 v9, 0xffff0000, v12
	v_fmac_f32_e32 v3, v47, v55
	v_fmac_f32_e32 v4, v59, v40
	v_lshlrev_b32_e32 v12, 16, v13
	v_fmac_f32_e32 v2, v9, v7
	v_and_b32_e32 v7, 0xffff0000, v13
	v_lshlrev_b32_e32 v9, 16, v14
	v_fmac_f32_e32 v3, v12, v23
	v_fmac_f32_e32 v4, v7, v41
	;; [unrolled: 1-line block ×3, first 2 shown]
	v_and_b32_e32 v7, 0xffff0000, v14
	v_lshlrev_b32_e32 v9, 16, v15
	v_and_b32_e32 v10, 0xffff0000, v10
	v_fmac_f32_e32 v2, v7, v53
	v_fmac_f32_e32 v3, v9, v51
	v_and_b32_e32 v7, 0xffff0000, v15
	s_waitcnt lgkmcnt(1)
	v_lshlrev_b32_e32 v9, 16, v20
	v_and_b32_e32 v11, 0xffff0000, v11
	v_fmac_f32_e32 v4, v7, v49
	v_fmac_f32_e32 v5, v9, v10
	v_and_b32_e32 v7, 0xffff0000, v20
	v_lshlrev_b32_e32 v9, 16, v21
	v_and_b32_e32 v6, 0xffff0000, v6
	v_fmac_f32_e32 v2, v7, v38
	v_fmac_f32_e32 v3, v9, v11
	v_and_b32_e32 v7, 0xffff0000, v21
	s_waitcnt lgkmcnt(0)
	v_lshlrev_b32_e32 v1, 16, v1
	v_fmac_f32_e32 v4, v7, v8
	v_fmac_f32_e32 v5, v1, v6
	v_add_f32_e32 v1, v2, v3
	v_cndmask_b32_e64 v0, v61, v0, s[4:5]
	v_add_f32_e32 v1, v1, v4
	v_lshlrev_b32_e32 v0, 2, v0
	v_add_f32_e32 v1, v5, v1
	ds_bpermute_b32 v0, v0, v1
	s_and_saveexec_b64 s[22:23], vcc
	s_cbranch_execz .LBB334_10
; %bb.272:                              ;   in Loop: Header=BB334_12 Depth=1
	scratch_load_dword v2, off, s32 offset:284 ; 4-byte Folded Reload
	scratch_load_dword v4, off, s32 offset:276 ; 4-byte Folded Reload
	s_waitcnt lgkmcnt(0)
	v_add_f32_e32 v0, v1, v0
	scratch_load_dword v1, off, s32 offset:280 ; 4-byte Folded Reload
	scratch_load_dword v3, off, s32 offset:288 ; 4-byte Folded Reload
	s_load_dword s4, s[12:13], 0x0
	s_waitcnt vmcnt(3)
	v_add_u32_e32 v2, v2, v58
	v_cvt_f32_i32_e32 v2, v2
	s_waitcnt vmcnt(2)
	v_mul_f32_e32 v2, v4, v2
	v_cndmask_b32_e64 v2, 0, v2, s[2:3]
	s_waitcnt vmcnt(1)
	v_fmac_f32_e32 v2, v0, v1
	scratch_load_dword v1, off, s32 offset:244 ; 4-byte Folded Reload
	scratch_load_dword v0, off, s32 offset:192 ; 4-byte Folded Reload
	s_waitcnt vmcnt(2)
	v_add_u32_e32 v3, v3, v58
	s_waitcnt lgkmcnt(0)
	v_add_u32_e32 v4, s4, v62
	s_waitcnt vmcnt(0)
	v_cmp_lt_i32_e64 s[4:5], v3, v0
	s_nop 1
	v_cndmask_b32_e64 v0, 0, v2, s[4:5]
	ds_write_b32 v4, v0
	v_max_f32_e32 v0, v1, v1
	v_max_f32_e32 v0, v0, v2
	v_cndmask_b32_e64 v1, v1, v0, s[4:5]
	scratch_store_dword off, v1, s32 offset:244 ; 4-byte Folded Spill
	s_branch .LBB334_10
.LBB334_273:
	s_or_b64 exec, exec, s[20:21]
	scratch_load_dword v16, off, s32 offset:292 ; 4-byte Folded Reload
	scratch_load_dwordx2 v[10:11], off, s32 offset:352 ; 8-byte Folded Reload
	scratch_load_dword v26, off, s32 offset:348 ; 4-byte Folded Reload
	scratch_load_dwordx2 v[22:23], off, s32 offset:332 ; 8-byte Folded Reload
	scratch_load_dwordx2 v[30:31], off, s32 offset:340 ; 8-byte Folded Reload
	;; [unrolled: 1-line block ×3, first 2 shown]
	scratch_load_dword v31, off, s32 offset:320 ; 4-byte Folded Reload
	scratch_load_dwordx2 v[32:33], off, s32 offset:312 ; 8-byte Folded Reload
	scratch_load_dword v27, off, s32 offset:308 ; 4-byte Folded Reload
	scratch_load_dword v3, off, s32 offset:244 ; 4-byte Folded Reload
	v_mbcnt_lo_u32_b32 v6, -1, 0
.LBB334_274:
	s_or_b64 exec, exec, s[8:9]
	v_mbcnt_hi_u32_b32 v0, -1, v6
	v_and_b32_e32 v1, 64, v0
	v_add_u32_e32 v7, 64, v1
	v_xor_b32_e32 v1, 32, v0
	v_cmp_lt_i32_e32 vcc, v1, v7
	v_xor_b32_e32 v4, 16, v0
	v_xor_b32_e32 v5, 8, v0
	v_cndmask_b32_e32 v1, v0, v1, vcc
	v_lshlrev_b32_e32 v1, 2, v1
	s_waitcnt vmcnt(0)
	ds_bpermute_b32 v2, v1, v3
	v_max_f32_e32 v3, v3, v3
	v_cmp_lt_i32_e32 vcc, v4, v7
	v_xor_b32_e32 v6, 4, v0
	v_xor_b32_e32 v8, 2, v0
	s_waitcnt lgkmcnt(0)
	v_max_f32_e32 v2, v2, v2
	v_max_f32_e32 v3, v3, v2
	v_cndmask_b32_e32 v2, v0, v4, vcc
	v_lshlrev_b32_e32 v2, 2, v2
	ds_bpermute_b32 v4, v2, v3
	v_cmp_lt_i32_e32 vcc, v5, v7
	v_and_b32_e32 v57, 63, v16
	s_lshr_b32 s19, s19, 16
	s_waitcnt lgkmcnt(0)
	v_max_f32_e32 v4, v4, v4
	v_max_f32_e32 v4, v3, v4
	v_cndmask_b32_e32 v3, v0, v5, vcc
	v_lshlrev_b32_e32 v3, 2, v3
	ds_bpermute_b32 v5, v3, v4
	v_cmp_lt_i32_e32 vcc, v6, v7
	s_waitcnt lgkmcnt(0)
	v_max_f32_e32 v5, v5, v5
	v_max_f32_e32 v5, v4, v5
	v_cndmask_b32_e32 v4, v0, v6, vcc
	v_lshlrev_b32_e32 v4, 2, v4
	ds_bpermute_b32 v6, v4, v5
	v_cmp_lt_i32_e32 vcc, v8, v7
	s_waitcnt lgkmcnt(0)
	v_max_f32_e32 v6, v6, v6
	v_max_f32_e32 v6, v5, v6
	v_cndmask_b32_e32 v5, v0, v8, vcc
	v_lshlrev_b32_e32 v17, 2, v5
	ds_bpermute_b32 v8, v17, v6
	v_accvgpr_read_b32 v5, a12
	v_cmp_eq_u32_e32 vcc, 0, v57
	v_lshlrev_b32_e32 v5, 2, v5
	s_and_saveexec_b64 s[2:3], vcc
	s_cbranch_execz .LBB334_276
; %bb.275:
	s_waitcnt lgkmcnt(0)
	v_max_f32_e32 v8, v8, v8
	v_max_f32_e32 v6, v6, v6
	;; [unrolled: 1-line block ×3, first 2 shown]
	ds_write_b32 v5, v6 offset:256
.LBB334_276:
	s_or_b64 exec, exec, s[2:3]
	v_cmp_gt_u32_e64 s[2:3], 2, v57
	s_waitcnt lgkmcnt(0)
	v_mov_b32_e32 v8, 0xff7fffff
	v_lshlrev_b32_e32 v6, 2, v57
	s_barrier
	s_and_saveexec_b64 s[4:5], s[2:3]
	s_cbranch_execz .LBB334_278
; %bb.277:
	ds_read_b32 v8, v6 offset:256
.LBB334_278:
	s_or_b64 exec, exec, s[4:5]
	v_xor_b32_e32 v9, 1, v0
	v_cmp_lt_i32_e64 s[4:5], v9, v7
	s_nop 1
	v_cndmask_b32_e64 v7, v0, v9, s[4:5]
	v_lshlrev_b32_e32 v18, 2, v7
	s_waitcnt lgkmcnt(0)
	ds_bpermute_b32 v7, v18, v8
	v_max_f32_e32 v8, v8, v8
	v_lshlrev_b32_e32 v0, 2, v0
	scratch_load_dword v9, off, s32 offset:192 ; 4-byte Folded Reload
	s_waitcnt lgkmcnt(0)
	v_max_f32_e32 v7, v7, v7
	v_max_f32_e32 v8, v8, v7
	v_and_b32_e32 v7, 0x100, v0
	scratch_load_dword v0, off, s32 offset:196 ; 4-byte Folded Reload
	ds_bpermute_b32 v8, v7, v8
	s_waitcnt vmcnt(0)
	v_lshlrev_b32_e32 v0, 5, v0
	v_min_i32_e32 v0, v0, v9
	v_cmp_lt_i32_e64 s[4:5], v16, v0
	v_mov_b32_e32 v9, 0
	s_and_saveexec_b64 s[8:9], s[4:5]
	s_cbranch_execz .LBB334_282
; %bb.279:
	s_ashr_i32 s17, s16, 31
	s_lshl_b64 s[6:7], s[16:17], 2
	s_getpc_b64 s[12:13]
	s_add_u32 s12, s12, llvm.amdgcn.dynlds.offset.table@rel32@lo+4
	s_addc_u32 s13, s13, llvm.amdgcn.dynlds.offset.table@rel32@hi+12
	s_add_u32 s6, s6, s12
	s_addc_u32 s7, s7, s13
	s_load_dword s6, s[6:7], 0x0
	s_mov_b64 s[12:13], 0
	v_mov_b32_e32 v9, 0
	v_mov_b32_e32 v14, v16
	s_waitcnt lgkmcnt(0)
	v_lshl_add_u32 v13, v16, 2, s6
.LBB334_280:                            ; =>This Inner Loop Header: Depth=1
	ds_read_b32 v12, v13
	v_add_u32_e32 v14, 0x80, v14
	v_cmp_ge_i32_e64 s[6:7], v14, v0
	s_or_b64 s[12:13], s[6:7], s[12:13]
	s_waitcnt lgkmcnt(0)
	v_sub_f32_e32 v12, v12, v8
	v_mul_f32_e32 v12, 0x3fb8aa3b, v12
	v_exp_f32_e32 v12, v12
	ds_write_b32 v13, v12
	v_add_f32_e32 v9, v9, v12
	v_add_u32_e32 v13, 0x200, v13
	s_andn2_b64 exec, exec, s[12:13]
	s_cbranch_execnz .LBB334_280
; %bb.281:
	s_or_b64 exec, exec, s[12:13]
.LBB334_282:
	s_or_b64 exec, exec, s[8:9]
	ds_bpermute_b32 v1, v1, v9
	s_waitcnt lgkmcnt(0)
	v_add_f32_e32 v1, v9, v1
	ds_bpermute_b32 v2, v2, v1
	s_waitcnt lgkmcnt(0)
	v_add_f32_e32 v1, v1, v2
	;; [unrolled: 3-line block ×6, first 2 shown]
	s_and_saveexec_b64 s[6:7], vcc
	s_cbranch_execz .LBB334_284
; %bb.283:
	ds_write_b32 v5, v1 offset:264
.LBB334_284:
	s_or_b64 exec, exec, s[6:7]
	s_waitcnt lgkmcnt(0)
	s_barrier
	s_and_saveexec_b64 s[6:7], s[2:3]
	s_cbranch_execz .LBB334_286
; %bb.285:
	ds_read_b32 v1, v6 offset:264
.LBB334_286:
	s_or_b64 exec, exec, s[6:7]
	s_waitcnt lgkmcnt(0)
	ds_bpermute_b32 v2, v18, v1
	s_waitcnt lgkmcnt(0)
	v_add_f32_e32 v1, v1, v2
	ds_bpermute_b32 v1, v7, v1
	s_and_saveexec_b64 s[2:3], s[4:5]
	s_cbranch_execz .LBB334_299
; %bb.287:
	s_waitcnt lgkmcnt(0)
	v_add_f32_e32 v1, 0x358637bd, v1
	v_div_scale_f32 v2, s[4:5], v1, v1, 1.0
	v_rcp_f32_e32 v3, v2
	v_div_scale_f32 v4, vcc, 1.0, v1, 1.0
	s_movk_i32 s4, 0x7f
	v_fma_f32 v5, -v2, v3, 1.0
	v_fmac_f32_e32 v3, v5, v3
	v_mul_f32_e32 v5, v4, v3
	v_fma_f32 v6, -v2, v5, v4
	v_fmac_f32_e32 v5, v6, v3
	v_fma_f32 v2, -v2, v5, v4
	v_div_fmas_f32 v2, v2, v3, v5
	v_xad_u32 v3, v16, -1, v0
	v_div_fixup_f32 v2, v2, v1, 1.0
	v_cmp_lt_u32_e32 vcc, s4, v3
	s_mov_b64 s[6:7], -1
	v_mov_b32_e32 v1, v16
	s_and_saveexec_b64 s[4:5], vcc
	s_cbranch_execz .LBB334_296
; %bb.288:
	v_lshrrev_b32_e32 v1, 7, v3
	v_add_u32_e32 v5, -1, v1
	v_lshrrev_b32_e32 v4, 1, v5
	v_mov_b32_e32 v3, v2
	v_add_u32_e32 v4, 1, v4
	v_cmp_lt_u32_e32 vcc, 13, v5
	v_mov_b32_e32 v7, 0
	s_and_saveexec_b64 s[6:7], vcc
	s_cbranch_execz .LBB334_292
; %bb.289:
	s_ashr_i32 s17, s16, 31
	s_lshl_b64 s[8:9], s[16:17], 2
	s_getpc_b64 s[12:13]
	s_add_u32 s12, s12, llvm.amdgcn.dynlds.offset.table@rel32@lo+4
	s_addc_u32 s13, s13, llvm.amdgcn.dynlds.offset.table@rel32@hi+12
	s_add_u32 s8, s8, s12
	s_addc_u32 s9, s9, s13
	s_load_dword s8, s[8:9], 0x0
	v_and_b32_e32 v5, -8, v4
	s_mov_b32 s12, 0
	s_waitcnt lgkmcnt(0)
	v_lshl_add_u32 v6, v16, 2, s8
	s_mov_b64 s[8:9], 0
.LBB334_290:                            ; =>This Inner Loop Header: Depth=1
	ds_read2st64_b32 v[8:9], v6 offset1:2
	ds_read2st64_b32 v[20:21], v6 offset0:4 offset1:6
	ds_read2st64_b32 v[12:13], v6 offset0:8 offset1:10
	;; [unrolled: 1-line block ×3, first 2 shown]
	v_add_u32_e32 v5, -8, v5
	s_waitcnt lgkmcnt(3)
	v_pk_mul_f32 v[8:9], v[2:3], v[8:9]
	s_waitcnt lgkmcnt(2)
	v_pk_mul_f32 v[20:21], v[2:3], v[20:21]
	ds_write2st64_b32 v6, v8, v9 offset1:2
	ds_write2st64_b32 v6, v20, v21 offset0:4 offset1:6
	s_waitcnt lgkmcnt(3)
	v_pk_mul_f32 v[8:9], v[2:3], v[12:13]
	ds_read2st64_b32 v[12:13], v6 offset0:16 offset1:18
	ds_write2st64_b32 v6, v8, v9 offset0:8 offset1:10
	s_waitcnt lgkmcnt(4)
	v_pk_mul_f32 v[8:9], v[2:3], v[14:15]
	ds_write2st64_b32 v6, v8, v9 offset0:12 offset1:14
	ds_read2st64_b32 v[8:9], v6 offset0:20 offset1:22
	s_waitcnt lgkmcnt(3)
	v_pk_mul_f32 v[14:15], v[2:3], v[12:13]
	ds_read2st64_b32 v[12:13], v6 offset0:24 offset1:26
	ds_write2st64_b32 v6, v14, v15 offset0:16 offset1:18
	ds_read2st64_b32 v[14:15], v6 offset0:28 offset1:30
	s_waitcnt lgkmcnt(3)
	v_pk_mul_f32 v[8:9], v[2:3], v[8:9]
	ds_write2st64_b32 v6, v8, v9 offset0:20 offset1:22
	s_waitcnt lgkmcnt(3)
	v_pk_mul_f32 v[8:9], v[2:3], v[12:13]
	ds_write2st64_b32 v6, v8, v9 offset0:24 offset1:26
	s_waitcnt lgkmcnt(2)
	v_pk_mul_f32 v[8:9], v[2:3], v[14:15]
	s_add_i32 s12, s12, 16
	v_cmp_eq_u32_e32 vcc, 0, v5
	ds_write2st64_b32 v6, v8, v9 offset0:28 offset1:30
	v_add_u32_e32 v6, 0x2000, v6
	s_or_b64 s[8:9], vcc, s[8:9]
	v_mov_b32_e32 v7, s12
	s_andn2_b64 exec, exec, s[8:9]
	s_cbranch_execnz .LBB334_290
; %bb.291:
	s_or_b64 exec, exec, s[8:9]
.LBB334_292:
	s_or_b64 exec, exec, s[6:7]
	v_and_b32_e32 v4, 7, v4
	v_cmp_ne_u32_e32 vcc, 0, v4
	s_and_saveexec_b64 s[6:7], vcc
	s_cbranch_execz .LBB334_295
; %bb.293:
	s_ashr_i32 s17, s16, 31
	s_lshl_b64 s[8:9], s[16:17], 2
	s_getpc_b64 s[12:13]
	s_add_u32 s12, s12, llvm.amdgcn.dynlds.offset.table@rel32@lo+4
	s_addc_u32 s13, s13, llvm.amdgcn.dynlds.offset.table@rel32@hi+12
	s_add_u32 s8, s8, s12
	s_addc_u32 s9, s9, s13
	s_load_dword s8, s[8:9], 0x0
	v_lshlrev_b32_e32 v5, 9, v7
	v_lshlrev_b32_e32 v6, 2, v16
	s_waitcnt lgkmcnt(0)
	v_add3_u32 v5, v5, v6, s8
	s_mov_b64 s[8:9], 0
.LBB334_294:                            ; =>This Inner Loop Header: Depth=1
	ds_read2st64_b32 v[6:7], v5 offset1:2
	v_add_u32_e32 v4, -1, v4
	v_cmp_eq_u32_e32 vcc, 0, v4
	s_or_b64 s[8:9], vcc, s[8:9]
	s_waitcnt lgkmcnt(0)
	v_pk_mul_f32 v[6:7], v[2:3], v[6:7]
	ds_write2st64_b32 v5, v6, v7 offset1:2
	v_add_u32_e32 v5, 0x400, v5
	s_andn2_b64 exec, exec, s[8:9]
	s_cbranch_execnz .LBB334_294
.LBB334_295:
	s_or_b64 exec, exec, s[6:7]
	v_add_u32_e32 v3, 1, v1
	v_and_b32_e32 v4, 0x3fffffe, v3
	v_cmp_ne_u32_e32 vcc, v3, v4
	v_lshl_add_u32 v1, v4, 7, v16
	s_orn2_b64 s[6:7], vcc, exec
.LBB334_296:
	s_or_b64 exec, exec, s[4:5]
	s_and_b64 exec, exec, s[6:7]
	s_cbranch_execz .LBB334_299
; %bb.297:
	s_ashr_i32 s17, s16, 31
	s_lshl_b64 s[4:5], s[16:17], 2
	s_getpc_b64 s[6:7]
	s_add_u32 s6, s6, llvm.amdgcn.dynlds.offset.table@rel32@lo+4
	s_addc_u32 s7, s7, llvm.amdgcn.dynlds.offset.table@rel32@hi+12
	s_add_u32 s4, s4, s6
	s_addc_u32 s5, s5, s7
	s_load_dword s4, s[4:5], 0x0
	s_waitcnt lgkmcnt(0)
	v_lshl_add_u32 v3, v1, 2, s4
	s_mov_b64 s[4:5], 0
.LBB334_298:                            ; =>This Inner Loop Header: Depth=1
	ds_read_b32 v4, v3
	v_add_u32_e32 v1, 0x80, v1
	v_cmp_ge_i32_e32 vcc, v1, v0
	s_or_b64 s[4:5], vcc, s[4:5]
	s_waitcnt lgkmcnt(0)
	v_mul_f32_e32 v4, v2, v4
	ds_write_b32 v3, v4
	v_add_u32_e32 v3, 0x200, v3
	s_andn2_b64 exec, exec, s[4:5]
	s_cbranch_execnz .LBB334_298
.LBB334_299:
	s_or_b64 exec, exec, s[2:3]
	v_mov_b32_e32 v13, 0
	v_and_b32_e32 v19, 3, v16
	v_mov_b32_e32 v12, 0
	v_mov_b32_e32 v15, 0
	;; [unrolled: 1-line block ×7, first 2 shown]
	s_waitcnt lgkmcnt(0)
	s_barrier
	s_and_saveexec_b64 s[2:3], s[0:1]
	s_cbranch_execz .LBB334_865
; %bb.300:
	scratch_load_dword v3, off, s32 offset:196 ; 4-byte Folded Reload
	v_max_i32_e32 v35, v26, v27
	v_cvt_f32_u32_e32 v2, v35
	v_and_b32_e32 v0, 24, v30
	v_accvgpr_write_b32 a18, v0
	v_lshl_add_u64 v[0:1], v[22:23], 0, v[32:33]
	v_rcp_iflag_f32_e32 v2, v2
	v_and_b32_e32 v26, 0x1f8, v30
	v_mov_b32_e32 v27, 0
	s_ashr_i32 s17, s16, 31
	v_mul_f32_e32 v2, 0x4f7ffffe, v2
	v_cvt_u32_f32_e32 v2, v2
	v_lshl_add_u64 v[0:1], v[0:1], 0, v[26:27]
	s_getpc_b64 s[0:1]
	s_add_u32 s0, s0, llvm.amdgcn.dynlds.offset.table@rel32@lo+4
	s_addc_u32 s1, s1, llvm.amdgcn.dynlds.offset.table@rel32@hi+12
	v_accvgpr_write_b32 a23, v1
	s_lshl_b64 s[4:5], s[16:17], 2
	v_accvgpr_write_b32 a22, v0
	v_lshlrev_b32_e32 v0, 5, v19
	v_accvgpr_read_b32 v1, a12
	v_and_b32_e32 v26, 60, v31
	s_add_u32 s4, s4, s0
	v_lshl_or_b32 v38, v1, 7, v0
	v_lshl_add_u64 v[0:1], v[28:29], 2, v[26:27]
	v_accvgpr_write_b32 a16, v18
	v_accvgpr_write_b32 a15, v17
	s_addc_u32 s5, s5, s1
	v_accvgpr_write_b32 a17, v19
	v_lshl_add_u64 v[10:11], v[10:11], 0, v[0:1]
	s_mov_b64 s[6:7], 0
	s_mov_b32 s17, 0x7f800000
	s_movk_i32 s20, 0x7fff
	v_mov_b32_e32 v24, 0
	v_mov_b32_e32 v25, 0
	;; [unrolled: 1-line block ×8, first 2 shown]
	s_waitcnt vmcnt(0)
	v_add_u32_e32 v3, -1, v3
	v_accvgpr_write_b32 a19, v3
	v_sub_u32_e32 v3, 0, v35
	v_mul_lo_u32 v3, v3, v2
	v_mul_hi_u32 v3, v2, v3
	v_add_u32_e32 v2, v2, v3
	v_accvgpr_write_b32 a20, v2
	scratch_load_dword v2, off, s32 offset:296 ; 4-byte Folded Reload
	s_branch .LBB334_303
.LBB334_301:                            ;   in Loop: Header=BB334_303 Depth=1
	s_or_b64 exec, exec, s[0:1]
	v_and_b32_e32 v7, 0xffff0000, v43
	v_and_b32_e32 v6, 0xffff0000, v5
	;; [unrolled: 1-line block ×4, first 2 shown]
	v_pk_add_f32 v[4:5], v[4:5], v[6:7]
	v_and_b32_e32 v7, 0xffff0000, v31
	v_and_b32_e32 v6, 0xffff0000, v22
	;; [unrolled: 1-line block ×4, first 2 shown]
	v_pk_add_f32 v[6:7], v[30:31], v[6:7]
	v_add_f32_e32 v4, v4, v5
	v_add_f32_e32 v4, v4, v6
	;; [unrolled: 1-line block ×3, first 2 shown]
	v_and_b32_e32 v5, 0xffff0000, v54
	v_and_b32_e32 v4, 0xffff0000, v28
	;; [unrolled: 1-line block ×4, first 2 shown]
	v_pk_add_f32 v[4:5], v[6:7], v[4:5]
	v_and_b32_e32 v7, 0xffff0000, v41
	v_and_b32_e32 v6, 0xffff0000, v53
	;; [unrolled: 1-line block ×4, first 2 shown]
	v_pk_add_f32 v[6:7], v[22:23], v[6:7]
	v_add_f32_e32 v4, v4, v5
	v_add_f32_e32 v4, v4, v6
	;; [unrolled: 1-line block ×3, first 2 shown]
	v_and_b32_e32 v23, 0xffff0000, v0
	v_and_b32_e32 v22, 0xffff0000, v59
	;; [unrolled: 1-line block ×4, first 2 shown]
	v_add_f32_e32 v15, v15, v4
	v_and_b32_e32 v5, 0xffff0000, v32
	v_and_b32_e32 v4, 0xffff0000, v37
	;; [unrolled: 1-line block ×4, first 2 shown]
	v_pk_add_f32 v[0:1], v[0:1], v[22:23]
	v_pk_add_f32 v[4:5], v[6:7], v[4:5]
	v_add_f32_e32 v0, v0, v1
	v_and_b32_e32 v7, 0xffff0000, v8
	v_accvgpr_read_b32 v8, a55
	v_add_f32_e32 v0, v0, v4
	v_and_b32_e32 v4, 0xffff0000, v9
	v_accvgpr_read_b32 v6, a54
	v_and_b32_e32 v9, 0xffff0000, v8
	v_accvgpr_read_b32 v8, a53
	v_add_f32_e32 v0, v0, v5
	v_and_b32_e32 v6, 0xffff0000, v6
	v_and_b32_e32 v8, 0xffff0000, v8
	v_add_f32_e32 v14, v14, v0
	v_and_b32_e32 v1, 0xffff0000, v49
	v_and_b32_e32 v0, 0xffff0000, v26
	v_and_b32_e32 v5, 0xffff0000, v48
	v_pk_add_f32 v[6:7], v[8:9], v[6:7]
	v_pk_add_f32 v[0:1], v[4:5], v[0:1]
	v_add_f32_e32 v4, v6, v7
	v_add_f32_e32 v0, v4, v0
	v_add_f32_e32 v0, v0, v1
	v_accvgpr_read_b32 v6, a48
	v_accvgpr_read_b32 v8, a47
	v_add_f32_e32 v21, v21, v0
	v_accvgpr_read_b32 v0, a52
	v_accvgpr_read_b32 v4, a51
	v_and_b32_e32 v7, 0xffff0000, v6
	v_accvgpr_read_b32 v6, a46
	v_and_b32_e32 v9, 0xffff0000, v8
	v_accvgpr_read_b32 v8, a45
	v_and_b32_e32 v1, 0xffff0000, v0
	v_accvgpr_read_b32 v0, a50
	v_and_b32_e32 v5, 0xffff0000, v4
	v_accvgpr_read_b32 v4, a49
	v_and_b32_e32 v6, 0xffff0000, v6
	v_and_b32_e32 v8, 0xffff0000, v8
	v_and_b32_e32 v0, 0xffff0000, v0
	v_and_b32_e32 v4, 0xffff0000, v4
	v_pk_add_f32 v[6:7], v[8:9], v[6:7]
	v_pk_add_f32 v[0:1], v[4:5], v[0:1]
	v_add_f32_e32 v4, v6, v7
	v_add_f32_e32 v0, v4, v0
	v_add_f32_e32 v0, v0, v1
	v_accvgpr_read_b32 v6, a40
	v_accvgpr_read_b32 v8, a39
	v_add_f32_e32 v20, v20, v0
	v_accvgpr_read_b32 v0, a44
	v_accvgpr_read_b32 v4, a43
	v_and_b32_e32 v7, 0xffff0000, v6
	v_accvgpr_read_b32 v6, a38
	v_and_b32_e32 v9, 0xffff0000, v8
	v_accvgpr_read_b32 v8, a37
	v_and_b32_e32 v1, 0xffff0000, v0
	v_accvgpr_read_b32 v0, a42
	v_and_b32_e32 v5, 0xffff0000, v4
	v_accvgpr_read_b32 v4, a41
	v_and_b32_e32 v6, 0xffff0000, v6
	;; [unrolled: 22-line block ×3, first 2 shown]
	v_and_b32_e32 v8, 0xffff0000, v8
	v_and_b32_e32 v0, 0xffff0000, v0
	v_and_b32_e32 v4, 0xffff0000, v4
	v_pk_add_f32 v[6:7], v[8:9], v[6:7]
	v_pk_add_f32 v[0:1], v[4:5], v[0:1]
	v_add_f32_e32 v4, v6, v7
	v_add_f32_e32 v0, v4, v0
	;; [unrolled: 1-line block ×3, first 2 shown]
	v_and_b32_e32 v7, 0xffff0000, v51
	v_and_b32_e32 v6, 0xffff0000, v3
	;; [unrolled: 1-line block ×4, first 2 shown]
	v_add_f32_e32 v24, v24, v0
	v_and_b32_e32 v1, 0xffff0000, v17
	v_and_b32_e32 v0, 0xffff0000, v45
	;; [unrolled: 1-line block ×4, first 2 shown]
	v_pk_add_f32 v[2:3], v[2:3], v[6:7]
	v_pk_add_f32 v[0:1], v[4:5], v[0:1]
	v_add_f32_e32 v2, v2, v3
	v_add_f32_e32 v0, v2, v0
	;; [unrolled: 1-line block ×5, first 2 shown]
.LBB334_302:                            ;   in Loop: Header=BB334_303 Depth=1
	s_or_b64 exec, exec, s[8:9]
	scratch_load_dword v0, off, s32 offset:196 ; 4-byte Folded Reload
	v_accvgpr_read_b32 v1, a12
	v_add_u32_e32 v1, 2, v1
	v_mov_b32_e32 v2, v19
	v_add_u32_e32 v2, 64, v2
	v_add_u32_e32 v38, 0x100, v38
	v_accvgpr_write_b32 a12, v1
	v_lshl_add_u64 v[10:11], v[10:11], 0, 8
	s_waitcnt vmcnt(0)
	v_cmp_ge_i32_e32 vcc, v1, v0
	s_or_b64 s[6:7], vcc, s[6:7]
	s_andn2_b64 exec, exec, s[6:7]
	s_cbranch_execz .LBB334_864
.LBB334_303:                            ; =>This Inner Loop Header: Depth=1
	scratch_load_dword v0, off, s32 offset:216 ; 4-byte Folded Reload
	scratch_load_dword v3, off, s32 offset:200 ; 4-byte Folded Reload
	s_waitcnt vmcnt(2)
	v_mov_b32_e32 v19, v2
	v_accvgpr_read_b32 v4, a20
	s_waitcnt vmcnt(1)
	v_mul_hi_u32 v0, v2, v0
	s_waitcnt vmcnt(0)
	v_mul_lo_u32 v1, v0, v3
	v_sub_u32_e32 v1, v2, v1
	v_add_u32_e32 v2, 1, v0
	v_cmp_ge_u32_e32 vcc, v1, v3
	s_nop 1
	v_cndmask_b32_e32 v0, v0, v2, vcc
	v_sub_u32_e32 v2, v1, v3
	v_cndmask_b32_e32 v1, v1, v2, vcc
	v_cmp_ge_u32_e32 vcc, v1, v3
	scratch_load_dword v1, off, s32 offset:204 ; 4-byte Folded Reload
	v_add_u32_e32 v2, 1, v0
	v_cndmask_b32_e32 v0, v0, v2, vcc
	scratch_load_dwordx2 v[2:3], off, s32 offset:208 ; 8-byte Folded Reload
	s_waitcnt vmcnt(1)
	v_xor_b32_e32 v0, v0, v1
	v_sub_u32_e32 v0, v0, v1
	s_waitcnt vmcnt(0)
	v_add_u32_e32 v1, v0, v2
	v_sub_u32_e32 v3, 0, v1
	v_ashrrev_i32_e32 v2, 31, v1
	v_max_i32_e32 v1, v1, v3
	v_mul_hi_u32 v3, v1, v4
	v_mul_lo_u32 v3, v3, v35
	v_sub_u32_e32 v1, v1, v3
	v_sub_u32_e32 v3, v1, v35
	v_cmp_ge_u32_e32 vcc, v1, v35
	s_nop 1
	v_cndmask_b32_e32 v1, v1, v3, vcc
	v_sub_u32_e32 v3, v1, v35
	v_cmp_ge_u32_e32 vcc, v1, v35
	s_nop 1
	v_cndmask_b32_e32 v1, v1, v3, vcc
	v_xor_b32_e32 v1, v1, v2
	v_sub_u32_e32 v1, v1, v2
	v_cmp_eq_u32_e32 vcc, 0, v1
	scratch_load_dword v1, off, s32 offset:220 ; 4-byte Folded Reload
	s_waitcnt vmcnt(0)
	v_cmp_gt_i32_e64 s[0:1], v0, v1
	s_or_b64 s[0:1], vcc, s[0:1]
	s_and_saveexec_b64 s[8:9], s[0:1]
	s_cbranch_execz .LBB334_302
; %bb.304:                              ;   in Loop: Header=BB334_303 Depth=1
	flat_load_dword v26, v[10:11]
	s_load_dword s0, s[4:5], 0x0
                                        ; implicit-def: $vgpr23
	s_waitcnt lgkmcnt(0)
	v_add_u32_e32 v0, s0, v38
	ds_read2_b64 v[6:9], v0 offset1:1
	ds_read2_b64 v[2:5], v0 offset0:2 offset1:3
	s_waitcnt lgkmcnt(0)
	v_and_b32_e32 v0, 0x7f800000, v6
	v_cmp_ne_u32_e32 vcc, s17, v0
	s_and_saveexec_b64 s[0:1], vcc
	s_xor_b64 s[0:1], exec, s[0:1]
; %bb.305:                              ;   in Loop: Header=BB334_303 Depth=1
	v_bfe_u32 v0, v6, 16, 1
	v_add3_u32 v23, v6, v0, s20
; %bb.306:                              ;   in Loop: Header=BB334_303 Depth=1
	s_andn2_saveexec_b64 s[0:1], s[0:1]
; %bb.307:                              ;   in Loop: Header=BB334_303 Depth=1
	v_or_b32_e32 v0, 0x10000, v6
	v_cmp_eq_u32_sdwa vcc, v6, v27 src0_sel:WORD_0 src1_sel:DWORD
	s_nop 1
	v_cndmask_b32_e32 v23, v0, v6, vcc
; %bb.308:                              ;   in Loop: Header=BB334_303 Depth=1
	s_or_b64 exec, exec, s[0:1]
	v_and_b32_e32 v0, 0x7f800000, v7
	v_cmp_ne_u32_e32 vcc, s17, v0
                                        ; implicit-def: $vgpr22
	s_and_saveexec_b64 s[0:1], vcc
	s_xor_b64 s[0:1], exec, s[0:1]
; %bb.309:                              ;   in Loop: Header=BB334_303 Depth=1
	v_bfe_u32 v0, v7, 16, 1
	v_add3_u32 v22, v7, v0, s20
; %bb.310:                              ;   in Loop: Header=BB334_303 Depth=1
	s_andn2_saveexec_b64 s[0:1], s[0:1]
; %bb.311:                              ;   in Loop: Header=BB334_303 Depth=1
	v_or_b32_e32 v0, 0x10000, v7
	v_cmp_eq_u32_sdwa vcc, v7, v27 src0_sel:WORD_0 src1_sel:DWORD
	s_nop 1
	v_cndmask_b32_e32 v22, v0, v7, vcc
; %bb.312:                              ;   in Loop: Header=BB334_303 Depth=1
	s_or_b64 exec, exec, s[0:1]
	v_and_b32_e32 v0, 0x7f800000, v8
	v_cmp_ne_u32_e32 vcc, s17, v0
                                        ; implicit-def: $vgpr18
	s_and_saveexec_b64 s[0:1], vcc
	s_xor_b64 s[0:1], exec, s[0:1]
; %bb.313:                              ;   in Loop: Header=BB334_303 Depth=1
	v_bfe_u32 v0, v8, 16, 1
	v_add3_u32 v18, v8, v0, s20
; %bb.314:                              ;   in Loop: Header=BB334_303 Depth=1
	s_andn2_saveexec_b64 s[0:1], s[0:1]
; %bb.315:                              ;   in Loop: Header=BB334_303 Depth=1
	v_or_b32_e32 v0, 0x10000, v8
	v_cmp_eq_u32_sdwa vcc, v8, v27 src0_sel:WORD_0 src1_sel:DWORD
	s_nop 1
	v_cndmask_b32_e32 v18, v0, v8, vcc
; %bb.316:                              ;   in Loop: Header=BB334_303 Depth=1
	s_or_b64 exec, exec, s[0:1]
	v_and_b32_e32 v0, 0x7f800000, v9
	v_cmp_ne_u32_e32 vcc, s17, v0
                                        ; implicit-def: $vgpr17
	s_and_saveexec_b64 s[0:1], vcc
	s_xor_b64 s[0:1], exec, s[0:1]
; %bb.317:                              ;   in Loop: Header=BB334_303 Depth=1
	v_bfe_u32 v0, v9, 16, 1
	v_add3_u32 v17, v9, v0, s20
                                        ; implicit-def: $vgpr6_vgpr7_vgpr8_vgpr9
; %bb.318:                              ;   in Loop: Header=BB334_303 Depth=1
	s_andn2_saveexec_b64 s[0:1], s[0:1]
; %bb.319:                              ;   in Loop: Header=BB334_303 Depth=1
	v_or_b32_e32 v0, 0x10000, v9
	v_cmp_eq_u32_sdwa vcc, v9, v27 src0_sel:WORD_0 src1_sel:DWORD
	s_nop 1
	v_cndmask_b32_e32 v17, v0, v9, vcc
; %bb.320:                              ;   in Loop: Header=BB334_303 Depth=1
	s_or_b64 exec, exec, s[0:1]
	v_and_b32_e32 v0, 0x7f800000, v2
	v_cmp_ne_u32_e32 vcc, s17, v0
                                        ; implicit-def: $vgpr7
	s_and_saveexec_b64 s[0:1], vcc
	s_xor_b64 s[0:1], exec, s[0:1]
; %bb.321:                              ;   in Loop: Header=BB334_303 Depth=1
	v_bfe_u32 v0, v2, 16, 1
	v_add3_u32 v7, v2, v0, s20
; %bb.322:                              ;   in Loop: Header=BB334_303 Depth=1
	s_andn2_saveexec_b64 s[0:1], s[0:1]
; %bb.323:                              ;   in Loop: Header=BB334_303 Depth=1
	v_or_b32_e32 v0, 0x10000, v2
	v_cmp_eq_u32_sdwa vcc, v2, v27 src0_sel:WORD_0 src1_sel:DWORD
	s_nop 1
	v_cndmask_b32_e32 v7, v0, v2, vcc
; %bb.324:                              ;   in Loop: Header=BB334_303 Depth=1
	s_or_b64 exec, exec, s[0:1]
	v_and_b32_e32 v0, 0x7f800000, v3
	v_cmp_ne_u32_e32 vcc, s17, v0
                                        ; implicit-def: $vgpr6
	s_and_saveexec_b64 s[0:1], vcc
	s_xor_b64 s[0:1], exec, s[0:1]
; %bb.325:                              ;   in Loop: Header=BB334_303 Depth=1
	v_bfe_u32 v0, v3, 16, 1
	v_add3_u32 v6, v3, v0, s20
; %bb.326:                              ;   in Loop: Header=BB334_303 Depth=1
	s_andn2_saveexec_b64 s[0:1], s[0:1]
; %bb.327:                              ;   in Loop: Header=BB334_303 Depth=1
	v_or_b32_e32 v0, 0x10000, v3
	v_cmp_eq_u32_sdwa vcc, v3, v27 src0_sel:WORD_0 src1_sel:DWORD
	s_nop 1
	v_cndmask_b32_e32 v6, v0, v3, vcc
; %bb.328:                              ;   in Loop: Header=BB334_303 Depth=1
	s_or_b64 exec, exec, s[0:1]
	v_and_b32_e32 v0, 0x7f800000, v4
	v_cmp_ne_u32_e32 vcc, s17, v0
                                        ; implicit-def: $vgpr1
	s_and_saveexec_b64 s[0:1], vcc
	s_xor_b64 s[0:1], exec, s[0:1]
; %bb.329:                              ;   in Loop: Header=BB334_303 Depth=1
	v_bfe_u32 v0, v4, 16, 1
	v_add3_u32 v1, v4, v0, s20
; %bb.330:                              ;   in Loop: Header=BB334_303 Depth=1
	s_andn2_saveexec_b64 s[0:1], s[0:1]
; %bb.331:                              ;   in Loop: Header=BB334_303 Depth=1
	v_or_b32_e32 v0, 0x10000, v4
	v_cmp_eq_u32_sdwa vcc, v4, v27 src0_sel:WORD_0 src1_sel:DWORD
	s_nop 1
	v_cndmask_b32_e32 v1, v0, v4, vcc
; %bb.332:                              ;   in Loop: Header=BB334_303 Depth=1
	s_or_b64 exec, exec, s[0:1]
	v_and_b32_e32 v0, 0x7f800000, v5
	v_cmp_ne_u32_e32 vcc, s17, v0
                                        ; implicit-def: $vgpr0
	s_and_saveexec_b64 s[0:1], vcc
	s_xor_b64 s[0:1], exec, s[0:1]
; %bb.333:                              ;   in Loop: Header=BB334_303 Depth=1
	v_bfe_u32 v0, v5, 16, 1
	v_add3_u32 v0, v5, v0, s20
                                        ; implicit-def: $vgpr2_vgpr3_vgpr4_vgpr5
; %bb.334:                              ;   in Loop: Header=BB334_303 Depth=1
	s_andn2_saveexec_b64 s[0:1], s[0:1]
; %bb.335:                              ;   in Loop: Header=BB334_303 Depth=1
	v_or_b32_e32 v0, 0x10000, v5
	v_cmp_eq_u32_sdwa vcc, v5, v27 src0_sel:WORD_0 src1_sel:DWORD
	s_nop 1
	v_cndmask_b32_e32 v0, v0, v5, vcc
; %bb.336:                              ;   in Loop: Header=BB334_303 Depth=1
	s_or_b64 exec, exec, s[0:1]
	scratch_load_dwordx2 v[2:3], off, s32 offset:224 ; 8-byte Folded Reload
	v_accvgpr_read_b32 v4, a22
	v_accvgpr_read_b32 v5, a23
	s_waitcnt vmcnt(0)
	v_mad_i64_i32 v[2:3], s[0:1], v26, v2, v[4:5]
	flat_load_dwordx2 v[4:5], v[2:3]
	scratch_load_dwordx2 v[8:9], off, s32 offset:248 ; 8-byte Folded Reload
	s_waitcnt vmcnt(0)
	flat_load_dword v39, v[8:9]
	s_waitcnt lgkmcnt(0)
	v_and_b32_e32 v8, 0xff, v4
	v_cvt_f32_fp8_sdwa v8, v8 src0_sel:BYTE_0
	s_waitcnt vmcnt(0)
	v_mul_f32_e32 v9, v39, v8
	v_and_b32_e32 v8, 0x7f800000, v9
	v_cmp_ne_u32_e32 vcc, s17, v8
                                        ; implicit-def: $vgpr8
	s_and_saveexec_b64 s[0:1], vcc
	s_xor_b64 s[0:1], exec, s[0:1]
; %bb.337:                              ;   in Loop: Header=BB334_303 Depth=1
	v_bfe_u32 v8, v9, 16, 1
	v_add3_u32 v8, v9, v8, s20
                                        ; implicit-def: $vgpr9
; %bb.338:                              ;   in Loop: Header=BB334_303 Depth=1
	s_andn2_saveexec_b64 s[0:1], s[0:1]
; %bb.339:                              ;   in Loop: Header=BB334_303 Depth=1
	v_or_b32_e32 v8, 0x10000, v9
	v_cmp_eq_u32_sdwa vcc, v9, v27 src0_sel:WORD_0 src1_sel:DWORD
	s_nop 1
	v_cndmask_b32_e32 v8, v8, v9, vcc
; %bb.340:                              ;   in Loop: Header=BB334_303 Depth=1
	s_or_b64 exec, exec, s[0:1]
	v_bfe_u32 v9, v4, 8, 8
	v_cvt_f32_fp8_sdwa v9, v9 src0_sel:BYTE_0
	s_nop 0
	v_mul_f32_e32 v26, v39, v9
	v_and_b32_e32 v9, 0x7f800000, v26
	v_cmp_ne_u32_e32 vcc, s17, v9
                                        ; implicit-def: $vgpr9
	s_and_saveexec_b64 s[0:1], vcc
	s_xor_b64 s[0:1], exec, s[0:1]
; %bb.341:                              ;   in Loop: Header=BB334_303 Depth=1
	v_bfe_u32 v9, v26, 16, 1
	v_add3_u32 v9, v26, v9, s20
                                        ; implicit-def: $vgpr26
; %bb.342:                              ;   in Loop: Header=BB334_303 Depth=1
	s_andn2_saveexec_b64 s[0:1], s[0:1]
; %bb.343:                              ;   in Loop: Header=BB334_303 Depth=1
	v_or_b32_e32 v9, 0x10000, v26
	v_cmp_eq_u32_sdwa vcc, v26, v27 src0_sel:WORD_0 src1_sel:DWORD
	s_nop 1
	v_cndmask_b32_e32 v9, v9, v26, vcc
; %bb.344:                              ;   in Loop: Header=BB334_303 Depth=1
	s_or_b64 exec, exec, s[0:1]
	v_bfe_u32 v16, v4, 16, 8
	v_cvt_f32_fp8_sdwa v16, v16 src0_sel:BYTE_0
                                        ; implicit-def: $vgpr28
	s_nop 0
	v_mul_f32_e32 v26, v39, v16
	v_and_b32_e32 v16, 0x7f800000, v26
	v_cmp_ne_u32_e32 vcc, s17, v16
	s_and_saveexec_b64 s[0:1], vcc
	s_xor_b64 s[0:1], exec, s[0:1]
; %bb.345:                              ;   in Loop: Header=BB334_303 Depth=1
	v_bfe_u32 v16, v26, 16, 1
	v_add3_u32 v28, v26, v16, s20
                                        ; implicit-def: $vgpr26
; %bb.346:                              ;   in Loop: Header=BB334_303 Depth=1
	s_andn2_saveexec_b64 s[0:1], s[0:1]
; %bb.347:                              ;   in Loop: Header=BB334_303 Depth=1
	v_or_b32_e32 v16, 0x10000, v26
	v_cmp_eq_u32_sdwa vcc, v26, v27 src0_sel:WORD_0 src1_sel:DWORD
	s_nop 1
	v_cndmask_b32_e32 v28, v16, v26, vcc
; %bb.348:                              ;   in Loop: Header=BB334_303 Depth=1
	s_or_b64 exec, exec, s[0:1]
	v_lshrrev_b32_e32 v4, 24, v4
	v_cvt_f32_fp8_sdwa v4, v4 src0_sel:BYTE_0
	s_nop 0
	v_mul_f32_e32 v26, v39, v4
	v_and_b32_e32 v4, 0x7f800000, v26
	v_cmp_ne_u32_e32 vcc, s17, v4
                                        ; implicit-def: $vgpr4
	s_and_saveexec_b64 s[0:1], vcc
	s_xor_b64 s[0:1], exec, s[0:1]
; %bb.349:                              ;   in Loop: Header=BB334_303 Depth=1
	v_bfe_u32 v4, v26, 16, 1
	v_add3_u32 v4, v26, v4, s20
                                        ; implicit-def: $vgpr26
; %bb.350:                              ;   in Loop: Header=BB334_303 Depth=1
	s_andn2_saveexec_b64 s[0:1], s[0:1]
; %bb.351:                              ;   in Loop: Header=BB334_303 Depth=1
	v_or_b32_e32 v4, 0x10000, v26
	v_cmp_eq_u32_sdwa vcc, v26, v27 src0_sel:WORD_0 src1_sel:DWORD
	s_nop 1
	v_cndmask_b32_e32 v4, v4, v26, vcc
; %bb.352:                              ;   in Loop: Header=BB334_303 Depth=1
	s_or_b64 exec, exec, s[0:1]
	v_and_b32_e32 v16, 0xff, v5
	v_cvt_f32_fp8_sdwa v16, v16 src0_sel:BYTE_0
                                        ; implicit-def: $vgpr29
	s_nop 0
	v_mul_f32_e32 v26, v39, v16
	v_and_b32_e32 v16, 0x7f800000, v26
	v_cmp_ne_u32_e32 vcc, s17, v16
	s_and_saveexec_b64 s[0:1], vcc
	s_xor_b64 s[0:1], exec, s[0:1]
; %bb.353:                              ;   in Loop: Header=BB334_303 Depth=1
	v_bfe_u32 v16, v26, 16, 1
	v_add3_u32 v29, v26, v16, s20
                                        ; implicit-def: $vgpr26
; %bb.354:                              ;   in Loop: Header=BB334_303 Depth=1
	s_andn2_saveexec_b64 s[0:1], s[0:1]
; %bb.355:                              ;   in Loop: Header=BB334_303 Depth=1
	v_or_b32_e32 v16, 0x10000, v26
	v_cmp_eq_u32_sdwa vcc, v26, v27 src0_sel:WORD_0 src1_sel:DWORD
	s_nop 1
	v_cndmask_b32_e32 v29, v16, v26, vcc
; %bb.356:                              ;   in Loop: Header=BB334_303 Depth=1
	s_or_b64 exec, exec, s[0:1]
	v_bfe_u32 v16, v5, 8, 8
	v_cvt_f32_fp8_sdwa v16, v16 src0_sel:BYTE_0
                                        ; implicit-def: $vgpr26
	s_nop 0
	v_mul_f32_e32 v30, v39, v16
	v_and_b32_e32 v16, 0x7f800000, v30
	v_cmp_ne_u32_e32 vcc, s17, v16
	s_and_saveexec_b64 s[0:1], vcc
	s_xor_b64 s[0:1], exec, s[0:1]
; %bb.357:                              ;   in Loop: Header=BB334_303 Depth=1
	v_bfe_u32 v16, v30, 16, 1
	v_add3_u32 v26, v30, v16, s20
                                        ; implicit-def: $vgpr30
; %bb.358:                              ;   in Loop: Header=BB334_303 Depth=1
	s_andn2_saveexec_b64 s[0:1], s[0:1]
; %bb.359:                              ;   in Loop: Header=BB334_303 Depth=1
	v_or_b32_e32 v16, 0x10000, v30
	v_cmp_eq_u32_sdwa vcc, v30, v27 src0_sel:WORD_0 src1_sel:DWORD
	s_nop 1
	v_cndmask_b32_e32 v26, v16, v30, vcc
; %bb.360:                              ;   in Loop: Header=BB334_303 Depth=1
	s_or_b64 exec, exec, s[0:1]
	v_bfe_u32 v16, v5, 16, 8
	v_cvt_f32_fp8_sdwa v16, v16 src0_sel:BYTE_0
                                        ; implicit-def: $vgpr31
	s_nop 0
	v_mul_f32_e32 v30, v39, v16
	v_and_b32_e32 v16, 0x7f800000, v30
	v_cmp_ne_u32_e32 vcc, s17, v16
	s_and_saveexec_b64 s[0:1], vcc
	s_xor_b64 s[0:1], exec, s[0:1]
; %bb.361:                              ;   in Loop: Header=BB334_303 Depth=1
	v_bfe_u32 v16, v30, 16, 1
	v_add3_u32 v31, v30, v16, s20
                                        ; implicit-def: $vgpr30
; %bb.362:                              ;   in Loop: Header=BB334_303 Depth=1
	s_andn2_saveexec_b64 s[0:1], s[0:1]
; %bb.363:                              ;   in Loop: Header=BB334_303 Depth=1
	v_or_b32_e32 v16, 0x10000, v30
	v_cmp_eq_u32_sdwa vcc, v30, v27 src0_sel:WORD_0 src1_sel:DWORD
	s_nop 1
	v_cndmask_b32_e32 v31, v16, v30, vcc
; %bb.364:                              ;   in Loop: Header=BB334_303 Depth=1
	s_or_b64 exec, exec, s[0:1]
	v_lshrrev_b32_e32 v5, 24, v5
	v_cvt_f32_fp8_sdwa v5, v5 src0_sel:BYTE_0
                                        ; implicit-def: $vgpr32
	s_nop 0
	v_mul_f32_e32 v5, v39, v5
	v_and_b32_e32 v16, 0x7f800000, v5
	v_cmp_ne_u32_e32 vcc, s17, v16
	s_and_saveexec_b64 s[0:1], vcc
	s_xor_b64 s[0:1], exec, s[0:1]
; %bb.365:                              ;   in Loop: Header=BB334_303 Depth=1
	v_bfe_u32 v16, v5, 16, 1
	v_add3_u32 v32, v5, v16, s20
                                        ; implicit-def: $vgpr5
; %bb.366:                              ;   in Loop: Header=BB334_303 Depth=1
	s_andn2_saveexec_b64 s[0:1], s[0:1]
; %bb.367:                              ;   in Loop: Header=BB334_303 Depth=1
	v_or_b32_e32 v16, 0x10000, v5
	v_cmp_eq_u32_sdwa vcc, v5, v27 src0_sel:WORD_0 src1_sel:DWORD
	s_nop 1
	v_cndmask_b32_e32 v32, v16, v5, vcc
; %bb.368:                              ;   in Loop: Header=BB334_303 Depth=1
	s_or_b64 exec, exec, s[0:1]
	v_accvgpr_read_b32 v5, a12
	v_accvgpr_read_b32 v16, a19
	v_cmp_eq_u32_e32 vcc, v16, v5
	v_mov_b32_e32 v5, v19
	v_accvgpr_read_b32 v16, a18
	v_add_u32_e32 v51, v16, v5
	v_add_u32_e32 v16, 1, v51
	v_accvgpr_write_b32 a36, v16
	v_add_u32_e32 v16, 2, v51
	v_accvgpr_write_b32 a35, v16
	;; [unrolled: 2-line block ×6, first 2 shown]
	v_add_u32_e32 v16, 7, v51
	v_lshrrev_b32_e32 v26, 16, v26
	v_lshrrev_b32_e32 v29, 16, v29
	;; [unrolled: 1-line block ×8, first 2 shown]
	v_accvgpr_write_b32 a30, v16
	s_and_saveexec_b64 s[12:13], vcc
	s_cbranch_execz .LBB334_370
; %bb.369:                              ;   in Loop: Header=BB334_303 Depth=1
	scratch_load_dword v16, off, s32 offset:192 ; 4-byte Folded Reload
	v_accvgpr_read_b32 v31, a36
	s_waitcnt vmcnt(0)
	v_cmp_lt_i32_e64 s[0:1], v51, v16
	s_nop 1
	v_cndmask_b32_e64 v8, 0, v8, s[0:1]
	v_cmp_lt_i32_e64 s[0:1], v31, v16
	v_accvgpr_read_b32 v31, a35
	s_nop 0
	v_cndmask_b32_e64 v9, 0, v9, s[0:1]
	v_cmp_lt_i32_e64 s[0:1], v31, v16
	v_accvgpr_read_b32 v31, a34
	;; [unrolled: 4-line block ×6, first 2 shown]
	s_nop 0
	v_cndmask_b32_e64 v5, 0, v5, s[0:1]
	v_cmp_lt_i32_e64 s[0:1], v31, v16
	s_nop 1
	v_cndmask_b32_e64 v4, 0, v4, s[0:1]
.LBB334_370:                            ;   in Loop: Header=BB334_303 Depth=1
	s_or_b64 exec, exec, s[12:13]
	v_and_b32_e32 v44, 0xffff0000, v23
	v_lshlrev_b32_e32 v8, 16, v8
	v_mul_f32_e32 v8, v44, v8
	v_and_b32_e32 v16, 0x7f800000, v8
	v_cmp_ne_u32_e64 s[0:1], s17, v16
                                        ; implicit-def: $agpr14
	s_and_saveexec_b64 s[12:13], s[0:1]
	s_xor_b64 s[0:1], exec, s[12:13]
; %bb.371:                              ;   in Loop: Header=BB334_303 Depth=1
	v_bfe_u32 v16, v8, 16, 1
	v_add3_u32 v8, v8, v16, s20
	v_accvgpr_write_b32 a14, v8
                                        ; implicit-def: $vgpr8
; %bb.372:                              ;   in Loop: Header=BB334_303 Depth=1
	s_andn2_saveexec_b64 s[12:13], s[0:1]
; %bb.373:                              ;   in Loop: Header=BB334_303 Depth=1
	v_or_b32_e32 v16, 0x10000, v8
	v_cmp_eq_u32_sdwa s[0:1], v8, v27 src0_sel:WORD_0 src1_sel:DWORD
	s_nop 1
	v_cndmask_b32_e64 v8, v16, v8, s[0:1]
	v_accvgpr_write_b32 a14, v8
; %bb.374:                              ;   in Loop: Header=BB334_303 Depth=1
	s_or_b64 exec, exec, s[12:13]
	v_and_b32_e32 v45, 0xffff0000, v22
	v_lshlrev_b32_e32 v8, 16, v9
	v_mul_f32_e32 v8, v45, v8
	v_and_b32_e32 v9, 0x7f800000, v8
	v_cmp_ne_u32_e64 s[0:1], s17, v9
                                        ; implicit-def: $agpr21
	s_and_saveexec_b64 s[12:13], s[0:1]
	s_xor_b64 s[0:1], exec, s[12:13]
; %bb.375:                              ;   in Loop: Header=BB334_303 Depth=1
	v_bfe_u32 v9, v8, 16, 1
	v_add3_u32 v8, v8, v9, s20
	v_accvgpr_write_b32 a21, v8
                                        ; implicit-def: $vgpr8
; %bb.376:                              ;   in Loop: Header=BB334_303 Depth=1
	s_andn2_saveexec_b64 s[12:13], s[0:1]
; %bb.377:                              ;   in Loop: Header=BB334_303 Depth=1
	v_or_b32_e32 v9, 0x10000, v8
	v_cmp_eq_u32_sdwa s[0:1], v8, v27 src0_sel:WORD_0 src1_sel:DWORD
	s_nop 1
	v_cndmask_b32_e64 v8, v9, v8, s[0:1]
	v_accvgpr_write_b32 a21, v8
; %bb.378:                              ;   in Loop: Header=BB334_303 Depth=1
	s_or_b64 exec, exec, s[12:13]
	v_and_b32_e32 v46, 0xffff0000, v18
	v_lshlrev_b32_e32 v8, 16, v28
	v_mul_f32_e32 v8, v46, v8
	v_and_b32_e32 v9, 0x7f800000, v8
	v_cmp_ne_u32_e64 s[0:1], s17, v9
                                        ; implicit-def: $agpr24
	s_and_saveexec_b64 s[12:13], s[0:1]
	s_xor_b64 s[0:1], exec, s[12:13]
; %bb.379:                              ;   in Loop: Header=BB334_303 Depth=1
	v_bfe_u32 v9, v8, 16, 1
	v_add3_u32 v8, v8, v9, s20
	v_accvgpr_write_b32 a24, v8
                                        ; implicit-def: $vgpr8
; %bb.380:                              ;   in Loop: Header=BB334_303 Depth=1
	s_andn2_saveexec_b64 s[12:13], s[0:1]
; %bb.381:                              ;   in Loop: Header=BB334_303 Depth=1
	v_or_b32_e32 v9, 0x10000, v8
	v_cmp_eq_u32_sdwa s[0:1], v8, v27 src0_sel:WORD_0 src1_sel:DWORD
	s_nop 1
	v_cndmask_b32_e64 v8, v9, v8, s[0:1]
	v_accvgpr_write_b32 a24, v8
; %bb.382:                              ;   in Loop: Header=BB334_303 Depth=1
	s_or_b64 exec, exec, s[12:13]
	v_and_b32_e32 v47, 0xffff0000, v17
	v_lshlrev_b32_e32 v8, 16, v30
	v_mul_f32_e32 v8, v47, v8
	v_and_b32_e32 v9, 0x7f800000, v8
	v_cmp_ne_u32_e64 s[0:1], s17, v9
                                        ; implicit-def: $agpr25
	s_and_saveexec_b64 s[12:13], s[0:1]
	s_xor_b64 s[0:1], exec, s[12:13]
; %bb.383:                              ;   in Loop: Header=BB334_303 Depth=1
	v_bfe_u32 v9, v8, 16, 1
	v_add3_u32 v8, v8, v9, s20
	v_accvgpr_write_b32 a25, v8
                                        ; implicit-def: $vgpr8
; %bb.384:                              ;   in Loop: Header=BB334_303 Depth=1
	s_andn2_saveexec_b64 s[12:13], s[0:1]
; %bb.385:                              ;   in Loop: Header=BB334_303 Depth=1
	v_or_b32_e32 v9, 0x10000, v8
	v_cmp_eq_u32_sdwa s[0:1], v8, v27 src0_sel:WORD_0 src1_sel:DWORD
	s_nop 1
	v_cndmask_b32_e64 v8, v9, v8, s[0:1]
	v_accvgpr_write_b32 a25, v8
; %bb.386:                              ;   in Loop: Header=BB334_303 Depth=1
	s_or_b64 exec, exec, s[12:13]
	v_and_b32_e32 v62, 0xffff0000, v7
	v_lshlrev_b32_e32 v7, 16, v29
	v_mul_f32_e32 v7, v62, v7
	v_and_b32_e32 v8, 0x7f800000, v7
	v_cmp_ne_u32_e64 s[0:1], s17, v8
                                        ; implicit-def: $agpr26
	s_and_saveexec_b64 s[12:13], s[0:1]
	s_xor_b64 s[0:1], exec, s[12:13]
; %bb.387:                              ;   in Loop: Header=BB334_303 Depth=1
	v_bfe_u32 v8, v7, 16, 1
	v_add3_u32 v7, v7, v8, s20
	v_accvgpr_write_b32 a26, v7
                                        ; implicit-def: $vgpr7
; %bb.388:                              ;   in Loop: Header=BB334_303 Depth=1
	s_andn2_saveexec_b64 s[12:13], s[0:1]
; %bb.389:                              ;   in Loop: Header=BB334_303 Depth=1
	v_or_b32_e32 v8, 0x10000, v7
	v_cmp_eq_u32_sdwa s[0:1], v7, v27 src0_sel:WORD_0 src1_sel:DWORD
	s_nop 1
	v_cndmask_b32_e64 v7, v8, v7, s[0:1]
	v_accvgpr_write_b32 a26, v7
; %bb.390:                              ;   in Loop: Header=BB334_303 Depth=1
	s_or_b64 exec, exec, s[12:13]
	v_and_b32_e32 v63, 0xffff0000, v6
	v_lshlrev_b32_e32 v6, 16, v26
	v_mul_f32_e32 v6, v63, v6
	v_and_b32_e32 v7, 0x7f800000, v6
	v_cmp_ne_u32_e64 s[0:1], s17, v7
                                        ; implicit-def: $agpr27
	s_and_saveexec_b64 s[12:13], s[0:1]
	s_xor_b64 s[0:1], exec, s[12:13]
; %bb.391:                              ;   in Loop: Header=BB334_303 Depth=1
	v_bfe_u32 v7, v6, 16, 1
	v_add3_u32 v6, v6, v7, s20
	v_accvgpr_write_b32 a27, v6
                                        ; implicit-def: $vgpr6
; %bb.392:                              ;   in Loop: Header=BB334_303 Depth=1
	s_andn2_saveexec_b64 s[12:13], s[0:1]
; %bb.393:                              ;   in Loop: Header=BB334_303 Depth=1
	v_or_b32_e32 v7, 0x10000, v6
	v_cmp_eq_u32_sdwa s[0:1], v6, v27 src0_sel:WORD_0 src1_sel:DWORD
	s_nop 1
	v_cndmask_b32_e64 v6, v7, v6, s[0:1]
	v_accvgpr_write_b32 a27, v6
; %bb.394:                              ;   in Loop: Header=BB334_303 Depth=1
	s_or_b64 exec, exec, s[12:13]
	v_and_b32_e32 v34, 0xffff0000, v1
	v_lshlrev_b32_e32 v1, 16, v5
	v_mul_f32_e32 v1, v34, v1
	v_and_b32_e32 v5, 0x7f800000, v1
	v_cmp_ne_u32_e64 s[0:1], s17, v5
                                        ; implicit-def: $agpr28
	s_and_saveexec_b64 s[12:13], s[0:1]
	s_xor_b64 s[0:1], exec, s[12:13]
; %bb.395:                              ;   in Loop: Header=BB334_303 Depth=1
	v_bfe_u32 v5, v1, 16, 1
	v_add3_u32 v1, v1, v5, s20
	v_accvgpr_write_b32 a28, v1
                                        ; implicit-def: $vgpr1
; %bb.396:                              ;   in Loop: Header=BB334_303 Depth=1
	s_andn2_saveexec_b64 s[12:13], s[0:1]
; %bb.397:                              ;   in Loop: Header=BB334_303 Depth=1
	v_or_b32_e32 v5, 0x10000, v1
	v_cmp_eq_u32_sdwa s[0:1], v1, v27 src0_sel:WORD_0 src1_sel:DWORD
	s_nop 1
	v_cndmask_b32_e64 v1, v5, v1, s[0:1]
	v_accvgpr_write_b32 a28, v1
; %bb.398:                              ;   in Loop: Header=BB334_303 Depth=1
	s_or_b64 exec, exec, s[12:13]
	v_and_b32_e32 v29, 0xffff0000, v0
	v_lshlrev_b32_e32 v0, 16, v4
	v_mul_f32_e32 v0, v29, v0
	v_and_b32_e32 v1, 0x7f800000, v0
	v_cmp_ne_u32_e64 s[0:1], s17, v1
                                        ; implicit-def: $agpr29
	s_and_saveexec_b64 s[12:13], s[0:1]
	s_xor_b64 s[0:1], exec, s[12:13]
; %bb.399:                              ;   in Loop: Header=BB334_303 Depth=1
	v_bfe_u32 v1, v0, 16, 1
	v_add3_u32 v0, v0, v1, s20
	v_accvgpr_write_b32 a29, v0
                                        ; implicit-def: $vgpr0
; %bb.400:                              ;   in Loop: Header=BB334_303 Depth=1
	s_andn2_saveexec_b64 s[12:13], s[0:1]
; %bb.401:                              ;   in Loop: Header=BB334_303 Depth=1
	v_or_b32_e32 v1, 0x10000, v0
	v_cmp_eq_u32_sdwa s[0:1], v0, v27 src0_sel:WORD_0 src1_sel:DWORD
	s_nop 1
	v_cndmask_b32_e64 v0, v1, v0, s[0:1]
	v_accvgpr_write_b32 a29, v0
; %bb.402:                              ;   in Loop: Header=BB334_303 Depth=1
	s_or_b64 exec, exec, s[12:13]
	flat_load_dwordx2 v[4:5], v[2:3] offset:512
	s_waitcnt vmcnt(0) lgkmcnt(0)
	v_and_b32_e32 v0, 0xff, v4
	v_cvt_f32_fp8_sdwa v0, v0 src0_sel:BYTE_0
	s_nop 0
	v_mul_f32_e32 v1, v39, v0
	v_and_b32_e32 v0, 0x7f800000, v1
	v_cmp_ne_u32_e64 s[0:1], s17, v0
                                        ; implicit-def: $vgpr0
	s_and_saveexec_b64 s[12:13], s[0:1]
	s_xor_b64 s[0:1], exec, s[12:13]
; %bb.403:                              ;   in Loop: Header=BB334_303 Depth=1
	v_bfe_u32 v0, v1, 16, 1
	v_add3_u32 v0, v1, v0, s20
                                        ; implicit-def: $vgpr1
; %bb.404:                              ;   in Loop: Header=BB334_303 Depth=1
	s_andn2_saveexec_b64 s[12:13], s[0:1]
; %bb.405:                              ;   in Loop: Header=BB334_303 Depth=1
	v_or_b32_e32 v0, 0x10000, v1
	v_cmp_eq_u32_sdwa s[0:1], v1, v27 src0_sel:WORD_0 src1_sel:DWORD
	s_nop 1
	v_cndmask_b32_e64 v0, v0, v1, s[0:1]
; %bb.406:                              ;   in Loop: Header=BB334_303 Depth=1
	s_or_b64 exec, exec, s[12:13]
	v_bfe_u32 v1, v4, 8, 8
	v_cvt_f32_fp8_sdwa v1, v1 src0_sel:BYTE_0
	s_nop 0
	v_mul_f32_e32 v6, v39, v1
	v_and_b32_e32 v1, 0x7f800000, v6
	v_cmp_ne_u32_e64 s[0:1], s17, v1
                                        ; implicit-def: $vgpr1
	s_and_saveexec_b64 s[12:13], s[0:1]
	s_xor_b64 s[0:1], exec, s[12:13]
; %bb.407:                              ;   in Loop: Header=BB334_303 Depth=1
	v_bfe_u32 v1, v6, 16, 1
	v_add3_u32 v1, v6, v1, s20
                                        ; implicit-def: $vgpr6
; %bb.408:                              ;   in Loop: Header=BB334_303 Depth=1
	s_andn2_saveexec_b64 s[12:13], s[0:1]
; %bb.409:                              ;   in Loop: Header=BB334_303 Depth=1
	v_or_b32_e32 v1, 0x10000, v6
	v_cmp_eq_u32_sdwa s[0:1], v6, v27 src0_sel:WORD_0 src1_sel:DWORD
	s_nop 1
	v_cndmask_b32_e64 v1, v1, v6, s[0:1]
; %bb.410:                              ;   in Loop: Header=BB334_303 Depth=1
	s_or_b64 exec, exec, s[12:13]
	v_bfe_u32 v6, v4, 16, 8
	v_cvt_f32_fp8_sdwa v6, v6 src0_sel:BYTE_0
	s_nop 0
	v_mul_f32_e32 v7, v39, v6
	v_and_b32_e32 v6, 0x7f800000, v7
	v_cmp_ne_u32_e64 s[0:1], s17, v6
                                        ; implicit-def: $vgpr6
	s_and_saveexec_b64 s[12:13], s[0:1]
	s_xor_b64 s[0:1], exec, s[12:13]
; %bb.411:                              ;   in Loop: Header=BB334_303 Depth=1
	v_bfe_u32 v6, v7, 16, 1
	v_add3_u32 v6, v7, v6, s20
                                        ; implicit-def: $vgpr7
; %bb.412:                              ;   in Loop: Header=BB334_303 Depth=1
	s_andn2_saveexec_b64 s[12:13], s[0:1]
; %bb.413:                              ;   in Loop: Header=BB334_303 Depth=1
	v_or_b32_e32 v6, 0x10000, v7
	v_cmp_eq_u32_sdwa s[0:1], v7, v27 src0_sel:WORD_0 src1_sel:DWORD
	s_nop 1
	v_cndmask_b32_e64 v6, v6, v7, s[0:1]
; %bb.414:                              ;   in Loop: Header=BB334_303 Depth=1
	s_or_b64 exec, exec, s[12:13]
	v_lshrrev_b32_e32 v4, 24, v4
	v_cvt_f32_fp8_sdwa v4, v4 src0_sel:BYTE_0
	s_nop 0
	v_mul_f32_e32 v4, v39, v4
	v_and_b32_e32 v7, 0x7f800000, v4
	v_cmp_ne_u32_e64 s[0:1], s17, v7
                                        ; implicit-def: $vgpr7
	s_and_saveexec_b64 s[12:13], s[0:1]
	s_xor_b64 s[0:1], exec, s[12:13]
; %bb.415:                              ;   in Loop: Header=BB334_303 Depth=1
	v_bfe_u32 v7, v4, 16, 1
	v_add3_u32 v7, v4, v7, s20
                                        ; implicit-def: $vgpr4
; %bb.416:                              ;   in Loop: Header=BB334_303 Depth=1
	s_andn2_saveexec_b64 s[12:13], s[0:1]
; %bb.417:                              ;   in Loop: Header=BB334_303 Depth=1
	v_or_b32_e32 v7, 0x10000, v4
	v_cmp_eq_u32_sdwa s[0:1], v4, v27 src0_sel:WORD_0 src1_sel:DWORD
	s_nop 1
	v_cndmask_b32_e64 v7, v7, v4, s[0:1]
; %bb.418:                              ;   in Loop: Header=BB334_303 Depth=1
	s_or_b64 exec, exec, s[12:13]
	v_and_b32_e32 v4, 0xff, v5
	v_cvt_f32_fp8_sdwa v4, v4 src0_sel:BYTE_0
	s_nop 0
	v_mul_f32_e32 v4, v39, v4
	v_and_b32_e32 v8, 0x7f800000, v4
	v_cmp_ne_u32_e64 s[0:1], s17, v8
                                        ; implicit-def: $vgpr8
	s_and_saveexec_b64 s[12:13], s[0:1]
	s_xor_b64 s[0:1], exec, s[12:13]
; %bb.419:                              ;   in Loop: Header=BB334_303 Depth=1
	v_bfe_u32 v8, v4, 16, 1
	v_add3_u32 v8, v4, v8, s20
                                        ; implicit-def: $vgpr4
; %bb.420:                              ;   in Loop: Header=BB334_303 Depth=1
	s_andn2_saveexec_b64 s[12:13], s[0:1]
; %bb.421:                              ;   in Loop: Header=BB334_303 Depth=1
	v_or_b32_e32 v8, 0x10000, v4
	v_cmp_eq_u32_sdwa s[0:1], v4, v27 src0_sel:WORD_0 src1_sel:DWORD
	s_nop 1
	v_cndmask_b32_e64 v8, v8, v4, s[0:1]
; %bb.422:                              ;   in Loop: Header=BB334_303 Depth=1
	s_or_b64 exec, exec, s[12:13]
	v_bfe_u32 v4, v5, 8, 8
	v_cvt_f32_fp8_sdwa v4, v4 src0_sel:BYTE_0
	s_nop 0
	v_mul_f32_e32 v9, v39, v4
	v_and_b32_e32 v4, 0x7f800000, v9
	v_cmp_ne_u32_e64 s[0:1], s17, v4
                                        ; implicit-def: $vgpr4
	s_and_saveexec_b64 s[12:13], s[0:1]
	s_xor_b64 s[0:1], exec, s[12:13]
; %bb.423:                              ;   in Loop: Header=BB334_303 Depth=1
	v_bfe_u32 v4, v9, 16, 1
	v_add3_u32 v4, v9, v4, s20
                                        ; implicit-def: $vgpr9
; %bb.424:                              ;   in Loop: Header=BB334_303 Depth=1
	s_andn2_saveexec_b64 s[12:13], s[0:1]
; %bb.425:                              ;   in Loop: Header=BB334_303 Depth=1
	v_or_b32_e32 v4, 0x10000, v9
	v_cmp_eq_u32_sdwa s[0:1], v9, v27 src0_sel:WORD_0 src1_sel:DWORD
	s_nop 1
	v_cndmask_b32_e64 v4, v4, v9, s[0:1]
; %bb.426:                              ;   in Loop: Header=BB334_303 Depth=1
	s_or_b64 exec, exec, s[12:13]
	v_bfe_u32 v9, v5, 16, 8
	v_cvt_f32_fp8_sdwa v9, v9 src0_sel:BYTE_0
	s_nop 0
	v_mul_f32_e32 v17, v39, v9
	v_and_b32_e32 v9, 0x7f800000, v17
	v_cmp_ne_u32_e64 s[0:1], s17, v9
                                        ; implicit-def: $vgpr9
	s_and_saveexec_b64 s[12:13], s[0:1]
	s_xor_b64 s[0:1], exec, s[12:13]
; %bb.427:                              ;   in Loop: Header=BB334_303 Depth=1
	v_bfe_u32 v9, v17, 16, 1
	v_add3_u32 v9, v17, v9, s20
                                        ; implicit-def: $vgpr17
; %bb.428:                              ;   in Loop: Header=BB334_303 Depth=1
	s_andn2_saveexec_b64 s[12:13], s[0:1]
; %bb.429:                              ;   in Loop: Header=BB334_303 Depth=1
	v_or_b32_e32 v9, 0x10000, v17
	v_cmp_eq_u32_sdwa s[0:1], v17, v27 src0_sel:WORD_0 src1_sel:DWORD
	s_nop 1
	v_cndmask_b32_e64 v9, v9, v17, s[0:1]
; %bb.430:                              ;   in Loop: Header=BB334_303 Depth=1
	s_or_b64 exec, exec, s[12:13]
	v_lshrrev_b32_e32 v5, 24, v5
	v_cvt_f32_fp8_sdwa v5, v5 src0_sel:BYTE_0
                                        ; implicit-def: $vgpr18
	s_nop 0
	v_mul_f32_e32 v5, v39, v5
	v_and_b32_e32 v16, 0x7f800000, v5
	v_cmp_ne_u32_e64 s[0:1], s17, v16
	s_and_saveexec_b64 s[12:13], s[0:1]
	s_xor_b64 s[0:1], exec, s[12:13]
; %bb.431:                              ;   in Loop: Header=BB334_303 Depth=1
	v_bfe_u32 v16, v5, 16, 1
	v_add3_u32 v18, v5, v16, s20
                                        ; implicit-def: $vgpr5
; %bb.432:                              ;   in Loop: Header=BB334_303 Depth=1
	s_andn2_saveexec_b64 s[12:13], s[0:1]
; %bb.433:                              ;   in Loop: Header=BB334_303 Depth=1
	v_or_b32_e32 v16, 0x10000, v5
	v_cmp_eq_u32_sdwa s[0:1], v5, v27 src0_sel:WORD_0 src1_sel:DWORD
	s_nop 1
	v_cndmask_b32_e64 v18, v16, v5, s[0:1]
; %bb.434:                              ;   in Loop: Header=BB334_303 Depth=1
	s_or_b64 exec, exec, s[12:13]
	v_lshrrev_b32_e32 v4, 16, v4
	v_lshrrev_b32_e32 v5, 16, v8
	;; [unrolled: 1-line block ×8, first 2 shown]
	s_and_saveexec_b64 s[12:13], vcc
	s_cbranch_execz .LBB334_436
; %bb.435:                              ;   in Loop: Header=BB334_303 Depth=1
	scratch_load_dword v9, off, s32 offset:192 ; 4-byte Folded Reload
	v_accvgpr_read_b32 v16, a36
	s_waitcnt vmcnt(0)
	v_cmp_lt_i32_e64 s[0:1], v51, v9
	s_nop 1
	v_cndmask_b32_e64 v17, 0, v17, s[0:1]
	v_cmp_lt_i32_e64 s[0:1], v16, v9
	v_accvgpr_read_b32 v16, a35
	s_nop 0
	v_cndmask_b32_e64 v8, 0, v8, s[0:1]
	v_cmp_lt_i32_e64 s[0:1], v16, v9
	v_accvgpr_read_b32 v16, a34
	;; [unrolled: 4-line block ×6, first 2 shown]
	s_nop 0
	v_cndmask_b32_e64 v1, 0, v1, s[0:1]
	v_cmp_lt_i32_e64 s[0:1], v16, v9
	s_nop 1
	v_cndmask_b32_e64 v0, 0, v0, s[0:1]
.LBB334_436:                            ;   in Loop: Header=BB334_303 Depth=1
	s_or_b64 exec, exec, s[12:13]
	v_lshlrev_b32_e32 v9, 16, v17
	v_mul_f32_e32 v9, v44, v9
	v_and_b32_e32 v16, 0x7f800000, v9
	v_cmp_ne_u32_e64 s[0:1], s17, v16
                                        ; implicit-def: $agpr37
	s_and_saveexec_b64 s[12:13], s[0:1]
	s_xor_b64 s[0:1], exec, s[12:13]
; %bb.437:                              ;   in Loop: Header=BB334_303 Depth=1
	v_bfe_u32 v16, v9, 16, 1
	v_add3_u32 v9, v9, v16, s20
	v_accvgpr_write_b32 a37, v9
                                        ; implicit-def: $vgpr9
; %bb.438:                              ;   in Loop: Header=BB334_303 Depth=1
	s_andn2_saveexec_b64 s[12:13], s[0:1]
; %bb.439:                              ;   in Loop: Header=BB334_303 Depth=1
	v_or_b32_e32 v16, 0x10000, v9
	v_cmp_eq_u32_sdwa s[0:1], v9, v27 src0_sel:WORD_0 src1_sel:DWORD
	s_nop 1
	v_cndmask_b32_e64 v9, v16, v9, s[0:1]
	v_accvgpr_write_b32 a37, v9
; %bb.440:                              ;   in Loop: Header=BB334_303 Depth=1
	s_or_b64 exec, exec, s[12:13]
	v_lshlrev_b32_e32 v8, 16, v8
	v_mul_f32_e32 v8, v45, v8
	v_and_b32_e32 v9, 0x7f800000, v8
	v_cmp_ne_u32_e64 s[0:1], s17, v9
                                        ; implicit-def: $agpr38
	s_and_saveexec_b64 s[12:13], s[0:1]
	s_xor_b64 s[0:1], exec, s[12:13]
; %bb.441:                              ;   in Loop: Header=BB334_303 Depth=1
	v_bfe_u32 v9, v8, 16, 1
	v_add3_u32 v8, v8, v9, s20
	v_accvgpr_write_b32 a38, v8
                                        ; implicit-def: $vgpr8
; %bb.442:                              ;   in Loop: Header=BB334_303 Depth=1
	s_andn2_saveexec_b64 s[12:13], s[0:1]
; %bb.443:                              ;   in Loop: Header=BB334_303 Depth=1
	v_or_b32_e32 v9, 0x10000, v8
	v_cmp_eq_u32_sdwa s[0:1], v8, v27 src0_sel:WORD_0 src1_sel:DWORD
	s_nop 1
	v_cndmask_b32_e64 v8, v9, v8, s[0:1]
	v_accvgpr_write_b32 a38, v8
; %bb.444:                              ;   in Loop: Header=BB334_303 Depth=1
	s_or_b64 exec, exec, s[12:13]
	v_lshlrev_b32_e32 v6, 16, v6
	v_mul_f32_e32 v6, v46, v6
	v_and_b32_e32 v8, 0x7f800000, v6
	v_cmp_ne_u32_e64 s[0:1], s17, v8
                                        ; implicit-def: $agpr39
	s_and_saveexec_b64 s[12:13], s[0:1]
	s_xor_b64 s[0:1], exec, s[12:13]
; %bb.445:                              ;   in Loop: Header=BB334_303 Depth=1
	v_bfe_u32 v8, v6, 16, 1
	v_add3_u32 v6, v6, v8, s20
	v_accvgpr_write_b32 a39, v6
                                        ; implicit-def: $vgpr6
; %bb.446:                              ;   in Loop: Header=BB334_303 Depth=1
	s_andn2_saveexec_b64 s[12:13], s[0:1]
; %bb.447:                              ;   in Loop: Header=BB334_303 Depth=1
	v_or_b32_e32 v8, 0x10000, v6
	v_cmp_eq_u32_sdwa s[0:1], v6, v27 src0_sel:WORD_0 src1_sel:DWORD
	s_nop 1
	v_cndmask_b32_e64 v6, v8, v6, s[0:1]
	v_accvgpr_write_b32 a39, v6
; %bb.448:                              ;   in Loop: Header=BB334_303 Depth=1
	s_or_b64 exec, exec, s[12:13]
	v_lshlrev_b32_e32 v6, 16, v7
	v_mul_f32_e32 v6, v47, v6
	v_and_b32_e32 v7, 0x7f800000, v6
	v_cmp_ne_u32_e64 s[0:1], s17, v7
                                        ; implicit-def: $agpr40
	s_and_saveexec_b64 s[12:13], s[0:1]
	s_xor_b64 s[0:1], exec, s[12:13]
; %bb.449:                              ;   in Loop: Header=BB334_303 Depth=1
	v_bfe_u32 v7, v6, 16, 1
	v_add3_u32 v6, v6, v7, s20
	v_accvgpr_write_b32 a40, v6
                                        ; implicit-def: $vgpr6
; %bb.450:                              ;   in Loop: Header=BB334_303 Depth=1
	s_andn2_saveexec_b64 s[12:13], s[0:1]
; %bb.451:                              ;   in Loop: Header=BB334_303 Depth=1
	v_or_b32_e32 v7, 0x10000, v6
	v_cmp_eq_u32_sdwa s[0:1], v6, v27 src0_sel:WORD_0 src1_sel:DWORD
	s_nop 1
	v_cndmask_b32_e64 v6, v7, v6, s[0:1]
	v_accvgpr_write_b32 a40, v6
; %bb.452:                              ;   in Loop: Header=BB334_303 Depth=1
	s_or_b64 exec, exec, s[12:13]
	v_lshlrev_b32_e32 v5, 16, v5
	v_mul_f32_e32 v5, v62, v5
	v_and_b32_e32 v6, 0x7f800000, v5
	v_cmp_ne_u32_e64 s[0:1], s17, v6
                                        ; implicit-def: $agpr41
	s_and_saveexec_b64 s[12:13], s[0:1]
	s_xor_b64 s[0:1], exec, s[12:13]
; %bb.453:                              ;   in Loop: Header=BB334_303 Depth=1
	v_bfe_u32 v6, v5, 16, 1
	v_add3_u32 v5, v5, v6, s20
	v_accvgpr_write_b32 a41, v5
                                        ; implicit-def: $vgpr5
; %bb.454:                              ;   in Loop: Header=BB334_303 Depth=1
	s_andn2_saveexec_b64 s[12:13], s[0:1]
; %bb.455:                              ;   in Loop: Header=BB334_303 Depth=1
	v_or_b32_e32 v6, 0x10000, v5
	v_cmp_eq_u32_sdwa s[0:1], v5, v27 src0_sel:WORD_0 src1_sel:DWORD
	s_nop 1
	v_cndmask_b32_e64 v5, v6, v5, s[0:1]
	v_accvgpr_write_b32 a41, v5
; %bb.456:                              ;   in Loop: Header=BB334_303 Depth=1
	s_or_b64 exec, exec, s[12:13]
	v_lshlrev_b32_e32 v4, 16, v4
	v_mul_f32_e32 v4, v63, v4
	v_and_b32_e32 v5, 0x7f800000, v4
	v_cmp_ne_u32_e64 s[0:1], s17, v5
                                        ; implicit-def: $agpr42
	s_and_saveexec_b64 s[12:13], s[0:1]
	s_xor_b64 s[0:1], exec, s[12:13]
; %bb.457:                              ;   in Loop: Header=BB334_303 Depth=1
	v_bfe_u32 v5, v4, 16, 1
	v_add3_u32 v4, v4, v5, s20
	v_accvgpr_write_b32 a42, v4
                                        ; implicit-def: $vgpr4
; %bb.458:                              ;   in Loop: Header=BB334_303 Depth=1
	s_andn2_saveexec_b64 s[12:13], s[0:1]
; %bb.459:                              ;   in Loop: Header=BB334_303 Depth=1
	v_or_b32_e32 v5, 0x10000, v4
	v_cmp_eq_u32_sdwa s[0:1], v4, v27 src0_sel:WORD_0 src1_sel:DWORD
	s_nop 1
	v_cndmask_b32_e64 v4, v5, v4, s[0:1]
	v_accvgpr_write_b32 a42, v4
; %bb.460:                              ;   in Loop: Header=BB334_303 Depth=1
	s_or_b64 exec, exec, s[12:13]
	v_lshlrev_b32_e32 v1, 16, v1
	v_mul_f32_e32 v1, v34, v1
	v_and_b32_e32 v4, 0x7f800000, v1
	v_cmp_ne_u32_e64 s[0:1], s17, v4
                                        ; implicit-def: $agpr43
	s_and_saveexec_b64 s[12:13], s[0:1]
	s_xor_b64 s[0:1], exec, s[12:13]
; %bb.461:                              ;   in Loop: Header=BB334_303 Depth=1
	v_bfe_u32 v4, v1, 16, 1
	v_add3_u32 v1, v1, v4, s20
	v_accvgpr_write_b32 a43, v1
                                        ; implicit-def: $vgpr1
; %bb.462:                              ;   in Loop: Header=BB334_303 Depth=1
	s_andn2_saveexec_b64 s[12:13], s[0:1]
; %bb.463:                              ;   in Loop: Header=BB334_303 Depth=1
	v_or_b32_e32 v4, 0x10000, v1
	v_cmp_eq_u32_sdwa s[0:1], v1, v27 src0_sel:WORD_0 src1_sel:DWORD
	s_nop 1
	v_cndmask_b32_e64 v1, v4, v1, s[0:1]
	v_accvgpr_write_b32 a43, v1
; %bb.464:                              ;   in Loop: Header=BB334_303 Depth=1
	s_or_b64 exec, exec, s[12:13]
	v_lshlrev_b32_e32 v0, 16, v0
	v_mul_f32_e32 v0, v29, v0
	v_and_b32_e32 v1, 0x7f800000, v0
	v_cmp_ne_u32_e64 s[0:1], s17, v1
                                        ; implicit-def: $agpr44
	s_and_saveexec_b64 s[12:13], s[0:1]
	s_xor_b64 s[0:1], exec, s[12:13]
; %bb.465:                              ;   in Loop: Header=BB334_303 Depth=1
	v_bfe_u32 v1, v0, 16, 1
	v_add3_u32 v0, v0, v1, s20
	v_accvgpr_write_b32 a44, v0
                                        ; implicit-def: $vgpr0
; %bb.466:                              ;   in Loop: Header=BB334_303 Depth=1
	s_andn2_saveexec_b64 s[12:13], s[0:1]
; %bb.467:                              ;   in Loop: Header=BB334_303 Depth=1
	v_or_b32_e32 v1, 0x10000, v0
	v_cmp_eq_u32_sdwa s[0:1], v0, v27 src0_sel:WORD_0 src1_sel:DWORD
	s_nop 1
	v_cndmask_b32_e64 v0, v1, v0, s[0:1]
	v_accvgpr_write_b32 a44, v0
; %bb.468:                              ;   in Loop: Header=BB334_303 Depth=1
	s_or_b64 exec, exec, s[12:13]
	flat_load_dwordx2 v[4:5], v[2:3] offset:1024
	s_waitcnt vmcnt(0) lgkmcnt(0)
	v_and_b32_e32 v0, 0xff, v4
	v_cvt_f32_fp8_sdwa v0, v0 src0_sel:BYTE_0
	s_nop 0
	v_mul_f32_e32 v1, v39, v0
	v_and_b32_e32 v0, 0x7f800000, v1
	v_cmp_ne_u32_e64 s[0:1], s17, v0
                                        ; implicit-def: $vgpr0
	s_and_saveexec_b64 s[12:13], s[0:1]
	s_xor_b64 s[0:1], exec, s[12:13]
; %bb.469:                              ;   in Loop: Header=BB334_303 Depth=1
	v_bfe_u32 v0, v1, 16, 1
	v_add3_u32 v0, v1, v0, s20
                                        ; implicit-def: $vgpr1
; %bb.470:                              ;   in Loop: Header=BB334_303 Depth=1
	s_andn2_saveexec_b64 s[12:13], s[0:1]
; %bb.471:                              ;   in Loop: Header=BB334_303 Depth=1
	v_or_b32_e32 v0, 0x10000, v1
	v_cmp_eq_u32_sdwa s[0:1], v1, v27 src0_sel:WORD_0 src1_sel:DWORD
	s_nop 1
	v_cndmask_b32_e64 v0, v0, v1, s[0:1]
; %bb.472:                              ;   in Loop: Header=BB334_303 Depth=1
	s_or_b64 exec, exec, s[12:13]
	v_bfe_u32 v1, v4, 8, 8
	v_cvt_f32_fp8_sdwa v1, v1 src0_sel:BYTE_0
	s_nop 0
	v_mul_f32_e32 v6, v39, v1
	v_and_b32_e32 v1, 0x7f800000, v6
	v_cmp_ne_u32_e64 s[0:1], s17, v1
                                        ; implicit-def: $vgpr1
	s_and_saveexec_b64 s[12:13], s[0:1]
	s_xor_b64 s[0:1], exec, s[12:13]
; %bb.473:                              ;   in Loop: Header=BB334_303 Depth=1
	v_bfe_u32 v1, v6, 16, 1
	v_add3_u32 v1, v6, v1, s20
                                        ; implicit-def: $vgpr6
; %bb.474:                              ;   in Loop: Header=BB334_303 Depth=1
	s_andn2_saveexec_b64 s[12:13], s[0:1]
; %bb.475:                              ;   in Loop: Header=BB334_303 Depth=1
	v_or_b32_e32 v1, 0x10000, v6
	v_cmp_eq_u32_sdwa s[0:1], v6, v27 src0_sel:WORD_0 src1_sel:DWORD
	s_nop 1
	v_cndmask_b32_e64 v1, v1, v6, s[0:1]
; %bb.476:                              ;   in Loop: Header=BB334_303 Depth=1
	s_or_b64 exec, exec, s[12:13]
	v_bfe_u32 v6, v4, 16, 8
	v_cvt_f32_fp8_sdwa v6, v6 src0_sel:BYTE_0
	s_nop 0
	v_mul_f32_e32 v7, v39, v6
	v_and_b32_e32 v6, 0x7f800000, v7
	v_cmp_ne_u32_e64 s[0:1], s17, v6
                                        ; implicit-def: $vgpr6
	s_and_saveexec_b64 s[12:13], s[0:1]
	s_xor_b64 s[0:1], exec, s[12:13]
; %bb.477:                              ;   in Loop: Header=BB334_303 Depth=1
	v_bfe_u32 v6, v7, 16, 1
	v_add3_u32 v6, v7, v6, s20
                                        ; implicit-def: $vgpr7
; %bb.478:                              ;   in Loop: Header=BB334_303 Depth=1
	s_andn2_saveexec_b64 s[12:13], s[0:1]
; %bb.479:                              ;   in Loop: Header=BB334_303 Depth=1
	v_or_b32_e32 v6, 0x10000, v7
	v_cmp_eq_u32_sdwa s[0:1], v7, v27 src0_sel:WORD_0 src1_sel:DWORD
	s_nop 1
	v_cndmask_b32_e64 v6, v6, v7, s[0:1]
; %bb.480:                              ;   in Loop: Header=BB334_303 Depth=1
	s_or_b64 exec, exec, s[12:13]
	v_lshrrev_b32_e32 v4, 24, v4
	v_cvt_f32_fp8_sdwa v4, v4 src0_sel:BYTE_0
	s_nop 0
	v_mul_f32_e32 v4, v39, v4
	v_and_b32_e32 v7, 0x7f800000, v4
	v_cmp_ne_u32_e64 s[0:1], s17, v7
                                        ; implicit-def: $vgpr7
	s_and_saveexec_b64 s[12:13], s[0:1]
	s_xor_b64 s[0:1], exec, s[12:13]
; %bb.481:                              ;   in Loop: Header=BB334_303 Depth=1
	v_bfe_u32 v7, v4, 16, 1
	v_add3_u32 v7, v4, v7, s20
                                        ; implicit-def: $vgpr4
; %bb.482:                              ;   in Loop: Header=BB334_303 Depth=1
	s_andn2_saveexec_b64 s[12:13], s[0:1]
; %bb.483:                              ;   in Loop: Header=BB334_303 Depth=1
	v_or_b32_e32 v7, 0x10000, v4
	v_cmp_eq_u32_sdwa s[0:1], v4, v27 src0_sel:WORD_0 src1_sel:DWORD
	s_nop 1
	v_cndmask_b32_e64 v7, v7, v4, s[0:1]
; %bb.484:                              ;   in Loop: Header=BB334_303 Depth=1
	s_or_b64 exec, exec, s[12:13]
	v_and_b32_e32 v4, 0xff, v5
	v_cvt_f32_fp8_sdwa v4, v4 src0_sel:BYTE_0
	s_nop 0
	v_mul_f32_e32 v4, v39, v4
	v_and_b32_e32 v8, 0x7f800000, v4
	v_cmp_ne_u32_e64 s[0:1], s17, v8
                                        ; implicit-def: $vgpr8
	s_and_saveexec_b64 s[12:13], s[0:1]
	s_xor_b64 s[0:1], exec, s[12:13]
; %bb.485:                              ;   in Loop: Header=BB334_303 Depth=1
	v_bfe_u32 v8, v4, 16, 1
	v_add3_u32 v8, v4, v8, s20
                                        ; implicit-def: $vgpr4
; %bb.486:                              ;   in Loop: Header=BB334_303 Depth=1
	s_andn2_saveexec_b64 s[12:13], s[0:1]
; %bb.487:                              ;   in Loop: Header=BB334_303 Depth=1
	v_or_b32_e32 v8, 0x10000, v4
	v_cmp_eq_u32_sdwa s[0:1], v4, v27 src0_sel:WORD_0 src1_sel:DWORD
	s_nop 1
	v_cndmask_b32_e64 v8, v8, v4, s[0:1]
; %bb.488:                              ;   in Loop: Header=BB334_303 Depth=1
	s_or_b64 exec, exec, s[12:13]
	v_bfe_u32 v4, v5, 8, 8
	v_cvt_f32_fp8_sdwa v4, v4 src0_sel:BYTE_0
	s_nop 0
	v_mul_f32_e32 v9, v39, v4
	v_and_b32_e32 v4, 0x7f800000, v9
	v_cmp_ne_u32_e64 s[0:1], s17, v4
                                        ; implicit-def: $vgpr4
	s_and_saveexec_b64 s[12:13], s[0:1]
	s_xor_b64 s[0:1], exec, s[12:13]
; %bb.489:                              ;   in Loop: Header=BB334_303 Depth=1
	v_bfe_u32 v4, v9, 16, 1
	v_add3_u32 v4, v9, v4, s20
                                        ; implicit-def: $vgpr9
; %bb.490:                              ;   in Loop: Header=BB334_303 Depth=1
	s_andn2_saveexec_b64 s[12:13], s[0:1]
; %bb.491:                              ;   in Loop: Header=BB334_303 Depth=1
	v_or_b32_e32 v4, 0x10000, v9
	v_cmp_eq_u32_sdwa s[0:1], v9, v27 src0_sel:WORD_0 src1_sel:DWORD
	s_nop 1
	v_cndmask_b32_e64 v4, v4, v9, s[0:1]
; %bb.492:                              ;   in Loop: Header=BB334_303 Depth=1
	s_or_b64 exec, exec, s[12:13]
	v_bfe_u32 v9, v5, 16, 8
	v_cvt_f32_fp8_sdwa v9, v9 src0_sel:BYTE_0
	s_nop 0
	v_mul_f32_e32 v17, v39, v9
	v_and_b32_e32 v9, 0x7f800000, v17
	v_cmp_ne_u32_e64 s[0:1], s17, v9
                                        ; implicit-def: $vgpr9
	s_and_saveexec_b64 s[12:13], s[0:1]
	s_xor_b64 s[0:1], exec, s[12:13]
; %bb.493:                              ;   in Loop: Header=BB334_303 Depth=1
	v_bfe_u32 v9, v17, 16, 1
	v_add3_u32 v9, v17, v9, s20
                                        ; implicit-def: $vgpr17
; %bb.494:                              ;   in Loop: Header=BB334_303 Depth=1
	s_andn2_saveexec_b64 s[12:13], s[0:1]
; %bb.495:                              ;   in Loop: Header=BB334_303 Depth=1
	v_or_b32_e32 v9, 0x10000, v17
	v_cmp_eq_u32_sdwa s[0:1], v17, v27 src0_sel:WORD_0 src1_sel:DWORD
	s_nop 1
	v_cndmask_b32_e64 v9, v9, v17, s[0:1]
; %bb.496:                              ;   in Loop: Header=BB334_303 Depth=1
	s_or_b64 exec, exec, s[12:13]
	v_lshrrev_b32_e32 v5, 24, v5
	v_cvt_f32_fp8_sdwa v5, v5 src0_sel:BYTE_0
                                        ; implicit-def: $vgpr18
	s_nop 0
	v_mul_f32_e32 v5, v39, v5
	v_and_b32_e32 v16, 0x7f800000, v5
	v_cmp_ne_u32_e64 s[0:1], s17, v16
	s_and_saveexec_b64 s[12:13], s[0:1]
	s_xor_b64 s[0:1], exec, s[12:13]
; %bb.497:                              ;   in Loop: Header=BB334_303 Depth=1
	v_bfe_u32 v16, v5, 16, 1
	v_add3_u32 v18, v5, v16, s20
                                        ; implicit-def: $vgpr5
; %bb.498:                              ;   in Loop: Header=BB334_303 Depth=1
	s_andn2_saveexec_b64 s[12:13], s[0:1]
; %bb.499:                              ;   in Loop: Header=BB334_303 Depth=1
	v_or_b32_e32 v16, 0x10000, v5
	v_cmp_eq_u32_sdwa s[0:1], v5, v27 src0_sel:WORD_0 src1_sel:DWORD
	s_nop 1
	v_cndmask_b32_e64 v18, v16, v5, s[0:1]
; %bb.500:                              ;   in Loop: Header=BB334_303 Depth=1
	s_or_b64 exec, exec, s[12:13]
	v_lshrrev_b32_e32 v4, 16, v4
	v_lshrrev_b32_e32 v5, 16, v8
	;; [unrolled: 1-line block ×8, first 2 shown]
	s_and_saveexec_b64 s[12:13], vcc
	s_cbranch_execz .LBB334_502
; %bb.501:                              ;   in Loop: Header=BB334_303 Depth=1
	scratch_load_dword v9, off, s32 offset:192 ; 4-byte Folded Reload
	v_accvgpr_read_b32 v16, a36
	s_waitcnt vmcnt(0)
	v_cmp_lt_i32_e64 s[0:1], v51, v9
	s_nop 1
	v_cndmask_b32_e64 v17, 0, v17, s[0:1]
	v_cmp_lt_i32_e64 s[0:1], v16, v9
	v_accvgpr_read_b32 v16, a35
	s_nop 0
	v_cndmask_b32_e64 v8, 0, v8, s[0:1]
	v_cmp_lt_i32_e64 s[0:1], v16, v9
	v_accvgpr_read_b32 v16, a34
	;; [unrolled: 4-line block ×6, first 2 shown]
	s_nop 0
	v_cndmask_b32_e64 v1, 0, v1, s[0:1]
	v_cmp_lt_i32_e64 s[0:1], v16, v9
	s_nop 1
	v_cndmask_b32_e64 v0, 0, v0, s[0:1]
.LBB334_502:                            ;   in Loop: Header=BB334_303 Depth=1
	s_or_b64 exec, exec, s[12:13]
	v_lshlrev_b32_e32 v9, 16, v17
	v_mul_f32_e32 v9, v44, v9
	v_and_b32_e32 v16, 0x7f800000, v9
	v_cmp_ne_u32_e64 s[0:1], s17, v16
                                        ; implicit-def: $agpr45
	s_and_saveexec_b64 s[12:13], s[0:1]
	s_xor_b64 s[0:1], exec, s[12:13]
; %bb.503:                              ;   in Loop: Header=BB334_303 Depth=1
	v_bfe_u32 v16, v9, 16, 1
	v_add3_u32 v9, v9, v16, s20
	v_accvgpr_write_b32 a45, v9
                                        ; implicit-def: $vgpr9
; %bb.504:                              ;   in Loop: Header=BB334_303 Depth=1
	s_andn2_saveexec_b64 s[12:13], s[0:1]
; %bb.505:                              ;   in Loop: Header=BB334_303 Depth=1
	v_or_b32_e32 v16, 0x10000, v9
	v_cmp_eq_u32_sdwa s[0:1], v9, v27 src0_sel:WORD_0 src1_sel:DWORD
	s_nop 1
	v_cndmask_b32_e64 v9, v16, v9, s[0:1]
	v_accvgpr_write_b32 a45, v9
; %bb.506:                              ;   in Loop: Header=BB334_303 Depth=1
	s_or_b64 exec, exec, s[12:13]
	v_lshlrev_b32_e32 v8, 16, v8
	v_mul_f32_e32 v8, v45, v8
	v_and_b32_e32 v9, 0x7f800000, v8
	v_cmp_ne_u32_e64 s[0:1], s17, v9
                                        ; implicit-def: $agpr46
	s_and_saveexec_b64 s[12:13], s[0:1]
	s_xor_b64 s[0:1], exec, s[12:13]
; %bb.507:                              ;   in Loop: Header=BB334_303 Depth=1
	v_bfe_u32 v9, v8, 16, 1
	v_add3_u32 v8, v8, v9, s20
	v_accvgpr_write_b32 a46, v8
                                        ; implicit-def: $vgpr8
; %bb.508:                              ;   in Loop: Header=BB334_303 Depth=1
	s_andn2_saveexec_b64 s[12:13], s[0:1]
; %bb.509:                              ;   in Loop: Header=BB334_303 Depth=1
	v_or_b32_e32 v9, 0x10000, v8
	v_cmp_eq_u32_sdwa s[0:1], v8, v27 src0_sel:WORD_0 src1_sel:DWORD
	s_nop 1
	v_cndmask_b32_e64 v8, v9, v8, s[0:1]
	v_accvgpr_write_b32 a46, v8
; %bb.510:                              ;   in Loop: Header=BB334_303 Depth=1
	s_or_b64 exec, exec, s[12:13]
	v_lshlrev_b32_e32 v6, 16, v6
	v_mul_f32_e32 v6, v46, v6
	v_and_b32_e32 v8, 0x7f800000, v6
	v_cmp_ne_u32_e64 s[0:1], s17, v8
                                        ; implicit-def: $agpr47
	s_and_saveexec_b64 s[12:13], s[0:1]
	s_xor_b64 s[0:1], exec, s[12:13]
; %bb.511:                              ;   in Loop: Header=BB334_303 Depth=1
	v_bfe_u32 v8, v6, 16, 1
	v_add3_u32 v6, v6, v8, s20
	v_accvgpr_write_b32 a47, v6
                                        ; implicit-def: $vgpr6
; %bb.512:                              ;   in Loop: Header=BB334_303 Depth=1
	s_andn2_saveexec_b64 s[12:13], s[0:1]
; %bb.513:                              ;   in Loop: Header=BB334_303 Depth=1
	v_or_b32_e32 v8, 0x10000, v6
	v_cmp_eq_u32_sdwa s[0:1], v6, v27 src0_sel:WORD_0 src1_sel:DWORD
	s_nop 1
	v_cndmask_b32_e64 v6, v8, v6, s[0:1]
	v_accvgpr_write_b32 a47, v6
; %bb.514:                              ;   in Loop: Header=BB334_303 Depth=1
	s_or_b64 exec, exec, s[12:13]
	v_lshlrev_b32_e32 v6, 16, v7
	v_mul_f32_e32 v6, v47, v6
	v_and_b32_e32 v7, 0x7f800000, v6
	v_cmp_ne_u32_e64 s[0:1], s17, v7
                                        ; implicit-def: $agpr48
	s_and_saveexec_b64 s[12:13], s[0:1]
	s_xor_b64 s[0:1], exec, s[12:13]
; %bb.515:                              ;   in Loop: Header=BB334_303 Depth=1
	v_bfe_u32 v7, v6, 16, 1
	v_add3_u32 v6, v6, v7, s20
	v_accvgpr_write_b32 a48, v6
                                        ; implicit-def: $vgpr6
; %bb.516:                              ;   in Loop: Header=BB334_303 Depth=1
	s_andn2_saveexec_b64 s[12:13], s[0:1]
; %bb.517:                              ;   in Loop: Header=BB334_303 Depth=1
	v_or_b32_e32 v7, 0x10000, v6
	v_cmp_eq_u32_sdwa s[0:1], v6, v27 src0_sel:WORD_0 src1_sel:DWORD
	s_nop 1
	v_cndmask_b32_e64 v6, v7, v6, s[0:1]
	v_accvgpr_write_b32 a48, v6
; %bb.518:                              ;   in Loop: Header=BB334_303 Depth=1
	s_or_b64 exec, exec, s[12:13]
	v_lshlrev_b32_e32 v5, 16, v5
	v_mul_f32_e32 v5, v62, v5
	v_and_b32_e32 v6, 0x7f800000, v5
	v_cmp_ne_u32_e64 s[0:1], s17, v6
                                        ; implicit-def: $agpr49
	s_and_saveexec_b64 s[12:13], s[0:1]
	s_xor_b64 s[0:1], exec, s[12:13]
; %bb.519:                              ;   in Loop: Header=BB334_303 Depth=1
	v_bfe_u32 v6, v5, 16, 1
	v_add3_u32 v5, v5, v6, s20
	v_accvgpr_write_b32 a49, v5
                                        ; implicit-def: $vgpr5
; %bb.520:                              ;   in Loop: Header=BB334_303 Depth=1
	s_andn2_saveexec_b64 s[12:13], s[0:1]
; %bb.521:                              ;   in Loop: Header=BB334_303 Depth=1
	v_or_b32_e32 v6, 0x10000, v5
	v_cmp_eq_u32_sdwa s[0:1], v5, v27 src0_sel:WORD_0 src1_sel:DWORD
	s_nop 1
	v_cndmask_b32_e64 v5, v6, v5, s[0:1]
	v_accvgpr_write_b32 a49, v5
; %bb.522:                              ;   in Loop: Header=BB334_303 Depth=1
	s_or_b64 exec, exec, s[12:13]
	v_lshlrev_b32_e32 v4, 16, v4
	v_mul_f32_e32 v4, v63, v4
	v_and_b32_e32 v5, 0x7f800000, v4
	v_cmp_ne_u32_e64 s[0:1], s17, v5
                                        ; implicit-def: $agpr50
	s_and_saveexec_b64 s[12:13], s[0:1]
	s_xor_b64 s[0:1], exec, s[12:13]
; %bb.523:                              ;   in Loop: Header=BB334_303 Depth=1
	v_bfe_u32 v5, v4, 16, 1
	v_add3_u32 v4, v4, v5, s20
	v_accvgpr_write_b32 a50, v4
                                        ; implicit-def: $vgpr4
; %bb.524:                              ;   in Loop: Header=BB334_303 Depth=1
	s_andn2_saveexec_b64 s[12:13], s[0:1]
; %bb.525:                              ;   in Loop: Header=BB334_303 Depth=1
	v_or_b32_e32 v5, 0x10000, v4
	v_cmp_eq_u32_sdwa s[0:1], v4, v27 src0_sel:WORD_0 src1_sel:DWORD
	s_nop 1
	v_cndmask_b32_e64 v4, v5, v4, s[0:1]
	v_accvgpr_write_b32 a50, v4
; %bb.526:                              ;   in Loop: Header=BB334_303 Depth=1
	s_or_b64 exec, exec, s[12:13]
	v_lshlrev_b32_e32 v1, 16, v1
	v_mul_f32_e32 v1, v34, v1
	v_and_b32_e32 v4, 0x7f800000, v1
	v_cmp_ne_u32_e64 s[0:1], s17, v4
                                        ; implicit-def: $agpr51
	s_and_saveexec_b64 s[12:13], s[0:1]
	s_xor_b64 s[0:1], exec, s[12:13]
; %bb.527:                              ;   in Loop: Header=BB334_303 Depth=1
	v_bfe_u32 v4, v1, 16, 1
	v_add3_u32 v1, v1, v4, s20
	v_accvgpr_write_b32 a51, v1
                                        ; implicit-def: $vgpr1
; %bb.528:                              ;   in Loop: Header=BB334_303 Depth=1
	s_andn2_saveexec_b64 s[12:13], s[0:1]
; %bb.529:                              ;   in Loop: Header=BB334_303 Depth=1
	v_or_b32_e32 v4, 0x10000, v1
	v_cmp_eq_u32_sdwa s[0:1], v1, v27 src0_sel:WORD_0 src1_sel:DWORD
	s_nop 1
	v_cndmask_b32_e64 v1, v4, v1, s[0:1]
	v_accvgpr_write_b32 a51, v1
; %bb.530:                              ;   in Loop: Header=BB334_303 Depth=1
	s_or_b64 exec, exec, s[12:13]
	v_lshlrev_b32_e32 v0, 16, v0
	v_mul_f32_e32 v0, v29, v0
	v_and_b32_e32 v1, 0x7f800000, v0
	v_cmp_ne_u32_e64 s[0:1], s17, v1
                                        ; implicit-def: $agpr52
	s_and_saveexec_b64 s[12:13], s[0:1]
	s_xor_b64 s[0:1], exec, s[12:13]
; %bb.531:                              ;   in Loop: Header=BB334_303 Depth=1
	v_bfe_u32 v1, v0, 16, 1
	v_add3_u32 v0, v0, v1, s20
	v_accvgpr_write_b32 a52, v0
                                        ; implicit-def: $vgpr0
; %bb.532:                              ;   in Loop: Header=BB334_303 Depth=1
	s_andn2_saveexec_b64 s[12:13], s[0:1]
; %bb.533:                              ;   in Loop: Header=BB334_303 Depth=1
	v_or_b32_e32 v1, 0x10000, v0
	v_cmp_eq_u32_sdwa s[0:1], v0, v27 src0_sel:WORD_0 src1_sel:DWORD
	s_nop 1
	v_cndmask_b32_e64 v0, v1, v0, s[0:1]
	v_accvgpr_write_b32 a52, v0
; %bb.534:                              ;   in Loop: Header=BB334_303 Depth=1
	s_or_b64 exec, exec, s[12:13]
	flat_load_dwordx2 v[4:5], v[2:3] offset:1536
	s_waitcnt vmcnt(0) lgkmcnt(0)
	v_and_b32_e32 v0, 0xff, v4
	v_cvt_f32_fp8_sdwa v0, v0 src0_sel:BYTE_0
	s_nop 0
	v_mul_f32_e32 v1, v39, v0
	v_and_b32_e32 v0, 0x7f800000, v1
	v_cmp_ne_u32_e64 s[0:1], s17, v0
                                        ; implicit-def: $vgpr0
	s_and_saveexec_b64 s[12:13], s[0:1]
	s_xor_b64 s[0:1], exec, s[12:13]
; %bb.535:                              ;   in Loop: Header=BB334_303 Depth=1
	v_bfe_u32 v0, v1, 16, 1
	v_add3_u32 v0, v1, v0, s20
                                        ; implicit-def: $vgpr1
; %bb.536:                              ;   in Loop: Header=BB334_303 Depth=1
	s_andn2_saveexec_b64 s[12:13], s[0:1]
; %bb.537:                              ;   in Loop: Header=BB334_303 Depth=1
	v_or_b32_e32 v0, 0x10000, v1
	v_cmp_eq_u32_sdwa s[0:1], v1, v27 src0_sel:WORD_0 src1_sel:DWORD
	s_nop 1
	v_cndmask_b32_e64 v0, v0, v1, s[0:1]
; %bb.538:                              ;   in Loop: Header=BB334_303 Depth=1
	s_or_b64 exec, exec, s[12:13]
	v_bfe_u32 v1, v4, 8, 8
	v_cvt_f32_fp8_sdwa v1, v1 src0_sel:BYTE_0
	s_nop 0
	v_mul_f32_e32 v6, v39, v1
	v_and_b32_e32 v1, 0x7f800000, v6
	v_cmp_ne_u32_e64 s[0:1], s17, v1
                                        ; implicit-def: $vgpr1
	s_and_saveexec_b64 s[12:13], s[0:1]
	s_xor_b64 s[0:1], exec, s[12:13]
; %bb.539:                              ;   in Loop: Header=BB334_303 Depth=1
	v_bfe_u32 v1, v6, 16, 1
	v_add3_u32 v1, v6, v1, s20
                                        ; implicit-def: $vgpr6
; %bb.540:                              ;   in Loop: Header=BB334_303 Depth=1
	s_andn2_saveexec_b64 s[12:13], s[0:1]
; %bb.541:                              ;   in Loop: Header=BB334_303 Depth=1
	v_or_b32_e32 v1, 0x10000, v6
	v_cmp_eq_u32_sdwa s[0:1], v6, v27 src0_sel:WORD_0 src1_sel:DWORD
	s_nop 1
	v_cndmask_b32_e64 v1, v1, v6, s[0:1]
; %bb.542:                              ;   in Loop: Header=BB334_303 Depth=1
	s_or_b64 exec, exec, s[12:13]
	v_bfe_u32 v6, v4, 16, 8
	v_cvt_f32_fp8_sdwa v6, v6 src0_sel:BYTE_0
	s_nop 0
	v_mul_f32_e32 v7, v39, v6
	v_and_b32_e32 v6, 0x7f800000, v7
	v_cmp_ne_u32_e64 s[0:1], s17, v6
                                        ; implicit-def: $vgpr6
	s_and_saveexec_b64 s[12:13], s[0:1]
	s_xor_b64 s[0:1], exec, s[12:13]
; %bb.543:                              ;   in Loop: Header=BB334_303 Depth=1
	v_bfe_u32 v6, v7, 16, 1
	v_add3_u32 v6, v7, v6, s20
                                        ; implicit-def: $vgpr7
; %bb.544:                              ;   in Loop: Header=BB334_303 Depth=1
	s_andn2_saveexec_b64 s[12:13], s[0:1]
; %bb.545:                              ;   in Loop: Header=BB334_303 Depth=1
	v_or_b32_e32 v6, 0x10000, v7
	v_cmp_eq_u32_sdwa s[0:1], v7, v27 src0_sel:WORD_0 src1_sel:DWORD
	s_nop 1
	v_cndmask_b32_e64 v6, v6, v7, s[0:1]
; %bb.546:                              ;   in Loop: Header=BB334_303 Depth=1
	s_or_b64 exec, exec, s[12:13]
	v_lshrrev_b32_e32 v4, 24, v4
	v_cvt_f32_fp8_sdwa v4, v4 src0_sel:BYTE_0
	s_nop 0
	v_mul_f32_e32 v4, v39, v4
	v_and_b32_e32 v7, 0x7f800000, v4
	v_cmp_ne_u32_e64 s[0:1], s17, v7
                                        ; implicit-def: $vgpr7
	s_and_saveexec_b64 s[12:13], s[0:1]
	s_xor_b64 s[0:1], exec, s[12:13]
; %bb.547:                              ;   in Loop: Header=BB334_303 Depth=1
	v_bfe_u32 v7, v4, 16, 1
	v_add3_u32 v7, v4, v7, s20
                                        ; implicit-def: $vgpr4
; %bb.548:                              ;   in Loop: Header=BB334_303 Depth=1
	s_andn2_saveexec_b64 s[12:13], s[0:1]
; %bb.549:                              ;   in Loop: Header=BB334_303 Depth=1
	v_or_b32_e32 v7, 0x10000, v4
	v_cmp_eq_u32_sdwa s[0:1], v4, v27 src0_sel:WORD_0 src1_sel:DWORD
	s_nop 1
	v_cndmask_b32_e64 v7, v7, v4, s[0:1]
; %bb.550:                              ;   in Loop: Header=BB334_303 Depth=1
	s_or_b64 exec, exec, s[12:13]
	v_and_b32_e32 v4, 0xff, v5
	v_cvt_f32_fp8_sdwa v4, v4 src0_sel:BYTE_0
	s_nop 0
	v_mul_f32_e32 v4, v39, v4
	v_and_b32_e32 v8, 0x7f800000, v4
	v_cmp_ne_u32_e64 s[0:1], s17, v8
                                        ; implicit-def: $vgpr8
	s_and_saveexec_b64 s[12:13], s[0:1]
	s_xor_b64 s[0:1], exec, s[12:13]
; %bb.551:                              ;   in Loop: Header=BB334_303 Depth=1
	v_bfe_u32 v8, v4, 16, 1
	v_add3_u32 v8, v4, v8, s20
                                        ; implicit-def: $vgpr4
; %bb.552:                              ;   in Loop: Header=BB334_303 Depth=1
	s_andn2_saveexec_b64 s[12:13], s[0:1]
; %bb.553:                              ;   in Loop: Header=BB334_303 Depth=1
	v_or_b32_e32 v8, 0x10000, v4
	v_cmp_eq_u32_sdwa s[0:1], v4, v27 src0_sel:WORD_0 src1_sel:DWORD
	s_nop 1
	v_cndmask_b32_e64 v8, v8, v4, s[0:1]
; %bb.554:                              ;   in Loop: Header=BB334_303 Depth=1
	s_or_b64 exec, exec, s[12:13]
	v_bfe_u32 v4, v5, 8, 8
	v_cvt_f32_fp8_sdwa v4, v4 src0_sel:BYTE_0
	s_nop 0
	v_mul_f32_e32 v9, v39, v4
	v_and_b32_e32 v4, 0x7f800000, v9
	v_cmp_ne_u32_e64 s[0:1], s17, v4
                                        ; implicit-def: $vgpr4
	s_and_saveexec_b64 s[12:13], s[0:1]
	s_xor_b64 s[0:1], exec, s[12:13]
; %bb.555:                              ;   in Loop: Header=BB334_303 Depth=1
	v_bfe_u32 v4, v9, 16, 1
	v_add3_u32 v4, v9, v4, s20
                                        ; implicit-def: $vgpr9
; %bb.556:                              ;   in Loop: Header=BB334_303 Depth=1
	s_andn2_saveexec_b64 s[12:13], s[0:1]
; %bb.557:                              ;   in Loop: Header=BB334_303 Depth=1
	v_or_b32_e32 v4, 0x10000, v9
	v_cmp_eq_u32_sdwa s[0:1], v9, v27 src0_sel:WORD_0 src1_sel:DWORD
	s_nop 1
	v_cndmask_b32_e64 v4, v4, v9, s[0:1]
; %bb.558:                              ;   in Loop: Header=BB334_303 Depth=1
	s_or_b64 exec, exec, s[12:13]
	v_bfe_u32 v9, v5, 16, 8
	v_cvt_f32_fp8_sdwa v9, v9 src0_sel:BYTE_0
	s_nop 0
	v_mul_f32_e32 v17, v39, v9
	v_and_b32_e32 v9, 0x7f800000, v17
	v_cmp_ne_u32_e64 s[0:1], s17, v9
                                        ; implicit-def: $vgpr9
	s_and_saveexec_b64 s[12:13], s[0:1]
	s_xor_b64 s[0:1], exec, s[12:13]
; %bb.559:                              ;   in Loop: Header=BB334_303 Depth=1
	v_bfe_u32 v9, v17, 16, 1
	v_add3_u32 v9, v17, v9, s20
                                        ; implicit-def: $vgpr17
; %bb.560:                              ;   in Loop: Header=BB334_303 Depth=1
	s_andn2_saveexec_b64 s[12:13], s[0:1]
; %bb.561:                              ;   in Loop: Header=BB334_303 Depth=1
	v_or_b32_e32 v9, 0x10000, v17
	v_cmp_eq_u32_sdwa s[0:1], v17, v27 src0_sel:WORD_0 src1_sel:DWORD
	s_nop 1
	v_cndmask_b32_e64 v9, v9, v17, s[0:1]
; %bb.562:                              ;   in Loop: Header=BB334_303 Depth=1
	s_or_b64 exec, exec, s[12:13]
	v_lshrrev_b32_e32 v5, 24, v5
	v_cvt_f32_fp8_sdwa v5, v5 src0_sel:BYTE_0
                                        ; implicit-def: $vgpr18
	s_nop 0
	v_mul_f32_e32 v5, v39, v5
	v_and_b32_e32 v16, 0x7f800000, v5
	v_cmp_ne_u32_e64 s[0:1], s17, v16
	s_and_saveexec_b64 s[12:13], s[0:1]
	s_xor_b64 s[0:1], exec, s[12:13]
; %bb.563:                              ;   in Loop: Header=BB334_303 Depth=1
	v_bfe_u32 v16, v5, 16, 1
	v_add3_u32 v18, v5, v16, s20
                                        ; implicit-def: $vgpr5
; %bb.564:                              ;   in Loop: Header=BB334_303 Depth=1
	s_andn2_saveexec_b64 s[12:13], s[0:1]
; %bb.565:                              ;   in Loop: Header=BB334_303 Depth=1
	v_or_b32_e32 v16, 0x10000, v5
	v_cmp_eq_u32_sdwa s[0:1], v5, v27 src0_sel:WORD_0 src1_sel:DWORD
	s_nop 1
	v_cndmask_b32_e64 v18, v16, v5, s[0:1]
; %bb.566:                              ;   in Loop: Header=BB334_303 Depth=1
	s_or_b64 exec, exec, s[12:13]
	v_lshrrev_b32_e32 v4, 16, v4
	v_lshrrev_b32_e32 v5, 16, v8
	;; [unrolled: 1-line block ×8, first 2 shown]
	s_and_saveexec_b64 s[12:13], vcc
	s_cbranch_execz .LBB334_568
; %bb.567:                              ;   in Loop: Header=BB334_303 Depth=1
	scratch_load_dword v9, off, s32 offset:192 ; 4-byte Folded Reload
	v_accvgpr_read_b32 v16, a36
	s_waitcnt vmcnt(0)
	v_cmp_lt_i32_e64 s[0:1], v51, v9
	s_nop 1
	v_cndmask_b32_e64 v17, 0, v17, s[0:1]
	v_cmp_lt_i32_e64 s[0:1], v16, v9
	v_accvgpr_read_b32 v16, a35
	s_nop 0
	v_cndmask_b32_e64 v7, 0, v7, s[0:1]
	v_cmp_lt_i32_e64 s[0:1], v16, v9
	v_accvgpr_read_b32 v16, a34
	;; [unrolled: 4-line block ×6, first 2 shown]
	s_nop 0
	v_cndmask_b32_e64 v1, 0, v1, s[0:1]
	v_cmp_lt_i32_e64 s[0:1], v16, v9
	s_nop 1
	v_cndmask_b32_e64 v0, 0, v0, s[0:1]
.LBB334_568:                            ;   in Loop: Header=BB334_303 Depth=1
	s_or_b64 exec, exec, s[12:13]
	v_lshlrev_b32_e32 v9, 16, v17
	v_mul_f32_e32 v9, v44, v9
	v_and_b32_e32 v16, 0x7f800000, v9
	v_cmp_ne_u32_e64 s[0:1], s17, v16
                                        ; implicit-def: $agpr53
	s_and_saveexec_b64 s[12:13], s[0:1]
	s_xor_b64 s[0:1], exec, s[12:13]
; %bb.569:                              ;   in Loop: Header=BB334_303 Depth=1
	v_bfe_u32 v16, v9, 16, 1
	v_add3_u32 v9, v9, v16, s20
	v_accvgpr_write_b32 a53, v9
                                        ; implicit-def: $vgpr9
; %bb.570:                              ;   in Loop: Header=BB334_303 Depth=1
	s_andn2_saveexec_b64 s[12:13], s[0:1]
; %bb.571:                              ;   in Loop: Header=BB334_303 Depth=1
	v_or_b32_e32 v16, 0x10000, v9
	v_cmp_eq_u32_sdwa s[0:1], v9, v27 src0_sel:WORD_0 src1_sel:DWORD
	s_nop 1
	v_cndmask_b32_e64 v9, v16, v9, s[0:1]
	v_accvgpr_write_b32 a53, v9
; %bb.572:                              ;   in Loop: Header=BB334_303 Depth=1
	s_or_b64 exec, exec, s[12:13]
	v_lshlrev_b32_e32 v7, 16, v7
	v_mul_f32_e32 v7, v45, v7
	v_and_b32_e32 v9, 0x7f800000, v7
	v_cmp_ne_u32_e64 s[0:1], s17, v9
                                        ; implicit-def: $agpr54
	s_and_saveexec_b64 s[12:13], s[0:1]
	s_xor_b64 s[0:1], exec, s[12:13]
; %bb.573:                              ;   in Loop: Header=BB334_303 Depth=1
	v_bfe_u32 v9, v7, 16, 1
	v_add3_u32 v7, v7, v9, s20
	v_accvgpr_write_b32 a54, v7
                                        ; implicit-def: $vgpr7
; %bb.574:                              ;   in Loop: Header=BB334_303 Depth=1
	s_andn2_saveexec_b64 s[12:13], s[0:1]
; %bb.575:                              ;   in Loop: Header=BB334_303 Depth=1
	v_or_b32_e32 v9, 0x10000, v7
	v_cmp_eq_u32_sdwa s[0:1], v7, v27 src0_sel:WORD_0 src1_sel:DWORD
	s_nop 1
	v_cndmask_b32_e64 v7, v9, v7, s[0:1]
	v_accvgpr_write_b32 a54, v7
; %bb.576:                              ;   in Loop: Header=BB334_303 Depth=1
	s_or_b64 exec, exec, s[12:13]
	v_lshlrev_b32_e32 v6, 16, v6
	v_mul_f32_e32 v6, v46, v6
	v_and_b32_e32 v7, 0x7f800000, v6
	v_cmp_ne_u32_e64 s[0:1], s17, v7
                                        ; implicit-def: $agpr55
	s_and_saveexec_b64 s[12:13], s[0:1]
	s_xor_b64 s[0:1], exec, s[12:13]
; %bb.577:                              ;   in Loop: Header=BB334_303 Depth=1
	v_bfe_u32 v7, v6, 16, 1
	v_add3_u32 v6, v6, v7, s20
	v_accvgpr_write_b32 a55, v6
                                        ; implicit-def: $vgpr6
; %bb.578:                              ;   in Loop: Header=BB334_303 Depth=1
	s_andn2_saveexec_b64 s[12:13], s[0:1]
; %bb.579:                              ;   in Loop: Header=BB334_303 Depth=1
	v_or_b32_e32 v7, 0x10000, v6
	v_cmp_eq_u32_sdwa s[0:1], v6, v27 src0_sel:WORD_0 src1_sel:DWORD
	s_nop 1
	v_cndmask_b32_e64 v6, v7, v6, s[0:1]
	v_accvgpr_write_b32 a55, v6
; %bb.580:                              ;   in Loop: Header=BB334_303 Depth=1
	s_or_b64 exec, exec, s[12:13]
	v_lshlrev_b32_e32 v6, 16, v8
	v_mul_f32_e32 v6, v47, v6
	v_and_b32_e32 v7, 0x7f800000, v6
	v_cmp_ne_u32_e64 s[0:1], s17, v7
                                        ; implicit-def: $vgpr8
	s_and_saveexec_b64 s[12:13], s[0:1]
	s_xor_b64 s[0:1], exec, s[12:13]
; %bb.581:                              ;   in Loop: Header=BB334_303 Depth=1
	v_bfe_u32 v7, v6, 16, 1
	v_add3_u32 v8, v6, v7, s20
                                        ; implicit-def: $vgpr6
; %bb.582:                              ;   in Loop: Header=BB334_303 Depth=1
	s_andn2_saveexec_b64 s[12:13], s[0:1]
; %bb.583:                              ;   in Loop: Header=BB334_303 Depth=1
	v_or_b32_e32 v7, 0x10000, v6
	v_cmp_eq_u32_sdwa s[0:1], v6, v27 src0_sel:WORD_0 src1_sel:DWORD
	s_nop 1
	v_cndmask_b32_e64 v8, v7, v6, s[0:1]
; %bb.584:                              ;   in Loop: Header=BB334_303 Depth=1
	s_or_b64 exec, exec, s[12:13]
	v_lshlrev_b32_e32 v5, 16, v5
	v_mul_f32_e32 v5, v62, v5
	v_and_b32_e32 v6, 0x7f800000, v5
	v_cmp_ne_u32_e64 s[0:1], s17, v6
                                        ; implicit-def: $vgpr9
	s_and_saveexec_b64 s[12:13], s[0:1]
	s_xor_b64 s[0:1], exec, s[12:13]
; %bb.585:                              ;   in Loop: Header=BB334_303 Depth=1
	v_bfe_u32 v6, v5, 16, 1
	v_add3_u32 v9, v5, v6, s20
                                        ; implicit-def: $vgpr5
; %bb.586:                              ;   in Loop: Header=BB334_303 Depth=1
	s_andn2_saveexec_b64 s[12:13], s[0:1]
; %bb.587:                              ;   in Loop: Header=BB334_303 Depth=1
	v_or_b32_e32 v6, 0x10000, v5
	v_cmp_eq_u32_sdwa s[0:1], v5, v27 src0_sel:WORD_0 src1_sel:DWORD
	s_nop 1
	v_cndmask_b32_e64 v9, v6, v5, s[0:1]
; %bb.588:                              ;   in Loop: Header=BB334_303 Depth=1
	s_or_b64 exec, exec, s[12:13]
	v_lshlrev_b32_e32 v4, 16, v4
	v_mul_f32_e32 v4, v63, v4
	v_and_b32_e32 v5, 0x7f800000, v4
	v_cmp_ne_u32_e64 s[0:1], s17, v5
                                        ; implicit-def: $vgpr26
	s_and_saveexec_b64 s[12:13], s[0:1]
	s_xor_b64 s[0:1], exec, s[12:13]
; %bb.589:                              ;   in Loop: Header=BB334_303 Depth=1
	v_bfe_u32 v5, v4, 16, 1
	v_add3_u32 v26, v4, v5, s20
                                        ; implicit-def: $vgpr4
; %bb.590:                              ;   in Loop: Header=BB334_303 Depth=1
	s_andn2_saveexec_b64 s[12:13], s[0:1]
; %bb.591:                              ;   in Loop: Header=BB334_303 Depth=1
	v_or_b32_e32 v5, 0x10000, v4
	v_cmp_eq_u32_sdwa s[0:1], v4, v27 src0_sel:WORD_0 src1_sel:DWORD
	s_nop 1
	v_cndmask_b32_e64 v26, v5, v4, s[0:1]
; %bb.592:                              ;   in Loop: Header=BB334_303 Depth=1
	s_or_b64 exec, exec, s[12:13]
	v_lshlrev_b32_e32 v1, 16, v1
	v_mul_f32_e32 v1, v34, v1
	v_and_b32_e32 v4, 0x7f800000, v1
	v_cmp_ne_u32_e64 s[0:1], s17, v4
                                        ; implicit-def: $vgpr48
	s_and_saveexec_b64 s[12:13], s[0:1]
	s_xor_b64 s[0:1], exec, s[12:13]
; %bb.593:                              ;   in Loop: Header=BB334_303 Depth=1
	v_bfe_u32 v4, v1, 16, 1
	v_add3_u32 v48, v1, v4, s20
                                        ; implicit-def: $vgpr1
; %bb.594:                              ;   in Loop: Header=BB334_303 Depth=1
	s_andn2_saveexec_b64 s[12:13], s[0:1]
; %bb.595:                              ;   in Loop: Header=BB334_303 Depth=1
	v_or_b32_e32 v4, 0x10000, v1
	v_cmp_eq_u32_sdwa s[0:1], v1, v27 src0_sel:WORD_0 src1_sel:DWORD
	s_nop 1
	v_cndmask_b32_e64 v48, v4, v1, s[0:1]
; %bb.596:                              ;   in Loop: Header=BB334_303 Depth=1
	s_or_b64 exec, exec, s[12:13]
	v_lshlrev_b32_e32 v0, 16, v0
	v_mul_f32_e32 v0, v29, v0
	v_and_b32_e32 v1, 0x7f800000, v0
	v_cmp_ne_u32_e64 s[0:1], s17, v1
                                        ; implicit-def: $vgpr49
	s_and_saveexec_b64 s[12:13], s[0:1]
	s_xor_b64 s[0:1], exec, s[12:13]
; %bb.597:                              ;   in Loop: Header=BB334_303 Depth=1
	v_bfe_u32 v1, v0, 16, 1
	v_add3_u32 v49, v0, v1, s20
                                        ; implicit-def: $vgpr0
; %bb.598:                              ;   in Loop: Header=BB334_303 Depth=1
	s_andn2_saveexec_b64 s[12:13], s[0:1]
; %bb.599:                              ;   in Loop: Header=BB334_303 Depth=1
	v_or_b32_e32 v1, 0x10000, v0
	v_cmp_eq_u32_sdwa s[0:1], v0, v27 src0_sel:WORD_0 src1_sel:DWORD
	s_nop 1
	v_cndmask_b32_e64 v49, v1, v0, s[0:1]
; %bb.600:                              ;   in Loop: Header=BB334_303 Depth=1
	s_or_b64 exec, exec, s[12:13]
	flat_load_dwordx2 v[4:5], v[2:3] offset:2048
	s_waitcnt vmcnt(0) lgkmcnt(0)
	v_and_b32_e32 v0, 0xff, v4
	v_cvt_f32_fp8_sdwa v0, v0 src0_sel:BYTE_0
	s_nop 0
	v_mul_f32_e32 v1, v39, v0
	v_and_b32_e32 v0, 0x7f800000, v1
	v_cmp_ne_u32_e64 s[0:1], s17, v0
                                        ; implicit-def: $vgpr0
	s_and_saveexec_b64 s[12:13], s[0:1]
	s_xor_b64 s[0:1], exec, s[12:13]
; %bb.601:                              ;   in Loop: Header=BB334_303 Depth=1
	v_bfe_u32 v0, v1, 16, 1
	v_add3_u32 v0, v1, v0, s20
                                        ; implicit-def: $vgpr1
; %bb.602:                              ;   in Loop: Header=BB334_303 Depth=1
	s_andn2_saveexec_b64 s[12:13], s[0:1]
; %bb.603:                              ;   in Loop: Header=BB334_303 Depth=1
	v_or_b32_e32 v0, 0x10000, v1
	v_cmp_eq_u32_sdwa s[0:1], v1, v27 src0_sel:WORD_0 src1_sel:DWORD
	s_nop 1
	v_cndmask_b32_e64 v0, v0, v1, s[0:1]
; %bb.604:                              ;   in Loop: Header=BB334_303 Depth=1
	s_or_b64 exec, exec, s[12:13]
	v_bfe_u32 v1, v4, 8, 8
	v_cvt_f32_fp8_sdwa v1, v1 src0_sel:BYTE_0
	s_nop 0
	v_mul_f32_e32 v6, v39, v1
	v_and_b32_e32 v1, 0x7f800000, v6
	v_cmp_ne_u32_e64 s[0:1], s17, v1
                                        ; implicit-def: $vgpr1
	s_and_saveexec_b64 s[12:13], s[0:1]
	s_xor_b64 s[0:1], exec, s[12:13]
; %bb.605:                              ;   in Loop: Header=BB334_303 Depth=1
	v_bfe_u32 v1, v6, 16, 1
	v_add3_u32 v1, v6, v1, s20
                                        ; implicit-def: $vgpr6
; %bb.606:                              ;   in Loop: Header=BB334_303 Depth=1
	s_andn2_saveexec_b64 s[12:13], s[0:1]
; %bb.607:                              ;   in Loop: Header=BB334_303 Depth=1
	v_or_b32_e32 v1, 0x10000, v6
	v_cmp_eq_u32_sdwa s[0:1], v6, v27 src0_sel:WORD_0 src1_sel:DWORD
	s_nop 1
	v_cndmask_b32_e64 v1, v1, v6, s[0:1]
; %bb.608:                              ;   in Loop: Header=BB334_303 Depth=1
	s_or_b64 exec, exec, s[12:13]
	v_bfe_u32 v6, v4, 16, 8
	v_cvt_f32_fp8_sdwa v6, v6 src0_sel:BYTE_0
                                        ; implicit-def: $vgpr18
	s_nop 0
	v_mul_f32_e32 v6, v39, v6
	v_and_b32_e32 v7, 0x7f800000, v6
	v_cmp_ne_u32_e64 s[0:1], s17, v7
	s_and_saveexec_b64 s[12:13], s[0:1]
	s_xor_b64 s[0:1], exec, s[12:13]
; %bb.609:                              ;   in Loop: Header=BB334_303 Depth=1
	v_bfe_u32 v7, v6, 16, 1
	v_add3_u32 v18, v6, v7, s20
                                        ; implicit-def: $vgpr6
; %bb.610:                              ;   in Loop: Header=BB334_303 Depth=1
	s_andn2_saveexec_b64 s[12:13], s[0:1]
; %bb.611:                              ;   in Loop: Header=BB334_303 Depth=1
	v_or_b32_e32 v7, 0x10000, v6
	v_cmp_eq_u32_sdwa s[0:1], v6, v27 src0_sel:WORD_0 src1_sel:DWORD
	s_nop 1
	v_cndmask_b32_e64 v18, v7, v6, s[0:1]
; %bb.612:                              ;   in Loop: Header=BB334_303 Depth=1
	s_or_b64 exec, exec, s[12:13]
	v_lshrrev_b32_e32 v4, 24, v4
	v_cvt_f32_fp8_sdwa v4, v4 src0_sel:BYTE_0
	s_nop 0
	v_mul_f32_e32 v6, v39, v4
	v_and_b32_e32 v4, 0x7f800000, v6
	v_cmp_ne_u32_e64 s[0:1], s17, v4
                                        ; implicit-def: $vgpr4
	s_and_saveexec_b64 s[12:13], s[0:1]
	s_xor_b64 s[0:1], exec, s[12:13]
; %bb.613:                              ;   in Loop: Header=BB334_303 Depth=1
	v_bfe_u32 v4, v6, 16, 1
	v_add3_u32 v4, v6, v4, s20
                                        ; implicit-def: $vgpr6
; %bb.614:                              ;   in Loop: Header=BB334_303 Depth=1
	s_andn2_saveexec_b64 s[12:13], s[0:1]
; %bb.615:                              ;   in Loop: Header=BB334_303 Depth=1
	v_or_b32_e32 v4, 0x10000, v6
	v_cmp_eq_u32_sdwa s[0:1], v6, v27 src0_sel:WORD_0 src1_sel:DWORD
	s_nop 1
	v_cndmask_b32_e64 v4, v4, v6, s[0:1]
; %bb.616:                              ;   in Loop: Header=BB334_303 Depth=1
	s_or_b64 exec, exec, s[12:13]
	v_and_b32_e32 v6, 0xff, v5
	v_cvt_f32_fp8_sdwa v6, v6 src0_sel:BYTE_0
	s_nop 0
	v_mul_f32_e32 v7, v39, v6
	v_and_b32_e32 v6, 0x7f800000, v7
	v_cmp_ne_u32_e64 s[0:1], s17, v6
                                        ; implicit-def: $vgpr6
	s_and_saveexec_b64 s[12:13], s[0:1]
	s_xor_b64 s[0:1], exec, s[12:13]
; %bb.617:                              ;   in Loop: Header=BB334_303 Depth=1
	v_bfe_u32 v6, v7, 16, 1
	v_add3_u32 v6, v7, v6, s20
                                        ; implicit-def: $vgpr7
; %bb.618:                              ;   in Loop: Header=BB334_303 Depth=1
	s_andn2_saveexec_b64 s[12:13], s[0:1]
; %bb.619:                              ;   in Loop: Header=BB334_303 Depth=1
	v_or_b32_e32 v6, 0x10000, v7
	v_cmp_eq_u32_sdwa s[0:1], v7, v27 src0_sel:WORD_0 src1_sel:DWORD
	s_nop 1
	v_cndmask_b32_e64 v6, v6, v7, s[0:1]
; %bb.620:                              ;   in Loop: Header=BB334_303 Depth=1
	s_or_b64 exec, exec, s[12:13]
	v_bfe_u32 v7, v5, 8, 8
	v_cvt_f32_fp8_sdwa v7, v7 src0_sel:BYTE_0
                                        ; implicit-def: $vgpr17
	s_nop 0
	v_mul_f32_e32 v7, v39, v7
	v_and_b32_e32 v16, 0x7f800000, v7
	v_cmp_ne_u32_e64 s[0:1], s17, v16
	s_and_saveexec_b64 s[12:13], s[0:1]
	s_xor_b64 s[0:1], exec, s[12:13]
; %bb.621:                              ;   in Loop: Header=BB334_303 Depth=1
	v_bfe_u32 v16, v7, 16, 1
	v_add3_u32 v17, v7, v16, s20
                                        ; implicit-def: $vgpr7
; %bb.622:                              ;   in Loop: Header=BB334_303 Depth=1
	s_andn2_saveexec_b64 s[12:13], s[0:1]
; %bb.623:                              ;   in Loop: Header=BB334_303 Depth=1
	v_or_b32_e32 v16, 0x10000, v7
	v_cmp_eq_u32_sdwa s[0:1], v7, v27 src0_sel:WORD_0 src1_sel:DWORD
	s_nop 1
	v_cndmask_b32_e64 v17, v16, v7, s[0:1]
; %bb.624:                              ;   in Loop: Header=BB334_303 Depth=1
	s_or_b64 exec, exec, s[12:13]
	v_bfe_u32 v7, v5, 16, 8
	v_cvt_f32_fp8_sdwa v7, v7 src0_sel:BYTE_0
                                        ; implicit-def: $vgpr28
	s_nop 0
	v_mul_f32_e32 v7, v39, v7
	v_and_b32_e32 v16, 0x7f800000, v7
	v_cmp_ne_u32_e64 s[0:1], s17, v16
	s_and_saveexec_b64 s[12:13], s[0:1]
	s_xor_b64 s[0:1], exec, s[12:13]
; %bb.625:                              ;   in Loop: Header=BB334_303 Depth=1
	v_bfe_u32 v16, v7, 16, 1
	v_add3_u32 v28, v7, v16, s20
                                        ; implicit-def: $vgpr7
; %bb.626:                              ;   in Loop: Header=BB334_303 Depth=1
	s_andn2_saveexec_b64 s[12:13], s[0:1]
; %bb.627:                              ;   in Loop: Header=BB334_303 Depth=1
	v_or_b32_e32 v16, 0x10000, v7
	v_cmp_eq_u32_sdwa s[0:1], v7, v27 src0_sel:WORD_0 src1_sel:DWORD
	s_nop 1
	v_cndmask_b32_e64 v28, v16, v7, s[0:1]
; %bb.628:                              ;   in Loop: Header=BB334_303 Depth=1
	s_or_b64 exec, exec, s[12:13]
	v_lshrrev_b32_e32 v5, 24, v5
	v_cvt_f32_fp8_sdwa v5, v5 src0_sel:BYTE_0
	s_nop 0
	v_mul_f32_e32 v5, v39, v5
	v_and_b32_e32 v7, 0x7f800000, v5
	v_cmp_ne_u32_e64 s[0:1], s17, v7
                                        ; implicit-def: $vgpr7
	s_and_saveexec_b64 s[12:13], s[0:1]
	s_xor_b64 s[0:1], exec, s[12:13]
; %bb.629:                              ;   in Loop: Header=BB334_303 Depth=1
	v_bfe_u32 v7, v5, 16, 1
	v_add3_u32 v7, v5, v7, s20
                                        ; implicit-def: $vgpr5
; %bb.630:                              ;   in Loop: Header=BB334_303 Depth=1
	s_andn2_saveexec_b64 s[12:13], s[0:1]
; %bb.631:                              ;   in Loop: Header=BB334_303 Depth=1
	v_or_b32_e32 v7, 0x10000, v5
	v_cmp_eq_u32_sdwa s[0:1], v5, v27 src0_sel:WORD_0 src1_sel:DWORD
	s_nop 1
	v_cndmask_b32_e64 v7, v7, v5, s[0:1]
; %bb.632:                              ;   in Loop: Header=BB334_303 Depth=1
	s_or_b64 exec, exec, s[12:13]
	v_lshrrev_b32_e32 v22, 16, v17
	v_lshrrev_b32_e32 v17, 16, v6
	v_lshrrev_b32_e32 v23, 16, v4
	v_lshrrev_b32_e32 v6, 16, v18
	v_lshrrev_b32_e32 v1, 16, v1
	v_lshrrev_b32_e32 v0, 16, v0
	v_lshrrev_b32_e32 v5, 16, v28
	v_lshrrev_b32_e32 v4, 16, v7
	s_and_saveexec_b64 s[12:13], vcc
	s_cbranch_execz .LBB334_634
; %bb.633:                              ;   in Loop: Header=BB334_303 Depth=1
	scratch_load_dword v7, off, s32 offset:192 ; 4-byte Folded Reload
	v_accvgpr_read_b32 v16, a36
	s_waitcnt vmcnt(0)
	v_cmp_lt_i32_e64 s[0:1], v51, v7
	s_nop 1
	v_cndmask_b32_e64 v0, 0, v0, s[0:1]
	v_cmp_lt_i32_e64 s[0:1], v16, v7
	v_accvgpr_read_b32 v16, a35
	s_nop 0
	v_cndmask_b32_e64 v1, 0, v1, s[0:1]
	v_cmp_lt_i32_e64 s[0:1], v16, v7
	v_accvgpr_read_b32 v16, a34
	;; [unrolled: 4-line block ×6, first 2 shown]
	s_nop 0
	v_cndmask_b32_e64 v5, 0, v5, s[0:1]
	v_cmp_lt_i32_e64 s[0:1], v16, v7
	s_nop 1
	v_cndmask_b32_e64 v4, 0, v4, s[0:1]
.LBB334_634:                            ;   in Loop: Header=BB334_303 Depth=1
	s_or_b64 exec, exec, s[12:13]
	v_lshlrev_b32_e32 v0, 16, v0
	v_mul_f32_e32 v0, v44, v0
	v_and_b32_e32 v7, 0x7f800000, v0
	v_cmp_ne_u32_e64 s[0:1], s17, v7
                                        ; implicit-def: $vgpr50
	s_and_saveexec_b64 s[12:13], s[0:1]
	s_xor_b64 s[0:1], exec, s[12:13]
; %bb.635:                              ;   in Loop: Header=BB334_303 Depth=1
	v_bfe_u32 v7, v0, 16, 1
	v_add3_u32 v50, v0, v7, s20
                                        ; implicit-def: $vgpr0
; %bb.636:                              ;   in Loop: Header=BB334_303 Depth=1
	s_andn2_saveexec_b64 s[12:13], s[0:1]
; %bb.637:                              ;   in Loop: Header=BB334_303 Depth=1
	v_or_b32_e32 v7, 0x10000, v0
	v_cmp_eq_u32_sdwa s[0:1], v0, v27 src0_sel:WORD_0 src1_sel:DWORD
	s_nop 1
	v_cndmask_b32_e64 v50, v7, v0, s[0:1]
; %bb.638:                              ;   in Loop: Header=BB334_303 Depth=1
	s_or_b64 exec, exec, s[12:13]
	v_lshlrev_b32_e32 v0, 16, v1
	v_mul_f32_e32 v0, v45, v0
	v_and_b32_e32 v1, 0x7f800000, v0
	v_cmp_ne_u32_e64 s[0:1], s17, v1
                                        ; implicit-def: $vgpr59
	s_and_saveexec_b64 s[12:13], s[0:1]
	s_xor_b64 s[0:1], exec, s[12:13]
; %bb.639:                              ;   in Loop: Header=BB334_303 Depth=1
	v_bfe_u32 v1, v0, 16, 1
	v_add3_u32 v59, v0, v1, s20
                                        ; implicit-def: $vgpr0
; %bb.640:                              ;   in Loop: Header=BB334_303 Depth=1
	s_andn2_saveexec_b64 s[12:13], s[0:1]
; %bb.641:                              ;   in Loop: Header=BB334_303 Depth=1
	v_or_b32_e32 v1, 0x10000, v0
	v_cmp_eq_u32_sdwa s[0:1], v0, v27 src0_sel:WORD_0 src1_sel:DWORD
	s_nop 1
	v_cndmask_b32_e64 v59, v1, v0, s[0:1]
; %bb.642:                              ;   in Loop: Header=BB334_303 Depth=1
	s_or_b64 exec, exec, s[12:13]
	v_lshlrev_b32_e32 v0, 16, v6
	v_mul_f32_e32 v0, v46, v0
	v_and_b32_e32 v1, 0x7f800000, v0
	v_cmp_ne_u32_e64 s[0:1], s17, v1
                                        ; implicit-def: $vgpr1
	s_and_saveexec_b64 s[12:13], s[0:1]
	s_xor_b64 s[0:1], exec, s[12:13]
; %bb.643:                              ;   in Loop: Header=BB334_303 Depth=1
	v_bfe_u32 v1, v0, 16, 1
	v_add3_u32 v1, v0, v1, s20
                                        ; implicit-def: $vgpr0
; %bb.644:                              ;   in Loop: Header=BB334_303 Depth=1
	s_andn2_saveexec_b64 s[12:13], s[0:1]
; %bb.645:                              ;   in Loop: Header=BB334_303 Depth=1
	v_or_b32_e32 v1, 0x10000, v0
	v_cmp_eq_u32_sdwa s[0:1], v0, v27 src0_sel:WORD_0 src1_sel:DWORD
	s_nop 1
	v_cndmask_b32_e64 v1, v1, v0, s[0:1]
; %bb.646:                              ;   in Loop: Header=BB334_303 Depth=1
	s_or_b64 exec, exec, s[12:13]
	v_lshlrev_b32_e32 v0, 16, v23
	v_mul_f32_e32 v6, v47, v0
	v_and_b32_e32 v0, 0x7f800000, v6
	v_cmp_ne_u32_e64 s[0:1], s17, v0
                                        ; implicit-def: $vgpr0
	s_and_saveexec_b64 s[12:13], s[0:1]
	s_xor_b64 s[0:1], exec, s[12:13]
; %bb.647:                              ;   in Loop: Header=BB334_303 Depth=1
	v_bfe_u32 v0, v6, 16, 1
	v_add3_u32 v0, v6, v0, s20
                                        ; implicit-def: $vgpr6
; %bb.648:                              ;   in Loop: Header=BB334_303 Depth=1
	s_andn2_saveexec_b64 s[12:13], s[0:1]
; %bb.649:                              ;   in Loop: Header=BB334_303 Depth=1
	v_or_b32_e32 v0, 0x10000, v6
	v_cmp_eq_u32_sdwa s[0:1], v6, v27 src0_sel:WORD_0 src1_sel:DWORD
	s_nop 1
	v_cndmask_b32_e64 v0, v0, v6, s[0:1]
; %bb.650:                              ;   in Loop: Header=BB334_303 Depth=1
	s_or_b64 exec, exec, s[12:13]
	v_lshlrev_b32_e32 v6, 16, v17
	v_mul_f32_e32 v6, v62, v6
	v_and_b32_e32 v7, 0x7f800000, v6
	v_cmp_ne_u32_e64 s[0:1], s17, v7
                                        ; implicit-def: $vgpr36
	s_and_saveexec_b64 s[12:13], s[0:1]
	s_xor_b64 s[0:1], exec, s[12:13]
; %bb.651:                              ;   in Loop: Header=BB334_303 Depth=1
	v_bfe_u32 v7, v6, 16, 1
	v_add3_u32 v36, v6, v7, s20
                                        ; implicit-def: $vgpr6
; %bb.652:                              ;   in Loop: Header=BB334_303 Depth=1
	s_andn2_saveexec_b64 s[12:13], s[0:1]
; %bb.653:                              ;   in Loop: Header=BB334_303 Depth=1
	v_or_b32_e32 v7, 0x10000, v6
	v_cmp_eq_u32_sdwa s[0:1], v6, v27 src0_sel:WORD_0 src1_sel:DWORD
	s_nop 1
	v_cndmask_b32_e64 v36, v7, v6, s[0:1]
; %bb.654:                              ;   in Loop: Header=BB334_303 Depth=1
	s_or_b64 exec, exec, s[12:13]
	v_lshlrev_b32_e32 v6, 16, v22
	v_mul_f32_e32 v6, v63, v6
	v_and_b32_e32 v7, 0x7f800000, v6
	v_cmp_ne_u32_e64 s[0:1], s17, v7
                                        ; implicit-def: $vgpr37
	s_and_saveexec_b64 s[12:13], s[0:1]
	s_xor_b64 s[0:1], exec, s[12:13]
; %bb.655:                              ;   in Loop: Header=BB334_303 Depth=1
	v_bfe_u32 v7, v6, 16, 1
	v_add3_u32 v37, v6, v7, s20
                                        ; implicit-def: $vgpr6
; %bb.656:                              ;   in Loop: Header=BB334_303 Depth=1
	s_andn2_saveexec_b64 s[12:13], s[0:1]
; %bb.657:                              ;   in Loop: Header=BB334_303 Depth=1
	v_or_b32_e32 v7, 0x10000, v6
	v_cmp_eq_u32_sdwa s[0:1], v6, v27 src0_sel:WORD_0 src1_sel:DWORD
	s_nop 1
	v_cndmask_b32_e64 v37, v7, v6, s[0:1]
; %bb.658:                              ;   in Loop: Header=BB334_303 Depth=1
	s_or_b64 exec, exec, s[12:13]
	v_lshlrev_b32_e32 v5, 16, v5
	v_mul_f32_e32 v5, v34, v5
	v_and_b32_e32 v6, 0x7f800000, v5
	v_cmp_ne_u32_e64 s[0:1], s17, v6
                                        ; implicit-def: $vgpr56
	s_and_saveexec_b64 s[12:13], s[0:1]
	s_xor_b64 s[0:1], exec, s[12:13]
; %bb.659:                              ;   in Loop: Header=BB334_303 Depth=1
	v_bfe_u32 v6, v5, 16, 1
	v_add3_u32 v56, v5, v6, s20
                                        ; implicit-def: $vgpr5
; %bb.660:                              ;   in Loop: Header=BB334_303 Depth=1
	s_andn2_saveexec_b64 s[12:13], s[0:1]
; %bb.661:                              ;   in Loop: Header=BB334_303 Depth=1
	v_or_b32_e32 v6, 0x10000, v5
	v_cmp_eq_u32_sdwa s[0:1], v5, v27 src0_sel:WORD_0 src1_sel:DWORD
	s_nop 1
	v_cndmask_b32_e64 v56, v6, v5, s[0:1]
; %bb.662:                              ;   in Loop: Header=BB334_303 Depth=1
	s_or_b64 exec, exec, s[12:13]
	v_lshlrev_b32_e32 v4, 16, v4
	v_mul_f32_e32 v4, v29, v4
	v_and_b32_e32 v5, 0x7f800000, v4
	v_cmp_ne_u32_e64 s[0:1], s17, v5
                                        ; implicit-def: $vgpr32
	s_and_saveexec_b64 s[12:13], s[0:1]
	s_xor_b64 s[0:1], exec, s[12:13]
; %bb.663:                              ;   in Loop: Header=BB334_303 Depth=1
	v_bfe_u32 v5, v4, 16, 1
	v_add3_u32 v32, v4, v5, s20
                                        ; implicit-def: $vgpr4
; %bb.664:                              ;   in Loop: Header=BB334_303 Depth=1
	s_andn2_saveexec_b64 s[12:13], s[0:1]
; %bb.665:                              ;   in Loop: Header=BB334_303 Depth=1
	v_or_b32_e32 v5, 0x10000, v4
	v_cmp_eq_u32_sdwa s[0:1], v4, v27 src0_sel:WORD_0 src1_sel:DWORD
	s_nop 1
	v_cndmask_b32_e64 v32, v5, v4, s[0:1]
; %bb.666:                              ;   in Loop: Header=BB334_303 Depth=1
	s_or_b64 exec, exec, s[12:13]
	flat_load_dwordx2 v[4:5], v[2:3] offset:2560
                                        ; implicit-def: $vgpr22
	s_waitcnt vmcnt(0) lgkmcnt(0)
	v_and_b32_e32 v6, 0xff, v4
	v_cvt_f32_fp8_sdwa v6, v6 src0_sel:BYTE_0
	s_nop 0
	v_mul_f32_e32 v6, v39, v6
	v_and_b32_e32 v7, 0x7f800000, v6
	v_cmp_ne_u32_e64 s[0:1], s17, v7
	s_and_saveexec_b64 s[12:13], s[0:1]
	s_xor_b64 s[0:1], exec, s[12:13]
; %bb.667:                              ;   in Loop: Header=BB334_303 Depth=1
	v_bfe_u32 v7, v6, 16, 1
	v_add3_u32 v22, v6, v7, s20
                                        ; implicit-def: $vgpr6
; %bb.668:                              ;   in Loop: Header=BB334_303 Depth=1
	s_andn2_saveexec_b64 s[12:13], s[0:1]
; %bb.669:                              ;   in Loop: Header=BB334_303 Depth=1
	v_or_b32_e32 v7, 0x10000, v6
	v_cmp_eq_u32_sdwa s[0:1], v6, v27 src0_sel:WORD_0 src1_sel:DWORD
	s_nop 1
	v_cndmask_b32_e64 v22, v7, v6, s[0:1]
; %bb.670:                              ;   in Loop: Header=BB334_303 Depth=1
	s_or_b64 exec, exec, s[12:13]
	v_bfe_u32 v6, v4, 8, 8
	v_cvt_f32_fp8_sdwa v6, v6 src0_sel:BYTE_0
                                        ; implicit-def: $vgpr23
	s_nop 0
	v_mul_f32_e32 v6, v39, v6
	v_and_b32_e32 v7, 0x7f800000, v6
	v_cmp_ne_u32_e64 s[0:1], s17, v7
	s_and_saveexec_b64 s[12:13], s[0:1]
	s_xor_b64 s[0:1], exec, s[12:13]
; %bb.671:                              ;   in Loop: Header=BB334_303 Depth=1
	v_bfe_u32 v7, v6, 16, 1
	v_add3_u32 v23, v6, v7, s20
                                        ; implicit-def: $vgpr6
; %bb.672:                              ;   in Loop: Header=BB334_303 Depth=1
	s_andn2_saveexec_b64 s[12:13], s[0:1]
; %bb.673:                              ;   in Loop: Header=BB334_303 Depth=1
	v_or_b32_e32 v7, 0x10000, v6
	v_cmp_eq_u32_sdwa s[0:1], v6, v27 src0_sel:WORD_0 src1_sel:DWORD
	s_nop 1
	v_cndmask_b32_e64 v23, v7, v6, s[0:1]
; %bb.674:                              ;   in Loop: Header=BB334_303 Depth=1
	s_or_b64 exec, exec, s[12:13]
	v_bfe_u32 v6, v4, 16, 8
	v_cvt_f32_fp8_sdwa v6, v6 src0_sel:BYTE_0
                                        ; implicit-def: $vgpr18
	s_nop 0
	v_mul_f32_e32 v6, v39, v6
	v_and_b32_e32 v7, 0x7f800000, v6
	v_cmp_ne_u32_e64 s[0:1], s17, v7
	s_and_saveexec_b64 s[12:13], s[0:1]
	s_xor_b64 s[0:1], exec, s[12:13]
; %bb.675:                              ;   in Loop: Header=BB334_303 Depth=1
	v_bfe_u32 v7, v6, 16, 1
	v_add3_u32 v18, v6, v7, s20
                                        ; implicit-def: $vgpr6
; %bb.676:                              ;   in Loop: Header=BB334_303 Depth=1
	s_andn2_saveexec_b64 s[12:13], s[0:1]
; %bb.677:                              ;   in Loop: Header=BB334_303 Depth=1
	v_or_b32_e32 v7, 0x10000, v6
	v_cmp_eq_u32_sdwa s[0:1], v6, v27 src0_sel:WORD_0 src1_sel:DWORD
	s_nop 1
	v_cndmask_b32_e64 v18, v7, v6, s[0:1]
; %bb.678:                              ;   in Loop: Header=BB334_303 Depth=1
	s_or_b64 exec, exec, s[12:13]
	v_lshrrev_b32_e32 v4, 24, v4
	v_cvt_f32_fp8_sdwa v4, v4 src0_sel:BYTE_0
	s_nop 0
	v_mul_f32_e32 v6, v39, v4
	v_and_b32_e32 v4, 0x7f800000, v6
	v_cmp_ne_u32_e64 s[0:1], s17, v4
                                        ; implicit-def: $vgpr4
	s_and_saveexec_b64 s[12:13], s[0:1]
	s_xor_b64 s[0:1], exec, s[12:13]
; %bb.679:                              ;   in Loop: Header=BB334_303 Depth=1
	v_bfe_u32 v4, v6, 16, 1
	v_add3_u32 v4, v6, v4, s20
                                        ; implicit-def: $vgpr6
; %bb.680:                              ;   in Loop: Header=BB334_303 Depth=1
	s_andn2_saveexec_b64 s[12:13], s[0:1]
; %bb.681:                              ;   in Loop: Header=BB334_303 Depth=1
	v_or_b32_e32 v4, 0x10000, v6
	v_cmp_eq_u32_sdwa s[0:1], v6, v27 src0_sel:WORD_0 src1_sel:DWORD
	s_nop 1
	v_cndmask_b32_e64 v4, v4, v6, s[0:1]
; %bb.682:                              ;   in Loop: Header=BB334_303 Depth=1
	s_or_b64 exec, exec, s[12:13]
	v_and_b32_e32 v6, 0xff, v5
	v_cvt_f32_fp8_sdwa v6, v6 src0_sel:BYTE_0
	s_nop 0
	v_mul_f32_e32 v7, v39, v6
	v_and_b32_e32 v6, 0x7f800000, v7
	v_cmp_ne_u32_e64 s[0:1], s17, v6
                                        ; implicit-def: $vgpr6
	s_and_saveexec_b64 s[12:13], s[0:1]
	s_xor_b64 s[0:1], exec, s[12:13]
; %bb.683:                              ;   in Loop: Header=BB334_303 Depth=1
	v_bfe_u32 v6, v7, 16, 1
	v_add3_u32 v6, v7, v6, s20
                                        ; implicit-def: $vgpr7
; %bb.684:                              ;   in Loop: Header=BB334_303 Depth=1
	s_andn2_saveexec_b64 s[12:13], s[0:1]
; %bb.685:                              ;   in Loop: Header=BB334_303 Depth=1
	v_or_b32_e32 v6, 0x10000, v7
	v_cmp_eq_u32_sdwa s[0:1], v7, v27 src0_sel:WORD_0 src1_sel:DWORD
	s_nop 1
	v_cndmask_b32_e64 v6, v6, v7, s[0:1]
; %bb.686:                              ;   in Loop: Header=BB334_303 Depth=1
	s_or_b64 exec, exec, s[12:13]
	v_bfe_u32 v7, v5, 8, 8
	v_cvt_f32_fp8_sdwa v7, v7 src0_sel:BYTE_0
                                        ; implicit-def: $vgpr17
	s_nop 0
	v_mul_f32_e32 v7, v39, v7
	v_and_b32_e32 v16, 0x7f800000, v7
	v_cmp_ne_u32_e64 s[0:1], s17, v16
	s_and_saveexec_b64 s[12:13], s[0:1]
	s_xor_b64 s[0:1], exec, s[12:13]
; %bb.687:                              ;   in Loop: Header=BB334_303 Depth=1
	v_bfe_u32 v16, v7, 16, 1
	v_add3_u32 v17, v7, v16, s20
                                        ; implicit-def: $vgpr7
; %bb.688:                              ;   in Loop: Header=BB334_303 Depth=1
	s_andn2_saveexec_b64 s[12:13], s[0:1]
; %bb.689:                              ;   in Loop: Header=BB334_303 Depth=1
	v_or_b32_e32 v16, 0x10000, v7
	v_cmp_eq_u32_sdwa s[0:1], v7, v27 src0_sel:WORD_0 src1_sel:DWORD
	s_nop 1
	v_cndmask_b32_e64 v17, v16, v7, s[0:1]
; %bb.690:                              ;   in Loop: Header=BB334_303 Depth=1
	s_or_b64 exec, exec, s[12:13]
	v_bfe_u32 v7, v5, 16, 8
	v_cvt_f32_fp8_sdwa v7, v7 src0_sel:BYTE_0
                                        ; implicit-def: $vgpr28
	s_nop 0
	v_mul_f32_e32 v7, v39, v7
	v_and_b32_e32 v16, 0x7f800000, v7
	v_cmp_ne_u32_e64 s[0:1], s17, v16
	s_and_saveexec_b64 s[12:13], s[0:1]
	s_xor_b64 s[0:1], exec, s[12:13]
; %bb.691:                              ;   in Loop: Header=BB334_303 Depth=1
	v_bfe_u32 v16, v7, 16, 1
	v_add3_u32 v28, v7, v16, s20
                                        ; implicit-def: $vgpr7
; %bb.692:                              ;   in Loop: Header=BB334_303 Depth=1
	s_andn2_saveexec_b64 s[12:13], s[0:1]
; %bb.693:                              ;   in Loop: Header=BB334_303 Depth=1
	v_or_b32_e32 v16, 0x10000, v7
	v_cmp_eq_u32_sdwa s[0:1], v7, v27 src0_sel:WORD_0 src1_sel:DWORD
	s_nop 1
	v_cndmask_b32_e64 v28, v16, v7, s[0:1]
; %bb.694:                              ;   in Loop: Header=BB334_303 Depth=1
	s_or_b64 exec, exec, s[12:13]
	v_lshrrev_b32_e32 v5, 24, v5
	v_cvt_f32_fp8_sdwa v5, v5 src0_sel:BYTE_0
                                        ; implicit-def: $vgpr33
	s_nop 0
	v_mul_f32_e32 v5, v39, v5
	v_and_b32_e32 v7, 0x7f800000, v5
	v_cmp_ne_u32_e64 s[0:1], s17, v7
	s_and_saveexec_b64 s[12:13], s[0:1]
	s_xor_b64 s[0:1], exec, s[12:13]
; %bb.695:                              ;   in Loop: Header=BB334_303 Depth=1
	v_bfe_u32 v7, v5, 16, 1
	v_add3_u32 v33, v5, v7, s20
                                        ; implicit-def: $vgpr5
; %bb.696:                              ;   in Loop: Header=BB334_303 Depth=1
	s_andn2_saveexec_b64 s[12:13], s[0:1]
; %bb.697:                              ;   in Loop: Header=BB334_303 Depth=1
	v_or_b32_e32 v7, 0x10000, v5
	v_cmp_eq_u32_sdwa s[0:1], v5, v27 src0_sel:WORD_0 src1_sel:DWORD
	s_nop 1
	v_cndmask_b32_e64 v33, v7, v5, s[0:1]
; %bb.698:                              ;   in Loop: Header=BB334_303 Depth=1
	s_or_b64 exec, exec, s[12:13]
	v_lshrrev_b32_e32 v30, 16, v17
	v_lshrrev_b32_e32 v17, 16, v6
	;; [unrolled: 1-line block ×8, first 2 shown]
	s_and_saveexec_b64 s[12:13], vcc
	s_cbranch_execz .LBB334_700
; %bb.699:                              ;   in Loop: Header=BB334_303 Depth=1
	scratch_load_dword v16, off, s32 offset:192 ; 4-byte Folded Reload
	v_accvgpr_read_b32 v22, a36
	s_waitcnt vmcnt(0)
	v_cmp_lt_i32_e64 s[0:1], v51, v16
	s_nop 1
	v_cndmask_b32_e64 v7, 0, v7, s[0:1]
	v_cmp_lt_i32_e64 s[0:1], v22, v16
	v_accvgpr_read_b32 v22, a35
	s_nop 0
	v_cndmask_b32_e64 v18, 0, v18, s[0:1]
	v_cmp_lt_i32_e64 s[0:1], v22, v16
	v_accvgpr_read_b32 v22, a34
	s_nop 0
	v_cndmask_b32_e64 v6, 0, v6, s[0:1]
	v_cmp_lt_i32_e64 s[0:1], v22, v16
	v_accvgpr_read_b32 v22, a33
	s_nop 0
	v_cndmask_b32_e64 v31, 0, v31, s[0:1]
	v_cmp_lt_i32_e64 s[0:1], v22, v16
	v_accvgpr_read_b32 v22, a32
	s_nop 0
	v_cndmask_b32_e64 v17, 0, v17, s[0:1]
	v_cmp_lt_i32_e64 s[0:1], v22, v16
	v_accvgpr_read_b32 v22, a31
	s_nop 0
	v_cndmask_b32_e64 v30, 0, v30, s[0:1]
	v_cmp_lt_i32_e64 s[0:1], v22, v16
	v_accvgpr_read_b32 v22, a30
	s_nop 0
	v_cndmask_b32_e64 v5, 0, v5, s[0:1]
	v_cmp_lt_i32_e64 s[0:1], v22, v16
	s_nop 1
	v_cndmask_b32_e64 v4, 0, v4, s[0:1]
.LBB334_700:                            ;   in Loop: Header=BB334_303 Depth=1
	s_or_b64 exec, exec, s[12:13]
	v_lshlrev_b32_e32 v7, 16, v7
	v_mul_f32_e32 v7, v44, v7
	v_and_b32_e32 v16, 0x7f800000, v7
	v_cmp_ne_u32_e64 s[0:1], s17, v16
                                        ; implicit-def: $vgpr33
	s_and_saveexec_b64 s[12:13], s[0:1]
	s_xor_b64 s[0:1], exec, s[12:13]
; %bb.701:                              ;   in Loop: Header=BB334_303 Depth=1
	v_bfe_u32 v16, v7, 16, 1
	v_add3_u32 v33, v7, v16, s20
                                        ; implicit-def: $vgpr7
; %bb.702:                              ;   in Loop: Header=BB334_303 Depth=1
	s_andn2_saveexec_b64 s[12:13], s[0:1]
; %bb.703:                              ;   in Loop: Header=BB334_303 Depth=1
	v_or_b32_e32 v16, 0x10000, v7
	v_cmp_eq_u32_sdwa s[0:1], v7, v27 src0_sel:WORD_0 src1_sel:DWORD
	s_nop 1
	v_cndmask_b32_e64 v33, v16, v7, s[0:1]
; %bb.704:                              ;   in Loop: Header=BB334_303 Depth=1
	s_or_b64 exec, exec, s[12:13]
	v_lshlrev_b32_e32 v7, 16, v18
	v_mul_f32_e32 v7, v45, v7
	v_and_b32_e32 v16, 0x7f800000, v7
	v_cmp_ne_u32_e64 s[0:1], s17, v16
                                        ; implicit-def: $vgpr28
	s_and_saveexec_b64 s[12:13], s[0:1]
	s_xor_b64 s[0:1], exec, s[12:13]
; %bb.705:                              ;   in Loop: Header=BB334_303 Depth=1
	v_bfe_u32 v16, v7, 16, 1
	v_add3_u32 v28, v7, v16, s20
                                        ; implicit-def: $vgpr7
; %bb.706:                              ;   in Loop: Header=BB334_303 Depth=1
	s_andn2_saveexec_b64 s[12:13], s[0:1]
; %bb.707:                              ;   in Loop: Header=BB334_303 Depth=1
	v_or_b32_e32 v16, 0x10000, v7
	v_cmp_eq_u32_sdwa s[0:1], v7, v27 src0_sel:WORD_0 src1_sel:DWORD
	s_nop 1
	v_cndmask_b32_e64 v28, v16, v7, s[0:1]
; %bb.708:                              ;   in Loop: Header=BB334_303 Depth=1
	s_or_b64 exec, exec, s[12:13]
	v_lshlrev_b32_e32 v6, 16, v6
	v_mul_f32_e32 v6, v46, v6
	v_and_b32_e32 v7, 0x7f800000, v6
	v_cmp_ne_u32_e64 s[0:1], s17, v7
                                        ; implicit-def: $vgpr52
	s_and_saveexec_b64 s[12:13], s[0:1]
	s_xor_b64 s[0:1], exec, s[12:13]
; %bb.709:                              ;   in Loop: Header=BB334_303 Depth=1
	v_bfe_u32 v7, v6, 16, 1
	v_add3_u32 v52, v6, v7, s20
                                        ; implicit-def: $vgpr6
; %bb.710:                              ;   in Loop: Header=BB334_303 Depth=1
	s_andn2_saveexec_b64 s[12:13], s[0:1]
; %bb.711:                              ;   in Loop: Header=BB334_303 Depth=1
	v_or_b32_e32 v7, 0x10000, v6
	v_cmp_eq_u32_sdwa s[0:1], v6, v27 src0_sel:WORD_0 src1_sel:DWORD
	s_nop 1
	v_cndmask_b32_e64 v52, v7, v6, s[0:1]
; %bb.712:                              ;   in Loop: Header=BB334_303 Depth=1
	s_or_b64 exec, exec, s[12:13]
	v_lshlrev_b32_e32 v6, 16, v31
	v_mul_f32_e32 v6, v47, v6
	v_and_b32_e32 v7, 0x7f800000, v6
	v_cmp_ne_u32_e64 s[0:1], s17, v7
                                        ; implicit-def: $vgpr54
	s_and_saveexec_b64 s[12:13], s[0:1]
	s_xor_b64 s[0:1], exec, s[12:13]
; %bb.713:                              ;   in Loop: Header=BB334_303 Depth=1
	v_bfe_u32 v7, v6, 16, 1
	v_add3_u32 v54, v6, v7, s20
                                        ; implicit-def: $vgpr6
; %bb.714:                              ;   in Loop: Header=BB334_303 Depth=1
	s_andn2_saveexec_b64 s[12:13], s[0:1]
; %bb.715:                              ;   in Loop: Header=BB334_303 Depth=1
	v_or_b32_e32 v7, 0x10000, v6
	v_cmp_eq_u32_sdwa s[0:1], v6, v27 src0_sel:WORD_0 src1_sel:DWORD
	s_nop 1
	v_cndmask_b32_e64 v54, v7, v6, s[0:1]
; %bb.716:                              ;   in Loop: Header=BB334_303 Depth=1
	s_or_b64 exec, exec, s[12:13]
	v_lshlrev_b32_e32 v6, 16, v17
	v_mul_f32_e32 v6, v62, v6
	v_and_b32_e32 v7, 0x7f800000, v6
	v_cmp_ne_u32_e64 s[0:1], s17, v7
                                        ; implicit-def: $vgpr55
	s_and_saveexec_b64 s[12:13], s[0:1]
	s_xor_b64 s[0:1], exec, s[12:13]
; %bb.717:                              ;   in Loop: Header=BB334_303 Depth=1
	v_bfe_u32 v7, v6, 16, 1
	v_add3_u32 v55, v6, v7, s20
                                        ; implicit-def: $vgpr6
; %bb.718:                              ;   in Loop: Header=BB334_303 Depth=1
	s_andn2_saveexec_b64 s[12:13], s[0:1]
; %bb.719:                              ;   in Loop: Header=BB334_303 Depth=1
	v_or_b32_e32 v7, 0x10000, v6
	v_cmp_eq_u32_sdwa s[0:1], v6, v27 src0_sel:WORD_0 src1_sel:DWORD
	s_nop 1
	v_cndmask_b32_e64 v55, v7, v6, s[0:1]
; %bb.720:                              ;   in Loop: Header=BB334_303 Depth=1
	s_or_b64 exec, exec, s[12:13]
	v_lshlrev_b32_e32 v6, 16, v30
	v_mul_f32_e32 v6, v63, v6
	v_and_b32_e32 v7, 0x7f800000, v6
	v_cmp_ne_u32_e64 s[0:1], s17, v7
                                        ; implicit-def: $vgpr53
	s_and_saveexec_b64 s[12:13], s[0:1]
	s_xor_b64 s[0:1], exec, s[12:13]
; %bb.721:                              ;   in Loop: Header=BB334_303 Depth=1
	v_bfe_u32 v7, v6, 16, 1
	v_add3_u32 v53, v6, v7, s20
                                        ; implicit-def: $vgpr6
; %bb.722:                              ;   in Loop: Header=BB334_303 Depth=1
	s_andn2_saveexec_b64 s[12:13], s[0:1]
; %bb.723:                              ;   in Loop: Header=BB334_303 Depth=1
	v_or_b32_e32 v7, 0x10000, v6
	v_cmp_eq_u32_sdwa s[0:1], v6, v27 src0_sel:WORD_0 src1_sel:DWORD
	s_nop 1
	v_cndmask_b32_e64 v53, v7, v6, s[0:1]
; %bb.724:                              ;   in Loop: Header=BB334_303 Depth=1
	s_or_b64 exec, exec, s[12:13]
	v_lshlrev_b32_e32 v5, 16, v5
	v_mul_f32_e32 v5, v34, v5
	v_and_b32_e32 v6, 0x7f800000, v5
	v_cmp_ne_u32_e64 s[0:1], s17, v6
                                        ; implicit-def: $vgpr40
	s_and_saveexec_b64 s[12:13], s[0:1]
	s_xor_b64 s[0:1], exec, s[12:13]
; %bb.725:                              ;   in Loop: Header=BB334_303 Depth=1
	v_bfe_u32 v6, v5, 16, 1
	v_add3_u32 v40, v5, v6, s20
                                        ; implicit-def: $vgpr5
; %bb.726:                              ;   in Loop: Header=BB334_303 Depth=1
	s_andn2_saveexec_b64 s[12:13], s[0:1]
; %bb.727:                              ;   in Loop: Header=BB334_303 Depth=1
	v_or_b32_e32 v6, 0x10000, v5
	v_cmp_eq_u32_sdwa s[0:1], v5, v27 src0_sel:WORD_0 src1_sel:DWORD
	s_nop 1
	v_cndmask_b32_e64 v40, v6, v5, s[0:1]
; %bb.728:                              ;   in Loop: Header=BB334_303 Depth=1
	s_or_b64 exec, exec, s[12:13]
	v_lshlrev_b32_e32 v4, 16, v4
	v_mul_f32_e32 v4, v29, v4
	v_and_b32_e32 v5, 0x7f800000, v4
	v_cmp_ne_u32_e64 s[0:1], s17, v5
                                        ; implicit-def: $vgpr41
	s_and_saveexec_b64 s[12:13], s[0:1]
	s_xor_b64 s[0:1], exec, s[12:13]
; %bb.729:                              ;   in Loop: Header=BB334_303 Depth=1
	v_bfe_u32 v5, v4, 16, 1
	v_add3_u32 v41, v4, v5, s20
                                        ; implicit-def: $vgpr4
; %bb.730:                              ;   in Loop: Header=BB334_303 Depth=1
	s_andn2_saveexec_b64 s[12:13], s[0:1]
; %bb.731:                              ;   in Loop: Header=BB334_303 Depth=1
	v_or_b32_e32 v5, 0x10000, v4
	v_cmp_eq_u32_sdwa s[0:1], v4, v27 src0_sel:WORD_0 src1_sel:DWORD
	s_nop 1
	v_cndmask_b32_e64 v41, v5, v4, s[0:1]
; %bb.732:                              ;   in Loop: Header=BB334_303 Depth=1
	s_or_b64 exec, exec, s[12:13]
	flat_load_dwordx2 v[4:5], v[2:3] offset:3072
                                        ; implicit-def: $vgpr22
	s_waitcnt vmcnt(0) lgkmcnt(0)
	v_and_b32_e32 v6, 0xff, v4
	v_cvt_f32_fp8_sdwa v6, v6 src0_sel:BYTE_0
	s_nop 0
	v_mul_f32_e32 v6, v39, v6
	v_and_b32_e32 v7, 0x7f800000, v6
	v_cmp_ne_u32_e64 s[0:1], s17, v7
	s_and_saveexec_b64 s[12:13], s[0:1]
	s_xor_b64 s[0:1], exec, s[12:13]
; %bb.733:                              ;   in Loop: Header=BB334_303 Depth=1
	v_bfe_u32 v7, v6, 16, 1
	v_add3_u32 v22, v6, v7, s20
                                        ; implicit-def: $vgpr6
; %bb.734:                              ;   in Loop: Header=BB334_303 Depth=1
	s_andn2_saveexec_b64 s[12:13], s[0:1]
; %bb.735:                              ;   in Loop: Header=BB334_303 Depth=1
	v_or_b32_e32 v7, 0x10000, v6
	v_cmp_eq_u32_sdwa s[0:1], v6, v27 src0_sel:WORD_0 src1_sel:DWORD
	s_nop 1
	v_cndmask_b32_e64 v22, v7, v6, s[0:1]
; %bb.736:                              ;   in Loop: Header=BB334_303 Depth=1
	s_or_b64 exec, exec, s[12:13]
	v_bfe_u32 v6, v4, 8, 8
	v_cvt_f32_fp8_sdwa v6, v6 src0_sel:BYTE_0
                                        ; implicit-def: $vgpr23
	s_nop 0
	v_mul_f32_e32 v6, v39, v6
	v_and_b32_e32 v7, 0x7f800000, v6
	v_cmp_ne_u32_e64 s[0:1], s17, v7
	s_and_saveexec_b64 s[12:13], s[0:1]
	s_xor_b64 s[0:1], exec, s[12:13]
; %bb.737:                              ;   in Loop: Header=BB334_303 Depth=1
	v_bfe_u32 v7, v6, 16, 1
	v_add3_u32 v23, v6, v7, s20
                                        ; implicit-def: $vgpr6
; %bb.738:                              ;   in Loop: Header=BB334_303 Depth=1
	s_andn2_saveexec_b64 s[12:13], s[0:1]
; %bb.739:                              ;   in Loop: Header=BB334_303 Depth=1
	v_or_b32_e32 v7, 0x10000, v6
	v_cmp_eq_u32_sdwa s[0:1], v6, v27 src0_sel:WORD_0 src1_sel:DWORD
	s_nop 1
	v_cndmask_b32_e64 v23, v7, v6, s[0:1]
; %bb.740:                              ;   in Loop: Header=BB334_303 Depth=1
	s_or_b64 exec, exec, s[12:13]
	v_bfe_u32 v6, v4, 16, 8
	v_cvt_f32_fp8_sdwa v6, v6 src0_sel:BYTE_0
                                        ; implicit-def: $vgpr18
	s_nop 0
	v_mul_f32_e32 v6, v39, v6
	v_and_b32_e32 v7, 0x7f800000, v6
	v_cmp_ne_u32_e64 s[0:1], s17, v7
	s_and_saveexec_b64 s[12:13], s[0:1]
	s_xor_b64 s[0:1], exec, s[12:13]
; %bb.741:                              ;   in Loop: Header=BB334_303 Depth=1
	v_bfe_u32 v7, v6, 16, 1
	v_add3_u32 v18, v6, v7, s20
                                        ; implicit-def: $vgpr6
; %bb.742:                              ;   in Loop: Header=BB334_303 Depth=1
	s_andn2_saveexec_b64 s[12:13], s[0:1]
; %bb.743:                              ;   in Loop: Header=BB334_303 Depth=1
	v_or_b32_e32 v7, 0x10000, v6
	v_cmp_eq_u32_sdwa s[0:1], v6, v27 src0_sel:WORD_0 src1_sel:DWORD
	s_nop 1
	v_cndmask_b32_e64 v18, v7, v6, s[0:1]
; %bb.744:                              ;   in Loop: Header=BB334_303 Depth=1
	s_or_b64 exec, exec, s[12:13]
	v_lshrrev_b32_e32 v4, 24, v4
	v_cvt_f32_fp8_sdwa v4, v4 src0_sel:BYTE_0
	s_nop 0
	v_mul_f32_e32 v6, v39, v4
	v_and_b32_e32 v4, 0x7f800000, v6
	v_cmp_ne_u32_e64 s[0:1], s17, v4
                                        ; implicit-def: $vgpr4
	s_and_saveexec_b64 s[12:13], s[0:1]
	s_xor_b64 s[0:1], exec, s[12:13]
; %bb.745:                              ;   in Loop: Header=BB334_303 Depth=1
	v_bfe_u32 v4, v6, 16, 1
	v_add3_u32 v4, v6, v4, s20
                                        ; implicit-def: $vgpr6
; %bb.746:                              ;   in Loop: Header=BB334_303 Depth=1
	s_andn2_saveexec_b64 s[12:13], s[0:1]
; %bb.747:                              ;   in Loop: Header=BB334_303 Depth=1
	v_or_b32_e32 v4, 0x10000, v6
	v_cmp_eq_u32_sdwa s[0:1], v6, v27 src0_sel:WORD_0 src1_sel:DWORD
	s_nop 1
	v_cndmask_b32_e64 v4, v4, v6, s[0:1]
; %bb.748:                              ;   in Loop: Header=BB334_303 Depth=1
	s_or_b64 exec, exec, s[12:13]
	v_and_b32_e32 v6, 0xff, v5
	v_cvt_f32_fp8_sdwa v6, v6 src0_sel:BYTE_0
	s_nop 0
	v_mul_f32_e32 v7, v39, v6
	v_and_b32_e32 v6, 0x7f800000, v7
	v_cmp_ne_u32_e64 s[0:1], s17, v6
                                        ; implicit-def: $vgpr6
	s_and_saveexec_b64 s[12:13], s[0:1]
	s_xor_b64 s[0:1], exec, s[12:13]
; %bb.749:                              ;   in Loop: Header=BB334_303 Depth=1
	v_bfe_u32 v6, v7, 16, 1
	v_add3_u32 v6, v7, v6, s20
                                        ; implicit-def: $vgpr7
; %bb.750:                              ;   in Loop: Header=BB334_303 Depth=1
	s_andn2_saveexec_b64 s[12:13], s[0:1]
; %bb.751:                              ;   in Loop: Header=BB334_303 Depth=1
	v_or_b32_e32 v6, 0x10000, v7
	v_cmp_eq_u32_sdwa s[0:1], v7, v27 src0_sel:WORD_0 src1_sel:DWORD
	s_nop 1
	v_cndmask_b32_e64 v6, v6, v7, s[0:1]
; %bb.752:                              ;   in Loop: Header=BB334_303 Depth=1
	s_or_b64 exec, exec, s[12:13]
	v_bfe_u32 v7, v5, 8, 8
	v_cvt_f32_fp8_sdwa v7, v7 src0_sel:BYTE_0
                                        ; implicit-def: $vgpr17
	s_nop 0
	v_mul_f32_e32 v7, v39, v7
	v_and_b32_e32 v16, 0x7f800000, v7
	v_cmp_ne_u32_e64 s[0:1], s17, v16
	s_and_saveexec_b64 s[12:13], s[0:1]
	s_xor_b64 s[0:1], exec, s[12:13]
; %bb.753:                              ;   in Loop: Header=BB334_303 Depth=1
	v_bfe_u32 v16, v7, 16, 1
	v_add3_u32 v17, v7, v16, s20
                                        ; implicit-def: $vgpr7
; %bb.754:                              ;   in Loop: Header=BB334_303 Depth=1
	s_andn2_saveexec_b64 s[12:13], s[0:1]
; %bb.755:                              ;   in Loop: Header=BB334_303 Depth=1
	v_or_b32_e32 v16, 0x10000, v7
	v_cmp_eq_u32_sdwa s[0:1], v7, v27 src0_sel:WORD_0 src1_sel:DWORD
	s_nop 1
	v_cndmask_b32_e64 v17, v16, v7, s[0:1]
; %bb.756:                              ;   in Loop: Header=BB334_303 Depth=1
	s_or_b64 exec, exec, s[12:13]
	v_bfe_u32 v7, v5, 16, 8
	v_cvt_f32_fp8_sdwa v7, v7 src0_sel:BYTE_0
                                        ; implicit-def: $vgpr30
	s_nop 0
	v_mul_f32_e32 v7, v39, v7
	v_and_b32_e32 v16, 0x7f800000, v7
	v_cmp_ne_u32_e64 s[0:1], s17, v16
	s_and_saveexec_b64 s[12:13], s[0:1]
	s_xor_b64 s[0:1], exec, s[12:13]
; %bb.757:                              ;   in Loop: Header=BB334_303 Depth=1
	v_bfe_u32 v16, v7, 16, 1
	v_add3_u32 v30, v7, v16, s20
                                        ; implicit-def: $vgpr7
; %bb.758:                              ;   in Loop: Header=BB334_303 Depth=1
	s_andn2_saveexec_b64 s[12:13], s[0:1]
; %bb.759:                              ;   in Loop: Header=BB334_303 Depth=1
	v_or_b32_e32 v16, 0x10000, v7
	v_cmp_eq_u32_sdwa s[0:1], v7, v27 src0_sel:WORD_0 src1_sel:DWORD
	s_nop 1
	v_cndmask_b32_e64 v30, v16, v7, s[0:1]
; %bb.760:                              ;   in Loop: Header=BB334_303 Depth=1
	s_or_b64 exec, exec, s[12:13]
	v_lshrrev_b32_e32 v5, 24, v5
	v_cvt_f32_fp8_sdwa v5, v5 src0_sel:BYTE_0
	s_nop 0
	v_mul_f32_e32 v5, v39, v5
	v_and_b32_e32 v7, 0x7f800000, v5
	v_cmp_ne_u32_e64 s[0:1], s17, v7
                                        ; implicit-def: $vgpr7
	s_and_saveexec_b64 s[12:13], s[0:1]
	s_xor_b64 s[0:1], exec, s[12:13]
; %bb.761:                              ;   in Loop: Header=BB334_303 Depth=1
	v_bfe_u32 v7, v5, 16, 1
	v_add3_u32 v7, v5, v7, s20
                                        ; implicit-def: $vgpr5
; %bb.762:                              ;   in Loop: Header=BB334_303 Depth=1
	s_andn2_saveexec_b64 s[12:13], s[0:1]
; %bb.763:                              ;   in Loop: Header=BB334_303 Depth=1
	v_or_b32_e32 v7, 0x10000, v5
	v_cmp_eq_u32_sdwa s[0:1], v5, v27 src0_sel:WORD_0 src1_sel:DWORD
	s_nop 1
	v_cndmask_b32_e64 v7, v7, v5, s[0:1]
; %bb.764:                              ;   in Loop: Header=BB334_303 Depth=1
	s_or_b64 exec, exec, s[12:13]
	v_lshrrev_b32_e32 v58, 16, v17
	v_lshrrev_b32_e32 v17, 16, v6
	;; [unrolled: 1-line block ×8, first 2 shown]
	s_and_saveexec_b64 s[12:13], vcc
	s_cbranch_execz .LBB334_766
; %bb.765:                              ;   in Loop: Header=BB334_303 Depth=1
	scratch_load_dword v7, off, s32 offset:192 ; 4-byte Folded Reload
	v_accvgpr_read_b32 v16, a36
	s_waitcnt vmcnt(0)
	v_cmp_lt_i32_e64 s[0:1], v51, v7
	s_nop 1
	v_cndmask_b32_e64 v4, 0, v4, s[0:1]
	v_cmp_lt_i32_e64 s[0:1], v16, v7
	v_accvgpr_read_b32 v16, a35
	s_nop 0
	v_cndmask_b32_e64 v5, 0, v5, s[0:1]
	v_cmp_lt_i32_e64 s[0:1], v16, v7
	v_accvgpr_read_b32 v16, a34
	;; [unrolled: 4-line block ×6, first 2 shown]
	s_nop 0
	v_cndmask_b32_e64 v30, 0, v30, s[0:1]
	v_cmp_lt_i32_e64 s[0:1], v16, v7
	s_nop 1
	v_cndmask_b32_e64 v31, 0, v31, s[0:1]
.LBB334_766:                            ;   in Loop: Header=BB334_303 Depth=1
	s_or_b64 exec, exec, s[12:13]
	v_lshlrev_b32_e32 v4, 16, v4
	v_mul_f32_e32 v7, v44, v4
	v_and_b32_e32 v4, 0x7f800000, v7
	v_cmp_ne_u32_e64 s[0:1], s17, v4
                                        ; implicit-def: $vgpr4
	s_and_saveexec_b64 s[12:13], s[0:1]
	s_xor_b64 s[0:1], exec, s[12:13]
; %bb.767:                              ;   in Loop: Header=BB334_303 Depth=1
	v_bfe_u32 v4, v7, 16, 1
	v_add3_u32 v4, v7, v4, s20
                                        ; implicit-def: $vgpr7
; %bb.768:                              ;   in Loop: Header=BB334_303 Depth=1
	s_andn2_saveexec_b64 s[12:13], s[0:1]
; %bb.769:                              ;   in Loop: Header=BB334_303 Depth=1
	v_or_b32_e32 v4, 0x10000, v7
	v_cmp_eq_u32_sdwa s[0:1], v7, v27 src0_sel:WORD_0 src1_sel:DWORD
	s_nop 1
	v_cndmask_b32_e64 v4, v4, v7, s[0:1]
; %bb.770:                              ;   in Loop: Header=BB334_303 Depth=1
	s_or_b64 exec, exec, s[12:13]
	v_lshlrev_b32_e32 v5, 16, v5
	v_mul_f32_e32 v7, v45, v5
	v_and_b32_e32 v5, 0x7f800000, v7
	v_cmp_ne_u32_e64 s[0:1], s17, v5
                                        ; implicit-def: $vgpr5
	s_and_saveexec_b64 s[12:13], s[0:1]
	s_xor_b64 s[0:1], exec, s[12:13]
; %bb.771:                              ;   in Loop: Header=BB334_303 Depth=1
	v_bfe_u32 v5, v7, 16, 1
	v_add3_u32 v5, v7, v5, s20
                                        ; implicit-def: $vgpr7
; %bb.772:                              ;   in Loop: Header=BB334_303 Depth=1
	s_andn2_saveexec_b64 s[12:13], s[0:1]
; %bb.773:                              ;   in Loop: Header=BB334_303 Depth=1
	v_or_b32_e32 v5, 0x10000, v7
	v_cmp_eq_u32_sdwa s[0:1], v7, v27 src0_sel:WORD_0 src1_sel:DWORD
	s_nop 1
	v_cndmask_b32_e64 v5, v5, v7, s[0:1]
; %bb.774:                              ;   in Loop: Header=BB334_303 Depth=1
	s_or_b64 exec, exec, s[12:13]
	v_lshlrev_b32_e32 v6, 16, v6
	v_mul_f32_e32 v6, v46, v6
	v_and_b32_e32 v7, 0x7f800000, v6
	v_cmp_ne_u32_e64 s[0:1], s17, v7
                                        ; implicit-def: $vgpr42
	s_and_saveexec_b64 s[12:13], s[0:1]
	s_xor_b64 s[0:1], exec, s[12:13]
; %bb.775:                              ;   in Loop: Header=BB334_303 Depth=1
	v_bfe_u32 v7, v6, 16, 1
	v_add3_u32 v42, v6, v7, s20
                                        ; implicit-def: $vgpr6
; %bb.776:                              ;   in Loop: Header=BB334_303 Depth=1
	s_andn2_saveexec_b64 s[12:13], s[0:1]
; %bb.777:                              ;   in Loop: Header=BB334_303 Depth=1
	v_or_b32_e32 v7, 0x10000, v6
	v_cmp_eq_u32_sdwa s[0:1], v6, v27 src0_sel:WORD_0 src1_sel:DWORD
	s_nop 1
	v_cndmask_b32_e64 v42, v7, v6, s[0:1]
; %bb.778:                              ;   in Loop: Header=BB334_303 Depth=1
	s_or_b64 exec, exec, s[12:13]
	v_lshlrev_b32_e32 v6, 16, v43
	v_mul_f32_e32 v6, v47, v6
	v_and_b32_e32 v7, 0x7f800000, v6
	v_cmp_ne_u32_e64 s[0:1], s17, v7
                                        ; implicit-def: $vgpr43
	s_and_saveexec_b64 s[12:13], s[0:1]
	s_xor_b64 s[0:1], exec, s[12:13]
; %bb.779:                              ;   in Loop: Header=BB334_303 Depth=1
	v_bfe_u32 v7, v6, 16, 1
	v_add3_u32 v43, v6, v7, s20
                                        ; implicit-def: $vgpr6
; %bb.780:                              ;   in Loop: Header=BB334_303 Depth=1
	s_andn2_saveexec_b64 s[12:13], s[0:1]
; %bb.781:                              ;   in Loop: Header=BB334_303 Depth=1
	v_or_b32_e32 v7, 0x10000, v6
	v_cmp_eq_u32_sdwa s[0:1], v6, v27 src0_sel:WORD_0 src1_sel:DWORD
	s_nop 1
	v_cndmask_b32_e64 v43, v7, v6, s[0:1]
; %bb.782:                              ;   in Loop: Header=BB334_303 Depth=1
	s_or_b64 exec, exec, s[12:13]
	v_lshlrev_b32_e32 v6, 16, v17
	v_mul_f32_e32 v6, v62, v6
	v_and_b32_e32 v7, 0x7f800000, v6
	v_cmp_ne_u32_e64 s[0:1], s17, v7
                                        ; implicit-def: $vgpr23
	s_and_saveexec_b64 s[12:13], s[0:1]
	s_xor_b64 s[0:1], exec, s[12:13]
; %bb.783:                              ;   in Loop: Header=BB334_303 Depth=1
	v_bfe_u32 v7, v6, 16, 1
	v_add3_u32 v23, v6, v7, s20
                                        ; implicit-def: $vgpr6
; %bb.784:                              ;   in Loop: Header=BB334_303 Depth=1
	s_andn2_saveexec_b64 s[12:13], s[0:1]
; %bb.785:                              ;   in Loop: Header=BB334_303 Depth=1
	v_or_b32_e32 v7, 0x10000, v6
	v_cmp_eq_u32_sdwa s[0:1], v6, v27 src0_sel:WORD_0 src1_sel:DWORD
	s_nop 1
	v_cndmask_b32_e64 v23, v7, v6, s[0:1]
; %bb.786:                              ;   in Loop: Header=BB334_303 Depth=1
	s_or_b64 exec, exec, s[12:13]
	v_lshlrev_b32_e32 v6, 16, v58
	v_mul_f32_e32 v6, v63, v6
	v_and_b32_e32 v7, 0x7f800000, v6
	v_cmp_ne_u32_e64 s[0:1], s17, v7
                                        ; implicit-def: $vgpr22
	s_and_saveexec_b64 s[12:13], s[0:1]
	s_xor_b64 s[0:1], exec, s[12:13]
; %bb.787:                              ;   in Loop: Header=BB334_303 Depth=1
	v_bfe_u32 v7, v6, 16, 1
	v_add3_u32 v22, v6, v7, s20
                                        ; implicit-def: $vgpr6
; %bb.788:                              ;   in Loop: Header=BB334_303 Depth=1
	s_andn2_saveexec_b64 s[12:13], s[0:1]
; %bb.789:                              ;   in Loop: Header=BB334_303 Depth=1
	v_or_b32_e32 v7, 0x10000, v6
	v_cmp_eq_u32_sdwa s[0:1], v6, v27 src0_sel:WORD_0 src1_sel:DWORD
	s_nop 1
	v_cndmask_b32_e64 v22, v7, v6, s[0:1]
; %bb.790:                              ;   in Loop: Header=BB334_303 Depth=1
	s_or_b64 exec, exec, s[12:13]
	v_lshlrev_b32_e32 v6, 16, v30
	v_mul_f32_e32 v6, v34, v6
	v_and_b32_e32 v7, 0x7f800000, v6
	v_cmp_ne_u32_e64 s[0:1], s17, v7
                                        ; implicit-def: $vgpr30
	s_and_saveexec_b64 s[12:13], s[0:1]
	s_xor_b64 s[0:1], exec, s[12:13]
; %bb.791:                              ;   in Loop: Header=BB334_303 Depth=1
	v_bfe_u32 v7, v6, 16, 1
	v_add3_u32 v30, v6, v7, s20
                                        ; implicit-def: $vgpr6
; %bb.792:                              ;   in Loop: Header=BB334_303 Depth=1
	s_andn2_saveexec_b64 s[12:13], s[0:1]
; %bb.793:                              ;   in Loop: Header=BB334_303 Depth=1
	v_or_b32_e32 v7, 0x10000, v6
	v_cmp_eq_u32_sdwa s[0:1], v6, v27 src0_sel:WORD_0 src1_sel:DWORD
	s_nop 1
	v_cndmask_b32_e64 v30, v7, v6, s[0:1]
; %bb.794:                              ;   in Loop: Header=BB334_303 Depth=1
	s_or_b64 exec, exec, s[12:13]
	v_lshlrev_b32_e32 v6, 16, v31
	v_mul_f32_e32 v6, v29, v6
	v_and_b32_e32 v7, 0x7f800000, v6
	v_cmp_ne_u32_e64 s[0:1], s17, v7
                                        ; implicit-def: $vgpr31
	s_and_saveexec_b64 s[12:13], s[0:1]
	s_xor_b64 s[0:1], exec, s[12:13]
; %bb.795:                              ;   in Loop: Header=BB334_303 Depth=1
	v_bfe_u32 v7, v6, 16, 1
	v_add3_u32 v31, v6, v7, s20
                                        ; implicit-def: $vgpr6
; %bb.796:                              ;   in Loop: Header=BB334_303 Depth=1
	s_andn2_saveexec_b64 s[12:13], s[0:1]
; %bb.797:                              ;   in Loop: Header=BB334_303 Depth=1
	v_or_b32_e32 v7, 0x10000, v6
	v_cmp_eq_u32_sdwa s[0:1], v6, v27 src0_sel:WORD_0 src1_sel:DWORD
	s_nop 1
	v_cndmask_b32_e64 v31, v7, v6, s[0:1]
; %bb.798:                              ;   in Loop: Header=BB334_303 Depth=1
	s_or_b64 exec, exec, s[12:13]
	flat_load_dwordx2 v[2:3], v[2:3] offset:3584
                                        ; implicit-def: $vgpr61
	s_waitcnt vmcnt(0) lgkmcnt(0)
	v_and_b32_e32 v6, 0xff, v2
	v_cvt_f32_fp8_sdwa v6, v6 src0_sel:BYTE_0
	s_nop 0
	v_mul_f32_e32 v6, v39, v6
	v_and_b32_e32 v7, 0x7f800000, v6
	v_cmp_ne_u32_e64 s[0:1], s17, v7
	s_and_saveexec_b64 s[12:13], s[0:1]
	s_xor_b64 s[0:1], exec, s[12:13]
; %bb.799:                              ;   in Loop: Header=BB334_303 Depth=1
	v_bfe_u32 v7, v6, 16, 1
	v_add3_u32 v61, v6, v7, s20
                                        ; implicit-def: $vgpr6
; %bb.800:                              ;   in Loop: Header=BB334_303 Depth=1
	s_andn2_saveexec_b64 s[12:13], s[0:1]
; %bb.801:                              ;   in Loop: Header=BB334_303 Depth=1
	v_or_b32_e32 v7, 0x10000, v6
	v_cmp_eq_u32_sdwa s[0:1], v6, v27 src0_sel:WORD_0 src1_sel:DWORD
	s_nop 1
	v_cndmask_b32_e64 v61, v7, v6, s[0:1]
; %bb.802:                              ;   in Loop: Header=BB334_303 Depth=1
	s_or_b64 exec, exec, s[12:13]
	v_bfe_u32 v6, v2, 8, 8
	v_cvt_f32_fp8_sdwa v6, v6 src0_sel:BYTE_0
                                        ; implicit-def: $vgpr58
	s_nop 0
	v_mul_f32_e32 v6, v39, v6
	v_and_b32_e32 v7, 0x7f800000, v6
	v_cmp_ne_u32_e64 s[0:1], s17, v7
	s_and_saveexec_b64 s[12:13], s[0:1]
	s_xor_b64 s[0:1], exec, s[12:13]
; %bb.803:                              ;   in Loop: Header=BB334_303 Depth=1
	v_bfe_u32 v7, v6, 16, 1
	v_add3_u32 v58, v6, v7, s20
                                        ; implicit-def: $vgpr6
; %bb.804:                              ;   in Loop: Header=BB334_303 Depth=1
	s_andn2_saveexec_b64 s[12:13], s[0:1]
; %bb.805:                              ;   in Loop: Header=BB334_303 Depth=1
	v_or_b32_e32 v7, 0x10000, v6
	v_cmp_eq_u32_sdwa s[0:1], v6, v27 src0_sel:WORD_0 src1_sel:DWORD
	s_nop 1
	v_cndmask_b32_e64 v58, v7, v6, s[0:1]
; %bb.806:                              ;   in Loop: Header=BB334_303 Depth=1
	s_or_b64 exec, exec, s[12:13]
	v_bfe_u32 v6, v2, 16, 8
	v_cvt_f32_fp8_sdwa v6, v6 src0_sel:BYTE_0
                                        ; implicit-def: $vgpr17
	s_nop 0
	v_mul_f32_e32 v6, v39, v6
	v_and_b32_e32 v7, 0x7f800000, v6
	v_cmp_ne_u32_e64 s[0:1], s17, v7
	s_and_saveexec_b64 s[12:13], s[0:1]
	s_xor_b64 s[0:1], exec, s[12:13]
; %bb.807:                              ;   in Loop: Header=BB334_303 Depth=1
	v_bfe_u32 v7, v6, 16, 1
	v_add3_u32 v17, v6, v7, s20
                                        ; implicit-def: $vgpr6
; %bb.808:                              ;   in Loop: Header=BB334_303 Depth=1
	s_andn2_saveexec_b64 s[12:13], s[0:1]
; %bb.809:                              ;   in Loop: Header=BB334_303 Depth=1
	v_or_b32_e32 v7, 0x10000, v6
	v_cmp_eq_u32_sdwa s[0:1], v6, v27 src0_sel:WORD_0 src1_sel:DWORD
	s_nop 1
	v_cndmask_b32_e64 v17, v7, v6, s[0:1]
; %bb.810:                              ;   in Loop: Header=BB334_303 Depth=1
	s_or_b64 exec, exec, s[12:13]
	v_lshrrev_b32_e32 v2, 24, v2
	v_cvt_f32_fp8_sdwa v2, v2 src0_sel:BYTE_0
	s_nop 0
	v_mul_f32_e32 v6, v39, v2
	v_and_b32_e32 v2, 0x7f800000, v6
	v_cmp_ne_u32_e64 s[0:1], s17, v2
                                        ; implicit-def: $vgpr2
	s_and_saveexec_b64 s[12:13], s[0:1]
	s_xor_b64 s[0:1], exec, s[12:13]
; %bb.811:                              ;   in Loop: Header=BB334_303 Depth=1
	v_bfe_u32 v2, v6, 16, 1
	v_add3_u32 v2, v6, v2, s20
                                        ; implicit-def: $vgpr6
; %bb.812:                              ;   in Loop: Header=BB334_303 Depth=1
	s_andn2_saveexec_b64 s[12:13], s[0:1]
; %bb.813:                              ;   in Loop: Header=BB334_303 Depth=1
	v_or_b32_e32 v2, 0x10000, v6
	v_cmp_eq_u32_sdwa s[0:1], v6, v27 src0_sel:WORD_0 src1_sel:DWORD
	s_nop 1
	v_cndmask_b32_e64 v2, v2, v6, s[0:1]
; %bb.814:                              ;   in Loop: Header=BB334_303 Depth=1
	s_or_b64 exec, exec, s[12:13]
	v_and_b32_e32 v6, 0xff, v3
	v_cvt_f32_fp8_sdwa v6, v6 src0_sel:BYTE_0
	s_nop 0
	v_mul_f32_e32 v7, v39, v6
	v_and_b32_e32 v6, 0x7f800000, v7
	v_cmp_ne_u32_e64 s[0:1], s17, v6
                                        ; implicit-def: $vgpr6
	s_and_saveexec_b64 s[12:13], s[0:1]
	s_xor_b64 s[0:1], exec, s[12:13]
; %bb.815:                              ;   in Loop: Header=BB334_303 Depth=1
	v_bfe_u32 v6, v7, 16, 1
	v_add3_u32 v6, v7, v6, s20
                                        ; implicit-def: $vgpr7
; %bb.816:                              ;   in Loop: Header=BB334_303 Depth=1
	s_andn2_saveexec_b64 s[12:13], s[0:1]
; %bb.817:                              ;   in Loop: Header=BB334_303 Depth=1
	v_or_b32_e32 v6, 0x10000, v7
	v_cmp_eq_u32_sdwa s[0:1], v7, v27 src0_sel:WORD_0 src1_sel:DWORD
	s_nop 1
	v_cndmask_b32_e64 v6, v6, v7, s[0:1]
; %bb.818:                              ;   in Loop: Header=BB334_303 Depth=1
	s_or_b64 exec, exec, s[12:13]
	v_bfe_u32 v7, v3, 8, 8
	v_cvt_f32_fp8_sdwa v7, v7 src0_sel:BYTE_0
                                        ; implicit-def: $vgpr18
	s_nop 0
	v_mul_f32_e32 v7, v39, v7
	v_and_b32_e32 v16, 0x7f800000, v7
	v_cmp_ne_u32_e64 s[0:1], s17, v16
	s_and_saveexec_b64 s[12:13], s[0:1]
	s_xor_b64 s[0:1], exec, s[12:13]
; %bb.819:                              ;   in Loop: Header=BB334_303 Depth=1
	v_bfe_u32 v16, v7, 16, 1
	v_add3_u32 v18, v7, v16, s20
                                        ; implicit-def: $vgpr7
; %bb.820:                              ;   in Loop: Header=BB334_303 Depth=1
	s_andn2_saveexec_b64 s[12:13], s[0:1]
; %bb.821:                              ;   in Loop: Header=BB334_303 Depth=1
	v_or_b32_e32 v16, 0x10000, v7
	v_cmp_eq_u32_sdwa s[0:1], v7, v27 src0_sel:WORD_0 src1_sel:DWORD
	s_nop 1
	v_cndmask_b32_e64 v18, v16, v7, s[0:1]
; %bb.822:                              ;   in Loop: Header=BB334_303 Depth=1
	s_or_b64 exec, exec, s[12:13]
	v_bfe_u32 v7, v3, 16, 8
	v_cvt_f32_fp8_sdwa v7, v7 src0_sel:BYTE_0
	s_nop 0
	v_mul_f32_e32 v60, v39, v7
	v_and_b32_e32 v7, 0x7f800000, v60
	v_cmp_ne_u32_e64 s[0:1], s17, v7
                                        ; implicit-def: $vgpr7
	s_and_saveexec_b64 s[12:13], s[0:1]
	s_xor_b64 s[0:1], exec, s[12:13]
; %bb.823:                              ;   in Loop: Header=BB334_303 Depth=1
	v_bfe_u32 v7, v60, 16, 1
	v_add3_u32 v7, v60, v7, s20
                                        ; implicit-def: $vgpr60
; %bb.824:                              ;   in Loop: Header=BB334_303 Depth=1
	s_andn2_saveexec_b64 s[12:13], s[0:1]
; %bb.825:                              ;   in Loop: Header=BB334_303 Depth=1
	v_or_b32_e32 v7, 0x10000, v60
	v_cmp_eq_u32_sdwa s[0:1], v60, v27 src0_sel:WORD_0 src1_sel:DWORD
	s_nop 1
	v_cndmask_b32_e64 v7, v7, v60, s[0:1]
; %bb.826:                              ;   in Loop: Header=BB334_303 Depth=1
	s_or_b64 exec, exec, s[12:13]
	v_lshrrev_b32_e32 v3, 24, v3
	v_cvt_f32_fp8_sdwa v3, v3 src0_sel:BYTE_0
	s_nop 0
	v_mul_f32_e32 v3, v39, v3
	v_and_b32_e32 v16, 0x7f800000, v3
	v_cmp_ne_u32_e64 s[0:1], s17, v16
                                        ; implicit-def: $vgpr39
	s_and_saveexec_b64 s[12:13], s[0:1]
	s_xor_b64 s[0:1], exec, s[12:13]
; %bb.827:                              ;   in Loop: Header=BB334_303 Depth=1
	v_bfe_u32 v16, v3, 16, 1
	v_add3_u32 v39, v3, v16, s20
                                        ; implicit-def: $vgpr3
; %bb.828:                              ;   in Loop: Header=BB334_303 Depth=1
	s_andn2_saveexec_b64 s[12:13], s[0:1]
; %bb.829:                              ;   in Loop: Header=BB334_303 Depth=1
	v_or_b32_e32 v16, 0x10000, v3
	v_cmp_eq_u32_sdwa s[0:1], v3, v27 src0_sel:WORD_0 src1_sel:DWORD
	s_nop 1
	v_cndmask_b32_e64 v39, v16, v3, s[0:1]
; %bb.830:                              ;   in Loop: Header=BB334_303 Depth=1
	s_or_b64 exec, exec, s[12:13]
	v_lshrrev_b32_e32 v18, 16, v18
	v_lshrrev_b32_e32 v60, 16, v6
	;; [unrolled: 1-line block ×8, first 2 shown]
	s_and_saveexec_b64 s[0:1], vcc
	s_cbranch_execz .LBB334_832
; %bb.831:                              ;   in Loop: Header=BB334_303 Depth=1
	scratch_load_dword v7, off, s32 offset:192 ; 4-byte Folded Reload
	v_accvgpr_read_b32 v16, a36
	s_waitcnt vmcnt(0)
	v_cmp_lt_i32_e32 vcc, v51, v7
	s_nop 1
	v_cndmask_b32_e32 v2, 0, v2, vcc
	v_cmp_lt_i32_e32 vcc, v16, v7
	v_accvgpr_read_b32 v16, a35
	s_nop 0
	v_cndmask_b32_e32 v3, 0, v3, vcc
	v_cmp_lt_i32_e32 vcc, v16, v7
	v_accvgpr_read_b32 v16, a34
	;; [unrolled: 4-line block ×6, first 2 shown]
	s_nop 0
	v_cndmask_b32_e32 v58, 0, v58, vcc
	v_cmp_lt_i32_e32 vcc, v16, v7
	s_nop 1
	v_cndmask_b32_e32 v61, 0, v61, vcc
.LBB334_832:                            ;   in Loop: Header=BB334_303 Depth=1
	s_or_b64 exec, exec, s[0:1]
	v_lshlrev_b32_e32 v2, 16, v2
	v_mul_f32_e32 v7, v44, v2
	v_and_b32_e32 v2, 0x7f800000, v7
	v_cmp_ne_u32_e32 vcc, s17, v2
                                        ; implicit-def: $vgpr2
	s_and_saveexec_b64 s[0:1], vcc
	s_xor_b64 s[0:1], exec, s[0:1]
; %bb.833:                              ;   in Loop: Header=BB334_303 Depth=1
	v_bfe_u32 v2, v7, 16, 1
	v_add3_u32 v2, v7, v2, s20
                                        ; implicit-def: $vgpr7
; %bb.834:                              ;   in Loop: Header=BB334_303 Depth=1
	s_andn2_saveexec_b64 s[0:1], s[0:1]
; %bb.835:                              ;   in Loop: Header=BB334_303 Depth=1
	v_or_b32_e32 v2, 0x10000, v7
	v_cmp_eq_u32_sdwa vcc, v7, v27 src0_sel:WORD_0 src1_sel:DWORD
	s_nop 1
	v_cndmask_b32_e32 v2, v2, v7, vcc
; %bb.836:                              ;   in Loop: Header=BB334_303 Depth=1
	s_or_b64 exec, exec, s[0:1]
	v_lshlrev_b32_e32 v3, 16, v3
	v_mul_f32_e32 v7, v45, v3
	v_and_b32_e32 v3, 0x7f800000, v7
	v_cmp_ne_u32_e32 vcc, s17, v3
                                        ; implicit-def: $vgpr3
	s_and_saveexec_b64 s[0:1], vcc
	s_xor_b64 s[0:1], exec, s[0:1]
; %bb.837:                              ;   in Loop: Header=BB334_303 Depth=1
	v_bfe_u32 v3, v7, 16, 1
	v_add3_u32 v3, v7, v3, s20
                                        ; implicit-def: $vgpr7
; %bb.838:                              ;   in Loop: Header=BB334_303 Depth=1
	s_andn2_saveexec_b64 s[0:1], s[0:1]
; %bb.839:                              ;   in Loop: Header=BB334_303 Depth=1
	v_or_b32_e32 v3, 0x10000, v7
	v_cmp_eq_u32_sdwa vcc, v7, v27 src0_sel:WORD_0 src1_sel:DWORD
	s_nop 1
	v_cndmask_b32_e32 v3, v3, v7, vcc
; %bb.840:                              ;   in Loop: Header=BB334_303 Depth=1
	s_or_b64 exec, exec, s[0:1]
	v_lshlrev_b32_e32 v7, 16, v17
	v_mul_f32_e32 v7, v46, v7
	v_and_b32_e32 v16, 0x7f800000, v7
	v_cmp_ne_u32_e32 vcc, s17, v16
                                        ; implicit-def: $vgpr39
	s_and_saveexec_b64 s[0:1], vcc
	s_xor_b64 s[0:1], exec, s[0:1]
; %bb.841:                              ;   in Loop: Header=BB334_303 Depth=1
	v_bfe_u32 v16, v7, 16, 1
	v_add3_u32 v39, v7, v16, s20
                                        ; implicit-def: $vgpr7
; %bb.842:                              ;   in Loop: Header=BB334_303 Depth=1
	s_andn2_saveexec_b64 s[0:1], s[0:1]
; %bb.843:                              ;   in Loop: Header=BB334_303 Depth=1
	v_or_b32_e32 v16, 0x10000, v7
	v_cmp_eq_u32_sdwa vcc, v7, v27 src0_sel:WORD_0 src1_sel:DWORD
	s_nop 1
	v_cndmask_b32_e32 v39, v16, v7, vcc
; %bb.844:                              ;   in Loop: Header=BB334_303 Depth=1
	s_or_b64 exec, exec, s[0:1]
	v_lshlrev_b32_e32 v6, 16, v6
	v_mul_f32_e32 v6, v47, v6
	v_and_b32_e32 v7, 0x7f800000, v6
	v_cmp_ne_u32_e32 vcc, s17, v7
                                        ; implicit-def: $vgpr51
	s_and_saveexec_b64 s[0:1], vcc
	s_xor_b64 s[0:1], exec, s[0:1]
; %bb.845:                              ;   in Loop: Header=BB334_303 Depth=1
	v_bfe_u32 v7, v6, 16, 1
	v_add3_u32 v51, v6, v7, s20
                                        ; implicit-def: $vgpr6
; %bb.846:                              ;   in Loop: Header=BB334_303 Depth=1
	s_andn2_saveexec_b64 s[0:1], s[0:1]
; %bb.847:                              ;   in Loop: Header=BB334_303 Depth=1
	v_or_b32_e32 v7, 0x10000, v6
	v_cmp_eq_u32_sdwa vcc, v6, v27 src0_sel:WORD_0 src1_sel:DWORD
	s_nop 1
	v_cndmask_b32_e32 v51, v7, v6, vcc
; %bb.848:                              ;   in Loop: Header=BB334_303 Depth=1
	s_or_b64 exec, exec, s[0:1]
	v_lshlrev_b32_e32 v6, 16, v60
	v_mul_f32_e32 v6, v62, v6
	v_and_b32_e32 v7, 0x7f800000, v6
	v_cmp_ne_u32_e32 vcc, s17, v7
                                        ; implicit-def: $vgpr44
	s_and_saveexec_b64 s[0:1], vcc
	s_xor_b64 s[0:1], exec, s[0:1]
; %bb.849:                              ;   in Loop: Header=BB334_303 Depth=1
	v_bfe_u32 v7, v6, 16, 1
	v_add3_u32 v44, v6, v7, s20
                                        ; implicit-def: $vgpr6
; %bb.850:                              ;   in Loop: Header=BB334_303 Depth=1
	s_andn2_saveexec_b64 s[0:1], s[0:1]
; %bb.851:                              ;   in Loop: Header=BB334_303 Depth=1
	v_or_b32_e32 v7, 0x10000, v6
	v_cmp_eq_u32_sdwa vcc, v6, v27 src0_sel:WORD_0 src1_sel:DWORD
	s_nop 1
	v_cndmask_b32_e32 v44, v7, v6, vcc
; %bb.852:                              ;   in Loop: Header=BB334_303 Depth=1
	s_or_b64 exec, exec, s[0:1]
	v_lshlrev_b32_e32 v6, 16, v18
	v_mul_f32_e32 v6, v63, v6
	v_and_b32_e32 v7, 0x7f800000, v6
	v_cmp_ne_u32_e32 vcc, s17, v7
                                        ; implicit-def: $vgpr45
	s_and_saveexec_b64 s[0:1], vcc
	s_xor_b64 s[0:1], exec, s[0:1]
; %bb.853:                              ;   in Loop: Header=BB334_303 Depth=1
	v_bfe_u32 v7, v6, 16, 1
	v_add3_u32 v45, v6, v7, s20
                                        ; implicit-def: $vgpr6
; %bb.854:                              ;   in Loop: Header=BB334_303 Depth=1
	s_andn2_saveexec_b64 s[0:1], s[0:1]
; %bb.855:                              ;   in Loop: Header=BB334_303 Depth=1
	v_or_b32_e32 v7, 0x10000, v6
	v_cmp_eq_u32_sdwa vcc, v6, v27 src0_sel:WORD_0 src1_sel:DWORD
	s_nop 1
	v_cndmask_b32_e32 v45, v7, v6, vcc
; %bb.856:                              ;   in Loop: Header=BB334_303 Depth=1
	s_or_b64 exec, exec, s[0:1]
	v_lshlrev_b32_e32 v6, 16, v58
	v_mul_f32_e32 v6, v34, v6
	v_and_b32_e32 v7, 0x7f800000, v6
	v_cmp_ne_u32_e32 vcc, s17, v7
                                        ; implicit-def: $vgpr18
	s_and_saveexec_b64 s[0:1], vcc
	s_xor_b64 s[0:1], exec, s[0:1]
; %bb.857:                              ;   in Loop: Header=BB334_303 Depth=1
	v_bfe_u32 v7, v6, 16, 1
	v_add3_u32 v18, v6, v7, s20
                                        ; implicit-def: $vgpr6
; %bb.858:                              ;   in Loop: Header=BB334_303 Depth=1
	s_andn2_saveexec_b64 s[0:1], s[0:1]
; %bb.859:                              ;   in Loop: Header=BB334_303 Depth=1
	v_or_b32_e32 v7, 0x10000, v6
	v_cmp_eq_u32_sdwa vcc, v6, v27 src0_sel:WORD_0 src1_sel:DWORD
	s_nop 1
	v_cndmask_b32_e32 v18, v7, v6, vcc
; %bb.860:                              ;   in Loop: Header=BB334_303 Depth=1
	s_or_b64 exec, exec, s[0:1]
	v_lshlrev_b32_e32 v6, 16, v61
	v_mul_f32_e32 v6, v29, v6
	v_and_b32_e32 v7, 0x7f800000, v6
	v_cmp_ne_u32_e32 vcc, s17, v7
                                        ; implicit-def: $vgpr17
	s_and_saveexec_b64 s[0:1], vcc
	s_xor_b64 s[0:1], exec, s[0:1]
; %bb.861:                              ;   in Loop: Header=BB334_303 Depth=1
	v_bfe_u32 v7, v6, 16, 1
	v_add3_u32 v17, v6, v7, s20
                                        ; implicit-def: $vgpr6
; %bb.862:                              ;   in Loop: Header=BB334_303 Depth=1
	s_andn2_saveexec_b64 s[0:1], s[0:1]
	s_cbranch_execz .LBB334_301
; %bb.863:                              ;   in Loop: Header=BB334_303 Depth=1
	v_or_b32_e32 v7, 0x10000, v6
	v_cmp_eq_u32_sdwa vcc, v6, v27 src0_sel:WORD_0 src1_sel:DWORD
	s_nop 1
	v_cndmask_b32_e32 v17, v7, v6, vcc
	s_branch .LBB334_301
.LBB334_864:
	s_or_b64 exec, exec, s[6:7]
	v_accvgpr_read_b32 v17, a15
	v_accvgpr_read_b32 v18, a16
	;; [unrolled: 1-line block ×3, first 2 shown]
.LBB334_865:
	s_or_b64 exec, exec, s[2:3]
	ds_bpermute_b32 v0, v17, v24
	ds_bpermute_b32 v1, v17, v25
	ds_bpermute_b32 v2, v17, v20
	ds_bpermute_b32 v3, v17, v21
	ds_bpermute_b32 v6, v17, v14
	ds_bpermute_b32 v7, v17, v15
	ds_bpermute_b32 v8, v17, v12
	ds_bpermute_b32 v9, v17, v13
	s_waitcnt lgkmcnt(6)
	v_pk_add_f32 v[0:1], v[24:25], v[0:1]
	s_waitcnt lgkmcnt(4)
	v_pk_add_f32 v[2:3], v[20:21], v[2:3]
	;; [unrolled: 2-line block ×3, first 2 shown]
	ds_bpermute_b32 v4, v18, v0
	s_waitcnt lgkmcnt(1)
	v_pk_add_f32 v[12:13], v[12:13], v[8:9]
	ds_bpermute_b32 v5, v18, v1
	ds_bpermute_b32 v10, v18, v2
	;; [unrolled: 1-line block ×7, first 2 shown]
	s_waitcnt lgkmcnt(6)
	v_pk_add_f32 v[8:9], v[0:1], v[4:5]
	s_waitcnt lgkmcnt(4)
	v_pk_add_f32 v[4:5], v[2:3], v[10:11]
	;; [unrolled: 2-line block ×4, first 2 shown]
	s_barrier
	scratch_load_dword v12, off, s32 offset:292 ; 4-byte Folded Reload
	s_waitcnt vmcnt(0)
	v_and_b32_e32 v0, 0x3c3, v12
	v_cmp_eq_u32_e32 vcc, 64, v0
	s_and_saveexec_b64 s[0:1], vcc
	s_cbranch_execz .LBB334_867
; %bb.866:
	s_ashr_i32 s17, s16, 31
	s_lshl_b64 s[2:3], s[16:17], 2
	s_getpc_b64 s[4:5]
	s_add_u32 s4, s4, llvm.amdgcn.dynlds.offset.table@rel32@lo+4
	s_addc_u32 s5, s5, llvm.amdgcn.dynlds.offset.table@rel32@hi+12
	s_add_u32 s2, s2, s4
	s_addc_u32 s3, s3, s5
	s_load_dword s2, s[2:3], 0x0
	s_waitcnt lgkmcnt(0)
	v_add_u32_e32 v0, s2, v57
	ds_write2_b32 v0, v8, v9 offset1:16
	ds_write2_b32 v0, v4, v5 offset0:32 offset1:48
	ds_write2_b32 v0, v2, v3 offset0:64 offset1:80
	;; [unrolled: 1-line block ×3, first 2 shown]
.LBB334_867:
	s_or_b64 exec, exec, s[0:1]
	v_cmp_gt_u32_e32 vcc, 64, v12
	s_waitcnt lgkmcnt(0)
	s_barrier
	s_and_saveexec_b64 s[2:3], vcc
	s_cbranch_execz .LBB334_878
; %bb.868:
	v_cmp_eq_u32_e64 s[0:1], 0, v19
	v_lshrrev_b32_e32 v0, 2, v12
	s_and_saveexec_b64 s[4:5], s[0:1]
	s_cbranch_execnz .LBB334_914
; %bb.869:
	s_or_b64 exec, exec, s[4:5]
	s_and_saveexec_b64 s[4:5], s[0:1]
	s_cbranch_execnz .LBB334_915
.LBB334_870:
	s_or_b64 exec, exec, s[4:5]
	s_and_saveexec_b64 s[4:5], s[0:1]
	s_cbranch_execnz .LBB334_916
.LBB334_871:
	s_or_b64 exec, exec, s[4:5]
	s_and_saveexec_b64 s[4:5], s[0:1]
	s_cbranch_execnz .LBB334_917
.LBB334_872:
	s_or_b64 exec, exec, s[4:5]
	s_and_saveexec_b64 s[4:5], s[0:1]
	s_cbranch_execnz .LBB334_918
.LBB334_873:
	s_or_b64 exec, exec, s[4:5]
	s_and_saveexec_b64 s[4:5], s[0:1]
	s_cbranch_execnz .LBB334_919
.LBB334_874:
	s_or_b64 exec, exec, s[4:5]
	s_and_saveexec_b64 s[4:5], s[0:1]
	s_cbranch_execnz .LBB334_920
.LBB334_875:
	s_or_b64 exec, exec, s[4:5]
	s_and_saveexec_b64 s[4:5], s[0:1]
	s_cbranch_execz .LBB334_877
.LBB334_876:
	s_ashr_i32 s17, s16, 31
	s_lshl_b64 s[0:1], s[16:17], 2
	s_getpc_b64 s[6:7]
	s_add_u32 s6, s6, llvm.amdgcn.dynlds.offset.table@rel32@lo+4
	s_addc_u32 s7, s7, llvm.amdgcn.dynlds.offset.table@rel32@hi+12
	s_add_u32 s0, s0, s6
	s_addc_u32 s1, s1, s7
	s_load_dword s0, s[0:1], 0x0
	s_waitcnt lgkmcnt(0)
	v_lshl_add_u32 v0, v0, 2, s0
	ds_read_b32 v0, v0 offset:448
	s_waitcnt lgkmcnt(0)
	v_add_f32_e32 v7, v7, v0
.LBB334_877:
	s_or_b64 exec, exec, s[4:5]
.LBB334_878:
	s_or_b64 exec, exec, s[2:3]
	s_barrier
	s_and_saveexec_b64 s[0:1], vcc
	s_cbranch_execz .LBB334_913
; %bb.879:
	v_cmp_eq_u32_e32 vcc, 0, v19
	s_and_b64 exec, exec, vcc
	s_cbranch_execz .LBB334_913
; %bb.880:
	s_mov_b32 s2, 0x7f800000
	v_and_b32_e32 v0, 0x7f800000, v8
	v_cmp_ne_u32_e32 vcc, s2, v0
                                        ; implicit-def: $vgpr0
	s_and_saveexec_b64 s[2:3], vcc
	s_xor_b64 s[2:3], exec, s[2:3]
; %bb.881:
	v_bfe_u32 v0, v8, 16, 1
	s_movk_i32 s4, 0x7fff
	v_add3_u32 v0, v8, v0, s4
; %bb.882:
	s_andn2_saveexec_b64 s[2:3], s[2:3]
; %bb.883:
	v_mov_b32_e32 v0, 0
	v_or_b32_e32 v1, 0x10000, v8
	v_cmp_eq_u32_sdwa vcc, v8, v0 src0_sel:WORD_0 src1_sel:DWORD
	s_nop 1
	v_cndmask_b32_e32 v0, v1, v8, vcc
; %bb.884:
	s_or_b64 exec, exec, s[2:3]
	scratch_load_dwordx2 v[10:11], off, s32 offset:300 ; 8-byte Folded Reload
	v_cmp_ne_u16_e64 s[2:3], s19, 0
	s_cmp_lg_u64 s[2:3], 0
	s_addc_u32 s4, s15, 0
	s_mul_i32 s2, s10, s4
	s_mul_i32 s2, s2, s11
	s_lshl_b32 s2, s2, 7
	s_mul_i32 s4, s18, s4
	s_lshl_b32 s6, s14, 7
	s_ashr_i32 s3, s2, 31
	s_ashr_i32 s5, s4, 31
	;; [unrolled: 1-line block ×3, first 2 shown]
	s_lshl_b64 s[2:3], s[2:3], 1
	s_lshl_b64 s[4:5], s[4:5], 1
	;; [unrolled: 1-line block ×3, first 2 shown]
	s_add_u32 s4, s6, s4
	s_addc_u32 s5, s7, s5
	s_add_u32 s2, s4, s2
	s_addc_u32 s3, s5, s3
	v_lshrrev_b32_e32 v1, 1, v12
	v_and_b32_e32 v12, 0x1fe, v1
	v_mov_b32_e32 v13, 0
	s_waitcnt vmcnt(0)
	v_lshl_add_u64 v[10:11], s[2:3], 0, v[10:11]
	v_lshl_add_u64 v[10:11], v[10:11], 0, v[12:13]
	flat_store_short_d16_hi v[10:11], v0
	s_mov_b32 s2, 0x7f800000
	v_and_b32_e32 v0, 0x7f800000, v9
	v_cmp_ne_u32_e32 vcc, s2, v0
                                        ; implicit-def: $vgpr0
	s_and_saveexec_b64 s[2:3], vcc
	s_xor_b64 s[2:3], exec, s[2:3]
; %bb.885:
	v_bfe_u32 v0, v9, 16, 1
	s_movk_i32 s4, 0x7fff
	v_add3_u32 v0, v9, v0, s4
; %bb.886:
	s_andn2_saveexec_b64 s[2:3], s[2:3]
; %bb.887:
	v_mov_b32_e32 v0, 0
	v_or_b32_e32 v1, 0x10000, v9
	v_cmp_eq_u32_sdwa vcc, v9, v0 src0_sel:WORD_0 src1_sel:DWORD
	s_nop 1
	v_cndmask_b32_e32 v0, v1, v9, vcc
; %bb.888:
	s_or_b64 exec, exec, s[2:3]
	flat_store_short_d16_hi v[10:11], v0 offset:32
	s_mov_b32 s2, 0x7f800000
	v_and_b32_e32 v0, 0x7f800000, v4
	v_cmp_ne_u32_e32 vcc, s2, v0
                                        ; implicit-def: $vgpr0
	s_and_saveexec_b64 s[2:3], vcc
	s_xor_b64 s[2:3], exec, s[2:3]
; %bb.889:
	v_bfe_u32 v0, v4, 16, 1
	s_movk_i32 s4, 0x7fff
	v_add3_u32 v0, v4, v0, s4
; %bb.890:
	s_andn2_saveexec_b64 s[2:3], s[2:3]
; %bb.891:
	v_mov_b32_e32 v0, 0
	v_or_b32_e32 v1, 0x10000, v4
	v_cmp_eq_u32_sdwa vcc, v4, v0 src0_sel:WORD_0 src1_sel:DWORD
	s_nop 1
	v_cndmask_b32_e32 v0, v1, v4, vcc
; %bb.892:
	s_or_b64 exec, exec, s[2:3]
	flat_store_short_d16_hi v[10:11], v0 offset:64
	;; [unrolled: 21-line block ×6, first 2 shown]
	s_mov_b32 s2, 0x7f800000
	v_and_b32_e32 v0, 0x7f800000, v7
	v_cmp_ne_u32_e32 vcc, s2, v0
                                        ; implicit-def: $vgpr8
	s_and_saveexec_b64 s[2:3], vcc
	s_xor_b64 s[2:3], exec, s[2:3]
; %bb.909:
	v_bfe_u32 v0, v7, 16, 1
	s_movk_i32 s4, 0x7fff
	v_add3_u32 v8, v7, v0, s4
                                        ; implicit-def: $vgpr0_vgpr1_vgpr2_vgpr3_vgpr4_vgpr5_vgpr6_vgpr7
; %bb.910:
	s_andn2_saveexec_b64 s[2:3], s[2:3]
; %bb.911:
	v_mov_b32_e32 v0, 0
	v_or_b32_e32 v1, 0x10000, v7
	v_cmp_eq_u32_sdwa vcc, v7, v0 src0_sel:WORD_0 src1_sel:DWORD
	s_nop 1
	v_cndmask_b32_e32 v8, v1, v7, vcc
; %bb.912:
	s_or_b64 exec, exec, s[2:3]
	flat_store_short_d16_hi v[10:11], v8 offset:224
.LBB334_913:
	s_or_b64 exec, exec, s[0:1]
	scratch_load_dword a63, off, s32        ; 4-byte Folded Reload
	scratch_load_dword a62, off, s32 offset:4 ; 4-byte Folded Reload
	scratch_load_dword a61, off, s32 offset:8 ; 4-byte Folded Reload
	;; [unrolled: 1-line block ×47, first 2 shown]
	s_waitcnt vmcnt(0) lgkmcnt(0)
	s_setpc_b64 s[30:31]
.LBB334_914:
	s_ashr_i32 s17, s16, 31
	s_lshl_b64 s[6:7], s[16:17], 2
	s_getpc_b64 s[8:9]
	s_add_u32 s8, s8, llvm.amdgcn.dynlds.offset.table@rel32@lo+4
	s_addc_u32 s9, s9, llvm.amdgcn.dynlds.offset.table@rel32@hi+12
	s_add_u32 s6, s6, s8
	s_addc_u32 s7, s7, s9
	s_load_dword s6, s[6:7], 0x0
	s_waitcnt lgkmcnt(0)
	v_lshl_add_u32 v1, v0, 2, s6
	ds_read_b32 v1, v1
	s_waitcnt lgkmcnt(0)
	v_add_f32_e32 v8, v8, v1
	s_or_b64 exec, exec, s[4:5]
	s_and_saveexec_b64 s[4:5], s[0:1]
	s_cbranch_execz .LBB334_870
.LBB334_915:
	s_ashr_i32 s17, s16, 31
	s_lshl_b64 s[6:7], s[16:17], 2
	s_getpc_b64 s[8:9]
	s_add_u32 s8, s8, llvm.amdgcn.dynlds.offset.table@rel32@lo+4
	s_addc_u32 s9, s9, llvm.amdgcn.dynlds.offset.table@rel32@hi+12
	s_add_u32 s6, s6, s8
	s_addc_u32 s7, s7, s9
	s_load_dword s6, s[6:7], 0x0
	s_waitcnt lgkmcnt(0)
	v_lshl_add_u32 v1, v0, 2, s6
	ds_read_b32 v1, v1 offset:64
	s_waitcnt lgkmcnt(0)
	v_add_f32_e32 v9, v9, v1
	s_or_b64 exec, exec, s[4:5]
	s_and_saveexec_b64 s[4:5], s[0:1]
	s_cbranch_execz .LBB334_871
.LBB334_916:
	s_ashr_i32 s17, s16, 31
	s_lshl_b64 s[6:7], s[16:17], 2
	s_getpc_b64 s[8:9]
	s_add_u32 s8, s8, llvm.amdgcn.dynlds.offset.table@rel32@lo+4
	s_addc_u32 s9, s9, llvm.amdgcn.dynlds.offset.table@rel32@hi+12
	s_add_u32 s6, s6, s8
	s_addc_u32 s7, s7, s9
	s_load_dword s6, s[6:7], 0x0
	s_waitcnt lgkmcnt(0)
	v_lshl_add_u32 v1, v0, 2, s6
	ds_read_b32 v1, v1 offset:128
	s_waitcnt lgkmcnt(0)
	v_add_f32_e32 v4, v4, v1
	s_or_b64 exec, exec, s[4:5]
	s_and_saveexec_b64 s[4:5], s[0:1]
	s_cbranch_execz .LBB334_872
.LBB334_917:
	s_ashr_i32 s17, s16, 31
	s_lshl_b64 s[6:7], s[16:17], 2
	s_getpc_b64 s[8:9]
	s_add_u32 s8, s8, llvm.amdgcn.dynlds.offset.table@rel32@lo+4
	s_addc_u32 s9, s9, llvm.amdgcn.dynlds.offset.table@rel32@hi+12
	s_add_u32 s6, s6, s8
	s_addc_u32 s7, s7, s9
	s_load_dword s6, s[6:7], 0x0
	s_waitcnt lgkmcnt(0)
	v_lshl_add_u32 v1, v0, 2, s6
	ds_read_b32 v1, v1 offset:192
	s_waitcnt lgkmcnt(0)
	v_add_f32_e32 v5, v5, v1
	s_or_b64 exec, exec, s[4:5]
	s_and_saveexec_b64 s[4:5], s[0:1]
	s_cbranch_execz .LBB334_873
.LBB334_918:
	s_ashr_i32 s17, s16, 31
	s_lshl_b64 s[6:7], s[16:17], 2
	s_getpc_b64 s[8:9]
	s_add_u32 s8, s8, llvm.amdgcn.dynlds.offset.table@rel32@lo+4
	s_addc_u32 s9, s9, llvm.amdgcn.dynlds.offset.table@rel32@hi+12
	s_add_u32 s6, s6, s8
	s_addc_u32 s7, s7, s9
	s_load_dword s6, s[6:7], 0x0
	s_waitcnt lgkmcnt(0)
	v_lshl_add_u32 v1, v0, 2, s6
	ds_read_b32 v1, v1 offset:256
	s_waitcnt lgkmcnt(0)
	v_add_f32_e32 v2, v2, v1
	s_or_b64 exec, exec, s[4:5]
	s_and_saveexec_b64 s[4:5], s[0:1]
	s_cbranch_execz .LBB334_874
.LBB334_919:
	s_ashr_i32 s17, s16, 31
	s_lshl_b64 s[6:7], s[16:17], 2
	s_getpc_b64 s[8:9]
	s_add_u32 s8, s8, llvm.amdgcn.dynlds.offset.table@rel32@lo+4
	s_addc_u32 s9, s9, llvm.amdgcn.dynlds.offset.table@rel32@hi+12
	s_add_u32 s6, s6, s8
	s_addc_u32 s7, s7, s9
	s_load_dword s6, s[6:7], 0x0
	s_waitcnt lgkmcnt(0)
	v_lshl_add_u32 v1, v0, 2, s6
	ds_read_b32 v1, v1 offset:320
	s_waitcnt lgkmcnt(0)
	v_add_f32_e32 v3, v3, v1
	s_or_b64 exec, exec, s[4:5]
	s_and_saveexec_b64 s[4:5], s[0:1]
	s_cbranch_execz .LBB334_875
.LBB334_920:
	s_ashr_i32 s17, s16, 31
	s_lshl_b64 s[6:7], s[16:17], 2
	s_getpc_b64 s[8:9]
	s_add_u32 s8, s8, llvm.amdgcn.dynlds.offset.table@rel32@lo+4
	s_addc_u32 s9, s9, llvm.amdgcn.dynlds.offset.table@rel32@hi+12
	s_add_u32 s6, s6, s8
	s_addc_u32 s7, s7, s9
	s_load_dword s6, s[6:7], 0x0
	s_waitcnt lgkmcnt(0)
	v_lshl_add_u32 v1, v0, 2, s6
	ds_read_b32 v1, v1 offset:384
	s_waitcnt lgkmcnt(0)
	v_add_f32_e32 v6, v6, v1
	s_or_b64 exec, exec, s[4:5]
	s_and_saveexec_b64 s[4:5], s[0:1]
	s_cbranch_execnz .LBB334_876
	s_branch .LBB334_877
.Lfunc_end334:
	.size	_ZN4vllm22paged_attention_kernelI14__hip_bfloat16hLi128ELi32ELi128ELNS_18Fp8KVCacheDataTypeE1ELb1ELi0EEEvPfS3_PT_PKS4_PKT0_SA_ifPKiSC_iPKfiiiSE_SE_iiiii, .Lfunc_end334-_ZN4vllm22paged_attention_kernelI14__hip_bfloat16hLi128ELi32ELi128ELNS_18Fp8KVCacheDataTypeE1ELb1ELi0EEEvPfS3_PT_PKS4_PKT0_SA_ifPKiSC_iPKfiiiSE_SE_iiiii
                                        ; -- End function
	.section	.AMDGPU.csdata,"",@progbits
; Function info:
; codeLenInByte = 32584
; NumSgprs: 39
; NumVgprs: 64
; NumAgprs: 64
; TotalNumVgprs: 128
; ScratchSize: 364
; MemoryBound: 0
	.section	.text._ZN4vllm25paged_attention_v1_kernelI14__hip_bfloat16hLi128ELi32ELi128ELNS_18Fp8KVCacheDataTypeE1ELb1EEEvPT_PKS3_PKT0_S9_ifPKiSB_iPKfiiiSD_SD_iiiii,"axG",@progbits,_ZN4vllm25paged_attention_v1_kernelI14__hip_bfloat16hLi128ELi32ELi128ELNS_18Fp8KVCacheDataTypeE1ELb1EEEvPT_PKS3_PKT0_S9_ifPKiSB_iPKfiiiSD_SD_iiiii,comdat
	.protected	_ZN4vllm25paged_attention_v1_kernelI14__hip_bfloat16hLi128ELi32ELi128ELNS_18Fp8KVCacheDataTypeE1ELb1EEEvPT_PKS3_PKT0_S9_ifPKiSB_iPKfiiiSD_SD_iiiii ; -- Begin function _ZN4vllm25paged_attention_v1_kernelI14__hip_bfloat16hLi128ELi32ELi128ELNS_18Fp8KVCacheDataTypeE1ELb1EEEvPT_PKS3_PKT0_S9_ifPKiSB_iPKfiiiSD_SD_iiiii
	.globl	_ZN4vllm25paged_attention_v1_kernelI14__hip_bfloat16hLi128ELi32ELi128ELNS_18Fp8KVCacheDataTypeE1ELb1EEEvPT_PKS3_PKT0_S9_ifPKiSB_iPKfiiiSD_SD_iiiii
	.p2align	8
	.type	_ZN4vllm25paged_attention_v1_kernelI14__hip_bfloat16hLi128ELi32ELi128ELNS_18Fp8KVCacheDataTypeE1ELb1EEEvPT_PKS3_PKT0_S9_ifPKiSB_iPKfiiiSD_SD_iiiii,@function
_ZN4vllm25paged_attention_v1_kernelI14__hip_bfloat16hLi128ELi32ELi128ELNS_18Fp8KVCacheDataTypeE1ELb1EEEvPT_PKS3_PKT0_S9_ifPKiSB_iPKfiiiSD_SD_iiiii: ; @_ZN4vllm25paged_attention_v1_kernelI14__hip_bfloat16hLi128ELi32ELi128ELNS_18Fp8KVCacheDataTypeE1ELb1EEEvPT_PKS3_PKT0_S9_ifPKiSB_iPKfiiiSD_SD_iiiii
; %bb.0:
	s_load_dwordx8 s[16:23], s[0:1], 0x0
	s_load_dwordx4 s[36:39], s[0:1], 0x20
	s_load_dwordx2 s[6:7], s[0:1], 0x30
	s_load_dword s5, s[0:1], 0x38
	s_load_dwordx2 s[10:11], s[0:1], 0x40
	s_load_dwordx8 s[24:31], s[0:1], 0x48
	s_waitcnt lgkmcnt(0)
	s_load_dword s27, s[0:1], 0x78
	s_load_dwordx4 s[40:43], s[0:1], 0x68
	s_add_u32 s8, s0, 0x80
	s_addc_u32 s9, s1, 0
	s_mov_b32 s12, s2
	s_mov_b32 s13, s3
	s_mov_b32 s14, s4
	s_mov_b32 s15, 7
	v_mov_b32_e32 v31, v0
	v_mov_b32_e32 v0, s16
	;; [unrolled: 1-line block ×25, first 2 shown]
	s_waitcnt lgkmcnt(0)
	v_mov_b32_e32 v24, s40
	v_mov_b32_e32 v25, s41
	;; [unrolled: 1-line block ×5, first 2 shown]
	s_mov_b32 s32, 0
	s_getpc_b64 s[0:1]
	s_add_u32 s0, s0, _ZN4vllm22paged_attention_kernelI14__hip_bfloat16hLi128ELi32ELi128ELNS_18Fp8KVCacheDataTypeE1ELb1ELi0EEEvPfS3_PT_PKS4_PKT0_SA_ifPKiSC_iPKfiiiSE_SE_iiiii@rel32@lo+4
	s_addc_u32 s1, s1, _ZN4vllm22paged_attention_kernelI14__hip_bfloat16hLi128ELi32ELi128ELNS_18Fp8KVCacheDataTypeE1ELb1ELi0EEEvPfS3_PT_PKS4_PKT0_SA_ifPKiSC_iPKfiiiSE_SE_iiiii@rel32@hi+12
	s_swappc_b64 s[30:31], s[0:1]
	s_endpgm
	.section	.rodata,"a",@progbits
	.p2align	6, 0x0
	.amdhsa_kernel _ZN4vllm25paged_attention_v1_kernelI14__hip_bfloat16hLi128ELi32ELi128ELNS_18Fp8KVCacheDataTypeE1ELb1EEEvPT_PKS3_PKT0_S9_ifPKiSB_iPKfiiiSD_SD_iiiii
		.amdhsa_group_segment_fixed_size 272
		.amdhsa_private_segment_fixed_size 364
		.amdhsa_kernarg_size 384
		.amdhsa_user_sgpr_count 2
		.amdhsa_user_sgpr_dispatch_ptr 0
		.amdhsa_user_sgpr_queue_ptr 0
		.amdhsa_user_sgpr_kernarg_segment_ptr 1
		.amdhsa_user_sgpr_dispatch_id 0
		.amdhsa_user_sgpr_kernarg_preload_length 0
		.amdhsa_user_sgpr_kernarg_preload_offset 0
		.amdhsa_user_sgpr_private_segment_size 0
		.amdhsa_uses_dynamic_stack 0
		.amdhsa_enable_private_segment 1
		.amdhsa_system_sgpr_workgroup_id_x 1
		.amdhsa_system_sgpr_workgroup_id_y 1
		.amdhsa_system_sgpr_workgroup_id_z 1
		.amdhsa_system_sgpr_workgroup_info 0
		.amdhsa_system_vgpr_workitem_id 0
		.amdhsa_next_free_vgpr 128
		.amdhsa_next_free_sgpr 44
		.amdhsa_accum_offset 64
		.amdhsa_reserve_vcc 1
		.amdhsa_float_round_mode_32 0
		.amdhsa_float_round_mode_16_64 0
		.amdhsa_float_denorm_mode_32 3
		.amdhsa_float_denorm_mode_16_64 3
		.amdhsa_dx10_clamp 1
		.amdhsa_ieee_mode 1
		.amdhsa_fp16_overflow 0
		.amdhsa_tg_split 0
		.amdhsa_exception_fp_ieee_invalid_op 0
		.amdhsa_exception_fp_denorm_src 0
		.amdhsa_exception_fp_ieee_div_zero 0
		.amdhsa_exception_fp_ieee_overflow 0
		.amdhsa_exception_fp_ieee_underflow 0
		.amdhsa_exception_fp_ieee_inexact 0
		.amdhsa_exception_int_div_zero 0
	.end_amdhsa_kernel
	.section	.text._ZN4vllm25paged_attention_v1_kernelI14__hip_bfloat16hLi128ELi32ELi128ELNS_18Fp8KVCacheDataTypeE1ELb1EEEvPT_PKS3_PKT0_S9_ifPKiSB_iPKfiiiSD_SD_iiiii,"axG",@progbits,_ZN4vllm25paged_attention_v1_kernelI14__hip_bfloat16hLi128ELi32ELi128ELNS_18Fp8KVCacheDataTypeE1ELb1EEEvPT_PKS3_PKT0_S9_ifPKiSB_iPKfiiiSD_SD_iiiii,comdat
.Lfunc_end335:
	.size	_ZN4vllm25paged_attention_v1_kernelI14__hip_bfloat16hLi128ELi32ELi128ELNS_18Fp8KVCacheDataTypeE1ELb1EEEvPT_PKS3_PKT0_S9_ifPKiSB_iPKfiiiSD_SD_iiiii, .Lfunc_end335-_ZN4vllm25paged_attention_v1_kernelI14__hip_bfloat16hLi128ELi32ELi128ELNS_18Fp8KVCacheDataTypeE1ELb1EEEvPT_PKS3_PKT0_S9_ifPKiSB_iPKfiiiSD_SD_iiiii
                                        ; -- End function
	.section	.AMDGPU.csdata,"",@progbits
; Kernel info:
; codeLenInByte = 252
; NumSgprs: 50
; NumVgprs: 64
; NumAgprs: 64
; TotalNumVgprs: 128
; ScratchSize: 364
; MemoryBound: 0
; FloatMode: 240
; IeeeMode: 1
; LDSByteSize: 272 bytes/workgroup (compile time only)
; SGPRBlocks: 6
; VGPRBlocks: 15
; NumSGPRsForWavesPerEU: 50
; NumVGPRsForWavesPerEU: 128
; AccumOffset: 64
; Occupancy: 4
; WaveLimiterHint : 1
; COMPUTE_PGM_RSRC2:SCRATCH_EN: 1
; COMPUTE_PGM_RSRC2:USER_SGPR: 2
; COMPUTE_PGM_RSRC2:TRAP_HANDLER: 0
; COMPUTE_PGM_RSRC2:TGID_X_EN: 1
; COMPUTE_PGM_RSRC2:TGID_Y_EN: 1
; COMPUTE_PGM_RSRC2:TGID_Z_EN: 1
; COMPUTE_PGM_RSRC2:TIDIG_COMP_CNT: 0
; COMPUTE_PGM_RSRC3_GFX90A:ACCUM_OFFSET: 15
; COMPUTE_PGM_RSRC3_GFX90A:TG_SPLIT: 0
	.text
	.p2align	2                               ; -- Begin function _ZN4vllm22paged_attention_kernelI14__hip_bfloat16hLi192ELi32ELi128ELNS_18Fp8KVCacheDataTypeE1ELb1ELi0EEEvPfS3_PT_PKS4_PKT0_SA_ifPKiSC_iPKfiiiSE_SE_iiiii
	.type	_ZN4vllm22paged_attention_kernelI14__hip_bfloat16hLi192ELi32ELi128ELNS_18Fp8KVCacheDataTypeE1ELb1ELi0EEEvPfS3_PT_PKS4_PKT0_SA_ifPKiSC_iPKfiiiSE_SE_iiiii,@function
_ZN4vllm22paged_attention_kernelI14__hip_bfloat16hLi192ELi32ELi128ELNS_18Fp8KVCacheDataTypeE1ELb1ELi0EEEvPfS3_PT_PKS4_PKT0_SA_ifPKiSC_iPKfiiiSE_SE_iiiii: ; @_ZN4vllm22paged_attention_kernelI14__hip_bfloat16hLi192ELi32ELi128ELNS_18Fp8KVCacheDataTypeE1ELb1ELi0EEEvPfS3_PT_PKS4_PKT0_SA_ifPKiSC_iPKfiiiSE_SE_iiiii
; %bb.0:
	s_waitcnt vmcnt(0) expcnt(0) lgkmcnt(0)
	s_or_saveexec_b64 s[0:1], -1
	scratch_store_dword off, v63, s32 offset:556 ; 4-byte Folded Spill
	s_mov_b64 exec, s[0:1]
	scratch_store_dword off, v40, s32 offset:184 ; 4-byte Folded Spill
	scratch_store_dword off, v41, s32 offset:180 ; 4-byte Folded Spill
	;; [unrolled: 1-line block ×46, first 2 shown]
	scratch_store_dword off, a63, s32       ; 4-byte Folded Spill
	v_writelane_b32 v63, s34, 0
	v_writelane_b32 v63, s36, 1
	;; [unrolled: 1-line block ×4, first 2 shown]
	s_nop 1
	v_writelane_b32 v63, s31, 4
	s_mov_b32 s10, s13
	s_ashr_i32 s11, s13, 31
	scratch_store_dwordx2 off, v[22:23], s32 offset:444 ; 8-byte Folded Spill
	scratch_store_dwordx2 off, v[20:21], s32 offset:456 ; 8-byte Folded Spill
	;; [unrolled: 1-line block ×4, first 2 shown]
	scratch_store_dword off, v9, s32 offset:480 ; 4-byte Folded Spill
	scratch_store_dwordx2 off, v[0:1], s32 offset:516 ; 8-byte Folded Spill
	v_lshl_add_u64 v[0:1], s[10:11], 2, v[12:13]
	flat_load_dword v0, v[0:1]
	v_mov_b32_e32 v37, v7
	v_mov_b32_e32 v36, v6
	;; [unrolled: 1-line block ×4, first 2 shown]
	s_mov_b32 s18, s15
	s_waitcnt vmcnt(0) lgkmcnt(0)
	scratch_store_dword off, v0, s32 offset:188 ; 4-byte Folded Spill
	v_sub_u32_e32 v0, 0, v8
	v_max_i32_e32 v0, v8, v0
	v_cvt_f32_u32_e32 v1, v0
	s_load_dword s0, s[8:9], 0x10
	s_load_dword s2, s[8:9], 0x0
	v_sub_u32_e32 v7, 0, v0
	v_rcp_iflag_f32_e32 v1, v1
	s_waitcnt lgkmcnt(0)
	s_lshr_b32 s0, s0, 16
	s_cmp_lg_u32 s0, 0
	s_cselect_b64 s[0:1], -1, 0
	v_mul_f32_e32 v1, 0x4f7ffffe, v1
	v_cvt_u32_f32_e32 v1, v1
	s_cmp_lg_u64 s[0:1], 0
	s_addc_u32 s11, s2, 0
	s_abs_i32 s0, s11
	v_mul_lo_u32 v7, v7, v1
	v_mul_hi_u32 v7, v1, v7
	v_add_u32_e32 v1, v1, v7
	v_mul_hi_u32 v1, s0, v1
	v_mul_lo_u32 v7, v1, v0
	v_sub_u32_e32 v7, s0, v7
	v_add_u32_e32 v10, 1, v1
	v_cmp_ge_u32_e32 vcc, v7, v0
	v_xor_b32_e32 v6, s11, v8
	v_ashrrev_i32_e32 v6, 31, v6
	v_cndmask_b32_e32 v1, v1, v10, vcc
	v_sub_u32_e32 v10, v7, v0
	v_cndmask_b32_e32 v7, v7, v10, vcc
	v_add_u32_e32 v10, 1, v1
	v_cmp_ge_u32_e32 vcc, v7, v0
	s_abs_i32 s2, s12
	s_nop 0
	v_cndmask_b32_e32 v0, v1, v10, vcc
	v_xor_b32_e32 v0, v0, v6
	v_sub_u32_e32 v0, v0, v6
	v_sub_u32_e32 v1, 0, v0
	v_max_i32_e32 v1, v0, v1
	v_cvt_f32_u32_e32 v6, v1
	v_sub_u32_e32 v7, 0, v1
	v_cmp_ne_u64_e32 vcc, 0, v[32:33]
	v_rcp_iflag_f32_e32 v6, v6
	s_nop 0
	v_mul_f32_e32 v6, 0x4f7ffffe, v6
	v_cvt_u32_f32_e32 v6, v6
	v_mul_lo_u32 v7, v7, v6
	v_mul_hi_u32 v7, v6, v7
	v_add_u32_e32 v6, v6, v7
	v_mad_u64_u32 v[12:13], s[0:1], s2, v6, 0
	v_mov_b32_e32 v6, 0
	scratch_store_dword off, v6, s32 offset:476 ; 4-byte Folded Spill
	s_and_saveexec_b64 s[0:1], vcc
	s_cbranch_execz .LBB336_2
; %bb.1:
	s_ashr_i32 s13, s12, 31
	v_lshl_add_u64 v[6:7], s[12:13], 2, v[32:33]
	flat_load_dword v6, v[6:7]
	s_waitcnt vmcnt(0) lgkmcnt(0)
	scratch_store_dword off, v6, s32 offset:476 ; 4-byte Folded Spill
.LBB336_2:
	s_or_b64 exec, exec, s[0:1]
	v_and_b32_e32 v7, 0x3ff, v31
	s_ashr_i32 s3, s12, 31
	v_ashrrev_i32_e32 v6, 31, v0
	v_and_b32_e32 v0, 1, v7
	s_movk_i32 s4, 0xc0
	s_mul_i32 s16, s12, 0xc0
	v_cmp_gt_u32_e32 vcc, 48, v7
	v_lshlrev_b32_e32 v16, 3, v7
	scratch_store_dword off, v7, s32 offset:440 ; 4-byte Folded Spill
	s_and_saveexec_b64 s[0:1], vcc
	s_cbranch_execz .LBB336_4
; %bb.3:
	v_mul_lo_u32 v10, s10, v17
	v_ashrrev_i32_e32 v11, 31, v10
	v_lshl_add_u64 v[2:3], v[10:11], 1, v[2:3]
	s_ashr_i32 s17, s16, 31
	v_lshl_add_u64 v[2:3], s[16:17], 1, v[2:3]
	v_mov_b32_e32 v17, 0
	v_lshl_add_u64 v[2:3], v[2:3], 0, v[16:17]
	flat_load_dwordx2 v[2:3], v[2:3]
	s_nop 0
	scratch_load_dword v7, off, s32 offset:440 ; 4-byte Folded Reload
	s_waitcnt vmcnt(0)
	v_lshlrev_b32_e32 v7, 2, v7
	v_and_b32_e32 v7, 0xff8, v7
	v_mad_u32_u24 v7, v0, s4, v7
	s_waitcnt lgkmcnt(0)
	ds_write_b64 v7, v[2:3]
.LBB336_4:
	s_or_b64 exec, exec, s[0:1]
	v_mul_lo_u32 v3, v13, v1
	v_sub_u32_e32 v3, s2, v3
	v_xor_b32_e32 v2, s3, v6
	v_add_u32_e32 v6, 1, v13
	v_cmp_ge_u32_e32 vcc, v3, v1
	v_sub_u32_e32 v7, v3, v1
	s_waitcnt lgkmcnt(0)
	v_cndmask_b32_e32 v6, v13, v6, vcc
	v_cndmask_b32_e32 v3, v3, v7, vcc
	v_add_u32_e32 v7, 1, v6
	v_cmp_ge_u32_e32 vcc, v3, v1
	v_sub_u32_e32 v3, 0, v27
	s_barrier
	v_cndmask_b32_e32 v1, v6, v7, vcc
	v_max_i32_e32 v7, v27, v3
	v_cvt_f32_u32_e32 v3, v7
	v_xor_b32_e32 v1, v1, v2
	v_sub_u32_e32 v2, v1, v2
	v_rcp_iflag_f32_e32 v1, v3
	scratch_load_dword v3, off, s32 offset:188 ; 4-byte Folded Reload
	v_cmp_gt_i32_e32 vcc, 0, v28
	scratch_store_dword off, v7, s32 offset:200 ; 4-byte Folded Spill
	v_mul_f32_e32 v1, 0x4f7ffffe, v1
	v_cvt_u32_f32_e32 v6, v1
	v_sub_u32_e32 v7, 0, v7
	v_mul_lo_u32 v7, v7, v6
	v_mul_hi_u32 v7, v6, v7
	v_add_u32_e32 v6, v6, v7
	scratch_store_dword off, v6, s32 offset:216 ; 4-byte Folded Spill
	s_waitcnt vmcnt(2)
	v_add_u32_e32 v3, -1, v3
	v_sub_u32_e32 v1, 0, v3
	v_max_i32_e32 v1, v3, v1
	v_mad_u64_u32 v[12:13], s[0:1], v1, v6, 0
                                        ; implicit-def: $vgpr6
	scratch_store_dwordx2 off, v[6:7], s32 offset:208 ; 8-byte Folded Spill
	s_and_saveexec_b64 s[0:1], vcc
	s_xor_b64 s[0:1], exec, s[0:1]
	s_cbranch_execz .LBB336_6
; %bb.5:
	v_mad_u64_u32 v[6:7], s[2:3], v24, v8, v[2:3]
	v_mul_lo_u32 v6, v6, v28
	v_sub_u32_e32 v6, 1, v6
	scratch_store_dwordx2 off, v[6:7], s32 offset:208 ; 8-byte Folded Spill
                                        ; implicit-def: $vgpr24
                                        ; implicit-def: $vgpr28
.LBB336_6:
	s_or_saveexec_b64 s[0:1], s[0:1]
	v_ashrrev_i32_e32 v3, 31, v3
	v_ashrrev_i32_e32 v6, 31, v27
	scratch_store_dword off, v6, s32 offset:204 ; 4-byte Folded Spill
	s_xor_b64 exec, exec, s[0:1]
	s_cbranch_execz .LBB336_8
; %bb.7:
	v_mul_lo_u32 v6, s11, v24
	v_add_u32_e32 v6, s12, v6
	v_mad_u64_u32 v[6:7], s[2:3], v6, v28, 1
	scratch_store_dwordx2 off, v[6:7], s32 offset:208 ; 8-byte Folded Spill
.LBB336_8:
	s_or_b64 exec, exec, s[0:1]
	v_mul_lo_u32 v6, s10, v14
	v_ashrrev_i32_e32 v7, 31, v6
	s_load_dword s17, s[8:9], 0x14
	s_load_dword s15, s[8:9], 0x8
	scratch_store_dwordx2 off, v[6:7], s32 offset:492 ; 8-byte Folded Spill
	scratch_load_dword v6, off, s32 offset:204 ; 4-byte Folded Reload
	v_mul_lo_u32 v18, v2, v19
	scratch_load_dword v8, off, s32 offset:200 ; 4-byte Folded Reload
	v_mov_b32_e32 v9, 0xff7fffff
	v_ashrrev_i32_e32 v19, 31, v18
	v_sub_u32_e32 v17, 0, v26
	s_waitcnt vmcnt(1)
	v_xor_b32_e32 v3, v3, v6
	s_waitcnt vmcnt(0)
	v_mul_lo_u32 v6, v13, v8
	v_sub_u32_e32 v1, v1, v6
	v_add_u32_e32 v6, 1, v13
	v_cmp_ge_u32_e32 vcc, v1, v8
	v_sub_u32_e32 v7, v1, v8
	s_nop 0
	v_cndmask_b32_e32 v6, v13, v6, vcc
	v_cndmask_b32_e32 v1, v1, v7, vcc
	v_add_u32_e32 v7, 1, v6
	v_cmp_ge_u32_e32 vcc, v1, v8
	s_nop 1
	v_cndmask_b32_e32 v1, v6, v7, vcc
	v_xor_b32_e32 v1, v1, v3
	v_sub_u32_e32 v1, v1, v3
	scratch_load_dword v3, off, s32 offset:188 ; 4-byte Folded Reload
	v_sub_u32_e32 v1, v1, v25
	scratch_store_dword off, v1, s32 offset:220 ; 4-byte Folded Spill
	s_waitcnt vmcnt(1)
	v_add_u32_e32 v3, 31, v3
	v_ashrrev_i32_e32 v6, 31, v3
	v_lshrrev_b32_e32 v6, 27, v6
	v_add_u32_e32 v3, v3, v6
	v_ashrrev_i32_e32 v6, 5, v3
	scratch_load_dword v3, off, s32 offset:440 ; 4-byte Folded Reload
	s_waitcnt vmcnt(0)
	v_lshrrev_b32_e32 v7, 6, v3
	v_lshlrev_b32_e32 v1, 5, v7
	scratch_store_dword off, v6, s32 offset:196 ; 4-byte Folded Spill
	v_cmp_lt_i32_e64 s[0:1], v7, v6
	scratch_store_dword off, v1, s32 offset:512 ; 4-byte Folded Spill
	v_lshrrev_b32_e32 v1, 4, v3
	v_mbcnt_lo_u32_b32 v6, -1, 0
	scratch_store_dword off, v7, s32 offset:192 ; 4-byte Folded Spill
	scratch_store_dword off, v1, s32 offset:500 ; 4-byte Folded Spill
	s_and_saveexec_b64 s[8:9], s[0:1]
	s_cbranch_execz .LBB336_402
; %bb.9:
	scratch_store_dwordx2 off, v[16:17], s32 offset:536 ; 8-byte Folded Spill
	scratch_store_dwordx2 off, v[36:37], s32 offset:544 ; 8-byte Folded Spill
	scratch_store_dword off, v26, s32 offset:552 ; 4-byte Folded Spill
	scratch_store_dword off, v17, s32 offset:524 ; 4-byte Folded Spill
	scratch_load_dword v2, off, s32 offset:440 ; 4-byte Folded Reload
	scratch_load_dword v60, off, s32 offset:192 ; 4-byte Folded Reload
	v_mov_b32_e32 v25, 0
	v_cmp_eq_u32_e64 s[2:3], 0, v0
	v_max_i32_e32 v7, v26, v17
	v_cvt_f32_u32_e32 v1, v7
	scratch_store_dwordx2 off, v[18:19], s32 offset:528 ; 8-byte Folded Spill
	scratch_store_dword off, v7, s32 offset:240 ; 4-byte Folded Spill
	s_ashr_i32 s19, s18, 31
	v_rcp_iflag_f32_e32 v1, v1
	s_lshl_b64 s[6:7], s[18:19], 2
	s_getpc_b64 s[12:13]
	s_add_u32 s12, s12, llvm.amdgcn.dynlds.offset.table@rel32@lo+4
	s_addc_u32 s13, s13, llvm.amdgcn.dynlds.offset.table@rel32@hi+12
	s_add_u32 s12, s6, s12
	v_mul_f32_e32 v1, 0x4f7ffffe, v1
	v_cvt_u32_f32_e32 v1, v1
	s_addc_u32 s13, s7, s13
	s_mov_b64 s[20:21], 0
	s_mov_b32 s19, 0x7f800000
	s_movk_i32 s34, 0x7fff
	s_mov_b64 s[22:23], 0x1000
	s_mov_b64 s[24:25], 0x1200
	;; [unrolled: 1-line block ×4, first 2 shown]
	s_waitcnt vmcnt(3)
	v_bfe_u32 v8, v2, 1, 5
	v_lshl_add_u64 v[2:3], v[4:5], 0, v[18:19]
	v_lshlrev_b32_e32 v24, 4, v8
	v_lshl_add_u64 v[2:3], v[2:3], 0, v[24:25]
	v_lshlrev_b32_e32 v24, 2, v0
	v_mul_u32_u24_e32 v0, 0xc0, v0
	scratch_store_dword off, v0, s32 offset:232 ; 4-byte Folded Spill
	scratch_load_dword v0, off, s32 offset:476 ; 4-byte Folded Reload
	s_waitcnt vmcnt(0)
	v_cmp_neq_f32_e64 s[4:5], 0, v0
	v_sub_u32_e32 v0, 0, v7
	v_mul_lo_u32 v0, v0, v1
	v_mul_hi_u32 v0, v1, v0
	v_add_u32_e32 v0, v1, v0
	scratch_store_dwordx2 off, v[0:1], s32 offset:248 ; 8-byte Folded Spill
	scratch_load_dword v0, off, s32 offset:188 ; 4-byte Folded Reload
	v_mov_b32_e32 v1, v25
	scratch_store_dwordx2 off, v[2:3], s32 offset:468 ; 8-byte Folded Spill
	v_lshlrev_b32_e32 v56, 5, v60
	s_waitcnt vmcnt(1)
	v_sub_u32_e32 v0, v8, v0
	v_add_u32_e32 v0, 1, v0
	scratch_store_dword off, v0, s32 offset:484 ; 4-byte Folded Spill
	scratch_store_dword off, v8, s32 offset:488 ; 4-byte Folded Spill
	v_lshlrev_b32_e32 v0, 2, v8
	v_lshl_or_b32 v0, v60, 7, v0
	v_accvgpr_write_b32 a31, v0
	scratch_load_dword v0, off, s32 offset:500 ; 4-byte Folded Reload
	scratch_load_dwordx2 v[2:3], off, s32 offset:492 ; 8-byte Folded Reload
	s_waitcnt vmcnt(1)
	v_and_b32_e32 v0, 60, v0
	s_waitcnt vmcnt(0)
	v_lshl_add_u64 v[0:1], v[2:3], 2, v[0:1]
	scratch_load_dwordx2 v[2:3], off, s32 offset:504 ; 8-byte Folded Reload
	s_waitcnt vmcnt(0)
	v_lshl_add_u64 v[0:1], v[2:3], 0, v[0:1]
	v_accvgpr_write_b32 a33, v1
	v_accvgpr_write_b32 a32, v0
	v_mbcnt_hi_u32_b32 v0, -1, v6
	scratch_store_dword off, v0, s32 offset:464 ; 4-byte Folded Spill
	v_mov_b32_e32 v0, 0xff7fffff
	scratch_store_dword off, v0, s32 offset:452 ; 4-byte Folded Spill
	s_branch .LBB336_12
.LBB336_10:                             ;   in Loop: Header=BB336_12 Depth=1
	s_or_b64 exec, exec, s[30:31]
.LBB336_11:                             ;   in Loop: Header=BB336_12 Depth=1
	s_or_b64 exec, exec, s[6:7]
	v_accvgpr_read_b32 v0, a31
	v_add_u32_e32 v0, 0x100, v0
	v_accvgpr_write_b32 a31, v0
	scratch_load_dword v0, off, s32 offset:196 ; 4-byte Folded Reload
	v_accvgpr_read_b32 v60, a35
	v_add_u32_e32 v60, 2, v60
	v_add_u32_e32 v56, 64, v56
	s_waitcnt vmcnt(0)
	v_cmp_ge_i32_e32 vcc, v60, v0
	s_waitcnt lgkmcnt(0)
	v_accvgpr_read_b32 v0, a32
	v_accvgpr_read_b32 v1, a33
	v_lshl_add_u64 v[0:1], v[0:1], 0, 8
	v_accvgpr_write_b32 a33, v1
	s_or_b64 s[20:21], vcc, s[20:21]
	v_accvgpr_write_b32 a32, v0
	s_andn2_b64 exec, exec, s[20:21]
	s_cbranch_execz .LBB336_401
.LBB336_12:                             ; =>This Inner Loop Header: Depth=1
	scratch_load_dword v0, off, s32 offset:216 ; 4-byte Folded Reload
	scratch_load_dword v3, off, s32 offset:200 ; 4-byte Folded Reload
	v_accvgpr_write_b32 a35, v60
	scratch_load_dwordx2 v[4:5], off, s32 offset:248 ; 8-byte Folded Reload
	s_waitcnt vmcnt(2)
	v_mul_hi_u32 v0, v56, v0
	s_waitcnt vmcnt(1)
	v_mul_lo_u32 v1, v0, v3
	v_sub_u32_e32 v1, v56, v1
	v_add_u32_e32 v2, 1, v0
	v_cmp_ge_u32_e32 vcc, v1, v3
	s_nop 1
	v_cndmask_b32_e32 v0, v0, v2, vcc
	v_sub_u32_e32 v2, v1, v3
	v_cndmask_b32_e32 v1, v1, v2, vcc
	v_cmp_ge_u32_e32 vcc, v1, v3
	scratch_load_dword v1, off, s32 offset:204 ; 4-byte Folded Reload
	v_add_u32_e32 v2, 1, v0
	v_cndmask_b32_e32 v0, v0, v2, vcc
	scratch_load_dwordx2 v[2:3], off, s32 offset:208 ; 8-byte Folded Reload
	s_waitcnt vmcnt(1)
	v_xor_b32_e32 v0, v0, v1
	v_sub_u32_e32 v0, v0, v1
	s_waitcnt vmcnt(0)
	v_add_u32_e32 v1, v0, v2
	v_sub_u32_e32 v3, 0, v1
	v_ashrrev_i32_e32 v2, 31, v1
	v_max_i32_e32 v1, v1, v3
	v_mul_hi_u32 v3, v1, v4
	scratch_load_dword v4, off, s32 offset:240 ; 4-byte Folded Reload
	s_waitcnt vmcnt(0)
	v_mul_lo_u32 v3, v3, v4
	v_sub_u32_e32 v1, v1, v3
	v_sub_u32_e32 v3, v1, v4
	v_cmp_ge_u32_e32 vcc, v1, v4
	s_nop 1
	v_cndmask_b32_e32 v1, v1, v3, vcc
	v_sub_u32_e32 v3, v1, v4
	v_cmp_ge_u32_e32 vcc, v1, v4
	s_nop 1
	v_cndmask_b32_e32 v1, v1, v3, vcc
	v_xor_b32_e32 v1, v1, v2
	v_sub_u32_e32 v1, v1, v2
	v_cmp_ne_u32_e32 vcc, 0, v1
	scratch_load_dword v1, off, s32 offset:220 ; 4-byte Folded Reload
	s_waitcnt vmcnt(0)
	v_cmp_le_i32_e64 s[6:7], v0, v1
	s_and_b64 s[6:7], vcc, s[6:7]
	s_and_b64 s[30:31], s[2:3], s[6:7]
	s_and_saveexec_b64 vcc, s[30:31]
	s_cbranch_execz .LBB336_14
; %bb.13:                               ;   in Loop: Header=BB336_12 Depth=1
	s_load_dword s30, s[12:13], 0x0
	v_accvgpr_read_b32 v0, a31
	v_mov_b32_e32 v1, 0xff7fffff
	s_waitcnt lgkmcnt(0)
	v_add_u32_e32 v0, s30, v0
	ds_write_b32 v0, v1
.LBB336_14:                             ;   in Loop: Header=BB336_12 Depth=1
	s_or_b64 exec, exec, vcc
	s_xor_b64 vcc, s[6:7], -1
	s_and_saveexec_b64 s[6:7], vcc
	s_cbranch_execz .LBB336_11
; %bb.15:                               ;   in Loop: Header=BB336_12 Depth=1
	v_accvgpr_read_b32 v0, a32
	v_accvgpr_read_b32 v1, a33
	flat_load_dword v0, v[0:1]
	s_nop 0
	scratch_load_dwordx2 v[2:3], off, s32 offset:224 ; 8-byte Folded Reload
	scratch_load_dwordx2 v[4:5], off, s32 offset:468 ; 8-byte Folded Reload
	s_waitcnt vmcnt(0) lgkmcnt(0)
	v_mad_i64_i32 v[0:1], vcc, v0, v2, v[4:5]
	v_lshl_add_u64 v[46:47], v[0:1], 0, v[24:25]
	flat_load_dword v0, v[46:47]
	scratch_load_dwordx2 v[2:3], off, s32 offset:456 ; 8-byte Folded Reload
	s_waitcnt vmcnt(0)
	flat_load_dword v6, v[2:3]
	s_nop 0
	scratch_load_dword v2, off, s32 offset:232 ; 4-byte Folded Reload
	s_waitcnt lgkmcnt(0)
	v_and_b32_e32 v1, 0xff, v0
	v_cvt_f32_fp8_sdwa v1, v1 src0_sel:BYTE_0
	s_waitcnt vmcnt(0)
	ds_read_b128 v[48:51], v2
	ds_read_b128 v[38:41], v2 offset:16
	ds_read_b128 v[32:35], v2 offset:32
	ds_read_b128 v[12:15], v2 offset:48
	ds_read_b128 v[8:11], v2 offset:64
	v_mul_f32_e32 v1, v6, v1
	v_and_b32_e32 v7, 0x7f800000, v1
	v_cmp_ne_u32_e32 vcc, s19, v7
	ds_read_b32 v3, v2 offset:96
	s_waitcnt lgkmcnt(1)
	scratch_store_dwordx4 off, v[8:11], s32 offset:292 ; 16-byte Folded Spill
	ds_read_b128 v[8:11], v2 offset:80
	ds_read_u16 v2, v2 offset:100
	s_waitcnt lgkmcnt(2)
	scratch_store_dword off, v3, s32 offset:256 ; 4-byte Folded Spill
	s_waitcnt lgkmcnt(1)
	scratch_store_dwordx4 off, v[8:11], s32 offset:272 ; 16-byte Folded Spill
	s_waitcnt lgkmcnt(0)
	scratch_store_dword off, v2, s32 offset:264 ; 4-byte Folded Spill
                                        ; implicit-def: $vgpr2
                                        ; kill: killed $vgpr2
	s_and_saveexec_b64 s[30:31], vcc
	s_xor_b64 vcc, exec, s[30:31]
	s_cbranch_execz .LBB336_17
; %bb.16:                               ;   in Loop: Header=BB336_12 Depth=1
	v_bfe_u32 v7, v1, 16, 1
	v_add3_u32 v1, v1, v7, s34
	scratch_store_dword off, v1, s32 offset:288 ; 4-byte Folded Spill
                                        ; implicit-def: $vgpr1
.LBB336_17:                             ;   in Loop: Header=BB336_12 Depth=1
	s_andn2_saveexec_b64 s[30:31], vcc
	s_cbranch_execz .LBB336_19
; %bb.18:                               ;   in Loop: Header=BB336_12 Depth=1
	v_or_b32_e32 v7, 0x10000, v1
	v_cmp_eq_u32_sdwa vcc, v1, v25 src0_sel:WORD_0 src1_sel:DWORD
	s_nop 1
	v_cndmask_b32_e32 v1, v7, v1, vcc
	scratch_store_dword off, v1, s32 offset:288 ; 4-byte Folded Spill
.LBB336_19:                             ;   in Loop: Header=BB336_12 Depth=1
	s_or_b64 exec, exec, s[30:31]
	v_bfe_u32 v1, v0, 8, 8
	v_cvt_f32_fp8_sdwa v1, v1 src0_sel:BYTE_0
                                        ; implicit-def: $vgpr2
                                        ; kill: killed $vgpr2
	s_nop 0
	v_mul_f32_e32 v1, v6, v1
	v_and_b32_e32 v7, 0x7f800000, v1
	v_cmp_ne_u32_e32 vcc, s19, v7
	s_and_saveexec_b64 s[30:31], vcc
	s_xor_b64 vcc, exec, s[30:31]
	s_cbranch_execz .LBB336_21
; %bb.20:                               ;   in Loop: Header=BB336_12 Depth=1
	v_bfe_u32 v7, v1, 16, 1
	v_add3_u32 v1, v1, v7, s34
	scratch_store_dword off, v1, s32 offset:308 ; 4-byte Folded Spill
                                        ; implicit-def: $vgpr1
.LBB336_21:                             ;   in Loop: Header=BB336_12 Depth=1
	s_andn2_saveexec_b64 s[30:31], vcc
	s_cbranch_execz .LBB336_23
; %bb.22:                               ;   in Loop: Header=BB336_12 Depth=1
	v_or_b32_e32 v7, 0x10000, v1
	v_cmp_eq_u32_sdwa vcc, v1, v25 src0_sel:WORD_0 src1_sel:DWORD
	s_nop 1
	v_cndmask_b32_e32 v1, v7, v1, vcc
	scratch_store_dword off, v1, s32 offset:308 ; 4-byte Folded Spill
.LBB336_23:                             ;   in Loop: Header=BB336_12 Depth=1
	s_or_b64 exec, exec, s[30:31]
	v_bfe_u32 v1, v0, 16, 8
	v_cvt_f32_fp8_sdwa v1, v1 src0_sel:BYTE_0
                                        ; implicit-def: $vgpr2
                                        ; kill: killed $vgpr2
	s_nop 0
	v_mul_f32_e32 v1, v6, v1
	v_and_b32_e32 v7, 0x7f800000, v1
	v_cmp_ne_u32_e32 vcc, s19, v7
	s_and_saveexec_b64 s[30:31], vcc
	s_xor_b64 vcc, exec, s[30:31]
	s_cbranch_execz .LBB336_25
; %bb.24:                               ;   in Loop: Header=BB336_12 Depth=1
	v_bfe_u32 v7, v1, 16, 1
	v_add3_u32 v1, v1, v7, s34
	scratch_store_dword off, v1, s32 offset:316 ; 4-byte Folded Spill
                                        ; implicit-def: $vgpr1
.LBB336_25:                             ;   in Loop: Header=BB336_12 Depth=1
	s_andn2_saveexec_b64 s[30:31], vcc
	s_cbranch_execz .LBB336_27
; %bb.26:                               ;   in Loop: Header=BB336_12 Depth=1
	v_or_b32_e32 v7, 0x10000, v1
	v_cmp_eq_u32_sdwa vcc, v1, v25 src0_sel:WORD_0 src1_sel:DWORD
	s_nop 1
	v_cndmask_b32_e32 v1, v7, v1, vcc
	scratch_store_dword off, v1, s32 offset:316 ; 4-byte Folded Spill
.LBB336_27:                             ;   in Loop: Header=BB336_12 Depth=1
	s_or_b64 exec, exec, s[30:31]
	v_lshrrev_b32_e32 v0, 24, v0
	v_cvt_f32_fp8_sdwa v0, v0 src0_sel:BYTE_0
	s_nop 0
	v_mul_f32_e32 v0, v6, v0
	v_and_b32_e32 v1, 0x7f800000, v0
	v_cmp_ne_u32_e32 vcc, s19, v1
                                        ; implicit-def: $vgpr1
                                        ; kill: killed $vgpr1
	s_and_saveexec_b64 s[30:31], vcc
	s_xor_b64 vcc, exec, s[30:31]
	s_cbranch_execz .LBB336_29
; %bb.28:                               ;   in Loop: Header=BB336_12 Depth=1
	v_bfe_u32 v1, v0, 16, 1
	v_add3_u32 v0, v0, v1, s34
	scratch_store_dword off, v0, s32 offset:324 ; 4-byte Folded Spill
                                        ; implicit-def: $vgpr0
.LBB336_29:                             ;   in Loop: Header=BB336_12 Depth=1
	s_andn2_saveexec_b64 s[30:31], vcc
	s_cbranch_execz .LBB336_31
; %bb.30:                               ;   in Loop: Header=BB336_12 Depth=1
	v_or_b32_e32 v1, 0x10000, v0
	v_cmp_eq_u32_sdwa vcc, v0, v25 src0_sel:WORD_0 src1_sel:DWORD
	s_nop 1
	v_cndmask_b32_e32 v0, v1, v0, vcc
	scratch_store_dword off, v0, s32 offset:324 ; 4-byte Folded Spill
.LBB336_31:                             ;   in Loop: Header=BB336_12 Depth=1
	s_or_b64 exec, exec, s[30:31]
	flat_load_dword v0, v[46:47] offset:8
                                        ; implicit-def: $vgpr2
                                        ; kill: killed $vgpr2
	s_waitcnt vmcnt(0) lgkmcnt(0)
	v_and_b32_e32 v1, 0xff, v0
	v_cvt_f32_fp8_sdwa v1, v1 src0_sel:BYTE_0
	s_nop 0
	v_mul_f32_e32 v1, v6, v1
	v_and_b32_e32 v7, 0x7f800000, v1
	v_cmp_ne_u32_e32 vcc, s19, v7
	s_and_saveexec_b64 s[30:31], vcc
	s_xor_b64 vcc, exec, s[30:31]
	s_cbranch_execz .LBB336_33
; %bb.32:                               ;   in Loop: Header=BB336_12 Depth=1
	v_bfe_u32 v7, v1, 16, 1
	v_add3_u32 v1, v1, v7, s34
	scratch_store_dword off, v1, s32 offset:332 ; 4-byte Folded Spill
                                        ; implicit-def: $vgpr1
.LBB336_33:                             ;   in Loop: Header=BB336_12 Depth=1
	s_andn2_saveexec_b64 s[30:31], vcc
	s_cbranch_execz .LBB336_35
; %bb.34:                               ;   in Loop: Header=BB336_12 Depth=1
	v_or_b32_e32 v7, 0x10000, v1
	v_cmp_eq_u32_sdwa vcc, v1, v25 src0_sel:WORD_0 src1_sel:DWORD
	s_nop 1
	v_cndmask_b32_e32 v1, v7, v1, vcc
	scratch_store_dword off, v1, s32 offset:332 ; 4-byte Folded Spill
.LBB336_35:                             ;   in Loop: Header=BB336_12 Depth=1
	s_or_b64 exec, exec, s[30:31]
	v_bfe_u32 v1, v0, 8, 8
	v_cvt_f32_fp8_sdwa v1, v1 src0_sel:BYTE_0
                                        ; implicit-def: $vgpr2
                                        ; kill: killed $vgpr2
	s_nop 0
	v_mul_f32_e32 v1, v6, v1
	v_and_b32_e32 v7, 0x7f800000, v1
	v_cmp_ne_u32_e32 vcc, s19, v7
	s_and_saveexec_b64 s[30:31], vcc
	s_xor_b64 vcc, exec, s[30:31]
	s_cbranch_execz .LBB336_37
; %bb.36:                               ;   in Loop: Header=BB336_12 Depth=1
	v_bfe_u32 v7, v1, 16, 1
	v_add3_u32 v1, v1, v7, s34
	scratch_store_dword off, v1, s32 offset:340 ; 4-byte Folded Spill
                                        ; implicit-def: $vgpr1
.LBB336_37:                             ;   in Loop: Header=BB336_12 Depth=1
	s_andn2_saveexec_b64 s[30:31], vcc
	s_cbranch_execz .LBB336_39
; %bb.38:                               ;   in Loop: Header=BB336_12 Depth=1
	v_or_b32_e32 v7, 0x10000, v1
	v_cmp_eq_u32_sdwa vcc, v1, v25 src0_sel:WORD_0 src1_sel:DWORD
	s_nop 1
	v_cndmask_b32_e32 v1, v7, v1, vcc
	scratch_store_dword off, v1, s32 offset:340 ; 4-byte Folded Spill
.LBB336_39:                             ;   in Loop: Header=BB336_12 Depth=1
	s_or_b64 exec, exec, s[30:31]
	v_bfe_u32 v1, v0, 16, 8
	v_cvt_f32_fp8_sdwa v1, v1 src0_sel:BYTE_0
                                        ; implicit-def: $vgpr2
                                        ; kill: killed $vgpr2
	s_nop 0
	v_mul_f32_e32 v1, v6, v1
	v_and_b32_e32 v7, 0x7f800000, v1
	v_cmp_ne_u32_e32 vcc, s19, v7
	s_and_saveexec_b64 s[30:31], vcc
	s_xor_b64 vcc, exec, s[30:31]
	s_cbranch_execz .LBB336_41
; %bb.40:                               ;   in Loop: Header=BB336_12 Depth=1
	v_bfe_u32 v7, v1, 16, 1
	v_add3_u32 v1, v1, v7, s34
	scratch_store_dword off, v1, s32 offset:348 ; 4-byte Folded Spill
                                        ; implicit-def: $vgpr1
.LBB336_41:                             ;   in Loop: Header=BB336_12 Depth=1
	s_andn2_saveexec_b64 s[30:31], vcc
	s_cbranch_execz .LBB336_43
; %bb.42:                               ;   in Loop: Header=BB336_12 Depth=1
	v_or_b32_e32 v7, 0x10000, v1
	v_cmp_eq_u32_sdwa vcc, v1, v25 src0_sel:WORD_0 src1_sel:DWORD
	s_nop 1
	v_cndmask_b32_e32 v1, v7, v1, vcc
	scratch_store_dword off, v1, s32 offset:348 ; 4-byte Folded Spill
.LBB336_43:                             ;   in Loop: Header=BB336_12 Depth=1
	s_or_b64 exec, exec, s[30:31]
	v_lshrrev_b32_e32 v0, 24, v0
	v_cvt_f32_fp8_sdwa v0, v0 src0_sel:BYTE_0
	s_nop 0
	v_mul_f32_e32 v0, v6, v0
	v_and_b32_e32 v1, 0x7f800000, v0
	v_cmp_ne_u32_e32 vcc, s19, v1
                                        ; implicit-def: $vgpr1
                                        ; kill: killed $vgpr1
	s_and_saveexec_b64 s[30:31], vcc
	s_xor_b64 vcc, exec, s[30:31]
	s_cbranch_execz .LBB336_45
; %bb.44:                               ;   in Loop: Header=BB336_12 Depth=1
	v_bfe_u32 v1, v0, 16, 1
	v_add3_u32 v0, v0, v1, s34
	scratch_store_dword off, v0, s32 offset:352 ; 4-byte Folded Spill
                                        ; implicit-def: $vgpr0
.LBB336_45:                             ;   in Loop: Header=BB336_12 Depth=1
	s_andn2_saveexec_b64 s[30:31], vcc
	s_cbranch_execz .LBB336_47
; %bb.46:                               ;   in Loop: Header=BB336_12 Depth=1
	v_or_b32_e32 v1, 0x10000, v0
	v_cmp_eq_u32_sdwa vcc, v0, v25 src0_sel:WORD_0 src1_sel:DWORD
	s_nop 1
	v_cndmask_b32_e32 v0, v1, v0, vcc
	scratch_store_dword off, v0, s32 offset:352 ; 4-byte Folded Spill
.LBB336_47:                             ;   in Loop: Header=BB336_12 Depth=1
	s_or_b64 exec, exec, s[30:31]
	flat_load_dword v0, v[46:47] offset:512
                                        ; implicit-def: $vgpr2
                                        ; kill: killed $vgpr2
	s_waitcnt vmcnt(0) lgkmcnt(0)
	v_and_b32_e32 v1, 0xff, v0
	v_cvt_f32_fp8_sdwa v1, v1 src0_sel:BYTE_0
	s_nop 0
	v_mul_f32_e32 v1, v6, v1
	v_and_b32_e32 v7, 0x7f800000, v1
	v_cmp_ne_u32_e32 vcc, s19, v7
	s_and_saveexec_b64 s[30:31], vcc
	s_xor_b64 vcc, exec, s[30:31]
	s_cbranch_execz .LBB336_49
; %bb.48:                               ;   in Loop: Header=BB336_12 Depth=1
	v_bfe_u32 v7, v1, 16, 1
	v_add3_u32 v1, v1, v7, s34
	scratch_store_dword off, v1, s32 offset:356 ; 4-byte Folded Spill
                                        ; implicit-def: $vgpr1
.LBB336_49:                             ;   in Loop: Header=BB336_12 Depth=1
	s_andn2_saveexec_b64 s[30:31], vcc
	s_cbranch_execz .LBB336_51
; %bb.50:                               ;   in Loop: Header=BB336_12 Depth=1
	v_or_b32_e32 v7, 0x10000, v1
	v_cmp_eq_u32_sdwa vcc, v1, v25 src0_sel:WORD_0 src1_sel:DWORD
	s_nop 1
	v_cndmask_b32_e32 v1, v7, v1, vcc
	scratch_store_dword off, v1, s32 offset:356 ; 4-byte Folded Spill
.LBB336_51:                             ;   in Loop: Header=BB336_12 Depth=1
	s_or_b64 exec, exec, s[30:31]
	v_bfe_u32 v1, v0, 8, 8
	v_cvt_f32_fp8_sdwa v1, v1 src0_sel:BYTE_0
                                        ; implicit-def: $vgpr2
                                        ; kill: killed $vgpr2
	s_nop 0
	v_mul_f32_e32 v1, v6, v1
	v_and_b32_e32 v7, 0x7f800000, v1
	v_cmp_ne_u32_e32 vcc, s19, v7
	s_and_saveexec_b64 s[30:31], vcc
	s_xor_b64 vcc, exec, s[30:31]
	s_cbranch_execz .LBB336_53
; %bb.52:                               ;   in Loop: Header=BB336_12 Depth=1
	v_bfe_u32 v7, v1, 16, 1
	v_add3_u32 v1, v1, v7, s34
	scratch_store_dword off, v1, s32 offset:360 ; 4-byte Folded Spill
                                        ; implicit-def: $vgpr1
.LBB336_53:                             ;   in Loop: Header=BB336_12 Depth=1
	s_andn2_saveexec_b64 s[30:31], vcc
	s_cbranch_execz .LBB336_55
; %bb.54:                               ;   in Loop: Header=BB336_12 Depth=1
	v_or_b32_e32 v7, 0x10000, v1
	v_cmp_eq_u32_sdwa vcc, v1, v25 src0_sel:WORD_0 src1_sel:DWORD
	s_nop 1
	v_cndmask_b32_e32 v1, v7, v1, vcc
	scratch_store_dword off, v1, s32 offset:360 ; 4-byte Folded Spill
.LBB336_55:                             ;   in Loop: Header=BB336_12 Depth=1
	s_or_b64 exec, exec, s[30:31]
	v_bfe_u32 v1, v0, 16, 8
	v_cvt_f32_fp8_sdwa v1, v1 src0_sel:BYTE_0
                                        ; implicit-def: $vgpr2
                                        ; kill: killed $vgpr2
	s_nop 0
	v_mul_f32_e32 v1, v6, v1
	v_and_b32_e32 v7, 0x7f800000, v1
	v_cmp_ne_u32_e32 vcc, s19, v7
	s_and_saveexec_b64 s[30:31], vcc
	s_xor_b64 vcc, exec, s[30:31]
	s_cbranch_execz .LBB336_57
; %bb.56:                               ;   in Loop: Header=BB336_12 Depth=1
	v_bfe_u32 v7, v1, 16, 1
	v_add3_u32 v1, v1, v7, s34
	scratch_store_dword off, v1, s32 offset:364 ; 4-byte Folded Spill
                                        ; implicit-def: $vgpr1
.LBB336_57:                             ;   in Loop: Header=BB336_12 Depth=1
	s_andn2_saveexec_b64 s[30:31], vcc
	s_cbranch_execz .LBB336_59
; %bb.58:                               ;   in Loop: Header=BB336_12 Depth=1
	v_or_b32_e32 v7, 0x10000, v1
	v_cmp_eq_u32_sdwa vcc, v1, v25 src0_sel:WORD_0 src1_sel:DWORD
	s_nop 1
	v_cndmask_b32_e32 v1, v7, v1, vcc
	scratch_store_dword off, v1, s32 offset:364 ; 4-byte Folded Spill
.LBB336_59:                             ;   in Loop: Header=BB336_12 Depth=1
	s_or_b64 exec, exec, s[30:31]
	v_lshrrev_b32_e32 v0, 24, v0
	v_cvt_f32_fp8_sdwa v0, v0 src0_sel:BYTE_0
	s_nop 0
	v_mul_f32_e32 v0, v6, v0
	v_and_b32_e32 v1, 0x7f800000, v0
	v_cmp_ne_u32_e32 vcc, s19, v1
                                        ; implicit-def: $vgpr1
                                        ; kill: killed $vgpr1
	s_and_saveexec_b64 s[30:31], vcc
	s_xor_b64 vcc, exec, s[30:31]
	s_cbranch_execz .LBB336_61
; %bb.60:                               ;   in Loop: Header=BB336_12 Depth=1
	v_bfe_u32 v1, v0, 16, 1
	v_add3_u32 v0, v0, v1, s34
	scratch_store_dword off, v0, s32 offset:368 ; 4-byte Folded Spill
                                        ; implicit-def: $vgpr0
.LBB336_61:                             ;   in Loop: Header=BB336_12 Depth=1
	s_andn2_saveexec_b64 s[30:31], vcc
	s_cbranch_execz .LBB336_63
; %bb.62:                               ;   in Loop: Header=BB336_12 Depth=1
	v_or_b32_e32 v1, 0x10000, v0
	v_cmp_eq_u32_sdwa vcc, v0, v25 src0_sel:WORD_0 src1_sel:DWORD
	s_nop 1
	v_cndmask_b32_e32 v0, v1, v0, vcc
	scratch_store_dword off, v0, s32 offset:368 ; 4-byte Folded Spill
.LBB336_63:                             ;   in Loop: Header=BB336_12 Depth=1
	s_or_b64 exec, exec, s[30:31]
	flat_load_dword v0, v[46:47] offset:520
                                        ; implicit-def: $vgpr2
                                        ; kill: killed $vgpr2
	s_waitcnt vmcnt(0) lgkmcnt(0)
	v_and_b32_e32 v1, 0xff, v0
	v_cvt_f32_fp8_sdwa v1, v1 src0_sel:BYTE_0
	s_nop 0
	v_mul_f32_e32 v1, v6, v1
	v_and_b32_e32 v7, 0x7f800000, v1
	v_cmp_ne_u32_e32 vcc, s19, v7
	s_and_saveexec_b64 s[30:31], vcc
	s_xor_b64 vcc, exec, s[30:31]
	s_cbranch_execz .LBB336_65
; %bb.64:                               ;   in Loop: Header=BB336_12 Depth=1
	v_bfe_u32 v7, v1, 16, 1
	v_add3_u32 v1, v1, v7, s34
	scratch_store_dword off, v1, s32 offset:372 ; 4-byte Folded Spill
                                        ; implicit-def: $vgpr1
.LBB336_65:                             ;   in Loop: Header=BB336_12 Depth=1
	s_andn2_saveexec_b64 s[30:31], vcc
	s_cbranch_execz .LBB336_67
; %bb.66:                               ;   in Loop: Header=BB336_12 Depth=1
	v_or_b32_e32 v7, 0x10000, v1
	v_cmp_eq_u32_sdwa vcc, v1, v25 src0_sel:WORD_0 src1_sel:DWORD
	s_nop 1
	v_cndmask_b32_e32 v1, v7, v1, vcc
	scratch_store_dword off, v1, s32 offset:372 ; 4-byte Folded Spill
.LBB336_67:                             ;   in Loop: Header=BB336_12 Depth=1
	s_or_b64 exec, exec, s[30:31]
	v_bfe_u32 v1, v0, 8, 8
	v_cvt_f32_fp8_sdwa v1, v1 src0_sel:BYTE_0
                                        ; implicit-def: $vgpr2
                                        ; kill: killed $vgpr2
	s_nop 0
	v_mul_f32_e32 v1, v6, v1
	v_and_b32_e32 v7, 0x7f800000, v1
	v_cmp_ne_u32_e32 vcc, s19, v7
	s_and_saveexec_b64 s[30:31], vcc
	s_xor_b64 vcc, exec, s[30:31]
	s_cbranch_execz .LBB336_69
; %bb.68:                               ;   in Loop: Header=BB336_12 Depth=1
	v_bfe_u32 v7, v1, 16, 1
	v_add3_u32 v1, v1, v7, s34
	scratch_store_dword off, v1, s32 offset:376 ; 4-byte Folded Spill
                                        ; implicit-def: $vgpr1
.LBB336_69:                             ;   in Loop: Header=BB336_12 Depth=1
	s_andn2_saveexec_b64 s[30:31], vcc
	s_cbranch_execz .LBB336_71
; %bb.70:                               ;   in Loop: Header=BB336_12 Depth=1
	v_or_b32_e32 v7, 0x10000, v1
	v_cmp_eq_u32_sdwa vcc, v1, v25 src0_sel:WORD_0 src1_sel:DWORD
	s_nop 1
	v_cndmask_b32_e32 v1, v7, v1, vcc
	scratch_store_dword off, v1, s32 offset:376 ; 4-byte Folded Spill
.LBB336_71:                             ;   in Loop: Header=BB336_12 Depth=1
	s_or_b64 exec, exec, s[30:31]
	v_bfe_u32 v1, v0, 16, 8
	v_cvt_f32_fp8_sdwa v1, v1 src0_sel:BYTE_0
                                        ; implicit-def: $vgpr2
                                        ; kill: killed $vgpr2
	s_nop 0
	v_mul_f32_e32 v1, v6, v1
	v_and_b32_e32 v7, 0x7f800000, v1
	v_cmp_ne_u32_e32 vcc, s19, v7
	s_and_saveexec_b64 s[30:31], vcc
	s_xor_b64 vcc, exec, s[30:31]
	s_cbranch_execz .LBB336_73
; %bb.72:                               ;   in Loop: Header=BB336_12 Depth=1
	v_bfe_u32 v7, v1, 16, 1
	v_add3_u32 v1, v1, v7, s34
	scratch_store_dword off, v1, s32 offset:380 ; 4-byte Folded Spill
                                        ; implicit-def: $vgpr1
.LBB336_73:                             ;   in Loop: Header=BB336_12 Depth=1
	s_andn2_saveexec_b64 s[30:31], vcc
	s_cbranch_execz .LBB336_75
; %bb.74:                               ;   in Loop: Header=BB336_12 Depth=1
	v_or_b32_e32 v7, 0x10000, v1
	v_cmp_eq_u32_sdwa vcc, v1, v25 src0_sel:WORD_0 src1_sel:DWORD
	s_nop 1
	v_cndmask_b32_e32 v1, v7, v1, vcc
	scratch_store_dword off, v1, s32 offset:380 ; 4-byte Folded Spill
.LBB336_75:                             ;   in Loop: Header=BB336_12 Depth=1
	s_or_b64 exec, exec, s[30:31]
	v_lshrrev_b32_e32 v0, 24, v0
	v_cvt_f32_fp8_sdwa v0, v0 src0_sel:BYTE_0
	s_nop 0
	v_mul_f32_e32 v0, v6, v0
	v_and_b32_e32 v1, 0x7f800000, v0
	v_cmp_ne_u32_e32 vcc, s19, v1
                                        ; implicit-def: $vgpr1
                                        ; kill: killed $vgpr1
	s_and_saveexec_b64 s[30:31], vcc
	s_xor_b64 vcc, exec, s[30:31]
	s_cbranch_execz .LBB336_77
; %bb.76:                               ;   in Loop: Header=BB336_12 Depth=1
	v_bfe_u32 v1, v0, 16, 1
	v_add3_u32 v0, v0, v1, s34
	scratch_store_dword off, v0, s32 offset:384 ; 4-byte Folded Spill
                                        ; implicit-def: $vgpr0
.LBB336_77:                             ;   in Loop: Header=BB336_12 Depth=1
	s_andn2_saveexec_b64 s[30:31], vcc
	s_cbranch_execz .LBB336_79
; %bb.78:                               ;   in Loop: Header=BB336_12 Depth=1
	v_or_b32_e32 v1, 0x10000, v0
	v_cmp_eq_u32_sdwa vcc, v0, v25 src0_sel:WORD_0 src1_sel:DWORD
	s_nop 1
	v_cndmask_b32_e32 v0, v1, v0, vcc
	scratch_store_dword off, v0, s32 offset:384 ; 4-byte Folded Spill
.LBB336_79:                             ;   in Loop: Header=BB336_12 Depth=1
	s_or_b64 exec, exec, s[30:31]
	flat_load_dword v0, v[46:47] offset:1024
                                        ; implicit-def: $vgpr2
                                        ; kill: killed $vgpr2
	s_waitcnt vmcnt(0) lgkmcnt(0)
	v_and_b32_e32 v1, 0xff, v0
	v_cvt_f32_fp8_sdwa v1, v1 src0_sel:BYTE_0
	s_nop 0
	v_mul_f32_e32 v1, v6, v1
	v_and_b32_e32 v7, 0x7f800000, v1
	v_cmp_ne_u32_e32 vcc, s19, v7
	s_and_saveexec_b64 s[30:31], vcc
	s_xor_b64 vcc, exec, s[30:31]
	s_cbranch_execz .LBB336_81
; %bb.80:                               ;   in Loop: Header=BB336_12 Depth=1
	v_bfe_u32 v7, v1, 16, 1
	v_add3_u32 v1, v1, v7, s34
	scratch_store_dword off, v1, s32 offset:388 ; 4-byte Folded Spill
                                        ; implicit-def: $vgpr1
.LBB336_81:                             ;   in Loop: Header=BB336_12 Depth=1
	s_andn2_saveexec_b64 s[30:31], vcc
	s_cbranch_execz .LBB336_83
; %bb.82:                               ;   in Loop: Header=BB336_12 Depth=1
	v_or_b32_e32 v7, 0x10000, v1
	v_cmp_eq_u32_sdwa vcc, v1, v25 src0_sel:WORD_0 src1_sel:DWORD
	s_nop 1
	v_cndmask_b32_e32 v1, v7, v1, vcc
	scratch_store_dword off, v1, s32 offset:388 ; 4-byte Folded Spill
.LBB336_83:                             ;   in Loop: Header=BB336_12 Depth=1
	s_or_b64 exec, exec, s[30:31]
	v_bfe_u32 v1, v0, 8, 8
	v_cvt_f32_fp8_sdwa v1, v1 src0_sel:BYTE_0
                                        ; implicit-def: $vgpr2
                                        ; kill: killed $vgpr2
	s_nop 0
	v_mul_f32_e32 v1, v6, v1
	v_and_b32_e32 v7, 0x7f800000, v1
	v_cmp_ne_u32_e32 vcc, s19, v7
	s_and_saveexec_b64 s[30:31], vcc
	s_xor_b64 vcc, exec, s[30:31]
	s_cbranch_execz .LBB336_85
; %bb.84:                               ;   in Loop: Header=BB336_12 Depth=1
	v_bfe_u32 v7, v1, 16, 1
	v_add3_u32 v1, v1, v7, s34
	scratch_store_dword off, v1, s32 offset:392 ; 4-byte Folded Spill
                                        ; implicit-def: $vgpr1
.LBB336_85:                             ;   in Loop: Header=BB336_12 Depth=1
	s_andn2_saveexec_b64 s[30:31], vcc
	s_cbranch_execz .LBB336_87
; %bb.86:                               ;   in Loop: Header=BB336_12 Depth=1
	v_or_b32_e32 v7, 0x10000, v1
	v_cmp_eq_u32_sdwa vcc, v1, v25 src0_sel:WORD_0 src1_sel:DWORD
	s_nop 1
	v_cndmask_b32_e32 v1, v7, v1, vcc
	scratch_store_dword off, v1, s32 offset:392 ; 4-byte Folded Spill
.LBB336_87:                             ;   in Loop: Header=BB336_12 Depth=1
	s_or_b64 exec, exec, s[30:31]
	v_bfe_u32 v1, v0, 16, 8
	v_cvt_f32_fp8_sdwa v1, v1 src0_sel:BYTE_0
                                        ; implicit-def: $vgpr2
                                        ; kill: killed $vgpr2
	s_nop 0
	v_mul_f32_e32 v1, v6, v1
	v_and_b32_e32 v7, 0x7f800000, v1
	v_cmp_ne_u32_e32 vcc, s19, v7
	s_and_saveexec_b64 s[30:31], vcc
	s_xor_b64 vcc, exec, s[30:31]
	s_cbranch_execz .LBB336_89
; %bb.88:                               ;   in Loop: Header=BB336_12 Depth=1
	v_bfe_u32 v7, v1, 16, 1
	v_add3_u32 v1, v1, v7, s34
	scratch_store_dword off, v1, s32 offset:396 ; 4-byte Folded Spill
                                        ; implicit-def: $vgpr1
.LBB336_89:                             ;   in Loop: Header=BB336_12 Depth=1
	s_andn2_saveexec_b64 s[30:31], vcc
	s_cbranch_execz .LBB336_91
; %bb.90:                               ;   in Loop: Header=BB336_12 Depth=1
	v_or_b32_e32 v7, 0x10000, v1
	v_cmp_eq_u32_sdwa vcc, v1, v25 src0_sel:WORD_0 src1_sel:DWORD
	s_nop 1
	v_cndmask_b32_e32 v1, v7, v1, vcc
	scratch_store_dword off, v1, s32 offset:396 ; 4-byte Folded Spill
.LBB336_91:                             ;   in Loop: Header=BB336_12 Depth=1
	s_or_b64 exec, exec, s[30:31]
	v_lshrrev_b32_e32 v0, 24, v0
	v_cvt_f32_fp8_sdwa v0, v0 src0_sel:BYTE_0
	s_nop 0
	v_mul_f32_e32 v0, v6, v0
	v_and_b32_e32 v1, 0x7f800000, v0
	v_cmp_ne_u32_e32 vcc, s19, v1
                                        ; implicit-def: $vgpr1
                                        ; kill: killed $vgpr1
	s_and_saveexec_b64 s[30:31], vcc
	s_xor_b64 vcc, exec, s[30:31]
	s_cbranch_execz .LBB336_93
; %bb.92:                               ;   in Loop: Header=BB336_12 Depth=1
	v_bfe_u32 v1, v0, 16, 1
	v_add3_u32 v0, v0, v1, s34
	scratch_store_dword off, v0, s32 offset:400 ; 4-byte Folded Spill
                                        ; implicit-def: $vgpr0
.LBB336_93:                             ;   in Loop: Header=BB336_12 Depth=1
	s_andn2_saveexec_b64 s[30:31], vcc
	s_cbranch_execz .LBB336_95
; %bb.94:                               ;   in Loop: Header=BB336_12 Depth=1
	v_or_b32_e32 v1, 0x10000, v0
	v_cmp_eq_u32_sdwa vcc, v0, v25 src0_sel:WORD_0 src1_sel:DWORD
	s_nop 1
	v_cndmask_b32_e32 v0, v1, v0, vcc
	scratch_store_dword off, v0, s32 offset:400 ; 4-byte Folded Spill
.LBB336_95:                             ;   in Loop: Header=BB336_12 Depth=1
	s_or_b64 exec, exec, s[30:31]
	flat_load_dword v0, v[46:47] offset:1032
                                        ; implicit-def: $vgpr2
                                        ; kill: killed $vgpr2
	s_waitcnt vmcnt(0) lgkmcnt(0)
	v_and_b32_e32 v1, 0xff, v0
	v_cvt_f32_fp8_sdwa v1, v1 src0_sel:BYTE_0
	s_nop 0
	v_mul_f32_e32 v1, v6, v1
	v_and_b32_e32 v7, 0x7f800000, v1
	v_cmp_ne_u32_e32 vcc, s19, v7
	s_and_saveexec_b64 s[30:31], vcc
	s_xor_b64 vcc, exec, s[30:31]
	s_cbranch_execz .LBB336_97
; %bb.96:                               ;   in Loop: Header=BB336_12 Depth=1
	v_bfe_u32 v7, v1, 16, 1
	v_add3_u32 v1, v1, v7, s34
	scratch_store_dword off, v1, s32 offset:404 ; 4-byte Folded Spill
                                        ; implicit-def: $vgpr1
.LBB336_97:                             ;   in Loop: Header=BB336_12 Depth=1
	s_andn2_saveexec_b64 s[30:31], vcc
	s_cbranch_execz .LBB336_99
; %bb.98:                               ;   in Loop: Header=BB336_12 Depth=1
	v_or_b32_e32 v7, 0x10000, v1
	v_cmp_eq_u32_sdwa vcc, v1, v25 src0_sel:WORD_0 src1_sel:DWORD
	s_nop 1
	v_cndmask_b32_e32 v1, v7, v1, vcc
	scratch_store_dword off, v1, s32 offset:404 ; 4-byte Folded Spill
.LBB336_99:                             ;   in Loop: Header=BB336_12 Depth=1
	s_or_b64 exec, exec, s[30:31]
	v_bfe_u32 v1, v0, 8, 8
	v_cvt_f32_fp8_sdwa v1, v1 src0_sel:BYTE_0
                                        ; implicit-def: $vgpr2
                                        ; kill: killed $vgpr2
	s_nop 0
	v_mul_f32_e32 v1, v6, v1
	v_and_b32_e32 v7, 0x7f800000, v1
	v_cmp_ne_u32_e32 vcc, s19, v7
	s_and_saveexec_b64 s[30:31], vcc
	s_xor_b64 vcc, exec, s[30:31]
	s_cbranch_execz .LBB336_101
; %bb.100:                              ;   in Loop: Header=BB336_12 Depth=1
	v_bfe_u32 v7, v1, 16, 1
	v_add3_u32 v1, v1, v7, s34
	scratch_store_dword off, v1, s32 offset:408 ; 4-byte Folded Spill
                                        ; implicit-def: $vgpr1
.LBB336_101:                            ;   in Loop: Header=BB336_12 Depth=1
	s_andn2_saveexec_b64 s[30:31], vcc
	s_cbranch_execz .LBB336_103
; %bb.102:                              ;   in Loop: Header=BB336_12 Depth=1
	v_or_b32_e32 v7, 0x10000, v1
	v_cmp_eq_u32_sdwa vcc, v1, v25 src0_sel:WORD_0 src1_sel:DWORD
	s_nop 1
	v_cndmask_b32_e32 v1, v7, v1, vcc
	scratch_store_dword off, v1, s32 offset:408 ; 4-byte Folded Spill
.LBB336_103:                            ;   in Loop: Header=BB336_12 Depth=1
	s_or_b64 exec, exec, s[30:31]
	v_bfe_u32 v1, v0, 16, 8
	v_cvt_f32_fp8_sdwa v1, v1 src0_sel:BYTE_0
                                        ; implicit-def: $vgpr2
                                        ; kill: killed $vgpr2
	s_nop 0
	v_mul_f32_e32 v1, v6, v1
	v_and_b32_e32 v7, 0x7f800000, v1
	v_cmp_ne_u32_e32 vcc, s19, v7
	s_and_saveexec_b64 s[30:31], vcc
	s_xor_b64 vcc, exec, s[30:31]
	s_cbranch_execz .LBB336_105
; %bb.104:                              ;   in Loop: Header=BB336_12 Depth=1
	v_bfe_u32 v7, v1, 16, 1
	v_add3_u32 v1, v1, v7, s34
	scratch_store_dword off, v1, s32 offset:412 ; 4-byte Folded Spill
                                        ; implicit-def: $vgpr1
.LBB336_105:                            ;   in Loop: Header=BB336_12 Depth=1
	s_andn2_saveexec_b64 s[30:31], vcc
	s_cbranch_execz .LBB336_107
; %bb.106:                              ;   in Loop: Header=BB336_12 Depth=1
	v_or_b32_e32 v7, 0x10000, v1
	v_cmp_eq_u32_sdwa vcc, v1, v25 src0_sel:WORD_0 src1_sel:DWORD
	s_nop 1
	v_cndmask_b32_e32 v1, v7, v1, vcc
	scratch_store_dword off, v1, s32 offset:412 ; 4-byte Folded Spill
.LBB336_107:                            ;   in Loop: Header=BB336_12 Depth=1
	s_or_b64 exec, exec, s[30:31]
	v_lshrrev_b32_e32 v0, 24, v0
	v_cvt_f32_fp8_sdwa v0, v0 src0_sel:BYTE_0
	s_nop 0
	v_mul_f32_e32 v0, v6, v0
	v_and_b32_e32 v1, 0x7f800000, v0
	v_cmp_ne_u32_e32 vcc, s19, v1
                                        ; implicit-def: $vgpr1
                                        ; kill: killed $vgpr1
	s_and_saveexec_b64 s[30:31], vcc
	s_xor_b64 vcc, exec, s[30:31]
	s_cbranch_execz .LBB336_109
; %bb.108:                              ;   in Loop: Header=BB336_12 Depth=1
	v_bfe_u32 v1, v0, 16, 1
	v_add3_u32 v0, v0, v1, s34
	scratch_store_dword off, v0, s32 offset:416 ; 4-byte Folded Spill
                                        ; implicit-def: $vgpr0
.LBB336_109:                            ;   in Loop: Header=BB336_12 Depth=1
	s_andn2_saveexec_b64 s[30:31], vcc
	s_cbranch_execz .LBB336_111
; %bb.110:                              ;   in Loop: Header=BB336_12 Depth=1
	v_or_b32_e32 v1, 0x10000, v0
	v_cmp_eq_u32_sdwa vcc, v0, v25 src0_sel:WORD_0 src1_sel:DWORD
	s_nop 1
	v_cndmask_b32_e32 v0, v1, v0, vcc
	scratch_store_dword off, v0, s32 offset:416 ; 4-byte Folded Spill
.LBB336_111:                            ;   in Loop: Header=BB336_12 Depth=1
	s_or_b64 exec, exec, s[30:31]
	flat_load_dword v0, v[46:47] offset:1536
                                        ; implicit-def: $vgpr2
                                        ; kill: killed $vgpr2
	s_waitcnt vmcnt(0) lgkmcnt(0)
	v_and_b32_e32 v1, 0xff, v0
	v_cvt_f32_fp8_sdwa v1, v1 src0_sel:BYTE_0
	s_nop 0
	v_mul_f32_e32 v1, v6, v1
	v_and_b32_e32 v7, 0x7f800000, v1
	v_cmp_ne_u32_e32 vcc, s19, v7
	s_and_saveexec_b64 s[30:31], vcc
	s_xor_b64 vcc, exec, s[30:31]
	s_cbranch_execz .LBB336_113
; %bb.112:                              ;   in Loop: Header=BB336_12 Depth=1
	v_bfe_u32 v7, v1, 16, 1
	v_add3_u32 v1, v1, v7, s34
	scratch_store_dword off, v1, s32 offset:420 ; 4-byte Folded Spill
                                        ; implicit-def: $vgpr1
.LBB336_113:                            ;   in Loop: Header=BB336_12 Depth=1
	s_andn2_saveexec_b64 s[30:31], vcc
	s_cbranch_execz .LBB336_115
; %bb.114:                              ;   in Loop: Header=BB336_12 Depth=1
	v_or_b32_e32 v7, 0x10000, v1
	v_cmp_eq_u32_sdwa vcc, v1, v25 src0_sel:WORD_0 src1_sel:DWORD
	s_nop 1
	v_cndmask_b32_e32 v1, v7, v1, vcc
	scratch_store_dword off, v1, s32 offset:420 ; 4-byte Folded Spill
.LBB336_115:                            ;   in Loop: Header=BB336_12 Depth=1
	s_or_b64 exec, exec, s[30:31]
	v_bfe_u32 v1, v0, 8, 8
	v_cvt_f32_fp8_sdwa v1, v1 src0_sel:BYTE_0
                                        ; implicit-def: $vgpr2
                                        ; kill: killed $vgpr2
	s_nop 0
	v_mul_f32_e32 v1, v6, v1
	v_and_b32_e32 v7, 0x7f800000, v1
	v_cmp_ne_u32_e32 vcc, s19, v7
	s_and_saveexec_b64 s[30:31], vcc
	s_xor_b64 vcc, exec, s[30:31]
	s_cbranch_execz .LBB336_117
; %bb.116:                              ;   in Loop: Header=BB336_12 Depth=1
	v_bfe_u32 v7, v1, 16, 1
	v_add3_u32 v1, v1, v7, s34
	scratch_store_dword off, v1, s32 offset:424 ; 4-byte Folded Spill
                                        ; implicit-def: $vgpr1
.LBB336_117:                            ;   in Loop: Header=BB336_12 Depth=1
	s_andn2_saveexec_b64 s[30:31], vcc
	s_cbranch_execz .LBB336_119
; %bb.118:                              ;   in Loop: Header=BB336_12 Depth=1
	v_or_b32_e32 v7, 0x10000, v1
	v_cmp_eq_u32_sdwa vcc, v1, v25 src0_sel:WORD_0 src1_sel:DWORD
	s_nop 1
	v_cndmask_b32_e32 v1, v7, v1, vcc
	scratch_store_dword off, v1, s32 offset:424 ; 4-byte Folded Spill
.LBB336_119:                            ;   in Loop: Header=BB336_12 Depth=1
	s_or_b64 exec, exec, s[30:31]
	v_bfe_u32 v1, v0, 16, 8
	v_cvt_f32_fp8_sdwa v1, v1 src0_sel:BYTE_0
                                        ; implicit-def: $vgpr2
                                        ; kill: killed $vgpr2
	s_nop 0
	v_mul_f32_e32 v1, v6, v1
	v_and_b32_e32 v7, 0x7f800000, v1
	v_cmp_ne_u32_e32 vcc, s19, v7
	s_and_saveexec_b64 s[30:31], vcc
	s_xor_b64 vcc, exec, s[30:31]
	s_cbranch_execz .LBB336_121
; %bb.120:                              ;   in Loop: Header=BB336_12 Depth=1
	v_bfe_u32 v7, v1, 16, 1
	v_add3_u32 v1, v1, v7, s34
	scratch_store_dword off, v1, s32 offset:428 ; 4-byte Folded Spill
                                        ; implicit-def: $vgpr1
.LBB336_121:                            ;   in Loop: Header=BB336_12 Depth=1
	s_andn2_saveexec_b64 s[30:31], vcc
	s_cbranch_execz .LBB336_123
; %bb.122:                              ;   in Loop: Header=BB336_12 Depth=1
	v_or_b32_e32 v7, 0x10000, v1
	v_cmp_eq_u32_sdwa vcc, v1, v25 src0_sel:WORD_0 src1_sel:DWORD
	s_nop 1
	v_cndmask_b32_e32 v1, v7, v1, vcc
	scratch_store_dword off, v1, s32 offset:428 ; 4-byte Folded Spill
.LBB336_123:                            ;   in Loop: Header=BB336_12 Depth=1
	s_or_b64 exec, exec, s[30:31]
	v_lshrrev_b32_e32 v0, 24, v0
	v_cvt_f32_fp8_sdwa v0, v0 src0_sel:BYTE_0
	s_nop 0
	v_mul_f32_e32 v0, v6, v0
	v_and_b32_e32 v1, 0x7f800000, v0
	v_cmp_ne_u32_e32 vcc, s19, v1
                                        ; implicit-def: $vgpr1
                                        ; kill: killed $vgpr1
	s_and_saveexec_b64 s[30:31], vcc
	s_xor_b64 vcc, exec, s[30:31]
	s_cbranch_execz .LBB336_125
; %bb.124:                              ;   in Loop: Header=BB336_12 Depth=1
	v_bfe_u32 v1, v0, 16, 1
	v_add3_u32 v0, v0, v1, s34
	scratch_store_dword off, v0, s32 offset:432 ; 4-byte Folded Spill
                                        ; implicit-def: $vgpr0
.LBB336_125:                            ;   in Loop: Header=BB336_12 Depth=1
	s_andn2_saveexec_b64 s[30:31], vcc
	s_cbranch_execz .LBB336_127
; %bb.126:                              ;   in Loop: Header=BB336_12 Depth=1
	v_or_b32_e32 v1, 0x10000, v0
	v_cmp_eq_u32_sdwa vcc, v0, v25 src0_sel:WORD_0 src1_sel:DWORD
	s_nop 1
	v_cndmask_b32_e32 v0, v1, v0, vcc
	scratch_store_dword off, v0, s32 offset:432 ; 4-byte Folded Spill
.LBB336_127:                            ;   in Loop: Header=BB336_12 Depth=1
	s_or_b64 exec, exec, s[30:31]
	flat_load_dword v0, v[46:47] offset:1544
                                        ; implicit-def: $vgpr2
                                        ; kill: killed $vgpr2
	s_waitcnt vmcnt(0) lgkmcnt(0)
	v_and_b32_e32 v1, 0xff, v0
	v_cvt_f32_fp8_sdwa v1, v1 src0_sel:BYTE_0
	s_nop 0
	v_mul_f32_e32 v1, v6, v1
	v_and_b32_e32 v7, 0x7f800000, v1
	v_cmp_ne_u32_e32 vcc, s19, v7
	s_and_saveexec_b64 s[30:31], vcc
	s_xor_b64 vcc, exec, s[30:31]
	s_cbranch_execz .LBB336_129
; %bb.128:                              ;   in Loop: Header=BB336_12 Depth=1
	v_bfe_u32 v7, v1, 16, 1
	v_add3_u32 v1, v1, v7, s34
	scratch_store_dword off, v1, s32 offset:436 ; 4-byte Folded Spill
                                        ; implicit-def: $vgpr1
.LBB336_129:                            ;   in Loop: Header=BB336_12 Depth=1
	s_andn2_saveexec_b64 s[30:31], vcc
	s_cbranch_execz .LBB336_131
; %bb.130:                              ;   in Loop: Header=BB336_12 Depth=1
	v_or_b32_e32 v7, 0x10000, v1
	v_cmp_eq_u32_sdwa vcc, v1, v25 src0_sel:WORD_0 src1_sel:DWORD
	s_nop 1
	v_cndmask_b32_e32 v1, v7, v1, vcc
	scratch_store_dword off, v1, s32 offset:436 ; 4-byte Folded Spill
.LBB336_131:                            ;   in Loop: Header=BB336_12 Depth=1
	s_or_b64 exec, exec, s[30:31]
	v_bfe_u32 v1, v0, 8, 8
	v_cvt_f32_fp8_sdwa v1, v1 src0_sel:BYTE_0
                                        ; implicit-def: $agpr15
	s_nop 0
	v_mul_f32_e32 v1, v6, v1
	v_and_b32_e32 v7, 0x7f800000, v1
	v_cmp_ne_u32_e32 vcc, s19, v7
	s_and_saveexec_b64 s[30:31], vcc
	s_xor_b64 vcc, exec, s[30:31]
; %bb.132:                              ;   in Loop: Header=BB336_12 Depth=1
	v_bfe_u32 v7, v1, 16, 1
	v_add3_u32 v1, v1, v7, s34
	v_accvgpr_write_b32 a15, v1
                                        ; implicit-def: $vgpr1
; %bb.133:                              ;   in Loop: Header=BB336_12 Depth=1
	s_andn2_saveexec_b64 s[30:31], vcc
; %bb.134:                              ;   in Loop: Header=BB336_12 Depth=1
	v_or_b32_e32 v7, 0x10000, v1
	v_cmp_eq_u32_sdwa vcc, v1, v25 src0_sel:WORD_0 src1_sel:DWORD
	s_nop 1
	v_cndmask_b32_e32 v1, v7, v1, vcc
	v_accvgpr_write_b32 a15, v1
; %bb.135:                              ;   in Loop: Header=BB336_12 Depth=1
	s_or_b64 exec, exec, s[30:31]
	v_bfe_u32 v1, v0, 16, 8
	v_cvt_f32_fp8_sdwa v1, v1 src0_sel:BYTE_0
                                        ; implicit-def: $agpr14
	s_nop 0
	v_mul_f32_e32 v1, v6, v1
	v_and_b32_e32 v7, 0x7f800000, v1
	v_cmp_ne_u32_e32 vcc, s19, v7
	s_and_saveexec_b64 s[30:31], vcc
	s_xor_b64 vcc, exec, s[30:31]
; %bb.136:                              ;   in Loop: Header=BB336_12 Depth=1
	v_bfe_u32 v7, v1, 16, 1
	v_add3_u32 v1, v1, v7, s34
	v_accvgpr_write_b32 a14, v1
                                        ; implicit-def: $vgpr1
; %bb.137:                              ;   in Loop: Header=BB336_12 Depth=1
	s_andn2_saveexec_b64 s[30:31], vcc
; %bb.138:                              ;   in Loop: Header=BB336_12 Depth=1
	v_or_b32_e32 v7, 0x10000, v1
	v_cmp_eq_u32_sdwa vcc, v1, v25 src0_sel:WORD_0 src1_sel:DWORD
	s_nop 1
	v_cndmask_b32_e32 v1, v7, v1, vcc
	v_accvgpr_write_b32 a14, v1
; %bb.139:                              ;   in Loop: Header=BB336_12 Depth=1
	s_or_b64 exec, exec, s[30:31]
	v_lshrrev_b32_e32 v0, 24, v0
	v_cvt_f32_fp8_sdwa v0, v0 src0_sel:BYTE_0
                                        ; implicit-def: $agpr4
	s_nop 0
	v_mul_f32_e32 v0, v6, v0
	v_and_b32_e32 v1, 0x7f800000, v0
	v_cmp_ne_u32_e32 vcc, s19, v1
	s_and_saveexec_b64 s[30:31], vcc
	s_xor_b64 vcc, exec, s[30:31]
; %bb.140:                              ;   in Loop: Header=BB336_12 Depth=1
	v_bfe_u32 v1, v0, 16, 1
	v_add3_u32 v0, v0, v1, s34
	v_accvgpr_write_b32 a4, v0
                                        ; implicit-def: $vgpr0
; %bb.141:                              ;   in Loop: Header=BB336_12 Depth=1
	s_andn2_saveexec_b64 s[30:31], vcc
; %bb.142:                              ;   in Loop: Header=BB336_12 Depth=1
	v_or_b32_e32 v1, 0x10000, v0
	v_cmp_eq_u32_sdwa vcc, v0, v25 src0_sel:WORD_0 src1_sel:DWORD
	s_nop 1
	v_cndmask_b32_e32 v0, v1, v0, vcc
	v_accvgpr_write_b32 a4, v0
; %bb.143:                              ;   in Loop: Header=BB336_12 Depth=1
	s_or_b64 exec, exec, s[30:31]
	flat_load_dword v0, v[46:47] offset:2048
                                        ; implicit-def: $agpr5
	s_waitcnt vmcnt(0) lgkmcnt(0)
	v_and_b32_e32 v1, 0xff, v0
	v_cvt_f32_fp8_sdwa v1, v1 src0_sel:BYTE_0
	s_nop 0
	v_mul_f32_e32 v1, v6, v1
	v_and_b32_e32 v7, 0x7f800000, v1
	v_cmp_ne_u32_e32 vcc, s19, v7
	s_and_saveexec_b64 s[30:31], vcc
	s_xor_b64 vcc, exec, s[30:31]
; %bb.144:                              ;   in Loop: Header=BB336_12 Depth=1
	v_bfe_u32 v7, v1, 16, 1
	v_add3_u32 v1, v1, v7, s34
	v_accvgpr_write_b32 a5, v1
                                        ; implicit-def: $vgpr1
; %bb.145:                              ;   in Loop: Header=BB336_12 Depth=1
	s_andn2_saveexec_b64 s[30:31], vcc
; %bb.146:                              ;   in Loop: Header=BB336_12 Depth=1
	v_or_b32_e32 v7, 0x10000, v1
	v_cmp_eq_u32_sdwa vcc, v1, v25 src0_sel:WORD_0 src1_sel:DWORD
	s_nop 1
	v_cndmask_b32_e32 v1, v7, v1, vcc
	v_accvgpr_write_b32 a5, v1
; %bb.147:                              ;   in Loop: Header=BB336_12 Depth=1
	s_or_b64 exec, exec, s[30:31]
	v_bfe_u32 v1, v0, 8, 8
	v_cvt_f32_fp8_sdwa v1, v1 src0_sel:BYTE_0
                                        ; implicit-def: $agpr2
	s_nop 0
	v_mul_f32_e32 v1, v6, v1
	v_and_b32_e32 v7, 0x7f800000, v1
	v_cmp_ne_u32_e32 vcc, s19, v7
	s_and_saveexec_b64 s[30:31], vcc
	s_xor_b64 vcc, exec, s[30:31]
; %bb.148:                              ;   in Loop: Header=BB336_12 Depth=1
	v_bfe_u32 v7, v1, 16, 1
	v_add3_u32 v1, v1, v7, s34
	v_accvgpr_write_b32 a2, v1
                                        ; implicit-def: $vgpr1
; %bb.149:                              ;   in Loop: Header=BB336_12 Depth=1
	s_andn2_saveexec_b64 s[30:31], vcc
; %bb.150:                              ;   in Loop: Header=BB336_12 Depth=1
	v_or_b32_e32 v7, 0x10000, v1
	v_cmp_eq_u32_sdwa vcc, v1, v25 src0_sel:WORD_0 src1_sel:DWORD
	s_nop 1
	v_cndmask_b32_e32 v1, v7, v1, vcc
	v_accvgpr_write_b32 a2, v1
; %bb.151:                              ;   in Loop: Header=BB336_12 Depth=1
	s_or_b64 exec, exec, s[30:31]
	v_bfe_u32 v1, v0, 16, 8
	v_cvt_f32_fp8_sdwa v1, v1 src0_sel:BYTE_0
                                        ; implicit-def: $agpr0
	s_nop 0
	v_mul_f32_e32 v1, v6, v1
	v_and_b32_e32 v7, 0x7f800000, v1
	v_cmp_ne_u32_e32 vcc, s19, v7
	s_and_saveexec_b64 s[30:31], vcc
	s_xor_b64 vcc, exec, s[30:31]
; %bb.152:                              ;   in Loop: Header=BB336_12 Depth=1
	v_bfe_u32 v7, v1, 16, 1
	v_add3_u32 v1, v1, v7, s34
	v_accvgpr_write_b32 a0, v1
                                        ; implicit-def: $vgpr1
; %bb.153:                              ;   in Loop: Header=BB336_12 Depth=1
	s_andn2_saveexec_b64 s[30:31], vcc
; %bb.154:                              ;   in Loop: Header=BB336_12 Depth=1
	v_or_b32_e32 v7, 0x10000, v1
	v_cmp_eq_u32_sdwa vcc, v1, v25 src0_sel:WORD_0 src1_sel:DWORD
	s_nop 1
	v_cndmask_b32_e32 v1, v7, v1, vcc
	v_accvgpr_write_b32 a0, v1
; %bb.155:                              ;   in Loop: Header=BB336_12 Depth=1
	s_or_b64 exec, exec, s[30:31]
	v_lshrrev_b32_e32 v0, 24, v0
	v_cvt_f32_fp8_sdwa v0, v0 src0_sel:BYTE_0
                                        ; implicit-def: $agpr1
	s_nop 0
	v_mul_f32_e32 v0, v6, v0
	v_and_b32_e32 v1, 0x7f800000, v0
	v_cmp_ne_u32_e32 vcc, s19, v1
	s_and_saveexec_b64 s[30:31], vcc
	s_xor_b64 vcc, exec, s[30:31]
; %bb.156:                              ;   in Loop: Header=BB336_12 Depth=1
	v_bfe_u32 v1, v0, 16, 1
	v_add3_u32 v0, v0, v1, s34
	v_accvgpr_write_b32 a1, v0
                                        ; implicit-def: $vgpr0
; %bb.157:                              ;   in Loop: Header=BB336_12 Depth=1
	s_andn2_saveexec_b64 s[30:31], vcc
; %bb.158:                              ;   in Loop: Header=BB336_12 Depth=1
	v_or_b32_e32 v1, 0x10000, v0
	v_cmp_eq_u32_sdwa vcc, v0, v25 src0_sel:WORD_0 src1_sel:DWORD
	s_nop 1
	v_cndmask_b32_e32 v0, v1, v0, vcc
	v_accvgpr_write_b32 a1, v0
; %bb.159:                              ;   in Loop: Header=BB336_12 Depth=1
	s_or_b64 exec, exec, s[30:31]
	flat_load_dword v0, v[46:47] offset:2056
                                        ; implicit-def: $agpr29
	s_waitcnt vmcnt(0) lgkmcnt(0)
	v_and_b32_e32 v1, 0xff, v0
	v_cvt_f32_fp8_sdwa v1, v1 src0_sel:BYTE_0
	s_nop 0
	v_mul_f32_e32 v1, v6, v1
	v_and_b32_e32 v7, 0x7f800000, v1
	v_cmp_ne_u32_e32 vcc, s19, v7
	s_and_saveexec_b64 s[30:31], vcc
	s_xor_b64 vcc, exec, s[30:31]
; %bb.160:                              ;   in Loop: Header=BB336_12 Depth=1
	v_bfe_u32 v7, v1, 16, 1
	v_add3_u32 v1, v1, v7, s34
	v_accvgpr_write_b32 a29, v1
                                        ; implicit-def: $vgpr1
; %bb.161:                              ;   in Loop: Header=BB336_12 Depth=1
	s_andn2_saveexec_b64 s[30:31], vcc
; %bb.162:                              ;   in Loop: Header=BB336_12 Depth=1
	v_or_b32_e32 v7, 0x10000, v1
	v_cmp_eq_u32_sdwa vcc, v1, v25 src0_sel:WORD_0 src1_sel:DWORD
	s_nop 1
	v_cndmask_b32_e32 v1, v7, v1, vcc
	v_accvgpr_write_b32 a29, v1
; %bb.163:                              ;   in Loop: Header=BB336_12 Depth=1
	s_or_b64 exec, exec, s[30:31]
	v_bfe_u32 v1, v0, 8, 8
	v_cvt_f32_fp8_sdwa v1, v1 src0_sel:BYTE_0
                                        ; implicit-def: $agpr25
	s_nop 0
	v_mul_f32_e32 v1, v6, v1
	v_and_b32_e32 v7, 0x7f800000, v1
	v_cmp_ne_u32_e32 vcc, s19, v7
	s_and_saveexec_b64 s[30:31], vcc
	s_xor_b64 vcc, exec, s[30:31]
; %bb.164:                              ;   in Loop: Header=BB336_12 Depth=1
	v_bfe_u32 v7, v1, 16, 1
	v_add3_u32 v1, v1, v7, s34
	v_accvgpr_write_b32 a25, v1
                                        ; implicit-def: $vgpr1
; %bb.165:                              ;   in Loop: Header=BB336_12 Depth=1
	s_andn2_saveexec_b64 s[30:31], vcc
; %bb.166:                              ;   in Loop: Header=BB336_12 Depth=1
	v_or_b32_e32 v7, 0x10000, v1
	v_cmp_eq_u32_sdwa vcc, v1, v25 src0_sel:WORD_0 src1_sel:DWORD
	s_nop 1
	v_cndmask_b32_e32 v1, v7, v1, vcc
	v_accvgpr_write_b32 a25, v1
; %bb.167:                              ;   in Loop: Header=BB336_12 Depth=1
	s_or_b64 exec, exec, s[30:31]
	v_bfe_u32 v1, v0, 16, 8
	v_cvt_f32_fp8_sdwa v1, v1 src0_sel:BYTE_0
                                        ; implicit-def: $agpr34
	s_nop 0
	v_mul_f32_e32 v1, v6, v1
	v_and_b32_e32 v7, 0x7f800000, v1
	v_cmp_ne_u32_e32 vcc, s19, v7
	s_and_saveexec_b64 s[30:31], vcc
	s_xor_b64 vcc, exec, s[30:31]
; %bb.168:                              ;   in Loop: Header=BB336_12 Depth=1
	v_bfe_u32 v7, v1, 16, 1
	v_add3_u32 v1, v1, v7, s34
	v_accvgpr_write_b32 a34, v1
                                        ; implicit-def: $vgpr1
; %bb.169:                              ;   in Loop: Header=BB336_12 Depth=1
	s_andn2_saveexec_b64 s[30:31], vcc
; %bb.170:                              ;   in Loop: Header=BB336_12 Depth=1
	v_or_b32_e32 v7, 0x10000, v1
	v_cmp_eq_u32_sdwa vcc, v1, v25 src0_sel:WORD_0 src1_sel:DWORD
	s_nop 1
	v_cndmask_b32_e32 v1, v7, v1, vcc
	v_accvgpr_write_b32 a34, v1
; %bb.171:                              ;   in Loop: Header=BB336_12 Depth=1
	s_or_b64 exec, exec, s[30:31]
	v_lshrrev_b32_e32 v0, 24, v0
	v_cvt_f32_fp8_sdwa v0, v0 src0_sel:BYTE_0
                                        ; implicit-def: $agpr19
	s_nop 0
	v_mul_f32_e32 v0, v6, v0
	v_and_b32_e32 v1, 0x7f800000, v0
	v_cmp_ne_u32_e32 vcc, s19, v1
	s_and_saveexec_b64 s[30:31], vcc
	s_xor_b64 vcc, exec, s[30:31]
; %bb.172:                              ;   in Loop: Header=BB336_12 Depth=1
	v_bfe_u32 v1, v0, 16, 1
	v_add3_u32 v0, v0, v1, s34
	v_accvgpr_write_b32 a19, v0
                                        ; implicit-def: $vgpr0
; %bb.173:                              ;   in Loop: Header=BB336_12 Depth=1
	s_andn2_saveexec_b64 s[30:31], vcc
; %bb.174:                              ;   in Loop: Header=BB336_12 Depth=1
	v_or_b32_e32 v1, 0x10000, v0
	v_cmp_eq_u32_sdwa vcc, v0, v25 src0_sel:WORD_0 src1_sel:DWORD
	s_nop 1
	v_cndmask_b32_e32 v0, v1, v0, vcc
	v_accvgpr_write_b32 a19, v0
; %bb.175:                              ;   in Loop: Header=BB336_12 Depth=1
	s_or_b64 exec, exec, s[30:31]
	flat_load_dword v0, v[46:47] offset:2560
                                        ; implicit-def: $agpr28
	s_waitcnt vmcnt(0) lgkmcnt(0)
	v_and_b32_e32 v1, 0xff, v0
	v_cvt_f32_fp8_sdwa v1, v1 src0_sel:BYTE_0
	s_nop 0
	v_mul_f32_e32 v1, v6, v1
	v_and_b32_e32 v7, 0x7f800000, v1
	v_cmp_ne_u32_e32 vcc, s19, v7
	s_and_saveexec_b64 s[30:31], vcc
	s_xor_b64 vcc, exec, s[30:31]
; %bb.176:                              ;   in Loop: Header=BB336_12 Depth=1
	v_bfe_u32 v7, v1, 16, 1
	v_add3_u32 v1, v1, v7, s34
	v_accvgpr_write_b32 a28, v1
                                        ; implicit-def: $vgpr1
; %bb.177:                              ;   in Loop: Header=BB336_12 Depth=1
	s_andn2_saveexec_b64 s[30:31], vcc
; %bb.178:                              ;   in Loop: Header=BB336_12 Depth=1
	v_or_b32_e32 v7, 0x10000, v1
	v_cmp_eq_u32_sdwa vcc, v1, v25 src0_sel:WORD_0 src1_sel:DWORD
	s_nop 1
	v_cndmask_b32_e32 v1, v7, v1, vcc
	v_accvgpr_write_b32 a28, v1
; %bb.179:                              ;   in Loop: Header=BB336_12 Depth=1
	s_or_b64 exec, exec, s[30:31]
	v_bfe_u32 v1, v0, 8, 8
	v_cvt_f32_fp8_sdwa v1, v1 src0_sel:BYTE_0
                                        ; implicit-def: $agpr24
	s_nop 0
	v_mul_f32_e32 v1, v6, v1
	v_and_b32_e32 v7, 0x7f800000, v1
	v_cmp_ne_u32_e32 vcc, s19, v7
	s_and_saveexec_b64 s[30:31], vcc
	s_xor_b64 vcc, exec, s[30:31]
; %bb.180:                              ;   in Loop: Header=BB336_12 Depth=1
	v_bfe_u32 v7, v1, 16, 1
	v_add3_u32 v1, v1, v7, s34
	v_accvgpr_write_b32 a24, v1
                                        ; implicit-def: $vgpr1
; %bb.181:                              ;   in Loop: Header=BB336_12 Depth=1
	s_andn2_saveexec_b64 s[30:31], vcc
; %bb.182:                              ;   in Loop: Header=BB336_12 Depth=1
	v_or_b32_e32 v7, 0x10000, v1
	v_cmp_eq_u32_sdwa vcc, v1, v25 src0_sel:WORD_0 src1_sel:DWORD
	s_nop 1
	v_cndmask_b32_e32 v1, v7, v1, vcc
	v_accvgpr_write_b32 a24, v1
; %bb.183:                              ;   in Loop: Header=BB336_12 Depth=1
	s_or_b64 exec, exec, s[30:31]
	v_bfe_u32 v1, v0, 16, 8
	v_cvt_f32_fp8_sdwa v1, v1 src0_sel:BYTE_0
                                        ; implicit-def: $agpr40
	s_nop 0
	v_mul_f32_e32 v1, v6, v1
	v_and_b32_e32 v7, 0x7f800000, v1
	v_cmp_ne_u32_e32 vcc, s19, v7
	s_and_saveexec_b64 s[30:31], vcc
	s_xor_b64 vcc, exec, s[30:31]
; %bb.184:                              ;   in Loop: Header=BB336_12 Depth=1
	v_bfe_u32 v7, v1, 16, 1
	v_add3_u32 v1, v1, v7, s34
	v_accvgpr_write_b32 a40, v1
                                        ; implicit-def: $vgpr1
; %bb.185:                              ;   in Loop: Header=BB336_12 Depth=1
	s_andn2_saveexec_b64 s[30:31], vcc
; %bb.186:                              ;   in Loop: Header=BB336_12 Depth=1
	v_or_b32_e32 v7, 0x10000, v1
	v_cmp_eq_u32_sdwa vcc, v1, v25 src0_sel:WORD_0 src1_sel:DWORD
	s_nop 1
	v_cndmask_b32_e32 v1, v7, v1, vcc
	v_accvgpr_write_b32 a40, v1
; %bb.187:                              ;   in Loop: Header=BB336_12 Depth=1
	s_or_b64 exec, exec, s[30:31]
	v_lshrrev_b32_e32 v0, 24, v0
	v_cvt_f32_fp8_sdwa v0, v0 src0_sel:BYTE_0
                                        ; implicit-def: $agpr41
	s_nop 0
	v_mul_f32_e32 v0, v6, v0
	v_and_b32_e32 v1, 0x7f800000, v0
	v_cmp_ne_u32_e32 vcc, s19, v1
	s_and_saveexec_b64 s[30:31], vcc
	s_xor_b64 vcc, exec, s[30:31]
; %bb.188:                              ;   in Loop: Header=BB336_12 Depth=1
	v_bfe_u32 v1, v0, 16, 1
	v_add3_u32 v0, v0, v1, s34
	v_accvgpr_write_b32 a41, v0
                                        ; implicit-def: $vgpr0
; %bb.189:                              ;   in Loop: Header=BB336_12 Depth=1
	s_andn2_saveexec_b64 s[30:31], vcc
; %bb.190:                              ;   in Loop: Header=BB336_12 Depth=1
	v_or_b32_e32 v1, 0x10000, v0
	v_cmp_eq_u32_sdwa vcc, v0, v25 src0_sel:WORD_0 src1_sel:DWORD
	s_nop 1
	v_cndmask_b32_e32 v0, v1, v0, vcc
	v_accvgpr_write_b32 a41, v0
; %bb.191:                              ;   in Loop: Header=BB336_12 Depth=1
	s_or_b64 exec, exec, s[30:31]
	flat_load_dword v0, v[46:47] offset:2568
                                        ; implicit-def: $agpr27
	s_waitcnt vmcnt(0) lgkmcnt(0)
	v_and_b32_e32 v1, 0xff, v0
	v_cvt_f32_fp8_sdwa v1, v1 src0_sel:BYTE_0
	s_nop 0
	v_mul_f32_e32 v1, v6, v1
	v_and_b32_e32 v7, 0x7f800000, v1
	v_cmp_ne_u32_e32 vcc, s19, v7
	s_and_saveexec_b64 s[30:31], vcc
	s_xor_b64 vcc, exec, s[30:31]
; %bb.192:                              ;   in Loop: Header=BB336_12 Depth=1
	v_bfe_u32 v7, v1, 16, 1
	v_add3_u32 v1, v1, v7, s34
	v_accvgpr_write_b32 a27, v1
                                        ; implicit-def: $vgpr1
; %bb.193:                              ;   in Loop: Header=BB336_12 Depth=1
	s_andn2_saveexec_b64 s[30:31], vcc
; %bb.194:                              ;   in Loop: Header=BB336_12 Depth=1
	v_or_b32_e32 v7, 0x10000, v1
	v_cmp_eq_u32_sdwa vcc, v1, v25 src0_sel:WORD_0 src1_sel:DWORD
	s_nop 1
	v_cndmask_b32_e32 v1, v7, v1, vcc
	v_accvgpr_write_b32 a27, v1
; %bb.195:                              ;   in Loop: Header=BB336_12 Depth=1
	s_or_b64 exec, exec, s[30:31]
	v_bfe_u32 v1, v0, 8, 8
	v_cvt_f32_fp8_sdwa v1, v1 src0_sel:BYTE_0
                                        ; implicit-def: $agpr30
	s_nop 0
	v_mul_f32_e32 v1, v6, v1
	v_and_b32_e32 v7, 0x7f800000, v1
	v_cmp_ne_u32_e32 vcc, s19, v7
	s_and_saveexec_b64 s[30:31], vcc
	s_xor_b64 vcc, exec, s[30:31]
; %bb.196:                              ;   in Loop: Header=BB336_12 Depth=1
	v_bfe_u32 v7, v1, 16, 1
	v_add3_u32 v1, v1, v7, s34
	v_accvgpr_write_b32 a30, v1
                                        ; implicit-def: $vgpr1
; %bb.197:                              ;   in Loop: Header=BB336_12 Depth=1
	s_andn2_saveexec_b64 s[30:31], vcc
; %bb.198:                              ;   in Loop: Header=BB336_12 Depth=1
	v_or_b32_e32 v7, 0x10000, v1
	v_cmp_eq_u32_sdwa vcc, v1, v25 src0_sel:WORD_0 src1_sel:DWORD
	s_nop 1
	v_cndmask_b32_e32 v1, v7, v1, vcc
	v_accvgpr_write_b32 a30, v1
; %bb.199:                              ;   in Loop: Header=BB336_12 Depth=1
	s_or_b64 exec, exec, s[30:31]
	v_bfe_u32 v1, v0, 16, 8
	v_cvt_f32_fp8_sdwa v1, v1 src0_sel:BYTE_0
                                        ; implicit-def: $agpr26
	s_nop 0
	v_mul_f32_e32 v1, v6, v1
	v_and_b32_e32 v7, 0x7f800000, v1
	v_cmp_ne_u32_e32 vcc, s19, v7
	s_and_saveexec_b64 s[30:31], vcc
	s_xor_b64 vcc, exec, s[30:31]
; %bb.200:                              ;   in Loop: Header=BB336_12 Depth=1
	v_bfe_u32 v7, v1, 16, 1
	v_add3_u32 v1, v1, v7, s34
	v_accvgpr_write_b32 a26, v1
                                        ; implicit-def: $vgpr1
; %bb.201:                              ;   in Loop: Header=BB336_12 Depth=1
	s_andn2_saveexec_b64 s[30:31], vcc
; %bb.202:                              ;   in Loop: Header=BB336_12 Depth=1
	v_or_b32_e32 v7, 0x10000, v1
	v_cmp_eq_u32_sdwa vcc, v1, v25 src0_sel:WORD_0 src1_sel:DWORD
	s_nop 1
	v_cndmask_b32_e32 v1, v7, v1, vcc
	v_accvgpr_write_b32 a26, v1
; %bb.203:                              ;   in Loop: Header=BB336_12 Depth=1
	s_or_b64 exec, exec, s[30:31]
	v_lshrrev_b32_e32 v0, 24, v0
	v_cvt_f32_fp8_sdwa v0, v0 src0_sel:BYTE_0
                                        ; implicit-def: $agpr8
	s_nop 0
	v_mul_f32_e32 v0, v6, v0
	v_and_b32_e32 v1, 0x7f800000, v0
	v_cmp_ne_u32_e32 vcc, s19, v1
	s_and_saveexec_b64 s[30:31], vcc
	s_xor_b64 vcc, exec, s[30:31]
; %bb.204:                              ;   in Loop: Header=BB336_12 Depth=1
	v_bfe_u32 v1, v0, 16, 1
	v_add3_u32 v0, v0, v1, s34
	v_accvgpr_write_b32 a8, v0
                                        ; implicit-def: $vgpr0
; %bb.205:                              ;   in Loop: Header=BB336_12 Depth=1
	s_andn2_saveexec_b64 s[30:31], vcc
; %bb.206:                              ;   in Loop: Header=BB336_12 Depth=1
	v_or_b32_e32 v1, 0x10000, v0
	v_cmp_eq_u32_sdwa vcc, v0, v25 src0_sel:WORD_0 src1_sel:DWORD
	s_nop 1
	v_cndmask_b32_e32 v0, v1, v0, vcc
	v_accvgpr_write_b32 a8, v0
; %bb.207:                              ;   in Loop: Header=BB336_12 Depth=1
	s_or_b64 exec, exec, s[30:31]
	flat_load_dword v0, v[46:47] offset:3072
                                        ; implicit-def: $agpr22
	s_waitcnt vmcnt(0) lgkmcnt(0)
	v_and_b32_e32 v1, 0xff, v0
	v_cvt_f32_fp8_sdwa v1, v1 src0_sel:BYTE_0
	s_nop 0
	v_mul_f32_e32 v1, v6, v1
	v_and_b32_e32 v7, 0x7f800000, v1
	v_cmp_ne_u32_e32 vcc, s19, v7
	s_and_saveexec_b64 s[30:31], vcc
	s_xor_b64 vcc, exec, s[30:31]
; %bb.208:                              ;   in Loop: Header=BB336_12 Depth=1
	v_bfe_u32 v7, v1, 16, 1
	v_add3_u32 v1, v1, v7, s34
	v_accvgpr_write_b32 a22, v1
                                        ; implicit-def: $vgpr1
; %bb.209:                              ;   in Loop: Header=BB336_12 Depth=1
	s_andn2_saveexec_b64 s[30:31], vcc
; %bb.210:                              ;   in Loop: Header=BB336_12 Depth=1
	v_or_b32_e32 v7, 0x10000, v1
	v_cmp_eq_u32_sdwa vcc, v1, v25 src0_sel:WORD_0 src1_sel:DWORD
	s_nop 1
	v_cndmask_b32_e32 v1, v7, v1, vcc
	v_accvgpr_write_b32 a22, v1
; %bb.211:                              ;   in Loop: Header=BB336_12 Depth=1
	s_or_b64 exec, exec, s[30:31]
	v_bfe_u32 v1, v0, 8, 8
	v_cvt_f32_fp8_sdwa v1, v1 src0_sel:BYTE_0
                                        ; implicit-def: $agpr9
	s_nop 0
	v_mul_f32_e32 v1, v6, v1
	v_and_b32_e32 v7, 0x7f800000, v1
	v_cmp_ne_u32_e32 vcc, s19, v7
	s_and_saveexec_b64 s[30:31], vcc
	s_xor_b64 vcc, exec, s[30:31]
; %bb.212:                              ;   in Loop: Header=BB336_12 Depth=1
	v_bfe_u32 v7, v1, 16, 1
	v_add3_u32 v1, v1, v7, s34
	v_accvgpr_write_b32 a9, v1
                                        ; implicit-def: $vgpr1
; %bb.213:                              ;   in Loop: Header=BB336_12 Depth=1
	s_andn2_saveexec_b64 s[30:31], vcc
; %bb.214:                              ;   in Loop: Header=BB336_12 Depth=1
	v_or_b32_e32 v7, 0x10000, v1
	v_cmp_eq_u32_sdwa vcc, v1, v25 src0_sel:WORD_0 src1_sel:DWORD
	s_nop 1
	v_cndmask_b32_e32 v1, v7, v1, vcc
	v_accvgpr_write_b32 a9, v1
; %bb.215:                              ;   in Loop: Header=BB336_12 Depth=1
	s_or_b64 exec, exec, s[30:31]
	v_bfe_u32 v1, v0, 16, 8
	v_cvt_f32_fp8_sdwa v1, v1 src0_sel:BYTE_0
                                        ; implicit-def: $agpr3
	s_nop 0
	v_mul_f32_e32 v1, v6, v1
	v_and_b32_e32 v7, 0x7f800000, v1
	v_cmp_ne_u32_e32 vcc, s19, v7
	s_and_saveexec_b64 s[30:31], vcc
	s_xor_b64 vcc, exec, s[30:31]
; %bb.216:                              ;   in Loop: Header=BB336_12 Depth=1
	v_bfe_u32 v7, v1, 16, 1
	v_add3_u32 v1, v1, v7, s34
	v_accvgpr_write_b32 a3, v1
                                        ; implicit-def: $vgpr1
; %bb.217:                              ;   in Loop: Header=BB336_12 Depth=1
	s_andn2_saveexec_b64 s[30:31], vcc
; %bb.218:                              ;   in Loop: Header=BB336_12 Depth=1
	v_or_b32_e32 v7, 0x10000, v1
	v_cmp_eq_u32_sdwa vcc, v1, v25 src0_sel:WORD_0 src1_sel:DWORD
	s_nop 1
	v_cndmask_b32_e32 v1, v7, v1, vcc
	v_accvgpr_write_b32 a3, v1
; %bb.219:                              ;   in Loop: Header=BB336_12 Depth=1
	s_or_b64 exec, exec, s[30:31]
	v_lshrrev_b32_e32 v0, 24, v0
	v_cvt_f32_fp8_sdwa v0, v0 src0_sel:BYTE_0
                                        ; implicit-def: $agpr6
	s_nop 0
	v_mul_f32_e32 v0, v6, v0
	v_and_b32_e32 v1, 0x7f800000, v0
	v_cmp_ne_u32_e32 vcc, s19, v1
	s_and_saveexec_b64 s[30:31], vcc
	s_xor_b64 vcc, exec, s[30:31]
; %bb.220:                              ;   in Loop: Header=BB336_12 Depth=1
	v_bfe_u32 v1, v0, 16, 1
	v_add3_u32 v0, v0, v1, s34
	v_accvgpr_write_b32 a6, v0
                                        ; implicit-def: $vgpr0
; %bb.221:                              ;   in Loop: Header=BB336_12 Depth=1
	s_andn2_saveexec_b64 s[30:31], vcc
; %bb.222:                              ;   in Loop: Header=BB336_12 Depth=1
	v_or_b32_e32 v1, 0x10000, v0
	v_cmp_eq_u32_sdwa vcc, v0, v25 src0_sel:WORD_0 src1_sel:DWORD
	s_nop 1
	v_cndmask_b32_e32 v0, v1, v0, vcc
	v_accvgpr_write_b32 a6, v0
; %bb.223:                              ;   in Loop: Header=BB336_12 Depth=1
	s_or_b64 exec, exec, s[30:31]
	flat_load_dword v0, v[46:47] offset:3080
                                        ; implicit-def: $agpr37
	s_waitcnt vmcnt(0) lgkmcnt(0)
	v_and_b32_e32 v1, 0xff, v0
	v_cvt_f32_fp8_sdwa v1, v1 src0_sel:BYTE_0
	s_nop 0
	v_mul_f32_e32 v1, v6, v1
	v_and_b32_e32 v7, 0x7f800000, v1
	v_cmp_ne_u32_e32 vcc, s19, v7
	s_and_saveexec_b64 s[30:31], vcc
	s_xor_b64 vcc, exec, s[30:31]
; %bb.224:                              ;   in Loop: Header=BB336_12 Depth=1
	v_bfe_u32 v7, v1, 16, 1
	v_add3_u32 v1, v1, v7, s34
	v_accvgpr_write_b32 a37, v1
                                        ; implicit-def: $vgpr1
; %bb.225:                              ;   in Loop: Header=BB336_12 Depth=1
	s_andn2_saveexec_b64 s[30:31], vcc
; %bb.226:                              ;   in Loop: Header=BB336_12 Depth=1
	v_or_b32_e32 v7, 0x10000, v1
	v_cmp_eq_u32_sdwa vcc, v1, v25 src0_sel:WORD_0 src1_sel:DWORD
	s_nop 1
	v_cndmask_b32_e32 v1, v7, v1, vcc
	v_accvgpr_write_b32 a37, v1
; %bb.227:                              ;   in Loop: Header=BB336_12 Depth=1
	s_or_b64 exec, exec, s[30:31]
	v_bfe_u32 v1, v0, 8, 8
	v_cvt_f32_fp8_sdwa v1, v1 src0_sel:BYTE_0
                                        ; implicit-def: $agpr38
	s_nop 0
	v_mul_f32_e32 v1, v6, v1
	v_and_b32_e32 v7, 0x7f800000, v1
	v_cmp_ne_u32_e32 vcc, s19, v7
	s_and_saveexec_b64 s[30:31], vcc
	s_xor_b64 vcc, exec, s[30:31]
; %bb.228:                              ;   in Loop: Header=BB336_12 Depth=1
	v_bfe_u32 v7, v1, 16, 1
	v_add3_u32 v1, v1, v7, s34
	v_accvgpr_write_b32 a38, v1
                                        ; implicit-def: $vgpr1
; %bb.229:                              ;   in Loop: Header=BB336_12 Depth=1
	s_andn2_saveexec_b64 s[30:31], vcc
; %bb.230:                              ;   in Loop: Header=BB336_12 Depth=1
	v_or_b32_e32 v7, 0x10000, v1
	v_cmp_eq_u32_sdwa vcc, v1, v25 src0_sel:WORD_0 src1_sel:DWORD
	s_nop 1
	v_cndmask_b32_e32 v1, v7, v1, vcc
	v_accvgpr_write_b32 a38, v1
; %bb.231:                              ;   in Loop: Header=BB336_12 Depth=1
	s_or_b64 exec, exec, s[30:31]
	v_bfe_u32 v1, v0, 16, 8
	v_cvt_f32_fp8_sdwa v1, v1 src0_sel:BYTE_0
                                        ; implicit-def: $agpr39
	s_nop 0
	v_mul_f32_e32 v1, v6, v1
	v_and_b32_e32 v7, 0x7f800000, v1
	v_cmp_ne_u32_e32 vcc, s19, v7
	s_and_saveexec_b64 s[30:31], vcc
	s_xor_b64 vcc, exec, s[30:31]
; %bb.232:                              ;   in Loop: Header=BB336_12 Depth=1
	v_bfe_u32 v7, v1, 16, 1
	v_add3_u32 v1, v1, v7, s34
	v_accvgpr_write_b32 a39, v1
                                        ; implicit-def: $vgpr1
; %bb.233:                              ;   in Loop: Header=BB336_12 Depth=1
	s_andn2_saveexec_b64 s[30:31], vcc
; %bb.234:                              ;   in Loop: Header=BB336_12 Depth=1
	v_or_b32_e32 v7, 0x10000, v1
	v_cmp_eq_u32_sdwa vcc, v1, v25 src0_sel:WORD_0 src1_sel:DWORD
	s_nop 1
	v_cndmask_b32_e32 v1, v7, v1, vcc
	v_accvgpr_write_b32 a39, v1
; %bb.235:                              ;   in Loop: Header=BB336_12 Depth=1
	s_or_b64 exec, exec, s[30:31]
	v_lshrrev_b32_e32 v0, 24, v0
	v_cvt_f32_fp8_sdwa v0, v0 src0_sel:BYTE_0
                                        ; implicit-def: $agpr36
	s_nop 0
	v_mul_f32_e32 v0, v6, v0
	v_and_b32_e32 v1, 0x7f800000, v0
	v_cmp_ne_u32_e32 vcc, s19, v1
	s_and_saveexec_b64 s[30:31], vcc
	s_xor_b64 vcc, exec, s[30:31]
; %bb.236:                              ;   in Loop: Header=BB336_12 Depth=1
	v_bfe_u32 v1, v0, 16, 1
	v_add3_u32 v0, v0, v1, s34
	v_accvgpr_write_b32 a36, v0
                                        ; implicit-def: $vgpr0
; %bb.237:                              ;   in Loop: Header=BB336_12 Depth=1
	s_andn2_saveexec_b64 s[30:31], vcc
; %bb.238:                              ;   in Loop: Header=BB336_12 Depth=1
	v_or_b32_e32 v1, 0x10000, v0
	v_cmp_eq_u32_sdwa vcc, v0, v25 src0_sel:WORD_0 src1_sel:DWORD
	s_nop 1
	v_cndmask_b32_e32 v0, v1, v0, vcc
	v_accvgpr_write_b32 a36, v0
; %bb.239:                              ;   in Loop: Header=BB336_12 Depth=1
	s_or_b64 exec, exec, s[30:31]
	flat_load_dword v0, v[46:47] offset:3584
                                        ; implicit-def: $agpr10
	s_waitcnt vmcnt(0) lgkmcnt(0)
	v_and_b32_e32 v1, 0xff, v0
	v_cvt_f32_fp8_sdwa v1, v1 src0_sel:BYTE_0
	s_nop 0
	v_mul_f32_e32 v1, v6, v1
	v_and_b32_e32 v7, 0x7f800000, v1
	v_cmp_ne_u32_e32 vcc, s19, v7
	s_and_saveexec_b64 s[30:31], vcc
	s_xor_b64 vcc, exec, s[30:31]
; %bb.240:                              ;   in Loop: Header=BB336_12 Depth=1
	v_bfe_u32 v7, v1, 16, 1
	v_add3_u32 v1, v1, v7, s34
	v_accvgpr_write_b32 a10, v1
                                        ; implicit-def: $vgpr1
; %bb.241:                              ;   in Loop: Header=BB336_12 Depth=1
	s_andn2_saveexec_b64 s[30:31], vcc
; %bb.242:                              ;   in Loop: Header=BB336_12 Depth=1
	v_or_b32_e32 v7, 0x10000, v1
	v_cmp_eq_u32_sdwa vcc, v1, v25 src0_sel:WORD_0 src1_sel:DWORD
	s_nop 1
	v_cndmask_b32_e32 v1, v7, v1, vcc
	v_accvgpr_write_b32 a10, v1
; %bb.243:                              ;   in Loop: Header=BB336_12 Depth=1
	s_or_b64 exec, exec, s[30:31]
	v_bfe_u32 v1, v0, 8, 8
	v_cvt_f32_fp8_sdwa v1, v1 src0_sel:BYTE_0
                                        ; implicit-def: $agpr43
	s_nop 0
	v_mul_f32_e32 v1, v6, v1
	v_and_b32_e32 v7, 0x7f800000, v1
	v_cmp_ne_u32_e32 vcc, s19, v7
	s_and_saveexec_b64 s[30:31], vcc
	s_xor_b64 vcc, exec, s[30:31]
; %bb.244:                              ;   in Loop: Header=BB336_12 Depth=1
	v_bfe_u32 v7, v1, 16, 1
	v_add3_u32 v1, v1, v7, s34
	v_accvgpr_write_b32 a43, v1
                                        ; implicit-def: $vgpr1
; %bb.245:                              ;   in Loop: Header=BB336_12 Depth=1
	s_andn2_saveexec_b64 s[30:31], vcc
; %bb.246:                              ;   in Loop: Header=BB336_12 Depth=1
	v_or_b32_e32 v7, 0x10000, v1
	v_cmp_eq_u32_sdwa vcc, v1, v25 src0_sel:WORD_0 src1_sel:DWORD
	s_nop 1
	v_cndmask_b32_e32 v1, v7, v1, vcc
	v_accvgpr_write_b32 a43, v1
; %bb.247:                              ;   in Loop: Header=BB336_12 Depth=1
	s_or_b64 exec, exec, s[30:31]
	v_bfe_u32 v1, v0, 16, 8
	v_cvt_f32_fp8_sdwa v1, v1 src0_sel:BYTE_0
                                        ; implicit-def: $agpr44
	s_nop 0
	v_mul_f32_e32 v1, v6, v1
	v_and_b32_e32 v7, 0x7f800000, v1
	v_cmp_ne_u32_e32 vcc, s19, v7
	s_and_saveexec_b64 s[30:31], vcc
	s_xor_b64 vcc, exec, s[30:31]
; %bb.248:                              ;   in Loop: Header=BB336_12 Depth=1
	v_bfe_u32 v7, v1, 16, 1
	v_add3_u32 v1, v1, v7, s34
	v_accvgpr_write_b32 a44, v1
                                        ; implicit-def: $vgpr1
; %bb.249:                              ;   in Loop: Header=BB336_12 Depth=1
	s_andn2_saveexec_b64 s[30:31], vcc
; %bb.250:                              ;   in Loop: Header=BB336_12 Depth=1
	v_or_b32_e32 v7, 0x10000, v1
	v_cmp_eq_u32_sdwa vcc, v1, v25 src0_sel:WORD_0 src1_sel:DWORD
	s_nop 1
	v_cndmask_b32_e32 v1, v7, v1, vcc
	v_accvgpr_write_b32 a44, v1
; %bb.251:                              ;   in Loop: Header=BB336_12 Depth=1
	s_or_b64 exec, exec, s[30:31]
	v_lshrrev_b32_e32 v0, 24, v0
	v_cvt_f32_fp8_sdwa v0, v0 src0_sel:BYTE_0
                                        ; implicit-def: $agpr45
	s_nop 0
	v_mul_f32_e32 v0, v6, v0
	v_and_b32_e32 v1, 0x7f800000, v0
	v_cmp_ne_u32_e32 vcc, s19, v1
	s_and_saveexec_b64 s[30:31], vcc
	s_xor_b64 vcc, exec, s[30:31]
; %bb.252:                              ;   in Loop: Header=BB336_12 Depth=1
	v_bfe_u32 v1, v0, 16, 1
	v_add3_u32 v0, v0, v1, s34
	v_accvgpr_write_b32 a45, v0
                                        ; implicit-def: $vgpr0
; %bb.253:                              ;   in Loop: Header=BB336_12 Depth=1
	s_andn2_saveexec_b64 s[30:31], vcc
; %bb.254:                              ;   in Loop: Header=BB336_12 Depth=1
	v_or_b32_e32 v1, 0x10000, v0
	v_cmp_eq_u32_sdwa vcc, v0, v25 src0_sel:WORD_0 src1_sel:DWORD
	s_nop 1
	v_cndmask_b32_e32 v0, v1, v0, vcc
	v_accvgpr_write_b32 a45, v0
; %bb.255:                              ;   in Loop: Header=BB336_12 Depth=1
	s_or_b64 exec, exec, s[30:31]
	flat_load_dword v0, v[46:47] offset:3592
                                        ; implicit-def: $agpr42
	s_waitcnt vmcnt(0) lgkmcnt(0)
	v_and_b32_e32 v1, 0xff, v0
	v_cvt_f32_fp8_sdwa v1, v1 src0_sel:BYTE_0
	s_nop 0
	v_mul_f32_e32 v1, v6, v1
	v_and_b32_e32 v7, 0x7f800000, v1
	v_cmp_ne_u32_e32 vcc, s19, v7
	s_and_saveexec_b64 s[30:31], vcc
	s_xor_b64 vcc, exec, s[30:31]
; %bb.256:                              ;   in Loop: Header=BB336_12 Depth=1
	v_bfe_u32 v7, v1, 16, 1
	v_add3_u32 v1, v1, v7, s34
	v_accvgpr_write_b32 a42, v1
                                        ; implicit-def: $vgpr1
; %bb.257:                              ;   in Loop: Header=BB336_12 Depth=1
	s_andn2_saveexec_b64 s[30:31], vcc
; %bb.258:                              ;   in Loop: Header=BB336_12 Depth=1
	v_or_b32_e32 v7, 0x10000, v1
	v_cmp_eq_u32_sdwa vcc, v1, v25 src0_sel:WORD_0 src1_sel:DWORD
	s_nop 1
	v_cndmask_b32_e32 v1, v7, v1, vcc
	v_accvgpr_write_b32 a42, v1
; %bb.259:                              ;   in Loop: Header=BB336_12 Depth=1
	s_or_b64 exec, exec, s[30:31]
	v_bfe_u32 v1, v0, 8, 8
	v_cvt_f32_fp8_sdwa v1, v1 src0_sel:BYTE_0
                                        ; implicit-def: $agpr12
	s_nop 0
	v_mul_f32_e32 v1, v6, v1
	v_and_b32_e32 v7, 0x7f800000, v1
	v_cmp_ne_u32_e32 vcc, s19, v7
	s_and_saveexec_b64 s[30:31], vcc
	s_xor_b64 vcc, exec, s[30:31]
; %bb.260:                              ;   in Loop: Header=BB336_12 Depth=1
	v_bfe_u32 v7, v1, 16, 1
	v_add3_u32 v1, v1, v7, s34
	v_accvgpr_write_b32 a12, v1
                                        ; implicit-def: $vgpr1
; %bb.261:                              ;   in Loop: Header=BB336_12 Depth=1
	s_andn2_saveexec_b64 s[30:31], vcc
; %bb.262:                              ;   in Loop: Header=BB336_12 Depth=1
	v_or_b32_e32 v7, 0x10000, v1
	v_cmp_eq_u32_sdwa vcc, v1, v25 src0_sel:WORD_0 src1_sel:DWORD
	s_nop 1
	v_cndmask_b32_e32 v1, v7, v1, vcc
	v_accvgpr_write_b32 a12, v1
; %bb.263:                              ;   in Loop: Header=BB336_12 Depth=1
	s_or_b64 exec, exec, s[30:31]
	v_bfe_u32 v1, v0, 16, 8
	v_cvt_f32_fp8_sdwa v1, v1 src0_sel:BYTE_0
                                        ; implicit-def: $agpr23
	s_nop 0
	v_mul_f32_e32 v1, v6, v1
	v_and_b32_e32 v7, 0x7f800000, v1
	v_cmp_ne_u32_e32 vcc, s19, v7
	s_and_saveexec_b64 s[30:31], vcc
	s_xor_b64 vcc, exec, s[30:31]
; %bb.264:                              ;   in Loop: Header=BB336_12 Depth=1
	v_bfe_u32 v7, v1, 16, 1
	v_add3_u32 v1, v1, v7, s34
	v_accvgpr_write_b32 a23, v1
                                        ; implicit-def: $vgpr1
; %bb.265:                              ;   in Loop: Header=BB336_12 Depth=1
	s_andn2_saveexec_b64 s[30:31], vcc
; %bb.266:                              ;   in Loop: Header=BB336_12 Depth=1
	v_or_b32_e32 v7, 0x10000, v1
	v_cmp_eq_u32_sdwa vcc, v1, v25 src0_sel:WORD_0 src1_sel:DWORD
	s_nop 1
	v_cndmask_b32_e32 v1, v7, v1, vcc
	v_accvgpr_write_b32 a23, v1
; %bb.267:                              ;   in Loop: Header=BB336_12 Depth=1
	s_or_b64 exec, exec, s[30:31]
	v_lshrrev_b32_e32 v0, 24, v0
	v_cvt_f32_fp8_sdwa v0, v0 src0_sel:BYTE_0
                                        ; implicit-def: $agpr46
	s_nop 0
	v_mul_f32_e32 v0, v6, v0
	v_and_b32_e32 v1, 0x7f800000, v0
	v_cmp_ne_u32_e32 vcc, s19, v1
	s_and_saveexec_b64 s[30:31], vcc
	s_xor_b64 vcc, exec, s[30:31]
; %bb.268:                              ;   in Loop: Header=BB336_12 Depth=1
	v_bfe_u32 v1, v0, 16, 1
	v_add3_u32 v0, v0, v1, s34
	v_accvgpr_write_b32 a46, v0
                                        ; implicit-def: $vgpr0
; %bb.269:                              ;   in Loop: Header=BB336_12 Depth=1
	s_andn2_saveexec_b64 s[30:31], vcc
; %bb.270:                              ;   in Loop: Header=BB336_12 Depth=1
	v_or_b32_e32 v1, 0x10000, v0
	v_cmp_eq_u32_sdwa vcc, v0, v25 src0_sel:WORD_0 src1_sel:DWORD
	s_nop 1
	v_cndmask_b32_e32 v0, v1, v0, vcc
	v_accvgpr_write_b32 a46, v0
; %bb.271:                              ;   in Loop: Header=BB336_12 Depth=1
	s_or_b64 exec, exec, s[30:31]
	v_add_co_u32_e32 v0, vcc, 0x1000, v46
                                        ; implicit-def: $agpr47
	s_nop 1
	v_addc_co_u32_e32 v1, vcc, 0, v47, vcc
	flat_load_dword v0, v[0:1]
	s_waitcnt vmcnt(0) lgkmcnt(0)
	v_and_b32_e32 v1, 0xff, v0
	v_cvt_f32_fp8_sdwa v1, v1 src0_sel:BYTE_0
	s_nop 0
	v_mul_f32_e32 v1, v6, v1
	v_and_b32_e32 v7, 0x7f800000, v1
	v_cmp_ne_u32_e32 vcc, s19, v7
	s_and_saveexec_b64 s[30:31], vcc
	s_xor_b64 vcc, exec, s[30:31]
; %bb.272:                              ;   in Loop: Header=BB336_12 Depth=1
	v_bfe_u32 v7, v1, 16, 1
	v_add3_u32 v1, v1, v7, s34
	v_accvgpr_write_b32 a47, v1
                                        ; implicit-def: $vgpr1
; %bb.273:                              ;   in Loop: Header=BB336_12 Depth=1
	s_andn2_saveexec_b64 s[30:31], vcc
; %bb.274:                              ;   in Loop: Header=BB336_12 Depth=1
	v_or_b32_e32 v7, 0x10000, v1
	v_cmp_eq_u32_sdwa vcc, v1, v25 src0_sel:WORD_0 src1_sel:DWORD
	s_nop 1
	v_cndmask_b32_e32 v1, v7, v1, vcc
	v_accvgpr_write_b32 a47, v1
; %bb.275:                              ;   in Loop: Header=BB336_12 Depth=1
	s_or_b64 exec, exec, s[30:31]
	v_bfe_u32 v1, v0, 8, 8
	v_cvt_f32_fp8_sdwa v1, v1 src0_sel:BYTE_0
                                        ; implicit-def: $agpr48
	s_nop 0
	v_mul_f32_e32 v1, v6, v1
	v_and_b32_e32 v7, 0x7f800000, v1
	v_cmp_ne_u32_e32 vcc, s19, v7
	s_and_saveexec_b64 s[30:31], vcc
	s_xor_b64 vcc, exec, s[30:31]
; %bb.276:                              ;   in Loop: Header=BB336_12 Depth=1
	v_bfe_u32 v7, v1, 16, 1
	v_add3_u32 v1, v1, v7, s34
	v_accvgpr_write_b32 a48, v1
                                        ; implicit-def: $vgpr1
; %bb.277:                              ;   in Loop: Header=BB336_12 Depth=1
	s_andn2_saveexec_b64 s[30:31], vcc
; %bb.278:                              ;   in Loop: Header=BB336_12 Depth=1
	v_or_b32_e32 v7, 0x10000, v1
	v_cmp_eq_u32_sdwa vcc, v1, v25 src0_sel:WORD_0 src1_sel:DWORD
	s_nop 1
	v_cndmask_b32_e32 v1, v7, v1, vcc
	v_accvgpr_write_b32 a48, v1
; %bb.279:                              ;   in Loop: Header=BB336_12 Depth=1
	s_or_b64 exec, exec, s[30:31]
	v_bfe_u32 v1, v0, 16, 8
	v_cvt_f32_fp8_sdwa v1, v1 src0_sel:BYTE_0
                                        ; implicit-def: $agpr49
	s_nop 0
	v_mul_f32_e32 v1, v6, v1
	v_and_b32_e32 v7, 0x7f800000, v1
	v_cmp_ne_u32_e32 vcc, s19, v7
	s_and_saveexec_b64 s[30:31], vcc
	s_xor_b64 vcc, exec, s[30:31]
; %bb.280:                              ;   in Loop: Header=BB336_12 Depth=1
	v_bfe_u32 v7, v1, 16, 1
	v_add3_u32 v1, v1, v7, s34
	v_accvgpr_write_b32 a49, v1
                                        ; implicit-def: $vgpr1
; %bb.281:                              ;   in Loop: Header=BB336_12 Depth=1
	s_andn2_saveexec_b64 s[30:31], vcc
; %bb.282:                              ;   in Loop: Header=BB336_12 Depth=1
	v_or_b32_e32 v7, 0x10000, v1
	v_cmp_eq_u32_sdwa vcc, v1, v25 src0_sel:WORD_0 src1_sel:DWORD
	s_nop 1
	v_cndmask_b32_e32 v1, v7, v1, vcc
	v_accvgpr_write_b32 a49, v1
; %bb.283:                              ;   in Loop: Header=BB336_12 Depth=1
	s_or_b64 exec, exec, s[30:31]
	v_lshrrev_b32_e32 v0, 24, v0
	v_cvt_f32_fp8_sdwa v0, v0 src0_sel:BYTE_0
                                        ; implicit-def: $agpr50
	s_nop 0
	v_mul_f32_e32 v0, v6, v0
	v_and_b32_e32 v1, 0x7f800000, v0
	v_cmp_ne_u32_e32 vcc, s19, v1
	s_and_saveexec_b64 s[30:31], vcc
	s_xor_b64 vcc, exec, s[30:31]
; %bb.284:                              ;   in Loop: Header=BB336_12 Depth=1
	v_bfe_u32 v1, v0, 16, 1
	v_add3_u32 v0, v0, v1, s34
	v_accvgpr_write_b32 a50, v0
                                        ; implicit-def: $vgpr0
; %bb.285:                              ;   in Loop: Header=BB336_12 Depth=1
	s_andn2_saveexec_b64 s[30:31], vcc
; %bb.286:                              ;   in Loop: Header=BB336_12 Depth=1
	v_or_b32_e32 v1, 0x10000, v0
	v_cmp_eq_u32_sdwa vcc, v0, v25 src0_sel:WORD_0 src1_sel:DWORD
	s_nop 1
	v_cndmask_b32_e32 v0, v1, v0, vcc
	v_accvgpr_write_b32 a50, v0
; %bb.287:                              ;   in Loop: Header=BB336_12 Depth=1
	s_or_b64 exec, exec, s[30:31]
	v_lshl_add_u64 v[0:1], v[46:47], 0, s[22:23]
	flat_load_dword v0, v[0:1] offset:8
                                        ; implicit-def: $agpr51
	s_waitcnt vmcnt(0) lgkmcnt(0)
	v_and_b32_e32 v1, 0xff, v0
	v_cvt_f32_fp8_sdwa v1, v1 src0_sel:BYTE_0
	s_nop 0
	v_mul_f32_e32 v1, v6, v1
	v_and_b32_e32 v7, 0x7f800000, v1
	v_cmp_ne_u32_e32 vcc, s19, v7
	s_and_saveexec_b64 s[30:31], vcc
	s_xor_b64 vcc, exec, s[30:31]
; %bb.288:                              ;   in Loop: Header=BB336_12 Depth=1
	v_bfe_u32 v7, v1, 16, 1
	v_add3_u32 v1, v1, v7, s34
	v_accvgpr_write_b32 a51, v1
                                        ; implicit-def: $vgpr1
; %bb.289:                              ;   in Loop: Header=BB336_12 Depth=1
	s_andn2_saveexec_b64 s[30:31], vcc
; %bb.290:                              ;   in Loop: Header=BB336_12 Depth=1
	v_or_b32_e32 v7, 0x10000, v1
	v_cmp_eq_u32_sdwa vcc, v1, v25 src0_sel:WORD_0 src1_sel:DWORD
	s_nop 1
	v_cndmask_b32_e32 v1, v7, v1, vcc
	v_accvgpr_write_b32 a51, v1
; %bb.291:                              ;   in Loop: Header=BB336_12 Depth=1
	s_or_b64 exec, exec, s[30:31]
	v_bfe_u32 v1, v0, 8, 8
	v_cvt_f32_fp8_sdwa v1, v1 src0_sel:BYTE_0
                                        ; implicit-def: $agpr52
	s_nop 0
	v_mul_f32_e32 v1, v6, v1
	v_and_b32_e32 v7, 0x7f800000, v1
	v_cmp_ne_u32_e32 vcc, s19, v7
	s_and_saveexec_b64 s[30:31], vcc
	s_xor_b64 vcc, exec, s[30:31]
; %bb.292:                              ;   in Loop: Header=BB336_12 Depth=1
	v_bfe_u32 v7, v1, 16, 1
	v_add3_u32 v1, v1, v7, s34
	v_accvgpr_write_b32 a52, v1
                                        ; implicit-def: $vgpr1
; %bb.293:                              ;   in Loop: Header=BB336_12 Depth=1
	s_andn2_saveexec_b64 s[30:31], vcc
; %bb.294:                              ;   in Loop: Header=BB336_12 Depth=1
	v_or_b32_e32 v7, 0x10000, v1
	v_cmp_eq_u32_sdwa vcc, v1, v25 src0_sel:WORD_0 src1_sel:DWORD
	s_nop 1
	v_cndmask_b32_e32 v1, v7, v1, vcc
	v_accvgpr_write_b32 a52, v1
; %bb.295:                              ;   in Loop: Header=BB336_12 Depth=1
	s_or_b64 exec, exec, s[30:31]
	v_bfe_u32 v1, v0, 16, 8
	v_cvt_f32_fp8_sdwa v1, v1 src0_sel:BYTE_0
                                        ; implicit-def: $agpr53
	s_nop 0
	v_mul_f32_e32 v1, v6, v1
	v_and_b32_e32 v7, 0x7f800000, v1
	v_cmp_ne_u32_e32 vcc, s19, v7
	s_and_saveexec_b64 s[30:31], vcc
	s_xor_b64 vcc, exec, s[30:31]
; %bb.296:                              ;   in Loop: Header=BB336_12 Depth=1
	v_bfe_u32 v7, v1, 16, 1
	v_add3_u32 v1, v1, v7, s34
	v_accvgpr_write_b32 a53, v1
                                        ; implicit-def: $vgpr1
; %bb.297:                              ;   in Loop: Header=BB336_12 Depth=1
	s_andn2_saveexec_b64 s[30:31], vcc
; %bb.298:                              ;   in Loop: Header=BB336_12 Depth=1
	v_or_b32_e32 v7, 0x10000, v1
	v_cmp_eq_u32_sdwa vcc, v1, v25 src0_sel:WORD_0 src1_sel:DWORD
	s_nop 1
	v_cndmask_b32_e32 v1, v7, v1, vcc
	v_accvgpr_write_b32 a53, v1
; %bb.299:                              ;   in Loop: Header=BB336_12 Depth=1
	s_or_b64 exec, exec, s[30:31]
	v_lshrrev_b32_e32 v0, 24, v0
	v_cvt_f32_fp8_sdwa v0, v0 src0_sel:BYTE_0
                                        ; implicit-def: $agpr54
	s_nop 0
	v_mul_f32_e32 v0, v6, v0
	v_and_b32_e32 v1, 0x7f800000, v0
	v_cmp_ne_u32_e32 vcc, s19, v1
	s_and_saveexec_b64 s[30:31], vcc
	s_xor_b64 vcc, exec, s[30:31]
; %bb.300:                              ;   in Loop: Header=BB336_12 Depth=1
	v_bfe_u32 v1, v0, 16, 1
	v_add3_u32 v0, v0, v1, s34
	v_accvgpr_write_b32 a54, v0
                                        ; implicit-def: $vgpr0
; %bb.301:                              ;   in Loop: Header=BB336_12 Depth=1
	s_andn2_saveexec_b64 s[30:31], vcc
; %bb.302:                              ;   in Loop: Header=BB336_12 Depth=1
	v_or_b32_e32 v1, 0x10000, v0
	v_cmp_eq_u32_sdwa vcc, v0, v25 src0_sel:WORD_0 src1_sel:DWORD
	s_nop 1
	v_cndmask_b32_e32 v0, v1, v0, vcc
	v_accvgpr_write_b32 a54, v0
; %bb.303:                              ;   in Loop: Header=BB336_12 Depth=1
	s_or_b64 exec, exec, s[30:31]
	v_add_co_u32_e32 v0, vcc, 0x1000, v46
                                        ; implicit-def: $agpr55
	s_nop 1
	v_addc_co_u32_e32 v1, vcc, 0, v47, vcc
	flat_load_dword v0, v[0:1] offset:512
	s_waitcnt vmcnt(0) lgkmcnt(0)
	v_and_b32_e32 v1, 0xff, v0
	v_cvt_f32_fp8_sdwa v1, v1 src0_sel:BYTE_0
	s_nop 0
	v_mul_f32_e32 v1, v6, v1
	v_and_b32_e32 v7, 0x7f800000, v1
	v_cmp_ne_u32_e32 vcc, s19, v7
	s_and_saveexec_b64 s[30:31], vcc
	s_xor_b64 vcc, exec, s[30:31]
; %bb.304:                              ;   in Loop: Header=BB336_12 Depth=1
	v_bfe_u32 v7, v1, 16, 1
	v_add3_u32 v1, v1, v7, s34
	v_accvgpr_write_b32 a55, v1
                                        ; implicit-def: $vgpr1
; %bb.305:                              ;   in Loop: Header=BB336_12 Depth=1
	s_andn2_saveexec_b64 s[30:31], vcc
; %bb.306:                              ;   in Loop: Header=BB336_12 Depth=1
	v_or_b32_e32 v7, 0x10000, v1
	v_cmp_eq_u32_sdwa vcc, v1, v25 src0_sel:WORD_0 src1_sel:DWORD
	s_nop 1
	v_cndmask_b32_e32 v1, v7, v1, vcc
	v_accvgpr_write_b32 a55, v1
; %bb.307:                              ;   in Loop: Header=BB336_12 Depth=1
	s_or_b64 exec, exec, s[30:31]
	v_bfe_u32 v1, v0, 8, 8
	v_cvt_f32_fp8_sdwa v1, v1 src0_sel:BYTE_0
                                        ; implicit-def: $agpr56
	s_nop 0
	v_mul_f32_e32 v1, v6, v1
	v_and_b32_e32 v7, 0x7f800000, v1
	v_cmp_ne_u32_e32 vcc, s19, v7
	s_and_saveexec_b64 s[30:31], vcc
	s_xor_b64 vcc, exec, s[30:31]
; %bb.308:                              ;   in Loop: Header=BB336_12 Depth=1
	v_bfe_u32 v7, v1, 16, 1
	v_add3_u32 v1, v1, v7, s34
	v_accvgpr_write_b32 a56, v1
                                        ; implicit-def: $vgpr1
; %bb.309:                              ;   in Loop: Header=BB336_12 Depth=1
	s_andn2_saveexec_b64 s[30:31], vcc
; %bb.310:                              ;   in Loop: Header=BB336_12 Depth=1
	v_or_b32_e32 v7, 0x10000, v1
	v_cmp_eq_u32_sdwa vcc, v1, v25 src0_sel:WORD_0 src1_sel:DWORD
	s_nop 1
	v_cndmask_b32_e32 v1, v7, v1, vcc
	v_accvgpr_write_b32 a56, v1
; %bb.311:                              ;   in Loop: Header=BB336_12 Depth=1
	s_or_b64 exec, exec, s[30:31]
	v_bfe_u32 v1, v0, 16, 8
	v_cvt_f32_fp8_sdwa v1, v1 src0_sel:BYTE_0
                                        ; implicit-def: $agpr57
	s_nop 0
	v_mul_f32_e32 v1, v6, v1
	v_and_b32_e32 v7, 0x7f800000, v1
	v_cmp_ne_u32_e32 vcc, s19, v7
	s_and_saveexec_b64 s[30:31], vcc
	s_xor_b64 vcc, exec, s[30:31]
; %bb.312:                              ;   in Loop: Header=BB336_12 Depth=1
	v_bfe_u32 v7, v1, 16, 1
	v_add3_u32 v1, v1, v7, s34
	v_accvgpr_write_b32 a57, v1
                                        ; implicit-def: $vgpr1
; %bb.313:                              ;   in Loop: Header=BB336_12 Depth=1
	s_andn2_saveexec_b64 s[30:31], vcc
; %bb.314:                              ;   in Loop: Header=BB336_12 Depth=1
	v_or_b32_e32 v7, 0x10000, v1
	v_cmp_eq_u32_sdwa vcc, v1, v25 src0_sel:WORD_0 src1_sel:DWORD
	s_nop 1
	v_cndmask_b32_e32 v1, v7, v1, vcc
	v_accvgpr_write_b32 a57, v1
; %bb.315:                              ;   in Loop: Header=BB336_12 Depth=1
	s_or_b64 exec, exec, s[30:31]
	v_lshrrev_b32_e32 v0, 24, v0
	v_cvt_f32_fp8_sdwa v0, v0 src0_sel:BYTE_0
                                        ; implicit-def: $agpr58
	s_nop 0
	v_mul_f32_e32 v0, v6, v0
	v_and_b32_e32 v1, 0x7f800000, v0
	v_cmp_ne_u32_e32 vcc, s19, v1
	s_and_saveexec_b64 s[30:31], vcc
	s_xor_b64 vcc, exec, s[30:31]
; %bb.316:                              ;   in Loop: Header=BB336_12 Depth=1
	v_bfe_u32 v1, v0, 16, 1
	v_add3_u32 v0, v0, v1, s34
	v_accvgpr_write_b32 a58, v0
                                        ; implicit-def: $vgpr0
; %bb.317:                              ;   in Loop: Header=BB336_12 Depth=1
	s_andn2_saveexec_b64 s[30:31], vcc
; %bb.318:                              ;   in Loop: Header=BB336_12 Depth=1
	v_or_b32_e32 v1, 0x10000, v0
	v_cmp_eq_u32_sdwa vcc, v0, v25 src0_sel:WORD_0 src1_sel:DWORD
	s_nop 1
	v_cndmask_b32_e32 v0, v1, v0, vcc
	v_accvgpr_write_b32 a58, v0
; %bb.319:                              ;   in Loop: Header=BB336_12 Depth=1
	s_or_b64 exec, exec, s[30:31]
	v_lshl_add_u64 v[0:1], v[46:47], 0, s[24:25]
	flat_load_dword v0, v[0:1] offset:8
                                        ; implicit-def: $agpr59
	s_waitcnt vmcnt(0) lgkmcnt(0)
	v_and_b32_e32 v1, 0xff, v0
	v_cvt_f32_fp8_sdwa v1, v1 src0_sel:BYTE_0
	s_nop 0
	v_mul_f32_e32 v1, v6, v1
	v_and_b32_e32 v10, 0x7f800000, v1
	v_cmp_ne_u32_e32 vcc, s19, v10
	s_and_saveexec_b64 s[30:31], vcc
	s_xor_b64 vcc, exec, s[30:31]
; %bb.320:                              ;   in Loop: Header=BB336_12 Depth=1
	v_bfe_u32 v10, v1, 16, 1
	v_add3_u32 v1, v1, v10, s34
	v_accvgpr_write_b32 a59, v1
                                        ; implicit-def: $vgpr1
; %bb.321:                              ;   in Loop: Header=BB336_12 Depth=1
	s_andn2_saveexec_b64 s[30:31], vcc
; %bb.322:                              ;   in Loop: Header=BB336_12 Depth=1
	v_or_b32_e32 v10, 0x10000, v1
	v_cmp_eq_u32_sdwa vcc, v1, v25 src0_sel:WORD_0 src1_sel:DWORD
	s_nop 1
	v_cndmask_b32_e32 v1, v10, v1, vcc
	v_accvgpr_write_b32 a59, v1
; %bb.323:                              ;   in Loop: Header=BB336_12 Depth=1
	s_or_b64 exec, exec, s[30:31]
	v_bfe_u32 v1, v0, 8, 8
	v_cvt_f32_fp8_sdwa v1, v1 src0_sel:BYTE_0
                                        ; implicit-def: $agpr60
	s_nop 0
	v_mul_f32_e32 v1, v6, v1
	v_and_b32_e32 v10, 0x7f800000, v1
	v_cmp_ne_u32_e32 vcc, s19, v10
	s_and_saveexec_b64 s[30:31], vcc
	s_xor_b64 vcc, exec, s[30:31]
; %bb.324:                              ;   in Loop: Header=BB336_12 Depth=1
	v_bfe_u32 v10, v1, 16, 1
	v_add3_u32 v1, v1, v10, s34
	v_accvgpr_write_b32 a60, v1
                                        ; implicit-def: $vgpr1
; %bb.325:                              ;   in Loop: Header=BB336_12 Depth=1
	s_andn2_saveexec_b64 s[30:31], vcc
; %bb.326:                              ;   in Loop: Header=BB336_12 Depth=1
	v_or_b32_e32 v10, 0x10000, v1
	v_cmp_eq_u32_sdwa vcc, v1, v25 src0_sel:WORD_0 src1_sel:DWORD
	s_nop 1
	v_cndmask_b32_e32 v1, v10, v1, vcc
	v_accvgpr_write_b32 a60, v1
; %bb.327:                              ;   in Loop: Header=BB336_12 Depth=1
	s_or_b64 exec, exec, s[30:31]
	v_bfe_u32 v1, v0, 16, 8
	v_cvt_f32_fp8_sdwa v1, v1 src0_sel:BYTE_0
                                        ; implicit-def: $agpr61
	s_nop 0
	v_mul_f32_e32 v1, v6, v1
	v_and_b32_e32 v10, 0x7f800000, v1
	v_cmp_ne_u32_e32 vcc, s19, v10
	s_and_saveexec_b64 s[30:31], vcc
	s_xor_b64 vcc, exec, s[30:31]
; %bb.328:                              ;   in Loop: Header=BB336_12 Depth=1
	v_bfe_u32 v10, v1, 16, 1
	v_add3_u32 v1, v1, v10, s34
	v_accvgpr_write_b32 a61, v1
                                        ; implicit-def: $vgpr1
; %bb.329:                              ;   in Loop: Header=BB336_12 Depth=1
	s_andn2_saveexec_b64 s[30:31], vcc
; %bb.330:                              ;   in Loop: Header=BB336_12 Depth=1
	v_or_b32_e32 v10, 0x10000, v1
	v_cmp_eq_u32_sdwa vcc, v1, v25 src0_sel:WORD_0 src1_sel:DWORD
	s_nop 1
	v_cndmask_b32_e32 v1, v10, v1, vcc
	v_accvgpr_write_b32 a61, v1
; %bb.331:                              ;   in Loop: Header=BB336_12 Depth=1
	s_or_b64 exec, exec, s[30:31]
	v_lshrrev_b32_e32 v0, 24, v0
	v_cvt_f32_fp8_sdwa v0, v0 src0_sel:BYTE_0
                                        ; implicit-def: $agpr62
	s_nop 0
	v_mul_f32_e32 v0, v6, v0
	v_and_b32_e32 v1, 0x7f800000, v0
	v_cmp_ne_u32_e32 vcc, s19, v1
	s_and_saveexec_b64 s[30:31], vcc
	s_xor_b64 vcc, exec, s[30:31]
; %bb.332:                              ;   in Loop: Header=BB336_12 Depth=1
	v_bfe_u32 v1, v0, 16, 1
	v_add3_u32 v0, v0, v1, s34
	v_accvgpr_write_b32 a62, v0
                                        ; implicit-def: $vgpr0
; %bb.333:                              ;   in Loop: Header=BB336_12 Depth=1
	s_andn2_saveexec_b64 s[30:31], vcc
; %bb.334:                              ;   in Loop: Header=BB336_12 Depth=1
	v_or_b32_e32 v1, 0x10000, v0
	v_cmp_eq_u32_sdwa vcc, v0, v25 src0_sel:WORD_0 src1_sel:DWORD
	s_nop 1
	v_cndmask_b32_e32 v0, v1, v0, vcc
	v_accvgpr_write_b32 a62, v0
; %bb.335:                              ;   in Loop: Header=BB336_12 Depth=1
	s_or_b64 exec, exec, s[30:31]
	v_add_co_u32_e32 v0, vcc, 0x1000, v46
                                        ; implicit-def: $agpr63
	s_nop 1
	v_addc_co_u32_e32 v1, vcc, 0, v47, vcc
	flat_load_dword v0, v[0:1] offset:1024
	s_waitcnt vmcnt(0) lgkmcnt(0)
	v_and_b32_e32 v1, 0xff, v0
	v_cvt_f32_fp8_sdwa v1, v1 src0_sel:BYTE_0
	s_nop 0
	v_mul_f32_e32 v1, v6, v1
	v_and_b32_e32 v11, 0x7f800000, v1
	v_cmp_ne_u32_e32 vcc, s19, v11
	s_and_saveexec_b64 s[30:31], vcc
	s_xor_b64 vcc, exec, s[30:31]
; %bb.336:                              ;   in Loop: Header=BB336_12 Depth=1
	v_bfe_u32 v11, v1, 16, 1
	v_add3_u32 v1, v1, v11, s34
	v_accvgpr_write_b32 a63, v1
                                        ; implicit-def: $vgpr1
; %bb.337:                              ;   in Loop: Header=BB336_12 Depth=1
	s_andn2_saveexec_b64 s[30:31], vcc
; %bb.338:                              ;   in Loop: Header=BB336_12 Depth=1
	v_or_b32_e32 v11, 0x10000, v1
	v_cmp_eq_u32_sdwa vcc, v1, v25 src0_sel:WORD_0 src1_sel:DWORD
	s_nop 1
	v_cndmask_b32_e32 v1, v11, v1, vcc
	v_accvgpr_write_b32 a63, v1
; %bb.339:                              ;   in Loop: Header=BB336_12 Depth=1
	s_or_b64 exec, exec, s[30:31]
	v_bfe_u32 v1, v0, 8, 8
	v_cvt_f32_fp8_sdwa v1, v1 src0_sel:BYTE_0
                                        ; implicit-def: $agpr18
	s_nop 0
	v_mul_f32_e32 v1, v6, v1
	v_and_b32_e32 v16, 0x7f800000, v1
	v_cmp_ne_u32_e32 vcc, s19, v16
	s_and_saveexec_b64 s[30:31], vcc
	s_xor_b64 vcc, exec, s[30:31]
; %bb.340:                              ;   in Loop: Header=BB336_12 Depth=1
	v_bfe_u32 v16, v1, 16, 1
	v_add3_u32 v1, v1, v16, s34
	v_accvgpr_write_b32 a18, v1
                                        ; implicit-def: $vgpr1
; %bb.341:                              ;   in Loop: Header=BB336_12 Depth=1
	s_andn2_saveexec_b64 s[30:31], vcc
; %bb.342:                              ;   in Loop: Header=BB336_12 Depth=1
	v_or_b32_e32 v16, 0x10000, v1
	v_cmp_eq_u32_sdwa vcc, v1, v25 src0_sel:WORD_0 src1_sel:DWORD
	s_nop 1
	v_cndmask_b32_e32 v1, v16, v1, vcc
	v_accvgpr_write_b32 a18, v1
; %bb.343:                              ;   in Loop: Header=BB336_12 Depth=1
	s_or_b64 exec, exec, s[30:31]
	v_bfe_u32 v1, v0, 16, 8
	v_cvt_f32_fp8_sdwa v1, v1 src0_sel:BYTE_0
                                        ; implicit-def: $agpr20
	s_nop 0
	v_mul_f32_e32 v1, v6, v1
	v_and_b32_e32 v16, 0x7f800000, v1
	v_cmp_ne_u32_e32 vcc, s19, v16
	s_and_saveexec_b64 s[30:31], vcc
	s_xor_b64 vcc, exec, s[30:31]
; %bb.344:                              ;   in Loop: Header=BB336_12 Depth=1
	v_bfe_u32 v16, v1, 16, 1
	v_add3_u32 v1, v1, v16, s34
	v_accvgpr_write_b32 a20, v1
                                        ; implicit-def: $vgpr1
; %bb.345:                              ;   in Loop: Header=BB336_12 Depth=1
	s_andn2_saveexec_b64 s[30:31], vcc
; %bb.346:                              ;   in Loop: Header=BB336_12 Depth=1
	v_or_b32_e32 v16, 0x10000, v1
	v_cmp_eq_u32_sdwa vcc, v1, v25 src0_sel:WORD_0 src1_sel:DWORD
	s_nop 1
	v_cndmask_b32_e32 v1, v16, v1, vcc
	v_accvgpr_write_b32 a20, v1
; %bb.347:                              ;   in Loop: Header=BB336_12 Depth=1
	s_or_b64 exec, exec, s[30:31]
	v_lshrrev_b32_e32 v0, 24, v0
	v_cvt_f32_fp8_sdwa v0, v0 src0_sel:BYTE_0
                                        ; implicit-def: $agpr21
	s_nop 0
	v_mul_f32_e32 v0, v6, v0
	v_and_b32_e32 v1, 0x7f800000, v0
	v_cmp_ne_u32_e32 vcc, s19, v1
	s_and_saveexec_b64 s[30:31], vcc
	s_xor_b64 vcc, exec, s[30:31]
; %bb.348:                              ;   in Loop: Header=BB336_12 Depth=1
	v_bfe_u32 v1, v0, 16, 1
	v_add3_u32 v0, v0, v1, s34
	v_accvgpr_write_b32 a21, v0
                                        ; implicit-def: $vgpr0
; %bb.349:                              ;   in Loop: Header=BB336_12 Depth=1
	s_andn2_saveexec_b64 s[30:31], vcc
; %bb.350:                              ;   in Loop: Header=BB336_12 Depth=1
	v_or_b32_e32 v1, 0x10000, v0
	v_cmp_eq_u32_sdwa vcc, v0, v25 src0_sel:WORD_0 src1_sel:DWORD
	s_nop 1
	v_cndmask_b32_e32 v0, v1, v0, vcc
	v_accvgpr_write_b32 a21, v0
; %bb.351:                              ;   in Loop: Header=BB336_12 Depth=1
	s_or_b64 exec, exec, s[30:31]
	v_lshl_add_u64 v[0:1], v[46:47], 0, s[26:27]
	flat_load_dword v0, v[0:1] offset:8
                                        ; implicit-def: $agpr7
	s_waitcnt vmcnt(0) lgkmcnt(0)
	v_and_b32_e32 v1, 0xff, v0
	v_cvt_f32_fp8_sdwa v1, v1 src0_sel:BYTE_0
	s_nop 0
	v_mul_f32_e32 v1, v6, v1
	v_and_b32_e32 v18, 0x7f800000, v1
	v_cmp_ne_u32_e32 vcc, s19, v18
	s_and_saveexec_b64 s[30:31], vcc
	s_xor_b64 vcc, exec, s[30:31]
; %bb.352:                              ;   in Loop: Header=BB336_12 Depth=1
	v_bfe_u32 v18, v1, 16, 1
	v_add3_u32 v1, v1, v18, s34
	v_accvgpr_write_b32 a7, v1
                                        ; implicit-def: $vgpr1
; %bb.353:                              ;   in Loop: Header=BB336_12 Depth=1
	s_andn2_saveexec_b64 s[30:31], vcc
; %bb.354:                              ;   in Loop: Header=BB336_12 Depth=1
	v_or_b32_e32 v18, 0x10000, v1
	v_cmp_eq_u32_sdwa vcc, v1, v25 src0_sel:WORD_0 src1_sel:DWORD
	s_nop 1
	v_cndmask_b32_e32 v1, v18, v1, vcc
	v_accvgpr_write_b32 a7, v1
; %bb.355:                              ;   in Loop: Header=BB336_12 Depth=1
	s_or_b64 exec, exec, s[30:31]
	v_bfe_u32 v1, v0, 8, 8
	v_cvt_f32_fp8_sdwa v1, v1 src0_sel:BYTE_0
                                        ; implicit-def: $agpr13
	s_nop 0
	v_mul_f32_e32 v1, v6, v1
	v_and_b32_e32 v19, 0x7f800000, v1
	v_cmp_ne_u32_e32 vcc, s19, v19
	s_and_saveexec_b64 s[30:31], vcc
	s_xor_b64 vcc, exec, s[30:31]
; %bb.356:                              ;   in Loop: Header=BB336_12 Depth=1
	v_bfe_u32 v19, v1, 16, 1
	v_add3_u32 v1, v1, v19, s34
	v_accvgpr_write_b32 a13, v1
                                        ; implicit-def: $vgpr1
; %bb.357:                              ;   in Loop: Header=BB336_12 Depth=1
	s_andn2_saveexec_b64 s[30:31], vcc
; %bb.358:                              ;   in Loop: Header=BB336_12 Depth=1
	v_or_b32_e32 v19, 0x10000, v1
	v_cmp_eq_u32_sdwa vcc, v1, v25 src0_sel:WORD_0 src1_sel:DWORD
	s_nop 1
	v_cndmask_b32_e32 v1, v19, v1, vcc
	v_accvgpr_write_b32 a13, v1
; %bb.359:                              ;   in Loop: Header=BB336_12 Depth=1
	s_or_b64 exec, exec, s[30:31]
	v_bfe_u32 v1, v0, 16, 8
	v_cvt_f32_fp8_sdwa v1, v1 src0_sel:BYTE_0
                                        ; implicit-def: $agpr11
	s_nop 0
	v_mul_f32_e32 v1, v6, v1
	v_and_b32_e32 v19, 0x7f800000, v1
	v_cmp_ne_u32_e32 vcc, s19, v19
	s_and_saveexec_b64 s[30:31], vcc
	s_xor_b64 vcc, exec, s[30:31]
; %bb.360:                              ;   in Loop: Header=BB336_12 Depth=1
	v_bfe_u32 v19, v1, 16, 1
	v_add3_u32 v1, v1, v19, s34
	v_accvgpr_write_b32 a11, v1
                                        ; implicit-def: $vgpr1
; %bb.361:                              ;   in Loop: Header=BB336_12 Depth=1
	s_andn2_saveexec_b64 s[30:31], vcc
; %bb.362:                              ;   in Loop: Header=BB336_12 Depth=1
	v_or_b32_e32 v19, 0x10000, v1
	v_cmp_eq_u32_sdwa vcc, v1, v25 src0_sel:WORD_0 src1_sel:DWORD
	s_nop 1
	v_cndmask_b32_e32 v1, v19, v1, vcc
	v_accvgpr_write_b32 a11, v1
; %bb.363:                              ;   in Loop: Header=BB336_12 Depth=1
	s_or_b64 exec, exec, s[30:31]
	v_lshrrev_b32_e32 v0, 24, v0
	v_cvt_f32_fp8_sdwa v0, v0 src0_sel:BYTE_0
                                        ; implicit-def: $agpr16
	s_nop 0
	v_mul_f32_e32 v1, v6, v0
	v_and_b32_e32 v0, 0x7f800000, v1
	v_cmp_ne_u32_e32 vcc, s19, v0
	s_and_saveexec_b64 s[30:31], vcc
	s_xor_b64 vcc, exec, s[30:31]
; %bb.364:                              ;   in Loop: Header=BB336_12 Depth=1
	v_bfe_u32 v0, v1, 16, 1
	v_add3_u32 v0, v1, v0, s34
	v_accvgpr_write_b32 a16, v0
                                        ; implicit-def: $vgpr1
; %bb.365:                              ;   in Loop: Header=BB336_12 Depth=1
	s_andn2_saveexec_b64 s[30:31], vcc
; %bb.366:                              ;   in Loop: Header=BB336_12 Depth=1
	v_or_b32_e32 v0, 0x10000, v1
	v_cmp_eq_u32_sdwa vcc, v1, v25 src0_sel:WORD_0 src1_sel:DWORD
	s_nop 1
	v_cndmask_b32_e32 v0, v0, v1, vcc
	v_accvgpr_write_b32 a16, v0
; %bb.367:                              ;   in Loop: Header=BB336_12 Depth=1
	s_or_b64 exec, exec, s[30:31]
	v_add_co_u32_e32 v20, vcc, 0x1000, v46
                                        ; implicit-def: $agpr17
	s_nop 1
	v_addc_co_u32_e32 v21, vcc, 0, v47, vcc
	flat_load_dword v20, v[20:21] offset:1536
	s_waitcnt vmcnt(0) lgkmcnt(0)
	v_and_b32_e32 v1, 0xff, v20
	v_cvt_f32_fp8_sdwa v1, v1 src0_sel:BYTE_0
	s_nop 0
	v_mul_f32_e32 v19, v6, v1
	v_and_b32_e32 v1, 0x7f800000, v19
	v_cmp_ne_u32_e32 vcc, s19, v1
	s_and_saveexec_b64 s[30:31], vcc
	s_xor_b64 vcc, exec, s[30:31]
; %bb.368:                              ;   in Loop: Header=BB336_12 Depth=1
	v_bfe_u32 v1, v19, 16, 1
	v_add3_u32 v0, v19, v1, s34
	v_accvgpr_write_b32 a17, v0
                                        ; implicit-def: $vgpr19
; %bb.369:                              ;   in Loop: Header=BB336_12 Depth=1
	s_andn2_saveexec_b64 s[30:31], vcc
; %bb.370:                              ;   in Loop: Header=BB336_12 Depth=1
	v_or_b32_e32 v1, 0x10000, v19
	v_cmp_eq_u32_sdwa vcc, v19, v25 src0_sel:WORD_0 src1_sel:DWORD
	s_nop 1
	v_cndmask_b32_e32 v0, v1, v19, vcc
	v_accvgpr_write_b32 a17, v0
; %bb.371:                              ;   in Loop: Header=BB336_12 Depth=1
	s_or_b64 exec, exec, s[30:31]
	v_bfe_u32 v19, v20, 8, 8
	v_cvt_f32_fp8_sdwa v19, v19 src0_sel:BYTE_0
                                        ; implicit-def: $vgpr9
	s_nop 0
	v_mul_f32_e32 v19, v6, v19
	v_and_b32_e32 v21, 0x7f800000, v19
	v_cmp_ne_u32_e32 vcc, s19, v21
	s_and_saveexec_b64 s[30:31], vcc
	s_xor_b64 vcc, exec, s[30:31]
; %bb.372:                              ;   in Loop: Header=BB336_12 Depth=1
	v_bfe_u32 v21, v19, 16, 1
	v_add3_u32 v9, v19, v21, s34
                                        ; implicit-def: $vgpr19
; %bb.373:                              ;   in Loop: Header=BB336_12 Depth=1
	s_andn2_saveexec_b64 s[30:31], vcc
; %bb.374:                              ;   in Loop: Header=BB336_12 Depth=1
	v_or_b32_e32 v21, 0x10000, v19
	v_cmp_eq_u32_sdwa vcc, v19, v25 src0_sel:WORD_0 src1_sel:DWORD
	s_nop 1
	v_cndmask_b32_e32 v9, v21, v19, vcc
; %bb.375:                              ;   in Loop: Header=BB336_12 Depth=1
	s_or_b64 exec, exec, s[30:31]
	v_bfe_u32 v19, v20, 16, 8
	v_cvt_f32_fp8_sdwa v19, v19 src0_sel:BYTE_0
	s_nop 0
	v_mul_f32_e32 v21, v6, v19
	v_and_b32_e32 v19, 0x7f800000, v21
	v_cmp_ne_u32_e32 vcc, s19, v19
                                        ; implicit-def: $vgpr19
	s_and_saveexec_b64 s[30:31], vcc
	s_xor_b64 vcc, exec, s[30:31]
; %bb.376:                              ;   in Loop: Header=BB336_12 Depth=1
	v_bfe_u32 v19, v21, 16, 1
	v_add3_u32 v19, v21, v19, s34
                                        ; implicit-def: $vgpr21
; %bb.377:                              ;   in Loop: Header=BB336_12 Depth=1
	s_andn2_saveexec_b64 s[30:31], vcc
; %bb.378:                              ;   in Loop: Header=BB336_12 Depth=1
	v_or_b32_e32 v19, 0x10000, v21
	v_cmp_eq_u32_sdwa vcc, v21, v25 src0_sel:WORD_0 src1_sel:DWORD
	s_nop 1
	v_cndmask_b32_e32 v19, v19, v21, vcc
; %bb.379:                              ;   in Loop: Header=BB336_12 Depth=1
	s_or_b64 exec, exec, s[30:31]
	v_lshrrev_b32_e32 v20, 24, v20
	v_cvt_f32_fp8_sdwa v20, v20 src0_sel:BYTE_0
                                        ; implicit-def: $vgpr62
	s_nop 0
	v_mul_f32_e32 v20, v6, v20
	v_and_b32_e32 v21, 0x7f800000, v20
	v_cmp_ne_u32_e32 vcc, s19, v21
	s_and_saveexec_b64 s[30:31], vcc
	s_xor_b64 vcc, exec, s[30:31]
; %bb.380:                              ;   in Loop: Header=BB336_12 Depth=1
	v_bfe_u32 v21, v20, 16, 1
	v_add3_u32 v62, v20, v21, s34
                                        ; implicit-def: $vgpr20
; %bb.381:                              ;   in Loop: Header=BB336_12 Depth=1
	s_andn2_saveexec_b64 s[30:31], vcc
; %bb.382:                              ;   in Loop: Header=BB336_12 Depth=1
	v_or_b32_e32 v21, 0x10000, v20
	v_cmp_eq_u32_sdwa vcc, v20, v25 src0_sel:WORD_0 src1_sel:DWORD
	s_nop 1
	v_cndmask_b32_e32 v62, v21, v20, vcc
; %bb.383:                              ;   in Loop: Header=BB336_12 Depth=1
	s_or_b64 exec, exec, s[30:31]
	v_lshl_add_u64 v[20:21], v[46:47], 0, s[28:29]
	flat_load_dword v45, v[20:21] offset:8
	s_waitcnt vmcnt(0) lgkmcnt(0)
	v_and_b32_e32 v20, 0xff, v45
	v_cvt_f32_fp8_sdwa v20, v20 src0_sel:BYTE_0
	s_nop 0
	v_mul_f32_e32 v20, v6, v20
	v_and_b32_e32 v21, 0x7f800000, v20
	v_cmp_ne_u32_e32 vcc, s19, v21
                                        ; implicit-def: $vgpr21
	s_and_saveexec_b64 s[30:31], vcc
	s_xor_b64 vcc, exec, s[30:31]
; %bb.384:                              ;   in Loop: Header=BB336_12 Depth=1
	v_bfe_u32 v21, v20, 16, 1
	v_add3_u32 v21, v20, v21, s34
                                        ; implicit-def: $vgpr20
; %bb.385:                              ;   in Loop: Header=BB336_12 Depth=1
	s_andn2_saveexec_b64 s[30:31], vcc
; %bb.386:                              ;   in Loop: Header=BB336_12 Depth=1
	v_or_b32_e32 v21, 0x10000, v20
	v_cmp_eq_u32_sdwa vcc, v20, v25 src0_sel:WORD_0 src1_sel:DWORD
	s_nop 1
	v_cndmask_b32_e32 v21, v21, v20, vcc
; %bb.387:                              ;   in Loop: Header=BB336_12 Depth=1
	s_or_b64 exec, exec, s[30:31]
	v_bfe_u32 v20, v45, 8, 8
	v_cvt_f32_fp8_sdwa v20, v20 src0_sel:BYTE_0
	s_nop 0
	v_mul_f32_e32 v46, v6, v20
	v_and_b32_e32 v20, 0x7f800000, v46
	v_cmp_ne_u32_e32 vcc, s19, v20
                                        ; implicit-def: $vgpr20
	s_and_saveexec_b64 s[30:31], vcc
	s_xor_b64 vcc, exec, s[30:31]
; %bb.388:                              ;   in Loop: Header=BB336_12 Depth=1
	v_bfe_u32 v20, v46, 16, 1
	v_add3_u32 v20, v46, v20, s34
                                        ; implicit-def: $vgpr46
; %bb.389:                              ;   in Loop: Header=BB336_12 Depth=1
	s_andn2_saveexec_b64 s[30:31], vcc
; %bb.390:                              ;   in Loop: Header=BB336_12 Depth=1
	v_or_b32_e32 v20, 0x10000, v46
	v_cmp_eq_u32_sdwa vcc, v46, v25 src0_sel:WORD_0 src1_sel:DWORD
	s_nop 1
	v_cndmask_b32_e32 v20, v20, v46, vcc
; %bb.391:                              ;   in Loop: Header=BB336_12 Depth=1
	s_or_b64 exec, exec, s[30:31]
	v_bfe_u32 v46, v45, 16, 8
	v_cvt_f32_fp8_sdwa v46, v46 src0_sel:BYTE_0
	s_nop 0
	v_mul_f32_e32 v47, v6, v46
	v_and_b32_e32 v46, 0x7f800000, v47
	v_cmp_ne_u32_e32 vcc, s19, v46
                                        ; implicit-def: $vgpr46
	s_and_saveexec_b64 s[30:31], vcc
	s_xor_b64 vcc, exec, s[30:31]
; %bb.392:                              ;   in Loop: Header=BB336_12 Depth=1
	v_bfe_u32 v46, v47, 16, 1
	v_add3_u32 v46, v47, v46, s34
                                        ; implicit-def: $vgpr47
; %bb.393:                              ;   in Loop: Header=BB336_12 Depth=1
	s_andn2_saveexec_b64 s[30:31], vcc
; %bb.394:                              ;   in Loop: Header=BB336_12 Depth=1
	v_or_b32_e32 v46, 0x10000, v47
	v_cmp_eq_u32_sdwa vcc, v47, v25 src0_sel:WORD_0 src1_sel:DWORD
	s_nop 1
	v_cndmask_b32_e32 v46, v46, v47, vcc
; %bb.395:                              ;   in Loop: Header=BB336_12 Depth=1
	s_or_b64 exec, exec, s[30:31]
	v_lshrrev_b32_e32 v45, 24, v45
	v_cvt_f32_fp8_sdwa v45, v45 src0_sel:BYTE_0
                                        ; implicit-def: $vgpr47
	s_nop 0
	v_mul_f32_e32 v6, v6, v45
	v_and_b32_e32 v45, 0x7f800000, v6
	v_cmp_ne_u32_e32 vcc, s19, v45
	s_and_saveexec_b64 s[30:31], vcc
	s_xor_b64 vcc, exec, s[30:31]
; %bb.396:                              ;   in Loop: Header=BB336_12 Depth=1
	v_bfe_u32 v45, v6, 16, 1
	v_add3_u32 v47, v6, v45, s34
                                        ; implicit-def: $vgpr6
; %bb.397:                              ;   in Loop: Header=BB336_12 Depth=1
	s_andn2_saveexec_b64 s[30:31], vcc
; %bb.398:                              ;   in Loop: Header=BB336_12 Depth=1
	v_or_b32_e32 v45, 0x10000, v6
	v_cmp_eq_u32_sdwa vcc, v6, v25 src0_sel:WORD_0 src1_sel:DWORD
	s_nop 1
	v_cndmask_b32_e32 v47, v45, v6, vcc
; %bb.399:                              ;   in Loop: Header=BB336_12 Depth=1
	s_or_b64 exec, exec, s[30:31]
	scratch_load_dwordx4 v[0:3], off, s32 offset:292 ; 16-byte Folded Reload
	v_lshlrev_b32_e32 v26, 16, v32
	v_and_b32_e32 v44, 0xffff0000, v32
	v_lshlrev_b32_e32 v6, 16, v50
	v_lshlrev_b32_e32 v45, 16, v48
	;; [unrolled: 1-line block ×3, first 2 shown]
	v_and_b32_e32 v10, 0xffff0000, v33
	v_and_b32_e32 v50, 0xffff0000, v50
	;; [unrolled: 1-line block ×3, first 2 shown]
	v_lshlrev_b32_e32 v17, 16, v51
	v_lshlrev_b32_e32 v23, 16, v49
	v_and_b32_e32 v51, 0xffff0000, v51
	v_lshlrev_b32_e32 v52, 16, v34
	v_and_b32_e32 v43, 0xffff0000, v34
	v_and_b32_e32 v49, 0xffff0000, v49
	v_lshlrev_b32_e32 v54, 16, v38
	v_and_b32_e32 v38, 0xffff0000, v38
	v_lshlrev_b32_e32 v55, 16, v39
	;; [unrolled: 2-line block ×9, first 2 shown]
	v_and_b32_e32 v18, 0xffff0000, v15
	s_waitcnt vmcnt(0)
	v_lshlrev_b32_e32 v37, 16, v0
	v_lshlrev_b32_e32 v42, 16, v1
	;; [unrolled: 1-line block ×4, first 2 shown]
	v_and_b32_e32 v60, 0xffff0000, v0
	v_and_b32_e32 v53, 0xffff0000, v1
	;; [unrolled: 1-line block ×4, first 2 shown]
	scratch_load_dwordx4 v[0:3], off, s32 offset:272 ; 16-byte Folded Reload
	s_waitcnt vmcnt(0)
	v_lshlrev_b32_e32 v28, 16, v0
	v_and_b32_e32 v30, 0xffff0000, v0
	scratch_load_dword v0, off, s32 offset:332 ; 4-byte Folded Reload
	v_lshlrev_b32_e32 v14, 16, v1
	v_and_b32_e32 v15, 0xffff0000, v1
	v_lshlrev_b32_e32 v13, 16, v2
	v_lshlrev_b32_e32 v12, 16, v3
	v_and_b32_e32 v1, 0xffff0000, v2
	v_and_b32_e32 v2, 0xffff0000, v3
	v_accvgpr_read_b32 v3, a43
	s_waitcnt vmcnt(0)
	v_and_b32_e32 v32, 0xffff0000, v0
	scratch_load_dword v0, off, s32 offset:288 ; 4-byte Folded Reload
	v_mul_f32_e32 v6, v6, v32
	s_waitcnt vmcnt(0)
	v_and_b32_e32 v32, 0xffff0000, v0
	scratch_load_dword v0, off, s32 offset:340 ; 4-byte Folded Reload
	v_fmac_f32_e32 v6, v45, v32
	v_and_b32_e32 v45, 0xffff0000, v9
	v_accvgpr_read_b32 v9, a26
	s_waitcnt vmcnt(0)
	v_and_b32_e32 v32, 0xffff0000, v0
	scratch_load_dword v0, off, s32 offset:308 ; 4-byte Folded Reload
	v_mul_f32_e32 v32, v50, v32
	s_waitcnt vmcnt(0)
	v_and_b32_e32 v33, 0xffff0000, v0
	scratch_load_dword v0, off, s32 offset:348 ; 4-byte Folded Reload
	v_fmac_f32_e32 v32, v48, v33
	s_waitcnt vmcnt(0)
	v_and_b32_e32 v33, 0xffff0000, v0
	scratch_load_dword v0, off, s32 offset:316 ; 4-byte Folded Reload
	v_mul_f32_e32 v33, v17, v33
	s_waitcnt vmcnt(0)
	v_and_b32_e32 v17, 0xffff0000, v0
	scratch_load_dword v0, off, s32 offset:352 ; 4-byte Folded Reload
	v_fmac_f32_e32 v33, v23, v17
	;; [unrolled: 8-line block ×3, first 2 shown]
	s_waitcnt vmcnt(0)
	v_and_b32_e32 v17, 0xffff0000, v0
	scratch_load_dword v0, off, s32 offset:360 ; 4-byte Folded Reload
	v_fmac_f32_e32 v6, v54, v17
	s_waitcnt vmcnt(0)
	v_and_b32_e32 v17, 0xffff0000, v0
	scratch_load_dword v0, off, s32 offset:364 ; 4-byte Folded Reload
	v_fmac_f32_e32 v32, v38, v17
	;; [unrolled: 4-line block ×6, first 2 shown]
	scratch_load_dword v40, off, s32 offset:256 ; 4-byte Folded Reload
	s_waitcnt vmcnt(1)
	v_and_b32_e32 v17, 0xffff0000, v0
	scratch_load_dword v0, off, s32 offset:384 ; 4-byte Folded Reload
	v_fmac_f32_e32 v33, v22, v17
	s_waitcnt vmcnt(0)
	v_and_b32_e32 v17, 0xffff0000, v0
	scratch_load_dword v0, off, s32 offset:388 ; 4-byte Folded Reload
	v_fmac_f32_e32 v34, v41, v17
	;; [unrolled: 4-line block ×10, first 2 shown]
	v_and_b32_e32 v35, 0xffff0000, v19
	s_waitcnt vmcnt(0)
	v_and_b32_e32 v7, 0xffff0000, v0
	scratch_load_dword v0, off, s32 offset:424 ; 4-byte Folded Reload
	v_fmac_f32_e32 v6, v11, v7
	s_waitcnt vmcnt(0)
	v_and_b32_e32 v7, 0xffff0000, v0
	scratch_load_dword v0, off, s32 offset:428 ; 4-byte Folded Reload
	v_fmac_f32_e32 v32, v5, v7
	;; [unrolled: 4-line block ×4, first 2 shown]
	s_waitcnt vmcnt(0)
	v_and_b32_e32 v5, 0xffff0000, v0
	v_accvgpr_read_b32 v0, a15
	v_fmac_f32_e32 v6, v16, v5
	v_and_b32_e32 v5, 0xffff0000, v0
	v_accvgpr_read_b32 v0, a14
	v_fmac_f32_e32 v32, v36, v5
	;; [unrolled: 3-line block ×7, first 2 shown]
	v_and_b32_e32 v4, 0xffff0000, v0
	v_accvgpr_read_b32 v0, a29
	v_and_b32_e32 v0, 0xffff0000, v0
	v_fmac_f32_e32 v6, v8, v0
	v_accvgpr_read_b32 v0, a25
	v_and_b32_e32 v0, 0xffff0000, v0
	v_fmac_f32_e32 v32, v59, v0
	;; [unrolled: 3-line block ×3, first 2 shown]
	v_accvgpr_read_b32 v0, a19
	v_fmac_f32_e32 v34, v53, v4
	v_and_b32_e32 v0, 0xffff0000, v0
	v_fmac_f32_e32 v34, v57, v0
	v_accvgpr_read_b32 v0, a28
	v_and_b32_e32 v0, 0xffff0000, v0
	v_fmac_f32_e32 v6, v28, v0
	v_accvgpr_read_b32 v0, a24
	;; [unrolled: 3-line block ×5, first 2 shown]
	v_and_b32_e32 v0, 0xffff0000, v0
	v_fmac_f32_e32 v6, v13, v0
	v_and_b32_e32 v13, 0xffff0000, v9
	v_accvgpr_read_b32 v9, a8
	v_and_b32_e32 v14, 0xffff0000, v9
	scratch_load_dword v9, off, s32 offset:264 ; 4-byte Folded Reload
	scratch_load_dword v60, off, s32 offset:232 ; 4-byte Folded Reload
	v_fmac_f32_e32 v33, v12, v13
	v_lshlrev_b32_e32 v12, 16, v40
	v_fmac_f32_e32 v34, v2, v14
	v_and_b32_e32 v2, 0xffff0000, v40
	scratch_load_dword v40, off, s32 offset:464 ; 4-byte Folded Reload
	v_accvgpr_read_b32 v0, a30
	v_and_b32_e32 v0, 0xffff0000, v0
	v_fmac_f32_e32 v32, v1, v0
	v_and_b32_e32 v0, 0xffff0000, v21
	v_accvgpr_write_b32 a0, v0
	v_and_b32_e32 v0, 0xffff0000, v62
	v_accvgpr_write_b32 a1, v0
	v_accvgpr_read_b32 v0, a17
	v_and_b32_e32 v21, 0xffff0000, v0
	v_accvgpr_read_b32 v0, a11
	v_and_b32_e32 v19, 0xffff0000, v0
	;; [unrolled: 2-line block ×3, first 2 shown]
	v_and_b32_e32 v20, 0xffff0000, v0
	v_accvgpr_read_b32 v0, a13
	v_and_b32_e32 v37, 0xffff0000, v0
	v_accvgpr_read_b32 v0, a7
	;; [unrolled: 2-line block ×18, first 2 shown]
	v_accvgpr_read_b32 v5, a22
	v_and_b32_e32 v53, 0xffff0000, v0
	v_accvgpr_read_b32 v0, a51
	v_and_b32_e32 v28, 0xffff0000, v3
	;; [unrolled: 2-line block ×3, first 2 shown]
	v_and_b32_e32 v17, 0xffff0000, v0
	v_accvgpr_read_b32 v0, a49
	v_and_b32_e32 v30, 0xffff0000, v3
	v_accvgpr_read_b32 v3, a36
	v_fmac_f32_e32 v6, v12, v5
	v_and_b32_e32 v54, 0xffff0000, v0
	v_accvgpr_read_b32 v0, a50
	v_and_b32_e32 v29, 0xffff0000, v3
	v_accvgpr_read_b32 v3, a38
	;; [unrolled: 2-line block ×4, first 2 shown]
	v_accvgpr_read_b32 v4, a6
	v_and_b32_e32 v41, 0xffff0000, v0
	v_accvgpr_read_b32 v0, a47
	v_and_b32_e32 v59, 0xffff0000, v3
	;; [unrolled: 2-line block ×3, first 2 shown]
	s_waitcnt vmcnt(1)
	ds_read_b128 v[12:15], v60 offset:102
	v_accvgpr_read_b32 v4, a9
	v_and_b32_e32 v43, 0xffff0000, v0
	v_accvgpr_read_b32 v0, a23
	v_and_b32_e32 v3, 0xffff0000, v3
	v_and_b32_e32 v4, 0xffff0000, v4
	v_lshlrev_b32_e32 v55, 16, v9
	v_and_b32_e32 v61, 0xffff0000, v0
	v_accvgpr_read_b32 v0, a46
	v_fmac_f32_e32 v32, v2, v4
	v_fmac_f32_e32 v33, v55, v3
	ds_read_b128 v[2:5], v60 offset:118
	s_waitcnt lgkmcnt(1)
	v_lshlrev_b32_e32 v55, 16, v12
	v_and_b32_e32 v58, 0xffff0000, v0
	v_accvgpr_read_b32 v0, a12
	v_fmac_f32_e32 v34, v55, v31
	s_waitcnt vmcnt(0)
	v_and_b32_e32 v55, 64, v40
	v_and_b32_e32 v12, 0xffff0000, v12
	;; [unrolled: 1-line block ×3, first 2 shown]
	v_accvgpr_read_b32 v0, a42
	v_xor_b32_e32 v31, 1, v40
	v_add_u32_e32 v55, 64, v55
	v_fmac_f32_e32 v6, v12, v59
	v_lshlrev_b32_e32 v12, 16, v13
	v_and_b32_e32 v27, 0xffff0000, v0
	v_accvgpr_read_b32 v0, a44
	v_cmp_lt_i32_e32 vcc, v31, v55
	v_fmac_f32_e32 v32, v12, v8
	v_and_b32_e32 v8, 0xffff0000, v13
	v_and_b32_e32 v44, 0xffff0000, v0
	v_accvgpr_read_b32 v0, a45
	v_cndmask_b32_e32 v31, v40, v31, vcc
	v_and_b32_e32 v42, 0xffff0000, v46
	v_lshlrev_b32_e32 v12, 16, v14
	v_fmac_f32_e32 v33, v8, v30
	v_and_b32_e32 v8, 0xffff0000, v14
	v_lshlrev_b32_e32 v46, 16, v15
	v_and_b32_e32 v0, 0xffff0000, v0
	v_lshlrev_b32_e32 v55, 2, v31
	v_fmac_f32_e32 v34, v12, v29
	v_fmac_f32_e32 v6, v8, v28
	v_and_b32_e32 v8, 0xffff0000, v15
	ds_read_b128 v[28:31], v60 offset:134
	ds_read_b128 v[12:15], v60 offset:150
	v_fmac_f32_e32 v32, v46, v36
	s_waitcnt lgkmcnt(2)
	v_lshlrev_b32_e32 v36, 16, v2
	v_fmac_f32_e32 v34, v36, v0
	v_and_b32_e32 v0, 0xffff0000, v2
	v_lshlrev_b32_e32 v2, 16, v3
	v_fmac_f32_e32 v32, v2, v62
	v_lshlrev_b32_e32 v2, 16, v4
	v_fmac_f32_e32 v34, v2, v58
	;; [unrolled: 2-line block ×3, first 2 shown]
	s_waitcnt lgkmcnt(1)
	v_lshlrev_b32_e32 v2, 16, v28
	v_fmac_f32_e32 v33, v8, v44
	v_fmac_f32_e32 v6, v0, v27
	v_and_b32_e32 v0, 0xffff0000, v3
	v_fmac_f32_e32 v34, v2, v23
	v_lshlrev_b32_e32 v2, 16, v29
	v_fmac_f32_e32 v33, v0, v61
	v_and_b32_e32 v0, 0xffff0000, v4
	v_fmac_f32_e32 v32, v2, v53
	v_lshlrev_b32_e32 v2, 16, v30
	;; [unrolled: 4-line block ×3, first 2 shown]
	v_fmac_f32_e32 v33, v0, v54
	v_and_b32_e32 v0, 0xffff0000, v28
	v_fmac_f32_e32 v32, v2, v26
	s_waitcnt lgkmcnt(0)
	v_lshlrev_b32_e32 v2, 16, v12
	v_fmac_f32_e32 v6, v0, v17
	v_and_b32_e32 v0, 0xffff0000, v29
	v_fmac_f32_e32 v34, v2, v7
	v_lshlrev_b32_e32 v2, 16, v13
	v_fmac_f32_e32 v33, v0, v52
	v_and_b32_e32 v0, 0xffff0000, v30
	v_fmac_f32_e32 v32, v2, v48
	;; [unrolled: 4-line block ×3, first 2 shown]
	ds_read_b128 v[2:5], v60 offset:166
	v_fmac_f32_e32 v33, v0, v50
	v_and_b32_e32 v0, 0xffff0000, v12
	v_fmac_f32_e32 v6, v0, v49
	v_and_b32_e32 v0, 0xffff0000, v13
	;; [unrolled: 2-line block ×3, first 2 shown]
	v_lshlrev_b32_e32 v7, 16, v15
	v_fmac_f32_e32 v6, v0, v11
	ds_read_b64 v[10:11], v60 offset:182
	v_and_b32_e32 v0, 0xffff0000, v15
	v_fmac_f32_e32 v32, v7, v38
	s_waitcnt lgkmcnt(1)
	v_lshlrev_b32_e32 v7, 16, v2
	v_fmac_f32_e32 v33, v0, v16
	v_and_b32_e32 v0, 0xffff0000, v2
	v_fmac_f32_e32 v34, v7, v1
	v_lshlrev_b32_e32 v1, 16, v3
	v_fmac_f32_e32 v6, v0, v18
	v_and_b32_e32 v0, 0xffff0000, v3
	v_fmac_f32_e32 v32, v1, v37
	;; [unrolled: 4-line block ×4, first 2 shown]
	s_waitcnt lgkmcnt(0)
	v_lshlrev_b32_e32 v1, 16, v10
	v_fmac_f32_e32 v33, v0, v35
	v_accvgpr_read_b32 v0, a1
	v_fmac_f32_e32 v34, v1, v0
	ds_read_u16 v1, v60 offset:190
	v_and_b32_e32 v0, 0xffff0000, v10
	v_lshlrev_b32_e32 v2, 16, v11
	v_accvgpr_read_b32 v3, a0
	v_fmac_f32_e32 v6, v0, v3
	v_fmac_f32_e32 v32, v2, v57
	v_and_b32_e32 v0, 0xffff0000, v11
	v_and_b32_e32 v40, 0xffff0000, v47
	s_waitcnt lgkmcnt(0)
	v_lshlrev_b32_e32 v1, 16, v1
	v_fmac_f32_e32 v33, v0, v42
	v_add_f32_e32 v0, v6, v32
	v_fmac_f32_e32 v34, v1, v40
	v_add_f32_e32 v0, v0, v33
	v_add_f32_e32 v0, v34, v0
	ds_bpermute_b32 v1, v55, v0
	s_and_saveexec_b64 s[30:31], s[2:3]
	s_cbranch_execz .LBB336_10
; %bb.400:                              ;   in Loop: Header=BB336_12 Depth=1
	scratch_load_dword v2, off, s32 offset:484 ; 4-byte Folded Reload
	scratch_load_dword v4, off, s32 offset:476 ; 4-byte Folded Reload
	s_waitcnt lgkmcnt(0)
	v_add_f32_e32 v0, v0, v1
	scratch_load_dword v1, off, s32 offset:480 ; 4-byte Folded Reload
	scratch_load_dword v3, off, s32 offset:488 ; 4-byte Folded Reload
	s_load_dword vcc_lo, s[12:13], 0x0
	s_waitcnt vmcnt(3)
	v_add_u32_e32 v2, v2, v56
	v_cvt_f32_i32_e32 v2, v2
	s_waitcnt vmcnt(2)
	v_mul_f32_e32 v2, v4, v2
	v_cndmask_b32_e64 v2, 0, v2, s[4:5]
	s_waitcnt vmcnt(1)
	v_fmac_f32_e32 v2, v0, v1
	scratch_load_dword v1, off, s32 offset:452 ; 4-byte Folded Reload
	scratch_load_dword v0, off, s32 offset:188 ; 4-byte Folded Reload
	s_waitcnt vmcnt(2)
	v_add_u32_e32 v3, v3, v56
	v_accvgpr_read_b32 v4, a31
	s_waitcnt lgkmcnt(0)
	v_add_u32_e32 v4, vcc_lo, v4
	s_waitcnt vmcnt(0)
	v_cmp_lt_i32_e32 vcc, v3, v0
	s_nop 1
	v_cndmask_b32_e32 v0, 0, v2, vcc
	ds_write_b32 v4, v0
	v_max_f32_e32 v0, v1, v1
	v_max_f32_e32 v0, v0, v2
	v_cndmask_b32_e32 v1, v1, v0, vcc
	scratch_store_dword off, v1, s32 offset:452 ; 4-byte Folded Spill
	s_branch .LBB336_10
.LBB336_401:
	s_or_b64 exec, exec, s[20:21]
	scratch_load_dword v26, off, s32 offset:552 ; 4-byte Folded Reload
	scratch_load_dwordx2 v[36:37], off, s32 offset:544 ; 8-byte Folded Reload
	scratch_load_dwordx2 v[16:17], off, s32 offset:536 ; 8-byte Folded Reload
	scratch_load_dword v17, off, s32 offset:524 ; 4-byte Folded Reload
	scratch_load_dwordx2 v[18:19], off, s32 offset:528 ; 8-byte Folded Reload
	scratch_load_dword v9, off, s32 offset:452 ; 4-byte Folded Reload
	v_mbcnt_lo_u32_b32 v6, -1, 0
.LBB336_402:
	s_or_b64 exec, exec, s[8:9]
	v_mbcnt_hi_u32_b32 v0, -1, v6
	v_and_b32_e32 v1, 64, v0
	v_add_u32_e32 v7, 64, v1
	v_xor_b32_e32 v1, 32, v0
	v_cmp_lt_i32_e32 vcc, v1, v7
	v_xor_b32_e32 v4, 16, v0
	s_waitcnt vmcnt(0)
	v_max_f32_e32 v3, v9, v9
	v_cndmask_b32_e32 v1, v0, v1, vcc
	v_lshlrev_b32_e32 v1, 2, v1
	ds_bpermute_b32 v2, v1, v9
	v_cmp_lt_i32_e32 vcc, v4, v7
	v_xor_b32_e32 v5, 8, v0
	v_xor_b32_e32 v6, 4, v0
	;; [unrolled: 1-line block ×3, first 2 shown]
	s_waitcnt lgkmcnt(0)
	v_max_f32_e32 v2, v2, v2
	v_max_f32_e32 v3, v3, v2
	v_cndmask_b32_e32 v2, v0, v4, vcc
	v_lshlrev_b32_e32 v2, 2, v2
	ds_bpermute_b32 v4, v2, v3
	v_cmp_lt_i32_e32 vcc, v5, v7
	s_lshr_b32 s17, s17, 16
	s_waitcnt lgkmcnt(0)
	v_max_f32_e32 v4, v4, v4
	v_max_f32_e32 v4, v3, v4
	v_cndmask_b32_e32 v3, v0, v5, vcc
	v_lshlrev_b32_e32 v3, 2, v3
	ds_bpermute_b32 v5, v3, v4
	v_cmp_lt_i32_e32 vcc, v6, v7
	s_waitcnt lgkmcnt(0)
	v_max_f32_e32 v5, v5, v5
	v_max_f32_e32 v5, v4, v5
	v_cndmask_b32_e32 v4, v0, v6, vcc
	v_lshlrev_b32_e32 v4, 2, v4
	ds_bpermute_b32 v6, v4, v5
	v_cmp_lt_i32_e32 vcc, v8, v7
	s_waitcnt lgkmcnt(0)
	v_max_f32_e32 v6, v6, v6
	v_max_f32_e32 v6, v5, v6
	v_cndmask_b32_e32 v5, v0, v8, vcc
	v_lshlrev_b32_e32 v21, 2, v5
	scratch_load_dword v5, off, s32 offset:440 ; 4-byte Folded Reload
	ds_bpermute_b32 v8, v21, v6
	s_waitcnt vmcnt(0)
	v_and_b32_e32 v23, 63, v5
	scratch_load_dword v5, off, s32 offset:192 ; 4-byte Folded Reload
	v_cmp_eq_u32_e32 vcc, 0, v23
	s_waitcnt vmcnt(0)
	v_lshlrev_b32_e32 v5, 2, v5
	s_and_saveexec_b64 s[2:3], vcc
	s_cbranch_execz .LBB336_404
; %bb.403:
	s_waitcnt lgkmcnt(0)
	v_max_f32_e32 v8, v8, v8
	v_max_f32_e32 v6, v6, v6
	;; [unrolled: 1-line block ×3, first 2 shown]
	ds_write_b32 v5, v6 offset:384
.LBB336_404:
	s_or_b64 exec, exec, s[2:3]
	v_cmp_gt_u32_e64 s[2:3], 2, v23
	s_waitcnt lgkmcnt(0)
	v_mov_b32_e32 v8, 0xff7fffff
	v_lshlrev_b32_e32 v6, 2, v23
	s_barrier
	s_and_saveexec_b64 s[4:5], s[2:3]
	s_cbranch_execz .LBB336_406
; %bb.405:
	ds_read_b32 v8, v6 offset:384
.LBB336_406:
	s_or_b64 exec, exec, s[4:5]
	v_xor_b32_e32 v9, 1, v0
	v_cmp_lt_i32_e64 s[4:5], v9, v7
	s_nop 1
	v_cndmask_b32_e64 v7, v0, v9, s[4:5]
	v_lshlrev_b32_e32 v24, 2, v7
	s_waitcnt lgkmcnt(0)
	ds_bpermute_b32 v7, v24, v8
	v_max_f32_e32 v8, v8, v8
	v_lshlrev_b32_e32 v0, 2, v0
	scratch_load_dword v9, off, s32 offset:188 ; 4-byte Folded Reload
	s_waitcnt lgkmcnt(0)
	v_max_f32_e32 v7, v7, v7
	v_max_f32_e32 v8, v8, v7
	v_and_b32_e32 v7, 0x100, v0
	scratch_load_dword v0, off, s32 offset:196 ; 4-byte Folded Reload
	ds_bpermute_b32 v8, v7, v8
	s_waitcnt vmcnt(0)
	v_lshlrev_b32_e32 v0, 5, v0
	v_min_i32_e32 v0, v0, v9
	scratch_load_dword v9, off, s32 offset:440 ; 4-byte Folded Reload
	s_waitcnt vmcnt(0)
	v_cmp_lt_i32_e64 s[4:5], v9, v0
	v_mov_b32_e32 v9, 0
	s_and_saveexec_b64 s[8:9], s[4:5]
	s_cbranch_execz .LBB336_410
; %bb.407:
	scratch_load_dword v11, off, s32 offset:440 ; 4-byte Folded Reload
	s_ashr_i32 s19, s18, 31
	s_lshl_b64 s[6:7], s[18:19], 2
	s_getpc_b64 s[12:13]
	s_add_u32 s12, s12, llvm.amdgcn.dynlds.offset.table@rel32@lo+4
	s_addc_u32 s13, s13, llvm.amdgcn.dynlds.offset.table@rel32@hi+12
	s_add_u32 s6, s6, s12
	s_addc_u32 s7, s7, s13
	s_load_dword s6, s[6:7], 0x0
	s_mov_b64 s[12:13], 0
	v_mov_b32_e32 v9, 0
	s_waitcnt vmcnt(0) lgkmcnt(0)
	v_lshl_add_u32 v10, v11, 2, s6
.LBB336_408:                            ; =>This Inner Loop Header: Depth=1
	ds_read_b32 v12, v10
	v_add_u32_e32 v11, 0x80, v11
	v_cmp_ge_i32_e64 s[6:7], v11, v0
	s_or_b64 s[12:13], s[6:7], s[12:13]
	s_waitcnt lgkmcnt(0)
	v_sub_f32_e32 v12, v12, v8
	v_mul_f32_e32 v12, 0x3fb8aa3b, v12
	v_exp_f32_e32 v12, v12
	ds_write_b32 v10, v12
	v_add_f32_e32 v9, v9, v12
	v_add_u32_e32 v10, 0x200, v10
	s_andn2_b64 exec, exec, s[12:13]
	s_cbranch_execnz .LBB336_408
; %bb.409:
	s_or_b64 exec, exec, s[12:13]
.LBB336_410:
	s_or_b64 exec, exec, s[8:9]
	ds_bpermute_b32 v1, v1, v9
	s_waitcnt lgkmcnt(0)
	v_add_f32_e32 v1, v9, v1
	ds_bpermute_b32 v2, v2, v1
	s_waitcnt lgkmcnt(0)
	v_add_f32_e32 v1, v1, v2
	;; [unrolled: 3-line block ×6, first 2 shown]
	s_and_saveexec_b64 s[6:7], vcc
	s_cbranch_execz .LBB336_412
; %bb.411:
	ds_write_b32 v5, v1 offset:392
.LBB336_412:
	s_or_b64 exec, exec, s[6:7]
	s_waitcnt lgkmcnt(0)
	s_barrier
	s_and_saveexec_b64 s[6:7], s[2:3]
	s_cbranch_execz .LBB336_414
; %bb.413:
	ds_read_b32 v1, v6 offset:392
.LBB336_414:
	s_or_b64 exec, exec, s[6:7]
	s_waitcnt lgkmcnt(0)
	ds_bpermute_b32 v2, v24, v1
	s_waitcnt lgkmcnt(0)
	v_add_f32_e32 v1, v1, v2
	ds_bpermute_b32 v1, v7, v1
	s_and_saveexec_b64 s[2:3], s[4:5]
	s_cbranch_execz .LBB336_427
; %bb.415:
	s_waitcnt lgkmcnt(0)
	v_add_f32_e32 v1, 0x358637bd, v1
	v_div_scale_f32 v2, s[4:5], v1, v1, 1.0
	v_rcp_f32_e32 v3, v2
	v_div_scale_f32 v4, vcc, 1.0, v1, 1.0
	s_movk_i32 s4, 0x7f
	v_fma_f32 v5, -v2, v3, 1.0
	v_fmac_f32_e32 v3, v5, v3
	v_mul_f32_e32 v5, v4, v3
	v_fma_f32 v6, -v2, v5, v4
	v_fmac_f32_e32 v5, v6, v3
	v_fma_f32 v2, -v2, v5, v4
	v_div_fmas_f32 v2, v2, v3, v5
	v_div_fixup_f32 v2, v2, v1, 1.0
	scratch_load_dword v1, off, s32 offset:440 ; 4-byte Folded Reload
	s_mov_b64 s[6:7], -1
	s_waitcnt vmcnt(0)
	v_xad_u32 v3, v1, -1, v0
	v_cmp_lt_u32_e32 vcc, s4, v3
	s_and_saveexec_b64 s[4:5], vcc
	s_cbranch_execz .LBB336_424
; %bb.416:
	v_lshrrev_b32_e32 v1, 7, v3
	v_add_u32_e32 v5, -1, v1
	v_lshrrev_b32_e32 v4, 1, v5
	v_mov_b32_e32 v3, v2
	v_add_u32_e32 v4, 1, v4
	v_cmp_lt_u32_e32 vcc, 13, v5
	v_mov_b32_e32 v7, 0
	s_and_saveexec_b64 s[6:7], vcc
	s_cbranch_execz .LBB336_420
; %bb.417:
	scratch_load_dword v6, off, s32 offset:440 ; 4-byte Folded Reload
	s_ashr_i32 s19, s18, 31
	s_lshl_b64 s[8:9], s[18:19], 2
	s_getpc_b64 s[12:13]
	s_add_u32 s12, s12, llvm.amdgcn.dynlds.offset.table@rel32@lo+4
	s_addc_u32 s13, s13, llvm.amdgcn.dynlds.offset.table@rel32@hi+12
	s_add_u32 s8, s8, s12
	s_addc_u32 s9, s9, s13
	s_load_dword s8, s[8:9], 0x0
	v_and_b32_e32 v5, -8, v4
	s_mov_b32 s12, 0
	s_waitcnt vmcnt(0) lgkmcnt(0)
	v_lshl_add_u32 v6, v6, 2, s8
	s_mov_b64 s[8:9], 0
.LBB336_418:                            ; =>This Inner Loop Header: Depth=1
	ds_read2st64_b32 v[8:9], v6 offset1:2
	ds_read2st64_b32 v[10:11], v6 offset0:4 offset1:6
	ds_read2st64_b32 v[12:13], v6 offset0:8 offset1:10
	;; [unrolled: 1-line block ×3, first 2 shown]
	v_add_u32_e32 v5, -8, v5
	s_waitcnt lgkmcnt(3)
	v_pk_mul_f32 v[8:9], v[2:3], v[8:9]
	s_waitcnt lgkmcnt(2)
	v_pk_mul_f32 v[10:11], v[2:3], v[10:11]
	ds_write2st64_b32 v6, v8, v9 offset1:2
	ds_write2st64_b32 v6, v10, v11 offset0:4 offset1:6
	ds_read2st64_b32 v[10:11], v6 offset0:16 offset1:18
	s_waitcnt lgkmcnt(4)
	v_pk_mul_f32 v[8:9], v[2:3], v[12:13]
	ds_write2st64_b32 v6, v8, v9 offset0:8 offset1:10
	s_waitcnt lgkmcnt(4)
	v_pk_mul_f32 v[8:9], v[2:3], v[14:15]
	ds_write2st64_b32 v6, v8, v9 offset0:12 offset1:14
	ds_read2st64_b32 v[8:9], v6 offset0:20 offset1:22
	s_waitcnt lgkmcnt(3)
	v_pk_mul_f32 v[10:11], v[2:3], v[10:11]
	ds_read2st64_b32 v[12:13], v6 offset0:24 offset1:26
	ds_write2st64_b32 v6, v10, v11 offset0:16 offset1:18
	ds_read2st64_b32 v[10:11], v6 offset0:28 offset1:30
	s_waitcnt lgkmcnt(3)
	v_pk_mul_f32 v[8:9], v[2:3], v[8:9]
	ds_write2st64_b32 v6, v8, v9 offset0:20 offset1:22
	s_waitcnt lgkmcnt(3)
	v_pk_mul_f32 v[8:9], v[2:3], v[12:13]
	ds_write2st64_b32 v6, v8, v9 offset0:24 offset1:26
	s_waitcnt lgkmcnt(2)
	v_pk_mul_f32 v[8:9], v[2:3], v[10:11]
	s_add_i32 s12, s12, 16
	v_cmp_eq_u32_e32 vcc, 0, v5
	ds_write2st64_b32 v6, v8, v9 offset0:28 offset1:30
	v_add_u32_e32 v6, 0x2000, v6
	s_or_b64 s[8:9], vcc, s[8:9]
	v_mov_b32_e32 v7, s12
	s_andn2_b64 exec, exec, s[8:9]
	s_cbranch_execnz .LBB336_418
; %bb.419:
	s_or_b64 exec, exec, s[8:9]
.LBB336_420:
	s_or_b64 exec, exec, s[6:7]
	v_and_b32_e32 v4, 7, v4
	v_cmp_ne_u32_e32 vcc, 0, v4
	s_and_saveexec_b64 s[6:7], vcc
	s_cbranch_execz .LBB336_423
; %bb.421:
	scratch_load_dword v6, off, s32 offset:440 ; 4-byte Folded Reload
	s_ashr_i32 s19, s18, 31
	s_lshl_b64 s[8:9], s[18:19], 2
	s_getpc_b64 s[12:13]
	s_add_u32 s12, s12, llvm.amdgcn.dynlds.offset.table@rel32@lo+4
	s_addc_u32 s13, s13, llvm.amdgcn.dynlds.offset.table@rel32@hi+12
	s_add_u32 s8, s8, s12
	s_addc_u32 s9, s9, s13
	s_load_dword s8, s[8:9], 0x0
	v_lshlrev_b32_e32 v5, 9, v7
	s_waitcnt vmcnt(0)
	v_lshlrev_b32_e32 v6, 2, v6
	s_waitcnt lgkmcnt(0)
	v_add3_u32 v5, v5, v6, s8
	s_mov_b64 s[8:9], 0
.LBB336_422:                            ; =>This Inner Loop Header: Depth=1
	ds_read2st64_b32 v[6:7], v5 offset1:2
	v_add_u32_e32 v4, -1, v4
	v_cmp_eq_u32_e32 vcc, 0, v4
	s_or_b64 s[8:9], vcc, s[8:9]
	s_waitcnt lgkmcnt(0)
	v_pk_mul_f32 v[6:7], v[2:3], v[6:7]
	ds_write2st64_b32 v5, v6, v7 offset1:2
	v_add_u32_e32 v5, 0x400, v5
	s_andn2_b64 exec, exec, s[8:9]
	s_cbranch_execnz .LBB336_422
.LBB336_423:
	s_or_b64 exec, exec, s[6:7]
	v_add_u32_e32 v3, 1, v1
	scratch_load_dword v1, off, s32 offset:440 ; 4-byte Folded Reload
	v_and_b32_e32 v4, 0x3fffffe, v3
	v_cmp_ne_u32_e32 vcc, v3, v4
	s_orn2_b64 s[6:7], vcc, exec
	s_waitcnt vmcnt(0)
	v_lshl_add_u32 v1, v4, 7, v1
.LBB336_424:
	s_or_b64 exec, exec, s[4:5]
	s_and_b64 exec, exec, s[6:7]
	s_cbranch_execz .LBB336_427
; %bb.425:
	s_ashr_i32 s19, s18, 31
	s_lshl_b64 s[4:5], s[18:19], 2
	s_getpc_b64 s[6:7]
	s_add_u32 s6, s6, llvm.amdgcn.dynlds.offset.table@rel32@lo+4
	s_addc_u32 s7, s7, llvm.amdgcn.dynlds.offset.table@rel32@hi+12
	s_add_u32 s4, s4, s6
	s_addc_u32 s5, s5, s7
	s_load_dword s4, s[4:5], 0x0
	s_waitcnt lgkmcnt(0)
	v_lshl_add_u32 v3, v1, 2, s4
	s_mov_b64 s[4:5], 0
.LBB336_426:                            ; =>This Inner Loop Header: Depth=1
	ds_read_b32 v4, v3
	v_add_u32_e32 v1, 0x80, v1
	v_cmp_ge_i32_e32 vcc, v1, v0
	s_or_b64 s[4:5], vcc, s[4:5]
	s_waitcnt lgkmcnt(0)
	v_mul_f32_e32 v4, v2, v4
	ds_write_b32 v3, v4
	v_add_u32_e32 v3, 0x200, v3
	s_andn2_b64 exec, exec, s[4:5]
	s_cbranch_execnz .LBB336_426
.LBB336_427:
	s_or_b64 exec, exec, s[2:3]
	s_waitcnt lgkmcnt(0)
	s_barrier
	scratch_load_dword v0, off, s32 offset:440 ; 4-byte Folded Reload
	v_mov_b32_e32 v34, 0
	v_mov_b32_e32 v35, 0
	;; [unrolled: 1-line block ×12, first 2 shown]
	s_waitcnt vmcnt(0)
	v_and_b32_e32 v22, 3, v0
	s_and_saveexec_b64 s[2:3], s[0:1]
	s_cbranch_execz .LBB336_1257
; %bb.428:
	v_and_b32_e32 v0, 24, v16
	scratch_store_dword off, v24, s32 offset:352 ; 4-byte Folded Spill
	scratch_store_dword off, v21, s32 offset:348 ; 4-byte Folded Spill
	scratch_store_dword off, v23, s32 offset:356 ; 4-byte Folded Spill
	scratch_store_dword off, v0, s32 offset:288 ; 4-byte Folded Spill
	v_lshl_add_u64 v[0:1], v[36:37], 0, v[18:19]
	scratch_store_dwordx2 off, v[0:1], s32 offset:308 ; 8-byte Folded Spill
	scratch_load_dword v0, off, s32 offset:196 ; 4-byte Folded Reload
	v_max_i32_e32 v52, v26, v17
	v_sub_u32_e32 v1, 0, v52
	v_and_b32_e32 v32, 0x1f8, v16
	v_mov_b32_e32 v33, 0
	v_or_b32_e32 v2, 0x1000, v32
	v_mov_b32_e32 v3, v33
	scratch_store_dwordx2 off, v[2:3], s32 offset:316 ; 8-byte Folded Spill
	v_or_b32_e32 v2, 0x1200, v32
	scratch_store_dwordx2 off, v[2:3], s32 offset:324 ; 8-byte Folded Spill
	v_or_b32_e32 v2, 0x1400, v32
	;; [unrolled: 2-line block ×3, first 2 shown]
	scratch_store_dwordx2 off, v[2:3], s32 offset:340 ; 8-byte Folded Spill
	scratch_store_dword off, v22, s32 offset:360 ; 4-byte Folded Spill
	s_ashr_i32 s19, s18, 31
	s_lshl_b64 s[0:1], s[18:19], 2
	s_getpc_b64 s[4:5]
	s_add_u32 s4, s4, llvm.amdgcn.dynlds.offset.table@rel32@lo+4
	s_addc_u32 s5, s5, llvm.amdgcn.dynlds.offset.table@rel32@hi+12
	s_add_u32 s4, s0, s4
	s_addc_u32 s5, s1, s5
	s_mov_b64 s[6:7], 0
	s_mov_b32 s19, 0x7f800000
	s_movk_i32 s20, 0x7fff
	v_mov_b32_e32 v29, v33
	v_mov_b32_e32 v28, v33
	;; [unrolled: 1-line block ×4, first 2 shown]
	scratch_load_dwordx2 v[2:3], off, s32 offset:492 ; 8-byte Folded Reload
	s_waitcnt vmcnt(6)
	v_add_u32_e32 v0, -1, v0
	scratch_store_dword off, v0, s32 offset:292 ; 4-byte Folded Spill
	v_cvt_f32_u32_e32 v0, v52
	v_rcp_iflag_f32_e32 v0, v0
	s_nop 0
	v_mul_f32_e32 v0, 0x4f7ffffe, v0
	v_cvt_u32_f32_e32 v0, v0
	v_mul_lo_u32 v1, v1, v0
	v_mul_hi_u32 v1, v0, v1
	v_add_u32_e32 v0, v0, v1
	scratch_store_dwordx2 off, v[0:1], s32 offset:264 ; 8-byte Folded Spill
	scratch_load_dword v1, off, s32 offset:192 ; 4-byte Folded Reload
	v_lshlrev_b32_e32 v0, 5, v22
	s_waitcnt vmcnt(0)
	v_lshl_or_b32 v41, v1, 7, v0
	scratch_load_dword v0, off, s32 offset:500 ; 4-byte Folded Reload
	v_mov_b32_e32 v1, v33
	s_waitcnt vmcnt(0)
	v_and_b32_e32 v0, 60, v0
	v_lshl_add_u64 v[0:1], v[2:3], 2, v[0:1]
	scratch_load_dwordx2 v[2:3], off, s32 offset:504 ; 8-byte Folded Reload
	s_waitcnt vmcnt(0)
	v_lshl_add_u64 v[10:11], v[2:3], 0, v[0:1]
	v_mov_b32_e32 v1, v33
	v_mov_b32_e32 v0, v33
	scratch_store_dwordx2 off, v[0:1], s32 offset:256 ; 8-byte Folded Spill
	scratch_store_dwordx2 off, v[0:1], s32 offset:232 ; 8-byte Folded Spill
	;; [unrolled: 1-line block ×4, first 2 shown]
	scratch_load_dword v2, off, s32 offset:512 ; 4-byte Folded Reload
	s_branch .LBB336_431
.LBB336_429:                            ;   in Loop: Header=BB336_431 Depth=1
	s_or_b64 exec, exec, s[0:1]
	v_and_b32_e32 v5, 0xffff0000, v5
	v_and_b32_e32 v4, 0xffff0000, v4
	v_add_f32_e32 v4, v4, v5
	v_and_b32_e32 v5, 0xffff0000, v59
	v_and_b32_e32 v8, 0xffff0000, v16
	v_add_f32_e32 v5, v8, v5
	v_add_f32_e32 v4, v4, v5
	v_and_b32_e32 v5, 0xffff0000, v13
	v_and_b32_e32 v8, 0xffff0000, v12
	v_add_f32_e32 v5, v8, v5
	v_add_f32_e32 v4, v4, v5
	v_and_b32_e32 v5, 0xffff0000, v14
	v_and_b32_e32 v8, 0xffff0000, v15
	scratch_load_dwordx2 v[14:15], off, s32 offset:256 ; 8-byte Folded Reload
	v_add_f32_e32 v5, v5, v8
	v_add_f32_e32 v4, v4, v5
	v_and_b32_e32 v5, 0xffff0000, v43
	v_and_b32_e32 v8, 0xffff0000, v22
	;; [unrolled: 1-line block ×4, first 2 shown]
	v_accvgpr_read_b32 v12, a7
	v_and_b32_e32 v12, 0xffff0000, v12
	v_and_b32_e32 v3, 0xffff0000, v3
	s_waitcnt vmcnt(0)
	v_add_f32_e32 v14, v14, v4
	v_and_b32_e32 v4, 0xffff0000, v23
	v_add_f32_e32 v4, v5, v4
	v_and_b32_e32 v5, 0xffff0000, v58
	v_add_f32_e32 v5, v8, v5
	v_add_f32_e32 v4, v4, v5
	v_and_b32_e32 v5, 0xffff0000, v7
	v_add_f32_e32 v5, v6, v5
	v_add_f32_e32 v4, v4, v5
	v_and_b32_e32 v5, 0xffff0000, v18
	v_and_b32_e32 v6, 0xffff0000, v17
	v_add_f32_e32 v5, v5, v6
	scratch_load_dwordx2 v[6:7], off, s32 offset:232 ; 8-byte Folded Reload
	scratch_load_dwordx2 v[16:17], off, s32 offset:248 ; 8-byte Folded Reload
	v_add_f32_e32 v4, v4, v5
	v_and_b32_e32 v5, 0xffff0000, v53
	v_accvgpr_read_b32 v8, a31
	v_and_b32_e32 v8, 0xffff0000, v8
	s_waitcnt vmcnt(1)
	v_add_f32_e32 v7, v7, v4
	v_and_b32_e32 v4, 0xffff0000, v48
	v_add_f32_e32 v4, v5, v4
	v_and_b32_e32 v5, 0xffff0000, v49
	v_add_f32_e32 v0, v5, v0
	v_add_f32_e32 v0, v4, v0
	v_and_b32_e32 v4, 0xffff0000, v45
	v_and_b32_e32 v5, 0xffff0000, v61
	v_add_f32_e32 v4, v5, v4
	v_add_f32_e32 v0, v0, v4
	v_and_b32_e32 v4, 0xffff0000, v40
	v_and_b32_e32 v5, 0xffff0000, v56
	v_add_f32_e32 v4, v4, v5
	v_add_f32_e32 v0, v0, v4
	;; [unrolled: 1-line block ×3, first 2 shown]
	scratch_store_dwordx2 off, v[6:7], s32 offset:232 ; 8-byte Folded Spill
	scratch_load_dwordx2 v[6:7], off, s32 offset:240 ; 8-byte Folded Reload
	v_and_b32_e32 v0, 0xffff0000, v55
	v_and_b32_e32 v4, 0xffff0000, v54
	v_add_f32_e32 v0, v4, v0
	v_and_b32_e32 v4, 0xffff0000, v47
	v_and_b32_e32 v5, 0xffff0000, v46
	v_add_f32_e32 v4, v5, v4
	v_add_f32_e32 v0, v0, v4
	v_and_b32_e32 v4, 0xffff0000, v60
	v_and_b32_e32 v5, 0xffff0000, v62
	v_add_f32_e32 v4, v5, v4
	;; [unrolled: 4-line block ×3, first 2 shown]
	v_add_f32_e32 v0, v0, v4
	v_and_b32_e32 v4, 0xffff0000, v57
	v_accvgpr_read_b32 v5, a24
	v_and_b32_e32 v5, 0xffff0000, v5
	s_waitcnt vmcnt(0)
	v_add_f32_e32 v7, v7, v0
	v_accvgpr_read_b32 v0, a23
	v_and_b32_e32 v0, 0xffff0000, v0
	v_add_f32_e32 v0, v4, v0
	v_accvgpr_read_b32 v4, a25
	v_and_b32_e32 v4, 0xffff0000, v4
	v_add_f32_e32 v4, v5, v4
	v_add_f32_e32 v0, v0, v4
	v_accvgpr_read_b32 v4, a19
	v_accvgpr_read_b32 v5, a18
	v_and_b32_e32 v4, 0xffff0000, v4
	v_and_b32_e32 v5, 0xffff0000, v5
	v_add_f32_e32 v4, v5, v4
	v_add_f32_e32 v0, v0, v4
	v_accvgpr_read_b32 v4, a39
	v_and_b32_e32 v4, 0xffff0000, v4
	v_and_b32_e32 v5, 0xffff0000, v9
	v_add_f32_e32 v4, v4, v5
	v_add_f32_e32 v0, v0, v4
	;; [unrolled: 1-line block ×3, first 2 shown]
	v_accvgpr_read_b32 v0, a6
	v_accvgpr_read_b32 v4, a12
	v_and_b32_e32 v0, 0xffff0000, v0
	v_and_b32_e32 v4, 0xffff0000, v4
	v_add_f32_e32 v0, v4, v0
	v_accvgpr_read_b32 v4, a9
	v_accvgpr_read_b32 v5, a3
	v_and_b32_e32 v4, 0xffff0000, v4
	v_and_b32_e32 v5, 0xffff0000, v5
	v_add_f32_e32 v4, v5, v4
	v_add_f32_e32 v0, v0, v4
	v_accvgpr_read_b32 v4, a38
	v_accvgpr_read_b32 v5, a10
	v_and_b32_e32 v4, 0xffff0000, v4
	v_and_b32_e32 v5, 0xffff0000, v5
	v_add_f32_e32 v4, v5, v4
	;; [unrolled: 6-line block ×3, first 2 shown]
	scratch_store_dwordx2 off, v[6:7], s32 offset:240 ; 8-byte Folded Spill
	v_add_f32_e32 v0, v0, v4
	v_accvgpr_read_b32 v5, a34
	v_accvgpr_read_b32 v6, a33
	;; [unrolled: 1-line block ×3, first 2 shown]
	v_add_f32_e32 v17, v17, v0
	v_accvgpr_read_b32 v0, a36
	v_accvgpr_read_b32 v4, a35
	v_and_b32_e32 v5, 0xffff0000, v5
	v_and_b32_e32 v6, 0xffff0000, v6
	;; [unrolled: 1-line block ×5, first 2 shown]
	v_accvgpr_read_b32 v9, a37
	v_add_f32_e32 v7, v8, v7
	v_add_f32_e32 v5, v6, v5
	v_and_b32_e32 v9, 0xffff0000, v9
	v_add_f32_e32 v5, v7, v5
	v_add_f32_e32 v0, v4, v0
	;; [unrolled: 1-line block ×5, first 2 shown]
	v_accvgpr_read_b32 v5, a4
	v_accvgpr_read_b32 v6, a27
	v_accvgpr_read_b32 v7, a26
	v_accvgpr_read_b32 v8, a2
	v_add_f32_e32 v16, v16, v0
	v_accvgpr_read_b32 v0, a28
	v_accvgpr_read_b32 v4, a5
	v_and_b32_e32 v5, 0xffff0000, v5
	v_and_b32_e32 v6, 0xffff0000, v6
	;; [unrolled: 1-line block ×6, first 2 shown]
	v_add_f32_e32 v7, v8, v7
	v_add_f32_e32 v5, v6, v5
	;; [unrolled: 1-line block ×5, first 2 shown]
	v_accvgpr_read_b32 v5, a17
	v_accvgpr_read_b32 v6, a16
	;; [unrolled: 1-line block ×4, first 2 shown]
	v_and_b32_e32 v5, 0xffff0000, v5
	v_and_b32_e32 v6, 0xffff0000, v6
	;; [unrolled: 1-line block ×4, first 2 shown]
	v_add_f32_e32 v7, v8, v7
	v_add_f32_e32 v5, v6, v5
	;; [unrolled: 1-line block ×3, first 2 shown]
	v_accvgpr_read_b32 v7, a55
	v_accvgpr_read_b32 v8, a54
	v_and_b32_e32 v7, 0xffff0000, v7
	v_and_b32_e32 v8, 0xffff0000, v8
	v_add_f32_e32 v7, v8, v7
	scratch_load_dword v8, off, s32 offset:272 ; 4-byte Folded Reload
	v_accvgpr_read_b32 v9, a29
	v_accvgpr_read_b32 v12, a30
	v_and_b32_e32 v9, 0xffff0000, v9
	v_and_b32_e32 v12, 0xffff0000, v12
	v_add_f32_e32 v4, v9, v12
	v_add_f32_e32 v0, v0, v4
	;; [unrolled: 1-line block ×3, first 2 shown]
	v_accvgpr_read_b32 v0, a14
	v_accvgpr_read_b32 v4, a15
	v_and_b32_e32 v0, 0xffff0000, v0
	v_and_b32_e32 v4, 0xffff0000, v4
	v_accvgpr_read_b32 v9, a0
	v_accvgpr_read_b32 v12, a1
	v_and_b32_e32 v9, 0xffff0000, v9
	v_and_b32_e32 v12, 0xffff0000, v12
	v_add_f32_e32 v0, v4, v0
	v_add_f32_e32 v0, v5, v0
	;; [unrolled: 1-line block ×4, first 2 shown]
	v_accvgpr_read_b32 v5, a57
	v_accvgpr_read_b32 v6, a56
	v_add_f32_e32 v28, v28, v0
	v_accvgpr_read_b32 v0, a59
	v_accvgpr_read_b32 v4, a58
	v_and_b32_e32 v5, 0xffff0000, v5
	v_and_b32_e32 v6, 0xffff0000, v6
	;; [unrolled: 1-line block ×4, first 2 shown]
	v_accvgpr_read_b32 v9, a60
	v_accvgpr_read_b32 v12, a61
	v_add_f32_e32 v5, v6, v5
	v_and_b32_e32 v9, 0xffff0000, v9
	v_and_b32_e32 v12, 0xffff0000, v12
	v_add_f32_e32 v5, v7, v5
	v_add_f32_e32 v0, v4, v0
	;; [unrolled: 1-line block ×5, first 2 shown]
	v_accvgpr_read_b32 v5, a42
	v_accvgpr_read_b32 v6, a41
	;; [unrolled: 1-line block ×3, first 2 shown]
	v_add_f32_e32 v35, v35, v0
	v_accvgpr_read_b32 v0, a44
	v_accvgpr_read_b32 v4, a43
	v_and_b32_e32 v5, 0xffff0000, v5
	v_and_b32_e32 v6, 0xffff0000, v6
	;; [unrolled: 1-line block ×5, first 2 shown]
	v_accvgpr_read_b32 v9, a45
	v_accvgpr_read_b32 v12, a46
	v_add_f32_e32 v5, v6, v5
	v_and_b32_e32 v9, 0xffff0000, v9
	v_and_b32_e32 v12, 0xffff0000, v12
	v_add_f32_e32 v0, v4, v0
	v_add_f32_e32 v4, v9, v12
	v_and_b32_e32 v9, 0xffff0000, v19
	v_and_b32_e32 v6, 0xffff0000, v26
	scratch_store_dwordx2 off, v[16:17], s32 offset:248 ; 8-byte Folded Spill
	s_waitcnt vmcnt(1)
	v_and_b32_e32 v8, 0xffff0000, v8
	v_add_f32_e32 v7, v8, v7
	v_add_f32_e32 v5, v7, v5
	;; [unrolled: 1-line block ×4, first 2 shown]
	v_and_b32_e32 v8, 0xffff0000, v2
	v_and_b32_e32 v2, 0xffff0000, v1
	v_add_f32_e32 v34, v34, v0
	v_and_b32_e32 v5, 0xffff0000, v31
	v_and_b32_e32 v4, 0xffff0000, v27
	;; [unrolled: 1-line block ×3, first 2 shown]
	v_pk_add_f32 v[0:1], v[2:3], v[8:9]
	v_pk_add_f32 v[2:3], v[6:7], v[4:5]
	v_add_f32_e32 v0, v0, v1
	v_add_f32_e32 v0, v0, v2
	;; [unrolled: 1-line block ×4, first 2 shown]
	scratch_store_dwordx2 off, v[14:15], s32 offset:256 ; 8-byte Folded Spill
.LBB336_430:                            ;   in Loop: Header=BB336_431 Depth=1
	s_or_b64 exec, exec, s[8:9]
	scratch_load_dword v1, off, s32 offset:192 ; 4-byte Folded Reload
	scratch_load_dword v0, off, s32 offset:196 ; 4-byte Folded Reload
	v_accvgpr_read_b32 v2, a13
	v_add_u32_e32 v2, 64, v2
	v_add_u32_e32 v41, 0x100, v41
	v_lshl_add_u64 v[10:11], v[10:11], 0, 8
	s_waitcnt vmcnt(1)
	v_add_u32_e32 v1, 2, v1
	s_waitcnt vmcnt(0)
	v_cmp_ge_i32_e32 vcc, v1, v0
	s_or_b64 s[6:7], vcc, s[6:7]
	scratch_store_dword off, v1, s32 offset:192 ; 4-byte Folded Spill
	s_andn2_b64 exec, exec, s[6:7]
	s_cbranch_execz .LBB336_1256
.LBB336_431:                            ; =>This Inner Loop Header: Depth=1
	scratch_load_dword v0, off, s32 offset:216 ; 4-byte Folded Reload
	scratch_load_dword v3, off, s32 offset:200 ; 4-byte Folded Reload
	s_waitcnt vmcnt(2)
	v_accvgpr_write_b32 a13, v2
	scratch_load_dwordx2 v[4:5], off, s32 offset:264 ; 8-byte Folded Reload
	s_waitcnt vmcnt(2)
	v_mul_hi_u32 v0, v2, v0
	s_waitcnt vmcnt(1)
	v_mul_lo_u32 v1, v0, v3
	v_sub_u32_e32 v1, v2, v1
	v_add_u32_e32 v2, 1, v0
	v_cmp_ge_u32_e32 vcc, v1, v3
	s_nop 1
	v_cndmask_b32_e32 v0, v0, v2, vcc
	v_sub_u32_e32 v2, v1, v3
	v_cndmask_b32_e32 v1, v1, v2, vcc
	v_cmp_ge_u32_e32 vcc, v1, v3
	scratch_load_dword v1, off, s32 offset:204 ; 4-byte Folded Reload
	v_add_u32_e32 v2, 1, v0
	v_cndmask_b32_e32 v0, v0, v2, vcc
	scratch_load_dwordx2 v[2:3], off, s32 offset:208 ; 8-byte Folded Reload
	s_waitcnt vmcnt(1)
	v_xor_b32_e32 v0, v0, v1
	v_sub_u32_e32 v0, v0, v1
	s_waitcnt vmcnt(0)
	v_add_u32_e32 v1, v0, v2
	v_sub_u32_e32 v3, 0, v1
	v_ashrrev_i32_e32 v2, 31, v1
	v_max_i32_e32 v1, v1, v3
	v_mul_hi_u32 v3, v1, v4
	v_mul_lo_u32 v3, v3, v52
	v_sub_u32_e32 v1, v1, v3
	v_sub_u32_e32 v3, v1, v52
	v_cmp_ge_u32_e32 vcc, v1, v52
	s_nop 1
	v_cndmask_b32_e32 v1, v1, v3, vcc
	v_sub_u32_e32 v3, v1, v52
	v_cmp_ge_u32_e32 vcc, v1, v52
	s_nop 1
	v_cndmask_b32_e32 v1, v1, v3, vcc
	v_xor_b32_e32 v1, v1, v2
	v_sub_u32_e32 v1, v1, v2
	v_cmp_eq_u32_e32 vcc, 0, v1
	scratch_load_dword v1, off, s32 offset:220 ; 4-byte Folded Reload
	s_waitcnt vmcnt(0)
	v_cmp_gt_i32_e64 s[0:1], v0, v1
	s_or_b64 s[0:1], vcc, s[0:1]
	s_and_saveexec_b64 s[8:9], s[0:1]
	s_cbranch_execz .LBB336_430
; %bb.432:                              ;   in Loop: Header=BB336_431 Depth=1
	flat_load_dword v1, v[10:11]
	s_load_dword s0, s[4:5], 0x0
                                        ; implicit-def: $vgpr16
	s_waitcnt lgkmcnt(0)
	v_add_u32_e32 v0, s0, v41
	ds_read2_b64 v[6:9], v0 offset1:1
	ds_read2_b64 v[2:5], v0 offset0:2 offset1:3
	s_waitcnt lgkmcnt(0)
	v_and_b32_e32 v0, 0x7f800000, v6
	v_cmp_ne_u32_e32 vcc, s19, v0
	s_and_saveexec_b64 s[0:1], vcc
	s_xor_b64 s[0:1], exec, s[0:1]
; %bb.433:                              ;   in Loop: Header=BB336_431 Depth=1
	v_bfe_u32 v0, v6, 16, 1
	v_add3_u32 v16, v6, v0, s20
; %bb.434:                              ;   in Loop: Header=BB336_431 Depth=1
	s_andn2_saveexec_b64 s[0:1], s[0:1]
; %bb.435:                              ;   in Loop: Header=BB336_431 Depth=1
	v_or_b32_e32 v0, 0x10000, v6
	v_cmp_eq_u32_sdwa vcc, v6, v33 src0_sel:WORD_0 src1_sel:DWORD
	s_nop 1
	v_cndmask_b32_e32 v16, v0, v6, vcc
; %bb.436:                              ;   in Loop: Header=BB336_431 Depth=1
	s_or_b64 exec, exec, s[0:1]
	v_and_b32_e32 v0, 0x7f800000, v7
	v_cmp_ne_u32_e32 vcc, s19, v0
                                        ; implicit-def: $vgpr15
	s_and_saveexec_b64 s[0:1], vcc
	s_xor_b64 s[0:1], exec, s[0:1]
; %bb.437:                              ;   in Loop: Header=BB336_431 Depth=1
	v_bfe_u32 v0, v7, 16, 1
	v_add3_u32 v15, v7, v0, s20
; %bb.438:                              ;   in Loop: Header=BB336_431 Depth=1
	s_andn2_saveexec_b64 s[0:1], s[0:1]
; %bb.439:                              ;   in Loop: Header=BB336_431 Depth=1
	v_or_b32_e32 v0, 0x10000, v7
	v_cmp_eq_u32_sdwa vcc, v7, v33 src0_sel:WORD_0 src1_sel:DWORD
	s_nop 1
	v_cndmask_b32_e32 v15, v0, v7, vcc
; %bb.440:                              ;   in Loop: Header=BB336_431 Depth=1
	s_or_b64 exec, exec, s[0:1]
	v_and_b32_e32 v0, 0x7f800000, v8
	v_cmp_ne_u32_e32 vcc, s19, v0
                                        ; implicit-def: $vgpr14
	s_and_saveexec_b64 s[0:1], vcc
	s_xor_b64 s[0:1], exec, s[0:1]
; %bb.441:                              ;   in Loop: Header=BB336_431 Depth=1
	v_bfe_u32 v0, v8, 16, 1
	v_add3_u32 v14, v8, v0, s20
; %bb.442:                              ;   in Loop: Header=BB336_431 Depth=1
	s_andn2_saveexec_b64 s[0:1], s[0:1]
; %bb.443:                              ;   in Loop: Header=BB336_431 Depth=1
	v_or_b32_e32 v0, 0x10000, v8
	v_cmp_eq_u32_sdwa vcc, v8, v33 src0_sel:WORD_0 src1_sel:DWORD
	s_nop 1
	v_cndmask_b32_e32 v14, v0, v8, vcc
; %bb.444:                              ;   in Loop: Header=BB336_431 Depth=1
	s_or_b64 exec, exec, s[0:1]
	v_and_b32_e32 v0, 0x7f800000, v9
	v_cmp_ne_u32_e32 vcc, s19, v0
                                        ; implicit-def: $vgpr13
	s_and_saveexec_b64 s[0:1], vcc
	s_xor_b64 s[0:1], exec, s[0:1]
; %bb.445:                              ;   in Loop: Header=BB336_431 Depth=1
	v_bfe_u32 v0, v9, 16, 1
	v_add3_u32 v13, v9, v0, s20
                                        ; implicit-def: $vgpr6_vgpr7_vgpr8_vgpr9
; %bb.446:                              ;   in Loop: Header=BB336_431 Depth=1
	s_andn2_saveexec_b64 s[0:1], s[0:1]
; %bb.447:                              ;   in Loop: Header=BB336_431 Depth=1
	v_or_b32_e32 v0, 0x10000, v9
	v_cmp_eq_u32_sdwa vcc, v9, v33 src0_sel:WORD_0 src1_sel:DWORD
	s_nop 1
	v_cndmask_b32_e32 v13, v0, v9, vcc
; %bb.448:                              ;   in Loop: Header=BB336_431 Depth=1
	s_or_b64 exec, exec, s[0:1]
	v_and_b32_e32 v0, 0x7f800000, v2
	v_cmp_ne_u32_e32 vcc, s19, v0
                                        ; implicit-def: $vgpr12
	s_and_saveexec_b64 s[0:1], vcc
	s_xor_b64 s[0:1], exec, s[0:1]
; %bb.449:                              ;   in Loop: Header=BB336_431 Depth=1
	v_bfe_u32 v0, v2, 16, 1
	v_add3_u32 v12, v2, v0, s20
; %bb.450:                              ;   in Loop: Header=BB336_431 Depth=1
	s_andn2_saveexec_b64 s[0:1], s[0:1]
; %bb.451:                              ;   in Loop: Header=BB336_431 Depth=1
	v_or_b32_e32 v0, 0x10000, v2
	v_cmp_eq_u32_sdwa vcc, v2, v33 src0_sel:WORD_0 src1_sel:DWORD
	s_nop 1
	v_cndmask_b32_e32 v12, v0, v2, vcc
; %bb.452:                              ;   in Loop: Header=BB336_431 Depth=1
	s_or_b64 exec, exec, s[0:1]
	v_and_b32_e32 v0, 0x7f800000, v3
	v_cmp_ne_u32_e32 vcc, s19, v0
                                        ; implicit-def: $vgpr9
	s_and_saveexec_b64 s[0:1], vcc
	s_xor_b64 s[0:1], exec, s[0:1]
; %bb.453:                              ;   in Loop: Header=BB336_431 Depth=1
	v_bfe_u32 v0, v3, 16, 1
	v_add3_u32 v9, v3, v0, s20
; %bb.454:                              ;   in Loop: Header=BB336_431 Depth=1
	s_andn2_saveexec_b64 s[0:1], s[0:1]
; %bb.455:                              ;   in Loop: Header=BB336_431 Depth=1
	v_or_b32_e32 v0, 0x10000, v3
	v_cmp_eq_u32_sdwa vcc, v3, v33 src0_sel:WORD_0 src1_sel:DWORD
	s_nop 1
	v_cndmask_b32_e32 v9, v0, v3, vcc
; %bb.456:                              ;   in Loop: Header=BB336_431 Depth=1
	s_or_b64 exec, exec, s[0:1]
	v_and_b32_e32 v0, 0x7f800000, v4
	v_cmp_ne_u32_e32 vcc, s19, v0
                                        ; implicit-def: $vgpr8
	s_and_saveexec_b64 s[0:1], vcc
	s_xor_b64 s[0:1], exec, s[0:1]
; %bb.457:                              ;   in Loop: Header=BB336_431 Depth=1
	v_bfe_u32 v0, v4, 16, 1
	v_add3_u32 v8, v4, v0, s20
; %bb.458:                              ;   in Loop: Header=BB336_431 Depth=1
	s_andn2_saveexec_b64 s[0:1], s[0:1]
; %bb.459:                              ;   in Loop: Header=BB336_431 Depth=1
	v_or_b32_e32 v0, 0x10000, v4
	v_cmp_eq_u32_sdwa vcc, v4, v33 src0_sel:WORD_0 src1_sel:DWORD
	s_nop 1
	v_cndmask_b32_e32 v8, v0, v4, vcc
; %bb.460:                              ;   in Loop: Header=BB336_431 Depth=1
	s_or_b64 exec, exec, s[0:1]
	v_and_b32_e32 v0, 0x7f800000, v5
	v_cmp_ne_u32_e32 vcc, s19, v0
                                        ; implicit-def: $vgpr0
	s_and_saveexec_b64 s[0:1], vcc
	s_xor_b64 s[0:1], exec, s[0:1]
; %bb.461:                              ;   in Loop: Header=BB336_431 Depth=1
	v_bfe_u32 v0, v5, 16, 1
	v_add3_u32 v0, v5, v0, s20
                                        ; implicit-def: $vgpr2_vgpr3_vgpr4_vgpr5
; %bb.462:                              ;   in Loop: Header=BB336_431 Depth=1
	s_andn2_saveexec_b64 s[0:1], s[0:1]
; %bb.463:                              ;   in Loop: Header=BB336_431 Depth=1
	v_or_b32_e32 v0, 0x10000, v5
	v_cmp_eq_u32_sdwa vcc, v5, v33 src0_sel:WORD_0 src1_sel:DWORD
	s_nop 1
	v_cndmask_b32_e32 v0, v0, v5, vcc
; %bb.464:                              ;   in Loop: Header=BB336_431 Depth=1
	s_or_b64 exec, exec, s[0:1]
	scratch_load_dwordx2 v[4:5], off, s32 offset:308 ; 8-byte Folded Reload
	scratch_load_dwordx2 v[2:3], off, s32 offset:224 ; 8-byte Folded Reload
	s_waitcnt vmcnt(0)
	v_mad_i64_i32 v[2:3], s[0:1], v1, v2, v[4:5]
	v_lshl_add_u64 v[4:5], v[2:3], 0, v[32:33]
	flat_load_dwordx2 v[6:7], v[4:5]
	scratch_load_dwordx2 v[18:19], off, s32 offset:444 ; 8-byte Folded Reload
	s_waitcnt vmcnt(0) lgkmcnt(0)
	v_and_b32_e32 v1, 0xff, v6
	flat_load_dword v51, v[18:19]
	v_cvt_f32_fp8_sdwa v1, v1 src0_sel:BYTE_0
	s_waitcnt vmcnt(0) lgkmcnt(0)
	v_mul_f32_e32 v1, v51, v1
	v_and_b32_e32 v17, 0x7f800000, v1
	v_cmp_ne_u32_e32 vcc, s19, v17
                                        ; implicit-def: $vgpr17
	s_and_saveexec_b64 s[0:1], vcc
	s_xor_b64 s[0:1], exec, s[0:1]
; %bb.465:                              ;   in Loop: Header=BB336_431 Depth=1
	v_bfe_u32 v17, v1, 16, 1
	v_add3_u32 v17, v1, v17, s20
                                        ; implicit-def: $vgpr1
; %bb.466:                              ;   in Loop: Header=BB336_431 Depth=1
	s_andn2_saveexec_b64 s[0:1], s[0:1]
; %bb.467:                              ;   in Loop: Header=BB336_431 Depth=1
	v_or_b32_e32 v17, 0x10000, v1
	v_cmp_eq_u32_sdwa vcc, v1, v33 src0_sel:WORD_0 src1_sel:DWORD
	s_nop 1
	v_cndmask_b32_e32 v17, v17, v1, vcc
; %bb.468:                              ;   in Loop: Header=BB336_431 Depth=1
	s_or_b64 exec, exec, s[0:1]
	v_bfe_u32 v1, v6, 8, 8
	v_cvt_f32_fp8_sdwa v1, v1 src0_sel:BYTE_0
	s_nop 0
	v_mul_f32_e32 v1, v51, v1
	v_and_b32_e32 v18, 0x7f800000, v1
	v_cmp_ne_u32_e32 vcc, s19, v18
                                        ; implicit-def: $vgpr18
	s_and_saveexec_b64 s[0:1], vcc
	s_xor_b64 s[0:1], exec, s[0:1]
; %bb.469:                              ;   in Loop: Header=BB336_431 Depth=1
	v_bfe_u32 v18, v1, 16, 1
	v_add3_u32 v18, v1, v18, s20
                                        ; implicit-def: $vgpr1
; %bb.470:                              ;   in Loop: Header=BB336_431 Depth=1
	s_andn2_saveexec_b64 s[0:1], s[0:1]
; %bb.471:                              ;   in Loop: Header=BB336_431 Depth=1
	v_or_b32_e32 v18, 0x10000, v1
	v_cmp_eq_u32_sdwa vcc, v1, v33 src0_sel:WORD_0 src1_sel:DWORD
	s_nop 1
	v_cndmask_b32_e32 v18, v18, v1, vcc
; %bb.472:                              ;   in Loop: Header=BB336_431 Depth=1
	s_or_b64 exec, exec, s[0:1]
	v_bfe_u32 v1, v6, 16, 8
	v_cvt_f32_fp8_sdwa v1, v1 src0_sel:BYTE_0
                                        ; implicit-def: $vgpr20
	s_nop 0
	v_mul_f32_e32 v1, v51, v1
	v_and_b32_e32 v19, 0x7f800000, v1
	v_cmp_ne_u32_e32 vcc, s19, v19
	s_and_saveexec_b64 s[0:1], vcc
	s_xor_b64 s[0:1], exec, s[0:1]
; %bb.473:                              ;   in Loop: Header=BB336_431 Depth=1
	v_bfe_u32 v19, v1, 16, 1
	v_add3_u32 v20, v1, v19, s20
                                        ; implicit-def: $vgpr1
; %bb.474:                              ;   in Loop: Header=BB336_431 Depth=1
	s_andn2_saveexec_b64 s[0:1], s[0:1]
; %bb.475:                              ;   in Loop: Header=BB336_431 Depth=1
	v_or_b32_e32 v19, 0x10000, v1
	v_cmp_eq_u32_sdwa vcc, v1, v33 src0_sel:WORD_0 src1_sel:DWORD
	s_nop 1
	v_cndmask_b32_e32 v20, v19, v1, vcc
; %bb.476:                              ;   in Loop: Header=BB336_431 Depth=1
	s_or_b64 exec, exec, s[0:1]
	v_lshrrev_b32_e32 v1, 24, v6
	v_cvt_f32_fp8_sdwa v1, v1 src0_sel:BYTE_0
	s_nop 0
	v_mul_f32_e32 v1, v51, v1
	v_and_b32_e32 v6, 0x7f800000, v1
	v_cmp_ne_u32_e32 vcc, s19, v6
                                        ; implicit-def: $vgpr6
	s_and_saveexec_b64 s[0:1], vcc
	s_xor_b64 s[0:1], exec, s[0:1]
; %bb.477:                              ;   in Loop: Header=BB336_431 Depth=1
	v_bfe_u32 v6, v1, 16, 1
	v_add3_u32 v6, v1, v6, s20
                                        ; implicit-def: $vgpr1
; %bb.478:                              ;   in Loop: Header=BB336_431 Depth=1
	s_andn2_saveexec_b64 s[0:1], s[0:1]
; %bb.479:                              ;   in Loop: Header=BB336_431 Depth=1
	v_or_b32_e32 v6, 0x10000, v1
	v_cmp_eq_u32_sdwa vcc, v1, v33 src0_sel:WORD_0 src1_sel:DWORD
	s_nop 1
	v_cndmask_b32_e32 v6, v6, v1, vcc
; %bb.480:                              ;   in Loop: Header=BB336_431 Depth=1
	s_or_b64 exec, exec, s[0:1]
	v_and_b32_e32 v1, 0xff, v7
	v_cvt_f32_fp8_sdwa v1, v1 src0_sel:BYTE_0
                                        ; implicit-def: $vgpr21
	s_nop 0
	v_mul_f32_e32 v1, v51, v1
	v_and_b32_e32 v19, 0x7f800000, v1
	v_cmp_ne_u32_e32 vcc, s19, v19
	s_and_saveexec_b64 s[0:1], vcc
	s_xor_b64 s[0:1], exec, s[0:1]
; %bb.481:                              ;   in Loop: Header=BB336_431 Depth=1
	v_bfe_u32 v19, v1, 16, 1
	v_add3_u32 v21, v1, v19, s20
                                        ; implicit-def: $vgpr1
; %bb.482:                              ;   in Loop: Header=BB336_431 Depth=1
	s_andn2_saveexec_b64 s[0:1], s[0:1]
; %bb.483:                              ;   in Loop: Header=BB336_431 Depth=1
	v_or_b32_e32 v19, 0x10000, v1
	v_cmp_eq_u32_sdwa vcc, v1, v33 src0_sel:WORD_0 src1_sel:DWORD
	s_nop 1
	v_cndmask_b32_e32 v21, v19, v1, vcc
; %bb.484:                              ;   in Loop: Header=BB336_431 Depth=1
	s_or_b64 exec, exec, s[0:1]
	v_bfe_u32 v1, v7, 8, 8
	v_cvt_f32_fp8_sdwa v1, v1 src0_sel:BYTE_0
	s_nop 0
	v_mul_f32_e32 v1, v51, v1
	v_and_b32_e32 v19, 0x7f800000, v1
	v_cmp_ne_u32_e32 vcc, s19, v19
                                        ; implicit-def: $vgpr19
	s_and_saveexec_b64 s[0:1], vcc
	s_xor_b64 s[0:1], exec, s[0:1]
; %bb.485:                              ;   in Loop: Header=BB336_431 Depth=1
	v_bfe_u32 v19, v1, 16, 1
	v_add3_u32 v19, v1, v19, s20
                                        ; implicit-def: $vgpr1
; %bb.486:                              ;   in Loop: Header=BB336_431 Depth=1
	s_andn2_saveexec_b64 s[0:1], s[0:1]
; %bb.487:                              ;   in Loop: Header=BB336_431 Depth=1
	v_or_b32_e32 v19, 0x10000, v1
	v_cmp_eq_u32_sdwa vcc, v1, v33 src0_sel:WORD_0 src1_sel:DWORD
	s_nop 1
	v_cndmask_b32_e32 v19, v19, v1, vcc
; %bb.488:                              ;   in Loop: Header=BB336_431 Depth=1
	s_or_b64 exec, exec, s[0:1]
	v_bfe_u32 v1, v7, 16, 8
	v_cvt_f32_fp8_sdwa v1, v1 src0_sel:BYTE_0
                                        ; implicit-def: $vgpr23
	s_nop 0
	v_mul_f32_e32 v1, v51, v1
	v_and_b32_e32 v22, 0x7f800000, v1
	v_cmp_ne_u32_e32 vcc, s19, v22
	s_and_saveexec_b64 s[0:1], vcc
	s_xor_b64 s[0:1], exec, s[0:1]
; %bb.489:                              ;   in Loop: Header=BB336_431 Depth=1
	v_bfe_u32 v22, v1, 16, 1
	v_add3_u32 v23, v1, v22, s20
                                        ; implicit-def: $vgpr1
; %bb.490:                              ;   in Loop: Header=BB336_431 Depth=1
	s_andn2_saveexec_b64 s[0:1], s[0:1]
; %bb.491:                              ;   in Loop: Header=BB336_431 Depth=1
	v_or_b32_e32 v22, 0x10000, v1
	v_cmp_eq_u32_sdwa vcc, v1, v33 src0_sel:WORD_0 src1_sel:DWORD
	s_nop 1
	v_cndmask_b32_e32 v23, v22, v1, vcc
; %bb.492:                              ;   in Loop: Header=BB336_431 Depth=1
	s_or_b64 exec, exec, s[0:1]
	v_lshrrev_b32_e32 v1, 24, v7
	v_cvt_f32_fp8_sdwa v1, v1 src0_sel:BYTE_0
                                        ; implicit-def: $vgpr24
	s_nop 0
	v_mul_f32_e32 v1, v51, v1
	v_and_b32_e32 v7, 0x7f800000, v1
	v_cmp_ne_u32_e32 vcc, s19, v7
	s_and_saveexec_b64 s[0:1], vcc
	s_xor_b64 s[0:1], exec, s[0:1]
; %bb.493:                              ;   in Loop: Header=BB336_431 Depth=1
	v_bfe_u32 v7, v1, 16, 1
	v_add3_u32 v24, v1, v7, s20
                                        ; implicit-def: $vgpr1
; %bb.494:                              ;   in Loop: Header=BB336_431 Depth=1
	s_andn2_saveexec_b64 s[0:1], s[0:1]
; %bb.495:                              ;   in Loop: Header=BB336_431 Depth=1
	v_or_b32_e32 v7, 0x10000, v1
	v_cmp_eq_u32_sdwa vcc, v1, v33 src0_sel:WORD_0 src1_sel:DWORD
	s_nop 1
	v_cndmask_b32_e32 v24, v7, v1, vcc
; %bb.496:                              ;   in Loop: Header=BB336_431 Depth=1
	s_or_b64 exec, exec, s[0:1]
	scratch_load_dword v7, off, s32 offset:292 ; 4-byte Folded Reload
	scratch_load_dword v1, off, s32 offset:192 ; 4-byte Folded Reload
	v_lshrrev_b32_e32 v19, 16, v19
	v_lshrrev_b32_e32 v21, 16, v21
	v_lshrrev_b32_e32 v22, 16, v6
	v_lshrrev_b32_e32 v20, 16, v20
	v_lshrrev_b32_e32 v18, 16, v18
	v_lshrrev_b32_e32 v17, 16, v17
	v_lshrrev_b32_e32 v6, 16, v24
	s_waitcnt vmcnt(0)
	v_cmp_eq_u32_e32 vcc, v7, v1
	scratch_load_dword v7, off, s32 offset:288 ; 4-byte Folded Reload
	v_accvgpr_read_b32 v1, a13
	s_waitcnt vmcnt(0)
	v_add_u32_e32 v1, v7, v1
	v_lshrrev_b32_e32 v7, 16, v23
	v_add_u32_e32 v23, 1, v1
	v_accvgpr_write_b32 a53, v23
	v_add_u32_e32 v23, 2, v1
	v_accvgpr_write_b32 a52, v23
	;; [unrolled: 2-line block ×7, first 2 shown]
	s_and_saveexec_b64 s[12:13], vcc
	s_cbranch_execz .LBB336_498
; %bb.497:                              ;   in Loop: Header=BB336_431 Depth=1
	scratch_load_dword v24, off, s32 offset:188 ; 4-byte Folded Reload
	v_accvgpr_read_b32 v23, a53
	s_waitcnt vmcnt(0)
	v_cmp_lt_i32_e64 s[0:1], v1, v24
	s_nop 1
	v_cndmask_b32_e64 v17, 0, v17, s[0:1]
	v_cmp_lt_i32_e64 s[0:1], v23, v24
	v_accvgpr_read_b32 v23, a52
	s_nop 0
	v_cndmask_b32_e64 v18, 0, v18, s[0:1]
	v_cmp_lt_i32_e64 s[0:1], v23, v24
	v_accvgpr_read_b32 v23, a51
	;; [unrolled: 4-line block ×6, first 2 shown]
	s_nop 0
	v_cndmask_b32_e64 v7, 0, v7, s[0:1]
	v_cmp_lt_i32_e64 s[0:1], v23, v24
	s_nop 1
	v_cndmask_b32_e64 v6, 0, v6, s[0:1]
.LBB336_498:                            ;   in Loop: Header=BB336_431 Depth=1
	s_or_b64 exec, exec, s[12:13]
	v_and_b32_e32 v44, 0xffff0000, v16
	v_lshlrev_b32_e32 v16, 16, v17
	v_mul_f32_e32 v16, v44, v16
	v_and_b32_e32 v17, 0x7f800000, v16
	v_cmp_ne_u32_e64 s[0:1], s19, v17
                                        ; implicit-def: $vgpr17
                                        ; kill: killed $vgpr17
	s_and_saveexec_b64 s[12:13], s[0:1]
	s_xor_b64 s[0:1], exec, s[12:13]
	s_cbranch_execz .LBB336_500
; %bb.499:                              ;   in Loop: Header=BB336_431 Depth=1
	v_bfe_u32 v17, v16, 16, 1
	v_add3_u32 v16, v16, v17, s20
	scratch_store_dword off, v16, s32 offset:272 ; 4-byte Folded Spill
                                        ; implicit-def: $vgpr16
.LBB336_500:                            ;   in Loop: Header=BB336_431 Depth=1
	s_andn2_saveexec_b64 s[12:13], s[0:1]
	s_cbranch_execz .LBB336_502
; %bb.501:                              ;   in Loop: Header=BB336_431 Depth=1
	v_or_b32_e32 v17, 0x10000, v16
	v_cmp_eq_u32_sdwa s[0:1], v16, v33 src0_sel:WORD_0 src1_sel:DWORD
	s_nop 1
	v_cndmask_b32_e64 v16, v17, v16, s[0:1]
	scratch_store_dword off, v16, s32 offset:272 ; 4-byte Folded Spill
.LBB336_502:                            ;   in Loop: Header=BB336_431 Depth=1
	s_or_b64 exec, exec, s[12:13]
	v_and_b32_e32 v50, 0xffff0000, v15
	v_lshlrev_b32_e32 v15, 16, v18
	v_mul_f32_e32 v15, v50, v15
	v_and_b32_e32 v16, 0x7f800000, v15
	v_cmp_ne_u32_e64 s[0:1], s19, v16
                                        ; implicit-def: $agpr40
	s_and_saveexec_b64 s[12:13], s[0:1]
	s_xor_b64 s[0:1], exec, s[12:13]
; %bb.503:                              ;   in Loop: Header=BB336_431 Depth=1
	v_bfe_u32 v16, v15, 16, 1
	v_add3_u32 v15, v15, v16, s20
	v_accvgpr_write_b32 a40, v15
                                        ; implicit-def: $vgpr15
; %bb.504:                              ;   in Loop: Header=BB336_431 Depth=1
	s_andn2_saveexec_b64 s[12:13], s[0:1]
; %bb.505:                              ;   in Loop: Header=BB336_431 Depth=1
	v_or_b32_e32 v16, 0x10000, v15
	v_cmp_eq_u32_sdwa s[0:1], v15, v33 src0_sel:WORD_0 src1_sel:DWORD
	s_nop 1
	v_cndmask_b32_e64 v15, v16, v15, s[0:1]
	v_accvgpr_write_b32 a40, v15
; %bb.506:                              ;   in Loop: Header=BB336_431 Depth=1
	s_or_b64 exec, exec, s[12:13]
	v_and_b32_e32 v30, 0xffff0000, v14
	v_lshlrev_b32_e32 v14, 16, v20
	v_mul_f32_e32 v14, v30, v14
	v_and_b32_e32 v15, 0x7f800000, v14
	v_cmp_ne_u32_e64 s[0:1], s19, v15
                                        ; implicit-def: $agpr41
	s_and_saveexec_b64 s[12:13], s[0:1]
	s_xor_b64 s[0:1], exec, s[12:13]
; %bb.507:                              ;   in Loop: Header=BB336_431 Depth=1
	v_bfe_u32 v15, v14, 16, 1
	v_add3_u32 v14, v14, v15, s20
	v_accvgpr_write_b32 a41, v14
                                        ; implicit-def: $vgpr14
; %bb.508:                              ;   in Loop: Header=BB336_431 Depth=1
	s_andn2_saveexec_b64 s[12:13], s[0:1]
; %bb.509:                              ;   in Loop: Header=BB336_431 Depth=1
	v_or_b32_e32 v15, 0x10000, v14
	v_cmp_eq_u32_sdwa s[0:1], v14, v33 src0_sel:WORD_0 src1_sel:DWORD
	s_nop 1
	v_cndmask_b32_e64 v14, v15, v14, s[0:1]
	v_accvgpr_write_b32 a41, v14
; %bb.510:                              ;   in Loop: Header=BB336_431 Depth=1
	s_or_b64 exec, exec, s[12:13]
	v_and_b32_e32 v31, 0xffff0000, v13
	v_lshlrev_b32_e32 v13, 16, v22
	v_mul_f32_e32 v13, v31, v13
	v_and_b32_e32 v14, 0x7f800000, v13
	v_cmp_ne_u32_e64 s[0:1], s19, v14
                                        ; implicit-def: $agpr42
	s_and_saveexec_b64 s[12:13], s[0:1]
	s_xor_b64 s[0:1], exec, s[12:13]
; %bb.511:                              ;   in Loop: Header=BB336_431 Depth=1
	v_bfe_u32 v14, v13, 16, 1
	v_add3_u32 v13, v13, v14, s20
	v_accvgpr_write_b32 a42, v13
                                        ; implicit-def: $vgpr13
; %bb.512:                              ;   in Loop: Header=BB336_431 Depth=1
	s_andn2_saveexec_b64 s[12:13], s[0:1]
; %bb.513:                              ;   in Loop: Header=BB336_431 Depth=1
	v_or_b32_e32 v14, 0x10000, v13
	v_cmp_eq_u32_sdwa s[0:1], v13, v33 src0_sel:WORD_0 src1_sel:DWORD
	s_nop 1
	v_cndmask_b32_e64 v13, v14, v13, s[0:1]
	v_accvgpr_write_b32 a42, v13
; %bb.514:                              ;   in Loop: Header=BB336_431 Depth=1
	s_or_b64 exec, exec, s[12:13]
	v_and_b32_e32 v26, 0xffff0000, v12
	v_lshlrev_b32_e32 v12, 16, v21
	v_mul_f32_e32 v12, v26, v12
	v_and_b32_e32 v13, 0x7f800000, v12
	v_cmp_ne_u32_e64 s[0:1], s19, v13
                                        ; implicit-def: $agpr43
	s_and_saveexec_b64 s[12:13], s[0:1]
	s_xor_b64 s[0:1], exec, s[12:13]
; %bb.515:                              ;   in Loop: Header=BB336_431 Depth=1
	v_bfe_u32 v13, v12, 16, 1
	v_add3_u32 v12, v12, v13, s20
	v_accvgpr_write_b32 a43, v12
                                        ; implicit-def: $vgpr12
; %bb.516:                              ;   in Loop: Header=BB336_431 Depth=1
	s_andn2_saveexec_b64 s[12:13], s[0:1]
; %bb.517:                              ;   in Loop: Header=BB336_431 Depth=1
	v_or_b32_e32 v13, 0x10000, v12
	v_cmp_eq_u32_sdwa s[0:1], v12, v33 src0_sel:WORD_0 src1_sel:DWORD
	s_nop 1
	v_cndmask_b32_e64 v12, v13, v12, s[0:1]
	v_accvgpr_write_b32 a43, v12
; %bb.518:                              ;   in Loop: Header=BB336_431 Depth=1
	s_or_b64 exec, exec, s[12:13]
	v_and_b32_e32 v27, 0xffff0000, v9
	v_lshlrev_b32_e32 v9, 16, v19
	v_mul_f32_e32 v9, v27, v9
	v_and_b32_e32 v12, 0x7f800000, v9
	v_cmp_ne_u32_e64 s[0:1], s19, v12
                                        ; implicit-def: $agpr44
	s_and_saveexec_b64 s[12:13], s[0:1]
	s_xor_b64 s[0:1], exec, s[12:13]
; %bb.519:                              ;   in Loop: Header=BB336_431 Depth=1
	v_bfe_u32 v12, v9, 16, 1
	v_add3_u32 v9, v9, v12, s20
	v_accvgpr_write_b32 a44, v9
                                        ; implicit-def: $vgpr9
; %bb.520:                              ;   in Loop: Header=BB336_431 Depth=1
	s_andn2_saveexec_b64 s[12:13], s[0:1]
; %bb.521:                              ;   in Loop: Header=BB336_431 Depth=1
	v_or_b32_e32 v12, 0x10000, v9
	v_cmp_eq_u32_sdwa s[0:1], v9, v33 src0_sel:WORD_0 src1_sel:DWORD
	s_nop 1
	v_cndmask_b32_e64 v9, v12, v9, s[0:1]
	v_accvgpr_write_b32 a44, v9
; %bb.522:                              ;   in Loop: Header=BB336_431 Depth=1
	s_or_b64 exec, exec, s[12:13]
	v_and_b32_e32 v36, 0xffff0000, v8
	v_lshlrev_b32_e32 v7, 16, v7
	v_mul_f32_e32 v7, v36, v7
	v_and_b32_e32 v8, 0x7f800000, v7
	v_cmp_ne_u32_e64 s[0:1], s19, v8
                                        ; implicit-def: $agpr45
	s_and_saveexec_b64 s[12:13], s[0:1]
	s_xor_b64 s[0:1], exec, s[12:13]
; %bb.523:                              ;   in Loop: Header=BB336_431 Depth=1
	v_bfe_u32 v8, v7, 16, 1
	v_add3_u32 v7, v7, v8, s20
	v_accvgpr_write_b32 a45, v7
                                        ; implicit-def: $vgpr7
; %bb.524:                              ;   in Loop: Header=BB336_431 Depth=1
	s_andn2_saveexec_b64 s[12:13], s[0:1]
; %bb.525:                              ;   in Loop: Header=BB336_431 Depth=1
	v_or_b32_e32 v8, 0x10000, v7
	v_cmp_eq_u32_sdwa s[0:1], v7, v33 src0_sel:WORD_0 src1_sel:DWORD
	s_nop 1
	v_cndmask_b32_e64 v7, v8, v7, s[0:1]
	v_accvgpr_write_b32 a45, v7
; %bb.526:                              ;   in Loop: Header=BB336_431 Depth=1
	s_or_b64 exec, exec, s[12:13]
	v_and_b32_e32 v37, 0xffff0000, v0
	v_lshlrev_b32_e32 v0, 16, v6
	v_mul_f32_e32 v0, v37, v0
	v_and_b32_e32 v6, 0x7f800000, v0
	v_cmp_ne_u32_e64 s[0:1], s19, v6
                                        ; implicit-def: $agpr46
	s_and_saveexec_b64 s[12:13], s[0:1]
	s_xor_b64 s[0:1], exec, s[12:13]
; %bb.527:                              ;   in Loop: Header=BB336_431 Depth=1
	v_bfe_u32 v6, v0, 16, 1
	v_add3_u32 v0, v0, v6, s20
	v_accvgpr_write_b32 a46, v0
                                        ; implicit-def: $vgpr0
; %bb.528:                              ;   in Loop: Header=BB336_431 Depth=1
	s_andn2_saveexec_b64 s[12:13], s[0:1]
; %bb.529:                              ;   in Loop: Header=BB336_431 Depth=1
	v_or_b32_e32 v6, 0x10000, v0
	v_cmp_eq_u32_sdwa s[0:1], v0, v33 src0_sel:WORD_0 src1_sel:DWORD
	s_nop 1
	v_cndmask_b32_e64 v0, v6, v0, s[0:1]
	v_accvgpr_write_b32 a46, v0
; %bb.530:                              ;   in Loop: Header=BB336_431 Depth=1
	s_or_b64 exec, exec, s[12:13]
	flat_load_dwordx2 v[6:7], v[4:5] offset:512
	s_waitcnt vmcnt(0) lgkmcnt(0)
	v_and_b32_e32 v0, 0xff, v6
	v_cvt_f32_fp8_sdwa v0, v0 src0_sel:BYTE_0
	s_nop 0
	v_mul_f32_e32 v8, v51, v0
	v_and_b32_e32 v0, 0x7f800000, v8
	v_cmp_ne_u32_e64 s[0:1], s19, v0
                                        ; implicit-def: $vgpr0
	s_and_saveexec_b64 s[12:13], s[0:1]
	s_xor_b64 s[0:1], exec, s[12:13]
; %bb.531:                              ;   in Loop: Header=BB336_431 Depth=1
	v_bfe_u32 v0, v8, 16, 1
	v_add3_u32 v0, v8, v0, s20
                                        ; implicit-def: $vgpr8
; %bb.532:                              ;   in Loop: Header=BB336_431 Depth=1
	s_andn2_saveexec_b64 s[12:13], s[0:1]
; %bb.533:                              ;   in Loop: Header=BB336_431 Depth=1
	v_or_b32_e32 v0, 0x10000, v8
	v_cmp_eq_u32_sdwa s[0:1], v8, v33 src0_sel:WORD_0 src1_sel:DWORD
	s_nop 1
	v_cndmask_b32_e64 v0, v0, v8, s[0:1]
; %bb.534:                              ;   in Loop: Header=BB336_431 Depth=1
	s_or_b64 exec, exec, s[12:13]
	v_bfe_u32 v8, v6, 8, 8
	v_cvt_f32_fp8_sdwa v8, v8 src0_sel:BYTE_0
	s_nop 0
	v_mul_f32_e32 v9, v51, v8
	v_and_b32_e32 v8, 0x7f800000, v9
	v_cmp_ne_u32_e64 s[0:1], s19, v8
                                        ; implicit-def: $vgpr8
	s_and_saveexec_b64 s[12:13], s[0:1]
	s_xor_b64 s[0:1], exec, s[12:13]
; %bb.535:                              ;   in Loop: Header=BB336_431 Depth=1
	v_bfe_u32 v8, v9, 16, 1
	v_add3_u32 v8, v9, v8, s20
                                        ; implicit-def: $vgpr9
; %bb.536:                              ;   in Loop: Header=BB336_431 Depth=1
	s_andn2_saveexec_b64 s[12:13], s[0:1]
; %bb.537:                              ;   in Loop: Header=BB336_431 Depth=1
	v_or_b32_e32 v8, 0x10000, v9
	v_cmp_eq_u32_sdwa s[0:1], v9, v33 src0_sel:WORD_0 src1_sel:DWORD
	s_nop 1
	v_cndmask_b32_e64 v8, v8, v9, s[0:1]
; %bb.538:                              ;   in Loop: Header=BB336_431 Depth=1
	s_or_b64 exec, exec, s[12:13]
	v_bfe_u32 v9, v6, 16, 8
	v_cvt_f32_fp8_sdwa v9, v9 src0_sel:BYTE_0
	s_nop 0
	v_mul_f32_e32 v12, v51, v9
	v_and_b32_e32 v9, 0x7f800000, v12
	v_cmp_ne_u32_e64 s[0:1], s19, v9
                                        ; implicit-def: $vgpr9
	s_and_saveexec_b64 s[12:13], s[0:1]
	s_xor_b64 s[0:1], exec, s[12:13]
; %bb.539:                              ;   in Loop: Header=BB336_431 Depth=1
	v_bfe_u32 v9, v12, 16, 1
	v_add3_u32 v9, v12, v9, s20
                                        ; implicit-def: $vgpr12
; %bb.540:                              ;   in Loop: Header=BB336_431 Depth=1
	s_andn2_saveexec_b64 s[12:13], s[0:1]
; %bb.541:                              ;   in Loop: Header=BB336_431 Depth=1
	v_or_b32_e32 v9, 0x10000, v12
	v_cmp_eq_u32_sdwa s[0:1], v12, v33 src0_sel:WORD_0 src1_sel:DWORD
	s_nop 1
	v_cndmask_b32_e64 v9, v9, v12, s[0:1]
; %bb.542:                              ;   in Loop: Header=BB336_431 Depth=1
	s_or_b64 exec, exec, s[12:13]
	v_lshrrev_b32_e32 v6, 24, v6
	v_cvt_f32_fp8_sdwa v6, v6 src0_sel:BYTE_0
	s_nop 0
	v_mul_f32_e32 v12, v51, v6
	v_and_b32_e32 v6, 0x7f800000, v12
	v_cmp_ne_u32_e64 s[0:1], s19, v6
                                        ; implicit-def: $vgpr6
	s_and_saveexec_b64 s[12:13], s[0:1]
	s_xor_b64 s[0:1], exec, s[12:13]
; %bb.543:                              ;   in Loop: Header=BB336_431 Depth=1
	v_bfe_u32 v6, v12, 16, 1
	v_add3_u32 v6, v12, v6, s20
                                        ; implicit-def: $vgpr12
; %bb.544:                              ;   in Loop: Header=BB336_431 Depth=1
	s_andn2_saveexec_b64 s[12:13], s[0:1]
; %bb.545:                              ;   in Loop: Header=BB336_431 Depth=1
	v_or_b32_e32 v6, 0x10000, v12
	v_cmp_eq_u32_sdwa s[0:1], v12, v33 src0_sel:WORD_0 src1_sel:DWORD
	s_nop 1
	v_cndmask_b32_e64 v6, v6, v12, s[0:1]
; %bb.546:                              ;   in Loop: Header=BB336_431 Depth=1
	s_or_b64 exec, exec, s[12:13]
	v_and_b32_e32 v12, 0xff, v7
	v_cvt_f32_fp8_sdwa v12, v12 src0_sel:BYTE_0
	s_nop 0
	v_mul_f32_e32 v13, v51, v12
	v_and_b32_e32 v12, 0x7f800000, v13
	v_cmp_ne_u32_e64 s[0:1], s19, v12
                                        ; implicit-def: $vgpr12
	s_and_saveexec_b64 s[12:13], s[0:1]
	s_xor_b64 s[0:1], exec, s[12:13]
; %bb.547:                              ;   in Loop: Header=BB336_431 Depth=1
	v_bfe_u32 v12, v13, 16, 1
	v_add3_u32 v12, v13, v12, s20
                                        ; implicit-def: $vgpr13
; %bb.548:                              ;   in Loop: Header=BB336_431 Depth=1
	s_andn2_saveexec_b64 s[12:13], s[0:1]
; %bb.549:                              ;   in Loop: Header=BB336_431 Depth=1
	v_or_b32_e32 v12, 0x10000, v13
	v_cmp_eq_u32_sdwa s[0:1], v13, v33 src0_sel:WORD_0 src1_sel:DWORD
	s_nop 1
	v_cndmask_b32_e64 v12, v12, v13, s[0:1]
; %bb.550:                              ;   in Loop: Header=BB336_431 Depth=1
	s_or_b64 exec, exec, s[12:13]
	v_bfe_u32 v13, v7, 8, 8
	v_cvt_f32_fp8_sdwa v13, v13 src0_sel:BYTE_0
	s_nop 0
	v_mul_f32_e32 v14, v51, v13
	v_and_b32_e32 v13, 0x7f800000, v14
	v_cmp_ne_u32_e64 s[0:1], s19, v13
                                        ; implicit-def: $vgpr13
	s_and_saveexec_b64 s[12:13], s[0:1]
	s_xor_b64 s[0:1], exec, s[12:13]
; %bb.551:                              ;   in Loop: Header=BB336_431 Depth=1
	v_bfe_u32 v13, v14, 16, 1
	v_add3_u32 v13, v14, v13, s20
                                        ; implicit-def: $vgpr14
; %bb.552:                              ;   in Loop: Header=BB336_431 Depth=1
	s_andn2_saveexec_b64 s[12:13], s[0:1]
; %bb.553:                              ;   in Loop: Header=BB336_431 Depth=1
	v_or_b32_e32 v13, 0x10000, v14
	v_cmp_eq_u32_sdwa s[0:1], v14, v33 src0_sel:WORD_0 src1_sel:DWORD
	s_nop 1
	v_cndmask_b32_e64 v13, v13, v14, s[0:1]
; %bb.554:                              ;   in Loop: Header=BB336_431 Depth=1
	s_or_b64 exec, exec, s[12:13]
	v_bfe_u32 v14, v7, 16, 8
	v_cvt_f32_fp8_sdwa v14, v14 src0_sel:BYTE_0
	s_nop 0
	v_mul_f32_e32 v15, v51, v14
	v_and_b32_e32 v14, 0x7f800000, v15
	v_cmp_ne_u32_e64 s[0:1], s19, v14
                                        ; implicit-def: $vgpr14
	s_and_saveexec_b64 s[12:13], s[0:1]
	s_xor_b64 s[0:1], exec, s[12:13]
; %bb.555:                              ;   in Loop: Header=BB336_431 Depth=1
	v_bfe_u32 v14, v15, 16, 1
	v_add3_u32 v14, v15, v14, s20
                                        ; implicit-def: $vgpr15
; %bb.556:                              ;   in Loop: Header=BB336_431 Depth=1
	s_andn2_saveexec_b64 s[12:13], s[0:1]
; %bb.557:                              ;   in Loop: Header=BB336_431 Depth=1
	v_or_b32_e32 v14, 0x10000, v15
	v_cmp_eq_u32_sdwa s[0:1], v15, v33 src0_sel:WORD_0 src1_sel:DWORD
	s_nop 1
	v_cndmask_b32_e64 v14, v14, v15, s[0:1]
; %bb.558:                              ;   in Loop: Header=BB336_431 Depth=1
	s_or_b64 exec, exec, s[12:13]
	v_lshrrev_b32_e32 v7, 24, v7
	v_cvt_f32_fp8_sdwa v7, v7 src0_sel:BYTE_0
                                        ; implicit-def: $vgpr16
	s_nop 0
	v_mul_f32_e32 v7, v51, v7
	v_and_b32_e32 v15, 0x7f800000, v7
	v_cmp_ne_u32_e64 s[0:1], s19, v15
	s_and_saveexec_b64 s[12:13], s[0:1]
	s_xor_b64 s[0:1], exec, s[12:13]
; %bb.559:                              ;   in Loop: Header=BB336_431 Depth=1
	v_bfe_u32 v15, v7, 16, 1
	v_add3_u32 v16, v7, v15, s20
                                        ; implicit-def: $vgpr7
; %bb.560:                              ;   in Loop: Header=BB336_431 Depth=1
	s_andn2_saveexec_b64 s[12:13], s[0:1]
; %bb.561:                              ;   in Loop: Header=BB336_431 Depth=1
	v_or_b32_e32 v15, 0x10000, v7
	v_cmp_eq_u32_sdwa s[0:1], v7, v33 src0_sel:WORD_0 src1_sel:DWORD
	s_nop 1
	v_cndmask_b32_e64 v16, v15, v7, s[0:1]
; %bb.562:                              ;   in Loop: Header=BB336_431 Depth=1
	s_or_b64 exec, exec, s[12:13]
	v_lshrrev_b32_e32 v7, 16, v13
	v_lshrrev_b32_e32 v12, 16, v12
	;; [unrolled: 1-line block ×8, first 2 shown]
	s_and_saveexec_b64 s[12:13], vcc
	s_cbranch_execz .LBB336_564
; %bb.563:                              ;   in Loop: Header=BB336_431 Depth=1
	scratch_load_dword v16, off, s32 offset:188 ; 4-byte Folded Reload
	v_accvgpr_read_b32 v14, a53
	s_waitcnt vmcnt(0)
	v_cmp_lt_i32_e64 s[0:1], v1, v16
	s_nop 1
	v_cndmask_b32_e64 v15, 0, v15, s[0:1]
	v_cmp_lt_i32_e64 s[0:1], v14, v16
	v_accvgpr_read_b32 v14, a52
	s_nop 0
	v_cndmask_b32_e64 v8, 0, v8, s[0:1]
	v_cmp_lt_i32_e64 s[0:1], v14, v16
	v_accvgpr_read_b32 v14, a51
	;; [unrolled: 4-line block ×6, first 2 shown]
	s_nop 0
	v_cndmask_b32_e64 v6, 0, v6, s[0:1]
	v_cmp_lt_i32_e64 s[0:1], v14, v16
	s_nop 1
	v_cndmask_b32_e64 v0, 0, v0, s[0:1]
.LBB336_564:                            ;   in Loop: Header=BB336_431 Depth=1
	s_or_b64 exec, exec, s[12:13]
	v_lshlrev_b32_e32 v14, 16, v15
	v_mul_f32_e32 v14, v44, v14
	v_and_b32_e32 v15, 0x7f800000, v14
	v_cmp_ne_u32_e64 s[0:1], s19, v15
                                        ; implicit-def: $agpr54
	s_and_saveexec_b64 s[12:13], s[0:1]
	s_xor_b64 s[0:1], exec, s[12:13]
; %bb.565:                              ;   in Loop: Header=BB336_431 Depth=1
	v_bfe_u32 v15, v14, 16, 1
	v_add3_u32 v14, v14, v15, s20
	v_accvgpr_write_b32 a54, v14
                                        ; implicit-def: $vgpr14
; %bb.566:                              ;   in Loop: Header=BB336_431 Depth=1
	s_andn2_saveexec_b64 s[12:13], s[0:1]
; %bb.567:                              ;   in Loop: Header=BB336_431 Depth=1
	v_or_b32_e32 v15, 0x10000, v14
	v_cmp_eq_u32_sdwa s[0:1], v14, v33 src0_sel:WORD_0 src1_sel:DWORD
	s_nop 1
	v_cndmask_b32_e64 v14, v15, v14, s[0:1]
	v_accvgpr_write_b32 a54, v14
; %bb.568:                              ;   in Loop: Header=BB336_431 Depth=1
	s_or_b64 exec, exec, s[12:13]
	v_lshlrev_b32_e32 v8, 16, v8
	v_mul_f32_e32 v8, v50, v8
	v_and_b32_e32 v14, 0x7f800000, v8
	v_cmp_ne_u32_e64 s[0:1], s19, v14
                                        ; implicit-def: $agpr55
	s_and_saveexec_b64 s[12:13], s[0:1]
	s_xor_b64 s[0:1], exec, s[12:13]
; %bb.569:                              ;   in Loop: Header=BB336_431 Depth=1
	v_bfe_u32 v14, v8, 16, 1
	v_add3_u32 v8, v8, v14, s20
	v_accvgpr_write_b32 a55, v8
                                        ; implicit-def: $vgpr8
; %bb.570:                              ;   in Loop: Header=BB336_431 Depth=1
	s_andn2_saveexec_b64 s[12:13], s[0:1]
; %bb.571:                              ;   in Loop: Header=BB336_431 Depth=1
	v_or_b32_e32 v14, 0x10000, v8
	v_cmp_eq_u32_sdwa s[0:1], v8, v33 src0_sel:WORD_0 src1_sel:DWORD
	s_nop 1
	v_cndmask_b32_e64 v8, v14, v8, s[0:1]
	v_accvgpr_write_b32 a55, v8
; %bb.572:                              ;   in Loop: Header=BB336_431 Depth=1
	s_or_b64 exec, exec, s[12:13]
	v_lshlrev_b32_e32 v8, 16, v9
	v_mul_f32_e32 v8, v30, v8
	v_and_b32_e32 v9, 0x7f800000, v8
	v_cmp_ne_u32_e64 s[0:1], s19, v9
                                        ; implicit-def: $agpr56
	s_and_saveexec_b64 s[12:13], s[0:1]
	s_xor_b64 s[0:1], exec, s[12:13]
; %bb.573:                              ;   in Loop: Header=BB336_431 Depth=1
	v_bfe_u32 v9, v8, 16, 1
	v_add3_u32 v8, v8, v9, s20
	v_accvgpr_write_b32 a56, v8
                                        ; implicit-def: $vgpr8
; %bb.574:                              ;   in Loop: Header=BB336_431 Depth=1
	s_andn2_saveexec_b64 s[12:13], s[0:1]
; %bb.575:                              ;   in Loop: Header=BB336_431 Depth=1
	v_or_b32_e32 v9, 0x10000, v8
	v_cmp_eq_u32_sdwa s[0:1], v8, v33 src0_sel:WORD_0 src1_sel:DWORD
	s_nop 1
	v_cndmask_b32_e64 v8, v9, v8, s[0:1]
	v_accvgpr_write_b32 a56, v8
; %bb.576:                              ;   in Loop: Header=BB336_431 Depth=1
	s_or_b64 exec, exec, s[12:13]
	v_lshlrev_b32_e32 v8, 16, v13
	v_mul_f32_e32 v8, v31, v8
	v_and_b32_e32 v9, 0x7f800000, v8
	v_cmp_ne_u32_e64 s[0:1], s19, v9
                                        ; implicit-def: $agpr57
	s_and_saveexec_b64 s[12:13], s[0:1]
	s_xor_b64 s[0:1], exec, s[12:13]
; %bb.577:                              ;   in Loop: Header=BB336_431 Depth=1
	v_bfe_u32 v9, v8, 16, 1
	v_add3_u32 v8, v8, v9, s20
	v_accvgpr_write_b32 a57, v8
                                        ; implicit-def: $vgpr8
; %bb.578:                              ;   in Loop: Header=BB336_431 Depth=1
	s_andn2_saveexec_b64 s[12:13], s[0:1]
; %bb.579:                              ;   in Loop: Header=BB336_431 Depth=1
	v_or_b32_e32 v9, 0x10000, v8
	v_cmp_eq_u32_sdwa s[0:1], v8, v33 src0_sel:WORD_0 src1_sel:DWORD
	s_nop 1
	v_cndmask_b32_e64 v8, v9, v8, s[0:1]
	v_accvgpr_write_b32 a57, v8
; %bb.580:                              ;   in Loop: Header=BB336_431 Depth=1
	s_or_b64 exec, exec, s[12:13]
	v_lshlrev_b32_e32 v8, 16, v12
	v_mul_f32_e32 v8, v26, v8
	v_and_b32_e32 v9, 0x7f800000, v8
	v_cmp_ne_u32_e64 s[0:1], s19, v9
                                        ; implicit-def: $agpr58
	s_and_saveexec_b64 s[12:13], s[0:1]
	s_xor_b64 s[0:1], exec, s[12:13]
; %bb.581:                              ;   in Loop: Header=BB336_431 Depth=1
	v_bfe_u32 v9, v8, 16, 1
	v_add3_u32 v8, v8, v9, s20
	v_accvgpr_write_b32 a58, v8
                                        ; implicit-def: $vgpr8
; %bb.582:                              ;   in Loop: Header=BB336_431 Depth=1
	s_andn2_saveexec_b64 s[12:13], s[0:1]
; %bb.583:                              ;   in Loop: Header=BB336_431 Depth=1
	v_or_b32_e32 v9, 0x10000, v8
	v_cmp_eq_u32_sdwa s[0:1], v8, v33 src0_sel:WORD_0 src1_sel:DWORD
	s_nop 1
	v_cndmask_b32_e64 v8, v9, v8, s[0:1]
	v_accvgpr_write_b32 a58, v8
; %bb.584:                              ;   in Loop: Header=BB336_431 Depth=1
	s_or_b64 exec, exec, s[12:13]
	v_lshlrev_b32_e32 v7, 16, v7
	v_mul_f32_e32 v7, v27, v7
	v_and_b32_e32 v8, 0x7f800000, v7
	v_cmp_ne_u32_e64 s[0:1], s19, v8
                                        ; implicit-def: $agpr59
	s_and_saveexec_b64 s[12:13], s[0:1]
	s_xor_b64 s[0:1], exec, s[12:13]
; %bb.585:                              ;   in Loop: Header=BB336_431 Depth=1
	v_bfe_u32 v8, v7, 16, 1
	v_add3_u32 v7, v7, v8, s20
	v_accvgpr_write_b32 a59, v7
                                        ; implicit-def: $vgpr7
; %bb.586:                              ;   in Loop: Header=BB336_431 Depth=1
	s_andn2_saveexec_b64 s[12:13], s[0:1]
; %bb.587:                              ;   in Loop: Header=BB336_431 Depth=1
	v_or_b32_e32 v8, 0x10000, v7
	v_cmp_eq_u32_sdwa s[0:1], v7, v33 src0_sel:WORD_0 src1_sel:DWORD
	s_nop 1
	v_cndmask_b32_e64 v7, v8, v7, s[0:1]
	v_accvgpr_write_b32 a59, v7
; %bb.588:                              ;   in Loop: Header=BB336_431 Depth=1
	s_or_b64 exec, exec, s[12:13]
	v_lshlrev_b32_e32 v6, 16, v6
	v_mul_f32_e32 v6, v36, v6
	v_and_b32_e32 v7, 0x7f800000, v6
	v_cmp_ne_u32_e64 s[0:1], s19, v7
                                        ; implicit-def: $agpr60
	s_and_saveexec_b64 s[12:13], s[0:1]
	s_xor_b64 s[0:1], exec, s[12:13]
; %bb.589:                              ;   in Loop: Header=BB336_431 Depth=1
	v_bfe_u32 v7, v6, 16, 1
	v_add3_u32 v6, v6, v7, s20
	v_accvgpr_write_b32 a60, v6
                                        ; implicit-def: $vgpr6
; %bb.590:                              ;   in Loop: Header=BB336_431 Depth=1
	s_andn2_saveexec_b64 s[12:13], s[0:1]
; %bb.591:                              ;   in Loop: Header=BB336_431 Depth=1
	v_or_b32_e32 v7, 0x10000, v6
	v_cmp_eq_u32_sdwa s[0:1], v6, v33 src0_sel:WORD_0 src1_sel:DWORD
	s_nop 1
	v_cndmask_b32_e64 v6, v7, v6, s[0:1]
	v_accvgpr_write_b32 a60, v6
; %bb.592:                              ;   in Loop: Header=BB336_431 Depth=1
	s_or_b64 exec, exec, s[12:13]
	v_lshlrev_b32_e32 v0, 16, v0
	v_mul_f32_e32 v0, v37, v0
	v_and_b32_e32 v6, 0x7f800000, v0
	v_cmp_ne_u32_e64 s[0:1], s19, v6
                                        ; implicit-def: $agpr61
	s_and_saveexec_b64 s[12:13], s[0:1]
	s_xor_b64 s[0:1], exec, s[12:13]
; %bb.593:                              ;   in Loop: Header=BB336_431 Depth=1
	v_bfe_u32 v6, v0, 16, 1
	v_add3_u32 v0, v0, v6, s20
	v_accvgpr_write_b32 a61, v0
                                        ; implicit-def: $vgpr0
; %bb.594:                              ;   in Loop: Header=BB336_431 Depth=1
	s_andn2_saveexec_b64 s[12:13], s[0:1]
; %bb.595:                              ;   in Loop: Header=BB336_431 Depth=1
	v_or_b32_e32 v6, 0x10000, v0
	v_cmp_eq_u32_sdwa s[0:1], v0, v33 src0_sel:WORD_0 src1_sel:DWORD
	s_nop 1
	v_cndmask_b32_e64 v0, v6, v0, s[0:1]
	v_accvgpr_write_b32 a61, v0
; %bb.596:                              ;   in Loop: Header=BB336_431 Depth=1
	s_or_b64 exec, exec, s[12:13]
	flat_load_dwordx2 v[6:7], v[4:5] offset:1024
	s_waitcnt vmcnt(0) lgkmcnt(0)
	v_and_b32_e32 v0, 0xff, v6
	v_cvt_f32_fp8_sdwa v0, v0 src0_sel:BYTE_0
	s_nop 0
	v_mul_f32_e32 v8, v51, v0
	v_and_b32_e32 v0, 0x7f800000, v8
	v_cmp_ne_u32_e64 s[0:1], s19, v0
                                        ; implicit-def: $vgpr0
	s_and_saveexec_b64 s[12:13], s[0:1]
	s_xor_b64 s[0:1], exec, s[12:13]
; %bb.597:                              ;   in Loop: Header=BB336_431 Depth=1
	v_bfe_u32 v0, v8, 16, 1
	v_add3_u32 v0, v8, v0, s20
                                        ; implicit-def: $vgpr8
; %bb.598:                              ;   in Loop: Header=BB336_431 Depth=1
	s_andn2_saveexec_b64 s[12:13], s[0:1]
; %bb.599:                              ;   in Loop: Header=BB336_431 Depth=1
	v_or_b32_e32 v0, 0x10000, v8
	v_cmp_eq_u32_sdwa s[0:1], v8, v33 src0_sel:WORD_0 src1_sel:DWORD
	s_nop 1
	v_cndmask_b32_e64 v0, v0, v8, s[0:1]
; %bb.600:                              ;   in Loop: Header=BB336_431 Depth=1
	s_or_b64 exec, exec, s[12:13]
	v_bfe_u32 v8, v6, 8, 8
	v_cvt_f32_fp8_sdwa v8, v8 src0_sel:BYTE_0
	s_nop 0
	v_mul_f32_e32 v9, v51, v8
	v_and_b32_e32 v8, 0x7f800000, v9
	v_cmp_ne_u32_e64 s[0:1], s19, v8
                                        ; implicit-def: $vgpr8
	s_and_saveexec_b64 s[12:13], s[0:1]
	s_xor_b64 s[0:1], exec, s[12:13]
; %bb.601:                              ;   in Loop: Header=BB336_431 Depth=1
	v_bfe_u32 v8, v9, 16, 1
	v_add3_u32 v8, v9, v8, s20
                                        ; implicit-def: $vgpr9
; %bb.602:                              ;   in Loop: Header=BB336_431 Depth=1
	s_andn2_saveexec_b64 s[12:13], s[0:1]
; %bb.603:                              ;   in Loop: Header=BB336_431 Depth=1
	v_or_b32_e32 v8, 0x10000, v9
	v_cmp_eq_u32_sdwa s[0:1], v9, v33 src0_sel:WORD_0 src1_sel:DWORD
	s_nop 1
	v_cndmask_b32_e64 v8, v8, v9, s[0:1]
; %bb.604:                              ;   in Loop: Header=BB336_431 Depth=1
	s_or_b64 exec, exec, s[12:13]
	v_bfe_u32 v9, v6, 16, 8
	v_cvt_f32_fp8_sdwa v9, v9 src0_sel:BYTE_0
	s_nop 0
	v_mul_f32_e32 v12, v51, v9
	v_and_b32_e32 v9, 0x7f800000, v12
	v_cmp_ne_u32_e64 s[0:1], s19, v9
                                        ; implicit-def: $vgpr9
	s_and_saveexec_b64 s[12:13], s[0:1]
	s_xor_b64 s[0:1], exec, s[12:13]
; %bb.605:                              ;   in Loop: Header=BB336_431 Depth=1
	v_bfe_u32 v9, v12, 16, 1
	v_add3_u32 v9, v12, v9, s20
                                        ; implicit-def: $vgpr12
; %bb.606:                              ;   in Loop: Header=BB336_431 Depth=1
	s_andn2_saveexec_b64 s[12:13], s[0:1]
; %bb.607:                              ;   in Loop: Header=BB336_431 Depth=1
	v_or_b32_e32 v9, 0x10000, v12
	v_cmp_eq_u32_sdwa s[0:1], v12, v33 src0_sel:WORD_0 src1_sel:DWORD
	s_nop 1
	v_cndmask_b32_e64 v9, v9, v12, s[0:1]
; %bb.608:                              ;   in Loop: Header=BB336_431 Depth=1
	s_or_b64 exec, exec, s[12:13]
	v_lshrrev_b32_e32 v6, 24, v6
	v_cvt_f32_fp8_sdwa v6, v6 src0_sel:BYTE_0
	s_nop 0
	v_mul_f32_e32 v12, v51, v6
	v_and_b32_e32 v6, 0x7f800000, v12
	v_cmp_ne_u32_e64 s[0:1], s19, v6
                                        ; implicit-def: $vgpr6
	s_and_saveexec_b64 s[12:13], s[0:1]
	s_xor_b64 s[0:1], exec, s[12:13]
; %bb.609:                              ;   in Loop: Header=BB336_431 Depth=1
	v_bfe_u32 v6, v12, 16, 1
	v_add3_u32 v6, v12, v6, s20
                                        ; implicit-def: $vgpr12
; %bb.610:                              ;   in Loop: Header=BB336_431 Depth=1
	s_andn2_saveexec_b64 s[12:13], s[0:1]
; %bb.611:                              ;   in Loop: Header=BB336_431 Depth=1
	v_or_b32_e32 v6, 0x10000, v12
	v_cmp_eq_u32_sdwa s[0:1], v12, v33 src0_sel:WORD_0 src1_sel:DWORD
	s_nop 1
	v_cndmask_b32_e64 v6, v6, v12, s[0:1]
; %bb.612:                              ;   in Loop: Header=BB336_431 Depth=1
	s_or_b64 exec, exec, s[12:13]
	v_and_b32_e32 v12, 0xff, v7
	v_cvt_f32_fp8_sdwa v12, v12 src0_sel:BYTE_0
	s_nop 0
	v_mul_f32_e32 v13, v51, v12
	v_and_b32_e32 v12, 0x7f800000, v13
	v_cmp_ne_u32_e64 s[0:1], s19, v12
                                        ; implicit-def: $vgpr12
	s_and_saveexec_b64 s[12:13], s[0:1]
	s_xor_b64 s[0:1], exec, s[12:13]
; %bb.613:                              ;   in Loop: Header=BB336_431 Depth=1
	v_bfe_u32 v12, v13, 16, 1
	v_add3_u32 v12, v13, v12, s20
                                        ; implicit-def: $vgpr13
; %bb.614:                              ;   in Loop: Header=BB336_431 Depth=1
	s_andn2_saveexec_b64 s[12:13], s[0:1]
; %bb.615:                              ;   in Loop: Header=BB336_431 Depth=1
	v_or_b32_e32 v12, 0x10000, v13
	v_cmp_eq_u32_sdwa s[0:1], v13, v33 src0_sel:WORD_0 src1_sel:DWORD
	s_nop 1
	v_cndmask_b32_e64 v12, v12, v13, s[0:1]
; %bb.616:                              ;   in Loop: Header=BB336_431 Depth=1
	s_or_b64 exec, exec, s[12:13]
	v_bfe_u32 v13, v7, 8, 8
	v_cvt_f32_fp8_sdwa v13, v13 src0_sel:BYTE_0
	s_nop 0
	v_mul_f32_e32 v14, v51, v13
	v_and_b32_e32 v13, 0x7f800000, v14
	v_cmp_ne_u32_e64 s[0:1], s19, v13
                                        ; implicit-def: $vgpr13
	s_and_saveexec_b64 s[12:13], s[0:1]
	s_xor_b64 s[0:1], exec, s[12:13]
; %bb.617:                              ;   in Loop: Header=BB336_431 Depth=1
	v_bfe_u32 v13, v14, 16, 1
	v_add3_u32 v13, v14, v13, s20
                                        ; implicit-def: $vgpr14
; %bb.618:                              ;   in Loop: Header=BB336_431 Depth=1
	s_andn2_saveexec_b64 s[12:13], s[0:1]
; %bb.619:                              ;   in Loop: Header=BB336_431 Depth=1
	v_or_b32_e32 v13, 0x10000, v14
	v_cmp_eq_u32_sdwa s[0:1], v14, v33 src0_sel:WORD_0 src1_sel:DWORD
	s_nop 1
	v_cndmask_b32_e64 v13, v13, v14, s[0:1]
; %bb.620:                              ;   in Loop: Header=BB336_431 Depth=1
	s_or_b64 exec, exec, s[12:13]
	v_bfe_u32 v14, v7, 16, 8
	v_cvt_f32_fp8_sdwa v14, v14 src0_sel:BYTE_0
	s_nop 0
	v_mul_f32_e32 v15, v51, v14
	v_and_b32_e32 v14, 0x7f800000, v15
	v_cmp_ne_u32_e64 s[0:1], s19, v14
                                        ; implicit-def: $vgpr14
	s_and_saveexec_b64 s[12:13], s[0:1]
	s_xor_b64 s[0:1], exec, s[12:13]
; %bb.621:                              ;   in Loop: Header=BB336_431 Depth=1
	v_bfe_u32 v14, v15, 16, 1
	v_add3_u32 v14, v15, v14, s20
                                        ; implicit-def: $vgpr15
; %bb.622:                              ;   in Loop: Header=BB336_431 Depth=1
	s_andn2_saveexec_b64 s[12:13], s[0:1]
; %bb.623:                              ;   in Loop: Header=BB336_431 Depth=1
	v_or_b32_e32 v14, 0x10000, v15
	v_cmp_eq_u32_sdwa s[0:1], v15, v33 src0_sel:WORD_0 src1_sel:DWORD
	s_nop 1
	v_cndmask_b32_e64 v14, v14, v15, s[0:1]
; %bb.624:                              ;   in Loop: Header=BB336_431 Depth=1
	s_or_b64 exec, exec, s[12:13]
	v_lshrrev_b32_e32 v7, 24, v7
	v_cvt_f32_fp8_sdwa v7, v7 src0_sel:BYTE_0
                                        ; implicit-def: $vgpr16
	s_nop 0
	v_mul_f32_e32 v7, v51, v7
	v_and_b32_e32 v15, 0x7f800000, v7
	v_cmp_ne_u32_e64 s[0:1], s19, v15
	s_and_saveexec_b64 s[12:13], s[0:1]
	s_xor_b64 s[0:1], exec, s[12:13]
; %bb.625:                              ;   in Loop: Header=BB336_431 Depth=1
	v_bfe_u32 v15, v7, 16, 1
	v_add3_u32 v16, v7, v15, s20
                                        ; implicit-def: $vgpr7
; %bb.626:                              ;   in Loop: Header=BB336_431 Depth=1
	s_andn2_saveexec_b64 s[12:13], s[0:1]
; %bb.627:                              ;   in Loop: Header=BB336_431 Depth=1
	v_or_b32_e32 v15, 0x10000, v7
	v_cmp_eq_u32_sdwa s[0:1], v7, v33 src0_sel:WORD_0 src1_sel:DWORD
	s_nop 1
	v_cndmask_b32_e64 v16, v15, v7, s[0:1]
; %bb.628:                              ;   in Loop: Header=BB336_431 Depth=1
	s_or_b64 exec, exec, s[12:13]
	v_lshrrev_b32_e32 v7, 16, v13
	v_lshrrev_b32_e32 v12, 16, v12
	;; [unrolled: 1-line block ×8, first 2 shown]
	s_and_saveexec_b64 s[12:13], vcc
	s_cbranch_execz .LBB336_630
; %bb.629:                              ;   in Loop: Header=BB336_431 Depth=1
	scratch_load_dword v16, off, s32 offset:188 ; 4-byte Folded Reload
	v_accvgpr_read_b32 v14, a53
	s_waitcnt vmcnt(0)
	v_cmp_lt_i32_e64 s[0:1], v1, v16
	s_nop 1
	v_cndmask_b32_e64 v15, 0, v15, s[0:1]
	v_cmp_lt_i32_e64 s[0:1], v14, v16
	v_accvgpr_read_b32 v14, a52
	s_nop 0
	v_cndmask_b32_e64 v8, 0, v8, s[0:1]
	v_cmp_lt_i32_e64 s[0:1], v14, v16
	v_accvgpr_read_b32 v14, a51
	;; [unrolled: 4-line block ×6, first 2 shown]
	s_nop 0
	v_cndmask_b32_e64 v6, 0, v6, s[0:1]
	v_cmp_lt_i32_e64 s[0:1], v14, v16
	s_nop 1
	v_cndmask_b32_e64 v0, 0, v0, s[0:1]
.LBB336_630:                            ;   in Loop: Header=BB336_431 Depth=1
	s_or_b64 exec, exec, s[12:13]
	v_lshlrev_b32_e32 v14, 16, v15
	v_mul_f32_e32 v14, v44, v14
	v_and_b32_e32 v15, 0x7f800000, v14
	v_cmp_ne_u32_e64 s[0:1], s19, v15
                                        ; implicit-def: $agpr62
	s_and_saveexec_b64 s[12:13], s[0:1]
	s_xor_b64 s[0:1], exec, s[12:13]
; %bb.631:                              ;   in Loop: Header=BB336_431 Depth=1
	v_bfe_u32 v15, v14, 16, 1
	v_add3_u32 v14, v14, v15, s20
	v_accvgpr_write_b32 a62, v14
                                        ; implicit-def: $vgpr14
; %bb.632:                              ;   in Loop: Header=BB336_431 Depth=1
	s_andn2_saveexec_b64 s[12:13], s[0:1]
; %bb.633:                              ;   in Loop: Header=BB336_431 Depth=1
	v_or_b32_e32 v15, 0x10000, v14
	v_cmp_eq_u32_sdwa s[0:1], v14, v33 src0_sel:WORD_0 src1_sel:DWORD
	s_nop 1
	v_cndmask_b32_e64 v14, v15, v14, s[0:1]
	v_accvgpr_write_b32 a62, v14
; %bb.634:                              ;   in Loop: Header=BB336_431 Depth=1
	s_or_b64 exec, exec, s[12:13]
	v_lshlrev_b32_e32 v8, 16, v8
	v_mul_f32_e32 v8, v50, v8
	v_and_b32_e32 v14, 0x7f800000, v8
	v_cmp_ne_u32_e64 s[0:1], s19, v14
                                        ; implicit-def: $agpr63
	s_and_saveexec_b64 s[12:13], s[0:1]
	s_xor_b64 s[0:1], exec, s[12:13]
; %bb.635:                              ;   in Loop: Header=BB336_431 Depth=1
	v_bfe_u32 v14, v8, 16, 1
	v_add3_u32 v8, v8, v14, s20
	v_accvgpr_write_b32 a63, v8
                                        ; implicit-def: $vgpr8
; %bb.636:                              ;   in Loop: Header=BB336_431 Depth=1
	s_andn2_saveexec_b64 s[12:13], s[0:1]
; %bb.637:                              ;   in Loop: Header=BB336_431 Depth=1
	v_or_b32_e32 v14, 0x10000, v8
	v_cmp_eq_u32_sdwa s[0:1], v8, v33 src0_sel:WORD_0 src1_sel:DWORD
	s_nop 1
	v_cndmask_b32_e64 v8, v14, v8, s[0:1]
	v_accvgpr_write_b32 a63, v8
; %bb.638:                              ;   in Loop: Header=BB336_431 Depth=1
	s_or_b64 exec, exec, s[12:13]
	v_lshlrev_b32_e32 v8, 16, v9
	v_mul_f32_e32 v8, v30, v8
	v_and_b32_e32 v9, 0x7f800000, v8
	v_cmp_ne_u32_e64 s[0:1], s19, v9
                                        ; implicit-def: $agpr16
	s_and_saveexec_b64 s[12:13], s[0:1]
	s_xor_b64 s[0:1], exec, s[12:13]
; %bb.639:                              ;   in Loop: Header=BB336_431 Depth=1
	v_bfe_u32 v9, v8, 16, 1
	v_add3_u32 v8, v8, v9, s20
	v_accvgpr_write_b32 a16, v8
                                        ; implicit-def: $vgpr8
; %bb.640:                              ;   in Loop: Header=BB336_431 Depth=1
	s_andn2_saveexec_b64 s[12:13], s[0:1]
; %bb.641:                              ;   in Loop: Header=BB336_431 Depth=1
	v_or_b32_e32 v9, 0x10000, v8
	v_cmp_eq_u32_sdwa s[0:1], v8, v33 src0_sel:WORD_0 src1_sel:DWORD
	s_nop 1
	v_cndmask_b32_e64 v8, v9, v8, s[0:1]
	v_accvgpr_write_b32 a16, v8
; %bb.642:                              ;   in Loop: Header=BB336_431 Depth=1
	s_or_b64 exec, exec, s[12:13]
	v_lshlrev_b32_e32 v8, 16, v13
	v_mul_f32_e32 v8, v31, v8
	v_and_b32_e32 v9, 0x7f800000, v8
	v_cmp_ne_u32_e64 s[0:1], s19, v9
                                        ; implicit-def: $agpr17
	s_and_saveexec_b64 s[12:13], s[0:1]
	s_xor_b64 s[0:1], exec, s[12:13]
; %bb.643:                              ;   in Loop: Header=BB336_431 Depth=1
	v_bfe_u32 v9, v8, 16, 1
	v_add3_u32 v8, v8, v9, s20
	v_accvgpr_write_b32 a17, v8
                                        ; implicit-def: $vgpr8
; %bb.644:                              ;   in Loop: Header=BB336_431 Depth=1
	s_andn2_saveexec_b64 s[12:13], s[0:1]
; %bb.645:                              ;   in Loop: Header=BB336_431 Depth=1
	v_or_b32_e32 v9, 0x10000, v8
	v_cmp_eq_u32_sdwa s[0:1], v8, v33 src0_sel:WORD_0 src1_sel:DWORD
	s_nop 1
	v_cndmask_b32_e64 v8, v9, v8, s[0:1]
	v_accvgpr_write_b32 a17, v8
; %bb.646:                              ;   in Loop: Header=BB336_431 Depth=1
	s_or_b64 exec, exec, s[12:13]
	v_lshlrev_b32_e32 v8, 16, v12
	v_mul_f32_e32 v8, v26, v8
	v_and_b32_e32 v9, 0x7f800000, v8
	v_cmp_ne_u32_e64 s[0:1], s19, v9
                                        ; implicit-def: $agpr15
	s_and_saveexec_b64 s[12:13], s[0:1]
	s_xor_b64 s[0:1], exec, s[12:13]
; %bb.647:                              ;   in Loop: Header=BB336_431 Depth=1
	v_bfe_u32 v9, v8, 16, 1
	v_add3_u32 v8, v8, v9, s20
	v_accvgpr_write_b32 a15, v8
                                        ; implicit-def: $vgpr8
; %bb.648:                              ;   in Loop: Header=BB336_431 Depth=1
	s_andn2_saveexec_b64 s[12:13], s[0:1]
; %bb.649:                              ;   in Loop: Header=BB336_431 Depth=1
	v_or_b32_e32 v9, 0x10000, v8
	v_cmp_eq_u32_sdwa s[0:1], v8, v33 src0_sel:WORD_0 src1_sel:DWORD
	s_nop 1
	v_cndmask_b32_e64 v8, v9, v8, s[0:1]
	v_accvgpr_write_b32 a15, v8
; %bb.650:                              ;   in Loop: Header=BB336_431 Depth=1
	s_or_b64 exec, exec, s[12:13]
	v_lshlrev_b32_e32 v7, 16, v7
	v_mul_f32_e32 v7, v27, v7
	v_and_b32_e32 v8, 0x7f800000, v7
	v_cmp_ne_u32_e64 s[0:1], s19, v8
                                        ; implicit-def: $agpr14
	s_and_saveexec_b64 s[12:13], s[0:1]
	s_xor_b64 s[0:1], exec, s[12:13]
; %bb.651:                              ;   in Loop: Header=BB336_431 Depth=1
	v_bfe_u32 v8, v7, 16, 1
	v_add3_u32 v7, v7, v8, s20
	v_accvgpr_write_b32 a14, v7
                                        ; implicit-def: $vgpr7
; %bb.652:                              ;   in Loop: Header=BB336_431 Depth=1
	s_andn2_saveexec_b64 s[12:13], s[0:1]
; %bb.653:                              ;   in Loop: Header=BB336_431 Depth=1
	v_or_b32_e32 v8, 0x10000, v7
	v_cmp_eq_u32_sdwa s[0:1], v7, v33 src0_sel:WORD_0 src1_sel:DWORD
	s_nop 1
	v_cndmask_b32_e64 v7, v8, v7, s[0:1]
	v_accvgpr_write_b32 a14, v7
; %bb.654:                              ;   in Loop: Header=BB336_431 Depth=1
	s_or_b64 exec, exec, s[12:13]
	v_lshlrev_b32_e32 v6, 16, v6
	v_mul_f32_e32 v6, v36, v6
	v_and_b32_e32 v7, 0x7f800000, v6
	v_cmp_ne_u32_e64 s[0:1], s19, v7
                                        ; implicit-def: $agpr0
	s_and_saveexec_b64 s[12:13], s[0:1]
	s_xor_b64 s[0:1], exec, s[12:13]
; %bb.655:                              ;   in Loop: Header=BB336_431 Depth=1
	v_bfe_u32 v7, v6, 16, 1
	v_add3_u32 v6, v6, v7, s20
	v_accvgpr_write_b32 a0, v6
                                        ; implicit-def: $vgpr6
; %bb.656:                              ;   in Loop: Header=BB336_431 Depth=1
	s_andn2_saveexec_b64 s[12:13], s[0:1]
; %bb.657:                              ;   in Loop: Header=BB336_431 Depth=1
	v_or_b32_e32 v7, 0x10000, v6
	v_cmp_eq_u32_sdwa s[0:1], v6, v33 src0_sel:WORD_0 src1_sel:DWORD
	s_nop 1
	v_cndmask_b32_e64 v6, v7, v6, s[0:1]
	v_accvgpr_write_b32 a0, v6
; %bb.658:                              ;   in Loop: Header=BB336_431 Depth=1
	s_or_b64 exec, exec, s[12:13]
	v_lshlrev_b32_e32 v0, 16, v0
	v_mul_f32_e32 v0, v37, v0
	v_and_b32_e32 v6, 0x7f800000, v0
	v_cmp_ne_u32_e64 s[0:1], s19, v6
                                        ; implicit-def: $agpr1
	s_and_saveexec_b64 s[12:13], s[0:1]
	s_xor_b64 s[0:1], exec, s[12:13]
; %bb.659:                              ;   in Loop: Header=BB336_431 Depth=1
	v_bfe_u32 v6, v0, 16, 1
	v_add3_u32 v0, v0, v6, s20
	v_accvgpr_write_b32 a1, v0
                                        ; implicit-def: $vgpr0
; %bb.660:                              ;   in Loop: Header=BB336_431 Depth=1
	s_andn2_saveexec_b64 s[12:13], s[0:1]
; %bb.661:                              ;   in Loop: Header=BB336_431 Depth=1
	v_or_b32_e32 v6, 0x10000, v0
	v_cmp_eq_u32_sdwa s[0:1], v0, v33 src0_sel:WORD_0 src1_sel:DWORD
	s_nop 1
	v_cndmask_b32_e64 v0, v6, v0, s[0:1]
	v_accvgpr_write_b32 a1, v0
; %bb.662:                              ;   in Loop: Header=BB336_431 Depth=1
	s_or_b64 exec, exec, s[12:13]
	flat_load_dwordx2 v[6:7], v[4:5] offset:1536
	s_waitcnt vmcnt(0) lgkmcnt(0)
	v_and_b32_e32 v0, 0xff, v6
	v_cvt_f32_fp8_sdwa v0, v0 src0_sel:BYTE_0
	s_nop 0
	v_mul_f32_e32 v8, v51, v0
	v_and_b32_e32 v0, 0x7f800000, v8
	v_cmp_ne_u32_e64 s[0:1], s19, v0
                                        ; implicit-def: $vgpr0
	s_and_saveexec_b64 s[12:13], s[0:1]
	s_xor_b64 s[0:1], exec, s[12:13]
; %bb.663:                              ;   in Loop: Header=BB336_431 Depth=1
	v_bfe_u32 v0, v8, 16, 1
	v_add3_u32 v0, v8, v0, s20
                                        ; implicit-def: $vgpr8
; %bb.664:                              ;   in Loop: Header=BB336_431 Depth=1
	s_andn2_saveexec_b64 s[12:13], s[0:1]
; %bb.665:                              ;   in Loop: Header=BB336_431 Depth=1
	v_or_b32_e32 v0, 0x10000, v8
	v_cmp_eq_u32_sdwa s[0:1], v8, v33 src0_sel:WORD_0 src1_sel:DWORD
	s_nop 1
	v_cndmask_b32_e64 v0, v0, v8, s[0:1]
; %bb.666:                              ;   in Loop: Header=BB336_431 Depth=1
	s_or_b64 exec, exec, s[12:13]
	v_bfe_u32 v8, v6, 8, 8
	v_cvt_f32_fp8_sdwa v8, v8 src0_sel:BYTE_0
	s_nop 0
	v_mul_f32_e32 v9, v51, v8
	v_and_b32_e32 v8, 0x7f800000, v9
	v_cmp_ne_u32_e64 s[0:1], s19, v8
                                        ; implicit-def: $vgpr8
	s_and_saveexec_b64 s[12:13], s[0:1]
	s_xor_b64 s[0:1], exec, s[12:13]
; %bb.667:                              ;   in Loop: Header=BB336_431 Depth=1
	v_bfe_u32 v8, v9, 16, 1
	v_add3_u32 v8, v9, v8, s20
                                        ; implicit-def: $vgpr9
; %bb.668:                              ;   in Loop: Header=BB336_431 Depth=1
	s_andn2_saveexec_b64 s[12:13], s[0:1]
; %bb.669:                              ;   in Loop: Header=BB336_431 Depth=1
	v_or_b32_e32 v8, 0x10000, v9
	v_cmp_eq_u32_sdwa s[0:1], v9, v33 src0_sel:WORD_0 src1_sel:DWORD
	s_nop 1
	v_cndmask_b32_e64 v8, v8, v9, s[0:1]
; %bb.670:                              ;   in Loop: Header=BB336_431 Depth=1
	s_or_b64 exec, exec, s[12:13]
	v_bfe_u32 v9, v6, 16, 8
	v_cvt_f32_fp8_sdwa v9, v9 src0_sel:BYTE_0
	s_nop 0
	v_mul_f32_e32 v12, v51, v9
	v_and_b32_e32 v9, 0x7f800000, v12
	v_cmp_ne_u32_e64 s[0:1], s19, v9
                                        ; implicit-def: $vgpr9
	s_and_saveexec_b64 s[12:13], s[0:1]
	s_xor_b64 s[0:1], exec, s[12:13]
; %bb.671:                              ;   in Loop: Header=BB336_431 Depth=1
	v_bfe_u32 v9, v12, 16, 1
	v_add3_u32 v9, v12, v9, s20
                                        ; implicit-def: $vgpr12
; %bb.672:                              ;   in Loop: Header=BB336_431 Depth=1
	s_andn2_saveexec_b64 s[12:13], s[0:1]
; %bb.673:                              ;   in Loop: Header=BB336_431 Depth=1
	v_or_b32_e32 v9, 0x10000, v12
	v_cmp_eq_u32_sdwa s[0:1], v12, v33 src0_sel:WORD_0 src1_sel:DWORD
	s_nop 1
	v_cndmask_b32_e64 v9, v9, v12, s[0:1]
; %bb.674:                              ;   in Loop: Header=BB336_431 Depth=1
	s_or_b64 exec, exec, s[12:13]
	v_lshrrev_b32_e32 v6, 24, v6
	v_cvt_f32_fp8_sdwa v6, v6 src0_sel:BYTE_0
	s_nop 0
	v_mul_f32_e32 v12, v51, v6
	v_and_b32_e32 v6, 0x7f800000, v12
	v_cmp_ne_u32_e64 s[0:1], s19, v6
                                        ; implicit-def: $vgpr6
	s_and_saveexec_b64 s[12:13], s[0:1]
	s_xor_b64 s[0:1], exec, s[12:13]
; %bb.675:                              ;   in Loop: Header=BB336_431 Depth=1
	v_bfe_u32 v6, v12, 16, 1
	v_add3_u32 v6, v12, v6, s20
                                        ; implicit-def: $vgpr12
; %bb.676:                              ;   in Loop: Header=BB336_431 Depth=1
	s_andn2_saveexec_b64 s[12:13], s[0:1]
; %bb.677:                              ;   in Loop: Header=BB336_431 Depth=1
	v_or_b32_e32 v6, 0x10000, v12
	v_cmp_eq_u32_sdwa s[0:1], v12, v33 src0_sel:WORD_0 src1_sel:DWORD
	s_nop 1
	v_cndmask_b32_e64 v6, v6, v12, s[0:1]
; %bb.678:                              ;   in Loop: Header=BB336_431 Depth=1
	s_or_b64 exec, exec, s[12:13]
	v_and_b32_e32 v12, 0xff, v7
	v_cvt_f32_fp8_sdwa v12, v12 src0_sel:BYTE_0
	s_nop 0
	v_mul_f32_e32 v13, v51, v12
	v_and_b32_e32 v12, 0x7f800000, v13
	v_cmp_ne_u32_e64 s[0:1], s19, v12
                                        ; implicit-def: $vgpr12
	s_and_saveexec_b64 s[12:13], s[0:1]
	s_xor_b64 s[0:1], exec, s[12:13]
; %bb.679:                              ;   in Loop: Header=BB336_431 Depth=1
	v_bfe_u32 v12, v13, 16, 1
	v_add3_u32 v12, v13, v12, s20
                                        ; implicit-def: $vgpr13
; %bb.680:                              ;   in Loop: Header=BB336_431 Depth=1
	s_andn2_saveexec_b64 s[12:13], s[0:1]
; %bb.681:                              ;   in Loop: Header=BB336_431 Depth=1
	v_or_b32_e32 v12, 0x10000, v13
	v_cmp_eq_u32_sdwa s[0:1], v13, v33 src0_sel:WORD_0 src1_sel:DWORD
	s_nop 1
	v_cndmask_b32_e64 v12, v12, v13, s[0:1]
; %bb.682:                              ;   in Loop: Header=BB336_431 Depth=1
	s_or_b64 exec, exec, s[12:13]
	v_bfe_u32 v13, v7, 8, 8
	v_cvt_f32_fp8_sdwa v13, v13 src0_sel:BYTE_0
	s_nop 0
	v_mul_f32_e32 v14, v51, v13
	v_and_b32_e32 v13, 0x7f800000, v14
	v_cmp_ne_u32_e64 s[0:1], s19, v13
                                        ; implicit-def: $vgpr13
	s_and_saveexec_b64 s[12:13], s[0:1]
	s_xor_b64 s[0:1], exec, s[12:13]
; %bb.683:                              ;   in Loop: Header=BB336_431 Depth=1
	v_bfe_u32 v13, v14, 16, 1
	v_add3_u32 v13, v14, v13, s20
                                        ; implicit-def: $vgpr14
; %bb.684:                              ;   in Loop: Header=BB336_431 Depth=1
	s_andn2_saveexec_b64 s[12:13], s[0:1]
; %bb.685:                              ;   in Loop: Header=BB336_431 Depth=1
	v_or_b32_e32 v13, 0x10000, v14
	v_cmp_eq_u32_sdwa s[0:1], v14, v33 src0_sel:WORD_0 src1_sel:DWORD
	s_nop 1
	v_cndmask_b32_e64 v13, v13, v14, s[0:1]
; %bb.686:                              ;   in Loop: Header=BB336_431 Depth=1
	s_or_b64 exec, exec, s[12:13]
	v_bfe_u32 v14, v7, 16, 8
	v_cvt_f32_fp8_sdwa v14, v14 src0_sel:BYTE_0
	s_nop 0
	v_mul_f32_e32 v15, v51, v14
	v_and_b32_e32 v14, 0x7f800000, v15
	v_cmp_ne_u32_e64 s[0:1], s19, v14
                                        ; implicit-def: $vgpr14
	s_and_saveexec_b64 s[12:13], s[0:1]
	s_xor_b64 s[0:1], exec, s[12:13]
; %bb.687:                              ;   in Loop: Header=BB336_431 Depth=1
	v_bfe_u32 v14, v15, 16, 1
	v_add3_u32 v14, v15, v14, s20
                                        ; implicit-def: $vgpr15
; %bb.688:                              ;   in Loop: Header=BB336_431 Depth=1
	s_andn2_saveexec_b64 s[12:13], s[0:1]
; %bb.689:                              ;   in Loop: Header=BB336_431 Depth=1
	v_or_b32_e32 v14, 0x10000, v15
	v_cmp_eq_u32_sdwa s[0:1], v15, v33 src0_sel:WORD_0 src1_sel:DWORD
	s_nop 1
	v_cndmask_b32_e64 v14, v14, v15, s[0:1]
; %bb.690:                              ;   in Loop: Header=BB336_431 Depth=1
	s_or_b64 exec, exec, s[12:13]
	v_lshrrev_b32_e32 v7, 24, v7
	v_cvt_f32_fp8_sdwa v7, v7 src0_sel:BYTE_0
                                        ; implicit-def: $vgpr16
	s_nop 0
	v_mul_f32_e32 v7, v51, v7
	v_and_b32_e32 v15, 0x7f800000, v7
	v_cmp_ne_u32_e64 s[0:1], s19, v15
	s_and_saveexec_b64 s[12:13], s[0:1]
	s_xor_b64 s[0:1], exec, s[12:13]
; %bb.691:                              ;   in Loop: Header=BB336_431 Depth=1
	v_bfe_u32 v15, v7, 16, 1
	v_add3_u32 v16, v7, v15, s20
                                        ; implicit-def: $vgpr7
; %bb.692:                              ;   in Loop: Header=BB336_431 Depth=1
	s_andn2_saveexec_b64 s[12:13], s[0:1]
; %bb.693:                              ;   in Loop: Header=BB336_431 Depth=1
	v_or_b32_e32 v15, 0x10000, v7
	v_cmp_eq_u32_sdwa s[0:1], v7, v33 src0_sel:WORD_0 src1_sel:DWORD
	s_nop 1
	v_cndmask_b32_e64 v16, v15, v7, s[0:1]
; %bb.694:                              ;   in Loop: Header=BB336_431 Depth=1
	s_or_b64 exec, exec, s[12:13]
	v_lshrrev_b32_e32 v7, 16, v13
	v_lshrrev_b32_e32 v12, 16, v12
	v_lshrrev_b32_e32 v13, 16, v6
	v_lshrrev_b32_e32 v9, 16, v9
	v_lshrrev_b32_e32 v8, 16, v8
	v_lshrrev_b32_e32 v15, 16, v0
	v_lshrrev_b32_e32 v6, 16, v14
	v_lshrrev_b32_e32 v0, 16, v16
	s_and_saveexec_b64 s[12:13], vcc
	s_cbranch_execz .LBB336_696
; %bb.695:                              ;   in Loop: Header=BB336_431 Depth=1
	scratch_load_dword v16, off, s32 offset:188 ; 4-byte Folded Reload
	v_accvgpr_read_b32 v14, a53
	s_waitcnt vmcnt(0)
	v_cmp_lt_i32_e64 s[0:1], v1, v16
	s_nop 1
	v_cndmask_b32_e64 v15, 0, v15, s[0:1]
	v_cmp_lt_i32_e64 s[0:1], v14, v16
	v_accvgpr_read_b32 v14, a52
	s_nop 0
	v_cndmask_b32_e64 v8, 0, v8, s[0:1]
	v_cmp_lt_i32_e64 s[0:1], v14, v16
	v_accvgpr_read_b32 v14, a51
	;; [unrolled: 4-line block ×6, first 2 shown]
	s_nop 0
	v_cndmask_b32_e64 v6, 0, v6, s[0:1]
	v_cmp_lt_i32_e64 s[0:1], v14, v16
	s_nop 1
	v_cndmask_b32_e64 v0, 0, v0, s[0:1]
.LBB336_696:                            ;   in Loop: Header=BB336_431 Depth=1
	s_or_b64 exec, exec, s[12:13]
	v_lshlrev_b32_e32 v14, 16, v15
	v_mul_f32_e32 v14, v44, v14
	v_and_b32_e32 v15, 0x7f800000, v14
	v_cmp_ne_u32_e64 s[0:1], s19, v15
                                        ; implicit-def: $agpr2
	s_and_saveexec_b64 s[12:13], s[0:1]
	s_xor_b64 s[0:1], exec, s[12:13]
; %bb.697:                              ;   in Loop: Header=BB336_431 Depth=1
	v_bfe_u32 v15, v14, 16, 1
	v_add3_u32 v14, v14, v15, s20
	v_accvgpr_write_b32 a2, v14
                                        ; implicit-def: $vgpr14
; %bb.698:                              ;   in Loop: Header=BB336_431 Depth=1
	s_andn2_saveexec_b64 s[12:13], s[0:1]
; %bb.699:                              ;   in Loop: Header=BB336_431 Depth=1
	v_or_b32_e32 v15, 0x10000, v14
	v_cmp_eq_u32_sdwa s[0:1], v14, v33 src0_sel:WORD_0 src1_sel:DWORD
	s_nop 1
	v_cndmask_b32_e64 v14, v15, v14, s[0:1]
	v_accvgpr_write_b32 a2, v14
; %bb.700:                              ;   in Loop: Header=BB336_431 Depth=1
	s_or_b64 exec, exec, s[12:13]
	v_lshlrev_b32_e32 v8, 16, v8
	v_mul_f32_e32 v8, v50, v8
	v_and_b32_e32 v14, 0x7f800000, v8
	v_cmp_ne_u32_e64 s[0:1], s19, v14
                                        ; implicit-def: $agpr26
	s_and_saveexec_b64 s[12:13], s[0:1]
	s_xor_b64 s[0:1], exec, s[12:13]
; %bb.701:                              ;   in Loop: Header=BB336_431 Depth=1
	v_bfe_u32 v14, v8, 16, 1
	v_add3_u32 v8, v8, v14, s20
	v_accvgpr_write_b32 a26, v8
                                        ; implicit-def: $vgpr8
; %bb.702:                              ;   in Loop: Header=BB336_431 Depth=1
	s_andn2_saveexec_b64 s[12:13], s[0:1]
; %bb.703:                              ;   in Loop: Header=BB336_431 Depth=1
	v_or_b32_e32 v14, 0x10000, v8
	v_cmp_eq_u32_sdwa s[0:1], v8, v33 src0_sel:WORD_0 src1_sel:DWORD
	s_nop 1
	v_cndmask_b32_e64 v8, v14, v8, s[0:1]
	v_accvgpr_write_b32 a26, v8
; %bb.704:                              ;   in Loop: Header=BB336_431 Depth=1
	s_or_b64 exec, exec, s[12:13]
	v_lshlrev_b32_e32 v8, 16, v9
	v_mul_f32_e32 v8, v30, v8
	v_and_b32_e32 v9, 0x7f800000, v8
	v_cmp_ne_u32_e64 s[0:1], s19, v9
                                        ; implicit-def: $agpr27
	s_and_saveexec_b64 s[12:13], s[0:1]
	s_xor_b64 s[0:1], exec, s[12:13]
; %bb.705:                              ;   in Loop: Header=BB336_431 Depth=1
	v_bfe_u32 v9, v8, 16, 1
	v_add3_u32 v8, v8, v9, s20
	v_accvgpr_write_b32 a27, v8
                                        ; implicit-def: $vgpr8
; %bb.706:                              ;   in Loop: Header=BB336_431 Depth=1
	s_andn2_saveexec_b64 s[12:13], s[0:1]
; %bb.707:                              ;   in Loop: Header=BB336_431 Depth=1
	v_or_b32_e32 v9, 0x10000, v8
	v_cmp_eq_u32_sdwa s[0:1], v8, v33 src0_sel:WORD_0 src1_sel:DWORD
	s_nop 1
	v_cndmask_b32_e64 v8, v9, v8, s[0:1]
	v_accvgpr_write_b32 a27, v8
; %bb.708:                              ;   in Loop: Header=BB336_431 Depth=1
	s_or_b64 exec, exec, s[12:13]
	v_lshlrev_b32_e32 v8, 16, v13
	v_mul_f32_e32 v8, v31, v8
	v_and_b32_e32 v9, 0x7f800000, v8
	v_cmp_ne_u32_e64 s[0:1], s19, v9
                                        ; implicit-def: $agpr4
	s_and_saveexec_b64 s[12:13], s[0:1]
	s_xor_b64 s[0:1], exec, s[12:13]
; %bb.709:                              ;   in Loop: Header=BB336_431 Depth=1
	v_bfe_u32 v9, v8, 16, 1
	v_add3_u32 v8, v8, v9, s20
	v_accvgpr_write_b32 a4, v8
                                        ; implicit-def: $vgpr8
; %bb.710:                              ;   in Loop: Header=BB336_431 Depth=1
	s_andn2_saveexec_b64 s[12:13], s[0:1]
; %bb.711:                              ;   in Loop: Header=BB336_431 Depth=1
	v_or_b32_e32 v9, 0x10000, v8
	v_cmp_eq_u32_sdwa s[0:1], v8, v33 src0_sel:WORD_0 src1_sel:DWORD
	s_nop 1
	v_cndmask_b32_e64 v8, v9, v8, s[0:1]
	v_accvgpr_write_b32 a4, v8
; %bb.712:                              ;   in Loop: Header=BB336_431 Depth=1
	s_or_b64 exec, exec, s[12:13]
	v_lshlrev_b32_e32 v8, 16, v12
	v_mul_f32_e32 v8, v26, v8
	v_and_b32_e32 v9, 0x7f800000, v8
	v_cmp_ne_u32_e64 s[0:1], s19, v9
                                        ; implicit-def: $agpr5
	s_and_saveexec_b64 s[12:13], s[0:1]
	s_xor_b64 s[0:1], exec, s[12:13]
; %bb.713:                              ;   in Loop: Header=BB336_431 Depth=1
	v_bfe_u32 v9, v8, 16, 1
	v_add3_u32 v8, v8, v9, s20
	v_accvgpr_write_b32 a5, v8
                                        ; implicit-def: $vgpr8
; %bb.714:                              ;   in Loop: Header=BB336_431 Depth=1
	s_andn2_saveexec_b64 s[12:13], s[0:1]
; %bb.715:                              ;   in Loop: Header=BB336_431 Depth=1
	v_or_b32_e32 v9, 0x10000, v8
	v_cmp_eq_u32_sdwa s[0:1], v8, v33 src0_sel:WORD_0 src1_sel:DWORD
	s_nop 1
	v_cndmask_b32_e64 v8, v9, v8, s[0:1]
	v_accvgpr_write_b32 a5, v8
; %bb.716:                              ;   in Loop: Header=BB336_431 Depth=1
	s_or_b64 exec, exec, s[12:13]
	v_lshlrev_b32_e32 v7, 16, v7
	v_mul_f32_e32 v7, v27, v7
	v_and_b32_e32 v8, 0x7f800000, v7
	v_cmp_ne_u32_e64 s[0:1], s19, v8
                                        ; implicit-def: $agpr28
	s_and_saveexec_b64 s[12:13], s[0:1]
	s_xor_b64 s[0:1], exec, s[12:13]
; %bb.717:                              ;   in Loop: Header=BB336_431 Depth=1
	v_bfe_u32 v8, v7, 16, 1
	v_add3_u32 v7, v7, v8, s20
	v_accvgpr_write_b32 a28, v7
                                        ; implicit-def: $vgpr7
; %bb.718:                              ;   in Loop: Header=BB336_431 Depth=1
	s_andn2_saveexec_b64 s[12:13], s[0:1]
; %bb.719:                              ;   in Loop: Header=BB336_431 Depth=1
	v_or_b32_e32 v8, 0x10000, v7
	v_cmp_eq_u32_sdwa s[0:1], v7, v33 src0_sel:WORD_0 src1_sel:DWORD
	s_nop 1
	v_cndmask_b32_e64 v7, v8, v7, s[0:1]
	v_accvgpr_write_b32 a28, v7
; %bb.720:                              ;   in Loop: Header=BB336_431 Depth=1
	s_or_b64 exec, exec, s[12:13]
	v_lshlrev_b32_e32 v6, 16, v6
	v_mul_f32_e32 v6, v36, v6
	v_and_b32_e32 v7, 0x7f800000, v6
	v_cmp_ne_u32_e64 s[0:1], s19, v7
                                        ; implicit-def: $agpr29
	s_and_saveexec_b64 s[12:13], s[0:1]
	s_xor_b64 s[0:1], exec, s[12:13]
; %bb.721:                              ;   in Loop: Header=BB336_431 Depth=1
	v_bfe_u32 v7, v6, 16, 1
	v_add3_u32 v6, v6, v7, s20
	v_accvgpr_write_b32 a29, v6
                                        ; implicit-def: $vgpr6
; %bb.722:                              ;   in Loop: Header=BB336_431 Depth=1
	s_andn2_saveexec_b64 s[12:13], s[0:1]
; %bb.723:                              ;   in Loop: Header=BB336_431 Depth=1
	v_or_b32_e32 v7, 0x10000, v6
	v_cmp_eq_u32_sdwa s[0:1], v6, v33 src0_sel:WORD_0 src1_sel:DWORD
	s_nop 1
	v_cndmask_b32_e64 v6, v7, v6, s[0:1]
	v_accvgpr_write_b32 a29, v6
; %bb.724:                              ;   in Loop: Header=BB336_431 Depth=1
	s_or_b64 exec, exec, s[12:13]
	v_lshlrev_b32_e32 v0, 16, v0
	v_mul_f32_e32 v0, v37, v0
	v_and_b32_e32 v6, 0x7f800000, v0
	v_cmp_ne_u32_e64 s[0:1], s19, v6
                                        ; implicit-def: $agpr30
	s_and_saveexec_b64 s[12:13], s[0:1]
	s_xor_b64 s[0:1], exec, s[12:13]
; %bb.725:                              ;   in Loop: Header=BB336_431 Depth=1
	v_bfe_u32 v6, v0, 16, 1
	v_add3_u32 v0, v0, v6, s20
	v_accvgpr_write_b32 a30, v0
                                        ; implicit-def: $vgpr0
; %bb.726:                              ;   in Loop: Header=BB336_431 Depth=1
	s_andn2_saveexec_b64 s[12:13], s[0:1]
; %bb.727:                              ;   in Loop: Header=BB336_431 Depth=1
	v_or_b32_e32 v6, 0x10000, v0
	v_cmp_eq_u32_sdwa s[0:1], v0, v33 src0_sel:WORD_0 src1_sel:DWORD
	s_nop 1
	v_cndmask_b32_e64 v0, v6, v0, s[0:1]
	v_accvgpr_write_b32 a30, v0
; %bb.728:                              ;   in Loop: Header=BB336_431 Depth=1
	s_or_b64 exec, exec, s[12:13]
	flat_load_dwordx2 v[6:7], v[4:5] offset:2048
	s_waitcnt vmcnt(0) lgkmcnt(0)
	v_and_b32_e32 v0, 0xff, v6
	v_cvt_f32_fp8_sdwa v0, v0 src0_sel:BYTE_0
	s_nop 0
	v_mul_f32_e32 v8, v51, v0
	v_and_b32_e32 v0, 0x7f800000, v8
	v_cmp_ne_u32_e64 s[0:1], s19, v0
                                        ; implicit-def: $vgpr0
	s_and_saveexec_b64 s[12:13], s[0:1]
	s_xor_b64 s[0:1], exec, s[12:13]
; %bb.729:                              ;   in Loop: Header=BB336_431 Depth=1
	v_bfe_u32 v0, v8, 16, 1
	v_add3_u32 v0, v8, v0, s20
                                        ; implicit-def: $vgpr8
; %bb.730:                              ;   in Loop: Header=BB336_431 Depth=1
	s_andn2_saveexec_b64 s[12:13], s[0:1]
; %bb.731:                              ;   in Loop: Header=BB336_431 Depth=1
	v_or_b32_e32 v0, 0x10000, v8
	v_cmp_eq_u32_sdwa s[0:1], v8, v33 src0_sel:WORD_0 src1_sel:DWORD
	s_nop 1
	v_cndmask_b32_e64 v0, v0, v8, s[0:1]
; %bb.732:                              ;   in Loop: Header=BB336_431 Depth=1
	s_or_b64 exec, exec, s[12:13]
	v_bfe_u32 v8, v6, 8, 8
	v_cvt_f32_fp8_sdwa v8, v8 src0_sel:BYTE_0
	s_nop 0
	v_mul_f32_e32 v9, v51, v8
	v_and_b32_e32 v8, 0x7f800000, v9
	v_cmp_ne_u32_e64 s[0:1], s19, v8
                                        ; implicit-def: $vgpr8
	s_and_saveexec_b64 s[12:13], s[0:1]
	s_xor_b64 s[0:1], exec, s[12:13]
; %bb.733:                              ;   in Loop: Header=BB336_431 Depth=1
	v_bfe_u32 v8, v9, 16, 1
	v_add3_u32 v8, v9, v8, s20
                                        ; implicit-def: $vgpr9
; %bb.734:                              ;   in Loop: Header=BB336_431 Depth=1
	s_andn2_saveexec_b64 s[12:13], s[0:1]
; %bb.735:                              ;   in Loop: Header=BB336_431 Depth=1
	v_or_b32_e32 v8, 0x10000, v9
	v_cmp_eq_u32_sdwa s[0:1], v9, v33 src0_sel:WORD_0 src1_sel:DWORD
	s_nop 1
	v_cndmask_b32_e64 v8, v8, v9, s[0:1]
; %bb.736:                              ;   in Loop: Header=BB336_431 Depth=1
	s_or_b64 exec, exec, s[12:13]
	v_bfe_u32 v9, v6, 16, 8
	v_cvt_f32_fp8_sdwa v9, v9 src0_sel:BYTE_0
	s_nop 0
	v_mul_f32_e32 v12, v51, v9
	v_and_b32_e32 v9, 0x7f800000, v12
	v_cmp_ne_u32_e64 s[0:1], s19, v9
                                        ; implicit-def: $vgpr9
	s_and_saveexec_b64 s[12:13], s[0:1]
	s_xor_b64 s[0:1], exec, s[12:13]
; %bb.737:                              ;   in Loop: Header=BB336_431 Depth=1
	v_bfe_u32 v9, v12, 16, 1
	v_add3_u32 v9, v12, v9, s20
                                        ; implicit-def: $vgpr12
; %bb.738:                              ;   in Loop: Header=BB336_431 Depth=1
	s_andn2_saveexec_b64 s[12:13], s[0:1]
; %bb.739:                              ;   in Loop: Header=BB336_431 Depth=1
	v_or_b32_e32 v9, 0x10000, v12
	v_cmp_eq_u32_sdwa s[0:1], v12, v33 src0_sel:WORD_0 src1_sel:DWORD
	s_nop 1
	v_cndmask_b32_e64 v9, v9, v12, s[0:1]
; %bb.740:                              ;   in Loop: Header=BB336_431 Depth=1
	s_or_b64 exec, exec, s[12:13]
	v_lshrrev_b32_e32 v6, 24, v6
	v_cvt_f32_fp8_sdwa v6, v6 src0_sel:BYTE_0
	s_nop 0
	v_mul_f32_e32 v12, v51, v6
	v_and_b32_e32 v6, 0x7f800000, v12
	v_cmp_ne_u32_e64 s[0:1], s19, v6
                                        ; implicit-def: $vgpr6
	s_and_saveexec_b64 s[12:13], s[0:1]
	s_xor_b64 s[0:1], exec, s[12:13]
; %bb.741:                              ;   in Loop: Header=BB336_431 Depth=1
	v_bfe_u32 v6, v12, 16, 1
	v_add3_u32 v6, v12, v6, s20
                                        ; implicit-def: $vgpr12
; %bb.742:                              ;   in Loop: Header=BB336_431 Depth=1
	s_andn2_saveexec_b64 s[12:13], s[0:1]
; %bb.743:                              ;   in Loop: Header=BB336_431 Depth=1
	v_or_b32_e32 v6, 0x10000, v12
	v_cmp_eq_u32_sdwa s[0:1], v12, v33 src0_sel:WORD_0 src1_sel:DWORD
	s_nop 1
	v_cndmask_b32_e64 v6, v6, v12, s[0:1]
; %bb.744:                              ;   in Loop: Header=BB336_431 Depth=1
	s_or_b64 exec, exec, s[12:13]
	v_and_b32_e32 v12, 0xff, v7
	v_cvt_f32_fp8_sdwa v12, v12 src0_sel:BYTE_0
	s_nop 0
	v_mul_f32_e32 v13, v51, v12
	v_and_b32_e32 v12, 0x7f800000, v13
	v_cmp_ne_u32_e64 s[0:1], s19, v12
                                        ; implicit-def: $vgpr12
	s_and_saveexec_b64 s[12:13], s[0:1]
	s_xor_b64 s[0:1], exec, s[12:13]
; %bb.745:                              ;   in Loop: Header=BB336_431 Depth=1
	v_bfe_u32 v12, v13, 16, 1
	v_add3_u32 v12, v13, v12, s20
                                        ; implicit-def: $vgpr13
; %bb.746:                              ;   in Loop: Header=BB336_431 Depth=1
	s_andn2_saveexec_b64 s[12:13], s[0:1]
; %bb.747:                              ;   in Loop: Header=BB336_431 Depth=1
	v_or_b32_e32 v12, 0x10000, v13
	v_cmp_eq_u32_sdwa s[0:1], v13, v33 src0_sel:WORD_0 src1_sel:DWORD
	s_nop 1
	v_cndmask_b32_e64 v12, v12, v13, s[0:1]
; %bb.748:                              ;   in Loop: Header=BB336_431 Depth=1
	s_or_b64 exec, exec, s[12:13]
	v_bfe_u32 v13, v7, 8, 8
	v_cvt_f32_fp8_sdwa v13, v13 src0_sel:BYTE_0
	s_nop 0
	v_mul_f32_e32 v14, v51, v13
	v_and_b32_e32 v13, 0x7f800000, v14
	v_cmp_ne_u32_e64 s[0:1], s19, v13
                                        ; implicit-def: $vgpr13
	s_and_saveexec_b64 s[12:13], s[0:1]
	s_xor_b64 s[0:1], exec, s[12:13]
; %bb.749:                              ;   in Loop: Header=BB336_431 Depth=1
	v_bfe_u32 v13, v14, 16, 1
	v_add3_u32 v13, v14, v13, s20
                                        ; implicit-def: $vgpr14
; %bb.750:                              ;   in Loop: Header=BB336_431 Depth=1
	s_andn2_saveexec_b64 s[12:13], s[0:1]
; %bb.751:                              ;   in Loop: Header=BB336_431 Depth=1
	v_or_b32_e32 v13, 0x10000, v14
	v_cmp_eq_u32_sdwa s[0:1], v14, v33 src0_sel:WORD_0 src1_sel:DWORD
	s_nop 1
	v_cndmask_b32_e64 v13, v13, v14, s[0:1]
; %bb.752:                              ;   in Loop: Header=BB336_431 Depth=1
	s_or_b64 exec, exec, s[12:13]
	v_bfe_u32 v14, v7, 16, 8
	v_cvt_f32_fp8_sdwa v14, v14 src0_sel:BYTE_0
	s_nop 0
	v_mul_f32_e32 v15, v51, v14
	v_and_b32_e32 v14, 0x7f800000, v15
	v_cmp_ne_u32_e64 s[0:1], s19, v14
                                        ; implicit-def: $vgpr14
	s_and_saveexec_b64 s[12:13], s[0:1]
	s_xor_b64 s[0:1], exec, s[12:13]
; %bb.753:                              ;   in Loop: Header=BB336_431 Depth=1
	v_bfe_u32 v14, v15, 16, 1
	v_add3_u32 v14, v15, v14, s20
                                        ; implicit-def: $vgpr15
; %bb.754:                              ;   in Loop: Header=BB336_431 Depth=1
	s_andn2_saveexec_b64 s[12:13], s[0:1]
; %bb.755:                              ;   in Loop: Header=BB336_431 Depth=1
	v_or_b32_e32 v14, 0x10000, v15
	v_cmp_eq_u32_sdwa s[0:1], v15, v33 src0_sel:WORD_0 src1_sel:DWORD
	s_nop 1
	v_cndmask_b32_e64 v14, v14, v15, s[0:1]
; %bb.756:                              ;   in Loop: Header=BB336_431 Depth=1
	s_or_b64 exec, exec, s[12:13]
	v_lshrrev_b32_e32 v7, 24, v7
	v_cvt_f32_fp8_sdwa v7, v7 src0_sel:BYTE_0
                                        ; implicit-def: $vgpr16
	s_nop 0
	v_mul_f32_e32 v7, v51, v7
	v_and_b32_e32 v15, 0x7f800000, v7
	v_cmp_ne_u32_e64 s[0:1], s19, v15
	s_and_saveexec_b64 s[12:13], s[0:1]
	s_xor_b64 s[0:1], exec, s[12:13]
; %bb.757:                              ;   in Loop: Header=BB336_431 Depth=1
	v_bfe_u32 v15, v7, 16, 1
	v_add3_u32 v16, v7, v15, s20
                                        ; implicit-def: $vgpr7
; %bb.758:                              ;   in Loop: Header=BB336_431 Depth=1
	s_andn2_saveexec_b64 s[12:13], s[0:1]
; %bb.759:                              ;   in Loop: Header=BB336_431 Depth=1
	v_or_b32_e32 v15, 0x10000, v7
	v_cmp_eq_u32_sdwa s[0:1], v7, v33 src0_sel:WORD_0 src1_sel:DWORD
	s_nop 1
	v_cndmask_b32_e64 v16, v15, v7, s[0:1]
; %bb.760:                              ;   in Loop: Header=BB336_431 Depth=1
	s_or_b64 exec, exec, s[12:13]
	v_lshrrev_b32_e32 v7, 16, v13
	v_lshrrev_b32_e32 v12, 16, v12
	;; [unrolled: 1-line block ×8, first 2 shown]
	s_and_saveexec_b64 s[12:13], vcc
	s_cbranch_execz .LBB336_762
; %bb.761:                              ;   in Loop: Header=BB336_431 Depth=1
	scratch_load_dword v16, off, s32 offset:188 ; 4-byte Folded Reload
	v_accvgpr_read_b32 v14, a53
	s_waitcnt vmcnt(0)
	v_cmp_lt_i32_e64 s[0:1], v1, v16
	s_nop 1
	v_cndmask_b32_e64 v15, 0, v15, s[0:1]
	v_cmp_lt_i32_e64 s[0:1], v14, v16
	v_accvgpr_read_b32 v14, a52
	s_nop 0
	v_cndmask_b32_e64 v8, 0, v8, s[0:1]
	v_cmp_lt_i32_e64 s[0:1], v14, v16
	v_accvgpr_read_b32 v14, a51
	;; [unrolled: 4-line block ×6, first 2 shown]
	s_nop 0
	v_cndmask_b32_e64 v6, 0, v6, s[0:1]
	v_cmp_lt_i32_e64 s[0:1], v14, v16
	s_nop 1
	v_cndmask_b32_e64 v0, 0, v0, s[0:1]
.LBB336_762:                            ;   in Loop: Header=BB336_431 Depth=1
	s_or_b64 exec, exec, s[12:13]
	v_lshlrev_b32_e32 v14, 16, v15
	v_mul_f32_e32 v14, v44, v14
	v_and_b32_e32 v15, 0x7f800000, v14
	v_cmp_ne_u32_e64 s[0:1], s19, v15
                                        ; implicit-def: $agpr31
	s_and_saveexec_b64 s[12:13], s[0:1]
	s_xor_b64 s[0:1], exec, s[12:13]
; %bb.763:                              ;   in Loop: Header=BB336_431 Depth=1
	v_bfe_u32 v15, v14, 16, 1
	v_add3_u32 v14, v14, v15, s20
	v_accvgpr_write_b32 a31, v14
                                        ; implicit-def: $vgpr14
; %bb.764:                              ;   in Loop: Header=BB336_431 Depth=1
	s_andn2_saveexec_b64 s[12:13], s[0:1]
; %bb.765:                              ;   in Loop: Header=BB336_431 Depth=1
	v_or_b32_e32 v15, 0x10000, v14
	v_cmp_eq_u32_sdwa s[0:1], v14, v33 src0_sel:WORD_0 src1_sel:DWORD
	s_nop 1
	v_cndmask_b32_e64 v14, v15, v14, s[0:1]
	v_accvgpr_write_b32 a31, v14
; %bb.766:                              ;   in Loop: Header=BB336_431 Depth=1
	s_or_b64 exec, exec, s[12:13]
	v_lshlrev_b32_e32 v8, 16, v8
	v_mul_f32_e32 v8, v50, v8
	v_and_b32_e32 v14, 0x7f800000, v8
	v_cmp_ne_u32_e64 s[0:1], s19, v14
                                        ; implicit-def: $agpr32
	s_and_saveexec_b64 s[12:13], s[0:1]
	s_xor_b64 s[0:1], exec, s[12:13]
; %bb.767:                              ;   in Loop: Header=BB336_431 Depth=1
	v_bfe_u32 v14, v8, 16, 1
	v_add3_u32 v8, v8, v14, s20
	v_accvgpr_write_b32 a32, v8
                                        ; implicit-def: $vgpr8
; %bb.768:                              ;   in Loop: Header=BB336_431 Depth=1
	s_andn2_saveexec_b64 s[12:13], s[0:1]
; %bb.769:                              ;   in Loop: Header=BB336_431 Depth=1
	v_or_b32_e32 v14, 0x10000, v8
	v_cmp_eq_u32_sdwa s[0:1], v8, v33 src0_sel:WORD_0 src1_sel:DWORD
	s_nop 1
	v_cndmask_b32_e64 v8, v14, v8, s[0:1]
	v_accvgpr_write_b32 a32, v8
; %bb.770:                              ;   in Loop: Header=BB336_431 Depth=1
	s_or_b64 exec, exec, s[12:13]
	v_lshlrev_b32_e32 v8, 16, v9
	v_mul_f32_e32 v8, v30, v8
	v_and_b32_e32 v9, 0x7f800000, v8
	v_cmp_ne_u32_e64 s[0:1], s19, v9
                                        ; implicit-def: $agpr33
	s_and_saveexec_b64 s[12:13], s[0:1]
	s_xor_b64 s[0:1], exec, s[12:13]
; %bb.771:                              ;   in Loop: Header=BB336_431 Depth=1
	v_bfe_u32 v9, v8, 16, 1
	v_add3_u32 v8, v8, v9, s20
	v_accvgpr_write_b32 a33, v8
                                        ; implicit-def: $vgpr8
; %bb.772:                              ;   in Loop: Header=BB336_431 Depth=1
	s_andn2_saveexec_b64 s[12:13], s[0:1]
; %bb.773:                              ;   in Loop: Header=BB336_431 Depth=1
	v_or_b32_e32 v9, 0x10000, v8
	v_cmp_eq_u32_sdwa s[0:1], v8, v33 src0_sel:WORD_0 src1_sel:DWORD
	s_nop 1
	v_cndmask_b32_e64 v8, v9, v8, s[0:1]
	v_accvgpr_write_b32 a33, v8
; %bb.774:                              ;   in Loop: Header=BB336_431 Depth=1
	s_or_b64 exec, exec, s[12:13]
	v_lshlrev_b32_e32 v8, 16, v13
	v_mul_f32_e32 v8, v31, v8
	v_and_b32_e32 v9, 0x7f800000, v8
	v_cmp_ne_u32_e64 s[0:1], s19, v9
                                        ; implicit-def: $agpr34
	s_and_saveexec_b64 s[12:13], s[0:1]
	s_xor_b64 s[0:1], exec, s[12:13]
; %bb.775:                              ;   in Loop: Header=BB336_431 Depth=1
	v_bfe_u32 v9, v8, 16, 1
	v_add3_u32 v8, v8, v9, s20
	v_accvgpr_write_b32 a34, v8
                                        ; implicit-def: $vgpr8
; %bb.776:                              ;   in Loop: Header=BB336_431 Depth=1
	s_andn2_saveexec_b64 s[12:13], s[0:1]
; %bb.777:                              ;   in Loop: Header=BB336_431 Depth=1
	v_or_b32_e32 v9, 0x10000, v8
	v_cmp_eq_u32_sdwa s[0:1], v8, v33 src0_sel:WORD_0 src1_sel:DWORD
	s_nop 1
	v_cndmask_b32_e64 v8, v9, v8, s[0:1]
	v_accvgpr_write_b32 a34, v8
; %bb.778:                              ;   in Loop: Header=BB336_431 Depth=1
	s_or_b64 exec, exec, s[12:13]
	v_lshlrev_b32_e32 v8, 16, v12
	v_mul_f32_e32 v8, v26, v8
	v_and_b32_e32 v9, 0x7f800000, v8
	v_cmp_ne_u32_e64 s[0:1], s19, v9
                                        ; implicit-def: $agpr35
	s_and_saveexec_b64 s[12:13], s[0:1]
	s_xor_b64 s[0:1], exec, s[12:13]
; %bb.779:                              ;   in Loop: Header=BB336_431 Depth=1
	v_bfe_u32 v9, v8, 16, 1
	v_add3_u32 v8, v8, v9, s20
	v_accvgpr_write_b32 a35, v8
                                        ; implicit-def: $vgpr8
; %bb.780:                              ;   in Loop: Header=BB336_431 Depth=1
	s_andn2_saveexec_b64 s[12:13], s[0:1]
; %bb.781:                              ;   in Loop: Header=BB336_431 Depth=1
	v_or_b32_e32 v9, 0x10000, v8
	v_cmp_eq_u32_sdwa s[0:1], v8, v33 src0_sel:WORD_0 src1_sel:DWORD
	s_nop 1
	v_cndmask_b32_e64 v8, v9, v8, s[0:1]
	v_accvgpr_write_b32 a35, v8
; %bb.782:                              ;   in Loop: Header=BB336_431 Depth=1
	s_or_b64 exec, exec, s[12:13]
	v_lshlrev_b32_e32 v7, 16, v7
	v_mul_f32_e32 v7, v27, v7
	v_and_b32_e32 v8, 0x7f800000, v7
	v_cmp_ne_u32_e64 s[0:1], s19, v8
                                        ; implicit-def: $agpr36
	s_and_saveexec_b64 s[12:13], s[0:1]
	s_xor_b64 s[0:1], exec, s[12:13]
; %bb.783:                              ;   in Loop: Header=BB336_431 Depth=1
	v_bfe_u32 v8, v7, 16, 1
	v_add3_u32 v7, v7, v8, s20
	v_accvgpr_write_b32 a36, v7
                                        ; implicit-def: $vgpr7
; %bb.784:                              ;   in Loop: Header=BB336_431 Depth=1
	s_andn2_saveexec_b64 s[12:13], s[0:1]
; %bb.785:                              ;   in Loop: Header=BB336_431 Depth=1
	v_or_b32_e32 v8, 0x10000, v7
	v_cmp_eq_u32_sdwa s[0:1], v7, v33 src0_sel:WORD_0 src1_sel:DWORD
	s_nop 1
	v_cndmask_b32_e64 v7, v8, v7, s[0:1]
	v_accvgpr_write_b32 a36, v7
; %bb.786:                              ;   in Loop: Header=BB336_431 Depth=1
	s_or_b64 exec, exec, s[12:13]
	v_lshlrev_b32_e32 v6, 16, v6
	v_mul_f32_e32 v6, v36, v6
	v_and_b32_e32 v7, 0x7f800000, v6
	v_cmp_ne_u32_e64 s[0:1], s19, v7
                                        ; implicit-def: $agpr37
	s_and_saveexec_b64 s[12:13], s[0:1]
	s_xor_b64 s[0:1], exec, s[12:13]
; %bb.787:                              ;   in Loop: Header=BB336_431 Depth=1
	v_bfe_u32 v7, v6, 16, 1
	v_add3_u32 v6, v6, v7, s20
	v_accvgpr_write_b32 a37, v6
                                        ; implicit-def: $vgpr6
; %bb.788:                              ;   in Loop: Header=BB336_431 Depth=1
	s_andn2_saveexec_b64 s[12:13], s[0:1]
; %bb.789:                              ;   in Loop: Header=BB336_431 Depth=1
	v_or_b32_e32 v7, 0x10000, v6
	v_cmp_eq_u32_sdwa s[0:1], v6, v33 src0_sel:WORD_0 src1_sel:DWORD
	s_nop 1
	v_cndmask_b32_e64 v6, v7, v6, s[0:1]
	v_accvgpr_write_b32 a37, v6
; %bb.790:                              ;   in Loop: Header=BB336_431 Depth=1
	s_or_b64 exec, exec, s[12:13]
	v_lshlrev_b32_e32 v0, 16, v0
	v_mul_f32_e32 v0, v37, v0
	v_and_b32_e32 v6, 0x7f800000, v0
	v_cmp_ne_u32_e64 s[0:1], s19, v6
                                        ; implicit-def: $agpr7
	s_and_saveexec_b64 s[12:13], s[0:1]
	s_xor_b64 s[0:1], exec, s[12:13]
; %bb.791:                              ;   in Loop: Header=BB336_431 Depth=1
	v_bfe_u32 v6, v0, 16, 1
	v_add3_u32 v0, v0, v6, s20
	v_accvgpr_write_b32 a7, v0
                                        ; implicit-def: $vgpr0
; %bb.792:                              ;   in Loop: Header=BB336_431 Depth=1
	s_andn2_saveexec_b64 s[12:13], s[0:1]
; %bb.793:                              ;   in Loop: Header=BB336_431 Depth=1
	v_or_b32_e32 v6, 0x10000, v0
	v_cmp_eq_u32_sdwa s[0:1], v0, v33 src0_sel:WORD_0 src1_sel:DWORD
	s_nop 1
	v_cndmask_b32_e64 v0, v6, v0, s[0:1]
	v_accvgpr_write_b32 a7, v0
; %bb.794:                              ;   in Loop: Header=BB336_431 Depth=1
	s_or_b64 exec, exec, s[12:13]
	flat_load_dwordx2 v[6:7], v[4:5] offset:2560
	s_waitcnt vmcnt(0) lgkmcnt(0)
	v_and_b32_e32 v0, 0xff, v6
	v_cvt_f32_fp8_sdwa v0, v0 src0_sel:BYTE_0
	s_nop 0
	v_mul_f32_e32 v8, v51, v0
	v_and_b32_e32 v0, 0x7f800000, v8
	v_cmp_ne_u32_e64 s[0:1], s19, v0
                                        ; implicit-def: $vgpr0
	s_and_saveexec_b64 s[12:13], s[0:1]
	s_xor_b64 s[0:1], exec, s[12:13]
; %bb.795:                              ;   in Loop: Header=BB336_431 Depth=1
	v_bfe_u32 v0, v8, 16, 1
	v_add3_u32 v0, v8, v0, s20
                                        ; implicit-def: $vgpr8
; %bb.796:                              ;   in Loop: Header=BB336_431 Depth=1
	s_andn2_saveexec_b64 s[12:13], s[0:1]
; %bb.797:                              ;   in Loop: Header=BB336_431 Depth=1
	v_or_b32_e32 v0, 0x10000, v8
	v_cmp_eq_u32_sdwa s[0:1], v8, v33 src0_sel:WORD_0 src1_sel:DWORD
	s_nop 1
	v_cndmask_b32_e64 v0, v0, v8, s[0:1]
; %bb.798:                              ;   in Loop: Header=BB336_431 Depth=1
	s_or_b64 exec, exec, s[12:13]
	v_bfe_u32 v8, v6, 8, 8
	v_cvt_f32_fp8_sdwa v8, v8 src0_sel:BYTE_0
	s_nop 0
	v_mul_f32_e32 v9, v51, v8
	v_and_b32_e32 v8, 0x7f800000, v9
	v_cmp_ne_u32_e64 s[0:1], s19, v8
                                        ; implicit-def: $vgpr8
	s_and_saveexec_b64 s[12:13], s[0:1]
	s_xor_b64 s[0:1], exec, s[12:13]
; %bb.799:                              ;   in Loop: Header=BB336_431 Depth=1
	v_bfe_u32 v8, v9, 16, 1
	v_add3_u32 v8, v9, v8, s20
                                        ; implicit-def: $vgpr9
; %bb.800:                              ;   in Loop: Header=BB336_431 Depth=1
	s_andn2_saveexec_b64 s[12:13], s[0:1]
; %bb.801:                              ;   in Loop: Header=BB336_431 Depth=1
	v_or_b32_e32 v8, 0x10000, v9
	v_cmp_eq_u32_sdwa s[0:1], v9, v33 src0_sel:WORD_0 src1_sel:DWORD
	s_nop 1
	v_cndmask_b32_e64 v8, v8, v9, s[0:1]
; %bb.802:                              ;   in Loop: Header=BB336_431 Depth=1
	s_or_b64 exec, exec, s[12:13]
	v_bfe_u32 v9, v6, 16, 8
	v_cvt_f32_fp8_sdwa v9, v9 src0_sel:BYTE_0
	s_nop 0
	v_mul_f32_e32 v12, v51, v9
	v_and_b32_e32 v9, 0x7f800000, v12
	v_cmp_ne_u32_e64 s[0:1], s19, v9
                                        ; implicit-def: $vgpr9
	s_and_saveexec_b64 s[12:13], s[0:1]
	s_xor_b64 s[0:1], exec, s[12:13]
; %bb.803:                              ;   in Loop: Header=BB336_431 Depth=1
	v_bfe_u32 v9, v12, 16, 1
	v_add3_u32 v9, v12, v9, s20
                                        ; implicit-def: $vgpr12
; %bb.804:                              ;   in Loop: Header=BB336_431 Depth=1
	s_andn2_saveexec_b64 s[12:13], s[0:1]
; %bb.805:                              ;   in Loop: Header=BB336_431 Depth=1
	v_or_b32_e32 v9, 0x10000, v12
	v_cmp_eq_u32_sdwa s[0:1], v12, v33 src0_sel:WORD_0 src1_sel:DWORD
	s_nop 1
	v_cndmask_b32_e64 v9, v9, v12, s[0:1]
; %bb.806:                              ;   in Loop: Header=BB336_431 Depth=1
	s_or_b64 exec, exec, s[12:13]
	v_lshrrev_b32_e32 v6, 24, v6
	v_cvt_f32_fp8_sdwa v6, v6 src0_sel:BYTE_0
	s_nop 0
	v_mul_f32_e32 v12, v51, v6
	v_and_b32_e32 v6, 0x7f800000, v12
	v_cmp_ne_u32_e64 s[0:1], s19, v6
                                        ; implicit-def: $vgpr6
	s_and_saveexec_b64 s[12:13], s[0:1]
	s_xor_b64 s[0:1], exec, s[12:13]
; %bb.807:                              ;   in Loop: Header=BB336_431 Depth=1
	v_bfe_u32 v6, v12, 16, 1
	v_add3_u32 v6, v12, v6, s20
                                        ; implicit-def: $vgpr12
; %bb.808:                              ;   in Loop: Header=BB336_431 Depth=1
	s_andn2_saveexec_b64 s[12:13], s[0:1]
; %bb.809:                              ;   in Loop: Header=BB336_431 Depth=1
	v_or_b32_e32 v6, 0x10000, v12
	v_cmp_eq_u32_sdwa s[0:1], v12, v33 src0_sel:WORD_0 src1_sel:DWORD
	s_nop 1
	v_cndmask_b32_e64 v6, v6, v12, s[0:1]
; %bb.810:                              ;   in Loop: Header=BB336_431 Depth=1
	s_or_b64 exec, exec, s[12:13]
	v_and_b32_e32 v12, 0xff, v7
	v_cvt_f32_fp8_sdwa v12, v12 src0_sel:BYTE_0
	s_nop 0
	v_mul_f32_e32 v13, v51, v12
	v_and_b32_e32 v12, 0x7f800000, v13
	v_cmp_ne_u32_e64 s[0:1], s19, v12
                                        ; implicit-def: $vgpr12
	s_and_saveexec_b64 s[12:13], s[0:1]
	s_xor_b64 s[0:1], exec, s[12:13]
; %bb.811:                              ;   in Loop: Header=BB336_431 Depth=1
	v_bfe_u32 v12, v13, 16, 1
	v_add3_u32 v12, v13, v12, s20
                                        ; implicit-def: $vgpr13
; %bb.812:                              ;   in Loop: Header=BB336_431 Depth=1
	s_andn2_saveexec_b64 s[12:13], s[0:1]
; %bb.813:                              ;   in Loop: Header=BB336_431 Depth=1
	v_or_b32_e32 v12, 0x10000, v13
	v_cmp_eq_u32_sdwa s[0:1], v13, v33 src0_sel:WORD_0 src1_sel:DWORD
	s_nop 1
	v_cndmask_b32_e64 v12, v12, v13, s[0:1]
; %bb.814:                              ;   in Loop: Header=BB336_431 Depth=1
	s_or_b64 exec, exec, s[12:13]
	v_bfe_u32 v13, v7, 8, 8
	v_cvt_f32_fp8_sdwa v13, v13 src0_sel:BYTE_0
	s_nop 0
	v_mul_f32_e32 v14, v51, v13
	v_and_b32_e32 v13, 0x7f800000, v14
	v_cmp_ne_u32_e64 s[0:1], s19, v13
                                        ; implicit-def: $vgpr13
	s_and_saveexec_b64 s[12:13], s[0:1]
	s_xor_b64 s[0:1], exec, s[12:13]
; %bb.815:                              ;   in Loop: Header=BB336_431 Depth=1
	v_bfe_u32 v13, v14, 16, 1
	v_add3_u32 v13, v14, v13, s20
                                        ; implicit-def: $vgpr14
; %bb.816:                              ;   in Loop: Header=BB336_431 Depth=1
	s_andn2_saveexec_b64 s[12:13], s[0:1]
; %bb.817:                              ;   in Loop: Header=BB336_431 Depth=1
	v_or_b32_e32 v13, 0x10000, v14
	v_cmp_eq_u32_sdwa s[0:1], v14, v33 src0_sel:WORD_0 src1_sel:DWORD
	s_nop 1
	v_cndmask_b32_e64 v13, v13, v14, s[0:1]
; %bb.818:                              ;   in Loop: Header=BB336_431 Depth=1
	s_or_b64 exec, exec, s[12:13]
	v_bfe_u32 v14, v7, 16, 8
	v_cvt_f32_fp8_sdwa v14, v14 src0_sel:BYTE_0
	s_nop 0
	v_mul_f32_e32 v15, v51, v14
	v_and_b32_e32 v14, 0x7f800000, v15
	v_cmp_ne_u32_e64 s[0:1], s19, v14
                                        ; implicit-def: $vgpr14
	s_and_saveexec_b64 s[12:13], s[0:1]
	s_xor_b64 s[0:1], exec, s[12:13]
; %bb.819:                              ;   in Loop: Header=BB336_431 Depth=1
	v_bfe_u32 v14, v15, 16, 1
	v_add3_u32 v14, v15, v14, s20
                                        ; implicit-def: $vgpr15
; %bb.820:                              ;   in Loop: Header=BB336_431 Depth=1
	s_andn2_saveexec_b64 s[12:13], s[0:1]
; %bb.821:                              ;   in Loop: Header=BB336_431 Depth=1
	v_or_b32_e32 v14, 0x10000, v15
	v_cmp_eq_u32_sdwa s[0:1], v15, v33 src0_sel:WORD_0 src1_sel:DWORD
	s_nop 1
	v_cndmask_b32_e64 v14, v14, v15, s[0:1]
; %bb.822:                              ;   in Loop: Header=BB336_431 Depth=1
	s_or_b64 exec, exec, s[12:13]
	v_lshrrev_b32_e32 v7, 24, v7
	v_cvt_f32_fp8_sdwa v7, v7 src0_sel:BYTE_0
                                        ; implicit-def: $vgpr16
	s_nop 0
	v_mul_f32_e32 v7, v51, v7
	v_and_b32_e32 v15, 0x7f800000, v7
	v_cmp_ne_u32_e64 s[0:1], s19, v15
	s_and_saveexec_b64 s[12:13], s[0:1]
	s_xor_b64 s[0:1], exec, s[12:13]
; %bb.823:                              ;   in Loop: Header=BB336_431 Depth=1
	v_bfe_u32 v15, v7, 16, 1
	v_add3_u32 v16, v7, v15, s20
                                        ; implicit-def: $vgpr7
; %bb.824:                              ;   in Loop: Header=BB336_431 Depth=1
	s_andn2_saveexec_b64 s[12:13], s[0:1]
; %bb.825:                              ;   in Loop: Header=BB336_431 Depth=1
	v_or_b32_e32 v15, 0x10000, v7
	v_cmp_eq_u32_sdwa s[0:1], v7, v33 src0_sel:WORD_0 src1_sel:DWORD
	s_nop 1
	v_cndmask_b32_e64 v16, v15, v7, s[0:1]
; %bb.826:                              ;   in Loop: Header=BB336_431 Depth=1
	s_or_b64 exec, exec, s[12:13]
	v_lshrrev_b32_e32 v7, 16, v13
	v_lshrrev_b32_e32 v12, 16, v12
	;; [unrolled: 1-line block ×8, first 2 shown]
	s_and_saveexec_b64 s[12:13], vcc
	s_cbranch_execz .LBB336_828
; %bb.827:                              ;   in Loop: Header=BB336_431 Depth=1
	scratch_load_dword v16, off, s32 offset:188 ; 4-byte Folded Reload
	v_accvgpr_read_b32 v14, a53
	s_waitcnt vmcnt(0)
	v_cmp_lt_i32_e64 s[0:1], v1, v16
	s_nop 1
	v_cndmask_b32_e64 v15, 0, v15, s[0:1]
	v_cmp_lt_i32_e64 s[0:1], v14, v16
	v_accvgpr_read_b32 v14, a52
	s_nop 0
	v_cndmask_b32_e64 v8, 0, v8, s[0:1]
	v_cmp_lt_i32_e64 s[0:1], v14, v16
	v_accvgpr_read_b32 v14, a51
	;; [unrolled: 4-line block ×6, first 2 shown]
	s_nop 0
	v_cndmask_b32_e64 v6, 0, v6, s[0:1]
	v_cmp_lt_i32_e64 s[0:1], v14, v16
	s_nop 1
	v_cndmask_b32_e64 v0, 0, v0, s[0:1]
.LBB336_828:                            ;   in Loop: Header=BB336_431 Depth=1
	s_or_b64 exec, exec, s[12:13]
	v_lshlrev_b32_e32 v14, 16, v15
	v_mul_f32_e32 v14, v44, v14
	v_and_b32_e32 v15, 0x7f800000, v14
	v_cmp_ne_u32_e64 s[0:1], s19, v15
                                        ; implicit-def: $agpr12
	s_and_saveexec_b64 s[12:13], s[0:1]
	s_xor_b64 s[0:1], exec, s[12:13]
; %bb.829:                              ;   in Loop: Header=BB336_431 Depth=1
	v_bfe_u32 v15, v14, 16, 1
	v_add3_u32 v14, v14, v15, s20
	v_accvgpr_write_b32 a12, v14
                                        ; implicit-def: $vgpr14
; %bb.830:                              ;   in Loop: Header=BB336_431 Depth=1
	s_andn2_saveexec_b64 s[12:13], s[0:1]
; %bb.831:                              ;   in Loop: Header=BB336_431 Depth=1
	v_or_b32_e32 v15, 0x10000, v14
	v_cmp_eq_u32_sdwa s[0:1], v14, v33 src0_sel:WORD_0 src1_sel:DWORD
	s_nop 1
	v_cndmask_b32_e64 v14, v15, v14, s[0:1]
	v_accvgpr_write_b32 a12, v14
; %bb.832:                              ;   in Loop: Header=BB336_431 Depth=1
	s_or_b64 exec, exec, s[12:13]
	v_lshlrev_b32_e32 v8, 16, v8
	v_mul_f32_e32 v8, v50, v8
	v_and_b32_e32 v14, 0x7f800000, v8
	v_cmp_ne_u32_e64 s[0:1], s19, v14
                                        ; implicit-def: $agpr6
	s_and_saveexec_b64 s[12:13], s[0:1]
	s_xor_b64 s[0:1], exec, s[12:13]
; %bb.833:                              ;   in Loop: Header=BB336_431 Depth=1
	v_bfe_u32 v14, v8, 16, 1
	v_add3_u32 v8, v8, v14, s20
	v_accvgpr_write_b32 a6, v8
                                        ; implicit-def: $vgpr8
; %bb.834:                              ;   in Loop: Header=BB336_431 Depth=1
	s_andn2_saveexec_b64 s[12:13], s[0:1]
; %bb.835:                              ;   in Loop: Header=BB336_431 Depth=1
	v_or_b32_e32 v14, 0x10000, v8
	v_cmp_eq_u32_sdwa s[0:1], v8, v33 src0_sel:WORD_0 src1_sel:DWORD
	s_nop 1
	v_cndmask_b32_e64 v8, v14, v8, s[0:1]
	v_accvgpr_write_b32 a6, v8
; %bb.836:                              ;   in Loop: Header=BB336_431 Depth=1
	s_or_b64 exec, exec, s[12:13]
	v_lshlrev_b32_e32 v8, 16, v9
	v_mul_f32_e32 v8, v30, v8
	v_and_b32_e32 v9, 0x7f800000, v8
	v_cmp_ne_u32_e64 s[0:1], s19, v9
                                        ; implicit-def: $agpr3
	s_and_saveexec_b64 s[12:13], s[0:1]
	s_xor_b64 s[0:1], exec, s[12:13]
; %bb.837:                              ;   in Loop: Header=BB336_431 Depth=1
	v_bfe_u32 v9, v8, 16, 1
	v_add3_u32 v8, v8, v9, s20
	v_accvgpr_write_b32 a3, v8
                                        ; implicit-def: $vgpr8
; %bb.838:                              ;   in Loop: Header=BB336_431 Depth=1
	s_andn2_saveexec_b64 s[12:13], s[0:1]
; %bb.839:                              ;   in Loop: Header=BB336_431 Depth=1
	v_or_b32_e32 v9, 0x10000, v8
	v_cmp_eq_u32_sdwa s[0:1], v8, v33 src0_sel:WORD_0 src1_sel:DWORD
	s_nop 1
	v_cndmask_b32_e64 v8, v9, v8, s[0:1]
	v_accvgpr_write_b32 a3, v8
; %bb.840:                              ;   in Loop: Header=BB336_431 Depth=1
	s_or_b64 exec, exec, s[12:13]
	v_lshlrev_b32_e32 v8, 16, v13
	v_mul_f32_e32 v8, v31, v8
	v_and_b32_e32 v9, 0x7f800000, v8
	v_cmp_ne_u32_e64 s[0:1], s19, v9
                                        ; implicit-def: $agpr9
	s_and_saveexec_b64 s[12:13], s[0:1]
	s_xor_b64 s[0:1], exec, s[12:13]
; %bb.841:                              ;   in Loop: Header=BB336_431 Depth=1
	v_bfe_u32 v9, v8, 16, 1
	v_add3_u32 v8, v8, v9, s20
	v_accvgpr_write_b32 a9, v8
                                        ; implicit-def: $vgpr8
; %bb.842:                              ;   in Loop: Header=BB336_431 Depth=1
	s_andn2_saveexec_b64 s[12:13], s[0:1]
; %bb.843:                              ;   in Loop: Header=BB336_431 Depth=1
	v_or_b32_e32 v9, 0x10000, v8
	v_cmp_eq_u32_sdwa s[0:1], v8, v33 src0_sel:WORD_0 src1_sel:DWORD
	s_nop 1
	v_cndmask_b32_e64 v8, v9, v8, s[0:1]
	v_accvgpr_write_b32 a9, v8
; %bb.844:                              ;   in Loop: Header=BB336_431 Depth=1
	s_or_b64 exec, exec, s[12:13]
	v_lshlrev_b32_e32 v8, 16, v12
	v_mul_f32_e32 v8, v26, v8
	v_and_b32_e32 v9, 0x7f800000, v8
	v_cmp_ne_u32_e64 s[0:1], s19, v9
                                        ; implicit-def: $agpr10
	s_and_saveexec_b64 s[12:13], s[0:1]
	s_xor_b64 s[0:1], exec, s[12:13]
; %bb.845:                              ;   in Loop: Header=BB336_431 Depth=1
	v_bfe_u32 v9, v8, 16, 1
	v_add3_u32 v8, v8, v9, s20
	v_accvgpr_write_b32 a10, v8
                                        ; implicit-def: $vgpr8
; %bb.846:                              ;   in Loop: Header=BB336_431 Depth=1
	s_andn2_saveexec_b64 s[12:13], s[0:1]
; %bb.847:                              ;   in Loop: Header=BB336_431 Depth=1
	v_or_b32_e32 v9, 0x10000, v8
	v_cmp_eq_u32_sdwa s[0:1], v8, v33 src0_sel:WORD_0 src1_sel:DWORD
	s_nop 1
	v_cndmask_b32_e64 v8, v9, v8, s[0:1]
	v_accvgpr_write_b32 a10, v8
; %bb.848:                              ;   in Loop: Header=BB336_431 Depth=1
	s_or_b64 exec, exec, s[12:13]
	v_lshlrev_b32_e32 v7, 16, v7
	v_mul_f32_e32 v7, v27, v7
	v_and_b32_e32 v8, 0x7f800000, v7
	v_cmp_ne_u32_e64 s[0:1], s19, v8
                                        ; implicit-def: $agpr38
	s_and_saveexec_b64 s[12:13], s[0:1]
	s_xor_b64 s[0:1], exec, s[12:13]
; %bb.849:                              ;   in Loop: Header=BB336_431 Depth=1
	v_bfe_u32 v8, v7, 16, 1
	v_add3_u32 v7, v7, v8, s20
	v_accvgpr_write_b32 a38, v7
                                        ; implicit-def: $vgpr7
; %bb.850:                              ;   in Loop: Header=BB336_431 Depth=1
	s_andn2_saveexec_b64 s[12:13], s[0:1]
; %bb.851:                              ;   in Loop: Header=BB336_431 Depth=1
	v_or_b32_e32 v8, 0x10000, v7
	v_cmp_eq_u32_sdwa s[0:1], v7, v33 src0_sel:WORD_0 src1_sel:DWORD
	s_nop 1
	v_cndmask_b32_e64 v7, v8, v7, s[0:1]
	v_accvgpr_write_b32 a38, v7
; %bb.852:                              ;   in Loop: Header=BB336_431 Depth=1
	s_or_b64 exec, exec, s[12:13]
	v_lshlrev_b32_e32 v6, 16, v6
	v_mul_f32_e32 v6, v36, v6
	v_and_b32_e32 v7, 0x7f800000, v6
	v_cmp_ne_u32_e64 s[0:1], s19, v7
                                        ; implicit-def: $agpr20
	s_and_saveexec_b64 s[12:13], s[0:1]
	s_xor_b64 s[0:1], exec, s[12:13]
; %bb.853:                              ;   in Loop: Header=BB336_431 Depth=1
	v_bfe_u32 v7, v6, 16, 1
	v_add3_u32 v6, v6, v7, s20
	v_accvgpr_write_b32 a20, v6
                                        ; implicit-def: $vgpr6
; %bb.854:                              ;   in Loop: Header=BB336_431 Depth=1
	s_andn2_saveexec_b64 s[12:13], s[0:1]
; %bb.855:                              ;   in Loop: Header=BB336_431 Depth=1
	v_or_b32_e32 v7, 0x10000, v6
	v_cmp_eq_u32_sdwa s[0:1], v6, v33 src0_sel:WORD_0 src1_sel:DWORD
	s_nop 1
	v_cndmask_b32_e64 v6, v7, v6, s[0:1]
	v_accvgpr_write_b32 a20, v6
; %bb.856:                              ;   in Loop: Header=BB336_431 Depth=1
	s_or_b64 exec, exec, s[12:13]
	v_lshlrev_b32_e32 v0, 16, v0
	v_mul_f32_e32 v0, v37, v0
	v_and_b32_e32 v6, 0x7f800000, v0
	v_cmp_ne_u32_e64 s[0:1], s19, v6
                                        ; implicit-def: $agpr21
	s_and_saveexec_b64 s[12:13], s[0:1]
	s_xor_b64 s[0:1], exec, s[12:13]
; %bb.857:                              ;   in Loop: Header=BB336_431 Depth=1
	v_bfe_u32 v6, v0, 16, 1
	v_add3_u32 v0, v0, v6, s20
	v_accvgpr_write_b32 a21, v0
                                        ; implicit-def: $vgpr0
; %bb.858:                              ;   in Loop: Header=BB336_431 Depth=1
	s_andn2_saveexec_b64 s[12:13], s[0:1]
; %bb.859:                              ;   in Loop: Header=BB336_431 Depth=1
	v_or_b32_e32 v6, 0x10000, v0
	v_cmp_eq_u32_sdwa s[0:1], v0, v33 src0_sel:WORD_0 src1_sel:DWORD
	s_nop 1
	v_cndmask_b32_e64 v0, v6, v0, s[0:1]
	v_accvgpr_write_b32 a21, v0
; %bb.860:                              ;   in Loop: Header=BB336_431 Depth=1
	s_or_b64 exec, exec, s[12:13]
	flat_load_dwordx2 v[6:7], v[4:5] offset:3072
	s_waitcnt vmcnt(0) lgkmcnt(0)
	v_and_b32_e32 v0, 0xff, v6
	v_cvt_f32_fp8_sdwa v0, v0 src0_sel:BYTE_0
	s_nop 0
	v_mul_f32_e32 v8, v51, v0
	v_and_b32_e32 v0, 0x7f800000, v8
	v_cmp_ne_u32_e64 s[0:1], s19, v0
                                        ; implicit-def: $vgpr0
	s_and_saveexec_b64 s[12:13], s[0:1]
	s_xor_b64 s[0:1], exec, s[12:13]
; %bb.861:                              ;   in Loop: Header=BB336_431 Depth=1
	v_bfe_u32 v0, v8, 16, 1
	v_add3_u32 v0, v8, v0, s20
                                        ; implicit-def: $vgpr8
; %bb.862:                              ;   in Loop: Header=BB336_431 Depth=1
	s_andn2_saveexec_b64 s[12:13], s[0:1]
; %bb.863:                              ;   in Loop: Header=BB336_431 Depth=1
	v_or_b32_e32 v0, 0x10000, v8
	v_cmp_eq_u32_sdwa s[0:1], v8, v33 src0_sel:WORD_0 src1_sel:DWORD
	s_nop 1
	v_cndmask_b32_e64 v0, v0, v8, s[0:1]
; %bb.864:                              ;   in Loop: Header=BB336_431 Depth=1
	s_or_b64 exec, exec, s[12:13]
	v_bfe_u32 v8, v6, 8, 8
	v_cvt_f32_fp8_sdwa v8, v8 src0_sel:BYTE_0
	s_nop 0
	v_mul_f32_e32 v9, v51, v8
	v_and_b32_e32 v8, 0x7f800000, v9
	v_cmp_ne_u32_e64 s[0:1], s19, v8
                                        ; implicit-def: $vgpr8
	s_and_saveexec_b64 s[12:13], s[0:1]
	s_xor_b64 s[0:1], exec, s[12:13]
; %bb.865:                              ;   in Loop: Header=BB336_431 Depth=1
	v_bfe_u32 v8, v9, 16, 1
	v_add3_u32 v8, v9, v8, s20
                                        ; implicit-def: $vgpr9
; %bb.866:                              ;   in Loop: Header=BB336_431 Depth=1
	s_andn2_saveexec_b64 s[12:13], s[0:1]
; %bb.867:                              ;   in Loop: Header=BB336_431 Depth=1
	v_or_b32_e32 v8, 0x10000, v9
	v_cmp_eq_u32_sdwa s[0:1], v9, v33 src0_sel:WORD_0 src1_sel:DWORD
	s_nop 1
	v_cndmask_b32_e64 v8, v8, v9, s[0:1]
; %bb.868:                              ;   in Loop: Header=BB336_431 Depth=1
	s_or_b64 exec, exec, s[12:13]
	v_bfe_u32 v9, v6, 16, 8
	v_cvt_f32_fp8_sdwa v9, v9 src0_sel:BYTE_0
	s_nop 0
	v_mul_f32_e32 v12, v51, v9
	v_and_b32_e32 v9, 0x7f800000, v12
	v_cmp_ne_u32_e64 s[0:1], s19, v9
                                        ; implicit-def: $vgpr9
	s_and_saveexec_b64 s[12:13], s[0:1]
	s_xor_b64 s[0:1], exec, s[12:13]
; %bb.869:                              ;   in Loop: Header=BB336_431 Depth=1
	v_bfe_u32 v9, v12, 16, 1
	v_add3_u32 v9, v12, v9, s20
                                        ; implicit-def: $vgpr12
; %bb.870:                              ;   in Loop: Header=BB336_431 Depth=1
	s_andn2_saveexec_b64 s[12:13], s[0:1]
; %bb.871:                              ;   in Loop: Header=BB336_431 Depth=1
	v_or_b32_e32 v9, 0x10000, v12
	v_cmp_eq_u32_sdwa s[0:1], v12, v33 src0_sel:WORD_0 src1_sel:DWORD
	s_nop 1
	v_cndmask_b32_e64 v9, v9, v12, s[0:1]
; %bb.872:                              ;   in Loop: Header=BB336_431 Depth=1
	s_or_b64 exec, exec, s[12:13]
	v_lshrrev_b32_e32 v6, 24, v6
	v_cvt_f32_fp8_sdwa v6, v6 src0_sel:BYTE_0
	s_nop 0
	v_mul_f32_e32 v12, v51, v6
	v_and_b32_e32 v6, 0x7f800000, v12
	v_cmp_ne_u32_e64 s[0:1], s19, v6
                                        ; implicit-def: $vgpr6
	s_and_saveexec_b64 s[12:13], s[0:1]
	s_xor_b64 s[0:1], exec, s[12:13]
; %bb.873:                              ;   in Loop: Header=BB336_431 Depth=1
	v_bfe_u32 v6, v12, 16, 1
	v_add3_u32 v6, v12, v6, s20
                                        ; implicit-def: $vgpr12
; %bb.874:                              ;   in Loop: Header=BB336_431 Depth=1
	s_andn2_saveexec_b64 s[12:13], s[0:1]
; %bb.875:                              ;   in Loop: Header=BB336_431 Depth=1
	v_or_b32_e32 v6, 0x10000, v12
	v_cmp_eq_u32_sdwa s[0:1], v12, v33 src0_sel:WORD_0 src1_sel:DWORD
	s_nop 1
	v_cndmask_b32_e64 v6, v6, v12, s[0:1]
; %bb.876:                              ;   in Loop: Header=BB336_431 Depth=1
	s_or_b64 exec, exec, s[12:13]
	v_and_b32_e32 v12, 0xff, v7
	v_cvt_f32_fp8_sdwa v12, v12 src0_sel:BYTE_0
	s_nop 0
	v_mul_f32_e32 v13, v51, v12
	v_and_b32_e32 v12, 0x7f800000, v13
	v_cmp_ne_u32_e64 s[0:1], s19, v12
                                        ; implicit-def: $vgpr12
	s_and_saveexec_b64 s[12:13], s[0:1]
	s_xor_b64 s[0:1], exec, s[12:13]
; %bb.877:                              ;   in Loop: Header=BB336_431 Depth=1
	v_bfe_u32 v12, v13, 16, 1
	v_add3_u32 v12, v13, v12, s20
                                        ; implicit-def: $vgpr13
; %bb.878:                              ;   in Loop: Header=BB336_431 Depth=1
	s_andn2_saveexec_b64 s[12:13], s[0:1]
; %bb.879:                              ;   in Loop: Header=BB336_431 Depth=1
	v_or_b32_e32 v12, 0x10000, v13
	v_cmp_eq_u32_sdwa s[0:1], v13, v33 src0_sel:WORD_0 src1_sel:DWORD
	s_nop 1
	v_cndmask_b32_e64 v12, v12, v13, s[0:1]
; %bb.880:                              ;   in Loop: Header=BB336_431 Depth=1
	s_or_b64 exec, exec, s[12:13]
	v_bfe_u32 v13, v7, 8, 8
	v_cvt_f32_fp8_sdwa v13, v13 src0_sel:BYTE_0
	s_nop 0
	v_mul_f32_e32 v14, v51, v13
	v_and_b32_e32 v13, 0x7f800000, v14
	v_cmp_ne_u32_e64 s[0:1], s19, v13
                                        ; implicit-def: $vgpr13
	s_and_saveexec_b64 s[12:13], s[0:1]
	s_xor_b64 s[0:1], exec, s[12:13]
; %bb.881:                              ;   in Loop: Header=BB336_431 Depth=1
	v_bfe_u32 v13, v14, 16, 1
	v_add3_u32 v13, v14, v13, s20
                                        ; implicit-def: $vgpr14
; %bb.882:                              ;   in Loop: Header=BB336_431 Depth=1
	s_andn2_saveexec_b64 s[12:13], s[0:1]
; %bb.883:                              ;   in Loop: Header=BB336_431 Depth=1
	v_or_b32_e32 v13, 0x10000, v14
	v_cmp_eq_u32_sdwa s[0:1], v14, v33 src0_sel:WORD_0 src1_sel:DWORD
	s_nop 1
	v_cndmask_b32_e64 v13, v13, v14, s[0:1]
; %bb.884:                              ;   in Loop: Header=BB336_431 Depth=1
	s_or_b64 exec, exec, s[12:13]
	v_bfe_u32 v14, v7, 16, 8
	v_cvt_f32_fp8_sdwa v14, v14 src0_sel:BYTE_0
	s_nop 0
	v_mul_f32_e32 v15, v51, v14
	v_and_b32_e32 v14, 0x7f800000, v15
	v_cmp_ne_u32_e64 s[0:1], s19, v14
                                        ; implicit-def: $vgpr14
	s_and_saveexec_b64 s[12:13], s[0:1]
	s_xor_b64 s[0:1], exec, s[12:13]
; %bb.885:                              ;   in Loop: Header=BB336_431 Depth=1
	v_bfe_u32 v14, v15, 16, 1
	v_add3_u32 v14, v15, v14, s20
                                        ; implicit-def: $vgpr15
; %bb.886:                              ;   in Loop: Header=BB336_431 Depth=1
	s_andn2_saveexec_b64 s[12:13], s[0:1]
; %bb.887:                              ;   in Loop: Header=BB336_431 Depth=1
	v_or_b32_e32 v14, 0x10000, v15
	v_cmp_eq_u32_sdwa s[0:1], v15, v33 src0_sel:WORD_0 src1_sel:DWORD
	s_nop 1
	v_cndmask_b32_e64 v14, v14, v15, s[0:1]
; %bb.888:                              ;   in Loop: Header=BB336_431 Depth=1
	s_or_b64 exec, exec, s[12:13]
	v_lshrrev_b32_e32 v7, 24, v7
	v_cvt_f32_fp8_sdwa v7, v7 src0_sel:BYTE_0
                                        ; implicit-def: $vgpr16
	s_nop 0
	v_mul_f32_e32 v7, v51, v7
	v_and_b32_e32 v15, 0x7f800000, v7
	v_cmp_ne_u32_e64 s[0:1], s19, v15
	s_and_saveexec_b64 s[12:13], s[0:1]
	s_xor_b64 s[0:1], exec, s[12:13]
; %bb.889:                              ;   in Loop: Header=BB336_431 Depth=1
	v_bfe_u32 v15, v7, 16, 1
	v_add3_u32 v16, v7, v15, s20
                                        ; implicit-def: $vgpr7
; %bb.890:                              ;   in Loop: Header=BB336_431 Depth=1
	s_andn2_saveexec_b64 s[12:13], s[0:1]
; %bb.891:                              ;   in Loop: Header=BB336_431 Depth=1
	v_or_b32_e32 v15, 0x10000, v7
	v_cmp_eq_u32_sdwa s[0:1], v7, v33 src0_sel:WORD_0 src1_sel:DWORD
	s_nop 1
	v_cndmask_b32_e64 v16, v15, v7, s[0:1]
; %bb.892:                              ;   in Loop: Header=BB336_431 Depth=1
	s_or_b64 exec, exec, s[12:13]
	v_lshrrev_b32_e32 v7, 16, v13
	v_lshrrev_b32_e32 v12, 16, v12
	;; [unrolled: 1-line block ×8, first 2 shown]
	s_and_saveexec_b64 s[12:13], vcc
	s_cbranch_execz .LBB336_894
; %bb.893:                              ;   in Loop: Header=BB336_431 Depth=1
	scratch_load_dword v16, off, s32 offset:188 ; 4-byte Folded Reload
	v_accvgpr_read_b32 v14, a53
	s_waitcnt vmcnt(0)
	v_cmp_lt_i32_e64 s[0:1], v1, v16
	s_nop 1
	v_cndmask_b32_e64 v15, 0, v15, s[0:1]
	v_cmp_lt_i32_e64 s[0:1], v14, v16
	v_accvgpr_read_b32 v14, a52
	s_nop 0
	v_cndmask_b32_e64 v8, 0, v8, s[0:1]
	v_cmp_lt_i32_e64 s[0:1], v14, v16
	v_accvgpr_read_b32 v14, a51
	;; [unrolled: 4-line block ×6, first 2 shown]
	s_nop 0
	v_cndmask_b32_e64 v6, 0, v6, s[0:1]
	v_cmp_lt_i32_e64 s[0:1], v14, v16
	s_nop 1
	v_cndmask_b32_e64 v0, 0, v0, s[0:1]
.LBB336_894:                            ;   in Loop: Header=BB336_431 Depth=1
	s_or_b64 exec, exec, s[12:13]
	v_lshlrev_b32_e32 v14, 16, v15
	v_mul_f32_e32 v14, v44, v14
	v_and_b32_e32 v15, 0x7f800000, v14
	v_cmp_ne_u32_e64 s[0:1], s19, v15
                                        ; implicit-def: $vgpr57
	s_and_saveexec_b64 s[12:13], s[0:1]
	s_xor_b64 s[0:1], exec, s[12:13]
; %bb.895:                              ;   in Loop: Header=BB336_431 Depth=1
	v_bfe_u32 v15, v14, 16, 1
	v_add3_u32 v57, v14, v15, s20
                                        ; implicit-def: $vgpr14
; %bb.896:                              ;   in Loop: Header=BB336_431 Depth=1
	s_andn2_saveexec_b64 s[12:13], s[0:1]
; %bb.897:                              ;   in Loop: Header=BB336_431 Depth=1
	v_or_b32_e32 v15, 0x10000, v14
	v_cmp_eq_u32_sdwa s[0:1], v14, v33 src0_sel:WORD_0 src1_sel:DWORD
	s_nop 1
	v_cndmask_b32_e64 v57, v15, v14, s[0:1]
; %bb.898:                              ;   in Loop: Header=BB336_431 Depth=1
	s_or_b64 exec, exec, s[12:13]
	v_lshlrev_b32_e32 v8, 16, v8
	v_mul_f32_e32 v8, v50, v8
	v_and_b32_e32 v14, 0x7f800000, v8
	v_cmp_ne_u32_e64 s[0:1], s19, v14
                                        ; implicit-def: $agpr23
	s_and_saveexec_b64 s[12:13], s[0:1]
	s_xor_b64 s[0:1], exec, s[12:13]
; %bb.899:                              ;   in Loop: Header=BB336_431 Depth=1
	v_bfe_u32 v14, v8, 16, 1
	v_add3_u32 v8, v8, v14, s20
	v_accvgpr_write_b32 a23, v8
                                        ; implicit-def: $vgpr8
; %bb.900:                              ;   in Loop: Header=BB336_431 Depth=1
	s_andn2_saveexec_b64 s[12:13], s[0:1]
; %bb.901:                              ;   in Loop: Header=BB336_431 Depth=1
	v_or_b32_e32 v14, 0x10000, v8
	v_cmp_eq_u32_sdwa s[0:1], v8, v33 src0_sel:WORD_0 src1_sel:DWORD
	s_nop 1
	v_cndmask_b32_e64 v8, v14, v8, s[0:1]
	v_accvgpr_write_b32 a23, v8
; %bb.902:                              ;   in Loop: Header=BB336_431 Depth=1
	s_or_b64 exec, exec, s[12:13]
	v_lshlrev_b32_e32 v8, 16, v9
	v_mul_f32_e32 v8, v30, v8
	v_and_b32_e32 v9, 0x7f800000, v8
	v_cmp_ne_u32_e64 s[0:1], s19, v9
                                        ; implicit-def: $agpr24
	s_and_saveexec_b64 s[12:13], s[0:1]
	s_xor_b64 s[0:1], exec, s[12:13]
; %bb.903:                              ;   in Loop: Header=BB336_431 Depth=1
	v_bfe_u32 v9, v8, 16, 1
	v_add3_u32 v8, v8, v9, s20
	v_accvgpr_write_b32 a24, v8
                                        ; implicit-def: $vgpr8
; %bb.904:                              ;   in Loop: Header=BB336_431 Depth=1
	s_andn2_saveexec_b64 s[12:13], s[0:1]
; %bb.905:                              ;   in Loop: Header=BB336_431 Depth=1
	v_or_b32_e32 v9, 0x10000, v8
	v_cmp_eq_u32_sdwa s[0:1], v8, v33 src0_sel:WORD_0 src1_sel:DWORD
	s_nop 1
	v_cndmask_b32_e64 v8, v9, v8, s[0:1]
	v_accvgpr_write_b32 a24, v8
; %bb.906:                              ;   in Loop: Header=BB336_431 Depth=1
	s_or_b64 exec, exec, s[12:13]
	v_lshlrev_b32_e32 v8, 16, v13
	v_mul_f32_e32 v8, v31, v8
	v_and_b32_e32 v9, 0x7f800000, v8
	v_cmp_ne_u32_e64 s[0:1], s19, v9
                                        ; implicit-def: $agpr25
	s_and_saveexec_b64 s[12:13], s[0:1]
	s_xor_b64 s[0:1], exec, s[12:13]
; %bb.907:                              ;   in Loop: Header=BB336_431 Depth=1
	v_bfe_u32 v9, v8, 16, 1
	v_add3_u32 v8, v8, v9, s20
	v_accvgpr_write_b32 a25, v8
                                        ; implicit-def: $vgpr8
; %bb.908:                              ;   in Loop: Header=BB336_431 Depth=1
	s_andn2_saveexec_b64 s[12:13], s[0:1]
; %bb.909:                              ;   in Loop: Header=BB336_431 Depth=1
	v_or_b32_e32 v9, 0x10000, v8
	v_cmp_eq_u32_sdwa s[0:1], v8, v33 src0_sel:WORD_0 src1_sel:DWORD
	s_nop 1
	v_cndmask_b32_e64 v8, v9, v8, s[0:1]
	v_accvgpr_write_b32 a25, v8
; %bb.910:                              ;   in Loop: Header=BB336_431 Depth=1
	s_or_b64 exec, exec, s[12:13]
	v_lshlrev_b32_e32 v8, 16, v12
	v_mul_f32_e32 v8, v26, v8
	v_and_b32_e32 v9, 0x7f800000, v8
	v_cmp_ne_u32_e64 s[0:1], s19, v9
                                        ; implicit-def: $agpr18
	s_and_saveexec_b64 s[12:13], s[0:1]
	s_xor_b64 s[0:1], exec, s[12:13]
; %bb.911:                              ;   in Loop: Header=BB336_431 Depth=1
	v_bfe_u32 v9, v8, 16, 1
	v_add3_u32 v8, v8, v9, s20
	v_accvgpr_write_b32 a18, v8
                                        ; implicit-def: $vgpr8
; %bb.912:                              ;   in Loop: Header=BB336_431 Depth=1
	s_andn2_saveexec_b64 s[12:13], s[0:1]
; %bb.913:                              ;   in Loop: Header=BB336_431 Depth=1
	v_or_b32_e32 v9, 0x10000, v8
	v_cmp_eq_u32_sdwa s[0:1], v8, v33 src0_sel:WORD_0 src1_sel:DWORD
	s_nop 1
	v_cndmask_b32_e64 v8, v9, v8, s[0:1]
	v_accvgpr_write_b32 a18, v8
; %bb.914:                              ;   in Loop: Header=BB336_431 Depth=1
	s_or_b64 exec, exec, s[12:13]
	v_lshlrev_b32_e32 v7, 16, v7
	v_mul_f32_e32 v7, v27, v7
	v_and_b32_e32 v8, 0x7f800000, v7
	v_cmp_ne_u32_e64 s[0:1], s19, v8
                                        ; implicit-def: $agpr19
	s_and_saveexec_b64 s[12:13], s[0:1]
	s_xor_b64 s[0:1], exec, s[12:13]
; %bb.915:                              ;   in Loop: Header=BB336_431 Depth=1
	v_bfe_u32 v8, v7, 16, 1
	v_add3_u32 v7, v7, v8, s20
	v_accvgpr_write_b32 a19, v7
                                        ; implicit-def: $vgpr7
; %bb.916:                              ;   in Loop: Header=BB336_431 Depth=1
	s_andn2_saveexec_b64 s[12:13], s[0:1]
; %bb.917:                              ;   in Loop: Header=BB336_431 Depth=1
	v_or_b32_e32 v8, 0x10000, v7
	v_cmp_eq_u32_sdwa s[0:1], v7, v33 src0_sel:WORD_0 src1_sel:DWORD
	s_nop 1
	v_cndmask_b32_e64 v7, v8, v7, s[0:1]
	v_accvgpr_write_b32 a19, v7
; %bb.918:                              ;   in Loop: Header=BB336_431 Depth=1
	s_or_b64 exec, exec, s[12:13]
	v_lshlrev_b32_e32 v6, 16, v6
	v_mul_f32_e32 v6, v36, v6
	v_and_b32_e32 v7, 0x7f800000, v6
	v_cmp_ne_u32_e64 s[0:1], s19, v7
                                        ; implicit-def: $agpr39
	s_and_saveexec_b64 s[12:13], s[0:1]
	s_xor_b64 s[0:1], exec, s[12:13]
; %bb.919:                              ;   in Loop: Header=BB336_431 Depth=1
	v_bfe_u32 v7, v6, 16, 1
	v_add3_u32 v6, v6, v7, s20
	v_accvgpr_write_b32 a39, v6
                                        ; implicit-def: $vgpr6
; %bb.920:                              ;   in Loop: Header=BB336_431 Depth=1
	s_andn2_saveexec_b64 s[12:13], s[0:1]
; %bb.921:                              ;   in Loop: Header=BB336_431 Depth=1
	v_or_b32_e32 v7, 0x10000, v6
	v_cmp_eq_u32_sdwa s[0:1], v6, v33 src0_sel:WORD_0 src1_sel:DWORD
	s_nop 1
	v_cndmask_b32_e64 v6, v7, v6, s[0:1]
	v_accvgpr_write_b32 a39, v6
; %bb.922:                              ;   in Loop: Header=BB336_431 Depth=1
	s_or_b64 exec, exec, s[12:13]
	v_lshlrev_b32_e32 v0, 16, v0
	v_mul_f32_e32 v0, v37, v0
	v_and_b32_e32 v6, 0x7f800000, v0
	v_cmp_ne_u32_e64 s[0:1], s19, v6
                                        ; implicit-def: $vgpr9
	s_and_saveexec_b64 s[12:13], s[0:1]
	s_xor_b64 s[0:1], exec, s[12:13]
; %bb.923:                              ;   in Loop: Header=BB336_431 Depth=1
	v_bfe_u32 v6, v0, 16, 1
	v_add3_u32 v9, v0, v6, s20
                                        ; implicit-def: $vgpr0
; %bb.924:                              ;   in Loop: Header=BB336_431 Depth=1
	s_andn2_saveexec_b64 s[12:13], s[0:1]
; %bb.925:                              ;   in Loop: Header=BB336_431 Depth=1
	v_or_b32_e32 v6, 0x10000, v0
	v_cmp_eq_u32_sdwa s[0:1], v0, v33 src0_sel:WORD_0 src1_sel:DWORD
	s_nop 1
	v_cndmask_b32_e64 v9, v6, v0, s[0:1]
; %bb.926:                              ;   in Loop: Header=BB336_431 Depth=1
	s_or_b64 exec, exec, s[12:13]
	flat_load_dwordx2 v[4:5], v[4:5] offset:3584
	s_waitcnt vmcnt(0) lgkmcnt(0)
	v_and_b32_e32 v0, 0xff, v4
	v_cvt_f32_fp8_sdwa v0, v0 src0_sel:BYTE_0
	s_nop 0
	v_mul_f32_e32 v6, v51, v0
	v_and_b32_e32 v0, 0x7f800000, v6
	v_cmp_ne_u32_e64 s[0:1], s19, v0
                                        ; implicit-def: $vgpr0
	s_and_saveexec_b64 s[12:13], s[0:1]
	s_xor_b64 s[0:1], exec, s[12:13]
; %bb.927:                              ;   in Loop: Header=BB336_431 Depth=1
	v_bfe_u32 v0, v6, 16, 1
	v_add3_u32 v0, v6, v0, s20
                                        ; implicit-def: $vgpr6
; %bb.928:                              ;   in Loop: Header=BB336_431 Depth=1
	s_andn2_saveexec_b64 s[12:13], s[0:1]
; %bb.929:                              ;   in Loop: Header=BB336_431 Depth=1
	v_or_b32_e32 v0, 0x10000, v6
	v_cmp_eq_u32_sdwa s[0:1], v6, v33 src0_sel:WORD_0 src1_sel:DWORD
	s_nop 1
	v_cndmask_b32_e64 v0, v0, v6, s[0:1]
; %bb.930:                              ;   in Loop: Header=BB336_431 Depth=1
	s_or_b64 exec, exec, s[12:13]
	v_bfe_u32 v6, v4, 8, 8
	v_cvt_f32_fp8_sdwa v6, v6 src0_sel:BYTE_0
	s_nop 0
	v_mul_f32_e32 v7, v51, v6
	v_and_b32_e32 v6, 0x7f800000, v7
	v_cmp_ne_u32_e64 s[0:1], s19, v6
                                        ; implicit-def: $vgpr6
	s_and_saveexec_b64 s[12:13], s[0:1]
	s_xor_b64 s[0:1], exec, s[12:13]
; %bb.931:                              ;   in Loop: Header=BB336_431 Depth=1
	v_bfe_u32 v6, v7, 16, 1
	v_add3_u32 v6, v7, v6, s20
                                        ; implicit-def: $vgpr7
; %bb.932:                              ;   in Loop: Header=BB336_431 Depth=1
	s_andn2_saveexec_b64 s[12:13], s[0:1]
; %bb.933:                              ;   in Loop: Header=BB336_431 Depth=1
	v_or_b32_e32 v6, 0x10000, v7
	v_cmp_eq_u32_sdwa s[0:1], v7, v33 src0_sel:WORD_0 src1_sel:DWORD
	s_nop 1
	v_cndmask_b32_e64 v6, v6, v7, s[0:1]
; %bb.934:                              ;   in Loop: Header=BB336_431 Depth=1
	s_or_b64 exec, exec, s[12:13]
	v_bfe_u32 v7, v4, 16, 8
	v_cvt_f32_fp8_sdwa v7, v7 src0_sel:BYTE_0
	s_nop 0
	v_mul_f32_e32 v8, v51, v7
	v_and_b32_e32 v7, 0x7f800000, v8
	v_cmp_ne_u32_e64 s[0:1], s19, v7
                                        ; implicit-def: $vgpr7
	s_and_saveexec_b64 s[12:13], s[0:1]
	s_xor_b64 s[0:1], exec, s[12:13]
; %bb.935:                              ;   in Loop: Header=BB336_431 Depth=1
	v_bfe_u32 v7, v8, 16, 1
	v_add3_u32 v7, v8, v7, s20
                                        ; implicit-def: $vgpr8
; %bb.936:                              ;   in Loop: Header=BB336_431 Depth=1
	s_andn2_saveexec_b64 s[12:13], s[0:1]
; %bb.937:                              ;   in Loop: Header=BB336_431 Depth=1
	v_or_b32_e32 v7, 0x10000, v8
	v_cmp_eq_u32_sdwa s[0:1], v8, v33 src0_sel:WORD_0 src1_sel:DWORD
	s_nop 1
	v_cndmask_b32_e64 v7, v7, v8, s[0:1]
; %bb.938:                              ;   in Loop: Header=BB336_431 Depth=1
	s_or_b64 exec, exec, s[12:13]
	v_lshrrev_b32_e32 v4, 24, v4
	v_cvt_f32_fp8_sdwa v4, v4 src0_sel:BYTE_0
	s_nop 0
	v_mul_f32_e32 v8, v51, v4
	v_and_b32_e32 v4, 0x7f800000, v8
	v_cmp_ne_u32_e64 s[0:1], s19, v4
                                        ; implicit-def: $vgpr4
	s_and_saveexec_b64 s[12:13], s[0:1]
	s_xor_b64 s[0:1], exec, s[12:13]
; %bb.939:                              ;   in Loop: Header=BB336_431 Depth=1
	v_bfe_u32 v4, v8, 16, 1
	v_add3_u32 v4, v8, v4, s20
                                        ; implicit-def: $vgpr8
; %bb.940:                              ;   in Loop: Header=BB336_431 Depth=1
	s_andn2_saveexec_b64 s[12:13], s[0:1]
; %bb.941:                              ;   in Loop: Header=BB336_431 Depth=1
	v_or_b32_e32 v4, 0x10000, v8
	v_cmp_eq_u32_sdwa s[0:1], v8, v33 src0_sel:WORD_0 src1_sel:DWORD
	s_nop 1
	v_cndmask_b32_e64 v4, v4, v8, s[0:1]
; %bb.942:                              ;   in Loop: Header=BB336_431 Depth=1
	s_or_b64 exec, exec, s[12:13]
	v_and_b32_e32 v8, 0xff, v5
	v_cvt_f32_fp8_sdwa v8, v8 src0_sel:BYTE_0
	s_nop 0
	v_mul_f32_e32 v12, v51, v8
	v_and_b32_e32 v8, 0x7f800000, v12
	v_cmp_ne_u32_e64 s[0:1], s19, v8
                                        ; implicit-def: $vgpr8
	s_and_saveexec_b64 s[12:13], s[0:1]
	s_xor_b64 s[0:1], exec, s[12:13]
; %bb.943:                              ;   in Loop: Header=BB336_431 Depth=1
	v_bfe_u32 v8, v12, 16, 1
	v_add3_u32 v8, v12, v8, s20
                                        ; implicit-def: $vgpr12
; %bb.944:                              ;   in Loop: Header=BB336_431 Depth=1
	s_andn2_saveexec_b64 s[12:13], s[0:1]
; %bb.945:                              ;   in Loop: Header=BB336_431 Depth=1
	v_or_b32_e32 v8, 0x10000, v12
	v_cmp_eq_u32_sdwa s[0:1], v12, v33 src0_sel:WORD_0 src1_sel:DWORD
	s_nop 1
	v_cndmask_b32_e64 v8, v8, v12, s[0:1]
; %bb.946:                              ;   in Loop: Header=BB336_431 Depth=1
	s_or_b64 exec, exec, s[12:13]
	v_bfe_u32 v12, v5, 8, 8
	v_cvt_f32_fp8_sdwa v12, v12 src0_sel:BYTE_0
	s_nop 0
	v_mul_f32_e32 v13, v51, v12
	v_and_b32_e32 v12, 0x7f800000, v13
	v_cmp_ne_u32_e64 s[0:1], s19, v12
                                        ; implicit-def: $vgpr12
	s_and_saveexec_b64 s[12:13], s[0:1]
	s_xor_b64 s[0:1], exec, s[12:13]
; %bb.947:                              ;   in Loop: Header=BB336_431 Depth=1
	v_bfe_u32 v12, v13, 16, 1
	v_add3_u32 v12, v13, v12, s20
                                        ; implicit-def: $vgpr13
; %bb.948:                              ;   in Loop: Header=BB336_431 Depth=1
	s_andn2_saveexec_b64 s[12:13], s[0:1]
; %bb.949:                              ;   in Loop: Header=BB336_431 Depth=1
	v_or_b32_e32 v12, 0x10000, v13
	v_cmp_eq_u32_sdwa s[0:1], v13, v33 src0_sel:WORD_0 src1_sel:DWORD
	s_nop 1
	v_cndmask_b32_e64 v12, v12, v13, s[0:1]
; %bb.950:                              ;   in Loop: Header=BB336_431 Depth=1
	s_or_b64 exec, exec, s[12:13]
	v_bfe_u32 v13, v5, 16, 8
	v_cvt_f32_fp8_sdwa v13, v13 src0_sel:BYTE_0
	s_nop 0
	v_mul_f32_e32 v14, v51, v13
	v_and_b32_e32 v13, 0x7f800000, v14
	v_cmp_ne_u32_e64 s[0:1], s19, v13
                                        ; implicit-def: $vgpr13
	s_and_saveexec_b64 s[12:13], s[0:1]
	s_xor_b64 s[0:1], exec, s[12:13]
; %bb.951:                              ;   in Loop: Header=BB336_431 Depth=1
	v_bfe_u32 v13, v14, 16, 1
	v_add3_u32 v13, v14, v13, s20
                                        ; implicit-def: $vgpr14
; %bb.952:                              ;   in Loop: Header=BB336_431 Depth=1
	s_andn2_saveexec_b64 s[12:13], s[0:1]
; %bb.953:                              ;   in Loop: Header=BB336_431 Depth=1
	v_or_b32_e32 v13, 0x10000, v14
	v_cmp_eq_u32_sdwa s[0:1], v14, v33 src0_sel:WORD_0 src1_sel:DWORD
	s_nop 1
	v_cndmask_b32_e64 v13, v13, v14, s[0:1]
; %bb.954:                              ;   in Loop: Header=BB336_431 Depth=1
	s_or_b64 exec, exec, s[12:13]
	v_lshrrev_b32_e32 v5, 24, v5
	v_cvt_f32_fp8_sdwa v5, v5 src0_sel:BYTE_0
                                        ; implicit-def: $vgpr15
	s_nop 0
	v_mul_f32_e32 v5, v51, v5
	v_and_b32_e32 v14, 0x7f800000, v5
	v_cmp_ne_u32_e64 s[0:1], s19, v14
	s_and_saveexec_b64 s[12:13], s[0:1]
	s_xor_b64 s[0:1], exec, s[12:13]
; %bb.955:                              ;   in Loop: Header=BB336_431 Depth=1
	v_bfe_u32 v14, v5, 16, 1
	v_add3_u32 v15, v5, v14, s20
                                        ; implicit-def: $vgpr5
; %bb.956:                              ;   in Loop: Header=BB336_431 Depth=1
	s_andn2_saveexec_b64 s[12:13], s[0:1]
; %bb.957:                              ;   in Loop: Header=BB336_431 Depth=1
	v_or_b32_e32 v14, 0x10000, v5
	v_cmp_eq_u32_sdwa s[0:1], v5, v33 src0_sel:WORD_0 src1_sel:DWORD
	s_nop 1
	v_cndmask_b32_e64 v15, v14, v5, s[0:1]
; %bb.958:                              ;   in Loop: Header=BB336_431 Depth=1
	s_or_b64 exec, exec, s[12:13]
	v_lshrrev_b32_e32 v5, 16, v12
	v_lshrrev_b32_e32 v12, 16, v8
	;; [unrolled: 1-line block ×8, first 2 shown]
	s_and_saveexec_b64 s[12:13], vcc
	s_cbranch_execz .LBB336_960
; %bb.959:                              ;   in Loop: Header=BB336_431 Depth=1
	scratch_load_dword v15, off, s32 offset:188 ; 4-byte Folded Reload
	v_accvgpr_read_b32 v13, a53
	s_waitcnt vmcnt(0)
	v_cmp_lt_i32_e64 s[0:1], v1, v15
	s_nop 1
	v_cndmask_b32_e64 v14, 0, v14, s[0:1]
	v_cmp_lt_i32_e64 s[0:1], v13, v15
	v_accvgpr_read_b32 v13, a52
	s_nop 0
	v_cndmask_b32_e64 v6, 0, v6, s[0:1]
	v_cmp_lt_i32_e64 s[0:1], v13, v15
	v_accvgpr_read_b32 v13, a51
	;; [unrolled: 4-line block ×6, first 2 shown]
	s_nop 0
	v_cndmask_b32_e64 v4, 0, v4, s[0:1]
	v_cmp_lt_i32_e64 s[0:1], v13, v15
	s_nop 1
	v_cndmask_b32_e64 v0, 0, v0, s[0:1]
.LBB336_960:                            ;   in Loop: Header=BB336_431 Depth=1
	s_or_b64 exec, exec, s[12:13]
	v_lshlrev_b32_e32 v13, 16, v14
	v_mul_f32_e32 v13, v44, v13
	v_and_b32_e32 v14, 0x7f800000, v13
	v_cmp_ne_u32_e64 s[0:1], s19, v14
                                        ; implicit-def: $vgpr54
	s_and_saveexec_b64 s[12:13], s[0:1]
	s_xor_b64 s[0:1], exec, s[12:13]
; %bb.961:                              ;   in Loop: Header=BB336_431 Depth=1
	v_bfe_u32 v14, v13, 16, 1
	v_add3_u32 v54, v13, v14, s20
                                        ; implicit-def: $vgpr13
; %bb.962:                              ;   in Loop: Header=BB336_431 Depth=1
	s_andn2_saveexec_b64 s[12:13], s[0:1]
; %bb.963:                              ;   in Loop: Header=BB336_431 Depth=1
	v_or_b32_e32 v14, 0x10000, v13
	v_cmp_eq_u32_sdwa s[0:1], v13, v33 src0_sel:WORD_0 src1_sel:DWORD
	s_nop 1
	v_cndmask_b32_e64 v54, v14, v13, s[0:1]
; %bb.964:                              ;   in Loop: Header=BB336_431 Depth=1
	s_or_b64 exec, exec, s[12:13]
	v_lshlrev_b32_e32 v6, 16, v6
	v_mul_f32_e32 v6, v50, v6
	v_and_b32_e32 v13, 0x7f800000, v6
	v_cmp_ne_u32_e64 s[0:1], s19, v13
                                        ; implicit-def: $vgpr55
	s_and_saveexec_b64 s[12:13], s[0:1]
	s_xor_b64 s[0:1], exec, s[12:13]
; %bb.965:                              ;   in Loop: Header=BB336_431 Depth=1
	v_bfe_u32 v13, v6, 16, 1
	v_add3_u32 v55, v6, v13, s20
                                        ; implicit-def: $vgpr6
; %bb.966:                              ;   in Loop: Header=BB336_431 Depth=1
	s_andn2_saveexec_b64 s[12:13], s[0:1]
; %bb.967:                              ;   in Loop: Header=BB336_431 Depth=1
	v_or_b32_e32 v13, 0x10000, v6
	v_cmp_eq_u32_sdwa s[0:1], v6, v33 src0_sel:WORD_0 src1_sel:DWORD
	s_nop 1
	v_cndmask_b32_e64 v55, v13, v6, s[0:1]
; %bb.968:                              ;   in Loop: Header=BB336_431 Depth=1
	s_or_b64 exec, exec, s[12:13]
	v_lshlrev_b32_e32 v6, 16, v7
	v_mul_f32_e32 v6, v30, v6
	v_and_b32_e32 v7, 0x7f800000, v6
	v_cmp_ne_u32_e64 s[0:1], s19, v7
                                        ; implicit-def: $vgpr46
	s_and_saveexec_b64 s[12:13], s[0:1]
	s_xor_b64 s[0:1], exec, s[12:13]
; %bb.969:                              ;   in Loop: Header=BB336_431 Depth=1
	v_bfe_u32 v7, v6, 16, 1
	v_add3_u32 v46, v6, v7, s20
                                        ; implicit-def: $vgpr6
; %bb.970:                              ;   in Loop: Header=BB336_431 Depth=1
	s_andn2_saveexec_b64 s[12:13], s[0:1]
; %bb.971:                              ;   in Loop: Header=BB336_431 Depth=1
	v_or_b32_e32 v7, 0x10000, v6
	v_cmp_eq_u32_sdwa s[0:1], v6, v33 src0_sel:WORD_0 src1_sel:DWORD
	s_nop 1
	v_cndmask_b32_e64 v46, v7, v6, s[0:1]
; %bb.972:                              ;   in Loop: Header=BB336_431 Depth=1
	s_or_b64 exec, exec, s[12:13]
	v_lshlrev_b32_e32 v6, 16, v8
	v_mul_f32_e32 v6, v31, v6
	v_and_b32_e32 v7, 0x7f800000, v6
	v_cmp_ne_u32_e64 s[0:1], s19, v7
                                        ; implicit-def: $vgpr47
	s_and_saveexec_b64 s[12:13], s[0:1]
	s_xor_b64 s[0:1], exec, s[12:13]
; %bb.973:                              ;   in Loop: Header=BB336_431 Depth=1
	v_bfe_u32 v7, v6, 16, 1
	v_add3_u32 v47, v6, v7, s20
                                        ; implicit-def: $vgpr6
; %bb.974:                              ;   in Loop: Header=BB336_431 Depth=1
	s_andn2_saveexec_b64 s[12:13], s[0:1]
; %bb.975:                              ;   in Loop: Header=BB336_431 Depth=1
	v_or_b32_e32 v7, 0x10000, v6
	v_cmp_eq_u32_sdwa s[0:1], v6, v33 src0_sel:WORD_0 src1_sel:DWORD
	s_nop 1
	v_cndmask_b32_e64 v47, v7, v6, s[0:1]
; %bb.976:                              ;   in Loop: Header=BB336_431 Depth=1
	s_or_b64 exec, exec, s[12:13]
	v_lshlrev_b32_e32 v6, 16, v12
	v_mul_f32_e32 v6, v26, v6
	v_and_b32_e32 v7, 0x7f800000, v6
	v_cmp_ne_u32_e64 s[0:1], s19, v7
                                        ; implicit-def: $vgpr62
	s_and_saveexec_b64 s[12:13], s[0:1]
	s_xor_b64 s[0:1], exec, s[12:13]
; %bb.977:                              ;   in Loop: Header=BB336_431 Depth=1
	v_bfe_u32 v7, v6, 16, 1
	v_add3_u32 v62, v6, v7, s20
                                        ; implicit-def: $vgpr6
; %bb.978:                              ;   in Loop: Header=BB336_431 Depth=1
	s_andn2_saveexec_b64 s[12:13], s[0:1]
; %bb.979:                              ;   in Loop: Header=BB336_431 Depth=1
	v_or_b32_e32 v7, 0x10000, v6
	v_cmp_eq_u32_sdwa s[0:1], v6, v33 src0_sel:WORD_0 src1_sel:DWORD
	s_nop 1
	v_cndmask_b32_e64 v62, v7, v6, s[0:1]
; %bb.980:                              ;   in Loop: Header=BB336_431 Depth=1
	s_or_b64 exec, exec, s[12:13]
	v_lshlrev_b32_e32 v5, 16, v5
	v_mul_f32_e32 v5, v27, v5
	v_and_b32_e32 v6, 0x7f800000, v5
	v_cmp_ne_u32_e64 s[0:1], s19, v6
                                        ; implicit-def: $vgpr60
	s_and_saveexec_b64 s[12:13], s[0:1]
	s_xor_b64 s[0:1], exec, s[12:13]
; %bb.981:                              ;   in Loop: Header=BB336_431 Depth=1
	v_bfe_u32 v6, v5, 16, 1
	v_add3_u32 v60, v5, v6, s20
                                        ; implicit-def: $vgpr5
; %bb.982:                              ;   in Loop: Header=BB336_431 Depth=1
	s_andn2_saveexec_b64 s[12:13], s[0:1]
; %bb.983:                              ;   in Loop: Header=BB336_431 Depth=1
	v_or_b32_e32 v6, 0x10000, v5
	v_cmp_eq_u32_sdwa s[0:1], v5, v33 src0_sel:WORD_0 src1_sel:DWORD
	s_nop 1
	v_cndmask_b32_e64 v60, v6, v5, s[0:1]
; %bb.984:                              ;   in Loop: Header=BB336_431 Depth=1
	s_or_b64 exec, exec, s[12:13]
	v_lshlrev_b32_e32 v4, 16, v4
	v_mul_f32_e32 v4, v36, v4
	v_and_b32_e32 v5, 0x7f800000, v4
	v_cmp_ne_u32_e64 s[0:1], s19, v5
                                        ; implicit-def: $vgpr38
	s_and_saveexec_b64 s[12:13], s[0:1]
	s_xor_b64 s[0:1], exec, s[12:13]
; %bb.985:                              ;   in Loop: Header=BB336_431 Depth=1
	v_bfe_u32 v5, v4, 16, 1
	v_add3_u32 v38, v4, v5, s20
                                        ; implicit-def: $vgpr4
; %bb.986:                              ;   in Loop: Header=BB336_431 Depth=1
	s_andn2_saveexec_b64 s[12:13], s[0:1]
; %bb.987:                              ;   in Loop: Header=BB336_431 Depth=1
	v_or_b32_e32 v5, 0x10000, v4
	v_cmp_eq_u32_sdwa s[0:1], v4, v33 src0_sel:WORD_0 src1_sel:DWORD
	s_nop 1
	v_cndmask_b32_e64 v38, v5, v4, s[0:1]
; %bb.988:                              ;   in Loop: Header=BB336_431 Depth=1
	s_or_b64 exec, exec, s[12:13]
	v_lshlrev_b32_e32 v0, 16, v0
	v_mul_f32_e32 v0, v37, v0
	v_and_b32_e32 v4, 0x7f800000, v0
	v_cmp_ne_u32_e64 s[0:1], s19, v4
                                        ; implicit-def: $vgpr39
	s_and_saveexec_b64 s[12:13], s[0:1]
	s_xor_b64 s[0:1], exec, s[12:13]
; %bb.989:                              ;   in Loop: Header=BB336_431 Depth=1
	v_bfe_u32 v4, v0, 16, 1
	v_add3_u32 v39, v0, v4, s20
                                        ; implicit-def: $vgpr0
; %bb.990:                              ;   in Loop: Header=BB336_431 Depth=1
	s_andn2_saveexec_b64 s[12:13], s[0:1]
; %bb.991:                              ;   in Loop: Header=BB336_431 Depth=1
	v_or_b32_e32 v4, 0x10000, v0
	v_cmp_eq_u32_sdwa s[0:1], v0, v33 src0_sel:WORD_0 src1_sel:DWORD
	s_nop 1
	v_cndmask_b32_e64 v39, v4, v0, s[0:1]
; %bb.992:                              ;   in Loop: Header=BB336_431 Depth=1
	s_or_b64 exec, exec, s[12:13]
	scratch_load_dwordx2 v[4:5], off, s32 offset:316 ; 8-byte Folded Reload
	s_waitcnt vmcnt(0)
	v_lshl_add_u64 v[4:5], v[2:3], 0, v[4:5]
	flat_load_dwordx2 v[4:5], v[4:5]
	s_waitcnt vmcnt(0) lgkmcnt(0)
	v_and_b32_e32 v0, 0xff, v4
	v_cvt_f32_fp8_sdwa v0, v0 src0_sel:BYTE_0
	s_nop 0
	v_mul_f32_e32 v6, v51, v0
	v_and_b32_e32 v0, 0x7f800000, v6
	v_cmp_ne_u32_e64 s[0:1], s19, v0
                                        ; implicit-def: $vgpr0
	s_and_saveexec_b64 s[12:13], s[0:1]
	s_xor_b64 s[0:1], exec, s[12:13]
; %bb.993:                              ;   in Loop: Header=BB336_431 Depth=1
	v_bfe_u32 v0, v6, 16, 1
	v_add3_u32 v0, v6, v0, s20
                                        ; implicit-def: $vgpr6
; %bb.994:                              ;   in Loop: Header=BB336_431 Depth=1
	s_andn2_saveexec_b64 s[12:13], s[0:1]
; %bb.995:                              ;   in Loop: Header=BB336_431 Depth=1
	v_or_b32_e32 v0, 0x10000, v6
	v_cmp_eq_u32_sdwa s[0:1], v6, v33 src0_sel:WORD_0 src1_sel:DWORD
	s_nop 1
	v_cndmask_b32_e64 v0, v0, v6, s[0:1]
; %bb.996:                              ;   in Loop: Header=BB336_431 Depth=1
	s_or_b64 exec, exec, s[12:13]
	v_bfe_u32 v6, v4, 8, 8
	v_cvt_f32_fp8_sdwa v6, v6 src0_sel:BYTE_0
	s_nop 0
	v_mul_f32_e32 v7, v51, v6
	v_and_b32_e32 v6, 0x7f800000, v7
	v_cmp_ne_u32_e64 s[0:1], s19, v6
                                        ; implicit-def: $vgpr6
	s_and_saveexec_b64 s[12:13], s[0:1]
	s_xor_b64 s[0:1], exec, s[12:13]
; %bb.997:                              ;   in Loop: Header=BB336_431 Depth=1
	v_bfe_u32 v6, v7, 16, 1
	v_add3_u32 v6, v7, v6, s20
                                        ; implicit-def: $vgpr7
; %bb.998:                              ;   in Loop: Header=BB336_431 Depth=1
	s_andn2_saveexec_b64 s[12:13], s[0:1]
; %bb.999:                              ;   in Loop: Header=BB336_431 Depth=1
	v_or_b32_e32 v6, 0x10000, v7
	v_cmp_eq_u32_sdwa s[0:1], v7, v33 src0_sel:WORD_0 src1_sel:DWORD
	s_nop 1
	v_cndmask_b32_e64 v6, v6, v7, s[0:1]
; %bb.1000:                             ;   in Loop: Header=BB336_431 Depth=1
	s_or_b64 exec, exec, s[12:13]
	v_bfe_u32 v7, v4, 16, 8
	v_cvt_f32_fp8_sdwa v7, v7 src0_sel:BYTE_0
                                        ; implicit-def: $vgpr12
	s_nop 0
	v_mul_f32_e32 v7, v51, v7
	v_and_b32_e32 v8, 0x7f800000, v7
	v_cmp_ne_u32_e64 s[0:1], s19, v8
	s_and_saveexec_b64 s[12:13], s[0:1]
	s_xor_b64 s[0:1], exec, s[12:13]
; %bb.1001:                             ;   in Loop: Header=BB336_431 Depth=1
	v_bfe_u32 v8, v7, 16, 1
	v_add3_u32 v12, v7, v8, s20
                                        ; implicit-def: $vgpr7
; %bb.1002:                             ;   in Loop: Header=BB336_431 Depth=1
	s_andn2_saveexec_b64 s[12:13], s[0:1]
; %bb.1003:                             ;   in Loop: Header=BB336_431 Depth=1
	v_or_b32_e32 v8, 0x10000, v7
	v_cmp_eq_u32_sdwa s[0:1], v7, v33 src0_sel:WORD_0 src1_sel:DWORD
	s_nop 1
	v_cndmask_b32_e64 v12, v8, v7, s[0:1]
; %bb.1004:                             ;   in Loop: Header=BB336_431 Depth=1
	s_or_b64 exec, exec, s[12:13]
	v_lshrrev_b32_e32 v4, 24, v4
	v_cvt_f32_fp8_sdwa v4, v4 src0_sel:BYTE_0
	s_nop 0
	v_mul_f32_e32 v7, v51, v4
	v_and_b32_e32 v4, 0x7f800000, v7
	v_cmp_ne_u32_e64 s[0:1], s19, v4
                                        ; implicit-def: $vgpr4
	s_and_saveexec_b64 s[12:13], s[0:1]
	s_xor_b64 s[0:1], exec, s[12:13]
; %bb.1005:                             ;   in Loop: Header=BB336_431 Depth=1
	v_bfe_u32 v4, v7, 16, 1
	v_add3_u32 v4, v7, v4, s20
                                        ; implicit-def: $vgpr7
; %bb.1006:                             ;   in Loop: Header=BB336_431 Depth=1
	s_andn2_saveexec_b64 s[12:13], s[0:1]
; %bb.1007:                             ;   in Loop: Header=BB336_431 Depth=1
	v_or_b32_e32 v4, 0x10000, v7
	v_cmp_eq_u32_sdwa s[0:1], v7, v33 src0_sel:WORD_0 src1_sel:DWORD
	s_nop 1
	v_cndmask_b32_e64 v4, v4, v7, s[0:1]
; %bb.1008:                             ;   in Loop: Header=BB336_431 Depth=1
	s_or_b64 exec, exec, s[12:13]
	v_and_b32_e32 v7, 0xff, v5
	v_cvt_f32_fp8_sdwa v7, v7 src0_sel:BYTE_0
	s_nop 0
	v_mul_f32_e32 v7, v51, v7
	v_and_b32_e32 v8, 0x7f800000, v7
	v_cmp_ne_u32_e64 s[0:1], s19, v8
                                        ; implicit-def: $vgpr8
	s_and_saveexec_b64 s[12:13], s[0:1]
	s_xor_b64 s[0:1], exec, s[12:13]
; %bb.1009:                             ;   in Loop: Header=BB336_431 Depth=1
	v_bfe_u32 v8, v7, 16, 1
	v_add3_u32 v8, v7, v8, s20
                                        ; implicit-def: $vgpr7
; %bb.1010:                             ;   in Loop: Header=BB336_431 Depth=1
	s_andn2_saveexec_b64 s[12:13], s[0:1]
; %bb.1011:                             ;   in Loop: Header=BB336_431 Depth=1
	v_or_b32_e32 v8, 0x10000, v7
	v_cmp_eq_u32_sdwa s[0:1], v7, v33 src0_sel:WORD_0 src1_sel:DWORD
	s_nop 1
	v_cndmask_b32_e64 v8, v8, v7, s[0:1]
; %bb.1012:                             ;   in Loop: Header=BB336_431 Depth=1
	s_or_b64 exec, exec, s[12:13]
	v_bfe_u32 v7, v5, 8, 8
	v_cvt_f32_fp8_sdwa v7, v7 src0_sel:BYTE_0
	s_nop 0
	v_mul_f32_e32 v13, v51, v7
	v_and_b32_e32 v7, 0x7f800000, v13
	v_cmp_ne_u32_e64 s[0:1], s19, v7
                                        ; implicit-def: $vgpr7
	s_and_saveexec_b64 s[12:13], s[0:1]
	s_xor_b64 s[0:1], exec, s[12:13]
; %bb.1013:                             ;   in Loop: Header=BB336_431 Depth=1
	v_bfe_u32 v7, v13, 16, 1
	v_add3_u32 v7, v13, v7, s20
                                        ; implicit-def: $vgpr13
; %bb.1014:                             ;   in Loop: Header=BB336_431 Depth=1
	s_andn2_saveexec_b64 s[12:13], s[0:1]
; %bb.1015:                             ;   in Loop: Header=BB336_431 Depth=1
	v_or_b32_e32 v7, 0x10000, v13
	v_cmp_eq_u32_sdwa s[0:1], v13, v33 src0_sel:WORD_0 src1_sel:DWORD
	s_nop 1
	v_cndmask_b32_e64 v7, v7, v13, s[0:1]
; %bb.1016:                             ;   in Loop: Header=BB336_431 Depth=1
	s_or_b64 exec, exec, s[12:13]
	v_bfe_u32 v13, v5, 16, 8
	v_cvt_f32_fp8_sdwa v13, v13 src0_sel:BYTE_0
	s_nop 0
	v_mul_f32_e32 v13, v51, v13
	v_and_b32_e32 v14, 0x7f800000, v13
	v_cmp_ne_u32_e64 s[0:1], s19, v14
                                        ; implicit-def: $vgpr14
	s_and_saveexec_b64 s[12:13], s[0:1]
	s_xor_b64 s[0:1], exec, s[12:13]
; %bb.1017:                             ;   in Loop: Header=BB336_431 Depth=1
	v_bfe_u32 v14, v13, 16, 1
	v_add3_u32 v14, v13, v14, s20
                                        ; implicit-def: $vgpr13
; %bb.1018:                             ;   in Loop: Header=BB336_431 Depth=1
	s_andn2_saveexec_b64 s[12:13], s[0:1]
; %bb.1019:                             ;   in Loop: Header=BB336_431 Depth=1
	v_or_b32_e32 v14, 0x10000, v13
	v_cmp_eq_u32_sdwa s[0:1], v13, v33 src0_sel:WORD_0 src1_sel:DWORD
	s_nop 1
	v_cndmask_b32_e64 v14, v14, v13, s[0:1]
; %bb.1020:                             ;   in Loop: Header=BB336_431 Depth=1
	s_or_b64 exec, exec, s[12:13]
	v_lshrrev_b32_e32 v5, 24, v5
	v_cvt_f32_fp8_sdwa v5, v5 src0_sel:BYTE_0
                                        ; implicit-def: $vgpr15
	s_nop 0
	v_mul_f32_e32 v5, v51, v5
	v_and_b32_e32 v13, 0x7f800000, v5
	v_cmp_ne_u32_e64 s[0:1], s19, v13
	s_and_saveexec_b64 s[12:13], s[0:1]
	s_xor_b64 s[0:1], exec, s[12:13]
; %bb.1021:                             ;   in Loop: Header=BB336_431 Depth=1
	v_bfe_u32 v13, v5, 16, 1
	v_add3_u32 v15, v5, v13, s20
                                        ; implicit-def: $vgpr5
; %bb.1022:                             ;   in Loop: Header=BB336_431 Depth=1
	s_andn2_saveexec_b64 s[12:13], s[0:1]
; %bb.1023:                             ;   in Loop: Header=BB336_431 Depth=1
	v_or_b32_e32 v13, 0x10000, v5
	v_cmp_eq_u32_sdwa s[0:1], v5, v33 src0_sel:WORD_0 src1_sel:DWORD
	s_nop 1
	v_cndmask_b32_e64 v15, v13, v5, s[0:1]
; %bb.1024:                             ;   in Loop: Header=BB336_431 Depth=1
	s_or_b64 exec, exec, s[12:13]
	v_lshrrev_b32_e32 v7, 16, v7
	v_lshrrev_b32_e32 v13, 16, v8
	;; [unrolled: 1-line block ×8, first 2 shown]
	s_and_saveexec_b64 s[12:13], vcc
	s_cbranch_execz .LBB336_1026
; %bb.1025:                             ;   in Loop: Header=BB336_431 Depth=1
	scratch_load_dword v15, off, s32 offset:188 ; 4-byte Folded Reload
	v_accvgpr_read_b32 v14, a53
	s_waitcnt vmcnt(0)
	v_cmp_lt_i32_e64 s[0:1], v1, v15
	s_nop 1
	v_cndmask_b32_e64 v0, 0, v0, s[0:1]
	v_cmp_lt_i32_e64 s[0:1], v14, v15
	v_accvgpr_read_b32 v14, a52
	s_nop 0
	v_cndmask_b32_e64 v6, 0, v6, s[0:1]
	v_cmp_lt_i32_e64 s[0:1], v14, v15
	v_accvgpr_read_b32 v14, a51
	;; [unrolled: 4-line block ×6, first 2 shown]
	s_nop 0
	v_cndmask_b32_e64 v5, 0, v5, s[0:1]
	v_cmp_lt_i32_e64 s[0:1], v14, v15
	s_nop 1
	v_cndmask_b32_e64 v4, 0, v4, s[0:1]
.LBB336_1026:                           ;   in Loop: Header=BB336_431 Depth=1
	s_or_b64 exec, exec, s[12:13]
	v_lshlrev_b32_e32 v0, 16, v0
	v_mul_f32_e32 v0, v44, v0
	v_and_b32_e32 v14, 0x7f800000, v0
	v_cmp_ne_u32_e64 s[0:1], s19, v14
                                        ; implicit-def: $vgpr53
	s_and_saveexec_b64 s[12:13], s[0:1]
	s_xor_b64 s[0:1], exec, s[12:13]
; %bb.1027:                             ;   in Loop: Header=BB336_431 Depth=1
	v_bfe_u32 v14, v0, 16, 1
	v_add3_u32 v53, v0, v14, s20
                                        ; implicit-def: $vgpr0
; %bb.1028:                             ;   in Loop: Header=BB336_431 Depth=1
	s_andn2_saveexec_b64 s[12:13], s[0:1]
; %bb.1029:                             ;   in Loop: Header=BB336_431 Depth=1
	v_or_b32_e32 v14, 0x10000, v0
	v_cmp_eq_u32_sdwa s[0:1], v0, v33 src0_sel:WORD_0 src1_sel:DWORD
	s_nop 1
	v_cndmask_b32_e64 v53, v14, v0, s[0:1]
; %bb.1030:                             ;   in Loop: Header=BB336_431 Depth=1
	s_or_b64 exec, exec, s[12:13]
	v_lshlrev_b32_e32 v0, 16, v6
	v_mul_f32_e32 v0, v50, v0
	v_and_b32_e32 v6, 0x7f800000, v0
	v_cmp_ne_u32_e64 s[0:1], s19, v6
                                        ; implicit-def: $vgpr48
	s_and_saveexec_b64 s[12:13], s[0:1]
	s_xor_b64 s[0:1], exec, s[12:13]
; %bb.1031:                             ;   in Loop: Header=BB336_431 Depth=1
	v_bfe_u32 v6, v0, 16, 1
	v_add3_u32 v48, v0, v6, s20
                                        ; implicit-def: $vgpr0
; %bb.1032:                             ;   in Loop: Header=BB336_431 Depth=1
	s_andn2_saveexec_b64 s[12:13], s[0:1]
; %bb.1033:                             ;   in Loop: Header=BB336_431 Depth=1
	v_or_b32_e32 v6, 0x10000, v0
	v_cmp_eq_u32_sdwa s[0:1], v0, v33 src0_sel:WORD_0 src1_sel:DWORD
	s_nop 1
	v_cndmask_b32_e64 v48, v6, v0, s[0:1]
; %bb.1034:                             ;   in Loop: Header=BB336_431 Depth=1
	s_or_b64 exec, exec, s[12:13]
	v_lshlrev_b32_e32 v0, 16, v12
	v_mul_f32_e32 v0, v30, v0
	v_and_b32_e32 v6, 0x7f800000, v0
	v_cmp_ne_u32_e64 s[0:1], s19, v6
                                        ; implicit-def: $vgpr49
	s_and_saveexec_b64 s[12:13], s[0:1]
	s_xor_b64 s[0:1], exec, s[12:13]
; %bb.1035:                             ;   in Loop: Header=BB336_431 Depth=1
	v_bfe_u32 v6, v0, 16, 1
	v_add3_u32 v49, v0, v6, s20
                                        ; implicit-def: $vgpr0
; %bb.1036:                             ;   in Loop: Header=BB336_431 Depth=1
	s_andn2_saveexec_b64 s[12:13], s[0:1]
; %bb.1037:                             ;   in Loop: Header=BB336_431 Depth=1
	v_or_b32_e32 v6, 0x10000, v0
	v_cmp_eq_u32_sdwa s[0:1], v0, v33 src0_sel:WORD_0 src1_sel:DWORD
	s_nop 1
	v_cndmask_b32_e64 v49, v6, v0, s[0:1]
; %bb.1038:                             ;   in Loop: Header=BB336_431 Depth=1
	s_or_b64 exec, exec, s[12:13]
	v_lshlrev_b32_e32 v0, 16, v8
	v_mul_f32_e32 v6, v31, v0
	v_and_b32_e32 v0, 0x7f800000, v6
	v_cmp_ne_u32_e64 s[0:1], s19, v0
                                        ; implicit-def: $vgpr0
	s_and_saveexec_b64 s[12:13], s[0:1]
	s_xor_b64 s[0:1], exec, s[12:13]
; %bb.1039:                             ;   in Loop: Header=BB336_431 Depth=1
	v_bfe_u32 v0, v6, 16, 1
	v_add3_u32 v0, v6, v0, s20
                                        ; implicit-def: $vgpr6
; %bb.1040:                             ;   in Loop: Header=BB336_431 Depth=1
	s_andn2_saveexec_b64 s[12:13], s[0:1]
; %bb.1041:                             ;   in Loop: Header=BB336_431 Depth=1
	v_or_b32_e32 v0, 0x10000, v6
	v_cmp_eq_u32_sdwa s[0:1], v6, v33 src0_sel:WORD_0 src1_sel:DWORD
	s_nop 1
	v_cndmask_b32_e64 v0, v0, v6, s[0:1]
; %bb.1042:                             ;   in Loop: Header=BB336_431 Depth=1
	s_or_b64 exec, exec, s[12:13]
	v_lshlrev_b32_e32 v6, 16, v13
	v_mul_f32_e32 v6, v26, v6
	v_and_b32_e32 v8, 0x7f800000, v6
	v_cmp_ne_u32_e64 s[0:1], s19, v8
                                        ; implicit-def: $vgpr61
	s_and_saveexec_b64 s[12:13], s[0:1]
	s_xor_b64 s[0:1], exec, s[12:13]
; %bb.1043:                             ;   in Loop: Header=BB336_431 Depth=1
	v_bfe_u32 v8, v6, 16, 1
	v_add3_u32 v61, v6, v8, s20
                                        ; implicit-def: $vgpr6
; %bb.1044:                             ;   in Loop: Header=BB336_431 Depth=1
	s_andn2_saveexec_b64 s[12:13], s[0:1]
; %bb.1045:                             ;   in Loop: Header=BB336_431 Depth=1
	v_or_b32_e32 v8, 0x10000, v6
	v_cmp_eq_u32_sdwa s[0:1], v6, v33 src0_sel:WORD_0 src1_sel:DWORD
	s_nop 1
	v_cndmask_b32_e64 v61, v8, v6, s[0:1]
; %bb.1046:                             ;   in Loop: Header=BB336_431 Depth=1
	s_or_b64 exec, exec, s[12:13]
	v_lshlrev_b32_e32 v6, 16, v7
	v_mul_f32_e32 v6, v27, v6
	v_and_b32_e32 v7, 0x7f800000, v6
	v_cmp_ne_u32_e64 s[0:1], s19, v7
                                        ; implicit-def: $vgpr45
	s_and_saveexec_b64 s[12:13], s[0:1]
	s_xor_b64 s[0:1], exec, s[12:13]
; %bb.1047:                             ;   in Loop: Header=BB336_431 Depth=1
	v_bfe_u32 v7, v6, 16, 1
	v_add3_u32 v45, v6, v7, s20
                                        ; implicit-def: $vgpr6
; %bb.1048:                             ;   in Loop: Header=BB336_431 Depth=1
	s_andn2_saveexec_b64 s[12:13], s[0:1]
; %bb.1049:                             ;   in Loop: Header=BB336_431 Depth=1
	v_or_b32_e32 v7, 0x10000, v6
	v_cmp_eq_u32_sdwa s[0:1], v6, v33 src0_sel:WORD_0 src1_sel:DWORD
	s_nop 1
	v_cndmask_b32_e64 v45, v7, v6, s[0:1]
; %bb.1050:                             ;   in Loop: Header=BB336_431 Depth=1
	s_or_b64 exec, exec, s[12:13]
	v_lshlrev_b32_e32 v5, 16, v5
	v_mul_f32_e32 v5, v36, v5
	v_and_b32_e32 v6, 0x7f800000, v5
	v_cmp_ne_u32_e64 s[0:1], s19, v6
                                        ; implicit-def: $vgpr40
	s_and_saveexec_b64 s[12:13], s[0:1]
	s_xor_b64 s[0:1], exec, s[12:13]
; %bb.1051:                             ;   in Loop: Header=BB336_431 Depth=1
	v_bfe_u32 v6, v5, 16, 1
	v_add3_u32 v40, v5, v6, s20
                                        ; implicit-def: $vgpr5
; %bb.1052:                             ;   in Loop: Header=BB336_431 Depth=1
	s_andn2_saveexec_b64 s[12:13], s[0:1]
; %bb.1053:                             ;   in Loop: Header=BB336_431 Depth=1
	v_or_b32_e32 v6, 0x10000, v5
	v_cmp_eq_u32_sdwa s[0:1], v5, v33 src0_sel:WORD_0 src1_sel:DWORD
	s_nop 1
	v_cndmask_b32_e64 v40, v6, v5, s[0:1]
; %bb.1054:                             ;   in Loop: Header=BB336_431 Depth=1
	s_or_b64 exec, exec, s[12:13]
	v_lshlrev_b32_e32 v4, 16, v4
	v_mul_f32_e32 v4, v37, v4
	v_and_b32_e32 v5, 0x7f800000, v4
	v_cmp_ne_u32_e64 s[0:1], s19, v5
                                        ; implicit-def: $vgpr56
	s_and_saveexec_b64 s[12:13], s[0:1]
	s_xor_b64 s[0:1], exec, s[12:13]
; %bb.1055:                             ;   in Loop: Header=BB336_431 Depth=1
	v_bfe_u32 v5, v4, 16, 1
	v_add3_u32 v56, v4, v5, s20
                                        ; implicit-def: $vgpr4
; %bb.1056:                             ;   in Loop: Header=BB336_431 Depth=1
	s_andn2_saveexec_b64 s[12:13], s[0:1]
; %bb.1057:                             ;   in Loop: Header=BB336_431 Depth=1
	v_or_b32_e32 v5, 0x10000, v4
	v_cmp_eq_u32_sdwa s[0:1], v4, v33 src0_sel:WORD_0 src1_sel:DWORD
	s_nop 1
	v_cndmask_b32_e64 v56, v5, v4, s[0:1]
; %bb.1058:                             ;   in Loop: Header=BB336_431 Depth=1
	s_or_b64 exec, exec, s[12:13]
	scratch_load_dwordx2 v[4:5], off, s32 offset:324 ; 8-byte Folded Reload
	s_waitcnt vmcnt(0)
	v_lshl_add_u64 v[4:5], v[2:3], 0, v[4:5]
	flat_load_dwordx2 v[4:5], v[4:5]
	s_waitcnt vmcnt(0) lgkmcnt(0)
	v_and_b32_e32 v6, 0xff, v4
	v_cvt_f32_fp8_sdwa v6, v6 src0_sel:BYTE_0
	s_nop 0
	v_mul_f32_e32 v7, v51, v6
	v_and_b32_e32 v6, 0x7f800000, v7
	v_cmp_ne_u32_e64 s[0:1], s19, v6
                                        ; implicit-def: $vgpr6
	s_and_saveexec_b64 s[12:13], s[0:1]
	s_xor_b64 s[0:1], exec, s[12:13]
; %bb.1059:                             ;   in Loop: Header=BB336_431 Depth=1
	v_bfe_u32 v6, v7, 16, 1
	v_add3_u32 v6, v7, v6, s20
                                        ; implicit-def: $vgpr7
; %bb.1060:                             ;   in Loop: Header=BB336_431 Depth=1
	s_andn2_saveexec_b64 s[12:13], s[0:1]
; %bb.1061:                             ;   in Loop: Header=BB336_431 Depth=1
	v_or_b32_e32 v6, 0x10000, v7
	v_cmp_eq_u32_sdwa s[0:1], v7, v33 src0_sel:WORD_0 src1_sel:DWORD
	s_nop 1
	v_cndmask_b32_e64 v6, v6, v7, s[0:1]
; %bb.1062:                             ;   in Loop: Header=BB336_431 Depth=1
	s_or_b64 exec, exec, s[12:13]
	v_bfe_u32 v7, v4, 8, 8
	v_cvt_f32_fp8_sdwa v7, v7 src0_sel:BYTE_0
	s_nop 0
	v_mul_f32_e32 v8, v51, v7
	v_and_b32_e32 v7, 0x7f800000, v8
	v_cmp_ne_u32_e64 s[0:1], s19, v7
                                        ; implicit-def: $vgpr7
	s_and_saveexec_b64 s[12:13], s[0:1]
	s_xor_b64 s[0:1], exec, s[12:13]
; %bb.1063:                             ;   in Loop: Header=BB336_431 Depth=1
	v_bfe_u32 v7, v8, 16, 1
	v_add3_u32 v7, v8, v7, s20
                                        ; implicit-def: $vgpr8
; %bb.1064:                             ;   in Loop: Header=BB336_431 Depth=1
	s_andn2_saveexec_b64 s[12:13], s[0:1]
; %bb.1065:                             ;   in Loop: Header=BB336_431 Depth=1
	v_or_b32_e32 v7, 0x10000, v8
	v_cmp_eq_u32_sdwa s[0:1], v8, v33 src0_sel:WORD_0 src1_sel:DWORD
	s_nop 1
	v_cndmask_b32_e64 v7, v7, v8, s[0:1]
; %bb.1066:                             ;   in Loop: Header=BB336_431 Depth=1
	s_or_b64 exec, exec, s[12:13]
	v_bfe_u32 v8, v4, 16, 8
	v_cvt_f32_fp8_sdwa v8, v8 src0_sel:BYTE_0
                                        ; implicit-def: $vgpr13
	s_nop 0
	v_mul_f32_e32 v8, v51, v8
	v_and_b32_e32 v12, 0x7f800000, v8
	v_cmp_ne_u32_e64 s[0:1], s19, v12
	s_and_saveexec_b64 s[12:13], s[0:1]
	s_xor_b64 s[0:1], exec, s[12:13]
; %bb.1067:                             ;   in Loop: Header=BB336_431 Depth=1
	v_bfe_u32 v12, v8, 16, 1
	v_add3_u32 v13, v8, v12, s20
                                        ; implicit-def: $vgpr8
; %bb.1068:                             ;   in Loop: Header=BB336_431 Depth=1
	s_andn2_saveexec_b64 s[12:13], s[0:1]
; %bb.1069:                             ;   in Loop: Header=BB336_431 Depth=1
	v_or_b32_e32 v12, 0x10000, v8
	v_cmp_eq_u32_sdwa s[0:1], v8, v33 src0_sel:WORD_0 src1_sel:DWORD
	s_nop 1
	v_cndmask_b32_e64 v13, v12, v8, s[0:1]
; %bb.1070:                             ;   in Loop: Header=BB336_431 Depth=1
	s_or_b64 exec, exec, s[12:13]
	v_lshrrev_b32_e32 v4, 24, v4
	v_cvt_f32_fp8_sdwa v4, v4 src0_sel:BYTE_0
	s_nop 0
	v_mul_f32_e32 v8, v51, v4
	v_and_b32_e32 v4, 0x7f800000, v8
	v_cmp_ne_u32_e64 s[0:1], s19, v4
                                        ; implicit-def: $vgpr4
	s_and_saveexec_b64 s[12:13], s[0:1]
	s_xor_b64 s[0:1], exec, s[12:13]
; %bb.1071:                             ;   in Loop: Header=BB336_431 Depth=1
	v_bfe_u32 v4, v8, 16, 1
	v_add3_u32 v4, v8, v4, s20
                                        ; implicit-def: $vgpr8
; %bb.1072:                             ;   in Loop: Header=BB336_431 Depth=1
	s_andn2_saveexec_b64 s[12:13], s[0:1]
; %bb.1073:                             ;   in Loop: Header=BB336_431 Depth=1
	v_or_b32_e32 v4, 0x10000, v8
	v_cmp_eq_u32_sdwa s[0:1], v8, v33 src0_sel:WORD_0 src1_sel:DWORD
	s_nop 1
	v_cndmask_b32_e64 v4, v4, v8, s[0:1]
; %bb.1074:                             ;   in Loop: Header=BB336_431 Depth=1
	s_or_b64 exec, exec, s[12:13]
	v_and_b32_e32 v8, 0xff, v5
	v_cvt_f32_fp8_sdwa v8, v8 src0_sel:BYTE_0
	s_nop 0
	v_mul_f32_e32 v12, v51, v8
	v_and_b32_e32 v8, 0x7f800000, v12
	v_cmp_ne_u32_e64 s[0:1], s19, v8
                                        ; implicit-def: $vgpr8
	s_and_saveexec_b64 s[12:13], s[0:1]
	s_xor_b64 s[0:1], exec, s[12:13]
; %bb.1075:                             ;   in Loop: Header=BB336_431 Depth=1
	v_bfe_u32 v8, v12, 16, 1
	v_add3_u32 v8, v12, v8, s20
                                        ; implicit-def: $vgpr12
; %bb.1076:                             ;   in Loop: Header=BB336_431 Depth=1
	s_andn2_saveexec_b64 s[12:13], s[0:1]
; %bb.1077:                             ;   in Loop: Header=BB336_431 Depth=1
	v_or_b32_e32 v8, 0x10000, v12
	v_cmp_eq_u32_sdwa s[0:1], v12, v33 src0_sel:WORD_0 src1_sel:DWORD
	s_nop 1
	v_cndmask_b32_e64 v8, v8, v12, s[0:1]
; %bb.1078:                             ;   in Loop: Header=BB336_431 Depth=1
	s_or_b64 exec, exec, s[12:13]
	v_bfe_u32 v12, v5, 8, 8
	v_cvt_f32_fp8_sdwa v12, v12 src0_sel:BYTE_0
	s_nop 0
	v_mul_f32_e32 v14, v51, v12
	v_and_b32_e32 v12, 0x7f800000, v14
	v_cmp_ne_u32_e64 s[0:1], s19, v12
                                        ; implicit-def: $vgpr12
	s_and_saveexec_b64 s[12:13], s[0:1]
	s_xor_b64 s[0:1], exec, s[12:13]
; %bb.1079:                             ;   in Loop: Header=BB336_431 Depth=1
	v_bfe_u32 v12, v14, 16, 1
	v_add3_u32 v12, v14, v12, s20
                                        ; implicit-def: $vgpr14
; %bb.1080:                             ;   in Loop: Header=BB336_431 Depth=1
	s_andn2_saveexec_b64 s[12:13], s[0:1]
; %bb.1081:                             ;   in Loop: Header=BB336_431 Depth=1
	v_or_b32_e32 v12, 0x10000, v14
	v_cmp_eq_u32_sdwa s[0:1], v14, v33 src0_sel:WORD_0 src1_sel:DWORD
	s_nop 1
	v_cndmask_b32_e64 v12, v12, v14, s[0:1]
; %bb.1082:                             ;   in Loop: Header=BB336_431 Depth=1
	s_or_b64 exec, exec, s[12:13]
	v_bfe_u32 v14, v5, 16, 8
	v_cvt_f32_fp8_sdwa v14, v14 src0_sel:BYTE_0
	s_nop 0
	v_mul_f32_e32 v14, v51, v14
	v_and_b32_e32 v15, 0x7f800000, v14
	v_cmp_ne_u32_e64 s[0:1], s19, v15
                                        ; implicit-def: $vgpr15
	s_and_saveexec_b64 s[12:13], s[0:1]
	s_xor_b64 s[0:1], exec, s[12:13]
; %bb.1083:                             ;   in Loop: Header=BB336_431 Depth=1
	v_bfe_u32 v15, v14, 16, 1
	v_add3_u32 v15, v14, v15, s20
                                        ; implicit-def: $vgpr14
; %bb.1084:                             ;   in Loop: Header=BB336_431 Depth=1
	s_andn2_saveexec_b64 s[12:13], s[0:1]
; %bb.1085:                             ;   in Loop: Header=BB336_431 Depth=1
	v_or_b32_e32 v15, 0x10000, v14
	v_cmp_eq_u32_sdwa s[0:1], v14, v33 src0_sel:WORD_0 src1_sel:DWORD
	s_nop 1
	v_cndmask_b32_e64 v15, v15, v14, s[0:1]
; %bb.1086:                             ;   in Loop: Header=BB336_431 Depth=1
	s_or_b64 exec, exec, s[12:13]
	v_lshrrev_b32_e32 v5, 24, v5
	v_cvt_f32_fp8_sdwa v5, v5 src0_sel:BYTE_0
                                        ; implicit-def: $vgpr16
	s_nop 0
	v_mul_f32_e32 v5, v51, v5
	v_and_b32_e32 v14, 0x7f800000, v5
	v_cmp_ne_u32_e64 s[0:1], s19, v14
	s_and_saveexec_b64 s[12:13], s[0:1]
	s_xor_b64 s[0:1], exec, s[12:13]
; %bb.1087:                             ;   in Loop: Header=BB336_431 Depth=1
	v_bfe_u32 v14, v5, 16, 1
	v_add3_u32 v16, v5, v14, s20
                                        ; implicit-def: $vgpr5
; %bb.1088:                             ;   in Loop: Header=BB336_431 Depth=1
	s_andn2_saveexec_b64 s[12:13], s[0:1]
; %bb.1089:                             ;   in Loop: Header=BB336_431 Depth=1
	v_or_b32_e32 v14, 0x10000, v5
	v_cmp_eq_u32_sdwa s[0:1], v5, v33 src0_sel:WORD_0 src1_sel:DWORD
	s_nop 1
	v_cndmask_b32_e64 v16, v14, v5, s[0:1]
; %bb.1090:                             ;   in Loop: Header=BB336_431 Depth=1
	s_or_b64 exec, exec, s[12:13]
	v_lshrrev_b32_e32 v12, 16, v12
	v_lshrrev_b32_e32 v14, 16, v8
	;; [unrolled: 1-line block ×8, first 2 shown]
	s_and_saveexec_b64 s[12:13], vcc
	s_cbranch_execz .LBB336_1092
; %bb.1091:                             ;   in Loop: Header=BB336_431 Depth=1
	scratch_load_dword v16, off, s32 offset:188 ; 4-byte Folded Reload
	v_accvgpr_read_b32 v15, a53
	s_waitcnt vmcnt(0)
	v_cmp_lt_i32_e64 s[0:1], v1, v16
	s_nop 1
	v_cndmask_b32_e64 v6, 0, v6, s[0:1]
	v_cmp_lt_i32_e64 s[0:1], v15, v16
	v_accvgpr_read_b32 v15, a52
	s_nop 0
	v_cndmask_b32_e64 v7, 0, v7, s[0:1]
	v_cmp_lt_i32_e64 s[0:1], v15, v16
	v_accvgpr_read_b32 v15, a51
	;; [unrolled: 4-line block ×6, first 2 shown]
	s_nop 0
	v_cndmask_b32_e64 v5, 0, v5, s[0:1]
	v_cmp_lt_i32_e64 s[0:1], v15, v16
	s_nop 1
	v_cndmask_b32_e64 v4, 0, v4, s[0:1]
.LBB336_1092:                           ;   in Loop: Header=BB336_431 Depth=1
	s_or_b64 exec, exec, s[12:13]
	v_lshlrev_b32_e32 v6, 16, v6
	v_mul_f32_e32 v6, v44, v6
	v_and_b32_e32 v15, 0x7f800000, v6
	v_cmp_ne_u32_e64 s[0:1], s19, v15
                                        ; implicit-def: $vgpr43
	s_and_saveexec_b64 s[12:13], s[0:1]
	s_xor_b64 s[0:1], exec, s[12:13]
; %bb.1093:                             ;   in Loop: Header=BB336_431 Depth=1
	v_bfe_u32 v15, v6, 16, 1
	v_add3_u32 v43, v6, v15, s20
                                        ; implicit-def: $vgpr6
; %bb.1094:                             ;   in Loop: Header=BB336_431 Depth=1
	s_andn2_saveexec_b64 s[12:13], s[0:1]
; %bb.1095:                             ;   in Loop: Header=BB336_431 Depth=1
	v_or_b32_e32 v15, 0x10000, v6
	v_cmp_eq_u32_sdwa s[0:1], v6, v33 src0_sel:WORD_0 src1_sel:DWORD
	s_nop 1
	v_cndmask_b32_e64 v43, v15, v6, s[0:1]
; %bb.1096:                             ;   in Loop: Header=BB336_431 Depth=1
	s_or_b64 exec, exec, s[12:13]
	v_lshlrev_b32_e32 v6, 16, v7
	v_mul_f32_e32 v6, v50, v6
	v_and_b32_e32 v7, 0x7f800000, v6
	v_cmp_ne_u32_e64 s[0:1], s19, v7
                                        ; implicit-def: $vgpr23
	s_and_saveexec_b64 s[12:13], s[0:1]
	s_xor_b64 s[0:1], exec, s[12:13]
; %bb.1097:                             ;   in Loop: Header=BB336_431 Depth=1
	v_bfe_u32 v7, v6, 16, 1
	v_add3_u32 v23, v6, v7, s20
                                        ; implicit-def: $vgpr6
; %bb.1098:                             ;   in Loop: Header=BB336_431 Depth=1
	s_andn2_saveexec_b64 s[12:13], s[0:1]
; %bb.1099:                             ;   in Loop: Header=BB336_431 Depth=1
	v_or_b32_e32 v7, 0x10000, v6
	v_cmp_eq_u32_sdwa s[0:1], v6, v33 src0_sel:WORD_0 src1_sel:DWORD
	s_nop 1
	v_cndmask_b32_e64 v23, v7, v6, s[0:1]
; %bb.1100:                             ;   in Loop: Header=BB336_431 Depth=1
	s_or_b64 exec, exec, s[12:13]
	v_lshlrev_b32_e32 v6, 16, v13
	v_mul_f32_e32 v6, v30, v6
	v_and_b32_e32 v7, 0x7f800000, v6
	v_cmp_ne_u32_e64 s[0:1], s19, v7
                                        ; implicit-def: $vgpr22
	s_and_saveexec_b64 s[12:13], s[0:1]
	s_xor_b64 s[0:1], exec, s[12:13]
; %bb.1101:                             ;   in Loop: Header=BB336_431 Depth=1
	v_bfe_u32 v7, v6, 16, 1
	v_add3_u32 v22, v6, v7, s20
                                        ; implicit-def: $vgpr6
; %bb.1102:                             ;   in Loop: Header=BB336_431 Depth=1
	s_andn2_saveexec_b64 s[12:13], s[0:1]
; %bb.1103:                             ;   in Loop: Header=BB336_431 Depth=1
	v_or_b32_e32 v7, 0x10000, v6
	v_cmp_eq_u32_sdwa s[0:1], v6, v33 src0_sel:WORD_0 src1_sel:DWORD
	s_nop 1
	v_cndmask_b32_e64 v22, v7, v6, s[0:1]
; %bb.1104:                             ;   in Loop: Header=BB336_431 Depth=1
	s_or_b64 exec, exec, s[12:13]
	v_lshlrev_b32_e32 v6, 16, v8
	v_mul_f32_e32 v6, v31, v6
	v_and_b32_e32 v7, 0x7f800000, v6
	v_cmp_ne_u32_e64 s[0:1], s19, v7
                                        ; implicit-def: $vgpr58
	s_and_saveexec_b64 s[12:13], s[0:1]
	s_xor_b64 s[0:1], exec, s[12:13]
; %bb.1105:                             ;   in Loop: Header=BB336_431 Depth=1
	v_bfe_u32 v7, v6, 16, 1
	v_add3_u32 v58, v6, v7, s20
                                        ; implicit-def: $vgpr6
; %bb.1106:                             ;   in Loop: Header=BB336_431 Depth=1
	s_andn2_saveexec_b64 s[12:13], s[0:1]
; %bb.1107:                             ;   in Loop: Header=BB336_431 Depth=1
	v_or_b32_e32 v7, 0x10000, v6
	v_cmp_eq_u32_sdwa s[0:1], v6, v33 src0_sel:WORD_0 src1_sel:DWORD
	s_nop 1
	v_cndmask_b32_e64 v58, v7, v6, s[0:1]
; %bb.1108:                             ;   in Loop: Header=BB336_431 Depth=1
	s_or_b64 exec, exec, s[12:13]
	v_lshlrev_b32_e32 v6, 16, v14
	v_mul_f32_e32 v7, v26, v6
	v_and_b32_e32 v6, 0x7f800000, v7
	v_cmp_ne_u32_e64 s[0:1], s19, v6
                                        ; implicit-def: $vgpr6
	s_and_saveexec_b64 s[12:13], s[0:1]
	s_xor_b64 s[0:1], exec, s[12:13]
; %bb.1109:                             ;   in Loop: Header=BB336_431 Depth=1
	v_bfe_u32 v6, v7, 16, 1
	v_add3_u32 v6, v7, v6, s20
                                        ; implicit-def: $vgpr7
; %bb.1110:                             ;   in Loop: Header=BB336_431 Depth=1
	s_andn2_saveexec_b64 s[12:13], s[0:1]
; %bb.1111:                             ;   in Loop: Header=BB336_431 Depth=1
	v_or_b32_e32 v6, 0x10000, v7
	v_cmp_eq_u32_sdwa s[0:1], v7, v33 src0_sel:WORD_0 src1_sel:DWORD
	s_nop 1
	v_cndmask_b32_e64 v6, v6, v7, s[0:1]
; %bb.1112:                             ;   in Loop: Header=BB336_431 Depth=1
	s_or_b64 exec, exec, s[12:13]
	v_lshlrev_b32_e32 v7, 16, v12
	v_mul_f32_e32 v8, v27, v7
	v_and_b32_e32 v7, 0x7f800000, v8
	v_cmp_ne_u32_e64 s[0:1], s19, v7
                                        ; implicit-def: $vgpr7
	s_and_saveexec_b64 s[12:13], s[0:1]
	s_xor_b64 s[0:1], exec, s[12:13]
; %bb.1113:                             ;   in Loop: Header=BB336_431 Depth=1
	v_bfe_u32 v7, v8, 16, 1
	v_add3_u32 v7, v8, v7, s20
                                        ; implicit-def: $vgpr8
; %bb.1114:                             ;   in Loop: Header=BB336_431 Depth=1
	s_andn2_saveexec_b64 s[12:13], s[0:1]
; %bb.1115:                             ;   in Loop: Header=BB336_431 Depth=1
	v_or_b32_e32 v7, 0x10000, v8
	v_cmp_eq_u32_sdwa s[0:1], v8, v33 src0_sel:WORD_0 src1_sel:DWORD
	s_nop 1
	v_cndmask_b32_e64 v7, v7, v8, s[0:1]
; %bb.1116:                             ;   in Loop: Header=BB336_431 Depth=1
	s_or_b64 exec, exec, s[12:13]
	v_lshlrev_b32_e32 v5, 16, v5
	v_mul_f32_e32 v5, v36, v5
	v_and_b32_e32 v8, 0x7f800000, v5
	v_cmp_ne_u32_e64 s[0:1], s19, v8
                                        ; implicit-def: $vgpr18
	s_and_saveexec_b64 s[12:13], s[0:1]
	s_xor_b64 s[0:1], exec, s[12:13]
; %bb.1117:                             ;   in Loop: Header=BB336_431 Depth=1
	v_bfe_u32 v8, v5, 16, 1
	v_add3_u32 v18, v5, v8, s20
                                        ; implicit-def: $vgpr5
; %bb.1118:                             ;   in Loop: Header=BB336_431 Depth=1
	s_andn2_saveexec_b64 s[12:13], s[0:1]
; %bb.1119:                             ;   in Loop: Header=BB336_431 Depth=1
	v_or_b32_e32 v8, 0x10000, v5
	v_cmp_eq_u32_sdwa s[0:1], v5, v33 src0_sel:WORD_0 src1_sel:DWORD
	s_nop 1
	v_cndmask_b32_e64 v18, v8, v5, s[0:1]
; %bb.1120:                             ;   in Loop: Header=BB336_431 Depth=1
	s_or_b64 exec, exec, s[12:13]
	v_lshlrev_b32_e32 v4, 16, v4
	v_mul_f32_e32 v4, v37, v4
	v_and_b32_e32 v5, 0x7f800000, v4
	v_cmp_ne_u32_e64 s[0:1], s19, v5
                                        ; implicit-def: $vgpr17
	s_and_saveexec_b64 s[12:13], s[0:1]
	s_xor_b64 s[0:1], exec, s[12:13]
; %bb.1121:                             ;   in Loop: Header=BB336_431 Depth=1
	v_bfe_u32 v5, v4, 16, 1
	v_add3_u32 v17, v4, v5, s20
                                        ; implicit-def: $vgpr4
; %bb.1122:                             ;   in Loop: Header=BB336_431 Depth=1
	s_andn2_saveexec_b64 s[12:13], s[0:1]
; %bb.1123:                             ;   in Loop: Header=BB336_431 Depth=1
	v_or_b32_e32 v5, 0x10000, v4
	v_cmp_eq_u32_sdwa s[0:1], v4, v33 src0_sel:WORD_0 src1_sel:DWORD
	s_nop 1
	v_cndmask_b32_e64 v17, v5, v4, s[0:1]
; %bb.1124:                             ;   in Loop: Header=BB336_431 Depth=1
	s_or_b64 exec, exec, s[12:13]
	scratch_load_dwordx2 v[4:5], off, s32 offset:332 ; 8-byte Folded Reload
	s_waitcnt vmcnt(0)
	v_lshl_add_u64 v[4:5], v[2:3], 0, v[4:5]
	flat_load_dwordx2 v[4:5], v[4:5]
	s_waitcnt vmcnt(0) lgkmcnt(0)
	v_and_b32_e32 v8, 0xff, v4
	v_cvt_f32_fp8_sdwa v8, v8 src0_sel:BYTE_0
	s_nop 0
	v_mul_f32_e32 v8, v51, v8
	v_and_b32_e32 v12, 0x7f800000, v8
	v_cmp_ne_u32_e64 s[0:1], s19, v12
                                        ; implicit-def: $vgpr12
	s_and_saveexec_b64 s[12:13], s[0:1]
	s_xor_b64 s[0:1], exec, s[12:13]
; %bb.1125:                             ;   in Loop: Header=BB336_431 Depth=1
	v_bfe_u32 v12, v8, 16, 1
	v_add3_u32 v12, v8, v12, s20
                                        ; implicit-def: $vgpr8
; %bb.1126:                             ;   in Loop: Header=BB336_431 Depth=1
	s_andn2_saveexec_b64 s[12:13], s[0:1]
; %bb.1127:                             ;   in Loop: Header=BB336_431 Depth=1
	v_or_b32_e32 v12, 0x10000, v8
	v_cmp_eq_u32_sdwa s[0:1], v8, v33 src0_sel:WORD_0 src1_sel:DWORD
	s_nop 1
	v_cndmask_b32_e64 v12, v12, v8, s[0:1]
; %bb.1128:                             ;   in Loop: Header=BB336_431 Depth=1
	s_or_b64 exec, exec, s[12:13]
	v_bfe_u32 v8, v4, 8, 8
	v_cvt_f32_fp8_sdwa v8, v8 src0_sel:BYTE_0
	s_nop 0
	v_mul_f32_e32 v8, v51, v8
	v_and_b32_e32 v13, 0x7f800000, v8
	v_cmp_ne_u32_e64 s[0:1], s19, v13
                                        ; implicit-def: $vgpr13
	s_and_saveexec_b64 s[12:13], s[0:1]
	s_xor_b64 s[0:1], exec, s[12:13]
; %bb.1129:                             ;   in Loop: Header=BB336_431 Depth=1
	v_bfe_u32 v13, v8, 16, 1
	v_add3_u32 v13, v8, v13, s20
                                        ; implicit-def: $vgpr8
; %bb.1130:                             ;   in Loop: Header=BB336_431 Depth=1
	s_andn2_saveexec_b64 s[12:13], s[0:1]
; %bb.1131:                             ;   in Loop: Header=BB336_431 Depth=1
	v_or_b32_e32 v13, 0x10000, v8
	v_cmp_eq_u32_sdwa s[0:1], v8, v33 src0_sel:WORD_0 src1_sel:DWORD
	s_nop 1
	v_cndmask_b32_e64 v13, v13, v8, s[0:1]
; %bb.1132:                             ;   in Loop: Header=BB336_431 Depth=1
	s_or_b64 exec, exec, s[12:13]
	v_bfe_u32 v8, v4, 16, 8
	v_cvt_f32_fp8_sdwa v8, v8 src0_sel:BYTE_0
	s_nop 0
	v_mul_f32_e32 v8, v51, v8
	v_and_b32_e32 v14, 0x7f800000, v8
	v_cmp_ne_u32_e64 s[0:1], s19, v14
                                        ; implicit-def: $vgpr14
	s_and_saveexec_b64 s[12:13], s[0:1]
	s_xor_b64 s[0:1], exec, s[12:13]
; %bb.1133:                             ;   in Loop: Header=BB336_431 Depth=1
	v_bfe_u32 v14, v8, 16, 1
	v_add3_u32 v14, v8, v14, s20
                                        ; implicit-def: $vgpr8
; %bb.1134:                             ;   in Loop: Header=BB336_431 Depth=1
	s_andn2_saveexec_b64 s[12:13], s[0:1]
; %bb.1135:                             ;   in Loop: Header=BB336_431 Depth=1
	v_or_b32_e32 v14, 0x10000, v8
	v_cmp_eq_u32_sdwa s[0:1], v8, v33 src0_sel:WORD_0 src1_sel:DWORD
	s_nop 1
	v_cndmask_b32_e64 v14, v14, v8, s[0:1]
; %bb.1136:                             ;   in Loop: Header=BB336_431 Depth=1
	s_or_b64 exec, exec, s[12:13]
	v_lshrrev_b32_e32 v4, 24, v4
	v_cvt_f32_fp8_sdwa v4, v4 src0_sel:BYTE_0
	s_nop 0
	v_mul_f32_e32 v8, v51, v4
	v_and_b32_e32 v4, 0x7f800000, v8
	v_cmp_ne_u32_e64 s[0:1], s19, v4
                                        ; implicit-def: $vgpr4
	s_and_saveexec_b64 s[12:13], s[0:1]
	s_xor_b64 s[0:1], exec, s[12:13]
; %bb.1137:                             ;   in Loop: Header=BB336_431 Depth=1
	v_bfe_u32 v4, v8, 16, 1
	v_add3_u32 v4, v8, v4, s20
                                        ; implicit-def: $vgpr8
; %bb.1138:                             ;   in Loop: Header=BB336_431 Depth=1
	s_andn2_saveexec_b64 s[12:13], s[0:1]
; %bb.1139:                             ;   in Loop: Header=BB336_431 Depth=1
	v_or_b32_e32 v4, 0x10000, v8
	v_cmp_eq_u32_sdwa s[0:1], v8, v33 src0_sel:WORD_0 src1_sel:DWORD
	s_nop 1
	v_cndmask_b32_e64 v4, v4, v8, s[0:1]
; %bb.1140:                             ;   in Loop: Header=BB336_431 Depth=1
	s_or_b64 exec, exec, s[12:13]
	v_and_b32_e32 v8, 0xff, v5
	v_cvt_f32_fp8_sdwa v8, v8 src0_sel:BYTE_0
	s_nop 0
	v_mul_f32_e32 v15, v51, v8
	v_and_b32_e32 v8, 0x7f800000, v15
	v_cmp_ne_u32_e64 s[0:1], s19, v8
                                        ; implicit-def: $vgpr8
	s_and_saveexec_b64 s[12:13], s[0:1]
	s_xor_b64 s[0:1], exec, s[12:13]
; %bb.1141:                             ;   in Loop: Header=BB336_431 Depth=1
	v_bfe_u32 v8, v15, 16, 1
	v_add3_u32 v8, v15, v8, s20
                                        ; implicit-def: $vgpr15
; %bb.1142:                             ;   in Loop: Header=BB336_431 Depth=1
	s_andn2_saveexec_b64 s[12:13], s[0:1]
; %bb.1143:                             ;   in Loop: Header=BB336_431 Depth=1
	v_or_b32_e32 v8, 0x10000, v15
	v_cmp_eq_u32_sdwa s[0:1], v15, v33 src0_sel:WORD_0 src1_sel:DWORD
	s_nop 1
	v_cndmask_b32_e64 v8, v8, v15, s[0:1]
; %bb.1144:                             ;   in Loop: Header=BB336_431 Depth=1
	s_or_b64 exec, exec, s[12:13]
	v_bfe_u32 v15, v5, 8, 8
	v_cvt_f32_fp8_sdwa v15, v15 src0_sel:BYTE_0
	s_nop 0
	v_mul_f32_e32 v16, v51, v15
	v_and_b32_e32 v15, 0x7f800000, v16
	v_cmp_ne_u32_e64 s[0:1], s19, v15
                                        ; implicit-def: $vgpr15
	s_and_saveexec_b64 s[12:13], s[0:1]
	s_xor_b64 s[0:1], exec, s[12:13]
; %bb.1145:                             ;   in Loop: Header=BB336_431 Depth=1
	v_bfe_u32 v15, v16, 16, 1
	v_add3_u32 v15, v16, v15, s20
                                        ; implicit-def: $vgpr16
; %bb.1146:                             ;   in Loop: Header=BB336_431 Depth=1
	s_andn2_saveexec_b64 s[12:13], s[0:1]
; %bb.1147:                             ;   in Loop: Header=BB336_431 Depth=1
	v_or_b32_e32 v15, 0x10000, v16
	v_cmp_eq_u32_sdwa s[0:1], v16, v33 src0_sel:WORD_0 src1_sel:DWORD
	s_nop 1
	v_cndmask_b32_e64 v15, v15, v16, s[0:1]
; %bb.1148:                             ;   in Loop: Header=BB336_431 Depth=1
	s_or_b64 exec, exec, s[12:13]
	v_bfe_u32 v16, v5, 16, 8
	v_cvt_f32_fp8_sdwa v16, v16 src0_sel:BYTE_0
                                        ; implicit-def: $vgpr21
	s_nop 0
	v_mul_f32_e32 v16, v51, v16
	v_and_b32_e32 v19, 0x7f800000, v16
	v_cmp_ne_u32_e64 s[0:1], s19, v19
	s_and_saveexec_b64 s[12:13], s[0:1]
	s_xor_b64 s[0:1], exec, s[12:13]
; %bb.1149:                             ;   in Loop: Header=BB336_431 Depth=1
	v_bfe_u32 v19, v16, 16, 1
	v_add3_u32 v21, v16, v19, s20
                                        ; implicit-def: $vgpr16
; %bb.1150:                             ;   in Loop: Header=BB336_431 Depth=1
	s_andn2_saveexec_b64 s[12:13], s[0:1]
; %bb.1151:                             ;   in Loop: Header=BB336_431 Depth=1
	v_or_b32_e32 v19, 0x10000, v16
	v_cmp_eq_u32_sdwa s[0:1], v16, v33 src0_sel:WORD_0 src1_sel:DWORD
	s_nop 1
	v_cndmask_b32_e64 v21, v19, v16, s[0:1]
; %bb.1152:                             ;   in Loop: Header=BB336_431 Depth=1
	s_or_b64 exec, exec, s[12:13]
	v_lshrrev_b32_e32 v5, 24, v5
	v_cvt_f32_fp8_sdwa v5, v5 src0_sel:BYTE_0
                                        ; implicit-def: $vgpr24
	s_nop 0
	v_mul_f32_e32 v5, v51, v5
	v_and_b32_e32 v16, 0x7f800000, v5
	v_cmp_ne_u32_e64 s[0:1], s19, v16
	s_and_saveexec_b64 s[12:13], s[0:1]
	s_xor_b64 s[0:1], exec, s[12:13]
; %bb.1153:                             ;   in Loop: Header=BB336_431 Depth=1
	v_bfe_u32 v16, v5, 16, 1
	v_add3_u32 v24, v5, v16, s20
                                        ; implicit-def: $vgpr5
; %bb.1154:                             ;   in Loop: Header=BB336_431 Depth=1
	s_andn2_saveexec_b64 s[12:13], s[0:1]
; %bb.1155:                             ;   in Loop: Header=BB336_431 Depth=1
	v_or_b32_e32 v16, 0x10000, v5
	v_cmp_eq_u32_sdwa s[0:1], v5, v33 src0_sel:WORD_0 src1_sel:DWORD
	s_nop 1
	v_cndmask_b32_e64 v24, v16, v5, s[0:1]
; %bb.1156:                             ;   in Loop: Header=BB336_431 Depth=1
	s_or_b64 exec, exec, s[12:13]
	v_lshrrev_b32_e32 v19, 16, v15
	v_lshrrev_b32_e32 v20, 16, v8
	;; [unrolled: 1-line block ×8, first 2 shown]
	s_and_saveexec_b64 s[12:13], vcc
	s_cbranch_execz .LBB336_1158
; %bb.1157:                             ;   in Loop: Header=BB336_431 Depth=1
	scratch_load_dword v13, off, s32 offset:188 ; 4-byte Folded Reload
	v_accvgpr_read_b32 v12, a53
	s_waitcnt vmcnt(0)
	v_cmp_lt_i32_e64 s[0:1], v1, v13
	s_nop 1
	v_cndmask_b32_e64 v4, 0, v4, s[0:1]
	v_cmp_lt_i32_e64 s[0:1], v12, v13
	v_accvgpr_read_b32 v12, a52
	s_nop 0
	v_cndmask_b32_e64 v5, 0, v5, s[0:1]
	v_cmp_lt_i32_e64 s[0:1], v12, v13
	v_accvgpr_read_b32 v12, a51
	;; [unrolled: 4-line block ×6, first 2 shown]
	s_nop 0
	v_cndmask_b32_e64 v14, 0, v14, s[0:1]
	v_cmp_lt_i32_e64 s[0:1], v12, v13
	s_nop 1
	v_cndmask_b32_e64 v15, 0, v15, s[0:1]
.LBB336_1158:                           ;   in Loop: Header=BB336_431 Depth=1
	s_or_b64 exec, exec, s[12:13]
	v_lshlrev_b32_e32 v4, 16, v4
	v_mul_f32_e32 v12, v44, v4
	v_and_b32_e32 v4, 0x7f800000, v12
	v_cmp_ne_u32_e64 s[0:1], s19, v4
                                        ; implicit-def: $vgpr4
	s_and_saveexec_b64 s[12:13], s[0:1]
	s_xor_b64 s[0:1], exec, s[12:13]
; %bb.1159:                             ;   in Loop: Header=BB336_431 Depth=1
	v_bfe_u32 v4, v12, 16, 1
	v_add3_u32 v4, v12, v4, s20
                                        ; implicit-def: $vgpr12
; %bb.1160:                             ;   in Loop: Header=BB336_431 Depth=1
	s_andn2_saveexec_b64 s[12:13], s[0:1]
; %bb.1161:                             ;   in Loop: Header=BB336_431 Depth=1
	v_or_b32_e32 v4, 0x10000, v12
	v_cmp_eq_u32_sdwa s[0:1], v12, v33 src0_sel:WORD_0 src1_sel:DWORD
	s_nop 1
	v_cndmask_b32_e64 v4, v4, v12, s[0:1]
; %bb.1162:                             ;   in Loop: Header=BB336_431 Depth=1
	s_or_b64 exec, exec, s[12:13]
	v_lshlrev_b32_e32 v5, 16, v5
	v_mul_f32_e32 v12, v50, v5
	v_and_b32_e32 v5, 0x7f800000, v12
	v_cmp_ne_u32_e64 s[0:1], s19, v5
                                        ; implicit-def: $vgpr5
	s_and_saveexec_b64 s[12:13], s[0:1]
	s_xor_b64 s[0:1], exec, s[12:13]
; %bb.1163:                             ;   in Loop: Header=BB336_431 Depth=1
	v_bfe_u32 v5, v12, 16, 1
	v_add3_u32 v5, v12, v5, s20
                                        ; implicit-def: $vgpr12
; %bb.1164:                             ;   in Loop: Header=BB336_431 Depth=1
	s_andn2_saveexec_b64 s[12:13], s[0:1]
; %bb.1165:                             ;   in Loop: Header=BB336_431 Depth=1
	v_or_b32_e32 v5, 0x10000, v12
	v_cmp_eq_u32_sdwa s[0:1], v12, v33 src0_sel:WORD_0 src1_sel:DWORD
	s_nop 1
	v_cndmask_b32_e64 v5, v5, v12, s[0:1]
; %bb.1166:                             ;   in Loop: Header=BB336_431 Depth=1
	s_or_b64 exec, exec, s[12:13]
	v_lshlrev_b32_e32 v12, 16, v16
	v_mul_f32_e32 v12, v30, v12
	v_and_b32_e32 v13, 0x7f800000, v12
	v_cmp_ne_u32_e64 s[0:1], s19, v13
                                        ; implicit-def: $vgpr16
	s_and_saveexec_b64 s[12:13], s[0:1]
	s_xor_b64 s[0:1], exec, s[12:13]
; %bb.1167:                             ;   in Loop: Header=BB336_431 Depth=1
	v_bfe_u32 v13, v12, 16, 1
	v_add3_u32 v16, v12, v13, s20
                                        ; implicit-def: $vgpr12
; %bb.1168:                             ;   in Loop: Header=BB336_431 Depth=1
	s_andn2_saveexec_b64 s[12:13], s[0:1]
; %bb.1169:                             ;   in Loop: Header=BB336_431 Depth=1
	v_or_b32_e32 v13, 0x10000, v12
	v_cmp_eq_u32_sdwa s[0:1], v12, v33 src0_sel:WORD_0 src1_sel:DWORD
	s_nop 1
	v_cndmask_b32_e64 v16, v13, v12, s[0:1]
; %bb.1170:                             ;   in Loop: Header=BB336_431 Depth=1
	s_or_b64 exec, exec, s[12:13]
	v_lshlrev_b32_e32 v8, 16, v8
	v_mul_f32_e32 v8, v31, v8
	v_and_b32_e32 v12, 0x7f800000, v8
	v_cmp_ne_u32_e64 s[0:1], s19, v12
                                        ; implicit-def: $vgpr59
	s_and_saveexec_b64 s[12:13], s[0:1]
	s_xor_b64 s[0:1], exec, s[12:13]
; %bb.1171:                             ;   in Loop: Header=BB336_431 Depth=1
	v_bfe_u32 v12, v8, 16, 1
	v_add3_u32 v59, v8, v12, s20
                                        ; implicit-def: $vgpr8
; %bb.1172:                             ;   in Loop: Header=BB336_431 Depth=1
	s_andn2_saveexec_b64 s[12:13], s[0:1]
; %bb.1173:                             ;   in Loop: Header=BB336_431 Depth=1
	v_or_b32_e32 v12, 0x10000, v8
	v_cmp_eq_u32_sdwa s[0:1], v8, v33 src0_sel:WORD_0 src1_sel:DWORD
	s_nop 1
	v_cndmask_b32_e64 v59, v12, v8, s[0:1]
; %bb.1174:                             ;   in Loop: Header=BB336_431 Depth=1
	s_or_b64 exec, exec, s[12:13]
	v_lshlrev_b32_e32 v8, 16, v20
	v_mul_f32_e32 v8, v26, v8
	v_and_b32_e32 v12, 0x7f800000, v8
	v_cmp_ne_u32_e64 s[0:1], s19, v12
                                        ; implicit-def: $vgpr12
	s_and_saveexec_b64 s[12:13], s[0:1]
	s_xor_b64 s[0:1], exec, s[12:13]
; %bb.1175:                             ;   in Loop: Header=BB336_431 Depth=1
	v_bfe_u32 v12, v8, 16, 1
	v_add3_u32 v12, v8, v12, s20
                                        ; implicit-def: $vgpr8
; %bb.1176:                             ;   in Loop: Header=BB336_431 Depth=1
	s_andn2_saveexec_b64 s[12:13], s[0:1]
; %bb.1177:                             ;   in Loop: Header=BB336_431 Depth=1
	v_or_b32_e32 v12, 0x10000, v8
	v_cmp_eq_u32_sdwa s[0:1], v8, v33 src0_sel:WORD_0 src1_sel:DWORD
	s_nop 1
	v_cndmask_b32_e64 v12, v12, v8, s[0:1]
; %bb.1178:                             ;   in Loop: Header=BB336_431 Depth=1
	s_or_b64 exec, exec, s[12:13]
	v_lshlrev_b32_e32 v8, 16, v19
	v_mul_f32_e32 v8, v27, v8
	v_and_b32_e32 v13, 0x7f800000, v8
	v_cmp_ne_u32_e64 s[0:1], s19, v13
                                        ; implicit-def: $vgpr13
	s_and_saveexec_b64 s[12:13], s[0:1]
	s_xor_b64 s[0:1], exec, s[12:13]
; %bb.1179:                             ;   in Loop: Header=BB336_431 Depth=1
	v_bfe_u32 v13, v8, 16, 1
	v_add3_u32 v13, v8, v13, s20
                                        ; implicit-def: $vgpr8
; %bb.1180:                             ;   in Loop: Header=BB336_431 Depth=1
	s_andn2_saveexec_b64 s[12:13], s[0:1]
; %bb.1181:                             ;   in Loop: Header=BB336_431 Depth=1
	v_or_b32_e32 v13, 0x10000, v8
	v_cmp_eq_u32_sdwa s[0:1], v8, v33 src0_sel:WORD_0 src1_sel:DWORD
	s_nop 1
	v_cndmask_b32_e64 v13, v13, v8, s[0:1]
; %bb.1182:                             ;   in Loop: Header=BB336_431 Depth=1
	s_or_b64 exec, exec, s[12:13]
	v_lshlrev_b32_e32 v8, 16, v14
	v_mul_f32_e32 v8, v36, v8
	v_and_b32_e32 v14, 0x7f800000, v8
	v_cmp_ne_u32_e64 s[0:1], s19, v14
                                        ; implicit-def: $vgpr14
	s_and_saveexec_b64 s[12:13], s[0:1]
	s_xor_b64 s[0:1], exec, s[12:13]
; %bb.1183:                             ;   in Loop: Header=BB336_431 Depth=1
	v_bfe_u32 v14, v8, 16, 1
	v_add3_u32 v14, v8, v14, s20
                                        ; implicit-def: $vgpr8
; %bb.1184:                             ;   in Loop: Header=BB336_431 Depth=1
	s_andn2_saveexec_b64 s[12:13], s[0:1]
; %bb.1185:                             ;   in Loop: Header=BB336_431 Depth=1
	v_or_b32_e32 v14, 0x10000, v8
	v_cmp_eq_u32_sdwa s[0:1], v8, v33 src0_sel:WORD_0 src1_sel:DWORD
	s_nop 1
	v_cndmask_b32_e64 v14, v14, v8, s[0:1]
; %bb.1186:                             ;   in Loop: Header=BB336_431 Depth=1
	s_or_b64 exec, exec, s[12:13]
	v_lshlrev_b32_e32 v8, 16, v15
	v_mul_f32_e32 v8, v37, v8
	v_and_b32_e32 v15, 0x7f800000, v8
	v_cmp_ne_u32_e64 s[0:1], s19, v15
                                        ; implicit-def: $vgpr15
	s_and_saveexec_b64 s[12:13], s[0:1]
	s_xor_b64 s[0:1], exec, s[12:13]
; %bb.1187:                             ;   in Loop: Header=BB336_431 Depth=1
	v_bfe_u32 v15, v8, 16, 1
	v_add3_u32 v15, v8, v15, s20
                                        ; implicit-def: $vgpr8
; %bb.1188:                             ;   in Loop: Header=BB336_431 Depth=1
	s_andn2_saveexec_b64 s[12:13], s[0:1]
; %bb.1189:                             ;   in Loop: Header=BB336_431 Depth=1
	v_or_b32_e32 v15, 0x10000, v8
	v_cmp_eq_u32_sdwa s[0:1], v8, v33 src0_sel:WORD_0 src1_sel:DWORD
	s_nop 1
	v_cndmask_b32_e64 v15, v15, v8, s[0:1]
; %bb.1190:                             ;   in Loop: Header=BB336_431 Depth=1
	s_or_b64 exec, exec, s[12:13]
	scratch_load_dwordx2 v[20:21], off, s32 offset:340 ; 8-byte Folded Reload
	s_waitcnt vmcnt(0)
	v_lshl_add_u64 v[2:3], v[2:3], 0, v[20:21]
	flat_load_dwordx2 v[2:3], v[2:3]
	s_waitcnt vmcnt(0) lgkmcnt(0)
	v_and_b32_e32 v8, 0xff, v2
	v_cvt_f32_fp8_sdwa v8, v8 src0_sel:BYTE_0
	s_nop 0
	v_mul_f32_e32 v8, v51, v8
	v_and_b32_e32 v19, 0x7f800000, v8
	v_cmp_ne_u32_e64 s[0:1], s19, v19
                                        ; implicit-def: $vgpr19
	s_and_saveexec_b64 s[12:13], s[0:1]
	s_xor_b64 s[0:1], exec, s[12:13]
; %bb.1191:                             ;   in Loop: Header=BB336_431 Depth=1
	v_bfe_u32 v19, v8, 16, 1
	v_add3_u32 v19, v8, v19, s20
                                        ; implicit-def: $vgpr8
; %bb.1192:                             ;   in Loop: Header=BB336_431 Depth=1
	s_andn2_saveexec_b64 s[12:13], s[0:1]
; %bb.1193:                             ;   in Loop: Header=BB336_431 Depth=1
	v_or_b32_e32 v19, 0x10000, v8
	v_cmp_eq_u32_sdwa s[0:1], v8, v33 src0_sel:WORD_0 src1_sel:DWORD
	s_nop 1
	v_cndmask_b32_e64 v19, v19, v8, s[0:1]
; %bb.1194:                             ;   in Loop: Header=BB336_431 Depth=1
	s_or_b64 exec, exec, s[12:13]
	v_bfe_u32 v8, v2, 8, 8
	v_cvt_f32_fp8_sdwa v8, v8 src0_sel:BYTE_0
                                        ; implicit-def: $vgpr42
	s_nop 0
	v_mul_f32_e32 v8, v51, v8
	v_and_b32_e32 v20, 0x7f800000, v8
	v_cmp_ne_u32_e64 s[0:1], s19, v20
	s_and_saveexec_b64 s[12:13], s[0:1]
	s_xor_b64 s[0:1], exec, s[12:13]
; %bb.1195:                             ;   in Loop: Header=BB336_431 Depth=1
	v_bfe_u32 v20, v8, 16, 1
	v_add3_u32 v42, v8, v20, s20
                                        ; implicit-def: $vgpr8
; %bb.1196:                             ;   in Loop: Header=BB336_431 Depth=1
	s_andn2_saveexec_b64 s[12:13], s[0:1]
; %bb.1197:                             ;   in Loop: Header=BB336_431 Depth=1
	v_or_b32_e32 v20, 0x10000, v8
	v_cmp_eq_u32_sdwa s[0:1], v8, v33 src0_sel:WORD_0 src1_sel:DWORD
	s_nop 1
	v_cndmask_b32_e64 v42, v20, v8, s[0:1]
; %bb.1198:                             ;   in Loop: Header=BB336_431 Depth=1
	s_or_b64 exec, exec, s[12:13]
	v_bfe_u32 v8, v2, 16, 8
	v_cvt_f32_fp8_sdwa v8, v8 src0_sel:BYTE_0
                                        ; implicit-def: $vgpr21
	s_nop 0
	v_mul_f32_e32 v8, v51, v8
	v_and_b32_e32 v20, 0x7f800000, v8
	v_cmp_ne_u32_e64 s[0:1], s19, v20
	s_and_saveexec_b64 s[12:13], s[0:1]
	s_xor_b64 s[0:1], exec, s[12:13]
; %bb.1199:                             ;   in Loop: Header=BB336_431 Depth=1
	v_bfe_u32 v20, v8, 16, 1
	v_add3_u32 v21, v8, v20, s20
                                        ; implicit-def: $vgpr8
; %bb.1200:                             ;   in Loop: Header=BB336_431 Depth=1
	s_andn2_saveexec_b64 s[12:13], s[0:1]
; %bb.1201:                             ;   in Loop: Header=BB336_431 Depth=1
	v_or_b32_e32 v20, 0x10000, v8
	v_cmp_eq_u32_sdwa s[0:1], v8, v33 src0_sel:WORD_0 src1_sel:DWORD
	s_nop 1
	v_cndmask_b32_e64 v21, v20, v8, s[0:1]
; %bb.1202:                             ;   in Loop: Header=BB336_431 Depth=1
	s_or_b64 exec, exec, s[12:13]
	v_lshrrev_b32_e32 v2, 24, v2
	v_cvt_f32_fp8_sdwa v2, v2 src0_sel:BYTE_0
	s_nop 0
	v_mul_f32_e32 v8, v51, v2
	v_and_b32_e32 v2, 0x7f800000, v8
	v_cmp_ne_u32_e64 s[0:1], s19, v2
                                        ; implicit-def: $vgpr2
	s_and_saveexec_b64 s[12:13], s[0:1]
	s_xor_b64 s[0:1], exec, s[12:13]
; %bb.1203:                             ;   in Loop: Header=BB336_431 Depth=1
	v_bfe_u32 v2, v8, 16, 1
	v_add3_u32 v2, v8, v2, s20
                                        ; implicit-def: $vgpr8
; %bb.1204:                             ;   in Loop: Header=BB336_431 Depth=1
	s_andn2_saveexec_b64 s[12:13], s[0:1]
; %bb.1205:                             ;   in Loop: Header=BB336_431 Depth=1
	v_or_b32_e32 v2, 0x10000, v8
	v_cmp_eq_u32_sdwa s[0:1], v8, v33 src0_sel:WORD_0 src1_sel:DWORD
	s_nop 1
	v_cndmask_b32_e64 v2, v2, v8, s[0:1]
; %bb.1206:                             ;   in Loop: Header=BB336_431 Depth=1
	s_or_b64 exec, exec, s[12:13]
	v_and_b32_e32 v8, 0xff, v3
	v_cvt_f32_fp8_sdwa v8, v8 src0_sel:BYTE_0
	s_nop 0
	v_mul_f32_e32 v20, v51, v8
	v_and_b32_e32 v8, 0x7f800000, v20
	v_cmp_ne_u32_e64 s[0:1], s19, v8
                                        ; implicit-def: $vgpr8
	s_and_saveexec_b64 s[12:13], s[0:1]
	s_xor_b64 s[0:1], exec, s[12:13]
; %bb.1207:                             ;   in Loop: Header=BB336_431 Depth=1
	v_bfe_u32 v8, v20, 16, 1
	v_add3_u32 v8, v20, v8, s20
                                        ; implicit-def: $vgpr20
; %bb.1208:                             ;   in Loop: Header=BB336_431 Depth=1
	s_andn2_saveexec_b64 s[12:13], s[0:1]
; %bb.1209:                             ;   in Loop: Header=BB336_431 Depth=1
	v_or_b32_e32 v8, 0x10000, v20
	v_cmp_eq_u32_sdwa s[0:1], v20, v33 src0_sel:WORD_0 src1_sel:DWORD
	s_nop 1
	v_cndmask_b32_e64 v8, v8, v20, s[0:1]
; %bb.1210:                             ;   in Loop: Header=BB336_431 Depth=1
	s_or_b64 exec, exec, s[12:13]
	v_bfe_u32 v20, v3, 8, 8
	v_cvt_f32_fp8_sdwa v20, v20 src0_sel:BYTE_0
	s_nop 0
	v_mul_f32_e32 v24, v51, v20
	v_and_b32_e32 v20, 0x7f800000, v24
	v_cmp_ne_u32_e64 s[0:1], s19, v20
                                        ; implicit-def: $vgpr20
	s_and_saveexec_b64 s[12:13], s[0:1]
	s_xor_b64 s[0:1], exec, s[12:13]
; %bb.1211:                             ;   in Loop: Header=BB336_431 Depth=1
	v_bfe_u32 v20, v24, 16, 1
	v_add3_u32 v20, v24, v20, s20
                                        ; implicit-def: $vgpr24
; %bb.1212:                             ;   in Loop: Header=BB336_431 Depth=1
	s_andn2_saveexec_b64 s[12:13], s[0:1]
; %bb.1213:                             ;   in Loop: Header=BB336_431 Depth=1
	v_or_b32_e32 v20, 0x10000, v24
	v_cmp_eq_u32_sdwa s[0:1], v24, v33 src0_sel:WORD_0 src1_sel:DWORD
	s_nop 1
	v_cndmask_b32_e64 v20, v20, v24, s[0:1]
; %bb.1214:                             ;   in Loop: Header=BB336_431 Depth=1
	s_or_b64 exec, exec, s[12:13]
	v_bfe_u32 v24, v3, 16, 8
	v_cvt_f32_fp8_sdwa v24, v24 src0_sel:BYTE_0
	s_nop 0
	v_mul_f32_e32 v24, v51, v24
	v_and_b32_e32 v25, 0x7f800000, v24
	v_cmp_ne_u32_e64 s[0:1], s19, v25
                                        ; implicit-def: $vgpr25
	s_and_saveexec_b64 s[12:13], s[0:1]
	s_xor_b64 s[0:1], exec, s[12:13]
; %bb.1215:                             ;   in Loop: Header=BB336_431 Depth=1
	v_bfe_u32 v25, v24, 16, 1
	v_add3_u32 v25, v24, v25, s20
                                        ; implicit-def: $vgpr24
; %bb.1216:                             ;   in Loop: Header=BB336_431 Depth=1
	s_andn2_saveexec_b64 s[12:13], s[0:1]
; %bb.1217:                             ;   in Loop: Header=BB336_431 Depth=1
	v_or_b32_e32 v25, 0x10000, v24
	v_cmp_eq_u32_sdwa s[0:1], v24, v33 src0_sel:WORD_0 src1_sel:DWORD
	s_nop 1
	v_cndmask_b32_e64 v25, v25, v24, s[0:1]
; %bb.1218:                             ;   in Loop: Header=BB336_431 Depth=1
	s_or_b64 exec, exec, s[12:13]
	v_lshrrev_b32_e32 v3, 24, v3
	v_cvt_f32_fp8_sdwa v3, v3 src0_sel:BYTE_0
	s_nop 0
	v_mul_f32_e32 v3, v51, v3
	v_and_b32_e32 v24, 0x7f800000, v3
	v_cmp_ne_u32_e64 s[0:1], s19, v24
                                        ; implicit-def: $vgpr51
	s_and_saveexec_b64 s[12:13], s[0:1]
	s_xor_b64 s[0:1], exec, s[12:13]
; %bb.1219:                             ;   in Loop: Header=BB336_431 Depth=1
	v_bfe_u32 v24, v3, 16, 1
	v_add3_u32 v51, v3, v24, s20
                                        ; implicit-def: $vgpr3
; %bb.1220:                             ;   in Loop: Header=BB336_431 Depth=1
	s_andn2_saveexec_b64 s[12:13], s[0:1]
; %bb.1221:                             ;   in Loop: Header=BB336_431 Depth=1
	v_or_b32_e32 v24, 0x10000, v3
	v_cmp_eq_u32_sdwa s[0:1], v3, v33 src0_sel:WORD_0 src1_sel:DWORD
	s_nop 1
	v_cndmask_b32_e64 v51, v24, v3, s[0:1]
; %bb.1222:                             ;   in Loop: Header=BB336_431 Depth=1
	s_or_b64 exec, exec, s[12:13]
	v_lshrrev_b32_e32 v20, 16, v20
	v_lshrrev_b32_e32 v8, 16, v8
	v_lshrrev_b32_e32 v24, 16, v2
	v_lshrrev_b32_e32 v3, 16, v21
	v_lshrrev_b32_e32 v2, 16, v42
	v_lshrrev_b32_e32 v19, 16, v19
	v_lshrrev_b32_e32 v42, 16, v25
	v_lshrrev_b32_e32 v51, 16, v51
	s_and_saveexec_b64 s[0:1], vcc
	s_cbranch_execz .LBB336_1224
; %bb.1223:                             ;   in Loop: Header=BB336_431 Depth=1
	scratch_load_dword v21, off, s32 offset:188 ; 4-byte Folded Reload
	s_waitcnt vmcnt(0)
	v_cmp_lt_i32_e32 vcc, v1, v21
	v_accvgpr_read_b32 v1, a53
	s_nop 0
	v_cndmask_b32_e32 v19, 0, v19, vcc
	v_cmp_lt_i32_e32 vcc, v1, v21
	v_accvgpr_read_b32 v1, a52
	s_nop 0
	v_cndmask_b32_e32 v2, 0, v2, vcc
	;; [unrolled: 4-line block ×7, first 2 shown]
	v_cmp_lt_i32_e32 vcc, v1, v21
	s_nop 1
	v_cndmask_b32_e32 v51, 0, v51, vcc
.LBB336_1224:                           ;   in Loop: Header=BB336_431 Depth=1
	s_or_b64 exec, exec, s[0:1]
	v_lshlrev_b32_e32 v1, 16, v19
	v_mul_f32_e32 v19, v44, v1
	v_and_b32_e32 v1, 0x7f800000, v19
	v_cmp_ne_u32_e32 vcc, s19, v1
                                        ; implicit-def: $vgpr1
	s_and_saveexec_b64 s[0:1], vcc
	s_xor_b64 s[0:1], exec, s[0:1]
; %bb.1225:                             ;   in Loop: Header=BB336_431 Depth=1
	v_bfe_u32 v1, v19, 16, 1
	v_add3_u32 v1, v19, v1, s20
                                        ; implicit-def: $vgpr19
; %bb.1226:                             ;   in Loop: Header=BB336_431 Depth=1
	s_andn2_saveexec_b64 s[0:1], s[0:1]
; %bb.1227:                             ;   in Loop: Header=BB336_431 Depth=1
	v_or_b32_e32 v1, 0x10000, v19
	v_cmp_eq_u32_sdwa vcc, v19, v33 src0_sel:WORD_0 src1_sel:DWORD
	s_nop 1
	v_cndmask_b32_e32 v1, v1, v19, vcc
; %bb.1228:                             ;   in Loop: Header=BB336_431 Depth=1
	s_or_b64 exec, exec, s[0:1]
	v_lshlrev_b32_e32 v2, 16, v2
	v_mul_f32_e32 v19, v50, v2
	v_and_b32_e32 v2, 0x7f800000, v19
	v_cmp_ne_u32_e32 vcc, s19, v2
                                        ; implicit-def: $vgpr2
	s_and_saveexec_b64 s[0:1], vcc
	s_xor_b64 s[0:1], exec, s[0:1]
; %bb.1229:                             ;   in Loop: Header=BB336_431 Depth=1
	v_bfe_u32 v2, v19, 16, 1
	v_add3_u32 v2, v19, v2, s20
                                        ; implicit-def: $vgpr19
; %bb.1230:                             ;   in Loop: Header=BB336_431 Depth=1
	s_andn2_saveexec_b64 s[0:1], s[0:1]
; %bb.1231:                             ;   in Loop: Header=BB336_431 Depth=1
	v_or_b32_e32 v2, 0x10000, v19
	v_cmp_eq_u32_sdwa vcc, v19, v33 src0_sel:WORD_0 src1_sel:DWORD
	s_nop 1
	v_cndmask_b32_e32 v2, v2, v19, vcc
; %bb.1232:                             ;   in Loop: Header=BB336_431 Depth=1
	s_or_b64 exec, exec, s[0:1]
	v_lshlrev_b32_e32 v3, 16, v3
	v_mul_f32_e32 v19, v30, v3
	v_and_b32_e32 v3, 0x7f800000, v19
	v_cmp_ne_u32_e32 vcc, s19, v3
                                        ; implicit-def: $vgpr3
	s_and_saveexec_b64 s[0:1], vcc
	s_xor_b64 s[0:1], exec, s[0:1]
; %bb.1233:                             ;   in Loop: Header=BB336_431 Depth=1
	v_bfe_u32 v3, v19, 16, 1
	v_add3_u32 v3, v19, v3, s20
                                        ; implicit-def: $vgpr19
; %bb.1234:                             ;   in Loop: Header=BB336_431 Depth=1
	s_andn2_saveexec_b64 s[0:1], s[0:1]
; %bb.1235:                             ;   in Loop: Header=BB336_431 Depth=1
	v_or_b32_e32 v3, 0x10000, v19
	v_cmp_eq_u32_sdwa vcc, v19, v33 src0_sel:WORD_0 src1_sel:DWORD
	s_nop 1
	v_cndmask_b32_e32 v3, v3, v19, vcc
; %bb.1236:                             ;   in Loop: Header=BB336_431 Depth=1
	s_or_b64 exec, exec, s[0:1]
	v_lshlrev_b32_e32 v19, 16, v24
	v_mul_f32_e32 v21, v31, v19
	v_and_b32_e32 v19, 0x7f800000, v21
	v_cmp_ne_u32_e32 vcc, s19, v19
                                        ; implicit-def: $vgpr19
	s_and_saveexec_b64 s[0:1], vcc
	s_xor_b64 s[0:1], exec, s[0:1]
; %bb.1237:                             ;   in Loop: Header=BB336_431 Depth=1
	v_bfe_u32 v19, v21, 16, 1
	v_add3_u32 v19, v21, v19, s20
                                        ; implicit-def: $vgpr21
; %bb.1238:                             ;   in Loop: Header=BB336_431 Depth=1
	s_andn2_saveexec_b64 s[0:1], s[0:1]
; %bb.1239:                             ;   in Loop: Header=BB336_431 Depth=1
	v_or_b32_e32 v19, 0x10000, v21
	v_cmp_eq_u32_sdwa vcc, v21, v33 src0_sel:WORD_0 src1_sel:DWORD
	s_nop 1
	v_cndmask_b32_e32 v19, v19, v21, vcc
; %bb.1240:                             ;   in Loop: Header=BB336_431 Depth=1
	s_or_b64 exec, exec, s[0:1]
	v_lshlrev_b32_e32 v8, 16, v8
	v_mul_f32_e32 v8, v26, v8
	v_and_b32_e32 v21, 0x7f800000, v8
	v_cmp_ne_u32_e32 vcc, s19, v21
                                        ; implicit-def: $vgpr26
	s_and_saveexec_b64 s[0:1], vcc
	s_xor_b64 s[0:1], exec, s[0:1]
; %bb.1241:                             ;   in Loop: Header=BB336_431 Depth=1
	v_bfe_u32 v21, v8, 16, 1
	v_add3_u32 v26, v8, v21, s20
                                        ; implicit-def: $vgpr8
; %bb.1242:                             ;   in Loop: Header=BB336_431 Depth=1
	s_andn2_saveexec_b64 s[0:1], s[0:1]
; %bb.1243:                             ;   in Loop: Header=BB336_431 Depth=1
	v_or_b32_e32 v21, 0x10000, v8
	v_cmp_eq_u32_sdwa vcc, v8, v33 src0_sel:WORD_0 src1_sel:DWORD
	s_nop 1
	v_cndmask_b32_e32 v26, v21, v8, vcc
; %bb.1244:                             ;   in Loop: Header=BB336_431 Depth=1
	s_or_b64 exec, exec, s[0:1]
	v_lshlrev_b32_e32 v8, 16, v20
	v_mul_f32_e32 v8, v27, v8
	v_and_b32_e32 v20, 0x7f800000, v8
	v_cmp_ne_u32_e32 vcc, s19, v20
                                        ; implicit-def: $vgpr27
	s_and_saveexec_b64 s[0:1], vcc
	s_xor_b64 s[0:1], exec, s[0:1]
; %bb.1245:                             ;   in Loop: Header=BB336_431 Depth=1
	v_bfe_u32 v20, v8, 16, 1
	v_add3_u32 v27, v8, v20, s20
                                        ; implicit-def: $vgpr8
; %bb.1246:                             ;   in Loop: Header=BB336_431 Depth=1
	s_andn2_saveexec_b64 s[0:1], s[0:1]
; %bb.1247:                             ;   in Loop: Header=BB336_431 Depth=1
	v_or_b32_e32 v20, 0x10000, v8
	v_cmp_eq_u32_sdwa vcc, v8, v33 src0_sel:WORD_0 src1_sel:DWORD
	s_nop 1
	v_cndmask_b32_e32 v27, v20, v8, vcc
; %bb.1248:                             ;   in Loop: Header=BB336_431 Depth=1
	s_or_b64 exec, exec, s[0:1]
	v_lshlrev_b32_e32 v8, 16, v42
	v_mul_f32_e32 v8, v36, v8
	v_and_b32_e32 v20, 0x7f800000, v8
	v_cmp_ne_u32_e32 vcc, s19, v20
                                        ; implicit-def: $vgpr30
	s_and_saveexec_b64 s[0:1], vcc
	s_xor_b64 s[0:1], exec, s[0:1]
; %bb.1249:                             ;   in Loop: Header=BB336_431 Depth=1
	v_bfe_u32 v20, v8, 16, 1
	v_add3_u32 v30, v8, v20, s20
                                        ; implicit-def: $vgpr8
; %bb.1250:                             ;   in Loop: Header=BB336_431 Depth=1
	s_andn2_saveexec_b64 s[0:1], s[0:1]
; %bb.1251:                             ;   in Loop: Header=BB336_431 Depth=1
	v_or_b32_e32 v20, 0x10000, v8
	v_cmp_eq_u32_sdwa vcc, v8, v33 src0_sel:WORD_0 src1_sel:DWORD
	s_nop 1
	v_cndmask_b32_e32 v30, v20, v8, vcc
; %bb.1252:                             ;   in Loop: Header=BB336_431 Depth=1
	s_or_b64 exec, exec, s[0:1]
	v_lshlrev_b32_e32 v8, 16, v51
	v_mul_f32_e32 v8, v37, v8
	v_and_b32_e32 v20, 0x7f800000, v8
	v_cmp_ne_u32_e32 vcc, s19, v20
                                        ; implicit-def: $vgpr31
	s_and_saveexec_b64 s[0:1], vcc
	s_xor_b64 s[0:1], exec, s[0:1]
; %bb.1253:                             ;   in Loop: Header=BB336_431 Depth=1
	v_bfe_u32 v20, v8, 16, 1
	v_add3_u32 v31, v8, v20, s20
                                        ; implicit-def: $vgpr8
; %bb.1254:                             ;   in Loop: Header=BB336_431 Depth=1
	s_andn2_saveexec_b64 s[0:1], s[0:1]
	s_cbranch_execz .LBB336_429
; %bb.1255:                             ;   in Loop: Header=BB336_431 Depth=1
	v_or_b32_e32 v20, 0x10000, v8
	v_cmp_eq_u32_sdwa vcc, v8, v33 src0_sel:WORD_0 src1_sel:DWORD
	s_nop 1
	v_cndmask_b32_e32 v31, v20, v8, vcc
	s_branch .LBB336_429
.LBB336_1256:
	s_or_b64 exec, exec, s[6:7]
	scratch_load_dword v22, off, s32 offset:360 ; 4-byte Folded Reload
	scratch_load_dword v23, off, s32 offset:356 ; 4-byte Folded Reload
	;; [unrolled: 1-line block ×4, first 2 shown]
	scratch_load_dwordx2 v[30:31], off, s32 offset:256 ; 8-byte Folded Reload
	scratch_load_dwordx2 v[14:15], off, s32 offset:232 ; 8-byte Folded Reload
	;; [unrolled: 1-line block ×4, first 2 shown]
.LBB336_1257:
	s_or_b64 exec, exec, s[2:3]
	s_waitcnt vmcnt(5)
	ds_bpermute_b32 v0, v21, v34
	ds_bpermute_b32 v1, v21, v35
	;; [unrolled: 1-line block ×4, first 2 shown]
	s_waitcnt vmcnt(0)
	ds_bpermute_b32 v6, v21, v10
	ds_bpermute_b32 v7, v21, v11
	s_waitcnt lgkmcnt(4)
	v_pk_add_f32 v[0:1], v[34:35], v[0:1]
	ds_bpermute_b32 v4, v24, v0
	ds_bpermute_b32 v5, v24, v1
	s_waitcnt lgkmcnt(4)
	v_pk_add_f32 v[2:3], v[28:29], v[2:3]
	;; [unrolled: 4-line block ×3, first 2 shown]
	v_pk_add_f32 v[0:1], v[10:11], v[6:7]
	ds_bpermute_b32 v6, v24, v0
	ds_bpermute_b32 v10, v21, v14
	ds_bpermute_b32 v11, v21, v15
	ds_bpermute_b32 v7, v24, v1
	s_barrier
	s_waitcnt lgkmcnt(0)
	ds_bpermute_b32 v4, v21, v12
	v_pk_add_f32 v[14:15], v[14:15], v[10:11]
	v_pk_add_f32 v[10:11], v[2:3], v[8:9]
	;; [unrolled: 1-line block ×3, first 2 shown]
	scratch_load_dword v0, off, s32 offset:440 ; 4-byte Folded Reload
	ds_bpermute_b32 v5, v21, v13
	ds_bpermute_b32 v20, v21, v30
	ds_bpermute_b32 v21, v21, v31
	ds_bpermute_b32 v18, v24, v14
	ds_bpermute_b32 v19, v24, v15
	s_waitcnt lgkmcnt(4)
	v_pk_add_f32 v[4:5], v[12:13], v[4:5]
	ds_bpermute_b32 v12, v24, v4
	ds_bpermute_b32 v13, v24, v5
	s_waitcnt lgkmcnt(2)
	v_pk_add_f32 v[2:3], v[14:15], v[18:19]
	s_waitcnt lgkmcnt(0)
	v_pk_add_f32 v[6:7], v[4:5], v[12:13]
	v_pk_add_f32 v[4:5], v[30:31], v[20:21]
	ds_bpermute_b32 v12, v24, v4
	ds_bpermute_b32 v13, v24, v5
	s_waitcnt vmcnt(0)
	v_and_b32_e32 v0, 0x3c3, v0
	v_cmp_ne_u32_e32 vcc, 64, v0
	s_and_saveexec_b64 s[0:1], vcc
	s_xor_b64 s[0:1], exec, s[0:1]
; %bb.1258:
                                        ; implicit-def: $vgpr23
; %bb.1259:
	s_or_saveexec_b64 s[0:1], s[0:1]
	s_waitcnt lgkmcnt(0)
	v_pk_add_f32 v[4:5], v[4:5], v[12:13]
	s_xor_b64 exec, exec, s[0:1]
	s_cbranch_execz .LBB336_1261
; %bb.1260:
	s_ashr_i32 s19, s18, 31
	s_lshl_b64 s[2:3], s[18:19], 2
	s_getpc_b64 s[4:5]
	s_add_u32 s4, s4, llvm.amdgcn.dynlds.offset.table@rel32@lo+4
	s_addc_u32 s5, s5, llvm.amdgcn.dynlds.offset.table@rel32@hi+12
	s_add_u32 s2, s2, s4
	s_addc_u32 s3, s3, s5
	s_load_dword s2, s[2:3], 0x0
	s_waitcnt lgkmcnt(0)
	v_add_u32_e32 v0, s2, v23
	ds_write2_b32 v0, v16, v17 offset1:16
	ds_write2_b32 v0, v10, v11 offset0:32 offset1:48
	ds_write2_b32 v0, v8, v9 offset0:64 offset1:80
	;; [unrolled: 1-line block ×5, first 2 shown]
.LBB336_1261:
	s_or_b64 exec, exec, s[0:1]
	s_waitcnt lgkmcnt(0)
	s_barrier
	scratch_load_dword v0, off, s32 offset:440 ; 4-byte Folded Reload
	s_waitcnt vmcnt(0)
	v_cmp_gt_u32_e32 vcc, 64, v0
	v_cmp_lt_u32_e64 s[0:1], 63, v0
	s_and_saveexec_b64 s[2:3], s[0:1]
	s_xor_b64 s[0:1], exec, s[2:3]
	s_andn2_saveexec_b64 s[2:3], s[0:1]
	s_cbranch_execz .LBB336_1276
; %bb.1262:
	scratch_load_dword v0, off, s32 offset:440 ; 4-byte Folded Reload
	v_cmp_eq_u32_e64 s[0:1], 0, v22
	s_waitcnt vmcnt(0)
	v_lshrrev_b32_e32 v0, 2, v0
	s_and_saveexec_b64 s[4:5], s[0:1]
	s_cbranch_execnz .LBB336_1328
; %bb.1263:
	s_or_b64 exec, exec, s[4:5]
	s_and_saveexec_b64 s[4:5], s[0:1]
	s_cbranch_execnz .LBB336_1329
.LBB336_1264:
	s_or_b64 exec, exec, s[4:5]
	s_and_saveexec_b64 s[4:5], s[0:1]
	s_cbranch_execnz .LBB336_1330
.LBB336_1265:
	s_or_b64 exec, exec, s[4:5]
	s_and_saveexec_b64 s[4:5], s[0:1]
	s_cbranch_execnz .LBB336_1331
.LBB336_1266:
	s_or_b64 exec, exec, s[4:5]
	s_and_saveexec_b64 s[4:5], s[0:1]
	s_cbranch_execnz .LBB336_1332
.LBB336_1267:
	s_or_b64 exec, exec, s[4:5]
	s_and_saveexec_b64 s[4:5], s[0:1]
	s_cbranch_execnz .LBB336_1333
.LBB336_1268:
	s_or_b64 exec, exec, s[4:5]
	s_and_saveexec_b64 s[4:5], s[0:1]
	s_cbranch_execnz .LBB336_1334
.LBB336_1269:
	s_or_b64 exec, exec, s[4:5]
	s_and_saveexec_b64 s[4:5], s[0:1]
	s_cbranch_execnz .LBB336_1335
.LBB336_1270:
	s_or_b64 exec, exec, s[4:5]
	s_and_saveexec_b64 s[4:5], s[0:1]
	s_cbranch_execnz .LBB336_1336
.LBB336_1271:
	s_or_b64 exec, exec, s[4:5]
	s_and_saveexec_b64 s[4:5], s[0:1]
	s_cbranch_execnz .LBB336_1337
.LBB336_1272:
	s_or_b64 exec, exec, s[4:5]
	s_and_saveexec_b64 s[4:5], s[0:1]
	s_cbranch_execnz .LBB336_1338
.LBB336_1273:
	s_or_b64 exec, exec, s[4:5]
	s_and_saveexec_b64 s[4:5], s[0:1]
	s_cbranch_execz .LBB336_1275
.LBB336_1274:
	s_ashr_i32 s19, s18, 31
	s_lshl_b64 s[0:1], s[18:19], 2
	s_getpc_b64 s[6:7]
	s_add_u32 s6, s6, llvm.amdgcn.dynlds.offset.table@rel32@lo+4
	s_addc_u32 s7, s7, llvm.amdgcn.dynlds.offset.table@rel32@hi+12
	s_add_u32 s0, s0, s6
	s_addc_u32 s1, s1, s7
	s_load_dword s0, s[0:1], 0x0
	s_waitcnt lgkmcnt(0)
	v_lshl_add_u32 v0, v0, 2, s0
	ds_read_b32 v0, v0 offset:704
	s_waitcnt lgkmcnt(0)
	v_add_f32_e32 v5, v0, v5
.LBB336_1275:
	s_or_b64 exec, exec, s[4:5]
.LBB336_1276:
	s_or_b64 exec, exec, s[2:3]
	s_barrier
	s_and_saveexec_b64 s[0:1], vcc
	s_cbranch_execz .LBB336_1327
; %bb.1277:
	v_cmp_eq_u32_e32 vcc, 0, v22
	s_and_b64 exec, exec, vcc
	s_cbranch_execz .LBB336_1327
; %bb.1278:
	s_mov_b32 s2, 0x7f800000
	v_and_b32_e32 v0, 0x7f800000, v16
	v_cmp_ne_u32_e32 vcc, s2, v0
                                        ; implicit-def: $vgpr12
	s_and_saveexec_b64 s[2:3], vcc
	s_xor_b64 s[2:3], exec, s[2:3]
; %bb.1279:
	v_bfe_u32 v0, v16, 16, 1
	s_movk_i32 s4, 0x7fff
	v_add3_u32 v12, v16, v0, s4
; %bb.1280:
	s_andn2_saveexec_b64 s[2:3], s[2:3]
; %bb.1281:
	v_mov_b32_e32 v0, 0
	v_or_b32_e32 v1, 0x10000, v16
	v_cmp_eq_u32_sdwa vcc, v16, v0 src0_sel:WORD_0 src1_sel:DWORD
	s_nop 1
	v_cndmask_b32_e32 v12, v1, v16, vcc
; %bb.1282:
	s_or_b64 exec, exec, s[2:3]
	scratch_load_dwordx2 v[0:1], off, s32 offset:516 ; 8-byte Folded Reload
	scratch_load_dword v13, off, s32 offset:440 ; 4-byte Folded Reload
	v_cmp_ne_u16_e64 s[2:3], s17, 0
	s_cmp_lg_u64 s[2:3], 0
	s_addc_u32 s4, s15, 0
	s_mul_i32 s2, s4, s10
	s_mul_i32 s2, s2, s11
	s_mulk_i32 s2, 0xc0
	s_mul_i32 s4, s16, s4
	s_mul_i32 s6, s14, 0xc0
	s_ashr_i32 s3, s2, 31
	s_ashr_i32 s5, s4, 31
	;; [unrolled: 1-line block ×3, first 2 shown]
	s_lshl_b64 s[2:3], s[2:3], 1
	s_lshl_b64 s[4:5], s[4:5], 1
	;; [unrolled: 1-line block ×3, first 2 shown]
	s_add_u32 s4, s6, s4
	s_addc_u32 s5, s7, s5
	s_add_u32 s2, s4, s2
	s_addc_u32 s3, s5, s3
	v_mov_b32_e32 v15, 0
	s_waitcnt vmcnt(1)
	v_lshl_add_u64 v[0:1], s[2:3], 0, v[0:1]
	s_waitcnt vmcnt(0)
	v_lshrrev_b32_e32 v13, 1, v13
	v_and_b32_e32 v14, 0x1fe, v13
	v_lshl_add_u64 v[0:1], v[0:1], 0, v[14:15]
	flat_store_short_d16_hi v[0:1], v12
	s_mov_b32 s2, 0x7f800000
	v_and_b32_e32 v12, 0x7f800000, v17
	v_cmp_ne_u32_e32 vcc, s2, v12
                                        ; implicit-def: $vgpr12
	s_and_saveexec_b64 s[2:3], vcc
	s_xor_b64 s[2:3], exec, s[2:3]
; %bb.1283:
	v_bfe_u32 v12, v17, 16, 1
	s_movk_i32 s4, 0x7fff
	v_add3_u32 v12, v17, v12, s4
                                        ; implicit-def: $vgpr16_vgpr17
; %bb.1284:
	s_andn2_saveexec_b64 s[2:3], s[2:3]
; %bb.1285:
	v_mov_b32_e32 v12, 0
	v_or_b32_e32 v13, 0x10000, v17
	v_cmp_eq_u32_sdwa vcc, v17, v12 src0_sel:WORD_0 src1_sel:DWORD
	s_nop 1
	v_cndmask_b32_e32 v12, v13, v17, vcc
; %bb.1286:
	s_or_b64 exec, exec, s[2:3]
	flat_store_short_d16_hi v[0:1], v12 offset:32
	s_mov_b32 s2, 0x7f800000
	v_and_b32_e32 v12, 0x7f800000, v10
	v_cmp_ne_u32_e32 vcc, s2, v12
                                        ; implicit-def: $vgpr12
	s_and_saveexec_b64 s[2:3], vcc
	s_xor_b64 s[2:3], exec, s[2:3]
; %bb.1287:
	v_bfe_u32 v12, v10, 16, 1
	s_movk_i32 s4, 0x7fff
	v_add3_u32 v12, v10, v12, s4
; %bb.1288:
	s_andn2_saveexec_b64 s[2:3], s[2:3]
; %bb.1289:
	v_mov_b32_e32 v12, 0
	v_or_b32_e32 v13, 0x10000, v10
	v_cmp_eq_u32_sdwa vcc, v10, v12 src0_sel:WORD_0 src1_sel:DWORD
	s_nop 1
	v_cndmask_b32_e32 v12, v13, v10, vcc
; %bb.1290:
	s_or_b64 exec, exec, s[2:3]
	s_mov_b32 s2, 0x7f800000
	v_and_b32_e32 v10, 0x7f800000, v11
	v_cmp_ne_u32_e32 vcc, s2, v10
	flat_store_short_d16_hi v[0:1], v12 offset:64
                                        ; implicit-def: $vgpr12
	s_and_saveexec_b64 s[2:3], vcc
	s_xor_b64 s[2:3], exec, s[2:3]
; %bb.1291:
	v_bfe_u32 v10, v11, 16, 1
	s_movk_i32 s4, 0x7fff
	v_add3_u32 v12, v11, v10, s4
                                        ; implicit-def: $vgpr10_vgpr11
; %bb.1292:
	s_andn2_saveexec_b64 s[2:3], s[2:3]
; %bb.1293:
	v_mov_b32_e32 v10, 0
	v_or_b32_e32 v12, 0x10000, v11
	v_cmp_eq_u32_sdwa vcc, v11, v10 src0_sel:WORD_0 src1_sel:DWORD
	s_nop 1
	v_cndmask_b32_e32 v12, v12, v11, vcc
; %bb.1294:
	s_or_b64 exec, exec, s[2:3]
	s_mov_b32 s2, 0x7f800000
	v_and_b32_e32 v10, 0x7f800000, v8
	v_cmp_ne_u32_e32 vcc, s2, v10
	flat_store_short_d16_hi v[0:1], v12 offset:96
                                        ; implicit-def: $vgpr10
	s_and_saveexec_b64 s[2:3], vcc
	s_xor_b64 s[2:3], exec, s[2:3]
; %bb.1295:
	v_bfe_u32 v10, v8, 16, 1
	s_movk_i32 s4, 0x7fff
	v_add3_u32 v10, v8, v10, s4
; %bb.1296:
	s_andn2_saveexec_b64 s[2:3], s[2:3]
; %bb.1297:
	v_mov_b32_e32 v10, 0
	v_or_b32_e32 v11, 0x10000, v8
	v_cmp_eq_u32_sdwa vcc, v8, v10 src0_sel:WORD_0 src1_sel:DWORD
	s_nop 1
	v_cndmask_b32_e32 v10, v11, v8, vcc
; %bb.1298:
	s_or_b64 exec, exec, s[2:3]
	s_mov_b32 s2, 0x7f800000
	v_and_b32_e32 v8, 0x7f800000, v9
	v_cmp_ne_u32_e32 vcc, s2, v8
	flat_store_short_d16_hi v[0:1], v10 offset:128
                                        ; implicit-def: $vgpr10
	s_and_saveexec_b64 s[2:3], vcc
	s_xor_b64 s[2:3], exec, s[2:3]
; %bb.1299:
	v_bfe_u32 v8, v9, 16, 1
	s_movk_i32 s4, 0x7fff
	v_add3_u32 v10, v9, v8, s4
                                        ; implicit-def: $vgpr8_vgpr9
; %bb.1300:
	s_andn2_saveexec_b64 s[2:3], s[2:3]
; %bb.1301:
	v_mov_b32_e32 v8, 0
	v_or_b32_e32 v10, 0x10000, v9
	v_cmp_eq_u32_sdwa vcc, v9, v8 src0_sel:WORD_0 src1_sel:DWORD
	s_nop 1
	v_cndmask_b32_e32 v10, v10, v9, vcc
; %bb.1302:
	s_or_b64 exec, exec, s[2:3]
	s_mov_b32 s2, 0x7f800000
	v_and_b32_e32 v8, 0x7f800000, v6
	v_cmp_ne_u32_e32 vcc, s2, v8
	flat_store_short_d16_hi v[0:1], v10 offset:160
                                        ; implicit-def: $vgpr8
	s_and_saveexec_b64 s[2:3], vcc
	s_xor_b64 s[2:3], exec, s[2:3]
; %bb.1303:
	v_bfe_u32 v8, v6, 16, 1
	s_movk_i32 s4, 0x7fff
	v_add3_u32 v8, v6, v8, s4
; %bb.1304:
	s_andn2_saveexec_b64 s[2:3], s[2:3]
; %bb.1305:
	v_mov_b32_e32 v8, 0
	v_or_b32_e32 v9, 0x10000, v6
	v_cmp_eq_u32_sdwa vcc, v6, v8 src0_sel:WORD_0 src1_sel:DWORD
	s_nop 1
	v_cndmask_b32_e32 v8, v9, v6, vcc
; %bb.1306:
	s_or_b64 exec, exec, s[2:3]
	s_mov_b32 s2, 0x7f800000
	v_and_b32_e32 v6, 0x7f800000, v7
	v_cmp_ne_u32_e32 vcc, s2, v6
	flat_store_short_d16_hi v[0:1], v8 offset:192
                                        ; implicit-def: $vgpr8
	s_and_saveexec_b64 s[2:3], vcc
	s_xor_b64 s[2:3], exec, s[2:3]
; %bb.1307:
	v_bfe_u32 v6, v7, 16, 1
	s_movk_i32 s4, 0x7fff
	v_add3_u32 v8, v7, v6, s4
                                        ; implicit-def: $vgpr6_vgpr7
; %bb.1308:
	s_andn2_saveexec_b64 s[2:3], s[2:3]
; %bb.1309:
	v_mov_b32_e32 v6, 0
	v_or_b32_e32 v8, 0x10000, v7
	v_cmp_eq_u32_sdwa vcc, v7, v6 src0_sel:WORD_0 src1_sel:DWORD
	s_nop 1
	v_cndmask_b32_e32 v8, v8, v7, vcc
; %bb.1310:
	s_or_b64 exec, exec, s[2:3]
	s_mov_b32 s2, 0x7f800000
	v_and_b32_e32 v6, 0x7f800000, v2
	v_cmp_ne_u32_e32 vcc, s2, v6
	flat_store_short_d16_hi v[0:1], v8 offset:224
                                        ; implicit-def: $vgpr6
	s_and_saveexec_b64 s[2:3], vcc
	s_xor_b64 s[2:3], exec, s[2:3]
; %bb.1311:
	v_bfe_u32 v6, v2, 16, 1
	s_movk_i32 s4, 0x7fff
	v_add3_u32 v6, v2, v6, s4
; %bb.1312:
	s_andn2_saveexec_b64 s[2:3], s[2:3]
; %bb.1313:
	v_mov_b32_e32 v6, 0
	v_or_b32_e32 v7, 0x10000, v2
	v_cmp_eq_u32_sdwa vcc, v2, v6 src0_sel:WORD_0 src1_sel:DWORD
	s_nop 1
	v_cndmask_b32_e32 v6, v7, v2, vcc
; %bb.1314:
	s_or_b64 exec, exec, s[2:3]
	s_mov_b32 s2, 0x7f800000
	v_and_b32_e32 v2, 0x7f800000, v3
	v_cmp_ne_u32_e32 vcc, s2, v2
	flat_store_short_d16_hi v[0:1], v6 offset:256
                                        ; implicit-def: $vgpr6
	s_and_saveexec_b64 s[2:3], vcc
	s_xor_b64 s[2:3], exec, s[2:3]
; %bb.1315:
	v_bfe_u32 v2, v3, 16, 1
	s_movk_i32 s4, 0x7fff
	v_add3_u32 v6, v3, v2, s4
                                        ; implicit-def: $vgpr2_vgpr3
; %bb.1316:
	s_andn2_saveexec_b64 s[2:3], s[2:3]
; %bb.1317:
	v_mov_b32_e32 v2, 0
	v_or_b32_e32 v6, 0x10000, v3
	v_cmp_eq_u32_sdwa vcc, v3, v2 src0_sel:WORD_0 src1_sel:DWORD
	s_nop 1
	v_cndmask_b32_e32 v6, v6, v3, vcc
; %bb.1318:
	s_or_b64 exec, exec, s[2:3]
	s_mov_b32 s2, 0x7f800000
	v_and_b32_e32 v2, 0x7f800000, v4
	v_cmp_ne_u32_e32 vcc, s2, v2
	flat_store_short_d16_hi v[0:1], v6 offset:288
                                        ; implicit-def: $vgpr2
	s_and_saveexec_b64 s[2:3], vcc
	s_xor_b64 s[2:3], exec, s[2:3]
; %bb.1319:
	v_bfe_u32 v2, v4, 16, 1
	s_movk_i32 s4, 0x7fff
	v_add3_u32 v2, v4, v2, s4
; %bb.1320:
	s_andn2_saveexec_b64 s[2:3], s[2:3]
; %bb.1321:
	v_mov_b32_e32 v2, 0
	v_or_b32_e32 v3, 0x10000, v4
	v_cmp_eq_u32_sdwa vcc, v4, v2 src0_sel:WORD_0 src1_sel:DWORD
	s_nop 1
	v_cndmask_b32_e32 v2, v3, v4, vcc
; %bb.1322:
	s_or_b64 exec, exec, s[2:3]
	flat_store_short_d16_hi v[0:1], v2 offset:320
	s_mov_b32 s2, 0x7f800000
	v_and_b32_e32 v2, 0x7f800000, v5
	v_cmp_ne_u32_e32 vcc, s2, v2
                                        ; implicit-def: $vgpr2
	s_and_saveexec_b64 s[2:3], vcc
	s_xor_b64 s[2:3], exec, s[2:3]
; %bb.1323:
	v_bfe_u32 v2, v5, 16, 1
	s_movk_i32 s4, 0x7fff
	v_add3_u32 v2, v5, v2, s4
                                        ; implicit-def: $vgpr4_vgpr5
; %bb.1324:
	s_andn2_saveexec_b64 s[2:3], s[2:3]
; %bb.1325:
	v_mov_b32_e32 v2, 0
	v_or_b32_e32 v3, 0x10000, v5
	v_cmp_eq_u32_sdwa vcc, v5, v2 src0_sel:WORD_0 src1_sel:DWORD
	s_nop 1
	v_cndmask_b32_e32 v2, v3, v5, vcc
; %bb.1326:
	s_or_b64 exec, exec, s[2:3]
	flat_store_short_d16_hi v[0:1], v2 offset:352
.LBB336_1327:
	s_or_b64 exec, exec, s[0:1]
	scratch_load_dword a63, off, s32        ; 4-byte Folded Reload
	scratch_load_dword a62, off, s32 offset:4 ; 4-byte Folded Reload
	scratch_load_dword a61, off, s32 offset:8 ; 4-byte Folded Reload
	;; [unrolled: 1-line block ×46, first 2 shown]
	v_readlane_b32 s30, v63, 3
	v_readlane_b32 s31, v63, 4
	;; [unrolled: 1-line block ×5, first 2 shown]
	s_or_saveexec_b64 s[0:1], -1
	scratch_load_dword v63, off, s32 offset:556 ; 4-byte Folded Reload
	s_mov_b64 exec, s[0:1]
	s_waitcnt vmcnt(0) lgkmcnt(0)
	s_setpc_b64 s[30:31]
.LBB336_1328:
	s_ashr_i32 s19, s18, 31
	s_lshl_b64 s[6:7], s[18:19], 2
	s_getpc_b64 s[8:9]
	s_add_u32 s8, s8, llvm.amdgcn.dynlds.offset.table@rel32@lo+4
	s_addc_u32 s9, s9, llvm.amdgcn.dynlds.offset.table@rel32@hi+12
	s_add_u32 s6, s6, s8
	s_addc_u32 s7, s7, s9
	s_load_dword s6, s[6:7], 0x0
	s_waitcnt lgkmcnt(0)
	v_lshl_add_u32 v1, v0, 2, s6
	ds_read_b32 v1, v1
	s_waitcnt lgkmcnt(0)
	v_add_f32_e32 v16, v1, v16
	s_or_b64 exec, exec, s[4:5]
	s_and_saveexec_b64 s[4:5], s[0:1]
	s_cbranch_execz .LBB336_1264
.LBB336_1329:
	s_ashr_i32 s19, s18, 31
	s_lshl_b64 s[6:7], s[18:19], 2
	s_getpc_b64 s[8:9]
	s_add_u32 s8, s8, llvm.amdgcn.dynlds.offset.table@rel32@lo+4
	s_addc_u32 s9, s9, llvm.amdgcn.dynlds.offset.table@rel32@hi+12
	s_add_u32 s6, s6, s8
	s_addc_u32 s7, s7, s9
	s_load_dword s6, s[6:7], 0x0
	s_waitcnt lgkmcnt(0)
	v_lshl_add_u32 v1, v0, 2, s6
	ds_read_b32 v1, v1 offset:64
	s_waitcnt lgkmcnt(0)
	v_add_f32_e32 v17, v1, v17
	s_or_b64 exec, exec, s[4:5]
	s_and_saveexec_b64 s[4:5], s[0:1]
	s_cbranch_execz .LBB336_1265
.LBB336_1330:
	s_ashr_i32 s19, s18, 31
	s_lshl_b64 s[6:7], s[18:19], 2
	s_getpc_b64 s[8:9]
	s_add_u32 s8, s8, llvm.amdgcn.dynlds.offset.table@rel32@lo+4
	s_addc_u32 s9, s9, llvm.amdgcn.dynlds.offset.table@rel32@hi+12
	s_add_u32 s6, s6, s8
	s_addc_u32 s7, s7, s9
	s_load_dword s6, s[6:7], 0x0
	s_waitcnt lgkmcnt(0)
	v_lshl_add_u32 v1, v0, 2, s6
	ds_read_b32 v1, v1 offset:128
	s_waitcnt lgkmcnt(0)
	v_add_f32_e32 v10, v1, v10
	s_or_b64 exec, exec, s[4:5]
	s_and_saveexec_b64 s[4:5], s[0:1]
	s_cbranch_execz .LBB336_1266
.LBB336_1331:
	s_ashr_i32 s19, s18, 31
	s_lshl_b64 s[6:7], s[18:19], 2
	s_getpc_b64 s[8:9]
	s_add_u32 s8, s8, llvm.amdgcn.dynlds.offset.table@rel32@lo+4
	s_addc_u32 s9, s9, llvm.amdgcn.dynlds.offset.table@rel32@hi+12
	s_add_u32 s6, s6, s8
	s_addc_u32 s7, s7, s9
	s_load_dword s6, s[6:7], 0x0
	s_waitcnt lgkmcnt(0)
	v_lshl_add_u32 v1, v0, 2, s6
	ds_read_b32 v1, v1 offset:192
	s_waitcnt lgkmcnt(0)
	v_add_f32_e32 v11, v1, v11
	s_or_b64 exec, exec, s[4:5]
	s_and_saveexec_b64 s[4:5], s[0:1]
	s_cbranch_execz .LBB336_1267
.LBB336_1332:
	s_ashr_i32 s19, s18, 31
	s_lshl_b64 s[6:7], s[18:19], 2
	s_getpc_b64 s[8:9]
	s_add_u32 s8, s8, llvm.amdgcn.dynlds.offset.table@rel32@lo+4
	s_addc_u32 s9, s9, llvm.amdgcn.dynlds.offset.table@rel32@hi+12
	s_add_u32 s6, s6, s8
	s_addc_u32 s7, s7, s9
	s_load_dword s6, s[6:7], 0x0
	s_waitcnt lgkmcnt(0)
	v_lshl_add_u32 v1, v0, 2, s6
	ds_read_b32 v1, v1 offset:256
	s_waitcnt lgkmcnt(0)
	v_add_f32_e32 v8, v1, v8
	s_or_b64 exec, exec, s[4:5]
	s_and_saveexec_b64 s[4:5], s[0:1]
	s_cbranch_execz .LBB336_1268
.LBB336_1333:
	s_ashr_i32 s19, s18, 31
	s_lshl_b64 s[6:7], s[18:19], 2
	s_getpc_b64 s[8:9]
	s_add_u32 s8, s8, llvm.amdgcn.dynlds.offset.table@rel32@lo+4
	s_addc_u32 s9, s9, llvm.amdgcn.dynlds.offset.table@rel32@hi+12
	s_add_u32 s6, s6, s8
	s_addc_u32 s7, s7, s9
	s_load_dword s6, s[6:7], 0x0
	s_waitcnt lgkmcnt(0)
	v_lshl_add_u32 v1, v0, 2, s6
	ds_read_b32 v1, v1 offset:320
	s_waitcnt lgkmcnt(0)
	v_add_f32_e32 v9, v1, v9
	s_or_b64 exec, exec, s[4:5]
	s_and_saveexec_b64 s[4:5], s[0:1]
	s_cbranch_execz .LBB336_1269
.LBB336_1334:
	s_ashr_i32 s19, s18, 31
	s_lshl_b64 s[6:7], s[18:19], 2
	s_getpc_b64 s[8:9]
	s_add_u32 s8, s8, llvm.amdgcn.dynlds.offset.table@rel32@lo+4
	s_addc_u32 s9, s9, llvm.amdgcn.dynlds.offset.table@rel32@hi+12
	s_add_u32 s6, s6, s8
	s_addc_u32 s7, s7, s9
	s_load_dword s6, s[6:7], 0x0
	s_waitcnt lgkmcnt(0)
	v_lshl_add_u32 v1, v0, 2, s6
	ds_read_b32 v1, v1 offset:384
	s_waitcnt lgkmcnt(0)
	v_add_f32_e32 v6, v1, v6
	s_or_b64 exec, exec, s[4:5]
	s_and_saveexec_b64 s[4:5], s[0:1]
	s_cbranch_execz .LBB336_1270
.LBB336_1335:
	s_ashr_i32 s19, s18, 31
	s_lshl_b64 s[6:7], s[18:19], 2
	s_getpc_b64 s[8:9]
	s_add_u32 s8, s8, llvm.amdgcn.dynlds.offset.table@rel32@lo+4
	s_addc_u32 s9, s9, llvm.amdgcn.dynlds.offset.table@rel32@hi+12
	s_add_u32 s6, s6, s8
	s_addc_u32 s7, s7, s9
	s_load_dword s6, s[6:7], 0x0
	s_waitcnt lgkmcnt(0)
	v_lshl_add_u32 v1, v0, 2, s6
	ds_read_b32 v1, v1 offset:448
	s_waitcnt lgkmcnt(0)
	v_add_f32_e32 v7, v1, v7
	s_or_b64 exec, exec, s[4:5]
	s_and_saveexec_b64 s[4:5], s[0:1]
	s_cbranch_execz .LBB336_1271
.LBB336_1336:
	s_ashr_i32 s19, s18, 31
	s_lshl_b64 s[6:7], s[18:19], 2
	s_getpc_b64 s[8:9]
	s_add_u32 s8, s8, llvm.amdgcn.dynlds.offset.table@rel32@lo+4
	s_addc_u32 s9, s9, llvm.amdgcn.dynlds.offset.table@rel32@hi+12
	s_add_u32 s6, s6, s8
	s_addc_u32 s7, s7, s9
	s_load_dword s6, s[6:7], 0x0
	s_waitcnt lgkmcnt(0)
	v_lshl_add_u32 v1, v0, 2, s6
	ds_read_b32 v1, v1 offset:512
	s_waitcnt lgkmcnt(0)
	v_add_f32_e32 v2, v1, v2
	s_or_b64 exec, exec, s[4:5]
	s_and_saveexec_b64 s[4:5], s[0:1]
	s_cbranch_execz .LBB336_1272
.LBB336_1337:
	s_ashr_i32 s19, s18, 31
	s_lshl_b64 s[6:7], s[18:19], 2
	s_getpc_b64 s[8:9]
	s_add_u32 s8, s8, llvm.amdgcn.dynlds.offset.table@rel32@lo+4
	s_addc_u32 s9, s9, llvm.amdgcn.dynlds.offset.table@rel32@hi+12
	s_add_u32 s6, s6, s8
	s_addc_u32 s7, s7, s9
	s_load_dword s6, s[6:7], 0x0
	s_waitcnt lgkmcnt(0)
	v_lshl_add_u32 v1, v0, 2, s6
	ds_read_b32 v1, v1 offset:576
	s_waitcnt lgkmcnt(0)
	v_add_f32_e32 v3, v1, v3
	s_or_b64 exec, exec, s[4:5]
	s_and_saveexec_b64 s[4:5], s[0:1]
	s_cbranch_execz .LBB336_1273
.LBB336_1338:
	s_ashr_i32 s19, s18, 31
	s_lshl_b64 s[6:7], s[18:19], 2
	s_getpc_b64 s[8:9]
	s_add_u32 s8, s8, llvm.amdgcn.dynlds.offset.table@rel32@lo+4
	s_addc_u32 s9, s9, llvm.amdgcn.dynlds.offset.table@rel32@hi+12
	s_add_u32 s6, s6, s8
	s_addc_u32 s7, s7, s9
	s_load_dword s6, s[6:7], 0x0
	s_waitcnt lgkmcnt(0)
	v_lshl_add_u32 v1, v0, 2, s6
	ds_read_b32 v1, v1 offset:640
	s_waitcnt lgkmcnt(0)
	v_add_f32_e32 v4, v1, v4
	s_or_b64 exec, exec, s[4:5]
	s_and_saveexec_b64 s[4:5], s[0:1]
	s_cbranch_execnz .LBB336_1274
	s_branch .LBB336_1275
.Lfunc_end336:
	.size	_ZN4vllm22paged_attention_kernelI14__hip_bfloat16hLi192ELi32ELi128ELNS_18Fp8KVCacheDataTypeE1ELb1ELi0EEEvPfS3_PT_PKS4_PKT0_SA_ifPKiSC_iPKfiiiSE_SE_iiiii, .Lfunc_end336-_ZN4vllm22paged_attention_kernelI14__hip_bfloat16hLi192ELi32ELi128ELNS_18Fp8KVCacheDataTypeE1ELb1ELi0EEEvPfS3_PT_PKS4_PKT0_SA_ifPKiSC_iPKfiiiSE_SE_iiiii
                                        ; -- End function
	.section	.AMDGPU.csdata,"",@progbits
; Function info:
; codeLenInByte = 46628
; NumSgprs: 44
; NumVgprs: 64
; NumAgprs: 64
; TotalNumVgprs: 128
; ScratchSize: 564
; MemoryBound: 0
	.section	.text._ZN4vllm25paged_attention_v1_kernelI14__hip_bfloat16hLi192ELi32ELi128ELNS_18Fp8KVCacheDataTypeE1ELb1EEEvPT_PKS3_PKT0_S9_ifPKiSB_iPKfiiiSD_SD_iiiii,"axG",@progbits,_ZN4vllm25paged_attention_v1_kernelI14__hip_bfloat16hLi192ELi32ELi128ELNS_18Fp8KVCacheDataTypeE1ELb1EEEvPT_PKS3_PKT0_S9_ifPKiSB_iPKfiiiSD_SD_iiiii,comdat
	.protected	_ZN4vllm25paged_attention_v1_kernelI14__hip_bfloat16hLi192ELi32ELi128ELNS_18Fp8KVCacheDataTypeE1ELb1EEEvPT_PKS3_PKT0_S9_ifPKiSB_iPKfiiiSD_SD_iiiii ; -- Begin function _ZN4vllm25paged_attention_v1_kernelI14__hip_bfloat16hLi192ELi32ELi128ELNS_18Fp8KVCacheDataTypeE1ELb1EEEvPT_PKS3_PKT0_S9_ifPKiSB_iPKfiiiSD_SD_iiiii
	.globl	_ZN4vllm25paged_attention_v1_kernelI14__hip_bfloat16hLi192ELi32ELi128ELNS_18Fp8KVCacheDataTypeE1ELb1EEEvPT_PKS3_PKT0_S9_ifPKiSB_iPKfiiiSD_SD_iiiii
	.p2align	8
	.type	_ZN4vllm25paged_attention_v1_kernelI14__hip_bfloat16hLi192ELi32ELi128ELNS_18Fp8KVCacheDataTypeE1ELb1EEEvPT_PKS3_PKT0_S9_ifPKiSB_iPKfiiiSD_SD_iiiii,@function
_ZN4vllm25paged_attention_v1_kernelI14__hip_bfloat16hLi192ELi32ELi128ELNS_18Fp8KVCacheDataTypeE1ELb1EEEvPT_PKS3_PKT0_S9_ifPKiSB_iPKfiiiSD_SD_iiiii: ; @_ZN4vllm25paged_attention_v1_kernelI14__hip_bfloat16hLi192ELi32ELi128ELNS_18Fp8KVCacheDataTypeE1ELb1EEEvPT_PKS3_PKT0_S9_ifPKiSB_iPKfiiiSD_SD_iiiii
; %bb.0:
	s_load_dwordx8 s[16:23], s[0:1], 0x0
	s_load_dwordx4 s[36:39], s[0:1], 0x20
	s_load_dwordx2 s[6:7], s[0:1], 0x30
	s_load_dword s5, s[0:1], 0x38
	s_load_dwordx2 s[10:11], s[0:1], 0x40
	s_load_dwordx8 s[24:31], s[0:1], 0x48
	s_waitcnt lgkmcnt(0)
	s_load_dword s27, s[0:1], 0x78
	s_load_dwordx4 s[40:43], s[0:1], 0x68
	s_add_u32 s8, s0, 0x80
	s_addc_u32 s9, s1, 0
	s_mov_b32 s12, s2
	s_mov_b32 s13, s3
	;; [unrolled: 1-line block ×4, first 2 shown]
	v_mov_b32_e32 v31, v0
	v_mov_b32_e32 v0, s16
	;; [unrolled: 1-line block ×25, first 2 shown]
	s_waitcnt lgkmcnt(0)
	v_mov_b32_e32 v24, s40
	v_mov_b32_e32 v25, s41
	;; [unrolled: 1-line block ×5, first 2 shown]
	s_mov_b32 s32, 0
	s_getpc_b64 s[0:1]
	s_add_u32 s0, s0, _ZN4vllm22paged_attention_kernelI14__hip_bfloat16hLi192ELi32ELi128ELNS_18Fp8KVCacheDataTypeE1ELb1ELi0EEEvPfS3_PT_PKS4_PKT0_SA_ifPKiSC_iPKfiiiSE_SE_iiiii@rel32@lo+4
	s_addc_u32 s1, s1, _ZN4vllm22paged_attention_kernelI14__hip_bfloat16hLi192ELi32ELi128ELNS_18Fp8KVCacheDataTypeE1ELb1ELi0EEEvPfS3_PT_PKS4_PKT0_SA_ifPKiSC_iPKfiiiSE_SE_iiiii@rel32@hi+12
	s_swappc_b64 s[30:31], s[0:1]
	s_endpgm
	.section	.rodata,"a",@progbits
	.p2align	6, 0x0
	.amdhsa_kernel _ZN4vllm25paged_attention_v1_kernelI14__hip_bfloat16hLi192ELi32ELi128ELNS_18Fp8KVCacheDataTypeE1ELb1EEEvPT_PKS3_PKT0_S9_ifPKiSB_iPKfiiiSD_SD_iiiii
		.amdhsa_group_segment_fixed_size 400
		.amdhsa_private_segment_fixed_size 564
		.amdhsa_kernarg_size 384
		.amdhsa_user_sgpr_count 2
		.amdhsa_user_sgpr_dispatch_ptr 0
		.amdhsa_user_sgpr_queue_ptr 0
		.amdhsa_user_sgpr_kernarg_segment_ptr 1
		.amdhsa_user_sgpr_dispatch_id 0
		.amdhsa_user_sgpr_kernarg_preload_length 0
		.amdhsa_user_sgpr_kernarg_preload_offset 0
		.amdhsa_user_sgpr_private_segment_size 0
		.amdhsa_uses_dynamic_stack 0
		.amdhsa_enable_private_segment 1
		.amdhsa_system_sgpr_workgroup_id_x 1
		.amdhsa_system_sgpr_workgroup_id_y 1
		.amdhsa_system_sgpr_workgroup_id_z 1
		.amdhsa_system_sgpr_workgroup_info 0
		.amdhsa_system_vgpr_workitem_id 0
		.amdhsa_next_free_vgpr 128
		.amdhsa_next_free_sgpr 44
		.amdhsa_accum_offset 64
		.amdhsa_reserve_vcc 1
		.amdhsa_float_round_mode_32 0
		.amdhsa_float_round_mode_16_64 0
		.amdhsa_float_denorm_mode_32 3
		.amdhsa_float_denorm_mode_16_64 3
		.amdhsa_dx10_clamp 1
		.amdhsa_ieee_mode 1
		.amdhsa_fp16_overflow 0
		.amdhsa_tg_split 0
		.amdhsa_exception_fp_ieee_invalid_op 0
		.amdhsa_exception_fp_denorm_src 0
		.amdhsa_exception_fp_ieee_div_zero 0
		.amdhsa_exception_fp_ieee_overflow 0
		.amdhsa_exception_fp_ieee_underflow 0
		.amdhsa_exception_fp_ieee_inexact 0
		.amdhsa_exception_int_div_zero 0
	.end_amdhsa_kernel
	.section	.text._ZN4vllm25paged_attention_v1_kernelI14__hip_bfloat16hLi192ELi32ELi128ELNS_18Fp8KVCacheDataTypeE1ELb1EEEvPT_PKS3_PKT0_S9_ifPKiSB_iPKfiiiSD_SD_iiiii,"axG",@progbits,_ZN4vllm25paged_attention_v1_kernelI14__hip_bfloat16hLi192ELi32ELi128ELNS_18Fp8KVCacheDataTypeE1ELb1EEEvPT_PKS3_PKT0_S9_ifPKiSB_iPKfiiiSD_SD_iiiii,comdat
.Lfunc_end337:
	.size	_ZN4vllm25paged_attention_v1_kernelI14__hip_bfloat16hLi192ELi32ELi128ELNS_18Fp8KVCacheDataTypeE1ELb1EEEvPT_PKS3_PKT0_S9_ifPKiSB_iPKfiiiSD_SD_iiiii, .Lfunc_end337-_ZN4vllm25paged_attention_v1_kernelI14__hip_bfloat16hLi192ELi32ELi128ELNS_18Fp8KVCacheDataTypeE1ELb1EEEvPT_PKS3_PKT0_S9_ifPKiSB_iPKfiiiSD_SD_iiiii
                                        ; -- End function
	.section	.AMDGPU.csdata,"",@progbits
; Kernel info:
; codeLenInByte = 252
; NumSgprs: 50
; NumVgprs: 64
; NumAgprs: 64
; TotalNumVgprs: 128
; ScratchSize: 564
; MemoryBound: 0
; FloatMode: 240
; IeeeMode: 1
; LDSByteSize: 400 bytes/workgroup (compile time only)
; SGPRBlocks: 6
; VGPRBlocks: 15
; NumSGPRsForWavesPerEU: 50
; NumVGPRsForWavesPerEU: 128
; AccumOffset: 64
; Occupancy: 4
; WaveLimiterHint : 1
; COMPUTE_PGM_RSRC2:SCRATCH_EN: 1
; COMPUTE_PGM_RSRC2:USER_SGPR: 2
; COMPUTE_PGM_RSRC2:TRAP_HANDLER: 0
; COMPUTE_PGM_RSRC2:TGID_X_EN: 1
; COMPUTE_PGM_RSRC2:TGID_Y_EN: 1
; COMPUTE_PGM_RSRC2:TGID_Z_EN: 1
; COMPUTE_PGM_RSRC2:TIDIG_COMP_CNT: 0
; COMPUTE_PGM_RSRC3_GFX90A:ACCUM_OFFSET: 15
; COMPUTE_PGM_RSRC3_GFX90A:TG_SPLIT: 0
	.text
	.p2align	2                               ; -- Begin function _ZN4vllm22paged_attention_kernelI14__hip_bfloat16hLi256ELi32ELi128ELNS_18Fp8KVCacheDataTypeE1ELb1ELi0EEEvPfS3_PT_PKS4_PKT0_SA_ifPKiSC_iPKfiiiSE_SE_iiiii
	.type	_ZN4vllm22paged_attention_kernelI14__hip_bfloat16hLi256ELi32ELi128ELNS_18Fp8KVCacheDataTypeE1ELb1ELi0EEEvPfS3_PT_PKS4_PKT0_SA_ifPKiSC_iPKfiiiSE_SE_iiiii,@function
_ZN4vllm22paged_attention_kernelI14__hip_bfloat16hLi256ELi32ELi128ELNS_18Fp8KVCacheDataTypeE1ELb1ELi0EEEvPfS3_PT_PKS4_PKT0_SA_ifPKiSC_iPKfiiiSE_SE_iiiii: ; @_ZN4vllm22paged_attention_kernelI14__hip_bfloat16hLi256ELi32ELi128ELNS_18Fp8KVCacheDataTypeE1ELb1ELi0EEEvPfS3_PT_PKS4_PKT0_SA_ifPKiSC_iPKfiiiSE_SE_iiiii
; %bb.0:
	s_waitcnt vmcnt(0) expcnt(0) lgkmcnt(0)
	s_or_saveexec_b64 s[0:1], -1
	scratch_store_dword off, v63, s32 offset:940 ; 4-byte Folded Spill
	s_mov_b64 exec, s[0:1]
	scratch_store_dword off, v40, s32 offset:184 ; 4-byte Folded Spill
	scratch_store_dword off, v41, s32 offset:180 ; 4-byte Folded Spill
	;; [unrolled: 1-line block ×46, first 2 shown]
	scratch_store_dword off, a63, s32       ; 4-byte Folded Spill
	v_writelane_b32 v63, s34, 0
	v_writelane_b32 v63, s35, 1
	;; [unrolled: 1-line block ×16, first 2 shown]
	s_nop 1
	v_writelane_b32 v63, s31, 16
	s_mov_b32 s16, s13
	s_ashr_i32 s17, s13, 31
	scratch_store_dword off, v26, s32 offset:876 ; 4-byte Folded Spill
	scratch_store_dwordx2 off, v[22:23], s32 offset:828 ; 8-byte Folded Spill
	scratch_store_dwordx2 off, v[20:21], s32 offset:840 ; 8-byte Folded Spill
	;; [unrolled: 1-line block ×4, first 2 shown]
	scratch_store_dword off, v9, s32 offset:864 ; 4-byte Folded Spill
	scratch_store_dwordx2 off, v[6:7], s32 offset:924 ; 8-byte Folded Spill
	scratch_store_dwordx2 off, v[0:1], s32 offset:932 ; 8-byte Folded Spill
	v_lshl_add_u64 v[0:1], s[16:17], 2, v[12:13]
	flat_load_dword v0, v[0:1]
	s_mov_b32 s20, s15
	v_mov_b32_e32 v33, v16
	v_mov_b32_e32 v32, v15
	s_waitcnt vmcnt(0) lgkmcnt(0)
	scratch_store_dword off, v0, s32 offset:188 ; 4-byte Folded Spill
	v_sub_u32_e32 v0, 0, v8
	v_max_i32_e32 v0, v8, v0
	v_cvt_f32_u32_e32 v1, v0
	s_load_dword s0, s[8:9], 0x10
	s_load_dword s2, s[8:9], 0x0
	v_sub_u32_e32 v7, 0, v0
	v_rcp_iflag_f32_e32 v1, v1
	s_waitcnt lgkmcnt(0)
	s_lshr_b32 s0, s0, 16
	s_cmp_lg_u32 s0, 0
	s_cselect_b64 s[0:1], -1, 0
	v_mul_f32_e32 v1, 0x4f7ffffe, v1
	v_cvt_u32_f32_e32 v1, v1
	s_cmp_lg_u64 s[0:1], 0
	s_addc_u32 s15, s2, 0
	s_abs_i32 s0, s15
	v_mul_lo_u32 v7, v7, v1
	v_mul_hi_u32 v7, v1, v7
	v_add_u32_e32 v1, v1, v7
	v_mul_hi_u32 v1, s0, v1
	v_mul_lo_u32 v7, v1, v0
	v_sub_u32_e32 v7, s0, v7
	v_add_u32_e32 v10, 1, v1
	v_cmp_ge_u32_e32 vcc, v7, v0
	v_xor_b32_e32 v6, s15, v8
	v_ashrrev_i32_e32 v6, 31, v6
	v_cndmask_b32_e32 v1, v1, v10, vcc
	v_sub_u32_e32 v10, v7, v0
	v_cndmask_b32_e32 v7, v7, v10, vcc
	v_add_u32_e32 v10, 1, v1
	v_cmp_ge_u32_e32 vcc, v7, v0
	s_abs_i32 s6, s12
	s_nop 0
	v_cndmask_b32_e32 v0, v1, v10, vcc
	v_xor_b32_e32 v0, v0, v6
	v_sub_u32_e32 v0, v0, v6
	v_sub_u32_e32 v1, 0, v0
	v_max_i32_e32 v1, v0, v1
	v_cvt_f32_u32_e32 v6, v1
	v_sub_u32_e32 v7, 0, v1
	v_cmp_ne_u64_e32 vcc, 0, v[32:33]
	v_rcp_iflag_f32_e32 v6, v6
	s_nop 0
	v_mul_f32_e32 v6, 0x4f7ffffe, v6
	v_cvt_u32_f32_e32 v6, v6
	v_mul_lo_u32 v7, v7, v6
	v_mul_hi_u32 v7, v6, v7
	v_add_u32_e32 v6, v6, v7
	v_mad_u64_u32 v[12:13], s[0:1], s6, v6, 0
	v_mov_b32_e32 v6, 0
	scratch_store_dword off, v6, s32 offset:860 ; 4-byte Folded Spill
	s_and_saveexec_b64 s[0:1], vcc
	s_cbranch_execz .LBB338_2
; %bb.1:
	s_ashr_i32 s13, s12, 31
	v_lshl_add_u64 v[6:7], s[12:13], 2, v[32:33]
	flat_load_dword v6, v[6:7]
	s_waitcnt vmcnt(0) lgkmcnt(0)
	scratch_store_dword off, v6, s32 offset:860 ; 4-byte Folded Spill
.LBB338_2:
	s_or_b64 exec, exec, s[0:1]
	v_and_b32_e32 v7, 0x3ff, v31
	s_ashr_i32 s7, s12, 31
	v_ashrrev_i32_e32 v6, 31, v0
	v_and_b32_e32 v0, 1, v7
	s_lshl_b32 s18, s12, 8
	v_cmp_lt_u32_e64 s[2:3], 63, v7
	v_cmp_gt_u32_e64 s[0:1], 64, v7
	v_lshlrev_b32_e32 v10, 3, v7
	scratch_store_dword off, v7, s32 offset:824 ; 4-byte Folded Spill
	scratch_store_dwordx2 off, v[10:11], s32 offset:880 ; 8-byte Folded Spill
	s_and_saveexec_b64 s[4:5], s[0:1]
	s_cbranch_execz .LBB338_4
; %bb.3:
	v_mul_lo_u32 v10, s16, v17
	v_ashrrev_i32_e32 v11, 31, v10
	v_lshl_add_u64 v[2:3], v[10:11], 1, v[2:3]
	scratch_load_dwordx2 v[10:11], off, s32 offset:880 ; 8-byte Folded Reload
	s_ashr_i32 s19, s18, 31
	v_lshl_add_u64 v[2:3], s[18:19], 1, v[2:3]
	s_waitcnt vmcnt(0)
	v_mov_b32_e32 v11, 0
	v_mov_b32_e32 v12, v10
	scratch_store_dwordx2 off, v[12:13], s32 offset:880 ; 8-byte Folded Spill
	v_lshl_add_u64 v[2:3], v[2:3], 0, v[10:11]
	flat_load_dwordx2 v[2:3], v[2:3]
	s_nop 0
	scratch_load_dword v7, off, s32 offset:824 ; 4-byte Folded Reload
	s_waitcnt vmcnt(0)
	v_lshlrev_b32_e32 v7, 2, v7
	v_and_b32_e32 v7, 0xff8, v7
	v_lshl_add_u32 v7, v0, 8, v7
	s_waitcnt lgkmcnt(0)
	ds_write_b64 v7, v[2:3]
.LBB338_4:
	s_or_b64 exec, exec, s[4:5]
	v_mul_lo_u32 v3, v13, v1
	v_sub_u32_e32 v3, s6, v3
	v_xor_b32_e32 v2, s7, v6
	v_add_u32_e32 v6, 1, v13
	v_cmp_ge_u32_e32 vcc, v3, v1
	v_sub_u32_e32 v7, v3, v1
	s_waitcnt lgkmcnt(0)
	v_cndmask_b32_e32 v6, v13, v6, vcc
	v_cndmask_b32_e32 v3, v3, v7, vcc
	v_add_u32_e32 v7, 1, v6
	v_cmp_ge_u32_e32 vcc, v3, v1
	v_sub_u32_e32 v3, 0, v27
	s_barrier
	v_cndmask_b32_e32 v1, v6, v7, vcc
	v_max_i32_e32 v7, v27, v3
	v_cvt_f32_u32_e32 v3, v7
	v_xor_b32_e32 v1, v1, v2
	v_sub_u32_e32 v2, v1, v2
	v_rcp_iflag_f32_e32 v1, v3
	scratch_load_dword v3, off, s32 offset:188 ; 4-byte Folded Reload
	v_cmp_gt_i32_e32 vcc, 0, v28
	scratch_store_dword off, v7, s32 offset:216 ; 4-byte Folded Spill
	v_mul_f32_e32 v1, 0x4f7ffffe, v1
	v_cvt_u32_f32_e32 v6, v1
	v_sub_u32_e32 v7, 0, v7
	v_mul_lo_u32 v7, v7, v6
	v_mul_hi_u32 v7, v6, v7
	v_add_u32_e32 v6, v6, v7
	scratch_store_dword off, v6, s32 offset:232 ; 4-byte Folded Spill
	s_waitcnt vmcnt(2)
	v_add_u32_e32 v3, -1, v3
	v_sub_u32_e32 v1, 0, v3
	v_max_i32_e32 v1, v3, v1
	v_mad_u64_u32 v[12:13], s[4:5], v1, v6, 0
                                        ; implicit-def: $vgpr6
	scratch_store_dwordx2 off, v[6:7], s32 offset:224 ; 8-byte Folded Spill
	s_and_saveexec_b64 s[4:5], vcc
	s_xor_b64 s[4:5], exec, s[4:5]
	s_cbranch_execz .LBB338_6
; %bb.5:
	v_mad_u64_u32 v[6:7], s[6:7], v24, v8, v[2:3]
	v_mul_lo_u32 v6, v6, v28
	v_sub_u32_e32 v6, 1, v6
	scratch_store_dwordx2 off, v[6:7], s32 offset:224 ; 8-byte Folded Spill
                                        ; implicit-def: $vgpr24
                                        ; implicit-def: $vgpr28
.LBB338_6:
	s_or_saveexec_b64 s[4:5], s[4:5]
	v_ashrrev_i32_e32 v3, 31, v3
	v_ashrrev_i32_e32 v6, 31, v27
	scratch_store_dword off, v6, s32 offset:220 ; 4-byte Folded Spill
	s_xor_b64 exec, exec, s[4:5]
	s_cbranch_execz .LBB338_8
; %bb.7:
	v_mul_lo_u32 v6, s15, v24
	v_add_u32_e32 v6, s12, v6
	v_mad_u64_u32 v[6:7], s[6:7], v6, v28, 1
	scratch_store_dwordx2 off, v[6:7], s32 offset:224 ; 8-byte Folded Spill
.LBB338_8:
	s_or_b64 exec, exec, s[4:5]
	v_mul_lo_u32 v6, s16, v14
	v_ashrrev_i32_e32 v7, 31, v6
	s_load_dword s19, s[8:9], 0x14
	s_load_dword s17, s[8:9], 0x8
	scratch_store_dwordx2 off, v[6:7], s32 offset:888 ; 8-byte Folded Spill
	scratch_load_dword v6, off, s32 offset:220 ; 4-byte Folded Reload
	v_mul_lo_u32 v10, v2, v19
	scratch_load_dword v8, off, s32 offset:216 ; 4-byte Folded Reload
	v_ashrrev_i32_e32 v11, 31, v10
	scratch_store_dwordx2 off, v[10:11], s32 offset:904 ; 8-byte Folded Spill
	v_mov_b32_e32 v9, 0xff7fffff
	v_mbcnt_lo_u32_b32 v2, -1, 0
	s_waitcnt vmcnt(2)
	v_xor_b32_e32 v3, v3, v6
	s_waitcnt vmcnt(1)
	v_mul_lo_u32 v6, v13, v8
	v_sub_u32_e32 v1, v1, v6
	v_add_u32_e32 v6, 1, v13
	v_cmp_ge_u32_e32 vcc, v1, v8
	v_sub_u32_e32 v7, v1, v8
	s_nop 0
	v_cndmask_b32_e32 v6, v13, v6, vcc
	v_cndmask_b32_e32 v1, v1, v7, vcc
	v_add_u32_e32 v7, 1, v6
	v_cmp_ge_u32_e32 vcc, v1, v8
	s_nop 1
	v_cndmask_b32_e32 v1, v6, v7, vcc
	v_xor_b32_e32 v1, v1, v3
	v_sub_u32_e32 v1, v1, v3
	scratch_load_dword v3, off, s32 offset:188 ; 4-byte Folded Reload
	v_sub_u32_e32 v1, v1, v25
	scratch_store_dword off, v1, s32 offset:236 ; 4-byte Folded Spill
	scratch_load_dword v1, off, s32 offset:876 ; 4-byte Folded Reload
	s_waitcnt vmcnt(2)
	v_add_u32_e32 v3, 31, v3
	v_ashrrev_i32_e32 v6, 31, v3
	v_lshrrev_b32_e32 v6, 27, v6
	v_add_u32_e32 v3, v3, v6
	v_ashrrev_i32_e32 v6, 5, v3
	scratch_load_dword v3, off, s32 offset:824 ; 4-byte Folded Reload
	s_waitcnt vmcnt(1)
	v_sub_u32_e32 v1, 0, v1
	scratch_store_dword off, v6, s32 offset:212 ; 4-byte Folded Spill
	s_waitcnt vmcnt(1)
	v_lshrrev_b32_e32 v7, 6, v3
	scratch_store_dword off, v1, s32 offset:900 ; 4-byte Folded Spill
	scratch_store_dword off, v7, s32 offset:192 ; 4-byte Folded Spill
	v_lshlrev_b32_e32 v1, 5, v7
	v_cmp_lt_i32_e64 s[4:5], v7, v6
	scratch_store_dword off, v1, s32 offset:920 ; 4-byte Folded Spill
	v_lshrrev_b32_e32 v1, 4, v3
	scratch_store_dword off, v1, s32 offset:896 ; 4-byte Folded Spill
	s_and_saveexec_b64 s[12:13], s[4:5]
	s_cbranch_execz .LBB338_530
; %bb.9:
	v_mov_b32_e32 v6, v2
	scratch_load_dword v2, off, s32 offset:900 ; 4-byte Folded Reload
	scratch_load_dword v1, off, s32 offset:876 ; 4-byte Folded Reload
	v_cmp_eq_u32_e64 s[6:7], 0, v0
	v_lshlrev_b32_e32 v26, 8, v0
	s_ashr_i32 s21, s20, 31
	s_lshl_b64 s[10:11], s[20:21], 2
	s_getpc_b64 s[22:23]
	s_add_u32 s22, s22, llvm.amdgcn.dynlds.offset.table@rel32@lo+4
	s_addc_u32 s23, s23, llvm.amdgcn.dynlds.offset.table@rel32@hi+12
	s_add_u32 s22, s10, s22
	s_addc_u32 s23, s11, s23
	s_mov_b64 s[24:25], 0
	s_mov_b32 s21, 0x7f800000
	s_movk_i32 s46, 0x7fff
	s_mov_b64 s[26:27], 0x1000
	s_mov_b64 s[28:29], 0x1200
	;; [unrolled: 1-line block ×8, first 2 shown]
	s_waitcnt vmcnt(0)
	v_max_i32_e32 v7, v1, v2
	scratch_load_dword v2, off, s32 offset:824 ; 4-byte Folded Reload
	v_cvt_f32_u32_e32 v1, v7
	scratch_store_dword off, v7, s32 offset:256 ; 4-byte Folded Spill
	v_rcp_iflag_f32_e32 v1, v1
	s_nop 0
	v_mul_f32_e32 v1, 0x4f7ffffe, v1
	v_cvt_u32_f32_e32 v1, v1
	s_waitcnt vmcnt(1)
	v_bfe_u32 v8, v2, 1, 5
	scratch_load_dwordx2 v[2:3], off, s32 offset:904 ; 8-byte Folded Reload
	s_waitcnt vmcnt(0)
	v_lshl_add_u64 v[2:3], v[4:5], 0, v[2:3]
	v_lshlrev_b32_e32 v4, 4, v8
	v_mov_b32_e32 v5, 0
	v_lshl_add_u64 v[2:3], v[2:3], 0, v[4:5]
	v_lshlrev_b32_e32 v4, 2, v0
	scratch_load_dword v0, off, s32 offset:860 ; 4-byte Folded Reload
	v_accvgpr_write_b32 a23, v5
	scratch_store_dwordx2 off, v[2:3], s32 offset:852 ; 8-byte Folded Spill
	scratch_load_dword v2, off, s32 offset:192 ; 4-byte Folded Reload
	v_accvgpr_write_b32 a22, v4
	s_waitcnt vmcnt(2)
	v_cmp_neq_f32_e64 s[8:9], 0, v0
	v_sub_u32_e32 v0, 0, v7
	v_mul_lo_u32 v0, v0, v1
	v_mul_hi_u32 v0, v1, v0
	v_add_u32_e32 v0, v1, v0
	scratch_store_dwordx2 off, v[0:1], s32 offset:264 ; 8-byte Folded Spill
	scratch_load_dword v0, off, s32 offset:188 ; 4-byte Folded Reload
	v_mov_b32_e32 v1, v5
	s_waitcnt vmcnt(2)
	v_lshlrev_b32_e32 v3, 5, v2
	s_waitcnt vmcnt(0)
	v_sub_u32_e32 v0, v8, v0
	v_add_u32_e32 v0, 1, v0
	scratch_store_dword off, v0, s32 offset:868 ; 4-byte Folded Spill
	scratch_store_dword off, v8, s32 offset:872 ; 4-byte Folded Spill
	v_lshlrev_b32_e32 v0, 2, v8
	v_lshl_or_b32 v0, v2, 7, v0
	v_accvgpr_write_b32 a61, v0
	scratch_load_dword v0, off, s32 offset:896 ; 4-byte Folded Reload
	scratch_load_dwordx2 v[4:5], off, s32 offset:888 ; 8-byte Folded Reload
	s_waitcnt vmcnt(1)
	v_and_b32_e32 v0, 60, v0
	s_waitcnt vmcnt(0)
	v_lshl_add_u64 v[0:1], v[4:5], 2, v[0:1]
	scratch_load_dwordx2 v[4:5], off, s32 offset:912 ; 8-byte Folded Reload
	s_waitcnt vmcnt(0)
	v_lshl_add_u64 v[0:1], v[4:5], 0, v[0:1]
	scratch_store_dwordx2 off, v[0:1], s32 offset:196 ; 8-byte Folded Spill
	v_mbcnt_hi_u32_b32 v0, -1, v6
	v_mov_b32_e32 v1, v3
	scratch_store_dword off, v0, s32 offset:848 ; 4-byte Folded Spill
	v_mov_b32_e32 v0, 0xff7fffff
	v_mov_b32_e32 v4, v2
	scratch_store_dword off, v0, s32 offset:836 ; 4-byte Folded Spill
	s_branch .LBB338_12
.LBB338_10:                             ;   in Loop: Header=BB338_12 Depth=1
	s_or_b64 exec, exec, s[44:45]
.LBB338_11:                             ;   in Loop: Header=BB338_12 Depth=1
	s_or_b64 exec, exec, s[10:11]
	v_accvgpr_read_b32 v0, a61
	s_waitcnt lgkmcnt(0)
	scratch_load_dword v1, off, s32 offset:204 ; 4-byte Folded Reload
	scratch_load_dword v4, off, s32 offset:240 ; 4-byte Folded Reload
	v_add_u32_e32 v0, 0x100, v0
	v_accvgpr_write_b32 a61, v0
	scratch_load_dword v0, off, s32 offset:212 ; 4-byte Folded Reload
	scratch_load_dwordx2 v[2:3], off, s32 offset:196 ; 8-byte Folded Reload
	s_waitcnt vmcnt(3)
	v_add_u32_e32 v1, 64, v1
	s_waitcnt vmcnt(2)
	v_add_u32_e32 v4, 2, v4
	s_waitcnt vmcnt(1)
	v_cmp_ge_i32_e32 vcc, v4, v0
	s_or_b64 s[24:25], vcc, s[24:25]
	s_waitcnt vmcnt(0)
	v_lshl_add_u64 v[2:3], v[2:3], 0, 8
	scratch_store_dwordx2 off, v[2:3], s32 offset:196 ; 8-byte Folded Spill
	s_andn2_b64 exec, exec, s[24:25]
	s_cbranch_execz .LBB338_529
.LBB338_12:                             ; =>This Inner Loop Header: Depth=1
	scratch_load_dword v0, off, s32 offset:232 ; 4-byte Folded Reload
	scratch_load_dword v3, off, s32 offset:216 ; 4-byte Folded Reload
	v_mov_b32_e32 v2, v1
	scratch_store_dword off, v2, s32 offset:204 ; 4-byte Folded Spill
	scratch_store_dword off, v4, s32 offset:240 ; 4-byte Folded Spill
	scratch_load_dwordx2 v[4:5], off, s32 offset:264 ; 8-byte Folded Reload
	s_waitcnt vmcnt(4)
	v_mul_hi_u32 v0, v1, v0
	s_waitcnt vmcnt(3)
	v_mul_lo_u32 v1, v0, v3
	v_sub_u32_e32 v1, v2, v1
	v_add_u32_e32 v2, 1, v0
	v_cmp_ge_u32_e32 vcc, v1, v3
	s_nop 1
	v_cndmask_b32_e32 v0, v0, v2, vcc
	v_sub_u32_e32 v2, v1, v3
	v_cndmask_b32_e32 v1, v1, v2, vcc
	v_cmp_ge_u32_e32 vcc, v1, v3
	scratch_load_dword v1, off, s32 offset:220 ; 4-byte Folded Reload
	v_add_u32_e32 v2, 1, v0
	v_cndmask_b32_e32 v0, v0, v2, vcc
	scratch_load_dwordx2 v[2:3], off, s32 offset:224 ; 8-byte Folded Reload
	s_waitcnt vmcnt(1)
	v_xor_b32_e32 v0, v0, v1
	v_sub_u32_e32 v0, v0, v1
	s_waitcnt vmcnt(0)
	v_add_u32_e32 v1, v0, v2
	v_sub_u32_e32 v3, 0, v1
	v_ashrrev_i32_e32 v2, 31, v1
	v_max_i32_e32 v1, v1, v3
	v_mul_hi_u32 v3, v1, v4
	scratch_load_dword v4, off, s32 offset:256 ; 4-byte Folded Reload
	s_waitcnt vmcnt(0)
	v_mul_lo_u32 v3, v3, v4
	v_sub_u32_e32 v1, v1, v3
	v_sub_u32_e32 v3, v1, v4
	v_cmp_ge_u32_e32 vcc, v1, v4
	s_nop 1
	v_cndmask_b32_e32 v1, v1, v3, vcc
	v_sub_u32_e32 v3, v1, v4
	v_cmp_ge_u32_e32 vcc, v1, v4
	s_nop 1
	v_cndmask_b32_e32 v1, v1, v3, vcc
	v_xor_b32_e32 v1, v1, v2
	v_sub_u32_e32 v1, v1, v2
	v_cmp_ne_u32_e32 vcc, 0, v1
	scratch_load_dword v1, off, s32 offset:236 ; 4-byte Folded Reload
	s_waitcnt vmcnt(0)
	v_cmp_le_i32_e64 s[10:11], v0, v1
	s_and_b64 s[10:11], vcc, s[10:11]
	s_and_b64 s[44:45], s[6:7], s[10:11]
	s_and_saveexec_b64 vcc, s[44:45]
	s_cbranch_execz .LBB338_14
; %bb.13:                               ;   in Loop: Header=BB338_12 Depth=1
	s_load_dword s44, s[22:23], 0x0
	v_accvgpr_read_b32 v0, a61
	v_mov_b32_e32 v1, 0xff7fffff
	s_waitcnt lgkmcnt(0)
	v_add_u32_e32 v0, s44, v0
	ds_write_b32 v0, v1
.LBB338_14:                             ;   in Loop: Header=BB338_12 Depth=1
	s_or_b64 exec, exec, vcc
	s_xor_b64 vcc, s[10:11], -1
	s_and_saveexec_b64 s[10:11], vcc
	s_cbranch_execz .LBB338_11
; %bb.15:                               ;   in Loop: Header=BB338_12 Depth=1
	scratch_load_dwordx2 v[0:1], off, s32 offset:196 ; 8-byte Folded Reload
	s_waitcnt vmcnt(0)
	flat_load_dword v0, v[0:1]
	s_nop 0
	scratch_load_dwordx2 v[2:3], off, s32 offset:248 ; 8-byte Folded Reload
	scratch_load_dwordx2 v[4:5], off, s32 offset:852 ; 8-byte Folded Reload
	s_waitcnt vmcnt(0) lgkmcnt(0)
	v_mad_i64_i32 v[0:1], vcc, v0, v2, v[4:5]
	v_accvgpr_read_b32 v2, a22
	v_accvgpr_read_b32 v3, a23
	v_lshl_add_u64 v[42:43], v[0:1], 0, v[2:3]
	flat_load_dword v0, v[42:43]
	scratch_load_dwordx2 v[2:3], off, s32 offset:840 ; 8-byte Folded Reload
	s_waitcnt vmcnt(0) lgkmcnt(0)
	v_and_b32_e32 v1, 0xff, v0
	flat_load_dword v33, v[2:3]
	ds_read_b128 v[52:55], v26
	ds_read_b128 v[2:5], v26 offset:16
	v_cvt_f32_fp8_sdwa v1, v1 src0_sel:BYTE_0
	ds_read_b128 v[44:47], v26 offset:80
	s_waitcnt lgkmcnt(0)
	scratch_store_dwordx4 off, v[2:5], s32 offset:328 ; 16-byte Folded Spill
	ds_read_b128 v[2:5], v26 offset:32
	s_waitcnt lgkmcnt(0)
	scratch_store_dwordx4 off, v[2:5], s32 offset:312 ; 16-byte Folded Spill
	;; [unrolled: 3-line block ×4, first 2 shown]
	ds_read_b32 v2, v26 offset:96
	s_waitcnt lgkmcnt(0)
	scratch_store_dword off, v2, s32 offset:652 ; 4-byte Folded Spill
	ds_read_u16 v2, v26 offset:100
	s_waitcnt lgkmcnt(0)
	scratch_store_dword off, v2, s32 offset:272 ; 4-byte Folded Spill
	s_waitcnt vmcnt(0)
	v_mul_f32_e32 v1, v33, v1
	v_and_b32_e32 v2, 0x7f800000, v1
	v_cmp_ne_u32_e32 vcc, s21, v2
                                        ; implicit-def: $vgpr2
                                        ; kill: killed $vgpr2
	s_and_saveexec_b64 s[44:45], vcc
	s_xor_b64 vcc, exec, s[44:45]
	s_cbranch_execz .LBB338_17
; %bb.16:                               ;   in Loop: Header=BB338_12 Depth=1
	v_bfe_u32 v2, v1, 16, 1
	v_add3_u32 v1, v1, v2, s46
	scratch_store_dword off, v1, s32 offset:344 ; 4-byte Folded Spill
                                        ; implicit-def: $vgpr1
.LBB338_17:                             ;   in Loop: Header=BB338_12 Depth=1
	s_andn2_saveexec_b64 s[44:45], vcc
	s_cbranch_execz .LBB338_19
; %bb.18:                               ;   in Loop: Header=BB338_12 Depth=1
	v_accvgpr_read_b32 v4, a22
	v_accvgpr_read_b32 v5, a23
	v_or_b32_e32 v2, 0x10000, v1
	v_cmp_eq_u32_sdwa vcc, v1, v5 src0_sel:WORD_0 src1_sel:DWORD
	s_nop 1
	v_cndmask_b32_e32 v1, v2, v1, vcc
	scratch_store_dword off, v1, s32 offset:344 ; 4-byte Folded Spill
.LBB338_19:                             ;   in Loop: Header=BB338_12 Depth=1
	s_or_b64 exec, exec, s[44:45]
	v_bfe_u32 v1, v0, 8, 8
	v_cvt_f32_fp8_sdwa v1, v1 src0_sel:BYTE_0
	s_nop 0
	v_mul_f32_e32 v1, v33, v1
	v_and_b32_e32 v2, 0x7f800000, v1
	v_cmp_ne_u32_e32 vcc, s21, v2
                                        ; implicit-def: $vgpr2
                                        ; kill: killed $vgpr2
	s_and_saveexec_b64 s[44:45], vcc
	s_xor_b64 vcc, exec, s[44:45]
	s_cbranch_execz .LBB338_21
; %bb.20:                               ;   in Loop: Header=BB338_12 Depth=1
	v_bfe_u32 v2, v1, 16, 1
	v_add3_u32 v1, v1, v2, s46
	scratch_store_dword off, v1, s32 offset:348 ; 4-byte Folded Spill
                                        ; implicit-def: $vgpr1
.LBB338_21:                             ;   in Loop: Header=BB338_12 Depth=1
	s_andn2_saveexec_b64 s[44:45], vcc
	s_cbranch_execz .LBB338_23
; %bb.22:                               ;   in Loop: Header=BB338_12 Depth=1
	v_accvgpr_read_b32 v4, a22
	v_accvgpr_read_b32 v5, a23
	v_or_b32_e32 v2, 0x10000, v1
	v_cmp_eq_u32_sdwa vcc, v1, v5 src0_sel:WORD_0 src1_sel:DWORD
	s_nop 1
	v_cndmask_b32_e32 v1, v2, v1, vcc
	scratch_store_dword off, v1, s32 offset:348 ; 4-byte Folded Spill
.LBB338_23:                             ;   in Loop: Header=BB338_12 Depth=1
	s_or_b64 exec, exec, s[44:45]
	v_bfe_u32 v1, v0, 16, 8
	v_cvt_f32_fp8_sdwa v1, v1 src0_sel:BYTE_0
	s_nop 0
	v_mul_f32_e32 v1, v33, v1
	v_and_b32_e32 v2, 0x7f800000, v1
	v_cmp_ne_u32_e32 vcc, s21, v2
                                        ; implicit-def: $vgpr2
                                        ; kill: killed $vgpr2
	s_and_saveexec_b64 s[44:45], vcc
	s_xor_b64 vcc, exec, s[44:45]
	s_cbranch_execz .LBB338_25
; %bb.24:                               ;   in Loop: Header=BB338_12 Depth=1
	v_bfe_u32 v2, v1, 16, 1
	v_add3_u32 v1, v1, v2, s46
	scratch_store_dword off, v1, s32 offset:352 ; 4-byte Folded Spill
                                        ; implicit-def: $vgpr1
.LBB338_25:                             ;   in Loop: Header=BB338_12 Depth=1
	s_andn2_saveexec_b64 s[44:45], vcc
	s_cbranch_execz .LBB338_27
; %bb.26:                               ;   in Loop: Header=BB338_12 Depth=1
	v_accvgpr_read_b32 v4, a22
	v_accvgpr_read_b32 v5, a23
	v_or_b32_e32 v2, 0x10000, v1
	v_cmp_eq_u32_sdwa vcc, v1, v5 src0_sel:WORD_0 src1_sel:DWORD
	s_nop 1
	v_cndmask_b32_e32 v1, v2, v1, vcc
	scratch_store_dword off, v1, s32 offset:352 ; 4-byte Folded Spill
.LBB338_27:                             ;   in Loop: Header=BB338_12 Depth=1
	s_or_b64 exec, exec, s[44:45]
	v_lshrrev_b32_e32 v0, 24, v0
	v_cvt_f32_fp8_sdwa v0, v0 src0_sel:BYTE_0
	s_nop 0
	v_mul_f32_e32 v0, v33, v0
	v_and_b32_e32 v1, 0x7f800000, v0
	v_cmp_ne_u32_e32 vcc, s21, v1
                                        ; implicit-def: $vgpr1
                                        ; kill: killed $vgpr1
	s_and_saveexec_b64 s[44:45], vcc
	s_xor_b64 vcc, exec, s[44:45]
	s_cbranch_execz .LBB338_29
; %bb.28:                               ;   in Loop: Header=BB338_12 Depth=1
	v_bfe_u32 v1, v0, 16, 1
	v_add3_u32 v0, v0, v1, s46
	scratch_store_dword off, v0, s32 offset:356 ; 4-byte Folded Spill
                                        ; implicit-def: $vgpr0
.LBB338_29:                             ;   in Loop: Header=BB338_12 Depth=1
	s_andn2_saveexec_b64 s[44:45], vcc
	s_cbranch_execz .LBB338_31
; %bb.30:                               ;   in Loop: Header=BB338_12 Depth=1
	v_accvgpr_read_b32 v2, a22
	v_accvgpr_read_b32 v3, a23
	v_or_b32_e32 v1, 0x10000, v0
	v_cmp_eq_u32_sdwa vcc, v0, v3 src0_sel:WORD_0 src1_sel:DWORD
	s_nop 1
	v_cndmask_b32_e32 v0, v1, v0, vcc
	scratch_store_dword off, v0, s32 offset:356 ; 4-byte Folded Spill
.LBB338_31:                             ;   in Loop: Header=BB338_12 Depth=1
	s_or_b64 exec, exec, s[44:45]
	flat_load_dword v0, v[42:43] offset:8
	s_waitcnt vmcnt(0) lgkmcnt(0)
	v_and_b32_e32 v1, 0xff, v0
	v_cvt_f32_fp8_sdwa v1, v1 src0_sel:BYTE_0
	s_nop 0
	v_mul_f32_e32 v1, v33, v1
	v_and_b32_e32 v2, 0x7f800000, v1
	v_cmp_ne_u32_e32 vcc, s21, v2
                                        ; implicit-def: $vgpr2
                                        ; kill: killed $vgpr2
	s_and_saveexec_b64 s[44:45], vcc
	s_xor_b64 vcc, exec, s[44:45]
	s_cbranch_execz .LBB338_33
; %bb.32:                               ;   in Loop: Header=BB338_12 Depth=1
	v_bfe_u32 v2, v1, 16, 1
	v_add3_u32 v1, v1, v2, s46
	scratch_store_dword off, v1, s32 offset:360 ; 4-byte Folded Spill
                                        ; implicit-def: $vgpr1
.LBB338_33:                             ;   in Loop: Header=BB338_12 Depth=1
	s_andn2_saveexec_b64 s[44:45], vcc
	s_cbranch_execz .LBB338_35
; %bb.34:                               ;   in Loop: Header=BB338_12 Depth=1
	v_accvgpr_read_b32 v4, a22
	v_accvgpr_read_b32 v5, a23
	v_or_b32_e32 v2, 0x10000, v1
	v_cmp_eq_u32_sdwa vcc, v1, v5 src0_sel:WORD_0 src1_sel:DWORD
	s_nop 1
	v_cndmask_b32_e32 v1, v2, v1, vcc
	scratch_store_dword off, v1, s32 offset:360 ; 4-byte Folded Spill
.LBB338_35:                             ;   in Loop: Header=BB338_12 Depth=1
	s_or_b64 exec, exec, s[44:45]
	v_bfe_u32 v1, v0, 8, 8
	v_cvt_f32_fp8_sdwa v1, v1 src0_sel:BYTE_0
	s_nop 0
	v_mul_f32_e32 v1, v33, v1
	v_and_b32_e32 v2, 0x7f800000, v1
	v_cmp_ne_u32_e32 vcc, s21, v2
                                        ; implicit-def: $vgpr2
                                        ; kill: killed $vgpr2
	s_and_saveexec_b64 s[44:45], vcc
	s_xor_b64 vcc, exec, s[44:45]
	s_cbranch_execz .LBB338_37
; %bb.36:                               ;   in Loop: Header=BB338_12 Depth=1
	v_bfe_u32 v2, v1, 16, 1
	v_add3_u32 v1, v1, v2, s46
	scratch_store_dword off, v1, s32 offset:364 ; 4-byte Folded Spill
                                        ; implicit-def: $vgpr1
.LBB338_37:                             ;   in Loop: Header=BB338_12 Depth=1
	s_andn2_saveexec_b64 s[44:45], vcc
	s_cbranch_execz .LBB338_39
; %bb.38:                               ;   in Loop: Header=BB338_12 Depth=1
	v_accvgpr_read_b32 v4, a22
	v_accvgpr_read_b32 v5, a23
	v_or_b32_e32 v2, 0x10000, v1
	v_cmp_eq_u32_sdwa vcc, v1, v5 src0_sel:WORD_0 src1_sel:DWORD
	s_nop 1
	v_cndmask_b32_e32 v1, v2, v1, vcc
	scratch_store_dword off, v1, s32 offset:364 ; 4-byte Folded Spill
.LBB338_39:                             ;   in Loop: Header=BB338_12 Depth=1
	s_or_b64 exec, exec, s[44:45]
	v_bfe_u32 v1, v0, 16, 8
	v_cvt_f32_fp8_sdwa v1, v1 src0_sel:BYTE_0
	s_nop 0
	v_mul_f32_e32 v1, v33, v1
	v_and_b32_e32 v2, 0x7f800000, v1
	v_cmp_ne_u32_e32 vcc, s21, v2
                                        ; implicit-def: $vgpr2
                                        ; kill: killed $vgpr2
	s_and_saveexec_b64 s[44:45], vcc
	s_xor_b64 vcc, exec, s[44:45]
	s_cbranch_execz .LBB338_41
; %bb.40:                               ;   in Loop: Header=BB338_12 Depth=1
	v_bfe_u32 v2, v1, 16, 1
	v_add3_u32 v1, v1, v2, s46
	scratch_store_dword off, v1, s32 offset:372 ; 4-byte Folded Spill
                                        ; implicit-def: $vgpr1
.LBB338_41:                             ;   in Loop: Header=BB338_12 Depth=1
	s_andn2_saveexec_b64 s[44:45], vcc
	s_cbranch_execz .LBB338_43
; %bb.42:                               ;   in Loop: Header=BB338_12 Depth=1
	v_accvgpr_read_b32 v4, a22
	v_accvgpr_read_b32 v5, a23
	v_or_b32_e32 v2, 0x10000, v1
	v_cmp_eq_u32_sdwa vcc, v1, v5 src0_sel:WORD_0 src1_sel:DWORD
	s_nop 1
	v_cndmask_b32_e32 v1, v2, v1, vcc
	scratch_store_dword off, v1, s32 offset:372 ; 4-byte Folded Spill
.LBB338_43:                             ;   in Loop: Header=BB338_12 Depth=1
	s_or_b64 exec, exec, s[44:45]
	v_lshrrev_b32_e32 v0, 24, v0
	v_cvt_f32_fp8_sdwa v0, v0 src0_sel:BYTE_0
	s_nop 0
	v_mul_f32_e32 v0, v33, v0
	v_and_b32_e32 v1, 0x7f800000, v0
	v_cmp_ne_u32_e32 vcc, s21, v1
                                        ; implicit-def: $vgpr1
                                        ; kill: killed $vgpr1
	s_and_saveexec_b64 s[44:45], vcc
	s_xor_b64 vcc, exec, s[44:45]
	s_cbranch_execz .LBB338_45
; %bb.44:                               ;   in Loop: Header=BB338_12 Depth=1
	v_bfe_u32 v1, v0, 16, 1
	v_add3_u32 v0, v0, v1, s46
	scratch_store_dword off, v0, s32 offset:368 ; 4-byte Folded Spill
                                        ; implicit-def: $vgpr0
.LBB338_45:                             ;   in Loop: Header=BB338_12 Depth=1
	s_andn2_saveexec_b64 s[44:45], vcc
	s_cbranch_execz .LBB338_47
; %bb.46:                               ;   in Loop: Header=BB338_12 Depth=1
	v_accvgpr_read_b32 v2, a22
	v_accvgpr_read_b32 v3, a23
	v_or_b32_e32 v1, 0x10000, v0
	v_cmp_eq_u32_sdwa vcc, v0, v3 src0_sel:WORD_0 src1_sel:DWORD
	s_nop 1
	v_cndmask_b32_e32 v0, v1, v0, vcc
	scratch_store_dword off, v0, s32 offset:368 ; 4-byte Folded Spill
.LBB338_47:                             ;   in Loop: Header=BB338_12 Depth=1
	s_or_b64 exec, exec, s[44:45]
	flat_load_dword v0, v[42:43] offset:512
	s_waitcnt vmcnt(0) lgkmcnt(0)
	v_and_b32_e32 v1, 0xff, v0
	v_cvt_f32_fp8_sdwa v1, v1 src0_sel:BYTE_0
	s_nop 0
	v_mul_f32_e32 v1, v33, v1
	v_and_b32_e32 v2, 0x7f800000, v1
	v_cmp_ne_u32_e32 vcc, s21, v2
                                        ; implicit-def: $vgpr2
                                        ; kill: killed $vgpr2
	s_and_saveexec_b64 s[44:45], vcc
	s_xor_b64 vcc, exec, s[44:45]
	s_cbranch_execz .LBB338_49
; %bb.48:                               ;   in Loop: Header=BB338_12 Depth=1
	v_bfe_u32 v2, v1, 16, 1
	v_add3_u32 v1, v1, v2, s46
	scratch_store_dword off, v1, s32 offset:376 ; 4-byte Folded Spill
                                        ; implicit-def: $vgpr1
.LBB338_49:                             ;   in Loop: Header=BB338_12 Depth=1
	s_andn2_saveexec_b64 s[44:45], vcc
	s_cbranch_execz .LBB338_51
; %bb.50:                               ;   in Loop: Header=BB338_12 Depth=1
	v_accvgpr_read_b32 v4, a22
	v_accvgpr_read_b32 v5, a23
	v_or_b32_e32 v2, 0x10000, v1
	v_cmp_eq_u32_sdwa vcc, v1, v5 src0_sel:WORD_0 src1_sel:DWORD
	s_nop 1
	v_cndmask_b32_e32 v1, v2, v1, vcc
	scratch_store_dword off, v1, s32 offset:376 ; 4-byte Folded Spill
.LBB338_51:                             ;   in Loop: Header=BB338_12 Depth=1
	s_or_b64 exec, exec, s[44:45]
	v_bfe_u32 v1, v0, 8, 8
	v_cvt_f32_fp8_sdwa v1, v1 src0_sel:BYTE_0
	s_nop 0
	v_mul_f32_e32 v1, v33, v1
	v_and_b32_e32 v2, 0x7f800000, v1
	v_cmp_ne_u32_e32 vcc, s21, v2
                                        ; implicit-def: $vgpr2
                                        ; kill: killed $vgpr2
	s_and_saveexec_b64 s[44:45], vcc
	s_xor_b64 vcc, exec, s[44:45]
	s_cbranch_execz .LBB338_53
; %bb.52:                               ;   in Loop: Header=BB338_12 Depth=1
	v_bfe_u32 v2, v1, 16, 1
	v_add3_u32 v1, v1, v2, s46
	scratch_store_dword off, v1, s32 offset:380 ; 4-byte Folded Spill
                                        ; implicit-def: $vgpr1
.LBB338_53:                             ;   in Loop: Header=BB338_12 Depth=1
	s_andn2_saveexec_b64 s[44:45], vcc
	s_cbranch_execz .LBB338_55
; %bb.54:                               ;   in Loop: Header=BB338_12 Depth=1
	v_accvgpr_read_b32 v4, a22
	v_accvgpr_read_b32 v5, a23
	v_or_b32_e32 v2, 0x10000, v1
	v_cmp_eq_u32_sdwa vcc, v1, v5 src0_sel:WORD_0 src1_sel:DWORD
	s_nop 1
	v_cndmask_b32_e32 v1, v2, v1, vcc
	scratch_store_dword off, v1, s32 offset:380 ; 4-byte Folded Spill
.LBB338_55:                             ;   in Loop: Header=BB338_12 Depth=1
	s_or_b64 exec, exec, s[44:45]
	v_bfe_u32 v1, v0, 16, 8
	v_cvt_f32_fp8_sdwa v1, v1 src0_sel:BYTE_0
	s_nop 0
	v_mul_f32_e32 v1, v33, v1
	v_and_b32_e32 v2, 0x7f800000, v1
	v_cmp_ne_u32_e32 vcc, s21, v2
                                        ; implicit-def: $vgpr2
                                        ; kill: killed $vgpr2
	s_and_saveexec_b64 s[44:45], vcc
	s_xor_b64 vcc, exec, s[44:45]
	s_cbranch_execz .LBB338_57
; %bb.56:                               ;   in Loop: Header=BB338_12 Depth=1
	v_bfe_u32 v2, v1, 16, 1
	v_add3_u32 v1, v1, v2, s46
	scratch_store_dword off, v1, s32 offset:384 ; 4-byte Folded Spill
                                        ; implicit-def: $vgpr1
.LBB338_57:                             ;   in Loop: Header=BB338_12 Depth=1
	s_andn2_saveexec_b64 s[44:45], vcc
	s_cbranch_execz .LBB338_59
; %bb.58:                               ;   in Loop: Header=BB338_12 Depth=1
	v_accvgpr_read_b32 v4, a22
	v_accvgpr_read_b32 v5, a23
	v_or_b32_e32 v2, 0x10000, v1
	v_cmp_eq_u32_sdwa vcc, v1, v5 src0_sel:WORD_0 src1_sel:DWORD
	s_nop 1
	v_cndmask_b32_e32 v1, v2, v1, vcc
	scratch_store_dword off, v1, s32 offset:384 ; 4-byte Folded Spill
.LBB338_59:                             ;   in Loop: Header=BB338_12 Depth=1
	s_or_b64 exec, exec, s[44:45]
	v_lshrrev_b32_e32 v0, 24, v0
	v_cvt_f32_fp8_sdwa v0, v0 src0_sel:BYTE_0
	s_nop 0
	v_mul_f32_e32 v0, v33, v0
	v_and_b32_e32 v1, 0x7f800000, v0
	v_cmp_ne_u32_e32 vcc, s21, v1
                                        ; implicit-def: $vgpr1
                                        ; kill: killed $vgpr1
	s_and_saveexec_b64 s[44:45], vcc
	s_xor_b64 vcc, exec, s[44:45]
	s_cbranch_execz .LBB338_61
; %bb.60:                               ;   in Loop: Header=BB338_12 Depth=1
	v_bfe_u32 v1, v0, 16, 1
	v_add3_u32 v0, v0, v1, s46
	scratch_store_dword off, v0, s32 offset:388 ; 4-byte Folded Spill
                                        ; implicit-def: $vgpr0
.LBB338_61:                             ;   in Loop: Header=BB338_12 Depth=1
	s_andn2_saveexec_b64 s[44:45], vcc
	s_cbranch_execz .LBB338_63
; %bb.62:                               ;   in Loop: Header=BB338_12 Depth=1
	v_accvgpr_read_b32 v2, a22
	v_accvgpr_read_b32 v3, a23
	v_or_b32_e32 v1, 0x10000, v0
	v_cmp_eq_u32_sdwa vcc, v0, v3 src0_sel:WORD_0 src1_sel:DWORD
	s_nop 1
	v_cndmask_b32_e32 v0, v1, v0, vcc
	scratch_store_dword off, v0, s32 offset:388 ; 4-byte Folded Spill
.LBB338_63:                             ;   in Loop: Header=BB338_12 Depth=1
	s_or_b64 exec, exec, s[44:45]
	flat_load_dword v0, v[42:43] offset:520
	s_waitcnt vmcnt(0) lgkmcnt(0)
	v_and_b32_e32 v1, 0xff, v0
	v_cvt_f32_fp8_sdwa v1, v1 src0_sel:BYTE_0
	s_nop 0
	v_mul_f32_e32 v1, v33, v1
	v_and_b32_e32 v2, 0x7f800000, v1
	v_cmp_ne_u32_e32 vcc, s21, v2
                                        ; implicit-def: $vgpr2
                                        ; kill: killed $vgpr2
	s_and_saveexec_b64 s[44:45], vcc
	s_xor_b64 vcc, exec, s[44:45]
	s_cbranch_execz .LBB338_65
; %bb.64:                               ;   in Loop: Header=BB338_12 Depth=1
	v_bfe_u32 v2, v1, 16, 1
	v_add3_u32 v1, v1, v2, s46
	scratch_store_dword off, v1, s32 offset:392 ; 4-byte Folded Spill
                                        ; implicit-def: $vgpr1
.LBB338_65:                             ;   in Loop: Header=BB338_12 Depth=1
	s_andn2_saveexec_b64 s[44:45], vcc
	s_cbranch_execz .LBB338_67
; %bb.66:                               ;   in Loop: Header=BB338_12 Depth=1
	v_accvgpr_read_b32 v4, a22
	v_accvgpr_read_b32 v5, a23
	v_or_b32_e32 v2, 0x10000, v1
	v_cmp_eq_u32_sdwa vcc, v1, v5 src0_sel:WORD_0 src1_sel:DWORD
	s_nop 1
	v_cndmask_b32_e32 v1, v2, v1, vcc
	scratch_store_dword off, v1, s32 offset:392 ; 4-byte Folded Spill
.LBB338_67:                             ;   in Loop: Header=BB338_12 Depth=1
	s_or_b64 exec, exec, s[44:45]
	v_bfe_u32 v1, v0, 8, 8
	v_cvt_f32_fp8_sdwa v1, v1 src0_sel:BYTE_0
	s_nop 0
	v_mul_f32_e32 v1, v33, v1
	v_and_b32_e32 v2, 0x7f800000, v1
	v_cmp_ne_u32_e32 vcc, s21, v2
                                        ; implicit-def: $vgpr2
                                        ; kill: killed $vgpr2
	s_and_saveexec_b64 s[44:45], vcc
	s_xor_b64 vcc, exec, s[44:45]
	s_cbranch_execz .LBB338_69
; %bb.68:                               ;   in Loop: Header=BB338_12 Depth=1
	v_bfe_u32 v2, v1, 16, 1
	v_add3_u32 v1, v1, v2, s46
	scratch_store_dword off, v1, s32 offset:396 ; 4-byte Folded Spill
                                        ; implicit-def: $vgpr1
.LBB338_69:                             ;   in Loop: Header=BB338_12 Depth=1
	s_andn2_saveexec_b64 s[44:45], vcc
	s_cbranch_execz .LBB338_71
; %bb.70:                               ;   in Loop: Header=BB338_12 Depth=1
	v_accvgpr_read_b32 v4, a22
	v_accvgpr_read_b32 v5, a23
	v_or_b32_e32 v2, 0x10000, v1
	v_cmp_eq_u32_sdwa vcc, v1, v5 src0_sel:WORD_0 src1_sel:DWORD
	s_nop 1
	v_cndmask_b32_e32 v1, v2, v1, vcc
	scratch_store_dword off, v1, s32 offset:396 ; 4-byte Folded Spill
.LBB338_71:                             ;   in Loop: Header=BB338_12 Depth=1
	s_or_b64 exec, exec, s[44:45]
	v_bfe_u32 v1, v0, 16, 8
	v_cvt_f32_fp8_sdwa v1, v1 src0_sel:BYTE_0
	s_nop 0
	v_mul_f32_e32 v1, v33, v1
	v_and_b32_e32 v2, 0x7f800000, v1
	v_cmp_ne_u32_e32 vcc, s21, v2
                                        ; implicit-def: $vgpr2
                                        ; kill: killed $vgpr2
	s_and_saveexec_b64 s[44:45], vcc
	s_xor_b64 vcc, exec, s[44:45]
	s_cbranch_execz .LBB338_73
; %bb.72:                               ;   in Loop: Header=BB338_12 Depth=1
	v_bfe_u32 v2, v1, 16, 1
	v_add3_u32 v1, v1, v2, s46
	scratch_store_dword off, v1, s32 offset:400 ; 4-byte Folded Spill
                                        ; implicit-def: $vgpr1
.LBB338_73:                             ;   in Loop: Header=BB338_12 Depth=1
	s_andn2_saveexec_b64 s[44:45], vcc
	s_cbranch_execz .LBB338_75
; %bb.74:                               ;   in Loop: Header=BB338_12 Depth=1
	v_accvgpr_read_b32 v4, a22
	v_accvgpr_read_b32 v5, a23
	v_or_b32_e32 v2, 0x10000, v1
	v_cmp_eq_u32_sdwa vcc, v1, v5 src0_sel:WORD_0 src1_sel:DWORD
	s_nop 1
	v_cndmask_b32_e32 v1, v2, v1, vcc
	scratch_store_dword off, v1, s32 offset:400 ; 4-byte Folded Spill
.LBB338_75:                             ;   in Loop: Header=BB338_12 Depth=1
	s_or_b64 exec, exec, s[44:45]
	v_lshrrev_b32_e32 v0, 24, v0
	v_cvt_f32_fp8_sdwa v0, v0 src0_sel:BYTE_0
	s_nop 0
	v_mul_f32_e32 v0, v33, v0
	v_and_b32_e32 v1, 0x7f800000, v0
	v_cmp_ne_u32_e32 vcc, s21, v1
                                        ; implicit-def: $vgpr1
                                        ; kill: killed $vgpr1
	s_and_saveexec_b64 s[44:45], vcc
	s_xor_b64 vcc, exec, s[44:45]
	s_cbranch_execz .LBB338_77
; %bb.76:                               ;   in Loop: Header=BB338_12 Depth=1
	v_bfe_u32 v1, v0, 16, 1
	v_add3_u32 v0, v0, v1, s46
	scratch_store_dword off, v0, s32 offset:404 ; 4-byte Folded Spill
                                        ; implicit-def: $vgpr0
.LBB338_77:                             ;   in Loop: Header=BB338_12 Depth=1
	s_andn2_saveexec_b64 s[44:45], vcc
	s_cbranch_execz .LBB338_79
; %bb.78:                               ;   in Loop: Header=BB338_12 Depth=1
	v_accvgpr_read_b32 v2, a22
	v_accvgpr_read_b32 v3, a23
	v_or_b32_e32 v1, 0x10000, v0
	v_cmp_eq_u32_sdwa vcc, v0, v3 src0_sel:WORD_0 src1_sel:DWORD
	s_nop 1
	v_cndmask_b32_e32 v0, v1, v0, vcc
	scratch_store_dword off, v0, s32 offset:404 ; 4-byte Folded Spill
.LBB338_79:                             ;   in Loop: Header=BB338_12 Depth=1
	s_or_b64 exec, exec, s[44:45]
	flat_load_dword v0, v[42:43] offset:1024
	s_waitcnt vmcnt(0) lgkmcnt(0)
	v_and_b32_e32 v1, 0xff, v0
	v_cvt_f32_fp8_sdwa v1, v1 src0_sel:BYTE_0
	s_nop 0
	v_mul_f32_e32 v1, v33, v1
	v_and_b32_e32 v2, 0x7f800000, v1
	v_cmp_ne_u32_e32 vcc, s21, v2
                                        ; implicit-def: $vgpr2
                                        ; kill: killed $vgpr2
	s_and_saveexec_b64 s[44:45], vcc
	s_xor_b64 vcc, exec, s[44:45]
	s_cbranch_execz .LBB338_81
; %bb.80:                               ;   in Loop: Header=BB338_12 Depth=1
	v_bfe_u32 v2, v1, 16, 1
	v_add3_u32 v1, v1, v2, s46
	scratch_store_dword off, v1, s32 offset:408 ; 4-byte Folded Spill
                                        ; implicit-def: $vgpr1
.LBB338_81:                             ;   in Loop: Header=BB338_12 Depth=1
	s_andn2_saveexec_b64 s[44:45], vcc
	s_cbranch_execz .LBB338_83
; %bb.82:                               ;   in Loop: Header=BB338_12 Depth=1
	v_accvgpr_read_b32 v4, a22
	v_accvgpr_read_b32 v5, a23
	v_or_b32_e32 v2, 0x10000, v1
	v_cmp_eq_u32_sdwa vcc, v1, v5 src0_sel:WORD_0 src1_sel:DWORD
	s_nop 1
	v_cndmask_b32_e32 v1, v2, v1, vcc
	scratch_store_dword off, v1, s32 offset:408 ; 4-byte Folded Spill
.LBB338_83:                             ;   in Loop: Header=BB338_12 Depth=1
	s_or_b64 exec, exec, s[44:45]
	v_bfe_u32 v1, v0, 8, 8
	v_cvt_f32_fp8_sdwa v1, v1 src0_sel:BYTE_0
	s_nop 0
	v_mul_f32_e32 v1, v33, v1
	v_and_b32_e32 v2, 0x7f800000, v1
	v_cmp_ne_u32_e32 vcc, s21, v2
                                        ; implicit-def: $vgpr2
                                        ; kill: killed $vgpr2
	s_and_saveexec_b64 s[44:45], vcc
	s_xor_b64 vcc, exec, s[44:45]
	s_cbranch_execz .LBB338_85
; %bb.84:                               ;   in Loop: Header=BB338_12 Depth=1
	v_bfe_u32 v2, v1, 16, 1
	v_add3_u32 v1, v1, v2, s46
	scratch_store_dword off, v1, s32 offset:428 ; 4-byte Folded Spill
                                        ; implicit-def: $vgpr1
.LBB338_85:                             ;   in Loop: Header=BB338_12 Depth=1
	s_andn2_saveexec_b64 s[44:45], vcc
	s_cbranch_execz .LBB338_87
; %bb.86:                               ;   in Loop: Header=BB338_12 Depth=1
	v_accvgpr_read_b32 v4, a22
	v_accvgpr_read_b32 v5, a23
	v_or_b32_e32 v2, 0x10000, v1
	v_cmp_eq_u32_sdwa vcc, v1, v5 src0_sel:WORD_0 src1_sel:DWORD
	s_nop 1
	v_cndmask_b32_e32 v1, v2, v1, vcc
	scratch_store_dword off, v1, s32 offset:428 ; 4-byte Folded Spill
.LBB338_87:                             ;   in Loop: Header=BB338_12 Depth=1
	s_or_b64 exec, exec, s[44:45]
	v_bfe_u32 v1, v0, 16, 8
	v_cvt_f32_fp8_sdwa v1, v1 src0_sel:BYTE_0
	s_nop 0
	v_mul_f32_e32 v1, v33, v1
	v_and_b32_e32 v2, 0x7f800000, v1
	v_cmp_ne_u32_e32 vcc, s21, v2
                                        ; implicit-def: $vgpr2
                                        ; kill: killed $vgpr2
	s_and_saveexec_b64 s[44:45], vcc
	s_xor_b64 vcc, exec, s[44:45]
	s_cbranch_execz .LBB338_89
; %bb.88:                               ;   in Loop: Header=BB338_12 Depth=1
	v_bfe_u32 v2, v1, 16, 1
	v_add3_u32 v1, v1, v2, s46
	scratch_store_dword off, v1, s32 offset:440 ; 4-byte Folded Spill
                                        ; implicit-def: $vgpr1
.LBB338_89:                             ;   in Loop: Header=BB338_12 Depth=1
	s_andn2_saveexec_b64 s[44:45], vcc
	s_cbranch_execz .LBB338_91
; %bb.90:                               ;   in Loop: Header=BB338_12 Depth=1
	v_accvgpr_read_b32 v4, a22
	v_accvgpr_read_b32 v5, a23
	v_or_b32_e32 v2, 0x10000, v1
	v_cmp_eq_u32_sdwa vcc, v1, v5 src0_sel:WORD_0 src1_sel:DWORD
	s_nop 1
	v_cndmask_b32_e32 v1, v2, v1, vcc
	scratch_store_dword off, v1, s32 offset:440 ; 4-byte Folded Spill
.LBB338_91:                             ;   in Loop: Header=BB338_12 Depth=1
	s_or_b64 exec, exec, s[44:45]
	v_lshrrev_b32_e32 v0, 24, v0
	v_cvt_f32_fp8_sdwa v0, v0 src0_sel:BYTE_0
	s_nop 0
	v_mul_f32_e32 v0, v33, v0
	v_and_b32_e32 v1, 0x7f800000, v0
	v_cmp_ne_u32_e32 vcc, s21, v1
                                        ; implicit-def: $vgpr1
                                        ; kill: killed $vgpr1
	s_and_saveexec_b64 s[44:45], vcc
	s_xor_b64 vcc, exec, s[44:45]
	s_cbranch_execz .LBB338_93
; %bb.92:                               ;   in Loop: Header=BB338_12 Depth=1
	v_bfe_u32 v1, v0, 16, 1
	v_add3_u32 v0, v0, v1, s46
	scratch_store_dword off, v0, s32 offset:444 ; 4-byte Folded Spill
                                        ; implicit-def: $vgpr0
.LBB338_93:                             ;   in Loop: Header=BB338_12 Depth=1
	s_andn2_saveexec_b64 s[44:45], vcc
	s_cbranch_execz .LBB338_95
; %bb.94:                               ;   in Loop: Header=BB338_12 Depth=1
	v_accvgpr_read_b32 v2, a22
	v_accvgpr_read_b32 v3, a23
	v_or_b32_e32 v1, 0x10000, v0
	v_cmp_eq_u32_sdwa vcc, v0, v3 src0_sel:WORD_0 src1_sel:DWORD
	s_nop 1
	v_cndmask_b32_e32 v0, v1, v0, vcc
	scratch_store_dword off, v0, s32 offset:444 ; 4-byte Folded Spill
.LBB338_95:                             ;   in Loop: Header=BB338_12 Depth=1
	s_or_b64 exec, exec, s[44:45]
	flat_load_dword v0, v[42:43] offset:1032
	s_waitcnt vmcnt(0) lgkmcnt(0)
	v_and_b32_e32 v1, 0xff, v0
	v_cvt_f32_fp8_sdwa v1, v1 src0_sel:BYTE_0
	s_nop 0
	v_mul_f32_e32 v1, v33, v1
	v_and_b32_e32 v2, 0x7f800000, v1
	v_cmp_ne_u32_e32 vcc, s21, v2
                                        ; implicit-def: $vgpr2
                                        ; kill: killed $vgpr2
	s_and_saveexec_b64 s[44:45], vcc
	s_xor_b64 vcc, exec, s[44:45]
	s_cbranch_execz .LBB338_97
; %bb.96:                               ;   in Loop: Header=BB338_12 Depth=1
	v_bfe_u32 v2, v1, 16, 1
	v_add3_u32 v1, v1, v2, s46
	scratch_store_dword off, v1, s32 offset:448 ; 4-byte Folded Spill
                                        ; implicit-def: $vgpr1
.LBB338_97:                             ;   in Loop: Header=BB338_12 Depth=1
	s_andn2_saveexec_b64 s[44:45], vcc
	s_cbranch_execz .LBB338_99
; %bb.98:                               ;   in Loop: Header=BB338_12 Depth=1
	v_accvgpr_read_b32 v4, a22
	v_accvgpr_read_b32 v5, a23
	v_or_b32_e32 v2, 0x10000, v1
	v_cmp_eq_u32_sdwa vcc, v1, v5 src0_sel:WORD_0 src1_sel:DWORD
	s_nop 1
	v_cndmask_b32_e32 v1, v2, v1, vcc
	scratch_store_dword off, v1, s32 offset:448 ; 4-byte Folded Spill
.LBB338_99:                             ;   in Loop: Header=BB338_12 Depth=1
	s_or_b64 exec, exec, s[44:45]
	v_bfe_u32 v1, v0, 8, 8
	v_cvt_f32_fp8_sdwa v1, v1 src0_sel:BYTE_0
	s_nop 0
	v_mul_f32_e32 v1, v33, v1
	v_and_b32_e32 v2, 0x7f800000, v1
	v_cmp_ne_u32_e32 vcc, s21, v2
                                        ; implicit-def: $vgpr2
                                        ; kill: killed $vgpr2
	s_and_saveexec_b64 s[44:45], vcc
	s_xor_b64 vcc, exec, s[44:45]
	s_cbranch_execz .LBB338_101
; %bb.100:                              ;   in Loop: Header=BB338_12 Depth=1
	v_bfe_u32 v2, v1, 16, 1
	v_add3_u32 v1, v1, v2, s46
	scratch_store_dword off, v1, s32 offset:472 ; 4-byte Folded Spill
                                        ; implicit-def: $vgpr1
.LBB338_101:                            ;   in Loop: Header=BB338_12 Depth=1
	s_andn2_saveexec_b64 s[44:45], vcc
	s_cbranch_execz .LBB338_103
; %bb.102:                              ;   in Loop: Header=BB338_12 Depth=1
	v_accvgpr_read_b32 v4, a22
	v_accvgpr_read_b32 v5, a23
	v_or_b32_e32 v2, 0x10000, v1
	v_cmp_eq_u32_sdwa vcc, v1, v5 src0_sel:WORD_0 src1_sel:DWORD
	s_nop 1
	v_cndmask_b32_e32 v1, v2, v1, vcc
	scratch_store_dword off, v1, s32 offset:472 ; 4-byte Folded Spill
.LBB338_103:                            ;   in Loop: Header=BB338_12 Depth=1
	s_or_b64 exec, exec, s[44:45]
	v_bfe_u32 v1, v0, 16, 8
	v_cvt_f32_fp8_sdwa v1, v1 src0_sel:BYTE_0
	s_nop 0
	v_mul_f32_e32 v1, v33, v1
	v_and_b32_e32 v2, 0x7f800000, v1
	v_cmp_ne_u32_e32 vcc, s21, v2
                                        ; implicit-def: $vgpr2
                                        ; kill: killed $vgpr2
	s_and_saveexec_b64 s[44:45], vcc
	s_xor_b64 vcc, exec, s[44:45]
	s_cbranch_execz .LBB338_105
; %bb.104:                              ;   in Loop: Header=BB338_12 Depth=1
	v_bfe_u32 v2, v1, 16, 1
	v_add3_u32 v1, v1, v2, s46
	scratch_store_dword off, v1, s32 offset:512 ; 4-byte Folded Spill
                                        ; implicit-def: $vgpr1
.LBB338_105:                            ;   in Loop: Header=BB338_12 Depth=1
	s_andn2_saveexec_b64 s[44:45], vcc
	s_cbranch_execz .LBB338_107
; %bb.106:                              ;   in Loop: Header=BB338_12 Depth=1
	v_accvgpr_read_b32 v4, a22
	v_accvgpr_read_b32 v5, a23
	v_or_b32_e32 v2, 0x10000, v1
	v_cmp_eq_u32_sdwa vcc, v1, v5 src0_sel:WORD_0 src1_sel:DWORD
	s_nop 1
	v_cndmask_b32_e32 v1, v2, v1, vcc
	scratch_store_dword off, v1, s32 offset:512 ; 4-byte Folded Spill
.LBB338_107:                            ;   in Loop: Header=BB338_12 Depth=1
	s_or_b64 exec, exec, s[44:45]
	v_lshrrev_b32_e32 v0, 24, v0
	v_cvt_f32_fp8_sdwa v0, v0 src0_sel:BYTE_0
	s_nop 0
	v_mul_f32_e32 v0, v33, v0
	v_and_b32_e32 v1, 0x7f800000, v0
	v_cmp_ne_u32_e32 vcc, s21, v1
                                        ; implicit-def: $vgpr1
                                        ; kill: killed $vgpr1
	s_and_saveexec_b64 s[44:45], vcc
	s_xor_b64 vcc, exec, s[44:45]
	s_cbranch_execz .LBB338_109
; %bb.108:                              ;   in Loop: Header=BB338_12 Depth=1
	v_bfe_u32 v1, v0, 16, 1
	v_add3_u32 v0, v0, v1, s46
	scratch_store_dword off, v0, s32 offset:552 ; 4-byte Folded Spill
                                        ; implicit-def: $vgpr0
.LBB338_109:                            ;   in Loop: Header=BB338_12 Depth=1
	s_andn2_saveexec_b64 s[44:45], vcc
	s_cbranch_execz .LBB338_111
; %bb.110:                              ;   in Loop: Header=BB338_12 Depth=1
	v_accvgpr_read_b32 v2, a22
	v_accvgpr_read_b32 v3, a23
	v_or_b32_e32 v1, 0x10000, v0
	v_cmp_eq_u32_sdwa vcc, v0, v3 src0_sel:WORD_0 src1_sel:DWORD
	s_nop 1
	v_cndmask_b32_e32 v0, v1, v0, vcc
	scratch_store_dword off, v0, s32 offset:552 ; 4-byte Folded Spill
.LBB338_111:                            ;   in Loop: Header=BB338_12 Depth=1
	s_or_b64 exec, exec, s[44:45]
	flat_load_dword v0, v[42:43] offset:1536
	s_waitcnt vmcnt(0) lgkmcnt(0)
	v_and_b32_e32 v1, 0xff, v0
	v_cvt_f32_fp8_sdwa v1, v1 src0_sel:BYTE_0
	s_nop 0
	v_mul_f32_e32 v1, v33, v1
	v_and_b32_e32 v2, 0x7f800000, v1
	v_cmp_ne_u32_e32 vcc, s21, v2
                                        ; implicit-def: $vgpr2
                                        ; kill: killed $vgpr2
	s_and_saveexec_b64 s[44:45], vcc
	s_xor_b64 vcc, exec, s[44:45]
	s_cbranch_execz .LBB338_113
; %bb.112:                              ;   in Loop: Header=BB338_12 Depth=1
	v_bfe_u32 v2, v1, 16, 1
	v_add3_u32 v1, v1, v2, s46
	scratch_store_dword off, v1, s32 offset:564 ; 4-byte Folded Spill
                                        ; implicit-def: $vgpr1
.LBB338_113:                            ;   in Loop: Header=BB338_12 Depth=1
	s_andn2_saveexec_b64 s[44:45], vcc
	s_cbranch_execz .LBB338_115
; %bb.114:                              ;   in Loop: Header=BB338_12 Depth=1
	v_accvgpr_read_b32 v4, a22
	v_accvgpr_read_b32 v5, a23
	v_or_b32_e32 v2, 0x10000, v1
	v_cmp_eq_u32_sdwa vcc, v1, v5 src0_sel:WORD_0 src1_sel:DWORD
	s_nop 1
	v_cndmask_b32_e32 v1, v2, v1, vcc
	scratch_store_dword off, v1, s32 offset:564 ; 4-byte Folded Spill
.LBB338_115:                            ;   in Loop: Header=BB338_12 Depth=1
	s_or_b64 exec, exec, s[44:45]
	v_bfe_u32 v1, v0, 8, 8
	v_cvt_f32_fp8_sdwa v1, v1 src0_sel:BYTE_0
	s_nop 0
	v_mul_f32_e32 v1, v33, v1
	v_and_b32_e32 v2, 0x7f800000, v1
	v_cmp_ne_u32_e32 vcc, s21, v2
                                        ; implicit-def: $vgpr2
                                        ; kill: killed $vgpr2
	s_and_saveexec_b64 s[44:45], vcc
	s_xor_b64 vcc, exec, s[44:45]
	s_cbranch_execz .LBB338_117
; %bb.116:                              ;   in Loop: Header=BB338_12 Depth=1
	v_bfe_u32 v2, v1, 16, 1
	v_add3_u32 v1, v1, v2, s46
	scratch_store_dword off, v1, s32 offset:568 ; 4-byte Folded Spill
                                        ; implicit-def: $vgpr1
.LBB338_117:                            ;   in Loop: Header=BB338_12 Depth=1
	s_andn2_saveexec_b64 s[44:45], vcc
	s_cbranch_execz .LBB338_119
; %bb.118:                              ;   in Loop: Header=BB338_12 Depth=1
	v_accvgpr_read_b32 v4, a22
	v_accvgpr_read_b32 v5, a23
	v_or_b32_e32 v2, 0x10000, v1
	v_cmp_eq_u32_sdwa vcc, v1, v5 src0_sel:WORD_0 src1_sel:DWORD
	s_nop 1
	v_cndmask_b32_e32 v1, v2, v1, vcc
	scratch_store_dword off, v1, s32 offset:568 ; 4-byte Folded Spill
.LBB338_119:                            ;   in Loop: Header=BB338_12 Depth=1
	s_or_b64 exec, exec, s[44:45]
	v_bfe_u32 v1, v0, 16, 8
	v_cvt_f32_fp8_sdwa v1, v1 src0_sel:BYTE_0
	s_nop 0
	v_mul_f32_e32 v1, v33, v1
	v_and_b32_e32 v2, 0x7f800000, v1
	v_cmp_ne_u32_e32 vcc, s21, v2
                                        ; implicit-def: $vgpr2
                                        ; kill: killed $vgpr2
	s_and_saveexec_b64 s[44:45], vcc
	s_xor_b64 vcc, exec, s[44:45]
	s_cbranch_execz .LBB338_121
; %bb.120:                              ;   in Loop: Header=BB338_12 Depth=1
	v_bfe_u32 v2, v1, 16, 1
	v_add3_u32 v1, v1, v2, s46
	scratch_store_dword off, v1, s32 offset:572 ; 4-byte Folded Spill
                                        ; implicit-def: $vgpr1
.LBB338_121:                            ;   in Loop: Header=BB338_12 Depth=1
	s_andn2_saveexec_b64 s[44:45], vcc
	s_cbranch_execz .LBB338_123
; %bb.122:                              ;   in Loop: Header=BB338_12 Depth=1
	v_accvgpr_read_b32 v4, a22
	v_accvgpr_read_b32 v5, a23
	v_or_b32_e32 v2, 0x10000, v1
	v_cmp_eq_u32_sdwa vcc, v1, v5 src0_sel:WORD_0 src1_sel:DWORD
	s_nop 1
	v_cndmask_b32_e32 v1, v2, v1, vcc
	scratch_store_dword off, v1, s32 offset:572 ; 4-byte Folded Spill
.LBB338_123:                            ;   in Loop: Header=BB338_12 Depth=1
	s_or_b64 exec, exec, s[44:45]
	v_lshrrev_b32_e32 v0, 24, v0
	v_cvt_f32_fp8_sdwa v0, v0 src0_sel:BYTE_0
	s_nop 0
	v_mul_f32_e32 v0, v33, v0
	v_and_b32_e32 v1, 0x7f800000, v0
	v_cmp_ne_u32_e32 vcc, s21, v1
                                        ; implicit-def: $vgpr1
                                        ; kill: killed $vgpr1
	s_and_saveexec_b64 s[44:45], vcc
	s_xor_b64 vcc, exec, s[44:45]
	s_cbranch_execz .LBB338_125
; %bb.124:                              ;   in Loop: Header=BB338_12 Depth=1
	v_bfe_u32 v1, v0, 16, 1
	v_add3_u32 v0, v0, v1, s46
	scratch_store_dword off, v0, s32 offset:592 ; 4-byte Folded Spill
                                        ; implicit-def: $vgpr0
.LBB338_125:                            ;   in Loop: Header=BB338_12 Depth=1
	s_andn2_saveexec_b64 s[44:45], vcc
	s_cbranch_execz .LBB338_127
; %bb.126:                              ;   in Loop: Header=BB338_12 Depth=1
	v_accvgpr_read_b32 v2, a22
	v_accvgpr_read_b32 v3, a23
	v_or_b32_e32 v1, 0x10000, v0
	v_cmp_eq_u32_sdwa vcc, v0, v3 src0_sel:WORD_0 src1_sel:DWORD
	s_nop 1
	v_cndmask_b32_e32 v0, v1, v0, vcc
	scratch_store_dword off, v0, s32 offset:592 ; 4-byte Folded Spill
.LBB338_127:                            ;   in Loop: Header=BB338_12 Depth=1
	s_or_b64 exec, exec, s[44:45]
	flat_load_dword v0, v[42:43] offset:1544
	s_waitcnt vmcnt(0) lgkmcnt(0)
	v_and_b32_e32 v1, 0xff, v0
	v_cvt_f32_fp8_sdwa v1, v1 src0_sel:BYTE_0
	s_nop 0
	v_mul_f32_e32 v1, v33, v1
	v_and_b32_e32 v2, 0x7f800000, v1
	v_cmp_ne_u32_e32 vcc, s21, v2
                                        ; implicit-def: $vgpr2
                                        ; kill: killed $vgpr2
	s_and_saveexec_b64 s[44:45], vcc
	s_xor_b64 vcc, exec, s[44:45]
	s_cbranch_execz .LBB338_129
; %bb.128:                              ;   in Loop: Header=BB338_12 Depth=1
	v_bfe_u32 v2, v1, 16, 1
	v_add3_u32 v1, v1, v2, s46
	scratch_store_dword off, v1, s32 offset:612 ; 4-byte Folded Spill
                                        ; implicit-def: $vgpr1
.LBB338_129:                            ;   in Loop: Header=BB338_12 Depth=1
	s_andn2_saveexec_b64 s[44:45], vcc
	s_cbranch_execz .LBB338_131
; %bb.130:                              ;   in Loop: Header=BB338_12 Depth=1
	v_accvgpr_read_b32 v4, a22
	v_accvgpr_read_b32 v5, a23
	v_or_b32_e32 v2, 0x10000, v1
	v_cmp_eq_u32_sdwa vcc, v1, v5 src0_sel:WORD_0 src1_sel:DWORD
	s_nop 1
	v_cndmask_b32_e32 v1, v2, v1, vcc
	scratch_store_dword off, v1, s32 offset:612 ; 4-byte Folded Spill
.LBB338_131:                            ;   in Loop: Header=BB338_12 Depth=1
	s_or_b64 exec, exec, s[44:45]
	v_bfe_u32 v1, v0, 8, 8
	v_cvt_f32_fp8_sdwa v1, v1 src0_sel:BYTE_0
	s_nop 0
	v_mul_f32_e32 v1, v33, v1
	v_and_b32_e32 v2, 0x7f800000, v1
	v_cmp_ne_u32_e32 vcc, s21, v2
                                        ; implicit-def: $vgpr2
                                        ; kill: killed $vgpr2
	s_and_saveexec_b64 s[44:45], vcc
	s_xor_b64 vcc, exec, s[44:45]
	s_cbranch_execz .LBB338_133
; %bb.132:                              ;   in Loop: Header=BB338_12 Depth=1
	v_bfe_u32 v2, v1, 16, 1
	v_add3_u32 v1, v1, v2, s46
	scratch_store_dword off, v1, s32 offset:632 ; 4-byte Folded Spill
                                        ; implicit-def: $vgpr1
.LBB338_133:                            ;   in Loop: Header=BB338_12 Depth=1
	s_andn2_saveexec_b64 s[44:45], vcc
	s_cbranch_execz .LBB338_135
; %bb.134:                              ;   in Loop: Header=BB338_12 Depth=1
	v_accvgpr_read_b32 v4, a22
	v_accvgpr_read_b32 v5, a23
	v_or_b32_e32 v2, 0x10000, v1
	v_cmp_eq_u32_sdwa vcc, v1, v5 src0_sel:WORD_0 src1_sel:DWORD
	s_nop 1
	v_cndmask_b32_e32 v1, v2, v1, vcc
	scratch_store_dword off, v1, s32 offset:632 ; 4-byte Folded Spill
.LBB338_135:                            ;   in Loop: Header=BB338_12 Depth=1
	s_or_b64 exec, exec, s[44:45]
	v_bfe_u32 v1, v0, 16, 8
	v_cvt_f32_fp8_sdwa v1, v1 src0_sel:BYTE_0
	s_nop 0
	v_mul_f32_e32 v1, v33, v1
	v_and_b32_e32 v2, 0x7f800000, v1
	v_cmp_ne_u32_e32 vcc, s21, v2
                                        ; implicit-def: $vgpr2
                                        ; kill: killed $vgpr2
	s_and_saveexec_b64 s[44:45], vcc
	s_xor_b64 vcc, exec, s[44:45]
	s_cbranch_execz .LBB338_137
; %bb.136:                              ;   in Loop: Header=BB338_12 Depth=1
	v_bfe_u32 v2, v1, 16, 1
	v_add3_u32 v1, v1, v2, s46
	scratch_store_dword off, v1, s32 offset:640 ; 4-byte Folded Spill
                                        ; implicit-def: $vgpr1
.LBB338_137:                            ;   in Loop: Header=BB338_12 Depth=1
	s_andn2_saveexec_b64 s[44:45], vcc
	s_cbranch_execz .LBB338_139
; %bb.138:                              ;   in Loop: Header=BB338_12 Depth=1
	v_accvgpr_read_b32 v4, a22
	v_accvgpr_read_b32 v5, a23
	v_or_b32_e32 v2, 0x10000, v1
	v_cmp_eq_u32_sdwa vcc, v1, v5 src0_sel:WORD_0 src1_sel:DWORD
	s_nop 1
	v_cndmask_b32_e32 v1, v2, v1, vcc
	scratch_store_dword off, v1, s32 offset:640 ; 4-byte Folded Spill
.LBB338_139:                            ;   in Loop: Header=BB338_12 Depth=1
	s_or_b64 exec, exec, s[44:45]
	v_lshrrev_b32_e32 v0, 24, v0
	v_cvt_f32_fp8_sdwa v0, v0 src0_sel:BYTE_0
	s_nop 0
	v_mul_f32_e32 v0, v33, v0
	v_and_b32_e32 v1, 0x7f800000, v0
	v_cmp_ne_u32_e32 vcc, s21, v1
                                        ; implicit-def: $vgpr1
                                        ; kill: killed $vgpr1
	s_and_saveexec_b64 s[44:45], vcc
	s_xor_b64 vcc, exec, s[44:45]
	s_cbranch_execz .LBB338_141
; %bb.140:                              ;   in Loop: Header=BB338_12 Depth=1
	v_bfe_u32 v1, v0, 16, 1
	v_add3_u32 v0, v0, v1, s46
	scratch_store_dword off, v0, s32 offset:644 ; 4-byte Folded Spill
                                        ; implicit-def: $vgpr0
.LBB338_141:                            ;   in Loop: Header=BB338_12 Depth=1
	s_andn2_saveexec_b64 s[44:45], vcc
	s_cbranch_execz .LBB338_143
; %bb.142:                              ;   in Loop: Header=BB338_12 Depth=1
	v_accvgpr_read_b32 v2, a22
	v_accvgpr_read_b32 v3, a23
	v_or_b32_e32 v1, 0x10000, v0
	v_cmp_eq_u32_sdwa vcc, v0, v3 src0_sel:WORD_0 src1_sel:DWORD
	s_nop 1
	v_cndmask_b32_e32 v0, v1, v0, vcc
	scratch_store_dword off, v0, s32 offset:644 ; 4-byte Folded Spill
.LBB338_143:                            ;   in Loop: Header=BB338_12 Depth=1
	s_or_b64 exec, exec, s[44:45]
	flat_load_dword v0, v[42:43] offset:2048
	s_waitcnt vmcnt(0) lgkmcnt(0)
	v_and_b32_e32 v1, 0xff, v0
	v_cvt_f32_fp8_sdwa v1, v1 src0_sel:BYTE_0
	s_nop 0
	v_mul_f32_e32 v1, v33, v1
	v_and_b32_e32 v2, 0x7f800000, v1
	v_cmp_ne_u32_e32 vcc, s21, v2
                                        ; implicit-def: $vgpr2
                                        ; kill: killed $vgpr2
	s_and_saveexec_b64 s[44:45], vcc
	s_xor_b64 vcc, exec, s[44:45]
	s_cbranch_execz .LBB338_145
; %bb.144:                              ;   in Loop: Header=BB338_12 Depth=1
	v_bfe_u32 v2, v1, 16, 1
	v_add3_u32 v1, v1, v2, s46
	scratch_store_dword off, v1, s32 offset:648 ; 4-byte Folded Spill
                                        ; implicit-def: $vgpr1
.LBB338_145:                            ;   in Loop: Header=BB338_12 Depth=1
	s_andn2_saveexec_b64 s[44:45], vcc
	s_cbranch_execz .LBB338_147
; %bb.146:                              ;   in Loop: Header=BB338_12 Depth=1
	v_accvgpr_read_b32 v4, a22
	v_accvgpr_read_b32 v5, a23
	v_or_b32_e32 v2, 0x10000, v1
	v_cmp_eq_u32_sdwa vcc, v1, v5 src0_sel:WORD_0 src1_sel:DWORD
	s_nop 1
	v_cndmask_b32_e32 v1, v2, v1, vcc
	scratch_store_dword off, v1, s32 offset:648 ; 4-byte Folded Spill
.LBB338_147:                            ;   in Loop: Header=BB338_12 Depth=1
	s_or_b64 exec, exec, s[44:45]
	v_bfe_u32 v1, v0, 8, 8
	v_cvt_f32_fp8_sdwa v1, v1 src0_sel:BYTE_0
	s_nop 0
	v_mul_f32_e32 v1, v33, v1
	v_and_b32_e32 v2, 0x7f800000, v1
	v_cmp_ne_u32_e32 vcc, s21, v2
                                        ; implicit-def: $vgpr2
                                        ; kill: killed $vgpr2
	s_and_saveexec_b64 s[44:45], vcc
	s_xor_b64 vcc, exec, s[44:45]
	s_cbranch_execz .LBB338_149
; %bb.148:                              ;   in Loop: Header=BB338_12 Depth=1
	v_bfe_u32 v2, v1, 16, 1
	v_add3_u32 v1, v1, v2, s46
	scratch_store_dword off, v1, s32 offset:656 ; 4-byte Folded Spill
                                        ; implicit-def: $vgpr1
.LBB338_149:                            ;   in Loop: Header=BB338_12 Depth=1
	s_andn2_saveexec_b64 s[44:45], vcc
	s_cbranch_execz .LBB338_151
; %bb.150:                              ;   in Loop: Header=BB338_12 Depth=1
	v_accvgpr_read_b32 v4, a22
	v_accvgpr_read_b32 v5, a23
	v_or_b32_e32 v2, 0x10000, v1
	v_cmp_eq_u32_sdwa vcc, v1, v5 src0_sel:WORD_0 src1_sel:DWORD
	s_nop 1
	v_cndmask_b32_e32 v1, v2, v1, vcc
	scratch_store_dword off, v1, s32 offset:656 ; 4-byte Folded Spill
.LBB338_151:                            ;   in Loop: Header=BB338_12 Depth=1
	s_or_b64 exec, exec, s[44:45]
	v_bfe_u32 v1, v0, 16, 8
	v_cvt_f32_fp8_sdwa v1, v1 src0_sel:BYTE_0
                                        ; implicit-def: $agpr0
	s_nop 0
	v_mul_f32_e32 v1, v33, v1
	v_and_b32_e32 v2, 0x7f800000, v1
	v_cmp_ne_u32_e32 vcc, s21, v2
	s_and_saveexec_b64 s[44:45], vcc
	s_xor_b64 vcc, exec, s[44:45]
; %bb.152:                              ;   in Loop: Header=BB338_12 Depth=1
	v_bfe_u32 v2, v1, 16, 1
	v_add3_u32 v1, v1, v2, s46
	v_accvgpr_write_b32 a0, v1
                                        ; implicit-def: $vgpr1
; %bb.153:                              ;   in Loop: Header=BB338_12 Depth=1
	s_andn2_saveexec_b64 s[44:45], vcc
; %bb.154:                              ;   in Loop: Header=BB338_12 Depth=1
	v_accvgpr_read_b32 v4, a22
	v_accvgpr_read_b32 v5, a23
	v_or_b32_e32 v2, 0x10000, v1
	v_cmp_eq_u32_sdwa vcc, v1, v5 src0_sel:WORD_0 src1_sel:DWORD
	s_nop 1
	v_cndmask_b32_e32 v1, v2, v1, vcc
	v_accvgpr_write_b32 a0, v1
; %bb.155:                              ;   in Loop: Header=BB338_12 Depth=1
	s_or_b64 exec, exec, s[44:45]
	v_lshrrev_b32_e32 v0, 24, v0
	v_cvt_f32_fp8_sdwa v0, v0 src0_sel:BYTE_0
                                        ; implicit-def: $vgpr50
	s_nop 0
	v_mul_f32_e32 v0, v33, v0
	v_and_b32_e32 v1, 0x7f800000, v0
	v_cmp_ne_u32_e32 vcc, s21, v1
	s_and_saveexec_b64 s[44:45], vcc
	s_xor_b64 vcc, exec, s[44:45]
; %bb.156:                              ;   in Loop: Header=BB338_12 Depth=1
	v_bfe_u32 v1, v0, 16, 1
	v_add3_u32 v50, v0, v1, s46
                                        ; implicit-def: $vgpr0
; %bb.157:                              ;   in Loop: Header=BB338_12 Depth=1
	s_andn2_saveexec_b64 s[44:45], vcc
; %bb.158:                              ;   in Loop: Header=BB338_12 Depth=1
	v_accvgpr_read_b32 v2, a22
	v_accvgpr_read_b32 v3, a23
	v_or_b32_e32 v1, 0x10000, v0
	v_cmp_eq_u32_sdwa vcc, v0, v3 src0_sel:WORD_0 src1_sel:DWORD
	s_nop 1
	v_cndmask_b32_e32 v50, v1, v0, vcc
; %bb.159:                              ;   in Loop: Header=BB338_12 Depth=1
	s_or_b64 exec, exec, s[44:45]
	flat_load_dword v0, v[42:43] offset:2056
                                        ; implicit-def: $agpr1
	s_waitcnt vmcnt(0) lgkmcnt(0)
	v_and_b32_e32 v1, 0xff, v0
	v_cvt_f32_fp8_sdwa v1, v1 src0_sel:BYTE_0
	s_nop 0
	v_mul_f32_e32 v1, v33, v1
	v_and_b32_e32 v2, 0x7f800000, v1
	v_cmp_ne_u32_e32 vcc, s21, v2
	s_and_saveexec_b64 s[44:45], vcc
	s_xor_b64 vcc, exec, s[44:45]
; %bb.160:                              ;   in Loop: Header=BB338_12 Depth=1
	v_bfe_u32 v2, v1, 16, 1
	v_add3_u32 v1, v1, v2, s46
	v_accvgpr_write_b32 a1, v1
                                        ; implicit-def: $vgpr1
; %bb.161:                              ;   in Loop: Header=BB338_12 Depth=1
	s_andn2_saveexec_b64 s[44:45], vcc
; %bb.162:                              ;   in Loop: Header=BB338_12 Depth=1
	v_accvgpr_read_b32 v4, a22
	v_accvgpr_read_b32 v5, a23
	v_or_b32_e32 v2, 0x10000, v1
	v_cmp_eq_u32_sdwa vcc, v1, v5 src0_sel:WORD_0 src1_sel:DWORD
	s_nop 1
	v_cndmask_b32_e32 v1, v2, v1, vcc
	v_accvgpr_write_b32 a1, v1
; %bb.163:                              ;   in Loop: Header=BB338_12 Depth=1
	s_or_b64 exec, exec, s[44:45]
	v_bfe_u32 v1, v0, 8, 8
	v_cvt_f32_fp8_sdwa v1, v1 src0_sel:BYTE_0
                                        ; implicit-def: $agpr6
	s_nop 0
	v_mul_f32_e32 v1, v33, v1
	v_and_b32_e32 v2, 0x7f800000, v1
	v_cmp_ne_u32_e32 vcc, s21, v2
	s_and_saveexec_b64 s[44:45], vcc
	s_xor_b64 vcc, exec, s[44:45]
; %bb.164:                              ;   in Loop: Header=BB338_12 Depth=1
	v_bfe_u32 v2, v1, 16, 1
	v_add3_u32 v1, v1, v2, s46
	v_accvgpr_write_b32 a6, v1
                                        ; implicit-def: $vgpr1
; %bb.165:                              ;   in Loop: Header=BB338_12 Depth=1
	s_andn2_saveexec_b64 s[44:45], vcc
; %bb.166:                              ;   in Loop: Header=BB338_12 Depth=1
	v_accvgpr_read_b32 v4, a22
	v_accvgpr_read_b32 v5, a23
	v_or_b32_e32 v2, 0x10000, v1
	v_cmp_eq_u32_sdwa vcc, v1, v5 src0_sel:WORD_0 src1_sel:DWORD
	s_nop 1
	v_cndmask_b32_e32 v1, v2, v1, vcc
	v_accvgpr_write_b32 a6, v1
; %bb.167:                              ;   in Loop: Header=BB338_12 Depth=1
	s_or_b64 exec, exec, s[44:45]
	v_bfe_u32 v1, v0, 16, 8
	v_cvt_f32_fp8_sdwa v1, v1 src0_sel:BYTE_0
                                        ; implicit-def: $agpr31
	s_nop 0
	v_mul_f32_e32 v1, v33, v1
	v_and_b32_e32 v2, 0x7f800000, v1
	v_cmp_ne_u32_e32 vcc, s21, v2
	s_and_saveexec_b64 s[44:45], vcc
	s_xor_b64 vcc, exec, s[44:45]
; %bb.168:                              ;   in Loop: Header=BB338_12 Depth=1
	v_bfe_u32 v2, v1, 16, 1
	v_add3_u32 v1, v1, v2, s46
	v_accvgpr_write_b32 a31, v1
                                        ; implicit-def: $vgpr1
; %bb.169:                              ;   in Loop: Header=BB338_12 Depth=1
	s_andn2_saveexec_b64 s[44:45], vcc
; %bb.170:                              ;   in Loop: Header=BB338_12 Depth=1
	v_accvgpr_read_b32 v4, a22
	v_accvgpr_read_b32 v5, a23
	v_or_b32_e32 v2, 0x10000, v1
	v_cmp_eq_u32_sdwa vcc, v1, v5 src0_sel:WORD_0 src1_sel:DWORD
	s_nop 1
	v_cndmask_b32_e32 v1, v2, v1, vcc
	v_accvgpr_write_b32 a31, v1
; %bb.171:                              ;   in Loop: Header=BB338_12 Depth=1
	s_or_b64 exec, exec, s[44:45]
	v_lshrrev_b32_e32 v0, 24, v0
	v_cvt_f32_fp8_sdwa v0, v0 src0_sel:BYTE_0
                                        ; implicit-def: $agpr7
	s_nop 0
	v_mul_f32_e32 v0, v33, v0
	v_and_b32_e32 v1, 0x7f800000, v0
	v_cmp_ne_u32_e32 vcc, s21, v1
	s_and_saveexec_b64 s[44:45], vcc
	s_xor_b64 vcc, exec, s[44:45]
; %bb.172:                              ;   in Loop: Header=BB338_12 Depth=1
	v_bfe_u32 v1, v0, 16, 1
	v_add3_u32 v0, v0, v1, s46
	v_accvgpr_write_b32 a7, v0
                                        ; implicit-def: $vgpr0
; %bb.173:                              ;   in Loop: Header=BB338_12 Depth=1
	s_andn2_saveexec_b64 s[44:45], vcc
; %bb.174:                              ;   in Loop: Header=BB338_12 Depth=1
	v_accvgpr_read_b32 v2, a22
	v_accvgpr_read_b32 v3, a23
	v_or_b32_e32 v1, 0x10000, v0
	v_cmp_eq_u32_sdwa vcc, v0, v3 src0_sel:WORD_0 src1_sel:DWORD
	s_nop 1
	v_cndmask_b32_e32 v0, v1, v0, vcc
	v_accvgpr_write_b32 a7, v0
; %bb.175:                              ;   in Loop: Header=BB338_12 Depth=1
	s_or_b64 exec, exec, s[44:45]
	flat_load_dword v0, v[42:43] offset:2560
                                        ; implicit-def: $agpr11
	s_waitcnt vmcnt(0) lgkmcnt(0)
	v_and_b32_e32 v1, 0xff, v0
	v_cvt_f32_fp8_sdwa v1, v1 src0_sel:BYTE_0
	s_nop 0
	v_mul_f32_e32 v1, v33, v1
	v_and_b32_e32 v2, 0x7f800000, v1
	v_cmp_ne_u32_e32 vcc, s21, v2
	s_and_saveexec_b64 s[44:45], vcc
	s_xor_b64 vcc, exec, s[44:45]
; %bb.176:                              ;   in Loop: Header=BB338_12 Depth=1
	v_bfe_u32 v2, v1, 16, 1
	v_add3_u32 v1, v1, v2, s46
	v_accvgpr_write_b32 a11, v1
                                        ; implicit-def: $vgpr1
; %bb.177:                              ;   in Loop: Header=BB338_12 Depth=1
	s_andn2_saveexec_b64 s[44:45], vcc
; %bb.178:                              ;   in Loop: Header=BB338_12 Depth=1
	v_accvgpr_read_b32 v4, a22
	v_accvgpr_read_b32 v5, a23
	v_or_b32_e32 v2, 0x10000, v1
	v_cmp_eq_u32_sdwa vcc, v1, v5 src0_sel:WORD_0 src1_sel:DWORD
	s_nop 1
	v_cndmask_b32_e32 v1, v2, v1, vcc
	v_accvgpr_write_b32 a11, v1
; %bb.179:                              ;   in Loop: Header=BB338_12 Depth=1
	s_or_b64 exec, exec, s[44:45]
	v_bfe_u32 v1, v0, 8, 8
	v_cvt_f32_fp8_sdwa v1, v1 src0_sel:BYTE_0
                                        ; implicit-def: $agpr24
	s_nop 0
	v_mul_f32_e32 v1, v33, v1
	v_and_b32_e32 v2, 0x7f800000, v1
	v_cmp_ne_u32_e32 vcc, s21, v2
	s_and_saveexec_b64 s[44:45], vcc
	s_xor_b64 vcc, exec, s[44:45]
; %bb.180:                              ;   in Loop: Header=BB338_12 Depth=1
	v_bfe_u32 v2, v1, 16, 1
	v_add3_u32 v1, v1, v2, s46
	v_accvgpr_write_b32 a24, v1
                                        ; implicit-def: $vgpr1
; %bb.181:                              ;   in Loop: Header=BB338_12 Depth=1
	s_andn2_saveexec_b64 s[44:45], vcc
; %bb.182:                              ;   in Loop: Header=BB338_12 Depth=1
	v_accvgpr_read_b32 v4, a22
	v_accvgpr_read_b32 v5, a23
	v_or_b32_e32 v2, 0x10000, v1
	v_cmp_eq_u32_sdwa vcc, v1, v5 src0_sel:WORD_0 src1_sel:DWORD
	s_nop 1
	v_cndmask_b32_e32 v1, v2, v1, vcc
	v_accvgpr_write_b32 a24, v1
; %bb.183:                              ;   in Loop: Header=BB338_12 Depth=1
	s_or_b64 exec, exec, s[44:45]
	v_bfe_u32 v1, v0, 16, 8
	v_cvt_f32_fp8_sdwa v1, v1 src0_sel:BYTE_0
                                        ; implicit-def: $agpr25
	s_nop 0
	v_mul_f32_e32 v1, v33, v1
	v_and_b32_e32 v2, 0x7f800000, v1
	v_cmp_ne_u32_e32 vcc, s21, v2
	s_and_saveexec_b64 s[44:45], vcc
	s_xor_b64 vcc, exec, s[44:45]
; %bb.184:                              ;   in Loop: Header=BB338_12 Depth=1
	v_bfe_u32 v2, v1, 16, 1
	v_add3_u32 v1, v1, v2, s46
	v_accvgpr_write_b32 a25, v1
                                        ; implicit-def: $vgpr1
; %bb.185:                              ;   in Loop: Header=BB338_12 Depth=1
	s_andn2_saveexec_b64 s[44:45], vcc
; %bb.186:                              ;   in Loop: Header=BB338_12 Depth=1
	v_accvgpr_read_b32 v4, a22
	v_accvgpr_read_b32 v5, a23
	v_or_b32_e32 v2, 0x10000, v1
	v_cmp_eq_u32_sdwa vcc, v1, v5 src0_sel:WORD_0 src1_sel:DWORD
	s_nop 1
	v_cndmask_b32_e32 v1, v2, v1, vcc
	v_accvgpr_write_b32 a25, v1
; %bb.187:                              ;   in Loop: Header=BB338_12 Depth=1
	s_or_b64 exec, exec, s[44:45]
	v_lshrrev_b32_e32 v0, 24, v0
	v_cvt_f32_fp8_sdwa v0, v0 src0_sel:BYTE_0
                                        ; implicit-def: $agpr20
	s_nop 0
	v_mul_f32_e32 v0, v33, v0
	v_and_b32_e32 v1, 0x7f800000, v0
	v_cmp_ne_u32_e32 vcc, s21, v1
	s_and_saveexec_b64 s[44:45], vcc
	s_xor_b64 vcc, exec, s[44:45]
; %bb.188:                              ;   in Loop: Header=BB338_12 Depth=1
	v_bfe_u32 v1, v0, 16, 1
	v_add3_u32 v0, v0, v1, s46
	v_accvgpr_write_b32 a20, v0
                                        ; implicit-def: $vgpr0
; %bb.189:                              ;   in Loop: Header=BB338_12 Depth=1
	s_andn2_saveexec_b64 s[44:45], vcc
; %bb.190:                              ;   in Loop: Header=BB338_12 Depth=1
	v_accvgpr_read_b32 v2, a22
	v_accvgpr_read_b32 v3, a23
	v_or_b32_e32 v1, 0x10000, v0
	v_cmp_eq_u32_sdwa vcc, v0, v3 src0_sel:WORD_0 src1_sel:DWORD
	s_nop 1
	v_cndmask_b32_e32 v0, v1, v0, vcc
	v_accvgpr_write_b32 a20, v0
; %bb.191:                              ;   in Loop: Header=BB338_12 Depth=1
	s_or_b64 exec, exec, s[44:45]
	flat_load_dword v0, v[42:43] offset:2568
                                        ; implicit-def: $agpr21
	s_waitcnt vmcnt(0) lgkmcnt(0)
	v_and_b32_e32 v1, 0xff, v0
	v_cvt_f32_fp8_sdwa v1, v1 src0_sel:BYTE_0
	s_nop 0
	v_mul_f32_e32 v1, v33, v1
	v_and_b32_e32 v2, 0x7f800000, v1
	v_cmp_ne_u32_e32 vcc, s21, v2
	s_and_saveexec_b64 s[44:45], vcc
	s_xor_b64 vcc, exec, s[44:45]
; %bb.192:                              ;   in Loop: Header=BB338_12 Depth=1
	v_bfe_u32 v2, v1, 16, 1
	v_add3_u32 v1, v1, v2, s46
	v_accvgpr_write_b32 a21, v1
                                        ; implicit-def: $vgpr1
; %bb.193:                              ;   in Loop: Header=BB338_12 Depth=1
	s_andn2_saveexec_b64 s[44:45], vcc
; %bb.194:                              ;   in Loop: Header=BB338_12 Depth=1
	v_accvgpr_read_b32 v4, a22
	v_accvgpr_read_b32 v5, a23
	v_or_b32_e32 v2, 0x10000, v1
	v_cmp_eq_u32_sdwa vcc, v1, v5 src0_sel:WORD_0 src1_sel:DWORD
	s_nop 1
	v_cndmask_b32_e32 v1, v2, v1, vcc
	v_accvgpr_write_b32 a21, v1
; %bb.195:                              ;   in Loop: Header=BB338_12 Depth=1
	s_or_b64 exec, exec, s[44:45]
	v_bfe_u32 v1, v0, 8, 8
	v_cvt_f32_fp8_sdwa v1, v1 src0_sel:BYTE_0
                                        ; implicit-def: $agpr28
	s_nop 0
	v_mul_f32_e32 v1, v33, v1
	v_and_b32_e32 v2, 0x7f800000, v1
	v_cmp_ne_u32_e32 vcc, s21, v2
	s_and_saveexec_b64 s[44:45], vcc
	s_xor_b64 vcc, exec, s[44:45]
; %bb.196:                              ;   in Loop: Header=BB338_12 Depth=1
	v_bfe_u32 v2, v1, 16, 1
	v_add3_u32 v1, v1, v2, s46
	v_accvgpr_write_b32 a28, v1
                                        ; implicit-def: $vgpr1
; %bb.197:                              ;   in Loop: Header=BB338_12 Depth=1
	s_andn2_saveexec_b64 s[44:45], vcc
; %bb.198:                              ;   in Loop: Header=BB338_12 Depth=1
	v_accvgpr_read_b32 v4, a22
	v_accvgpr_read_b32 v5, a23
	v_or_b32_e32 v2, 0x10000, v1
	v_cmp_eq_u32_sdwa vcc, v1, v5 src0_sel:WORD_0 src1_sel:DWORD
	s_nop 1
	v_cndmask_b32_e32 v1, v2, v1, vcc
	v_accvgpr_write_b32 a28, v1
; %bb.199:                              ;   in Loop: Header=BB338_12 Depth=1
	s_or_b64 exec, exec, s[44:45]
	v_bfe_u32 v1, v0, 16, 8
	v_cvt_f32_fp8_sdwa v1, v1 src0_sel:BYTE_0
                                        ; implicit-def: $vgpr40
	s_nop 0
	v_mul_f32_e32 v1, v33, v1
	v_and_b32_e32 v2, 0x7f800000, v1
	v_cmp_ne_u32_e32 vcc, s21, v2
	s_and_saveexec_b64 s[44:45], vcc
	s_xor_b64 vcc, exec, s[44:45]
; %bb.200:                              ;   in Loop: Header=BB338_12 Depth=1
	v_bfe_u32 v2, v1, 16, 1
	v_add3_u32 v40, v1, v2, s46
                                        ; implicit-def: $vgpr1
; %bb.201:                              ;   in Loop: Header=BB338_12 Depth=1
	s_andn2_saveexec_b64 s[44:45], vcc
; %bb.202:                              ;   in Loop: Header=BB338_12 Depth=1
	v_accvgpr_read_b32 v4, a22
	v_accvgpr_read_b32 v5, a23
	v_or_b32_e32 v2, 0x10000, v1
	v_cmp_eq_u32_sdwa vcc, v1, v5 src0_sel:WORD_0 src1_sel:DWORD
	s_nop 1
	v_cndmask_b32_e32 v40, v2, v1, vcc
; %bb.203:                              ;   in Loop: Header=BB338_12 Depth=1
	s_or_b64 exec, exec, s[44:45]
	v_lshrrev_b32_e32 v0, 24, v0
	v_cvt_f32_fp8_sdwa v0, v0 src0_sel:BYTE_0
                                        ; implicit-def: $vgpr9
	s_nop 0
	v_mul_f32_e32 v0, v33, v0
	v_and_b32_e32 v1, 0x7f800000, v0
	v_cmp_ne_u32_e32 vcc, s21, v1
	s_and_saveexec_b64 s[44:45], vcc
	s_xor_b64 vcc, exec, s[44:45]
; %bb.204:                              ;   in Loop: Header=BB338_12 Depth=1
	v_bfe_u32 v1, v0, 16, 1
	v_add3_u32 v9, v0, v1, s46
                                        ; implicit-def: $vgpr0
; %bb.205:                              ;   in Loop: Header=BB338_12 Depth=1
	s_andn2_saveexec_b64 s[44:45], vcc
; %bb.206:                              ;   in Loop: Header=BB338_12 Depth=1
	v_accvgpr_read_b32 v2, a22
	v_accvgpr_read_b32 v3, a23
	v_or_b32_e32 v1, 0x10000, v0
	v_cmp_eq_u32_sdwa vcc, v0, v3 src0_sel:WORD_0 src1_sel:DWORD
	s_nop 1
	v_cndmask_b32_e32 v9, v1, v0, vcc
; %bb.207:                              ;   in Loop: Header=BB338_12 Depth=1
	s_or_b64 exec, exec, s[44:45]
	flat_load_dword v0, v[42:43] offset:3072
                                        ; implicit-def: $agpr38
	s_waitcnt vmcnt(0) lgkmcnt(0)
	v_and_b32_e32 v1, 0xff, v0
	v_cvt_f32_fp8_sdwa v1, v1 src0_sel:BYTE_0
	s_nop 0
	v_mul_f32_e32 v1, v33, v1
	v_and_b32_e32 v2, 0x7f800000, v1
	v_cmp_ne_u32_e32 vcc, s21, v2
	s_and_saveexec_b64 s[44:45], vcc
	s_xor_b64 vcc, exec, s[44:45]
; %bb.208:                              ;   in Loop: Header=BB338_12 Depth=1
	v_bfe_u32 v2, v1, 16, 1
	v_add3_u32 v1, v1, v2, s46
	v_accvgpr_write_b32 a38, v1
                                        ; implicit-def: $vgpr1
; %bb.209:                              ;   in Loop: Header=BB338_12 Depth=1
	s_andn2_saveexec_b64 s[44:45], vcc
; %bb.210:                              ;   in Loop: Header=BB338_12 Depth=1
	v_accvgpr_read_b32 v4, a22
	v_accvgpr_read_b32 v5, a23
	v_or_b32_e32 v2, 0x10000, v1
	v_cmp_eq_u32_sdwa vcc, v1, v5 src0_sel:WORD_0 src1_sel:DWORD
	s_nop 1
	v_cndmask_b32_e32 v1, v2, v1, vcc
	v_accvgpr_write_b32 a38, v1
; %bb.211:                              ;   in Loop: Header=BB338_12 Depth=1
	s_or_b64 exec, exec, s[44:45]
	v_bfe_u32 v1, v0, 8, 8
	v_cvt_f32_fp8_sdwa v1, v1 src0_sel:BYTE_0
                                        ; implicit-def: $agpr40
	s_nop 0
	v_mul_f32_e32 v1, v33, v1
	v_and_b32_e32 v2, 0x7f800000, v1
	v_cmp_ne_u32_e32 vcc, s21, v2
	s_and_saveexec_b64 s[44:45], vcc
	s_xor_b64 vcc, exec, s[44:45]
; %bb.212:                              ;   in Loop: Header=BB338_12 Depth=1
	v_bfe_u32 v2, v1, 16, 1
	v_add3_u32 v1, v1, v2, s46
	v_accvgpr_write_b32 a40, v1
                                        ; implicit-def: $vgpr1
; %bb.213:                              ;   in Loop: Header=BB338_12 Depth=1
	s_andn2_saveexec_b64 s[44:45], vcc
; %bb.214:                              ;   in Loop: Header=BB338_12 Depth=1
	v_accvgpr_read_b32 v4, a22
	v_accvgpr_read_b32 v5, a23
	v_or_b32_e32 v2, 0x10000, v1
	v_cmp_eq_u32_sdwa vcc, v1, v5 src0_sel:WORD_0 src1_sel:DWORD
	s_nop 1
	v_cndmask_b32_e32 v1, v2, v1, vcc
	v_accvgpr_write_b32 a40, v1
; %bb.215:                              ;   in Loop: Header=BB338_12 Depth=1
	s_or_b64 exec, exec, s[44:45]
	v_bfe_u32 v1, v0, 16, 8
	v_cvt_f32_fp8_sdwa v1, v1 src0_sel:BYTE_0
                                        ; implicit-def: $agpr48
	s_nop 0
	v_mul_f32_e32 v1, v33, v1
	v_and_b32_e32 v2, 0x7f800000, v1
	v_cmp_ne_u32_e32 vcc, s21, v2
	s_and_saveexec_b64 s[44:45], vcc
	s_xor_b64 vcc, exec, s[44:45]
; %bb.216:                              ;   in Loop: Header=BB338_12 Depth=1
	v_bfe_u32 v2, v1, 16, 1
	v_add3_u32 v1, v1, v2, s46
	v_accvgpr_write_b32 a48, v1
                                        ; implicit-def: $vgpr1
; %bb.217:                              ;   in Loop: Header=BB338_12 Depth=1
	s_andn2_saveexec_b64 s[44:45], vcc
; %bb.218:                              ;   in Loop: Header=BB338_12 Depth=1
	v_accvgpr_read_b32 v4, a22
	v_accvgpr_read_b32 v5, a23
	v_or_b32_e32 v2, 0x10000, v1
	v_cmp_eq_u32_sdwa vcc, v1, v5 src0_sel:WORD_0 src1_sel:DWORD
	s_nop 1
	v_cndmask_b32_e32 v1, v2, v1, vcc
	v_accvgpr_write_b32 a48, v1
; %bb.219:                              ;   in Loop: Header=BB338_12 Depth=1
	s_or_b64 exec, exec, s[44:45]
	v_lshrrev_b32_e32 v0, 24, v0
	v_cvt_f32_fp8_sdwa v0, v0 src0_sel:BYTE_0
                                        ; implicit-def: $agpr10
	s_nop 0
	v_mul_f32_e32 v0, v33, v0
	v_and_b32_e32 v1, 0x7f800000, v0
	v_cmp_ne_u32_e32 vcc, s21, v1
	s_and_saveexec_b64 s[44:45], vcc
	s_xor_b64 vcc, exec, s[44:45]
; %bb.220:                              ;   in Loop: Header=BB338_12 Depth=1
	v_bfe_u32 v1, v0, 16, 1
	v_add3_u32 v0, v0, v1, s46
	v_accvgpr_write_b32 a10, v0
                                        ; implicit-def: $vgpr0
; %bb.221:                              ;   in Loop: Header=BB338_12 Depth=1
	s_andn2_saveexec_b64 s[44:45], vcc
; %bb.222:                              ;   in Loop: Header=BB338_12 Depth=1
	v_accvgpr_read_b32 v2, a22
	v_accvgpr_read_b32 v3, a23
	v_or_b32_e32 v1, 0x10000, v0
	v_cmp_eq_u32_sdwa vcc, v0, v3 src0_sel:WORD_0 src1_sel:DWORD
	s_nop 1
	v_cndmask_b32_e32 v0, v1, v0, vcc
	v_accvgpr_write_b32 a10, v0
; %bb.223:                              ;   in Loop: Header=BB338_12 Depth=1
	s_or_b64 exec, exec, s[44:45]
	flat_load_dword v0, v[42:43] offset:3080
                                        ; implicit-def: $agpr42
	s_waitcnt vmcnt(0) lgkmcnt(0)
	v_and_b32_e32 v1, 0xff, v0
	v_cvt_f32_fp8_sdwa v1, v1 src0_sel:BYTE_0
	s_nop 0
	v_mul_f32_e32 v1, v33, v1
	v_and_b32_e32 v2, 0x7f800000, v1
	v_cmp_ne_u32_e32 vcc, s21, v2
	s_and_saveexec_b64 s[44:45], vcc
	s_xor_b64 vcc, exec, s[44:45]
; %bb.224:                              ;   in Loop: Header=BB338_12 Depth=1
	v_bfe_u32 v2, v1, 16, 1
	v_add3_u32 v1, v1, v2, s46
	v_accvgpr_write_b32 a42, v1
                                        ; implicit-def: $vgpr1
; %bb.225:                              ;   in Loop: Header=BB338_12 Depth=1
	s_andn2_saveexec_b64 s[44:45], vcc
; %bb.226:                              ;   in Loop: Header=BB338_12 Depth=1
	v_accvgpr_read_b32 v4, a22
	v_accvgpr_read_b32 v5, a23
	v_or_b32_e32 v2, 0x10000, v1
	v_cmp_eq_u32_sdwa vcc, v1, v5 src0_sel:WORD_0 src1_sel:DWORD
	s_nop 1
	v_cndmask_b32_e32 v1, v2, v1, vcc
	v_accvgpr_write_b32 a42, v1
; %bb.227:                              ;   in Loop: Header=BB338_12 Depth=1
	s_or_b64 exec, exec, s[44:45]
	v_bfe_u32 v1, v0, 8, 8
	v_cvt_f32_fp8_sdwa v1, v1 src0_sel:BYTE_0
                                        ; implicit-def: $agpr44
	s_nop 0
	v_mul_f32_e32 v1, v33, v1
	v_and_b32_e32 v2, 0x7f800000, v1
	v_cmp_ne_u32_e32 vcc, s21, v2
	s_and_saveexec_b64 s[44:45], vcc
	s_xor_b64 vcc, exec, s[44:45]
; %bb.228:                              ;   in Loop: Header=BB338_12 Depth=1
	v_bfe_u32 v2, v1, 16, 1
	v_add3_u32 v1, v1, v2, s46
	v_accvgpr_write_b32 a44, v1
                                        ; implicit-def: $vgpr1
; %bb.229:                              ;   in Loop: Header=BB338_12 Depth=1
	s_andn2_saveexec_b64 s[44:45], vcc
; %bb.230:                              ;   in Loop: Header=BB338_12 Depth=1
	v_accvgpr_read_b32 v4, a22
	v_accvgpr_read_b32 v5, a23
	v_or_b32_e32 v2, 0x10000, v1
	v_cmp_eq_u32_sdwa vcc, v1, v5 src0_sel:WORD_0 src1_sel:DWORD
	s_nop 1
	v_cndmask_b32_e32 v1, v2, v1, vcc
	v_accvgpr_write_b32 a44, v1
; %bb.231:                              ;   in Loop: Header=BB338_12 Depth=1
	s_or_b64 exec, exec, s[44:45]
	v_bfe_u32 v1, v0, 16, 8
	v_cvt_f32_fp8_sdwa v1, v1 src0_sel:BYTE_0
                                        ; implicit-def: $agpr43
	s_nop 0
	v_mul_f32_e32 v1, v33, v1
	v_and_b32_e32 v2, 0x7f800000, v1
	v_cmp_ne_u32_e32 vcc, s21, v2
	s_and_saveexec_b64 s[44:45], vcc
	s_xor_b64 vcc, exec, s[44:45]
; %bb.232:                              ;   in Loop: Header=BB338_12 Depth=1
	v_bfe_u32 v2, v1, 16, 1
	v_add3_u32 v1, v1, v2, s46
	v_accvgpr_write_b32 a43, v1
                                        ; implicit-def: $vgpr1
; %bb.233:                              ;   in Loop: Header=BB338_12 Depth=1
	s_andn2_saveexec_b64 s[44:45], vcc
; %bb.234:                              ;   in Loop: Header=BB338_12 Depth=1
	v_accvgpr_read_b32 v4, a22
	v_accvgpr_read_b32 v5, a23
	v_or_b32_e32 v2, 0x10000, v1
	v_cmp_eq_u32_sdwa vcc, v1, v5 src0_sel:WORD_0 src1_sel:DWORD
	s_nop 1
	v_cndmask_b32_e32 v1, v2, v1, vcc
	v_accvgpr_write_b32 a43, v1
; %bb.235:                              ;   in Loop: Header=BB338_12 Depth=1
	s_or_b64 exec, exec, s[44:45]
	v_lshrrev_b32_e32 v0, 24, v0
	v_cvt_f32_fp8_sdwa v0, v0 src0_sel:BYTE_0
                                        ; implicit-def: $agpr15
	s_nop 0
	v_mul_f32_e32 v0, v33, v0
	v_and_b32_e32 v1, 0x7f800000, v0
	v_cmp_ne_u32_e32 vcc, s21, v1
	s_and_saveexec_b64 s[44:45], vcc
	s_xor_b64 vcc, exec, s[44:45]
; %bb.236:                              ;   in Loop: Header=BB338_12 Depth=1
	v_bfe_u32 v1, v0, 16, 1
	v_add3_u32 v0, v0, v1, s46
	v_accvgpr_write_b32 a15, v0
                                        ; implicit-def: $vgpr0
; %bb.237:                              ;   in Loop: Header=BB338_12 Depth=1
	s_andn2_saveexec_b64 s[44:45], vcc
; %bb.238:                              ;   in Loop: Header=BB338_12 Depth=1
	v_accvgpr_read_b32 v2, a22
	v_accvgpr_read_b32 v3, a23
	v_or_b32_e32 v1, 0x10000, v0
	v_cmp_eq_u32_sdwa vcc, v0, v3 src0_sel:WORD_0 src1_sel:DWORD
	s_nop 1
	v_cndmask_b32_e32 v0, v1, v0, vcc
	v_accvgpr_write_b32 a15, v0
; %bb.239:                              ;   in Loop: Header=BB338_12 Depth=1
	s_or_b64 exec, exec, s[44:45]
	flat_load_dword v0, v[42:43] offset:3584
                                        ; implicit-def: $agpr46
	s_waitcnt vmcnt(0) lgkmcnt(0)
	v_and_b32_e32 v1, 0xff, v0
	v_cvt_f32_fp8_sdwa v1, v1 src0_sel:BYTE_0
	s_nop 0
	v_mul_f32_e32 v1, v33, v1
	v_and_b32_e32 v2, 0x7f800000, v1
	v_cmp_ne_u32_e32 vcc, s21, v2
	s_and_saveexec_b64 s[44:45], vcc
	s_xor_b64 vcc, exec, s[44:45]
; %bb.240:                              ;   in Loop: Header=BB338_12 Depth=1
	v_bfe_u32 v2, v1, 16, 1
	v_add3_u32 v1, v1, v2, s46
	v_accvgpr_write_b32 a46, v1
                                        ; implicit-def: $vgpr1
; %bb.241:                              ;   in Loop: Header=BB338_12 Depth=1
	s_andn2_saveexec_b64 s[44:45], vcc
; %bb.242:                              ;   in Loop: Header=BB338_12 Depth=1
	v_accvgpr_read_b32 v4, a22
	v_accvgpr_read_b32 v5, a23
	v_or_b32_e32 v2, 0x10000, v1
	v_cmp_eq_u32_sdwa vcc, v1, v5 src0_sel:WORD_0 src1_sel:DWORD
	s_nop 1
	v_cndmask_b32_e32 v1, v2, v1, vcc
	v_accvgpr_write_b32 a46, v1
; %bb.243:                              ;   in Loop: Header=BB338_12 Depth=1
	s_or_b64 exec, exec, s[44:45]
	v_bfe_u32 v1, v0, 8, 8
	v_cvt_f32_fp8_sdwa v1, v1 src0_sel:BYTE_0
                                        ; implicit-def: $agpr32
	s_nop 0
	v_mul_f32_e32 v1, v33, v1
	v_and_b32_e32 v2, 0x7f800000, v1
	v_cmp_ne_u32_e32 vcc, s21, v2
	s_and_saveexec_b64 s[44:45], vcc
	s_xor_b64 vcc, exec, s[44:45]
; %bb.244:                              ;   in Loop: Header=BB338_12 Depth=1
	v_bfe_u32 v2, v1, 16, 1
	v_add3_u32 v1, v1, v2, s46
	v_accvgpr_write_b32 a32, v1
                                        ; implicit-def: $vgpr1
; %bb.245:                              ;   in Loop: Header=BB338_12 Depth=1
	s_andn2_saveexec_b64 s[44:45], vcc
; %bb.246:                              ;   in Loop: Header=BB338_12 Depth=1
	v_accvgpr_read_b32 v4, a22
	v_accvgpr_read_b32 v5, a23
	v_or_b32_e32 v2, 0x10000, v1
	v_cmp_eq_u32_sdwa vcc, v1, v5 src0_sel:WORD_0 src1_sel:DWORD
	s_nop 1
	v_cndmask_b32_e32 v1, v2, v1, vcc
	v_accvgpr_write_b32 a32, v1
; %bb.247:                              ;   in Loop: Header=BB338_12 Depth=1
	s_or_b64 exec, exec, s[44:45]
	v_bfe_u32 v1, v0, 16, 8
	v_cvt_f32_fp8_sdwa v1, v1 src0_sel:BYTE_0
                                        ; implicit-def: $agpr34
	s_nop 0
	v_mul_f32_e32 v1, v33, v1
	v_and_b32_e32 v2, 0x7f800000, v1
	v_cmp_ne_u32_e32 vcc, s21, v2
	s_and_saveexec_b64 s[44:45], vcc
	s_xor_b64 vcc, exec, s[44:45]
; %bb.248:                              ;   in Loop: Header=BB338_12 Depth=1
	v_bfe_u32 v2, v1, 16, 1
	v_add3_u32 v1, v1, v2, s46
	v_accvgpr_write_b32 a34, v1
                                        ; implicit-def: $vgpr1
; %bb.249:                              ;   in Loop: Header=BB338_12 Depth=1
	s_andn2_saveexec_b64 s[44:45], vcc
; %bb.250:                              ;   in Loop: Header=BB338_12 Depth=1
	v_accvgpr_read_b32 v4, a22
	v_accvgpr_read_b32 v5, a23
	v_or_b32_e32 v2, 0x10000, v1
	v_cmp_eq_u32_sdwa vcc, v1, v5 src0_sel:WORD_0 src1_sel:DWORD
	s_nop 1
	v_cndmask_b32_e32 v1, v2, v1, vcc
	v_accvgpr_write_b32 a34, v1
; %bb.251:                              ;   in Loop: Header=BB338_12 Depth=1
	s_or_b64 exec, exec, s[44:45]
	v_lshrrev_b32_e32 v0, 24, v0
	v_cvt_f32_fp8_sdwa v0, v0 src0_sel:BYTE_0
                                        ; implicit-def: $agpr50
	s_nop 0
	v_mul_f32_e32 v0, v33, v0
	v_and_b32_e32 v1, 0x7f800000, v0
	v_cmp_ne_u32_e32 vcc, s21, v1
	s_and_saveexec_b64 s[44:45], vcc
	s_xor_b64 vcc, exec, s[44:45]
; %bb.252:                              ;   in Loop: Header=BB338_12 Depth=1
	v_bfe_u32 v1, v0, 16, 1
	v_add3_u32 v0, v0, v1, s46
	v_accvgpr_write_b32 a50, v0
                                        ; implicit-def: $vgpr0
; %bb.253:                              ;   in Loop: Header=BB338_12 Depth=1
	s_andn2_saveexec_b64 s[44:45], vcc
; %bb.254:                              ;   in Loop: Header=BB338_12 Depth=1
	v_accvgpr_read_b32 v2, a22
	v_accvgpr_read_b32 v3, a23
	v_or_b32_e32 v1, 0x10000, v0
	v_cmp_eq_u32_sdwa vcc, v0, v3 src0_sel:WORD_0 src1_sel:DWORD
	s_nop 1
	v_cndmask_b32_e32 v0, v1, v0, vcc
	v_accvgpr_write_b32 a50, v0
; %bb.255:                              ;   in Loop: Header=BB338_12 Depth=1
	s_or_b64 exec, exec, s[44:45]
	flat_load_dword v0, v[42:43] offset:3592
                                        ; implicit-def: $agpr13
	s_waitcnt vmcnt(0) lgkmcnt(0)
	v_and_b32_e32 v1, 0xff, v0
	v_cvt_f32_fp8_sdwa v1, v1 src0_sel:BYTE_0
	s_nop 0
	v_mul_f32_e32 v1, v33, v1
	v_and_b32_e32 v2, 0x7f800000, v1
	v_cmp_ne_u32_e32 vcc, s21, v2
	s_and_saveexec_b64 s[44:45], vcc
	s_xor_b64 vcc, exec, s[44:45]
; %bb.256:                              ;   in Loop: Header=BB338_12 Depth=1
	v_bfe_u32 v2, v1, 16, 1
	v_add3_u32 v1, v1, v2, s46
	v_accvgpr_write_b32 a13, v1
                                        ; implicit-def: $vgpr1
; %bb.257:                              ;   in Loop: Header=BB338_12 Depth=1
	s_andn2_saveexec_b64 s[44:45], vcc
; %bb.258:                              ;   in Loop: Header=BB338_12 Depth=1
	v_accvgpr_read_b32 v4, a22
	v_accvgpr_read_b32 v5, a23
	v_or_b32_e32 v2, 0x10000, v1
	v_cmp_eq_u32_sdwa vcc, v1, v5 src0_sel:WORD_0 src1_sel:DWORD
	s_nop 1
	v_cndmask_b32_e32 v1, v2, v1, vcc
	v_accvgpr_write_b32 a13, v1
; %bb.259:                              ;   in Loop: Header=BB338_12 Depth=1
	s_or_b64 exec, exec, s[44:45]
	v_bfe_u32 v1, v0, 8, 8
	v_cvt_f32_fp8_sdwa v1, v1 src0_sel:BYTE_0
                                        ; implicit-def: $agpr2
	s_nop 0
	v_mul_f32_e32 v1, v33, v1
	v_and_b32_e32 v2, 0x7f800000, v1
	v_cmp_ne_u32_e32 vcc, s21, v2
	s_and_saveexec_b64 s[44:45], vcc
	s_xor_b64 vcc, exec, s[44:45]
; %bb.260:                              ;   in Loop: Header=BB338_12 Depth=1
	v_bfe_u32 v2, v1, 16, 1
	v_add3_u32 v1, v1, v2, s46
	v_accvgpr_write_b32 a2, v1
                                        ; implicit-def: $vgpr1
; %bb.261:                              ;   in Loop: Header=BB338_12 Depth=1
	s_andn2_saveexec_b64 s[44:45], vcc
; %bb.262:                              ;   in Loop: Header=BB338_12 Depth=1
	v_accvgpr_read_b32 v4, a22
	v_accvgpr_read_b32 v5, a23
	v_or_b32_e32 v2, 0x10000, v1
	v_cmp_eq_u32_sdwa vcc, v1, v5 src0_sel:WORD_0 src1_sel:DWORD
	s_nop 1
	v_cndmask_b32_e32 v1, v2, v1, vcc
	v_accvgpr_write_b32 a2, v1
; %bb.263:                              ;   in Loop: Header=BB338_12 Depth=1
	s_or_b64 exec, exec, s[44:45]
	v_bfe_u32 v1, v0, 16, 8
	v_cvt_f32_fp8_sdwa v1, v1 src0_sel:BYTE_0
                                        ; implicit-def: $agpr4
	s_nop 0
	v_mul_f32_e32 v1, v33, v1
	v_and_b32_e32 v2, 0x7f800000, v1
	v_cmp_ne_u32_e32 vcc, s21, v2
	s_and_saveexec_b64 s[44:45], vcc
	s_xor_b64 vcc, exec, s[44:45]
; %bb.264:                              ;   in Loop: Header=BB338_12 Depth=1
	v_bfe_u32 v2, v1, 16, 1
	v_add3_u32 v1, v1, v2, s46
	v_accvgpr_write_b32 a4, v1
                                        ; implicit-def: $vgpr1
; %bb.265:                              ;   in Loop: Header=BB338_12 Depth=1
	s_andn2_saveexec_b64 s[44:45], vcc
; %bb.266:                              ;   in Loop: Header=BB338_12 Depth=1
	v_accvgpr_read_b32 v4, a22
	v_accvgpr_read_b32 v5, a23
	v_or_b32_e32 v2, 0x10000, v1
	v_cmp_eq_u32_sdwa vcc, v1, v5 src0_sel:WORD_0 src1_sel:DWORD
	s_nop 1
	v_cndmask_b32_e32 v1, v2, v1, vcc
	v_accvgpr_write_b32 a4, v1
; %bb.267:                              ;   in Loop: Header=BB338_12 Depth=1
	s_or_b64 exec, exec, s[44:45]
	v_lshrrev_b32_e32 v0, 24, v0
	v_cvt_f32_fp8_sdwa v0, v0 src0_sel:BYTE_0
                                        ; implicit-def: $agpr27
	s_nop 0
	v_mul_f32_e32 v0, v33, v0
	v_and_b32_e32 v1, 0x7f800000, v0
	v_cmp_ne_u32_e32 vcc, s21, v1
	s_and_saveexec_b64 s[44:45], vcc
	s_xor_b64 vcc, exec, s[44:45]
; %bb.268:                              ;   in Loop: Header=BB338_12 Depth=1
	v_bfe_u32 v1, v0, 16, 1
	v_add3_u32 v0, v0, v1, s46
	v_accvgpr_write_b32 a27, v0
                                        ; implicit-def: $vgpr0
; %bb.269:                              ;   in Loop: Header=BB338_12 Depth=1
	s_andn2_saveexec_b64 s[44:45], vcc
; %bb.270:                              ;   in Loop: Header=BB338_12 Depth=1
	v_accvgpr_read_b32 v2, a22
	v_accvgpr_read_b32 v3, a23
	v_or_b32_e32 v1, 0x10000, v0
	v_cmp_eq_u32_sdwa vcc, v0, v3 src0_sel:WORD_0 src1_sel:DWORD
	s_nop 1
	v_cndmask_b32_e32 v0, v1, v0, vcc
	v_accvgpr_write_b32 a27, v0
; %bb.271:                              ;   in Loop: Header=BB338_12 Depth=1
	s_or_b64 exec, exec, s[44:45]
	v_add_co_u32_e32 v0, vcc, 0x1000, v42
                                        ; implicit-def: $vgpr35
	s_nop 1
	v_addc_co_u32_e32 v1, vcc, 0, v43, vcc
	flat_load_dword v0, v[0:1]
	s_waitcnt vmcnt(0) lgkmcnt(0)
	v_and_b32_e32 v1, 0xff, v0
	v_cvt_f32_fp8_sdwa v1, v1 src0_sel:BYTE_0
	s_nop 0
	v_mul_f32_e32 v1, v33, v1
	v_and_b32_e32 v2, 0x7f800000, v1
	v_cmp_ne_u32_e32 vcc, s21, v2
	s_and_saveexec_b64 s[44:45], vcc
	s_xor_b64 vcc, exec, s[44:45]
; %bb.272:                              ;   in Loop: Header=BB338_12 Depth=1
	v_bfe_u32 v2, v1, 16, 1
	v_add3_u32 v35, v1, v2, s46
                                        ; implicit-def: $vgpr1
; %bb.273:                              ;   in Loop: Header=BB338_12 Depth=1
	s_andn2_saveexec_b64 s[44:45], vcc
; %bb.274:                              ;   in Loop: Header=BB338_12 Depth=1
	v_accvgpr_read_b32 v4, a22
	v_accvgpr_read_b32 v5, a23
	v_or_b32_e32 v2, 0x10000, v1
	v_cmp_eq_u32_sdwa vcc, v1, v5 src0_sel:WORD_0 src1_sel:DWORD
	s_nop 1
	v_cndmask_b32_e32 v35, v2, v1, vcc
; %bb.275:                              ;   in Loop: Header=BB338_12 Depth=1
	s_or_b64 exec, exec, s[44:45]
	v_bfe_u32 v1, v0, 8, 8
	v_cvt_f32_fp8_sdwa v1, v1 src0_sel:BYTE_0
                                        ; implicit-def: $vgpr51
	s_nop 0
	v_mul_f32_e32 v1, v33, v1
	v_and_b32_e32 v2, 0x7f800000, v1
	v_cmp_ne_u32_e32 vcc, s21, v2
	s_and_saveexec_b64 s[44:45], vcc
	s_xor_b64 vcc, exec, s[44:45]
; %bb.276:                              ;   in Loop: Header=BB338_12 Depth=1
	v_bfe_u32 v2, v1, 16, 1
	v_add3_u32 v51, v1, v2, s46
                                        ; implicit-def: $vgpr1
; %bb.277:                              ;   in Loop: Header=BB338_12 Depth=1
	s_andn2_saveexec_b64 s[44:45], vcc
; %bb.278:                              ;   in Loop: Header=BB338_12 Depth=1
	v_accvgpr_read_b32 v4, a22
	v_accvgpr_read_b32 v5, a23
	v_or_b32_e32 v2, 0x10000, v1
	v_cmp_eq_u32_sdwa vcc, v1, v5 src0_sel:WORD_0 src1_sel:DWORD
	s_nop 1
	v_cndmask_b32_e32 v51, v2, v1, vcc
; %bb.279:                              ;   in Loop: Header=BB338_12 Depth=1
	s_or_b64 exec, exec, s[44:45]
	v_bfe_u32 v1, v0, 16, 8
	v_cvt_f32_fp8_sdwa v1, v1 src0_sel:BYTE_0
                                        ; implicit-def: $vgpr41
	s_nop 0
	v_mul_f32_e32 v1, v33, v1
	v_and_b32_e32 v2, 0x7f800000, v1
	v_cmp_ne_u32_e32 vcc, s21, v2
	s_and_saveexec_b64 s[44:45], vcc
	s_xor_b64 vcc, exec, s[44:45]
; %bb.280:                              ;   in Loop: Header=BB338_12 Depth=1
	v_bfe_u32 v2, v1, 16, 1
	v_add3_u32 v41, v1, v2, s46
                                        ; implicit-def: $vgpr1
; %bb.281:                              ;   in Loop: Header=BB338_12 Depth=1
	s_andn2_saveexec_b64 s[44:45], vcc
; %bb.282:                              ;   in Loop: Header=BB338_12 Depth=1
	v_accvgpr_read_b32 v4, a22
	v_accvgpr_read_b32 v5, a23
	v_or_b32_e32 v2, 0x10000, v1
	v_cmp_eq_u32_sdwa vcc, v1, v5 src0_sel:WORD_0 src1_sel:DWORD
	s_nop 1
	v_cndmask_b32_e32 v41, v2, v1, vcc
; %bb.283:                              ;   in Loop: Header=BB338_12 Depth=1
	s_or_b64 exec, exec, s[44:45]
	v_lshrrev_b32_e32 v0, 24, v0
	v_cvt_f32_fp8_sdwa v0, v0 src0_sel:BYTE_0
                                        ; implicit-def: $vgpr56
	s_nop 0
	v_mul_f32_e32 v0, v33, v0
	v_and_b32_e32 v1, 0x7f800000, v0
	v_cmp_ne_u32_e32 vcc, s21, v1
	s_and_saveexec_b64 s[44:45], vcc
	s_xor_b64 vcc, exec, s[44:45]
; %bb.284:                              ;   in Loop: Header=BB338_12 Depth=1
	v_bfe_u32 v1, v0, 16, 1
	v_add3_u32 v56, v0, v1, s46
                                        ; implicit-def: $vgpr0
; %bb.285:                              ;   in Loop: Header=BB338_12 Depth=1
	s_andn2_saveexec_b64 s[44:45], vcc
; %bb.286:                              ;   in Loop: Header=BB338_12 Depth=1
	v_accvgpr_read_b32 v2, a22
	v_accvgpr_read_b32 v3, a23
	v_or_b32_e32 v1, 0x10000, v0
	v_cmp_eq_u32_sdwa vcc, v0, v3 src0_sel:WORD_0 src1_sel:DWORD
	s_nop 1
	v_cndmask_b32_e32 v56, v1, v0, vcc
; %bb.287:                              ;   in Loop: Header=BB338_12 Depth=1
	s_or_b64 exec, exec, s[44:45]
	v_lshl_add_u64 v[0:1], v[42:43], 0, s[26:27]
	flat_load_dword v0, v[0:1] offset:8
                                        ; implicit-def: $vgpr57
	s_waitcnt vmcnt(0) lgkmcnt(0)
	v_and_b32_e32 v1, 0xff, v0
	v_cvt_f32_fp8_sdwa v1, v1 src0_sel:BYTE_0
	s_nop 0
	v_mul_f32_e32 v1, v33, v1
	v_and_b32_e32 v2, 0x7f800000, v1
	v_cmp_ne_u32_e32 vcc, s21, v2
	s_and_saveexec_b64 s[44:45], vcc
	s_xor_b64 vcc, exec, s[44:45]
; %bb.288:                              ;   in Loop: Header=BB338_12 Depth=1
	v_bfe_u32 v2, v1, 16, 1
	v_add3_u32 v57, v1, v2, s46
                                        ; implicit-def: $vgpr1
; %bb.289:                              ;   in Loop: Header=BB338_12 Depth=1
	s_andn2_saveexec_b64 s[44:45], vcc
; %bb.290:                              ;   in Loop: Header=BB338_12 Depth=1
	v_accvgpr_read_b32 v4, a22
	v_accvgpr_read_b32 v5, a23
	v_or_b32_e32 v2, 0x10000, v1
	v_cmp_eq_u32_sdwa vcc, v1, v5 src0_sel:WORD_0 src1_sel:DWORD
	s_nop 1
	v_cndmask_b32_e32 v57, v2, v1, vcc
; %bb.291:                              ;   in Loop: Header=BB338_12 Depth=1
	s_or_b64 exec, exec, s[44:45]
	v_bfe_u32 v1, v0, 8, 8
	v_cvt_f32_fp8_sdwa v1, v1 src0_sel:BYTE_0
                                        ; implicit-def: $vgpr58
	s_nop 0
	v_mul_f32_e32 v1, v33, v1
	v_and_b32_e32 v2, 0x7f800000, v1
	v_cmp_ne_u32_e32 vcc, s21, v2
	s_and_saveexec_b64 s[44:45], vcc
	s_xor_b64 vcc, exec, s[44:45]
; %bb.292:                              ;   in Loop: Header=BB338_12 Depth=1
	v_bfe_u32 v2, v1, 16, 1
	v_add3_u32 v58, v1, v2, s46
                                        ; implicit-def: $vgpr1
; %bb.293:                              ;   in Loop: Header=BB338_12 Depth=1
	s_andn2_saveexec_b64 s[44:45], vcc
; %bb.294:                              ;   in Loop: Header=BB338_12 Depth=1
	v_accvgpr_read_b32 v4, a22
	v_accvgpr_read_b32 v5, a23
	v_or_b32_e32 v2, 0x10000, v1
	v_cmp_eq_u32_sdwa vcc, v1, v5 src0_sel:WORD_0 src1_sel:DWORD
	s_nop 1
	v_cndmask_b32_e32 v58, v2, v1, vcc
; %bb.295:                              ;   in Loop: Header=BB338_12 Depth=1
	s_or_b64 exec, exec, s[44:45]
	v_bfe_u32 v1, v0, 16, 8
	v_cvt_f32_fp8_sdwa v1, v1 src0_sel:BYTE_0
                                        ; implicit-def: $agpr41
	s_nop 0
	v_mul_f32_e32 v1, v33, v1
	v_and_b32_e32 v2, 0x7f800000, v1
	v_cmp_ne_u32_e32 vcc, s21, v2
	s_and_saveexec_b64 s[44:45], vcc
	s_xor_b64 vcc, exec, s[44:45]
; %bb.296:                              ;   in Loop: Header=BB338_12 Depth=1
	v_bfe_u32 v2, v1, 16, 1
	v_add3_u32 v1, v1, v2, s46
	v_accvgpr_write_b32 a41, v1
                                        ; implicit-def: $vgpr1
; %bb.297:                              ;   in Loop: Header=BB338_12 Depth=1
	s_andn2_saveexec_b64 s[44:45], vcc
; %bb.298:                              ;   in Loop: Header=BB338_12 Depth=1
	v_accvgpr_read_b32 v4, a22
	v_accvgpr_read_b32 v5, a23
	v_or_b32_e32 v2, 0x10000, v1
	v_cmp_eq_u32_sdwa vcc, v1, v5 src0_sel:WORD_0 src1_sel:DWORD
	s_nop 1
	v_cndmask_b32_e32 v1, v2, v1, vcc
	v_accvgpr_write_b32 a41, v1
; %bb.299:                              ;   in Loop: Header=BB338_12 Depth=1
	s_or_b64 exec, exec, s[44:45]
	v_lshrrev_b32_e32 v0, 24, v0
	v_cvt_f32_fp8_sdwa v0, v0 src0_sel:BYTE_0
                                        ; implicit-def: $vgpr60
	s_nop 0
	v_mul_f32_e32 v0, v33, v0
	v_and_b32_e32 v1, 0x7f800000, v0
	v_cmp_ne_u32_e32 vcc, s21, v1
	s_and_saveexec_b64 s[44:45], vcc
	s_xor_b64 vcc, exec, s[44:45]
; %bb.300:                              ;   in Loop: Header=BB338_12 Depth=1
	v_bfe_u32 v1, v0, 16, 1
	v_add3_u32 v60, v0, v1, s46
                                        ; implicit-def: $vgpr0
; %bb.301:                              ;   in Loop: Header=BB338_12 Depth=1
	s_andn2_saveexec_b64 s[44:45], vcc
; %bb.302:                              ;   in Loop: Header=BB338_12 Depth=1
	v_accvgpr_read_b32 v2, a22
	v_accvgpr_read_b32 v3, a23
	v_or_b32_e32 v1, 0x10000, v0
	v_cmp_eq_u32_sdwa vcc, v0, v3 src0_sel:WORD_0 src1_sel:DWORD
	s_nop 1
	v_cndmask_b32_e32 v60, v1, v0, vcc
; %bb.303:                              ;   in Loop: Header=BB338_12 Depth=1
	s_or_b64 exec, exec, s[44:45]
	v_add_co_u32_e32 v0, vcc, 0x1000, v42
                                        ; implicit-def: $agpr30
	s_nop 1
	v_addc_co_u32_e32 v1, vcc, 0, v43, vcc
	flat_load_dword v0, v[0:1] offset:512
	s_waitcnt vmcnt(0) lgkmcnt(0)
	v_and_b32_e32 v1, 0xff, v0
	v_cvt_f32_fp8_sdwa v1, v1 src0_sel:BYTE_0
	s_nop 0
	v_mul_f32_e32 v1, v33, v1
	v_and_b32_e32 v2, 0x7f800000, v1
	v_cmp_ne_u32_e32 vcc, s21, v2
	s_and_saveexec_b64 s[44:45], vcc
	s_xor_b64 vcc, exec, s[44:45]
; %bb.304:                              ;   in Loop: Header=BB338_12 Depth=1
	v_bfe_u32 v2, v1, 16, 1
	v_add3_u32 v1, v1, v2, s46
	v_accvgpr_write_b32 a30, v1
                                        ; implicit-def: $vgpr1
; %bb.305:                              ;   in Loop: Header=BB338_12 Depth=1
	s_andn2_saveexec_b64 s[44:45], vcc
; %bb.306:                              ;   in Loop: Header=BB338_12 Depth=1
	v_accvgpr_read_b32 v4, a22
	v_accvgpr_read_b32 v5, a23
	v_or_b32_e32 v2, 0x10000, v1
	v_cmp_eq_u32_sdwa vcc, v1, v5 src0_sel:WORD_0 src1_sel:DWORD
	s_nop 1
	v_cndmask_b32_e32 v1, v2, v1, vcc
	v_accvgpr_write_b32 a30, v1
; %bb.307:                              ;   in Loop: Header=BB338_12 Depth=1
	s_or_b64 exec, exec, s[44:45]
	v_bfe_u32 v1, v0, 8, 8
	v_cvt_f32_fp8_sdwa v1, v1 src0_sel:BYTE_0
                                        ; implicit-def: $agpr35
	s_nop 0
	v_mul_f32_e32 v1, v33, v1
	v_and_b32_e32 v2, 0x7f800000, v1
	v_cmp_ne_u32_e32 vcc, s21, v2
	s_and_saveexec_b64 s[44:45], vcc
	s_xor_b64 vcc, exec, s[44:45]
; %bb.308:                              ;   in Loop: Header=BB338_12 Depth=1
	v_bfe_u32 v2, v1, 16, 1
	v_add3_u32 v1, v1, v2, s46
	v_accvgpr_write_b32 a35, v1
                                        ; implicit-def: $vgpr1
; %bb.309:                              ;   in Loop: Header=BB338_12 Depth=1
	s_andn2_saveexec_b64 s[44:45], vcc
; %bb.310:                              ;   in Loop: Header=BB338_12 Depth=1
	v_accvgpr_read_b32 v4, a22
	v_accvgpr_read_b32 v5, a23
	v_or_b32_e32 v2, 0x10000, v1
	v_cmp_eq_u32_sdwa vcc, v1, v5 src0_sel:WORD_0 src1_sel:DWORD
	s_nop 1
	v_cndmask_b32_e32 v1, v2, v1, vcc
	v_accvgpr_write_b32 a35, v1
; %bb.311:                              ;   in Loop: Header=BB338_12 Depth=1
	s_or_b64 exec, exec, s[44:45]
	v_bfe_u32 v1, v0, 16, 8
	v_cvt_f32_fp8_sdwa v1, v1 src0_sel:BYTE_0
                                        ; implicit-def: $agpr18
	s_nop 0
	v_mul_f32_e32 v1, v33, v1
	v_and_b32_e32 v2, 0x7f800000, v1
	v_cmp_ne_u32_e32 vcc, s21, v2
	s_and_saveexec_b64 s[44:45], vcc
	s_xor_b64 vcc, exec, s[44:45]
; %bb.312:                              ;   in Loop: Header=BB338_12 Depth=1
	v_bfe_u32 v2, v1, 16, 1
	v_add3_u32 v1, v1, v2, s46
	v_accvgpr_write_b32 a18, v1
                                        ; implicit-def: $vgpr1
; %bb.313:                              ;   in Loop: Header=BB338_12 Depth=1
	s_andn2_saveexec_b64 s[44:45], vcc
; %bb.314:                              ;   in Loop: Header=BB338_12 Depth=1
	v_accvgpr_read_b32 v4, a22
	v_accvgpr_read_b32 v5, a23
	v_or_b32_e32 v2, 0x10000, v1
	v_cmp_eq_u32_sdwa vcc, v1, v5 src0_sel:WORD_0 src1_sel:DWORD
	s_nop 1
	v_cndmask_b32_e32 v1, v2, v1, vcc
	v_accvgpr_write_b32 a18, v1
; %bb.315:                              ;   in Loop: Header=BB338_12 Depth=1
	s_or_b64 exec, exec, s[44:45]
	v_lshrrev_b32_e32 v0, 24, v0
	v_cvt_f32_fp8_sdwa v0, v0 src0_sel:BYTE_0
                                        ; implicit-def: $agpr29
	s_nop 0
	v_mul_f32_e32 v0, v33, v0
	v_and_b32_e32 v1, 0x7f800000, v0
	v_cmp_ne_u32_e32 vcc, s21, v1
	s_and_saveexec_b64 s[44:45], vcc
	s_xor_b64 vcc, exec, s[44:45]
; %bb.316:                              ;   in Loop: Header=BB338_12 Depth=1
	v_bfe_u32 v1, v0, 16, 1
	v_add3_u32 v0, v0, v1, s46
	v_accvgpr_write_b32 a29, v0
                                        ; implicit-def: $vgpr0
; %bb.317:                              ;   in Loop: Header=BB338_12 Depth=1
	s_andn2_saveexec_b64 s[44:45], vcc
; %bb.318:                              ;   in Loop: Header=BB338_12 Depth=1
	v_accvgpr_read_b32 v2, a22
	v_accvgpr_read_b32 v3, a23
	v_or_b32_e32 v1, 0x10000, v0
	v_cmp_eq_u32_sdwa vcc, v0, v3 src0_sel:WORD_0 src1_sel:DWORD
	s_nop 1
	v_cndmask_b32_e32 v0, v1, v0, vcc
	v_accvgpr_write_b32 a29, v0
; %bb.319:                              ;   in Loop: Header=BB338_12 Depth=1
	s_or_b64 exec, exec, s[44:45]
	v_lshl_add_u64 v[0:1], v[42:43], 0, s[28:29]
	flat_load_dword v0, v[0:1] offset:8
                                        ; implicit-def: $agpr33
	s_waitcnt vmcnt(0) lgkmcnt(0)
	v_and_b32_e32 v1, 0xff, v0
	v_cvt_f32_fp8_sdwa v1, v1 src0_sel:BYTE_0
	s_nop 0
	v_mul_f32_e32 v1, v33, v1
	v_and_b32_e32 v2, 0x7f800000, v1
	v_cmp_ne_u32_e32 vcc, s21, v2
	s_and_saveexec_b64 s[44:45], vcc
	s_xor_b64 vcc, exec, s[44:45]
; %bb.320:                              ;   in Loop: Header=BB338_12 Depth=1
	v_bfe_u32 v2, v1, 16, 1
	v_add3_u32 v1, v1, v2, s46
	v_accvgpr_write_b32 a33, v1
                                        ; implicit-def: $vgpr1
; %bb.321:                              ;   in Loop: Header=BB338_12 Depth=1
	s_andn2_saveexec_b64 s[44:45], vcc
; %bb.322:                              ;   in Loop: Header=BB338_12 Depth=1
	v_accvgpr_read_b32 v4, a22
	v_accvgpr_read_b32 v5, a23
	v_or_b32_e32 v2, 0x10000, v1
	v_cmp_eq_u32_sdwa vcc, v1, v5 src0_sel:WORD_0 src1_sel:DWORD
	s_nop 1
	v_cndmask_b32_e32 v1, v2, v1, vcc
	v_accvgpr_write_b32 a33, v1
; %bb.323:                              ;   in Loop: Header=BB338_12 Depth=1
	s_or_b64 exec, exec, s[44:45]
	v_bfe_u32 v1, v0, 8, 8
	v_cvt_f32_fp8_sdwa v1, v1 src0_sel:BYTE_0
                                        ; implicit-def: $agpr47
	s_nop 0
	v_mul_f32_e32 v1, v33, v1
	v_and_b32_e32 v2, 0x7f800000, v1
	v_cmp_ne_u32_e32 vcc, s21, v2
	s_and_saveexec_b64 s[44:45], vcc
	s_xor_b64 vcc, exec, s[44:45]
; %bb.324:                              ;   in Loop: Header=BB338_12 Depth=1
	v_bfe_u32 v2, v1, 16, 1
	v_add3_u32 v1, v1, v2, s46
	v_accvgpr_write_b32 a47, v1
                                        ; implicit-def: $vgpr1
; %bb.325:                              ;   in Loop: Header=BB338_12 Depth=1
	s_andn2_saveexec_b64 s[44:45], vcc
; %bb.326:                              ;   in Loop: Header=BB338_12 Depth=1
	v_accvgpr_read_b32 v4, a22
	v_accvgpr_read_b32 v5, a23
	v_or_b32_e32 v2, 0x10000, v1
	v_cmp_eq_u32_sdwa vcc, v1, v5 src0_sel:WORD_0 src1_sel:DWORD
	s_nop 1
	v_cndmask_b32_e32 v1, v2, v1, vcc
	v_accvgpr_write_b32 a47, v1
; %bb.327:                              ;   in Loop: Header=BB338_12 Depth=1
	s_or_b64 exec, exec, s[44:45]
	v_bfe_u32 v1, v0, 16, 8
	v_cvt_f32_fp8_sdwa v1, v1 src0_sel:BYTE_0
                                        ; implicit-def: $agpr8
	s_nop 0
	v_mul_f32_e32 v1, v33, v1
	v_and_b32_e32 v2, 0x7f800000, v1
	v_cmp_ne_u32_e32 vcc, s21, v2
	s_and_saveexec_b64 s[44:45], vcc
	s_xor_b64 vcc, exec, s[44:45]
; %bb.328:                              ;   in Loop: Header=BB338_12 Depth=1
	v_bfe_u32 v2, v1, 16, 1
	v_add3_u32 v1, v1, v2, s46
	v_accvgpr_write_b32 a8, v1
                                        ; implicit-def: $vgpr1
; %bb.329:                              ;   in Loop: Header=BB338_12 Depth=1
	s_andn2_saveexec_b64 s[44:45], vcc
; %bb.330:                              ;   in Loop: Header=BB338_12 Depth=1
	v_accvgpr_read_b32 v4, a22
	v_accvgpr_read_b32 v5, a23
	v_or_b32_e32 v2, 0x10000, v1
	v_cmp_eq_u32_sdwa vcc, v1, v5 src0_sel:WORD_0 src1_sel:DWORD
	s_nop 1
	v_cndmask_b32_e32 v1, v2, v1, vcc
	v_accvgpr_write_b32 a8, v1
; %bb.331:                              ;   in Loop: Header=BB338_12 Depth=1
	s_or_b64 exec, exec, s[44:45]
	v_lshrrev_b32_e32 v0, 24, v0
	v_cvt_f32_fp8_sdwa v0, v0 src0_sel:BYTE_0
                                        ; implicit-def: $agpr45
	s_nop 0
	v_mul_f32_e32 v0, v33, v0
	v_and_b32_e32 v1, 0x7f800000, v0
	v_cmp_ne_u32_e32 vcc, s21, v1
	s_and_saveexec_b64 s[44:45], vcc
	s_xor_b64 vcc, exec, s[44:45]
; %bb.332:                              ;   in Loop: Header=BB338_12 Depth=1
	v_bfe_u32 v1, v0, 16, 1
	v_add3_u32 v0, v0, v1, s46
	v_accvgpr_write_b32 a45, v0
                                        ; implicit-def: $vgpr0
; %bb.333:                              ;   in Loop: Header=BB338_12 Depth=1
	s_andn2_saveexec_b64 s[44:45], vcc
; %bb.334:                              ;   in Loop: Header=BB338_12 Depth=1
	v_accvgpr_read_b32 v2, a22
	v_accvgpr_read_b32 v3, a23
	v_or_b32_e32 v1, 0x10000, v0
	v_cmp_eq_u32_sdwa vcc, v0, v3 src0_sel:WORD_0 src1_sel:DWORD
	s_nop 1
	v_cndmask_b32_e32 v0, v1, v0, vcc
	v_accvgpr_write_b32 a45, v0
; %bb.335:                              ;   in Loop: Header=BB338_12 Depth=1
	s_or_b64 exec, exec, s[44:45]
	v_add_co_u32_e32 v0, vcc, 0x1000, v42
                                        ; implicit-def: $agpr39
	s_nop 1
	v_addc_co_u32_e32 v1, vcc, 0, v43, vcc
	flat_load_dword v0, v[0:1] offset:1024
	s_waitcnt vmcnt(0) lgkmcnt(0)
	v_and_b32_e32 v1, 0xff, v0
	v_cvt_f32_fp8_sdwa v1, v1 src0_sel:BYTE_0
	s_nop 0
	v_mul_f32_e32 v1, v33, v1
	v_and_b32_e32 v2, 0x7f800000, v1
	v_cmp_ne_u32_e32 vcc, s21, v2
	s_and_saveexec_b64 s[44:45], vcc
	s_xor_b64 vcc, exec, s[44:45]
; %bb.336:                              ;   in Loop: Header=BB338_12 Depth=1
	v_bfe_u32 v2, v1, 16, 1
	v_add3_u32 v1, v1, v2, s46
	v_accvgpr_write_b32 a39, v1
                                        ; implicit-def: $vgpr1
; %bb.337:                              ;   in Loop: Header=BB338_12 Depth=1
	s_andn2_saveexec_b64 s[44:45], vcc
; %bb.338:                              ;   in Loop: Header=BB338_12 Depth=1
	v_accvgpr_read_b32 v4, a22
	v_accvgpr_read_b32 v5, a23
	v_or_b32_e32 v2, 0x10000, v1
	v_cmp_eq_u32_sdwa vcc, v1, v5 src0_sel:WORD_0 src1_sel:DWORD
	s_nop 1
	v_cndmask_b32_e32 v1, v2, v1, vcc
	v_accvgpr_write_b32 a39, v1
; %bb.339:                              ;   in Loop: Header=BB338_12 Depth=1
	s_or_b64 exec, exec, s[44:45]
	v_bfe_u32 v1, v0, 8, 8
	v_cvt_f32_fp8_sdwa v1, v1 src0_sel:BYTE_0
                                        ; implicit-def: $agpr36
	s_nop 0
	v_mul_f32_e32 v1, v33, v1
	v_and_b32_e32 v2, 0x7f800000, v1
	v_cmp_ne_u32_e32 vcc, s21, v2
	s_and_saveexec_b64 s[44:45], vcc
	s_xor_b64 vcc, exec, s[44:45]
; %bb.340:                              ;   in Loop: Header=BB338_12 Depth=1
	v_bfe_u32 v2, v1, 16, 1
	v_add3_u32 v1, v1, v2, s46
	v_accvgpr_write_b32 a36, v1
                                        ; implicit-def: $vgpr1
; %bb.341:                              ;   in Loop: Header=BB338_12 Depth=1
	s_andn2_saveexec_b64 s[44:45], vcc
; %bb.342:                              ;   in Loop: Header=BB338_12 Depth=1
	v_accvgpr_read_b32 v4, a22
	v_accvgpr_read_b32 v5, a23
	v_or_b32_e32 v2, 0x10000, v1
	v_cmp_eq_u32_sdwa vcc, v1, v5 src0_sel:WORD_0 src1_sel:DWORD
	s_nop 1
	v_cndmask_b32_e32 v1, v2, v1, vcc
	v_accvgpr_write_b32 a36, v1
; %bb.343:                              ;   in Loop: Header=BB338_12 Depth=1
	s_or_b64 exec, exec, s[44:45]
	v_bfe_u32 v1, v0, 16, 8
	v_cvt_f32_fp8_sdwa v1, v1 src0_sel:BYTE_0
                                        ; implicit-def: $agpr5
	s_nop 0
	v_mul_f32_e32 v1, v33, v1
	v_and_b32_e32 v2, 0x7f800000, v1
	v_cmp_ne_u32_e32 vcc, s21, v2
	s_and_saveexec_b64 s[44:45], vcc
	s_xor_b64 vcc, exec, s[44:45]
; %bb.344:                              ;   in Loop: Header=BB338_12 Depth=1
	v_bfe_u32 v2, v1, 16, 1
	v_add3_u32 v1, v1, v2, s46
	v_accvgpr_write_b32 a5, v1
                                        ; implicit-def: $vgpr1
; %bb.345:                              ;   in Loop: Header=BB338_12 Depth=1
	s_andn2_saveexec_b64 s[44:45], vcc
; %bb.346:                              ;   in Loop: Header=BB338_12 Depth=1
	v_accvgpr_read_b32 v4, a22
	v_accvgpr_read_b32 v5, a23
	v_or_b32_e32 v2, 0x10000, v1
	v_cmp_eq_u32_sdwa vcc, v1, v5 src0_sel:WORD_0 src1_sel:DWORD
	s_nop 1
	v_cndmask_b32_e32 v1, v2, v1, vcc
	v_accvgpr_write_b32 a5, v1
; %bb.347:                              ;   in Loop: Header=BB338_12 Depth=1
	s_or_b64 exec, exec, s[44:45]
	v_lshrrev_b32_e32 v0, 24, v0
	v_cvt_f32_fp8_sdwa v0, v0 src0_sel:BYTE_0
                                        ; implicit-def: $agpr37
	s_nop 0
	v_mul_f32_e32 v0, v33, v0
	v_and_b32_e32 v1, 0x7f800000, v0
	v_cmp_ne_u32_e32 vcc, s21, v1
	s_and_saveexec_b64 s[44:45], vcc
	s_xor_b64 vcc, exec, s[44:45]
; %bb.348:                              ;   in Loop: Header=BB338_12 Depth=1
	v_bfe_u32 v1, v0, 16, 1
	v_add3_u32 v0, v0, v1, s46
	v_accvgpr_write_b32 a37, v0
                                        ; implicit-def: $vgpr0
; %bb.349:                              ;   in Loop: Header=BB338_12 Depth=1
	s_andn2_saveexec_b64 s[44:45], vcc
; %bb.350:                              ;   in Loop: Header=BB338_12 Depth=1
	v_accvgpr_read_b32 v2, a22
	v_accvgpr_read_b32 v3, a23
	v_or_b32_e32 v1, 0x10000, v0
	v_cmp_eq_u32_sdwa vcc, v0, v3 src0_sel:WORD_0 src1_sel:DWORD
	s_nop 1
	v_cndmask_b32_e32 v0, v1, v0, vcc
	v_accvgpr_write_b32 a37, v0
; %bb.351:                              ;   in Loop: Header=BB338_12 Depth=1
	s_or_b64 exec, exec, s[44:45]
	v_lshl_add_u64 v[0:1], v[42:43], 0, s[30:31]
	flat_load_dword v0, v[0:1] offset:8
                                        ; implicit-def: $agpr16
	s_waitcnt vmcnt(0) lgkmcnt(0)
	v_and_b32_e32 v1, 0xff, v0
	v_cvt_f32_fp8_sdwa v1, v1 src0_sel:BYTE_0
	s_nop 0
	v_mul_f32_e32 v1, v33, v1
	v_and_b32_e32 v2, 0x7f800000, v1
	v_cmp_ne_u32_e32 vcc, s21, v2
	s_and_saveexec_b64 s[44:45], vcc
	s_xor_b64 vcc, exec, s[44:45]
; %bb.352:                              ;   in Loop: Header=BB338_12 Depth=1
	v_bfe_u32 v2, v1, 16, 1
	v_add3_u32 v1, v1, v2, s46
	v_accvgpr_write_b32 a16, v1
                                        ; implicit-def: $vgpr1
; %bb.353:                              ;   in Loop: Header=BB338_12 Depth=1
	s_andn2_saveexec_b64 s[44:45], vcc
; %bb.354:                              ;   in Loop: Header=BB338_12 Depth=1
	v_accvgpr_read_b32 v4, a22
	v_accvgpr_read_b32 v5, a23
	v_or_b32_e32 v2, 0x10000, v1
	v_cmp_eq_u32_sdwa vcc, v1, v5 src0_sel:WORD_0 src1_sel:DWORD
	s_nop 1
	v_cndmask_b32_e32 v1, v2, v1, vcc
	v_accvgpr_write_b32 a16, v1
; %bb.355:                              ;   in Loop: Header=BB338_12 Depth=1
	s_or_b64 exec, exec, s[44:45]
	v_bfe_u32 v1, v0, 8, 8
	v_cvt_f32_fp8_sdwa v1, v1 src0_sel:BYTE_0
                                        ; implicit-def: $agpr49
	s_nop 0
	v_mul_f32_e32 v1, v33, v1
	v_and_b32_e32 v2, 0x7f800000, v1
	v_cmp_ne_u32_e32 vcc, s21, v2
	s_and_saveexec_b64 s[44:45], vcc
	s_xor_b64 vcc, exec, s[44:45]
; %bb.356:                              ;   in Loop: Header=BB338_12 Depth=1
	v_bfe_u32 v2, v1, 16, 1
	v_add3_u32 v1, v1, v2, s46
	v_accvgpr_write_b32 a49, v1
                                        ; implicit-def: $vgpr1
; %bb.357:                              ;   in Loop: Header=BB338_12 Depth=1
	s_andn2_saveexec_b64 s[44:45], vcc
; %bb.358:                              ;   in Loop: Header=BB338_12 Depth=1
	v_accvgpr_read_b32 v4, a22
	v_accvgpr_read_b32 v5, a23
	v_or_b32_e32 v2, 0x10000, v1
	v_cmp_eq_u32_sdwa vcc, v1, v5 src0_sel:WORD_0 src1_sel:DWORD
	s_nop 1
	v_cndmask_b32_e32 v1, v2, v1, vcc
	v_accvgpr_write_b32 a49, v1
; %bb.359:                              ;   in Loop: Header=BB338_12 Depth=1
	s_or_b64 exec, exec, s[44:45]
	v_bfe_u32 v1, v0, 16, 8
	v_cvt_f32_fp8_sdwa v1, v1 src0_sel:BYTE_0
                                        ; implicit-def: $agpr9
	s_nop 0
	v_mul_f32_e32 v1, v33, v1
	v_and_b32_e32 v2, 0x7f800000, v1
	v_cmp_ne_u32_e32 vcc, s21, v2
	s_and_saveexec_b64 s[44:45], vcc
	s_xor_b64 vcc, exec, s[44:45]
; %bb.360:                              ;   in Loop: Header=BB338_12 Depth=1
	v_bfe_u32 v2, v1, 16, 1
	v_add3_u32 v1, v1, v2, s46
	v_accvgpr_write_b32 a9, v1
                                        ; implicit-def: $vgpr1
; %bb.361:                              ;   in Loop: Header=BB338_12 Depth=1
	s_andn2_saveexec_b64 s[44:45], vcc
; %bb.362:                              ;   in Loop: Header=BB338_12 Depth=1
	v_accvgpr_read_b32 v4, a22
	v_accvgpr_read_b32 v5, a23
	v_or_b32_e32 v2, 0x10000, v1
	v_cmp_eq_u32_sdwa vcc, v1, v5 src0_sel:WORD_0 src1_sel:DWORD
	s_nop 1
	v_cndmask_b32_e32 v1, v2, v1, vcc
	v_accvgpr_write_b32 a9, v1
; %bb.363:                              ;   in Loop: Header=BB338_12 Depth=1
	s_or_b64 exec, exec, s[44:45]
	v_lshrrev_b32_e32 v0, 24, v0
	v_cvt_f32_fp8_sdwa v0, v0 src0_sel:BYTE_0
                                        ; implicit-def: $agpr17
	s_nop 0
	v_mul_f32_e32 v0, v33, v0
	v_and_b32_e32 v1, 0x7f800000, v0
	v_cmp_ne_u32_e32 vcc, s21, v1
	s_and_saveexec_b64 s[44:45], vcc
	s_xor_b64 vcc, exec, s[44:45]
; %bb.364:                              ;   in Loop: Header=BB338_12 Depth=1
	v_bfe_u32 v1, v0, 16, 1
	v_add3_u32 v0, v0, v1, s46
	v_accvgpr_write_b32 a17, v0
                                        ; implicit-def: $vgpr0
; %bb.365:                              ;   in Loop: Header=BB338_12 Depth=1
	s_andn2_saveexec_b64 s[44:45], vcc
; %bb.366:                              ;   in Loop: Header=BB338_12 Depth=1
	v_accvgpr_read_b32 v2, a22
	v_accvgpr_read_b32 v3, a23
	v_or_b32_e32 v1, 0x10000, v0
	v_cmp_eq_u32_sdwa vcc, v0, v3 src0_sel:WORD_0 src1_sel:DWORD
	s_nop 1
	v_cndmask_b32_e32 v0, v1, v0, vcc
	v_accvgpr_write_b32 a17, v0
; %bb.367:                              ;   in Loop: Header=BB338_12 Depth=1
	s_or_b64 exec, exec, s[44:45]
	v_add_co_u32_e32 v0, vcc, 0x1000, v42
                                        ; implicit-def: $agpr19
	s_nop 1
	v_addc_co_u32_e32 v1, vcc, 0, v43, vcc
	flat_load_dword v0, v[0:1] offset:1536
	s_waitcnt vmcnt(0) lgkmcnt(0)
	v_and_b32_e32 v1, 0xff, v0
	v_cvt_f32_fp8_sdwa v1, v1 src0_sel:BYTE_0
	s_nop 0
	v_mul_f32_e32 v1, v33, v1
	v_and_b32_e32 v2, 0x7f800000, v1
	v_cmp_ne_u32_e32 vcc, s21, v2
	s_and_saveexec_b64 s[44:45], vcc
	s_xor_b64 vcc, exec, s[44:45]
; %bb.368:                              ;   in Loop: Header=BB338_12 Depth=1
	v_bfe_u32 v2, v1, 16, 1
	v_add3_u32 v1, v1, v2, s46
	v_accvgpr_write_b32 a19, v1
                                        ; implicit-def: $vgpr1
; %bb.369:                              ;   in Loop: Header=BB338_12 Depth=1
	s_andn2_saveexec_b64 s[44:45], vcc
; %bb.370:                              ;   in Loop: Header=BB338_12 Depth=1
	v_accvgpr_read_b32 v4, a22
	v_accvgpr_read_b32 v5, a23
	v_or_b32_e32 v2, 0x10000, v1
	v_cmp_eq_u32_sdwa vcc, v1, v5 src0_sel:WORD_0 src1_sel:DWORD
	s_nop 1
	v_cndmask_b32_e32 v1, v2, v1, vcc
	v_accvgpr_write_b32 a19, v1
; %bb.371:                              ;   in Loop: Header=BB338_12 Depth=1
	s_or_b64 exec, exec, s[44:45]
	v_bfe_u32 v1, v0, 8, 8
	v_cvt_f32_fp8_sdwa v1, v1 src0_sel:BYTE_0
                                        ; implicit-def: $agpr14
	s_nop 0
	v_mul_f32_e32 v1, v33, v1
	v_and_b32_e32 v2, 0x7f800000, v1
	v_cmp_ne_u32_e32 vcc, s21, v2
	s_and_saveexec_b64 s[44:45], vcc
	s_xor_b64 vcc, exec, s[44:45]
; %bb.372:                              ;   in Loop: Header=BB338_12 Depth=1
	v_bfe_u32 v2, v1, 16, 1
	v_add3_u32 v1, v1, v2, s46
	v_accvgpr_write_b32 a14, v1
                                        ; implicit-def: $vgpr1
; %bb.373:                              ;   in Loop: Header=BB338_12 Depth=1
	s_andn2_saveexec_b64 s[44:45], vcc
; %bb.374:                              ;   in Loop: Header=BB338_12 Depth=1
	v_accvgpr_read_b32 v4, a22
	v_accvgpr_read_b32 v5, a23
	v_or_b32_e32 v2, 0x10000, v1
	v_cmp_eq_u32_sdwa vcc, v1, v5 src0_sel:WORD_0 src1_sel:DWORD
	s_nop 1
	v_cndmask_b32_e32 v1, v2, v1, vcc
	v_accvgpr_write_b32 a14, v1
; %bb.375:                              ;   in Loop: Header=BB338_12 Depth=1
	s_or_b64 exec, exec, s[44:45]
	v_bfe_u32 v1, v0, 16, 8
	v_cvt_f32_fp8_sdwa v1, v1 src0_sel:BYTE_0
                                        ; implicit-def: $agpr3
	s_nop 0
	v_mul_f32_e32 v1, v33, v1
	v_and_b32_e32 v2, 0x7f800000, v1
	v_cmp_ne_u32_e32 vcc, s21, v2
	s_and_saveexec_b64 s[44:45], vcc
	s_xor_b64 vcc, exec, s[44:45]
; %bb.376:                              ;   in Loop: Header=BB338_12 Depth=1
	v_bfe_u32 v2, v1, 16, 1
	v_add3_u32 v1, v1, v2, s46
	v_accvgpr_write_b32 a3, v1
                                        ; implicit-def: $vgpr1
; %bb.377:                              ;   in Loop: Header=BB338_12 Depth=1
	s_andn2_saveexec_b64 s[44:45], vcc
; %bb.378:                              ;   in Loop: Header=BB338_12 Depth=1
	v_accvgpr_read_b32 v4, a22
	v_accvgpr_read_b32 v5, a23
	v_or_b32_e32 v2, 0x10000, v1
	v_cmp_eq_u32_sdwa vcc, v1, v5 src0_sel:WORD_0 src1_sel:DWORD
	s_nop 1
	v_cndmask_b32_e32 v1, v2, v1, vcc
	v_accvgpr_write_b32 a3, v1
; %bb.379:                              ;   in Loop: Header=BB338_12 Depth=1
	s_or_b64 exec, exec, s[44:45]
	v_lshrrev_b32_e32 v0, 24, v0
	v_cvt_f32_fp8_sdwa v0, v0 src0_sel:BYTE_0
                                        ; implicit-def: $agpr12
	s_nop 0
	v_mul_f32_e32 v0, v33, v0
	v_and_b32_e32 v1, 0x7f800000, v0
	v_cmp_ne_u32_e32 vcc, s21, v1
	s_and_saveexec_b64 s[44:45], vcc
	s_xor_b64 vcc, exec, s[44:45]
; %bb.380:                              ;   in Loop: Header=BB338_12 Depth=1
	v_bfe_u32 v1, v0, 16, 1
	v_add3_u32 v0, v0, v1, s46
	v_accvgpr_write_b32 a12, v0
                                        ; implicit-def: $vgpr0
; %bb.381:                              ;   in Loop: Header=BB338_12 Depth=1
	s_andn2_saveexec_b64 s[44:45], vcc
; %bb.382:                              ;   in Loop: Header=BB338_12 Depth=1
	v_accvgpr_read_b32 v2, a22
	v_accvgpr_read_b32 v3, a23
	v_or_b32_e32 v1, 0x10000, v0
	v_cmp_eq_u32_sdwa vcc, v0, v3 src0_sel:WORD_0 src1_sel:DWORD
	s_nop 1
	v_cndmask_b32_e32 v0, v1, v0, vcc
	v_accvgpr_write_b32 a12, v0
; %bb.383:                              ;   in Loop: Header=BB338_12 Depth=1
	s_or_b64 exec, exec, s[44:45]
	v_lshl_add_u64 v[0:1], v[42:43], 0, s[34:35]
	flat_load_dword v1, v[0:1] offset:8
                                        ; implicit-def: $vgpr3
	s_waitcnt vmcnt(0) lgkmcnt(0)
	v_and_b32_e32 v0, 0xff, v1
	v_cvt_f32_fp8_sdwa v0, v0 src0_sel:BYTE_0
	s_nop 0
	v_mul_f32_e32 v0, v33, v0
	v_and_b32_e32 v2, 0x7f800000, v0
	v_cmp_ne_u32_e32 vcc, s21, v2
	s_and_saveexec_b64 s[44:45], vcc
	s_xor_b64 vcc, exec, s[44:45]
; %bb.384:                              ;   in Loop: Header=BB338_12 Depth=1
	v_bfe_u32 v2, v0, 16, 1
	v_add3_u32 v3, v0, v2, s46
                                        ; implicit-def: $vgpr0
; %bb.385:                              ;   in Loop: Header=BB338_12 Depth=1
	s_andn2_saveexec_b64 s[44:45], vcc
; %bb.386:                              ;   in Loop: Header=BB338_12 Depth=1
	v_accvgpr_read_b32 v4, a22
	v_accvgpr_read_b32 v5, a23
	v_or_b32_e32 v2, 0x10000, v0
	v_cmp_eq_u32_sdwa vcc, v0, v5 src0_sel:WORD_0 src1_sel:DWORD
	s_nop 1
	v_cndmask_b32_e32 v3, v2, v0, vcc
; %bb.387:                              ;   in Loop: Header=BB338_12 Depth=1
	s_or_b64 exec, exec, s[44:45]
	v_bfe_u32 v0, v1, 8, 8
	v_cvt_f32_fp8_sdwa v0, v0 src0_sel:BYTE_0
                                        ; implicit-def: $vgpr27
	s_nop 0
	v_mul_f32_e32 v0, v33, v0
	v_and_b32_e32 v2, 0x7f800000, v0
	v_cmp_ne_u32_e32 vcc, s21, v2
	s_and_saveexec_b64 s[44:45], vcc
	s_xor_b64 vcc, exec, s[44:45]
; %bb.388:                              ;   in Loop: Header=BB338_12 Depth=1
	v_bfe_u32 v2, v0, 16, 1
	v_add3_u32 v27, v0, v2, s46
                                        ; implicit-def: $vgpr0
; %bb.389:                              ;   in Loop: Header=BB338_12 Depth=1
	s_andn2_saveexec_b64 s[44:45], vcc
; %bb.390:                              ;   in Loop: Header=BB338_12 Depth=1
	v_accvgpr_read_b32 v4, a22
	v_accvgpr_read_b32 v5, a23
	v_or_b32_e32 v2, 0x10000, v0
	v_cmp_eq_u32_sdwa vcc, v0, v5 src0_sel:WORD_0 src1_sel:DWORD
	s_nop 1
	v_cndmask_b32_e32 v27, v2, v0, vcc
; %bb.391:                              ;   in Loop: Header=BB338_12 Depth=1
	s_or_b64 exec, exec, s[44:45]
	v_bfe_u32 v0, v1, 16, 8
	v_cvt_f32_fp8_sdwa v0, v0 src0_sel:BYTE_0
	s_nop 0
	v_mul_f32_e32 v2, v33, v0
	v_and_b32_e32 v0, 0x7f800000, v2
	v_cmp_ne_u32_e32 vcc, s21, v0
                                        ; implicit-def: $vgpr0
	s_and_saveexec_b64 s[44:45], vcc
	s_xor_b64 vcc, exec, s[44:45]
; %bb.392:                              ;   in Loop: Header=BB338_12 Depth=1
	v_bfe_u32 v0, v2, 16, 1
	v_add3_u32 v0, v2, v0, s46
                                        ; implicit-def: $vgpr2
; %bb.393:                              ;   in Loop: Header=BB338_12 Depth=1
	s_andn2_saveexec_b64 s[44:45], vcc
; %bb.394:                              ;   in Loop: Header=BB338_12 Depth=1
	v_accvgpr_read_b32 v4, a22
	v_accvgpr_read_b32 v5, a23
	v_or_b32_e32 v0, 0x10000, v2
	v_cmp_eq_u32_sdwa vcc, v2, v5 src0_sel:WORD_0 src1_sel:DWORD
	s_nop 1
	v_cndmask_b32_e32 v0, v0, v2, vcc
; %bb.395:                              ;   in Loop: Header=BB338_12 Depth=1
	s_or_b64 exec, exec, s[44:45]
	v_lshrrev_b32_e32 v1, 24, v1
	v_cvt_f32_fp8_sdwa v1, v1 src0_sel:BYTE_0
	s_nop 0
	v_mul_f32_e32 v2, v33, v1
	v_and_b32_e32 v1, 0x7f800000, v2
	v_cmp_ne_u32_e32 vcc, s21, v1
                                        ; implicit-def: $vgpr1
	s_and_saveexec_b64 s[44:45], vcc
	s_xor_b64 vcc, exec, s[44:45]
; %bb.396:                              ;   in Loop: Header=BB338_12 Depth=1
	v_bfe_u32 v1, v2, 16, 1
	v_add3_u32 v1, v2, v1, s46
                                        ; implicit-def: $vgpr2
; %bb.397:                              ;   in Loop: Header=BB338_12 Depth=1
	s_andn2_saveexec_b64 s[44:45], vcc
; %bb.398:                              ;   in Loop: Header=BB338_12 Depth=1
	v_accvgpr_read_b32 v4, a22
	v_accvgpr_read_b32 v5, a23
	v_or_b32_e32 v1, 0x10000, v2
	v_cmp_eq_u32_sdwa vcc, v2, v5 src0_sel:WORD_0 src1_sel:DWORD
	s_nop 1
	v_cndmask_b32_e32 v1, v1, v2, vcc
; %bb.399:                              ;   in Loop: Header=BB338_12 Depth=1
	s_or_b64 exec, exec, s[44:45]
	v_add_co_u32_e32 v4, vcc, 0x1000, v42
                                        ; implicit-def: $vgpr17
	s_nop 1
	v_addc_co_u32_e32 v5, vcc, 0, v43, vcc
	flat_load_dword v2, v[4:5] offset:2048
	s_waitcnt vmcnt(0) lgkmcnt(0)
	v_and_b32_e32 v4, 0xff, v2
	v_cvt_f32_fp8_sdwa v4, v4 src0_sel:BYTE_0
	s_nop 0
	v_mul_f32_e32 v4, v33, v4
	v_and_b32_e32 v5, 0x7f800000, v4
	v_cmp_ne_u32_e32 vcc, s21, v5
	s_and_saveexec_b64 s[44:45], vcc
	s_xor_b64 vcc, exec, s[44:45]
; %bb.400:                              ;   in Loop: Header=BB338_12 Depth=1
	v_bfe_u32 v5, v4, 16, 1
	v_add3_u32 v17, v4, v5, s46
                                        ; implicit-def: $vgpr4
; %bb.401:                              ;   in Loop: Header=BB338_12 Depth=1
	s_andn2_saveexec_b64 s[44:45], vcc
; %bb.402:                              ;   in Loop: Header=BB338_12 Depth=1
	v_accvgpr_read_b32 v6, a22
	v_accvgpr_read_b32 v7, a23
	v_or_b32_e32 v5, 0x10000, v4
	v_cmp_eq_u32_sdwa vcc, v4, v7 src0_sel:WORD_0 src1_sel:DWORD
	s_nop 1
	v_cndmask_b32_e32 v17, v5, v4, vcc
; %bb.403:                              ;   in Loop: Header=BB338_12 Depth=1
	s_or_b64 exec, exec, s[44:45]
	v_bfe_u32 v4, v2, 8, 8
	v_cvt_f32_fp8_sdwa v4, v4 src0_sel:BYTE_0
                                        ; implicit-def: $vgpr34
	s_nop 0
	v_mul_f32_e32 v4, v33, v4
	v_and_b32_e32 v5, 0x7f800000, v4
	v_cmp_ne_u32_e32 vcc, s21, v5
	s_and_saveexec_b64 s[44:45], vcc
	s_xor_b64 vcc, exec, s[44:45]
; %bb.404:                              ;   in Loop: Header=BB338_12 Depth=1
	v_bfe_u32 v5, v4, 16, 1
	v_add3_u32 v34, v4, v5, s46
                                        ; implicit-def: $vgpr4
; %bb.405:                              ;   in Loop: Header=BB338_12 Depth=1
	s_andn2_saveexec_b64 s[44:45], vcc
; %bb.406:                              ;   in Loop: Header=BB338_12 Depth=1
	v_accvgpr_read_b32 v6, a22
	v_accvgpr_read_b32 v7, a23
	v_or_b32_e32 v5, 0x10000, v4
	v_cmp_eq_u32_sdwa vcc, v4, v7 src0_sel:WORD_0 src1_sel:DWORD
	s_nop 1
	v_cndmask_b32_e32 v34, v5, v4, vcc
; %bb.407:                              ;   in Loop: Header=BB338_12 Depth=1
	s_or_b64 exec, exec, s[44:45]
	v_bfe_u32 v4, v2, 16, 8
	v_cvt_f32_fp8_sdwa v4, v4 src0_sel:BYTE_0
                                        ; implicit-def: $vgpr19
	s_nop 0
	v_mul_f32_e32 v4, v33, v4
	v_and_b32_e32 v5, 0x7f800000, v4
	v_cmp_ne_u32_e32 vcc, s21, v5
	s_and_saveexec_b64 s[44:45], vcc
	s_xor_b64 vcc, exec, s[44:45]
; %bb.408:                              ;   in Loop: Header=BB338_12 Depth=1
	v_bfe_u32 v5, v4, 16, 1
	v_add3_u32 v19, v4, v5, s46
                                        ; implicit-def: $vgpr4
; %bb.409:                              ;   in Loop: Header=BB338_12 Depth=1
	s_andn2_saveexec_b64 s[44:45], vcc
; %bb.410:                              ;   in Loop: Header=BB338_12 Depth=1
	v_accvgpr_read_b32 v6, a22
	v_accvgpr_read_b32 v7, a23
	v_or_b32_e32 v5, 0x10000, v4
	v_cmp_eq_u32_sdwa vcc, v4, v7 src0_sel:WORD_0 src1_sel:DWORD
	s_nop 1
	v_cndmask_b32_e32 v19, v5, v4, vcc
; %bb.411:                              ;   in Loop: Header=BB338_12 Depth=1
	s_or_b64 exec, exec, s[44:45]
	v_lshrrev_b32_e32 v2, 24, v2
	v_cvt_f32_fp8_sdwa v2, v2 src0_sel:BYTE_0
                                        ; implicit-def: $vgpr28
	s_nop 0
	v_mul_f32_e32 v2, v33, v2
	v_and_b32_e32 v4, 0x7f800000, v2
	v_cmp_ne_u32_e32 vcc, s21, v4
	s_and_saveexec_b64 s[44:45], vcc
	s_xor_b64 vcc, exec, s[44:45]
; %bb.412:                              ;   in Loop: Header=BB338_12 Depth=1
	v_bfe_u32 v4, v2, 16, 1
	v_add3_u32 v28, v2, v4, s46
                                        ; implicit-def: $vgpr2
; %bb.413:                              ;   in Loop: Header=BB338_12 Depth=1
	s_andn2_saveexec_b64 s[44:45], vcc
; %bb.414:                              ;   in Loop: Header=BB338_12 Depth=1
	v_accvgpr_read_b32 v6, a22
	v_accvgpr_read_b32 v7, a23
	v_or_b32_e32 v4, 0x10000, v2
	v_cmp_eq_u32_sdwa vcc, v2, v7 src0_sel:WORD_0 src1_sel:DWORD
	s_nop 1
	v_cndmask_b32_e32 v28, v4, v2, vcc
; %bb.415:                              ;   in Loop: Header=BB338_12 Depth=1
	s_or_b64 exec, exec, s[44:45]
	v_lshl_add_u64 v[4:5], v[42:43], 0, s[36:37]
	flat_load_dword v2, v[4:5] offset:8
                                        ; implicit-def: $vgpr22
	s_waitcnt vmcnt(0) lgkmcnt(0)
	v_and_b32_e32 v4, 0xff, v2
	v_cvt_f32_fp8_sdwa v4, v4 src0_sel:BYTE_0
	s_nop 0
	v_mul_f32_e32 v4, v33, v4
	v_and_b32_e32 v5, 0x7f800000, v4
	v_cmp_ne_u32_e32 vcc, s21, v5
	s_and_saveexec_b64 s[44:45], vcc
	s_xor_b64 vcc, exec, s[44:45]
; %bb.416:                              ;   in Loop: Header=BB338_12 Depth=1
	v_bfe_u32 v5, v4, 16, 1
	v_add3_u32 v22, v4, v5, s46
                                        ; implicit-def: $vgpr4
; %bb.417:                              ;   in Loop: Header=BB338_12 Depth=1
	s_andn2_saveexec_b64 s[44:45], vcc
; %bb.418:                              ;   in Loop: Header=BB338_12 Depth=1
	v_accvgpr_read_b32 v6, a22
	v_accvgpr_read_b32 v7, a23
	v_or_b32_e32 v5, 0x10000, v4
	v_cmp_eq_u32_sdwa vcc, v4, v7 src0_sel:WORD_0 src1_sel:DWORD
	s_nop 1
	v_cndmask_b32_e32 v22, v5, v4, vcc
; %bb.419:                              ;   in Loop: Header=BB338_12 Depth=1
	s_or_b64 exec, exec, s[44:45]
	v_bfe_u32 v4, v2, 8, 8
	v_cvt_f32_fp8_sdwa v4, v4 src0_sel:BYTE_0
                                        ; implicit-def: $vgpr7
	s_nop 0
	v_mul_f32_e32 v4, v33, v4
	v_and_b32_e32 v5, 0x7f800000, v4
	v_cmp_ne_u32_e32 vcc, s21, v5
	s_and_saveexec_b64 s[44:45], vcc
	s_xor_b64 vcc, exec, s[44:45]
; %bb.420:                              ;   in Loop: Header=BB338_12 Depth=1
	v_bfe_u32 v5, v4, 16, 1
	v_add3_u32 v7, v4, v5, s46
                                        ; implicit-def: $vgpr4
; %bb.421:                              ;   in Loop: Header=BB338_12 Depth=1
	s_andn2_saveexec_b64 s[44:45], vcc
; %bb.422:                              ;   in Loop: Header=BB338_12 Depth=1
	v_accvgpr_read_b32 v6, a22
	v_accvgpr_read_b32 v7, a23
	v_or_b32_e32 v5, 0x10000, v4
	v_cmp_eq_u32_sdwa vcc, v4, v7 src0_sel:WORD_0 src1_sel:DWORD
	s_nop 1
	v_cndmask_b32_e32 v7, v5, v4, vcc
; %bb.423:                              ;   in Loop: Header=BB338_12 Depth=1
	s_or_b64 exec, exec, s[44:45]
	v_bfe_u32 v4, v2, 16, 8
	v_cvt_f32_fp8_sdwa v4, v4 src0_sel:BYTE_0
                                        ; implicit-def: $vgpr29
	s_nop 0
	v_mul_f32_e32 v4, v33, v4
	v_and_b32_e32 v5, 0x7f800000, v4
	v_cmp_ne_u32_e32 vcc, s21, v5
	s_and_saveexec_b64 s[44:45], vcc
	s_xor_b64 vcc, exec, s[44:45]
; %bb.424:                              ;   in Loop: Header=BB338_12 Depth=1
	v_bfe_u32 v5, v4, 16, 1
	v_add3_u32 v29, v4, v5, s46
                                        ; implicit-def: $vgpr4
; %bb.425:                              ;   in Loop: Header=BB338_12 Depth=1
	s_andn2_saveexec_b64 s[44:45], vcc
; %bb.426:                              ;   in Loop: Header=BB338_12 Depth=1
	v_accvgpr_read_b32 v10, a22
	v_accvgpr_read_b32 v11, a23
	v_or_b32_e32 v5, 0x10000, v4
	v_cmp_eq_u32_sdwa vcc, v4, v11 src0_sel:WORD_0 src1_sel:DWORD
	s_nop 1
	v_cndmask_b32_e32 v29, v5, v4, vcc
; %bb.427:                              ;   in Loop: Header=BB338_12 Depth=1
	s_or_b64 exec, exec, s[44:45]
	v_lshrrev_b32_e32 v2, 24, v2
	v_cvt_f32_fp8_sdwa v2, v2 src0_sel:BYTE_0
                                        ; implicit-def: $vgpr11
	s_nop 0
	v_mul_f32_e32 v2, v33, v2
	v_and_b32_e32 v4, 0x7f800000, v2
	v_cmp_ne_u32_e32 vcc, s21, v4
	s_and_saveexec_b64 s[44:45], vcc
	s_xor_b64 vcc, exec, s[44:45]
; %bb.428:                              ;   in Loop: Header=BB338_12 Depth=1
	v_bfe_u32 v4, v2, 16, 1
	v_add3_u32 v11, v2, v4, s46
                                        ; implicit-def: $vgpr2
; %bb.429:                              ;   in Loop: Header=BB338_12 Depth=1
	s_andn2_saveexec_b64 s[44:45], vcc
; %bb.430:                              ;   in Loop: Header=BB338_12 Depth=1
	v_accvgpr_read_b32 v10, a22
	v_accvgpr_read_b32 v11, a23
	v_or_b32_e32 v4, 0x10000, v2
	v_cmp_eq_u32_sdwa vcc, v2, v11 src0_sel:WORD_0 src1_sel:DWORD
	s_nop 1
	v_cndmask_b32_e32 v11, v4, v2, vcc
; %bb.431:                              ;   in Loop: Header=BB338_12 Depth=1
	s_or_b64 exec, exec, s[44:45]
	v_add_co_u32_e32 v4, vcc, 0x1000, v42
                                        ; implicit-def: $vgpr10
	s_nop 1
	v_addc_co_u32_e32 v5, vcc, 0, v43, vcc
	flat_load_dword v2, v[4:5] offset:2560
	s_waitcnt vmcnt(0) lgkmcnt(0)
	v_and_b32_e32 v4, 0xff, v2
	v_cvt_f32_fp8_sdwa v4, v4 src0_sel:BYTE_0
	s_nop 0
	v_mul_f32_e32 v4, v33, v4
	v_and_b32_e32 v5, 0x7f800000, v4
	v_cmp_ne_u32_e32 vcc, s21, v5
	s_and_saveexec_b64 s[44:45], vcc
	s_xor_b64 vcc, exec, s[44:45]
; %bb.432:                              ;   in Loop: Header=BB338_12 Depth=1
	v_bfe_u32 v5, v4, 16, 1
	v_add3_u32 v10, v4, v5, s46
                                        ; implicit-def: $vgpr4
; %bb.433:                              ;   in Loop: Header=BB338_12 Depth=1
	s_andn2_saveexec_b64 s[44:45], vcc
; %bb.434:                              ;   in Loop: Header=BB338_12 Depth=1
	v_accvgpr_read_b32 v12, a22
	v_accvgpr_read_b32 v13, a23
	v_or_b32_e32 v5, 0x10000, v4
	v_cmp_eq_u32_sdwa vcc, v4, v13 src0_sel:WORD_0 src1_sel:DWORD
	s_nop 1
	v_cndmask_b32_e32 v10, v5, v4, vcc
; %bb.435:                              ;   in Loop: Header=BB338_12 Depth=1
	s_or_b64 exec, exec, s[44:45]
	v_bfe_u32 v4, v2, 8, 8
	v_cvt_f32_fp8_sdwa v4, v4 src0_sel:BYTE_0
                                        ; implicit-def: $vgpr6
	s_nop 0
	v_mul_f32_e32 v4, v33, v4
	v_and_b32_e32 v5, 0x7f800000, v4
	v_cmp_ne_u32_e32 vcc, s21, v5
	s_and_saveexec_b64 s[44:45], vcc
	s_xor_b64 vcc, exec, s[44:45]
; %bb.436:                              ;   in Loop: Header=BB338_12 Depth=1
	v_bfe_u32 v5, v4, 16, 1
	v_add3_u32 v6, v4, v5, s46
                                        ; implicit-def: $vgpr4
; %bb.437:                              ;   in Loop: Header=BB338_12 Depth=1
	s_andn2_saveexec_b64 s[44:45], vcc
; %bb.438:                              ;   in Loop: Header=BB338_12 Depth=1
	v_accvgpr_read_b32 v12, a22
	v_accvgpr_read_b32 v13, a23
	v_or_b32_e32 v5, 0x10000, v4
	v_cmp_eq_u32_sdwa vcc, v4, v13 src0_sel:WORD_0 src1_sel:DWORD
	s_nop 1
	v_cndmask_b32_e32 v6, v5, v4, vcc
; %bb.439:                              ;   in Loop: Header=BB338_12 Depth=1
	s_or_b64 exec, exec, s[44:45]
	v_bfe_u32 v4, v2, 16, 8
	v_cvt_f32_fp8_sdwa v4, v4 src0_sel:BYTE_0
                                        ; implicit-def: $vgpr30
	s_nop 0
	v_mul_f32_e32 v4, v33, v4
	v_and_b32_e32 v5, 0x7f800000, v4
	v_cmp_ne_u32_e32 vcc, s21, v5
	s_and_saveexec_b64 s[44:45], vcc
	s_xor_b64 vcc, exec, s[44:45]
; %bb.440:                              ;   in Loop: Header=BB338_12 Depth=1
	v_bfe_u32 v5, v4, 16, 1
	v_add3_u32 v30, v4, v5, s46
                                        ; implicit-def: $vgpr4
; %bb.441:                              ;   in Loop: Header=BB338_12 Depth=1
	s_andn2_saveexec_b64 s[44:45], vcc
; %bb.442:                              ;   in Loop: Header=BB338_12 Depth=1
	v_accvgpr_read_b32 v12, a22
	v_accvgpr_read_b32 v13, a23
	v_or_b32_e32 v5, 0x10000, v4
	v_cmp_eq_u32_sdwa vcc, v4, v13 src0_sel:WORD_0 src1_sel:DWORD
	s_nop 1
	v_cndmask_b32_e32 v30, v5, v4, vcc
; %bb.443:                              ;   in Loop: Header=BB338_12 Depth=1
	s_or_b64 exec, exec, s[44:45]
	v_lshrrev_b32_e32 v2, 24, v2
	v_cvt_f32_fp8_sdwa v2, v2 src0_sel:BYTE_0
                                        ; implicit-def: $vgpr18
	s_nop 0
	v_mul_f32_e32 v2, v33, v2
	v_and_b32_e32 v4, 0x7f800000, v2
	v_cmp_ne_u32_e32 vcc, s21, v4
	s_and_saveexec_b64 s[44:45], vcc
	s_xor_b64 vcc, exec, s[44:45]
; %bb.444:                              ;   in Loop: Header=BB338_12 Depth=1
	v_bfe_u32 v4, v2, 16, 1
	v_add3_u32 v18, v2, v4, s46
                                        ; implicit-def: $vgpr2
; %bb.445:                              ;   in Loop: Header=BB338_12 Depth=1
	s_andn2_saveexec_b64 s[44:45], vcc
; %bb.446:                              ;   in Loop: Header=BB338_12 Depth=1
	v_accvgpr_read_b32 v12, a22
	v_accvgpr_read_b32 v13, a23
	v_or_b32_e32 v4, 0x10000, v2
	v_cmp_eq_u32_sdwa vcc, v2, v13 src0_sel:WORD_0 src1_sel:DWORD
	s_nop 1
	v_cndmask_b32_e32 v18, v4, v2, vcc
; %bb.447:                              ;   in Loop: Header=BB338_12 Depth=1
	s_or_b64 exec, exec, s[44:45]
	v_lshl_add_u64 v[4:5], v[42:43], 0, s[38:39]
	flat_load_dword v2, v[4:5] offset:8
                                        ; implicit-def: $vgpr61
	s_waitcnt vmcnt(0) lgkmcnt(0)
	v_and_b32_e32 v4, 0xff, v2
	v_cvt_f32_fp8_sdwa v4, v4 src0_sel:BYTE_0
	s_nop 0
	v_mul_f32_e32 v4, v33, v4
	v_and_b32_e32 v5, 0x7f800000, v4
	v_cmp_ne_u32_e32 vcc, s21, v5
	s_and_saveexec_b64 s[44:45], vcc
	s_xor_b64 vcc, exec, s[44:45]
; %bb.448:                              ;   in Loop: Header=BB338_12 Depth=1
	v_bfe_u32 v5, v4, 16, 1
	v_add3_u32 v61, v4, v5, s46
                                        ; implicit-def: $vgpr4
; %bb.449:                              ;   in Loop: Header=BB338_12 Depth=1
	s_andn2_saveexec_b64 s[44:45], vcc
; %bb.450:                              ;   in Loop: Header=BB338_12 Depth=1
	v_accvgpr_read_b32 v12, a22
	v_accvgpr_read_b32 v13, a23
	v_or_b32_e32 v5, 0x10000, v4
	v_cmp_eq_u32_sdwa vcc, v4, v13 src0_sel:WORD_0 src1_sel:DWORD
	s_nop 1
	v_cndmask_b32_e32 v61, v5, v4, vcc
; %bb.451:                              ;   in Loop: Header=BB338_12 Depth=1
	s_or_b64 exec, exec, s[44:45]
	v_bfe_u32 v4, v2, 8, 8
	v_cvt_f32_fp8_sdwa v4, v4 src0_sel:BYTE_0
                                        ; implicit-def: $vgpr31
	s_nop 0
	v_mul_f32_e32 v4, v33, v4
	v_and_b32_e32 v5, 0x7f800000, v4
	v_cmp_ne_u32_e32 vcc, s21, v5
	s_and_saveexec_b64 s[44:45], vcc
	s_xor_b64 vcc, exec, s[44:45]
; %bb.452:                              ;   in Loop: Header=BB338_12 Depth=1
	v_bfe_u32 v5, v4, 16, 1
	v_add3_u32 v31, v4, v5, s46
                                        ; implicit-def: $vgpr4
; %bb.453:                              ;   in Loop: Header=BB338_12 Depth=1
	s_andn2_saveexec_b64 s[44:45], vcc
; %bb.454:                              ;   in Loop: Header=BB338_12 Depth=1
	v_accvgpr_read_b32 v12, a22
	v_accvgpr_read_b32 v13, a23
	v_or_b32_e32 v5, 0x10000, v4
	v_cmp_eq_u32_sdwa vcc, v4, v13 src0_sel:WORD_0 src1_sel:DWORD
	s_nop 1
	v_cndmask_b32_e32 v31, v5, v4, vcc
; %bb.455:                              ;   in Loop: Header=BB338_12 Depth=1
	s_or_b64 exec, exec, s[44:45]
	v_bfe_u32 v4, v2, 16, 8
	v_cvt_f32_fp8_sdwa v4, v4 src0_sel:BYTE_0
                                        ; implicit-def: $vgpr23
	s_nop 0
	v_mul_f32_e32 v4, v33, v4
	v_and_b32_e32 v5, 0x7f800000, v4
	v_cmp_ne_u32_e32 vcc, s21, v5
	s_and_saveexec_b64 s[44:45], vcc
	s_xor_b64 vcc, exec, s[44:45]
; %bb.456:                              ;   in Loop: Header=BB338_12 Depth=1
	v_bfe_u32 v5, v4, 16, 1
	v_add3_u32 v23, v4, v5, s46
                                        ; implicit-def: $vgpr4
; %bb.457:                              ;   in Loop: Header=BB338_12 Depth=1
	s_andn2_saveexec_b64 s[44:45], vcc
; %bb.458:                              ;   in Loop: Header=BB338_12 Depth=1
	v_accvgpr_read_b32 v12, a22
	v_accvgpr_read_b32 v13, a23
	v_or_b32_e32 v5, 0x10000, v4
	v_cmp_eq_u32_sdwa vcc, v4, v13 src0_sel:WORD_0 src1_sel:DWORD
	s_nop 1
	v_cndmask_b32_e32 v23, v5, v4, vcc
; %bb.459:                              ;   in Loop: Header=BB338_12 Depth=1
	s_or_b64 exec, exec, s[44:45]
	v_lshrrev_b32_e32 v2, 24, v2
	v_cvt_f32_fp8_sdwa v2, v2 src0_sel:BYTE_0
                                        ; implicit-def: $vgpr32
	s_nop 0
	v_mul_f32_e32 v2, v33, v2
	v_and_b32_e32 v4, 0x7f800000, v2
	v_cmp_ne_u32_e32 vcc, s21, v4
	s_and_saveexec_b64 s[44:45], vcc
	s_xor_b64 vcc, exec, s[44:45]
; %bb.460:                              ;   in Loop: Header=BB338_12 Depth=1
	v_bfe_u32 v4, v2, 16, 1
	v_add3_u32 v32, v2, v4, s46
                                        ; implicit-def: $vgpr2
; %bb.461:                              ;   in Loop: Header=BB338_12 Depth=1
	s_andn2_saveexec_b64 s[44:45], vcc
; %bb.462:                              ;   in Loop: Header=BB338_12 Depth=1
	v_accvgpr_read_b32 v12, a22
	v_accvgpr_read_b32 v13, a23
	v_or_b32_e32 v4, 0x10000, v2
	v_cmp_eq_u32_sdwa vcc, v2, v13 src0_sel:WORD_0 src1_sel:DWORD
	s_nop 1
	v_cndmask_b32_e32 v32, v4, v2, vcc
; %bb.463:                              ;   in Loop: Header=BB338_12 Depth=1
	s_or_b64 exec, exec, s[44:45]
	v_add_co_u32_e32 v4, vcc, 0x1000, v42
                                        ; implicit-def: $vgpr16
	s_nop 1
	v_addc_co_u32_e32 v5, vcc, 0, v43, vcc
	flat_load_dword v2, v[4:5] offset:3072
	s_waitcnt vmcnt(0) lgkmcnt(0)
	v_and_b32_e32 v4, 0xff, v2
	v_cvt_f32_fp8_sdwa v4, v4 src0_sel:BYTE_0
	s_nop 0
	v_mul_f32_e32 v4, v33, v4
	v_and_b32_e32 v5, 0x7f800000, v4
	v_cmp_ne_u32_e32 vcc, s21, v5
	s_and_saveexec_b64 s[44:45], vcc
	s_xor_b64 vcc, exec, s[44:45]
; %bb.464:                              ;   in Loop: Header=BB338_12 Depth=1
	v_bfe_u32 v5, v4, 16, 1
	v_add3_u32 v16, v4, v5, s46
                                        ; implicit-def: $vgpr4
; %bb.465:                              ;   in Loop: Header=BB338_12 Depth=1
	s_andn2_saveexec_b64 s[44:45], vcc
; %bb.466:                              ;   in Loop: Header=BB338_12 Depth=1
	v_accvgpr_read_b32 v12, a22
	v_accvgpr_read_b32 v13, a23
	v_or_b32_e32 v5, 0x10000, v4
	v_cmp_eq_u32_sdwa vcc, v4, v13 src0_sel:WORD_0 src1_sel:DWORD
	s_nop 1
	v_cndmask_b32_e32 v16, v5, v4, vcc
; %bb.467:                              ;   in Loop: Header=BB338_12 Depth=1
	s_or_b64 exec, exec, s[44:45]
	v_bfe_u32 v4, v2, 8, 8
	v_cvt_f32_fp8_sdwa v4, v4 src0_sel:BYTE_0
                                        ; implicit-def: $vgpr8
	s_nop 0
	v_mul_f32_e32 v4, v33, v4
	v_and_b32_e32 v5, 0x7f800000, v4
	v_cmp_ne_u32_e32 vcc, s21, v5
	s_and_saveexec_b64 s[44:45], vcc
	s_xor_b64 vcc, exec, s[44:45]
; %bb.468:                              ;   in Loop: Header=BB338_12 Depth=1
	v_bfe_u32 v5, v4, 16, 1
	v_add3_u32 v8, v4, v5, s46
                                        ; implicit-def: $vgpr4
; %bb.469:                              ;   in Loop: Header=BB338_12 Depth=1
	s_andn2_saveexec_b64 s[44:45], vcc
; %bb.470:                              ;   in Loop: Header=BB338_12 Depth=1
	v_accvgpr_read_b32 v12, a22
	v_accvgpr_read_b32 v13, a23
	v_or_b32_e32 v5, 0x10000, v4
	v_cmp_eq_u32_sdwa vcc, v4, v13 src0_sel:WORD_0 src1_sel:DWORD
	s_nop 1
	v_cndmask_b32_e32 v8, v5, v4, vcc
; %bb.471:                              ;   in Loop: Header=BB338_12 Depth=1
	s_or_b64 exec, exec, s[44:45]
	v_bfe_u32 v4, v2, 16, 8
	v_cvt_f32_fp8_sdwa v4, v4 src0_sel:BYTE_0
                                        ; implicit-def: $vgpr24
	s_nop 0
	v_mul_f32_e32 v4, v33, v4
	v_and_b32_e32 v5, 0x7f800000, v4
	v_cmp_ne_u32_e32 vcc, s21, v5
	s_and_saveexec_b64 s[44:45], vcc
	s_xor_b64 vcc, exec, s[44:45]
; %bb.472:                              ;   in Loop: Header=BB338_12 Depth=1
	v_bfe_u32 v5, v4, 16, 1
	v_add3_u32 v24, v4, v5, s46
                                        ; implicit-def: $vgpr4
; %bb.473:                              ;   in Loop: Header=BB338_12 Depth=1
	s_andn2_saveexec_b64 s[44:45], vcc
; %bb.474:                              ;   in Loop: Header=BB338_12 Depth=1
	v_accvgpr_read_b32 v12, a22
	v_accvgpr_read_b32 v13, a23
	v_or_b32_e32 v5, 0x10000, v4
	v_cmp_eq_u32_sdwa vcc, v4, v13 src0_sel:WORD_0 src1_sel:DWORD
	s_nop 1
	v_cndmask_b32_e32 v24, v5, v4, vcc
; %bb.475:                              ;   in Loop: Header=BB338_12 Depth=1
	s_or_b64 exec, exec, s[44:45]
	v_lshrrev_b32_e32 v2, 24, v2
	v_cvt_f32_fp8_sdwa v2, v2 src0_sel:BYTE_0
                                        ; implicit-def: $vgpr25
	s_nop 0
	v_mul_f32_e32 v2, v33, v2
	v_and_b32_e32 v4, 0x7f800000, v2
	v_cmp_ne_u32_e32 vcc, s21, v4
	s_and_saveexec_b64 s[44:45], vcc
	s_xor_b64 vcc, exec, s[44:45]
; %bb.476:                              ;   in Loop: Header=BB338_12 Depth=1
	v_bfe_u32 v4, v2, 16, 1
	v_add3_u32 v25, v2, v4, s46
                                        ; implicit-def: $vgpr2
; %bb.477:                              ;   in Loop: Header=BB338_12 Depth=1
	s_andn2_saveexec_b64 s[44:45], vcc
; %bb.478:                              ;   in Loop: Header=BB338_12 Depth=1
	v_accvgpr_read_b32 v12, a22
	v_accvgpr_read_b32 v13, a23
	v_or_b32_e32 v4, 0x10000, v2
	v_cmp_eq_u32_sdwa vcc, v2, v13 src0_sel:WORD_0 src1_sel:DWORD
	s_nop 1
	v_cndmask_b32_e32 v25, v4, v2, vcc
; %bb.479:                              ;   in Loop: Header=BB338_12 Depth=1
	s_or_b64 exec, exec, s[44:45]
	v_lshl_add_u64 v[4:5], v[42:43], 0, s[40:41]
	flat_load_dword v2, v[4:5] offset:8
                                        ; implicit-def: $vgpr21
	s_waitcnt vmcnt(0) lgkmcnt(0)
	v_and_b32_e32 v4, 0xff, v2
	v_cvt_f32_fp8_sdwa v4, v4 src0_sel:BYTE_0
	s_nop 0
	v_mul_f32_e32 v4, v33, v4
	v_and_b32_e32 v5, 0x7f800000, v4
	v_cmp_ne_u32_e32 vcc, s21, v5
	s_and_saveexec_b64 s[44:45], vcc
	s_xor_b64 vcc, exec, s[44:45]
; %bb.480:                              ;   in Loop: Header=BB338_12 Depth=1
	v_bfe_u32 v5, v4, 16, 1
	v_add3_u32 v21, v4, v5, s46
                                        ; implicit-def: $vgpr4
; %bb.481:                              ;   in Loop: Header=BB338_12 Depth=1
	s_andn2_saveexec_b64 s[44:45], vcc
; %bb.482:                              ;   in Loop: Header=BB338_12 Depth=1
	v_accvgpr_read_b32 v12, a22
	v_accvgpr_read_b32 v13, a23
	v_or_b32_e32 v5, 0x10000, v4
	v_cmp_eq_u32_sdwa vcc, v4, v13 src0_sel:WORD_0 src1_sel:DWORD
	s_nop 1
	v_cndmask_b32_e32 v21, v5, v4, vcc
; %bb.483:                              ;   in Loop: Header=BB338_12 Depth=1
	s_or_b64 exec, exec, s[44:45]
	v_bfe_u32 v4, v2, 8, 8
	v_cvt_f32_fp8_sdwa v4, v4 src0_sel:BYTE_0
                                        ; implicit-def: $vgpr36
	s_nop 0
	v_mul_f32_e32 v4, v33, v4
	v_and_b32_e32 v5, 0x7f800000, v4
	v_cmp_ne_u32_e32 vcc, s21, v5
	s_and_saveexec_b64 s[44:45], vcc
	s_xor_b64 vcc, exec, s[44:45]
; %bb.484:                              ;   in Loop: Header=BB338_12 Depth=1
	v_bfe_u32 v5, v4, 16, 1
	v_add3_u32 v36, v4, v5, s46
                                        ; implicit-def: $vgpr4
; %bb.485:                              ;   in Loop: Header=BB338_12 Depth=1
	s_andn2_saveexec_b64 s[44:45], vcc
; %bb.486:                              ;   in Loop: Header=BB338_12 Depth=1
	v_accvgpr_read_b32 v12, a22
	v_accvgpr_read_b32 v13, a23
	v_or_b32_e32 v5, 0x10000, v4
	v_cmp_eq_u32_sdwa vcc, v4, v13 src0_sel:WORD_0 src1_sel:DWORD
	s_nop 1
	v_cndmask_b32_e32 v36, v5, v4, vcc
; %bb.487:                              ;   in Loop: Header=BB338_12 Depth=1
	s_or_b64 exec, exec, s[44:45]
	v_bfe_u32 v4, v2, 16, 8
	v_cvt_f32_fp8_sdwa v4, v4 src0_sel:BYTE_0
                                        ; implicit-def: $vgpr37
	s_nop 0
	v_mul_f32_e32 v4, v33, v4
	v_and_b32_e32 v5, 0x7f800000, v4
	v_cmp_ne_u32_e32 vcc, s21, v5
	s_and_saveexec_b64 s[44:45], vcc
	s_xor_b64 vcc, exec, s[44:45]
; %bb.488:                              ;   in Loop: Header=BB338_12 Depth=1
	v_bfe_u32 v5, v4, 16, 1
	v_add3_u32 v37, v4, v5, s46
                                        ; implicit-def: $vgpr4
; %bb.489:                              ;   in Loop: Header=BB338_12 Depth=1
	s_andn2_saveexec_b64 s[44:45], vcc
; %bb.490:                              ;   in Loop: Header=BB338_12 Depth=1
	v_accvgpr_read_b32 v12, a22
	v_accvgpr_read_b32 v13, a23
	v_or_b32_e32 v5, 0x10000, v4
	v_cmp_eq_u32_sdwa vcc, v4, v13 src0_sel:WORD_0 src1_sel:DWORD
	s_nop 1
	v_cndmask_b32_e32 v37, v5, v4, vcc
; %bb.491:                              ;   in Loop: Header=BB338_12 Depth=1
	s_or_b64 exec, exec, s[44:45]
	v_lshrrev_b32_e32 v2, 24, v2
	v_cvt_f32_fp8_sdwa v2, v2 src0_sel:BYTE_0
                                        ; implicit-def: $vgpr38
	s_nop 0
	v_mul_f32_e32 v2, v33, v2
	v_and_b32_e32 v4, 0x7f800000, v2
	v_cmp_ne_u32_e32 vcc, s21, v4
	s_and_saveexec_b64 s[44:45], vcc
	s_xor_b64 vcc, exec, s[44:45]
; %bb.492:                              ;   in Loop: Header=BB338_12 Depth=1
	v_bfe_u32 v4, v2, 16, 1
	v_add3_u32 v38, v2, v4, s46
                                        ; implicit-def: $vgpr2
; %bb.493:                              ;   in Loop: Header=BB338_12 Depth=1
	s_andn2_saveexec_b64 s[44:45], vcc
; %bb.494:                              ;   in Loop: Header=BB338_12 Depth=1
	v_accvgpr_read_b32 v12, a22
	v_accvgpr_read_b32 v13, a23
	v_or_b32_e32 v4, 0x10000, v2
	v_cmp_eq_u32_sdwa vcc, v2, v13 src0_sel:WORD_0 src1_sel:DWORD
	s_nop 1
	v_cndmask_b32_e32 v38, v4, v2, vcc
; %bb.495:                              ;   in Loop: Header=BB338_12 Depth=1
	s_or_b64 exec, exec, s[44:45]
	v_add_co_u32_e32 v4, vcc, 0x1000, v42
                                        ; implicit-def: $vgpr39
	s_nop 1
	v_addc_co_u32_e32 v5, vcc, 0, v43, vcc
	flat_load_dword v4, v[4:5] offset:3584
	s_waitcnt vmcnt(0) lgkmcnt(0)
	v_and_b32_e32 v2, 0xff, v4
	v_cvt_f32_fp8_sdwa v2, v2 src0_sel:BYTE_0
	s_nop 0
	v_mul_f32_e32 v2, v33, v2
	v_and_b32_e32 v5, 0x7f800000, v2
	v_cmp_ne_u32_e32 vcc, s21, v5
	s_and_saveexec_b64 s[44:45], vcc
	s_xor_b64 vcc, exec, s[44:45]
; %bb.496:                              ;   in Loop: Header=BB338_12 Depth=1
	v_bfe_u32 v5, v2, 16, 1
	v_add3_u32 v39, v2, v5, s46
                                        ; implicit-def: $vgpr2
; %bb.497:                              ;   in Loop: Header=BB338_12 Depth=1
	s_andn2_saveexec_b64 s[44:45], vcc
; %bb.498:                              ;   in Loop: Header=BB338_12 Depth=1
	v_accvgpr_read_b32 v12, a22
	v_accvgpr_read_b32 v13, a23
	v_or_b32_e32 v5, 0x10000, v2
	v_cmp_eq_u32_sdwa vcc, v2, v13 src0_sel:WORD_0 src1_sel:DWORD
	s_nop 1
	v_cndmask_b32_e32 v39, v5, v2, vcc
; %bb.499:                              ;   in Loop: Header=BB338_12 Depth=1
	s_or_b64 exec, exec, s[44:45]
	v_bfe_u32 v2, v4, 8, 8
	v_cvt_f32_fp8_sdwa v2, v2 src0_sel:BYTE_0
                                        ; implicit-def: $vgpr20
	s_nop 0
	v_mul_f32_e32 v2, v33, v2
	v_and_b32_e32 v5, 0x7f800000, v2
	v_cmp_ne_u32_e32 vcc, s21, v5
	s_and_saveexec_b64 s[44:45], vcc
	s_xor_b64 vcc, exec, s[44:45]
; %bb.500:                              ;   in Loop: Header=BB338_12 Depth=1
	v_bfe_u32 v5, v2, 16, 1
	v_add3_u32 v20, v2, v5, s46
                                        ; implicit-def: $vgpr2
; %bb.501:                              ;   in Loop: Header=BB338_12 Depth=1
	s_andn2_saveexec_b64 s[44:45], vcc
; %bb.502:                              ;   in Loop: Header=BB338_12 Depth=1
	v_accvgpr_read_b32 v12, a22
	v_accvgpr_read_b32 v13, a23
	v_or_b32_e32 v5, 0x10000, v2
	v_cmp_eq_u32_sdwa vcc, v2, v13 src0_sel:WORD_0 src1_sel:DWORD
	s_nop 1
	v_cndmask_b32_e32 v20, v5, v2, vcc
; %bb.503:                              ;   in Loop: Header=BB338_12 Depth=1
	s_or_b64 exec, exec, s[44:45]
	v_bfe_u32 v2, v4, 16, 8
	v_cvt_f32_fp8_sdwa v2, v2 src0_sel:BYTE_0
	s_nop 0
	v_mul_f32_e32 v5, v33, v2
	v_and_b32_e32 v2, 0x7f800000, v5
	v_cmp_ne_u32_e32 vcc, s21, v2
                                        ; implicit-def: $vgpr2
	s_and_saveexec_b64 s[44:45], vcc
	s_xor_b64 vcc, exec, s[44:45]
; %bb.504:                              ;   in Loop: Header=BB338_12 Depth=1
	v_bfe_u32 v2, v5, 16, 1
	v_add3_u32 v2, v5, v2, s46
                                        ; implicit-def: $vgpr5
; %bb.505:                              ;   in Loop: Header=BB338_12 Depth=1
	s_andn2_saveexec_b64 s[44:45], vcc
; %bb.506:                              ;   in Loop: Header=BB338_12 Depth=1
	v_accvgpr_read_b32 v12, a22
	v_accvgpr_read_b32 v13, a23
	v_or_b32_e32 v2, 0x10000, v5
	v_cmp_eq_u32_sdwa vcc, v5, v13 src0_sel:WORD_0 src1_sel:DWORD
	s_nop 1
	v_cndmask_b32_e32 v2, v2, v5, vcc
; %bb.507:                              ;   in Loop: Header=BB338_12 Depth=1
	s_or_b64 exec, exec, s[44:45]
	v_lshrrev_b32_e32 v4, 24, v4
	v_cvt_f32_fp8_sdwa v4, v4 src0_sel:BYTE_0
	s_nop 0
	v_mul_f32_e32 v5, v33, v4
	v_and_b32_e32 v4, 0x7f800000, v5
	v_cmp_ne_u32_e32 vcc, s21, v4
                                        ; implicit-def: $vgpr4
	s_and_saveexec_b64 s[44:45], vcc
	s_xor_b64 vcc, exec, s[44:45]
; %bb.508:                              ;   in Loop: Header=BB338_12 Depth=1
	v_bfe_u32 v4, v5, 16, 1
	v_add3_u32 v4, v5, v4, s46
                                        ; implicit-def: $vgpr5
; %bb.509:                              ;   in Loop: Header=BB338_12 Depth=1
	s_andn2_saveexec_b64 s[44:45], vcc
; %bb.510:                              ;   in Loop: Header=BB338_12 Depth=1
	v_accvgpr_read_b32 v12, a22
	v_accvgpr_read_b32 v13, a23
	v_or_b32_e32 v4, 0x10000, v5
	v_cmp_eq_u32_sdwa vcc, v5, v13 src0_sel:WORD_0 src1_sel:DWORD
	s_nop 1
	v_cndmask_b32_e32 v4, v4, v5, vcc
; %bb.511:                              ;   in Loop: Header=BB338_12 Depth=1
	s_or_b64 exec, exec, s[44:45]
	v_lshl_add_u64 v[12:13], v[42:43], 0, s[42:43]
	flat_load_dword v12, v[12:13] offset:8
	s_waitcnt vmcnt(0) lgkmcnt(0)
	v_and_b32_e32 v5, 0xff, v12
	v_cvt_f32_fp8_sdwa v5, v5 src0_sel:BYTE_0
	s_nop 0
	v_mul_f32_e32 v13, v33, v5
	v_and_b32_e32 v5, 0x7f800000, v13
	v_cmp_ne_u32_e32 vcc, s21, v5
                                        ; implicit-def: $vgpr5
	s_and_saveexec_b64 s[44:45], vcc
	s_xor_b64 vcc, exec, s[44:45]
; %bb.512:                              ;   in Loop: Header=BB338_12 Depth=1
	v_bfe_u32 v5, v13, 16, 1
	v_add3_u32 v5, v13, v5, s46
                                        ; implicit-def: $vgpr13
; %bb.513:                              ;   in Loop: Header=BB338_12 Depth=1
	s_andn2_saveexec_b64 s[44:45], vcc
; %bb.514:                              ;   in Loop: Header=BB338_12 Depth=1
	v_accvgpr_read_b32 v14, a22
	v_accvgpr_read_b32 v15, a23
	v_or_b32_e32 v5, 0x10000, v13
	v_cmp_eq_u32_sdwa vcc, v13, v15 src0_sel:WORD_0 src1_sel:DWORD
	s_nop 1
	v_cndmask_b32_e32 v5, v5, v13, vcc
; %bb.515:                              ;   in Loop: Header=BB338_12 Depth=1
	s_or_b64 exec, exec, s[44:45]
	v_bfe_u32 v13, v12, 8, 8
	v_cvt_f32_fp8_sdwa v13, v13 src0_sel:BYTE_0
	s_nop 0
	v_mul_f32_e32 v14, v33, v13
	v_and_b32_e32 v13, 0x7f800000, v14
	v_cmp_ne_u32_e32 vcc, s21, v13
                                        ; implicit-def: $vgpr13
	s_and_saveexec_b64 s[44:45], vcc
	s_xor_b64 vcc, exec, s[44:45]
; %bb.516:                              ;   in Loop: Header=BB338_12 Depth=1
	v_bfe_u32 v13, v14, 16, 1
	v_add3_u32 v13, v14, v13, s46
                                        ; implicit-def: $vgpr14
; %bb.517:                              ;   in Loop: Header=BB338_12 Depth=1
	s_andn2_saveexec_b64 s[44:45], vcc
; %bb.518:                              ;   in Loop: Header=BB338_12 Depth=1
	v_accvgpr_read_b32 v49, a23
	v_or_b32_e32 v13, 0x10000, v14
	v_cmp_eq_u32_sdwa vcc, v14, v49 src0_sel:WORD_0 src1_sel:DWORD
	v_accvgpr_read_b32 v48, a22
	s_nop 0
	v_cndmask_b32_e32 v13, v13, v14, vcc
; %bb.519:                              ;   in Loop: Header=BB338_12 Depth=1
	s_or_b64 exec, exec, s[44:45]
	v_bfe_u32 v14, v12, 16, 8
	v_cvt_f32_fp8_sdwa v14, v14 src0_sel:BYTE_0
                                        ; implicit-def: $vgpr59
	s_nop 0
	v_mul_f32_e32 v14, v33, v14
	v_and_b32_e32 v15, 0x7f800000, v14
	v_cmp_ne_u32_e32 vcc, s21, v15
	s_and_saveexec_b64 s[44:45], vcc
	s_xor_b64 vcc, exec, s[44:45]
; %bb.520:                              ;   in Loop: Header=BB338_12 Depth=1
	v_bfe_u32 v15, v14, 16, 1
	v_add3_u32 v59, v14, v15, s46
                                        ; implicit-def: $vgpr14
; %bb.521:                              ;   in Loop: Header=BB338_12 Depth=1
	s_andn2_saveexec_b64 s[44:45], vcc
; %bb.522:                              ;   in Loop: Header=BB338_12 Depth=1
	v_accvgpr_read_b32 v49, a23
	v_or_b32_e32 v15, 0x10000, v14
	v_cmp_eq_u32_sdwa vcc, v14, v49 src0_sel:WORD_0 src1_sel:DWORD
	v_accvgpr_read_b32 v48, a22
	s_nop 0
	v_cndmask_b32_e32 v59, v15, v14, vcc
; %bb.523:                              ;   in Loop: Header=BB338_12 Depth=1
	s_or_b64 exec, exec, s[44:45]
	v_lshrrev_b32_e32 v12, 24, v12
	v_cvt_f32_fp8_sdwa v12, v12 src0_sel:BYTE_0
                                        ; implicit-def: $vgpr62
	s_nop 0
	v_mul_f32_e32 v12, v33, v12
	v_and_b32_e32 v14, 0x7f800000, v12
	v_cmp_ne_u32_e32 vcc, s21, v14
	s_and_saveexec_b64 s[44:45], vcc
	s_xor_b64 vcc, exec, s[44:45]
; %bb.524:                              ;   in Loop: Header=BB338_12 Depth=1
	v_bfe_u32 v14, v12, 16, 1
	v_add3_u32 v62, v12, v14, s46
                                        ; implicit-def: $vgpr12
; %bb.525:                              ;   in Loop: Header=BB338_12 Depth=1
	s_or_saveexec_b64 s[44:45], vcc
	v_accvgpr_write_b32 a26, v26
	s_xor_b64 exec, exec, s[44:45]
; %bb.526:                              ;   in Loop: Header=BB338_12 Depth=1
	v_accvgpr_read_b32 v49, a23
	v_or_b32_e32 v14, 0x10000, v12
	v_cmp_eq_u32_sdwa vcc, v12, v49 src0_sel:WORD_0 src1_sel:DWORD
	v_accvgpr_read_b32 v48, a22
	s_nop 0
	v_cndmask_b32_e32 v62, v14, v12, vcc
; %bb.527:                              ;   in Loop: Header=BB338_12 Depth=1
	s_or_b64 exec, exec, s[44:45]
	v_and_b32_e32 v0, 0xffff0000, v0
	scratch_store_dword off, v0, s32 offset:620 ; 4-byte Folded Spill
	v_and_b32_e32 v0, 0xffff0000, v1
	scratch_store_dword off, v0, s32 offset:616 ; 4-byte Folded Spill
	;; [unrolled: 2-line block ×4, first 2 shown]
	v_accvgpr_read_b32 v0, a3
	v_and_b32_e32 v0, 0xffff0000, v0
	scratch_store_dword off, v0, s32 offset:660 ; 4-byte Folded Spill
	v_accvgpr_read_b32 v0, a12
	v_and_b32_e32 v0, 0xffff0000, v0
	scratch_store_dword off, v0, s32 offset:636 ; 4-byte Folded Spill
	;; [unrolled: 3-line block ×21, first 2 shown]
	v_and_b32_e32 v0, 0xffff0000, v60
	scratch_store_dword off, v0, s32 offset:736 ; 4-byte Folded Spill
	v_and_b32_e32 v0, 0xffff0000, v58
	scratch_store_dword off, v0, s32 offset:744 ; 4-byte Folded Spill
	;; [unrolled: 2-line block ×7, first 2 shown]
	v_accvgpr_read_b32 v0, a4
	v_and_b32_e32 v0, 0xffff0000, v0
	scratch_store_dword off, v0, s32 offset:772 ; 4-byte Folded Spill
	v_accvgpr_read_b32 v0, a27
	v_and_b32_e32 v0, 0xffff0000, v0
	scratch_store_dword off, v0, s32 offset:768 ; 4-byte Folded Spill
	;; [unrolled: 3-line block ×14, first 2 shown]
	v_accvgpr_read_b32 v0, a40
	v_and_b32_e32 v0, 0xffff0000, v0
	v_accvgpr_write_b32 a12, v0
	v_accvgpr_read_b32 v0, a38
	v_and_b32_e32 v0, 0xffff0000, v0
	v_accvgpr_write_b32 a3, v0
	v_and_b32_e32 v0, 0xffff0000, v40
	v_accvgpr_write_b32 a13, v0
	;; [unrolled: 2-line block ×3, first 2 shown]
	v_accvgpr_read_b32 v0, a28
	v_and_b32_e32 v0, 0xffff0000, v0
	v_accvgpr_write_b32 a28, v0
	v_accvgpr_read_b32 v0, a21
	v_and_b32_e32 v0, 0xffff0000, v0
	v_accvgpr_write_b32 a21, v0
	v_accvgpr_read_b32 v0, a25
	v_and_b32_e32 v0, 0xffff0000, v0
	v_accvgpr_write_b32 a25, v0
	v_accvgpr_read_b32 v0, a20
	v_and_b32_e32 v0, 0xffff0000, v0
	v_accvgpr_write_b32 a20, v0
	v_accvgpr_read_b32 v0, a24
	v_and_b32_e32 v0, 0xffff0000, v0
	v_accvgpr_write_b32 a24, v0
	v_accvgpr_read_b32 v0, a11
	v_and_b32_e32 v0, 0xffff0000, v0
	v_accvgpr_write_b32 a11, v0
	v_accvgpr_read_b32 v0, a31
	v_and_b32_e32 v0, 0xffff0000, v0
	v_accvgpr_write_b32 a31, v0
	v_accvgpr_read_b32 v0, a7
	v_and_b32_e32 v0, 0xffff0000, v0
	v_accvgpr_write_b32 a7, v0
	v_accvgpr_read_b32 v0, a6
	v_and_b32_e32 v0, 0xffff0000, v0
	v_accvgpr_write_b32 a6, v0
	v_accvgpr_read_b32 v0, a1
	v_and_b32_e32 v0, 0xffff0000, v0
	v_accvgpr_write_b32 a34, v0
	v_accvgpr_read_b32 v0, a0
	v_and_b32_e32 v0, 0xffff0000, v0
	v_accvgpr_write_b32 a0, v0
	v_and_b32_e32 v0, 0xffff0000, v50
	v_accvgpr_write_b32 a1, v0
	scratch_load_dword v0, off, s32 offset:656 ; 4-byte Folded Reload
	v_and_b32_e32 v2, 0xffff0000, v2
	scratch_store_dword off, v2, s32 offset:424 ; 4-byte Folded Spill
	v_and_b32_e32 v2, 0xffff0000, v4
	scratch_store_dword off, v2, s32 offset:420 ; 4-byte Folded Spill
	;; [unrolled: 2-line block ×26, first 2 shown]
	v_and_b32_e32 v2, 0xffff0000, v34
	v_and_b32_e32 v5, 0xffff0000, v5
	scratch_store_dword off, v2, s32 offset:604 ; 4-byte Folded Spill
	v_and_b32_e32 v2, 0xffff0000, v17
	scratch_store_dword off, v5, s32 offset:416 ; 4-byte Folded Spill
	scratch_store_dword off, v2, s32 offset:608 ; 4-byte Folded Spill
	scratch_load_dwordx4 v[2:5], off, s32 offset:328 ; 16-byte Folded Reload
	v_and_b32_e32 v12, 0xffff0000, v13
	scratch_load_dwordx4 v[6:9], off, s32 offset:312 ; 16-byte Folded Reload
	scratch_load_dwordx4 v[14:17], off, s32 offset:280 ; 16-byte Folded Reload
	v_mov_b64_e32 v[18:19], v[44:45]
	scratch_store_dword off, v12, s32 offset:412 ; 4-byte Folded Spill
	scratch_load_dwordx4 v[10:13], off, s32 offset:296 ; 16-byte Folded Reload
	v_mov_b64_e32 v[20:21], v[46:47]
	v_lshlrev_b32_e32 v30, 16, v54
	v_lshlrev_b32_e32 v34, 16, v52
	v_and_b32_e32 v28, 0xffff0000, v54
	v_lshlrev_b32_e32 v49, 16, v55
	v_lshlrev_b32_e32 v23, 16, v53
	v_and_b32_e32 v31, 0xffff0000, v55
	v_lshlrev_b32_e32 v42, 16, v44
	v_lshlrev_b32_e32 v43, 16, v45
	v_and_b32_e32 v40, 0xffff0000, v19
	v_and_b32_e32 v41, 0xffff0000, v20
	scratch_load_dword v48, off, s32 offset:652 ; 4-byte Folded Reload
	s_waitcnt vmcnt(35)
	v_and_b32_e32 v0, 0xffff0000, v0
	v_accvgpr_write_b32 a27, v0
	scratch_load_dword v0, off, s32 offset:648 ; 4-byte Folded Reload
	s_waitcnt vmcnt(6)
	v_lshlrev_b32_e32 v33, 16, v2
	v_lshlrev_b32_e32 v51, 16, v3
	s_waitcnt vmcnt(5)
	v_lshlrev_b32_e32 v35, 16, v7
	v_and_b32_e32 v22, 0xffff0000, v7
	s_waitcnt vmcnt(4)
	v_lshlrev_b32_e32 v26, 16, v17
	v_and_b32_e32 v50, 0xffff0000, v17
	;; [unrolled: 3-line block ×3, first 2 shown]
	v_lshlrev_b32_e32 v32, 16, v4
	v_and_b32_e32 v44, 0xffff0000, v4
	v_and_b32_e32 v60, 0xffff0000, v5
	v_lshlrev_b32_e32 v37, 16, v6
	v_and_b32_e32 v1, 0xffff0000, v6
	v_lshlrev_b32_e32 v36, 16, v8
	v_and_b32_e32 v27, 0xffff0000, v8
	v_and_b32_e32 v45, 0xffff0000, v9
	;; [unrolled: 1-line block ×6, first 2 shown]
	v_lshlrev_b32_e32 v25, 16, v16
	v_and_b32_e32 v54, 0xffff0000, v16
	s_waitcnt vmcnt(0)
	v_and_b32_e32 v0, 0xffff0000, v0
	v_accvgpr_write_b32 a32, v0
	scratch_load_dword v0, off, s32 offset:640 ; 4-byte Folded Reload
	s_waitcnt vmcnt(0)
	v_and_b32_e32 v0, 0xffff0000, v0
	v_accvgpr_write_b32 a4, v0
	scratch_load_dword v0, off, s32 offset:644 ; 4-byte Folded Reload
	;; [unrolled: 4-line block ×27, first 2 shown]
	s_waitcnt vmcnt(0)
	v_and_b32_e32 v61, 0xffff0000, v0
	scratch_load_dword v0, off, s32 offset:360 ; 4-byte Folded Reload
	s_waitcnt vmcnt(0)
	v_and_b32_e32 v0, 0xffff0000, v0
	v_accvgpr_write_b32 a45, v0
	scratch_load_dword v0, off, s32 offset:352 ; 4-byte Folded Reload
	s_waitcnt vmcnt(0)
	v_and_b32_e32 v0, 0xffff0000, v0
	v_accvgpr_write_b32 a43, v0
	scratch_load_dword v0, off, s32 offset:356 ; 4-byte Folded Reload
	s_waitcnt vmcnt(0)
	v_and_b32_e32 v0, 0xffff0000, v0
	v_accvgpr_write_b32 a15, v0
	scratch_load_dword v0, off, s32 offset:348 ; 4-byte Folded Reload
	s_waitcnt vmcnt(0)
	v_and_b32_e32 v0, 0xffff0000, v0
	v_accvgpr_write_b32 a41, v0
	scratch_load_dword v0, off, s32 offset:344 ; 4-byte Folded Reload
	s_waitcnt vmcnt(0)
	v_and_b32_e32 v0, 0xffff0000, v0
	v_accvgpr_write_b32 a59, v0
	v_lshlrev_b32_e32 v0, 16, v5
	v_accvgpr_write_b32 a14, v0
	v_lshlrev_b32_e32 v0, 16, v9
	v_accvgpr_write_b32 a19, v0
	;; [unrolled: 2-line block ×10, first 2 shown]
	scratch_load_dword v0, off, s32 offset:272 ; 4-byte Folded Reload
	v_and_b32_e32 v46, 0xffff0000, v2
	v_accvgpr_read_b32 v2, a45
	v_mul_f32_e32 v7, v30, v2
	v_accvgpr_read_b32 v2, a59
	v_fmac_f32_e32 v7, v34, v2
	v_accvgpr_read_b32 v2, a41
	v_accvgpr_read_b32 v3, a14
	s_waitcnt vmcnt(0)
	v_lshlrev_b32_e32 v0, 16, v0
	v_accvgpr_write_b32 a10, v0
	scratch_load_dword v0, off, s32 offset:848 ; 4-byte Folded Reload
	v_accvgpr_read_b32 v6, a10
	s_waitcnt vmcnt(0)
	v_and_b32_e32 v47, 64, v0
	v_xor_b32_e32 v38, 1, v0
	v_add_u32_e32 v47, 64, v47
	v_cmp_lt_i32_e32 vcc, v38, v47
	s_nop 1
	v_cndmask_b32_e32 v47, v0, v38, vcc
	v_and_b32_e32 v0, 0xffff0000, v59
	scratch_store_dword off, v0, s32 offset:344 ; 4-byte Folded Spill
	v_and_b32_e32 v0, 0xffff0000, v62
	v_and_b32_e32 v62, 0xffff0000, v52
	;; [unrolled: 1-line block ×3, first 2 shown]
	v_mul_f32_e32 v10, v28, v61
	v_fmac_f32_e32 v10, v62, v2
	v_accvgpr_read_b32 v2, a57
	v_and_b32_e32 v59, 0xffff0000, v53
	v_and_b32_e32 v53, 0xffff0000, v11
	v_mul_f32_e32 v11, v49, v2
	v_accvgpr_read_b32 v2, a43
	v_fmac_f32_e32 v11, v23, v2
	v_accvgpr_read_b32 v2, a47
	v_mul_f32_e32 v17, v31, v2
	v_accvgpr_read_b32 v2, a15
	v_fmac_f32_e32 v17, v59, v2
	v_accvgpr_read_b32 v2, a60
	v_fmac_f32_e32 v7, v33, v2
	;; [unrolled: 2-line block ×15, first 2 shown]
	v_accvgpr_read_b32 v1, a62
	v_accvgpr_read_b32 v2, a19
	v_fmac_f32_e32 v11, v2, v1
	v_accvgpr_read_b32 v1, a38
	v_fmac_f32_e32 v17, v45, v1
	v_accvgpr_read_b32 v1, a40
	v_accvgpr_read_b32 v2, a17
	v_fmac_f32_e32 v7, v2, v1
	v_accvgpr_read_b32 v1, a42
	v_fmac_f32_e32 v10, v52, v1
	;; [unrolled: 2-line block ×4, first 2 shown]
	v_accvgpr_read_b32 v1, a56
	v_accvgpr_read_b32 v2, a9
	v_fmac_f32_e32 v7, v2, v1
	v_accvgpr_read_b32 v1, a48
	v_fmac_f32_e32 v10, v58, v1
	v_accvgpr_read_b32 v1, a4
	v_accvgpr_read_b32 v2, a49
	v_fmac_f32_e32 v11, v2, v1
	v_accvgpr_read_b32 v1, a50
	v_fmac_f32_e32 v17, v56, v1
	;; [unrolled: 5-line block ×4, first 2 shown]
	v_accvgpr_read_b32 v1, a34
	v_fmac_f32_e32 v7, v25, v1
	v_accvgpr_read_b32 v1, a6
	v_fmac_f32_e32 v10, v54, v1
	;; [unrolled: 2-line block ×4, first 2 shown]
	v_accvgpr_read_b32 v1, a11
	v_mov_b32_e32 v38, v48
	v_and_b32_e32 v48, 0xffff0000, v18
	v_fmac_f32_e32 v7, v42, v1
	v_accvgpr_read_b32 v1, a24
	v_fmac_f32_e32 v10, v48, v1
	v_accvgpr_read_b32 v1, a25
	;; [unrolled: 2-line block ×4, first 2 shown]
	v_accvgpr_read_b32 v2, a29
	v_fmac_f32_e32 v7, v2, v1
	v_accvgpr_read_b32 v1, a28
	v_fmac_f32_e32 v10, v41, v1
	v_accvgpr_read_b32 v1, a13
	v_accvgpr_read_b32 v2, a63
	scratch_store_dword off, v0, s32 offset:272 ; 4-byte Folded Spill
	v_and_b32_e32 v0, 0xffff0000, v21
	v_fmac_f32_e32 v11, v2, v1
	v_accvgpr_read_b32 v1, a2
	v_fmac_f32_e32 v17, v0, v1
	v_accvgpr_read_b32 v26, a26
	v_accvgpr_read_b32 v0, a3
	;; [unrolled: 1-line block ×3, first 2 shown]
	ds_read_b128 v[32:35], v26 offset:102
	ds_read_b128 v[28:31], v26 offset:118
	ds_read_b128 v[12:15], v26 offset:134
	ds_read_b128 v[2:5], v26 offset:150
	v_fmac_f32_e32 v7, v1, v0
	scratch_load_dword v1, off, s32 offset:820 ; 4-byte Folded Reload
	v_and_b32_e32 v38, 0xffff0000, v38
	v_accvgpr_read_b32 v0, a12
	v_fmac_f32_e32 v10, v38, v0
	s_waitcnt lgkmcnt(3)
	v_lshlrev_b32_e32 v0, 16, v32
	v_lshlrev_b32_e32 v47, 2, v47
	ds_read_b128 v[18:21], v26 offset:214
	s_waitcnt vmcnt(0)
	v_fmac_f32_e32 v11, v6, v1
	scratch_load_dword v1, off, s32 offset:816 ; 4-byte Folded Reload
	scratch_load_dword v6, off, s32 offset:812 ; 4-byte Folded Reload
	s_waitcnt vmcnt(1)
	v_fmac_f32_e32 v17, v0, v1
	v_and_b32_e32 v0, 0xffff0000, v32
	s_waitcnt vmcnt(0)
	v_fmac_f32_e32 v7, v0, v6
	scratch_load_dword v0, off, s32 offset:808 ; 4-byte Folded Reload
	scratch_load_dword v6, off, s32 offset:804 ; 4-byte Folded Reload
	v_lshlrev_b32_e32 v1, 16, v33
	s_waitcnt vmcnt(1)
	v_fmac_f32_e32 v10, v1, v0
	v_and_b32_e32 v0, 0xffff0000, v33
	s_waitcnt vmcnt(0)
	v_fmac_f32_e32 v11, v0, v6
	scratch_load_dword v0, off, s32 offset:800 ; 4-byte Folded Reload
	scratch_load_dword v6, off, s32 offset:796 ; 4-byte Folded Reload
	v_lshlrev_b32_e32 v1, 16, v34
	;; [unrolled: 8-line block ×3, first 2 shown]
	s_waitcnt vmcnt(1)
	v_fmac_f32_e32 v10, v1, v0
	v_and_b32_e32 v0, 0xffff0000, v35
	s_waitcnt vmcnt(0)
	v_fmac_f32_e32 v11, v0, v6
	scratch_load_dword v0, off, s32 offset:788 ; 4-byte Folded Reload
	scratch_load_dword v6, off, s32 offset:780 ; 4-byte Folded Reload
	s_waitcnt lgkmcnt(3)
	v_lshlrev_b32_e32 v1, 16, v28
	s_waitcnt vmcnt(1)
	v_fmac_f32_e32 v17, v1, v0
	v_and_b32_e32 v0, 0xffff0000, v28
	s_waitcnt vmcnt(0)
	v_fmac_f32_e32 v7, v0, v6
	scratch_load_dword v0, off, s32 offset:776 ; 4-byte Folded Reload
	scratch_load_dword v6, off, s32 offset:772 ; 4-byte Folded Reload
	v_lshlrev_b32_e32 v1, 16, v29
	s_waitcnt vmcnt(1)
	v_fmac_f32_e32 v10, v1, v0
	v_and_b32_e32 v0, 0xffff0000, v29
	s_waitcnt vmcnt(0)
	v_fmac_f32_e32 v11, v0, v6
	scratch_load_dword v0, off, s32 offset:768 ; 4-byte Folded Reload
	scratch_load_dword v6, off, s32 offset:764 ; 4-byte Folded Reload
	;; [unrolled: 8-line block ×4, first 2 shown]
	s_waitcnt lgkmcnt(2)
	v_lshlrev_b32_e32 v1, 16, v12
	s_waitcnt vmcnt(1)
	v_fmac_f32_e32 v17, v1, v0
	v_and_b32_e32 v0, 0xffff0000, v12
	s_waitcnt vmcnt(0)
	v_fmac_f32_e32 v7, v0, v6
	scratch_load_dword v0, off, s32 offset:744 ; 4-byte Folded Reload
	scratch_load_dword v6, off, s32 offset:740 ; 4-byte Folded Reload
	v_lshlrev_b32_e32 v1, 16, v13
	s_waitcnt vmcnt(1)
	v_fmac_f32_e32 v10, v1, v0
	v_and_b32_e32 v0, 0xffff0000, v13
	s_waitcnt vmcnt(0)
	v_fmac_f32_e32 v11, v0, v6
	scratch_load_dword v0, off, s32 offset:736 ; 4-byte Folded Reload
	scratch_load_dword v6, off, s32 offset:732 ; 4-byte Folded Reload
	;; [unrolled: 8-line block ×3, first 2 shown]
	v_lshlrev_b32_e32 v1, 16, v15
	s_waitcnt vmcnt(1)
	v_fmac_f32_e32 v10, v1, v0
	v_and_b32_e32 v1, 0xffff0000, v15
	s_waitcnt vmcnt(0)
	v_fmac_f32_e32 v11, v1, v6
	scratch_load_dword v1, off, s32 offset:720 ; 4-byte Folded Reload
	s_waitcnt lgkmcnt(1)
	v_lshlrev_b32_e32 v0, 16, v2
	ds_read_b128 v[12:15], v26 offset:166
	scratch_load_dword v6, off, s32 offset:668 ; 4-byte Folded Reload
	s_waitcnt vmcnt(1)
	v_fmac_f32_e32 v17, v0, v1
	v_and_b32_e32 v0, 0xffff0000, v2
	scratch_load_dword v2, off, s32 offset:716 ; 4-byte Folded Reload
	v_lshlrev_b32_e32 v1, 16, v3
	s_waitcnt vmcnt(0)
	v_fmac_f32_e32 v7, v0, v2
	scratch_load_dword v0, off, s32 offset:712 ; 4-byte Folded Reload
	scratch_load_dword v2, off, s32 offset:708 ; 4-byte Folded Reload
	s_waitcnt vmcnt(1)
	v_fmac_f32_e32 v10, v1, v0
	v_and_b32_e32 v0, 0xffff0000, v3
	s_waitcnt vmcnt(0)
	v_fmac_f32_e32 v11, v0, v2
	scratch_load_dword v0, off, s32 offset:704 ; 4-byte Folded Reload
	scratch_load_dword v2, off, s32 offset:700 ; 4-byte Folded Reload
	v_lshlrev_b32_e32 v1, 16, v4
	s_waitcnt vmcnt(1)
	v_fmac_f32_e32 v17, v1, v0
	v_and_b32_e32 v0, 0xffff0000, v4
	s_waitcnt vmcnt(0)
	v_fmac_f32_e32 v7, v0, v2
	scratch_load_dword v0, off, s32 offset:696 ; 4-byte Folded Reload
	scratch_load_dword v2, off, s32 offset:692 ; 4-byte Folded Reload
	v_lshlrev_b32_e32 v1, 16, v5
	s_waitcnt vmcnt(1)
	v_fmac_f32_e32 v10, v1, v0
	v_and_b32_e32 v0, 0xffff0000, v5
	s_waitcnt vmcnt(0)
	v_fmac_f32_e32 v11, v0, v2
	scratch_load_dword v0, off, s32 offset:688 ; 4-byte Folded Reload
	scratch_load_dword v2, off, s32 offset:684 ; 4-byte Folded Reload
	s_waitcnt lgkmcnt(0)
	v_lshlrev_b32_e32 v1, 16, v12
	s_waitcnt vmcnt(1)
	v_fmac_f32_e32 v17, v1, v0
	v_and_b32_e32 v0, 0xffff0000, v12
	s_waitcnt vmcnt(0)
	v_fmac_f32_e32 v7, v0, v2
	scratch_load_dword v0, off, s32 offset:680 ; 4-byte Folded Reload
	scratch_load_dword v2, off, s32 offset:676 ; 4-byte Folded Reload
	v_lshlrev_b32_e32 v1, 16, v13
	s_waitcnt vmcnt(1)
	v_fmac_f32_e32 v10, v1, v0
	v_and_b32_e32 v0, 0xffff0000, v13
	s_waitcnt vmcnt(0)
	v_fmac_f32_e32 v11, v0, v2
	scratch_load_dword v0, off, s32 offset:672 ; 4-byte Folded Reload
	v_lshlrev_b32_e32 v1, 16, v14
	ds_read_b128 v[2:5], v26 offset:182
	s_waitcnt vmcnt(0)
	v_fmac_f32_e32 v17, v1, v0
	v_and_b32_e32 v0, 0xffff0000, v14
	v_fmac_f32_e32 v7, v0, v6
	scratch_load_dword v0, off, s32 offset:664 ; 4-byte Folded Reload
	scratch_load_dword v6, off, s32 offset:660 ; 4-byte Folded Reload
	v_lshlrev_b32_e32 v1, 16, v15
	s_waitcnt vmcnt(1)
	v_fmac_f32_e32 v10, v1, v0
	v_and_b32_e32 v0, 0xffff0000, v15
	s_waitcnt vmcnt(0)
	v_fmac_f32_e32 v11, v0, v6
	scratch_load_dword v0, off, s32 offset:636 ; 4-byte Folded Reload
	ds_read_b128 v[12:15], v26 offset:198
	s_waitcnt lgkmcnt(1)
	v_lshlrev_b32_e32 v1, 16, v2
	scratch_load_dword v6, off, s32 offset:504 ; 4-byte Folded Reload
	s_waitcnt vmcnt(1)
	v_fmac_f32_e32 v17, v1, v0
	v_and_b32_e32 v0, 0xffff0000, v2
	scratch_load_dword v2, off, s32 offset:628 ; 4-byte Folded Reload
	v_lshlrev_b32_e32 v1, 16, v3
	s_waitcnt vmcnt(0)
	v_fmac_f32_e32 v7, v0, v2
	scratch_load_dword v0, off, s32 offset:624 ; 4-byte Folded Reload
	scratch_load_dword v2, off, s32 offset:620 ; 4-byte Folded Reload
	s_waitcnt vmcnt(1)
	v_fmac_f32_e32 v10, v1, v0
	v_and_b32_e32 v0, 0xffff0000, v3
	s_waitcnt vmcnt(0)
	v_fmac_f32_e32 v11, v0, v2
	scratch_load_dword v0, off, s32 offset:616 ; 4-byte Folded Reload
	scratch_load_dword v2, off, s32 offset:608 ; 4-byte Folded Reload
	v_lshlrev_b32_e32 v1, 16, v4
	s_waitcnt vmcnt(1)
	v_fmac_f32_e32 v17, v1, v0
	v_and_b32_e32 v0, 0xffff0000, v4
	s_waitcnt vmcnt(0)
	v_fmac_f32_e32 v7, v0, v2
	scratch_load_dword v0, off, s32 offset:604 ; 4-byte Folded Reload
	scratch_load_dword v2, off, s32 offset:600 ; 4-byte Folded Reload
	v_lshlrev_b32_e32 v1, 16, v5
	s_waitcnt vmcnt(1)
	v_fmac_f32_e32 v10, v1, v0
	v_and_b32_e32 v0, 0xffff0000, v5
	s_waitcnt vmcnt(0)
	v_fmac_f32_e32 v11, v0, v2
	scratch_load_dword v0, off, s32 offset:596 ; 4-byte Folded Reload
	scratch_load_dword v2, off, s32 offset:588 ; 4-byte Folded Reload
	s_waitcnt lgkmcnt(0)
	v_lshlrev_b32_e32 v1, 16, v12
	s_waitcnt vmcnt(1)
	v_fmac_f32_e32 v17, v1, v0
	v_and_b32_e32 v0, 0xffff0000, v12
	s_waitcnt vmcnt(0)
	v_fmac_f32_e32 v7, v0, v2
	scratch_load_dword v0, off, s32 offset:584 ; 4-byte Folded Reload
	scratch_load_dword v2, off, s32 offset:580 ; 4-byte Folded Reload
	v_lshlrev_b32_e32 v1, 16, v13
	s_waitcnt vmcnt(1)
	v_fmac_f32_e32 v10, v1, v0
	v_and_b32_e32 v0, 0xffff0000, v13
	s_waitcnt vmcnt(0)
	v_fmac_f32_e32 v11, v0, v2
	scratch_load_dword v0, off, s32 offset:576 ; 4-byte Folded Reload
	scratch_load_dword v2, off, s32 offset:560 ; 4-byte Folded Reload
	;; [unrolled: 8-line block ×5, first 2 shown]
	v_lshlrev_b32_e32 v1, 16, v19
	s_waitcnt vmcnt(1)
	v_fmac_f32_e32 v10, v1, v0
	v_and_b32_e32 v0, 0xffff0000, v19
	s_waitcnt vmcnt(0)
	v_fmac_f32_e32 v11, v0, v2
	scratch_load_dword v0, off, s32 offset:520 ; 4-byte Folded Reload
	v_lshlrev_b32_e32 v1, 16, v20
	ds_read_b128 v[2:5], v26 offset:230
	s_waitcnt vmcnt(0)
	v_fmac_f32_e32 v17, v1, v0
	v_and_b32_e32 v0, 0xffff0000, v20
	v_fmac_f32_e32 v7, v0, v6
	scratch_load_dword v0, off, s32 offset:496 ; 4-byte Folded Reload
	scratch_load_dword v6, off, s32 offset:480 ; 4-byte Folded Reload
	v_lshlrev_b32_e32 v1, 16, v21
	s_waitcnt vmcnt(1)
	v_fmac_f32_e32 v10, v1, v0
	v_and_b32_e32 v0, 0xffff0000, v21
	s_waitcnt vmcnt(0)
	v_fmac_f32_e32 v11, v0, v6
	scratch_load_dword v0, off, s32 offset:488 ; 4-byte Folded Reload
	s_waitcnt lgkmcnt(0)
	v_lshlrev_b32_e32 v1, 16, v2
	s_waitcnt vmcnt(0)
	v_fmac_f32_e32 v17, v1, v0
	v_and_b32_e32 v0, 0xffff0000, v2
	scratch_load_dword v2, off, s32 offset:464 ; 4-byte Folded Reload
	v_lshlrev_b32_e32 v1, 16, v3
	s_waitcnt vmcnt(0)
	v_fmac_f32_e32 v7, v0, v2
	scratch_load_dword v0, off, s32 offset:460 ; 4-byte Folded Reload
	scratch_load_dword v2, off, s32 offset:456 ; 4-byte Folded Reload
	s_waitcnt vmcnt(1)
	v_fmac_f32_e32 v10, v1, v0
	v_and_b32_e32 v0, 0xffff0000, v3
	v_lshlrev_b32_e32 v1, 16, v4
	s_waitcnt vmcnt(0)
	v_fmac_f32_e32 v11, v0, v2
	v_and_b32_e32 v2, 0xffff0000, v4
	scratch_load_dword v4, off, s32 offset:436 ; 4-byte Folded Reload
	scratch_load_dword v0, off, s32 offset:452 ; 4-byte Folded Reload
	v_lshlrev_b32_e32 v3, 16, v5
	s_waitcnt vmcnt(1)
	v_fmac_f32_e32 v7, v2, v4
	scratch_load_dword v2, off, s32 offset:432 ; 4-byte Folded Reload
	scratch_load_dword v4, off, s32 offset:424 ; 4-byte Folded Reload
	s_waitcnt vmcnt(1)
	v_fmac_f32_e32 v10, v3, v2
	v_and_b32_e32 v2, 0xffff0000, v5
	s_waitcnt vmcnt(0)
	v_fmac_f32_e32 v11, v2, v4
	scratch_load_dword v2, off, s32 offset:420 ; 4-byte Folded Reload
	v_fmac_f32_e32 v17, v1, v0
	ds_read_b64 v[0:1], v26 offset:246
	s_waitcnt lgkmcnt(0)
	v_lshlrev_b32_e32 v3, 16, v0
	v_and_b32_e32 v0, 0xffff0000, v0
	s_waitcnt vmcnt(0)
	v_fmac_f32_e32 v17, v3, v2
	scratch_load_dword v3, off, s32 offset:416 ; 4-byte Folded Reload
	v_lshlrev_b32_e32 v2, 16, v1
	s_waitcnt vmcnt(0)
	v_fmac_f32_e32 v7, v0, v3
	scratch_load_dword v0, off, s32 offset:412 ; 4-byte Folded Reload
	s_waitcnt vmcnt(0)
	v_fmac_f32_e32 v10, v2, v0
	scratch_load_dword v2, off, s32 offset:344 ; 4-byte Folded Reload
	v_and_b32_e32 v0, 0xffff0000, v1
	ds_read_u16 v1, v26 offset:254
	s_waitcnt lgkmcnt(0)
	v_lshlrev_b32_e32 v1, 16, v1
	s_waitcnt vmcnt(0)
	v_fmac_f32_e32 v11, v0, v2
	scratch_load_dword v0, off, s32 offset:272 ; 4-byte Folded Reload
	s_waitcnt vmcnt(0)
	v_fmac_f32_e32 v17, v1, v0
	v_add_f32_e32 v0, v7, v10
	v_add_f32_e32 v0, v0, v11
	;; [unrolled: 1-line block ×3, first 2 shown]
	ds_bpermute_b32 v1, v47, v0
	s_and_saveexec_b64 s[44:45], s[6:7]
	s_cbranch_execz .LBB338_10
; %bb.528:                              ;   in Loop: Header=BB338_12 Depth=1
	scratch_load_dword v4, off, s32 offset:204 ; 4-byte Folded Reload
	scratch_load_dword v2, off, s32 offset:868 ; 4-byte Folded Reload
	;; [unrolled: 1-line block ×3, first 2 shown]
	s_waitcnt lgkmcnt(0)
	v_add_f32_e32 v0, v0, v1
	s_load_dword vcc_lo, s[22:23], 0x0
	scratch_load_dword v1, off, s32 offset:864 ; 4-byte Folded Reload
	s_waitcnt vmcnt(2)
	v_add_u32_e32 v2, v2, v4
	s_waitcnt vmcnt(1)
	v_add_u32_e32 v3, v3, v4
	scratch_load_dword v4, off, s32 offset:860 ; 4-byte Folded Reload
	v_cvt_f32_i32_e32 v2, v2
	s_waitcnt vmcnt(0)
	v_mul_f32_e32 v2, v4, v2
	v_cndmask_b32_e64 v2, 0, v2, s[8:9]
	v_fmac_f32_e32 v2, v0, v1
	scratch_load_dword v0, off, s32 offset:188 ; 4-byte Folded Reload
	scratch_load_dword v1, off, s32 offset:836 ; 4-byte Folded Reload
	v_accvgpr_read_b32 v4, a61
	s_waitcnt lgkmcnt(0)
	v_add_u32_e32 v4, vcc_lo, v4
	s_waitcnt vmcnt(1)
	v_cmp_lt_i32_e32 vcc, v3, v0
	s_nop 1
	v_cndmask_b32_e32 v0, 0, v2, vcc
	ds_write_b32 v4, v0
	s_waitcnt vmcnt(0)
	v_max_f32_e32 v0, v1, v1
	v_max_f32_e32 v0, v0, v2
	v_cndmask_b32_e32 v1, v1, v0, vcc
	scratch_store_dword off, v1, s32 offset:836 ; 4-byte Folded Spill
	s_branch .LBB338_10
.LBB338_529:
	s_or_b64 exec, exec, s[24:25]
	scratch_load_dword v9, off, s32 offset:836 ; 4-byte Folded Reload
	v_mbcnt_lo_u32_b32 v2, -1, 0
.LBB338_530:
	s_or_b64 exec, exec, s[12:13]
	v_mbcnt_hi_u32_b32 v0, -1, v2
	v_and_b32_e32 v1, 64, v0
	v_add_u32_e32 v7, 64, v1
	v_xor_b32_e32 v1, 32, v0
	v_cmp_lt_i32_e32 vcc, v1, v7
	v_xor_b32_e32 v4, 16, v0
	s_waitcnt vmcnt(0)
	v_max_f32_e32 v3, v9, v9
	v_cndmask_b32_e32 v1, v0, v1, vcc
	v_lshlrev_b32_e32 v1, 2, v1
	ds_bpermute_b32 v2, v1, v9
	v_cmp_lt_i32_e32 vcc, v4, v7
	v_xor_b32_e32 v5, 8, v0
	v_xor_b32_e32 v6, 4, v0
	;; [unrolled: 1-line block ×3, first 2 shown]
	s_waitcnt lgkmcnt(0)
	v_max_f32_e32 v2, v2, v2
	v_max_f32_e32 v3, v3, v2
	v_cndmask_b32_e32 v2, v0, v4, vcc
	v_lshlrev_b32_e32 v2, 2, v2
	ds_bpermute_b32 v4, v2, v3
	v_cmp_lt_i32_e32 vcc, v5, v7
	s_lshr_b32 s19, s19, 16
	s_waitcnt lgkmcnt(0)
	v_max_f32_e32 v4, v4, v4
	v_max_f32_e32 v4, v3, v4
	v_cndmask_b32_e32 v3, v0, v5, vcc
	v_lshlrev_b32_e32 v3, 2, v3
	ds_bpermute_b32 v5, v3, v4
	v_cmp_lt_i32_e32 vcc, v6, v7
	s_waitcnt lgkmcnt(0)
	v_max_f32_e32 v5, v5, v5
	v_max_f32_e32 v5, v4, v5
	v_cndmask_b32_e32 v4, v0, v6, vcc
	v_lshlrev_b32_e32 v4, 2, v4
	ds_bpermute_b32 v6, v4, v5
	v_cmp_lt_i32_e32 vcc, v8, v7
	s_waitcnt lgkmcnt(0)
	v_max_f32_e32 v6, v6, v6
	v_max_f32_e32 v6, v5, v6
	v_cndmask_b32_e32 v5, v0, v8, vcc
	v_lshlrev_b32_e32 v25, 2, v5
	scratch_load_dword v5, off, s32 offset:824 ; 4-byte Folded Reload
	ds_bpermute_b32 v8, v25, v6
	s_waitcnt vmcnt(0)
	v_and_b32_e32 v31, 63, v5
	scratch_load_dword v5, off, s32 offset:192 ; 4-byte Folded Reload
	v_cmp_eq_u32_e32 vcc, 0, v31
	s_waitcnt vmcnt(0)
	v_lshlrev_b32_e32 v5, 2, v5
	s_and_saveexec_b64 s[6:7], vcc
	s_cbranch_execz .LBB338_532
; %bb.531:
	s_waitcnt lgkmcnt(0)
	v_max_f32_e32 v8, v8, v8
	v_max_f32_e32 v6, v6, v6
	;; [unrolled: 1-line block ×3, first 2 shown]
	ds_write_b32 v5, v6 offset:512
.LBB338_532:
	s_or_b64 exec, exec, s[6:7]
	v_cmp_gt_u32_e64 s[6:7], 2, v31
	s_waitcnt lgkmcnt(0)
	v_mov_b32_e32 v8, 0xff7fffff
	v_lshlrev_b32_e32 v6, 2, v31
	s_barrier
	s_and_saveexec_b64 s[8:9], s[6:7]
	s_cbranch_execz .LBB338_534
; %bb.533:
	ds_read_b32 v8, v6 offset:512
.LBB338_534:
	s_or_b64 exec, exec, s[8:9]
	v_xor_b32_e32 v9, 1, v0
	v_cmp_lt_i32_e64 s[8:9], v9, v7
	s_nop 1
	v_cndmask_b32_e64 v7, v0, v9, s[8:9]
	v_lshlrev_b32_e32 v27, 2, v7
	s_waitcnt lgkmcnt(0)
	ds_bpermute_b32 v7, v27, v8
	v_max_f32_e32 v8, v8, v8
	v_lshlrev_b32_e32 v0, 2, v0
	scratch_load_dword v9, off, s32 offset:188 ; 4-byte Folded Reload
	s_waitcnt lgkmcnt(0)
	v_max_f32_e32 v7, v7, v7
	v_max_f32_e32 v8, v8, v7
	v_and_b32_e32 v7, 0x100, v0
	scratch_load_dword v0, off, s32 offset:212 ; 4-byte Folded Reload
	ds_bpermute_b32 v8, v7, v8
	s_waitcnt vmcnt(0)
	v_lshlrev_b32_e32 v0, 5, v0
	v_min_i32_e32 v0, v0, v9
	scratch_load_dword v9, off, s32 offset:824 ; 4-byte Folded Reload
	s_waitcnt vmcnt(0)
	v_cmp_lt_i32_e64 s[8:9], v9, v0
	v_mov_b32_e32 v9, 0
	s_and_saveexec_b64 s[12:13], s[8:9]
	s_cbranch_execz .LBB338_538
; %bb.535:
	scratch_load_dword v11, off, s32 offset:824 ; 4-byte Folded Reload
	s_ashr_i32 s21, s20, 31
	s_lshl_b64 s[10:11], s[20:21], 2
	s_getpc_b64 s[22:23]
	s_add_u32 s22, s22, llvm.amdgcn.dynlds.offset.table@rel32@lo+4
	s_addc_u32 s23, s23, llvm.amdgcn.dynlds.offset.table@rel32@hi+12
	s_add_u32 s10, s10, s22
	s_addc_u32 s11, s11, s23
	s_load_dword s10, s[10:11], 0x0
	s_mov_b64 s[22:23], 0
	v_mov_b32_e32 v9, 0
	s_waitcnt vmcnt(0) lgkmcnt(0)
	v_lshl_add_u32 v10, v11, 2, s10
.LBB338_536:                            ; =>This Inner Loop Header: Depth=1
	ds_read_b32 v12, v10
	v_add_u32_e32 v11, 0x80, v11
	v_cmp_ge_i32_e64 s[10:11], v11, v0
	s_or_b64 s[22:23], s[10:11], s[22:23]
	s_waitcnt lgkmcnt(0)
	v_sub_f32_e32 v12, v12, v8
	v_mul_f32_e32 v12, 0x3fb8aa3b, v12
	v_exp_f32_e32 v12, v12
	ds_write_b32 v10, v12
	v_add_f32_e32 v9, v9, v12
	v_add_u32_e32 v10, 0x200, v10
	s_andn2_b64 exec, exec, s[22:23]
	s_cbranch_execnz .LBB338_536
; %bb.537:
	s_or_b64 exec, exec, s[22:23]
.LBB338_538:
	s_or_b64 exec, exec, s[12:13]
	ds_bpermute_b32 v1, v1, v9
	s_waitcnt lgkmcnt(0)
	v_add_f32_e32 v1, v9, v1
	ds_bpermute_b32 v2, v2, v1
	s_waitcnt lgkmcnt(0)
	v_add_f32_e32 v1, v1, v2
	;; [unrolled: 3-line block ×6, first 2 shown]
	s_and_saveexec_b64 s[10:11], vcc
	s_cbranch_execz .LBB338_540
; %bb.539:
	ds_write_b32 v5, v1 offset:520
.LBB338_540:
	s_or_b64 exec, exec, s[10:11]
	s_waitcnt lgkmcnt(0)
	s_barrier
	s_and_saveexec_b64 s[10:11], s[6:7]
	s_cbranch_execz .LBB338_542
; %bb.541:
	ds_read_b32 v1, v6 offset:520
.LBB338_542:
	s_or_b64 exec, exec, s[10:11]
	s_waitcnt lgkmcnt(0)
	ds_bpermute_b32 v2, v27, v1
	s_waitcnt lgkmcnt(0)
	v_add_f32_e32 v1, v1, v2
	ds_bpermute_b32 v1, v7, v1
	s_and_saveexec_b64 s[6:7], s[8:9]
	s_cbranch_execz .LBB338_555
; %bb.543:
	s_waitcnt lgkmcnt(0)
	v_add_f32_e32 v1, 0x358637bd, v1
	v_div_scale_f32 v2, s[8:9], v1, v1, 1.0
	v_rcp_f32_e32 v3, v2
	v_div_scale_f32 v4, vcc, 1.0, v1, 1.0
	s_movk_i32 s8, 0x7f
	v_fma_f32 v5, -v2, v3, 1.0
	v_fmac_f32_e32 v3, v5, v3
	v_mul_f32_e32 v5, v4, v3
	v_fma_f32 v6, -v2, v5, v4
	v_fmac_f32_e32 v5, v6, v3
	v_fma_f32 v2, -v2, v5, v4
	v_div_fmas_f32 v2, v2, v3, v5
	v_div_fixup_f32 v2, v2, v1, 1.0
	scratch_load_dword v1, off, s32 offset:824 ; 4-byte Folded Reload
	s_mov_b64 s[10:11], -1
	s_waitcnt vmcnt(0)
	v_xad_u32 v3, v1, -1, v0
	v_cmp_lt_u32_e32 vcc, s8, v3
	s_and_saveexec_b64 s[8:9], vcc
	s_cbranch_execz .LBB338_552
; %bb.544:
	v_lshrrev_b32_e32 v1, 7, v3
	v_add_u32_e32 v5, -1, v1
	v_lshrrev_b32_e32 v4, 1, v5
	v_mov_b32_e32 v3, v2
	v_add_u32_e32 v4, 1, v4
	v_cmp_lt_u32_e32 vcc, 13, v5
	v_mov_b32_e32 v7, 0
	s_and_saveexec_b64 s[10:11], vcc
	s_cbranch_execz .LBB338_548
; %bb.545:
	scratch_load_dword v6, off, s32 offset:824 ; 4-byte Folded Reload
	s_ashr_i32 s21, s20, 31
	s_lshl_b64 s[12:13], s[20:21], 2
	s_getpc_b64 s[22:23]
	s_add_u32 s22, s22, llvm.amdgcn.dynlds.offset.table@rel32@lo+4
	s_addc_u32 s23, s23, llvm.amdgcn.dynlds.offset.table@rel32@hi+12
	s_add_u32 s12, s12, s22
	s_addc_u32 s13, s13, s23
	s_load_dword s12, s[12:13], 0x0
	v_and_b32_e32 v5, -8, v4
	s_mov_b32 s21, 0
	s_waitcnt vmcnt(0) lgkmcnt(0)
	v_lshl_add_u32 v6, v6, 2, s12
	s_mov_b64 s[12:13], 0
.LBB338_546:                            ; =>This Inner Loop Header: Depth=1
	ds_read2st64_b32 v[8:9], v6 offset1:2
	ds_read2st64_b32 v[10:11], v6 offset0:4 offset1:6
	ds_read2st64_b32 v[12:13], v6 offset0:8 offset1:10
	;; [unrolled: 1-line block ×3, first 2 shown]
	v_add_u32_e32 v5, -8, v5
	s_waitcnt lgkmcnt(3)
	v_pk_mul_f32 v[8:9], v[2:3], v[8:9]
	s_waitcnt lgkmcnt(2)
	v_pk_mul_f32 v[10:11], v[2:3], v[10:11]
	ds_write2st64_b32 v6, v8, v9 offset1:2
	ds_write2st64_b32 v6, v10, v11 offset0:4 offset1:6
	ds_read2st64_b32 v[10:11], v6 offset0:16 offset1:18
	s_waitcnt lgkmcnt(4)
	v_pk_mul_f32 v[8:9], v[2:3], v[12:13]
	ds_write2st64_b32 v6, v8, v9 offset0:8 offset1:10
	s_waitcnt lgkmcnt(4)
	v_pk_mul_f32 v[8:9], v[2:3], v[14:15]
	ds_write2st64_b32 v6, v8, v9 offset0:12 offset1:14
	ds_read2st64_b32 v[8:9], v6 offset0:20 offset1:22
	s_waitcnt lgkmcnt(3)
	v_pk_mul_f32 v[10:11], v[2:3], v[10:11]
	ds_read2st64_b32 v[12:13], v6 offset0:24 offset1:26
	ds_write2st64_b32 v6, v10, v11 offset0:16 offset1:18
	ds_read2st64_b32 v[10:11], v6 offset0:28 offset1:30
	s_waitcnt lgkmcnt(3)
	v_pk_mul_f32 v[8:9], v[2:3], v[8:9]
	ds_write2st64_b32 v6, v8, v9 offset0:20 offset1:22
	s_waitcnt lgkmcnt(3)
	v_pk_mul_f32 v[8:9], v[2:3], v[12:13]
	ds_write2st64_b32 v6, v8, v9 offset0:24 offset1:26
	s_waitcnt lgkmcnt(2)
	v_pk_mul_f32 v[8:9], v[2:3], v[10:11]
	s_add_i32 s21, s21, 16
	v_cmp_eq_u32_e32 vcc, 0, v5
	ds_write2st64_b32 v6, v8, v9 offset0:28 offset1:30
	v_add_u32_e32 v6, 0x2000, v6
	s_or_b64 s[12:13], vcc, s[12:13]
	v_mov_b32_e32 v7, s21
	s_andn2_b64 exec, exec, s[12:13]
	s_cbranch_execnz .LBB338_546
; %bb.547:
	s_or_b64 exec, exec, s[12:13]
.LBB338_548:
	s_or_b64 exec, exec, s[10:11]
	v_and_b32_e32 v4, 7, v4
	v_cmp_ne_u32_e32 vcc, 0, v4
	s_and_saveexec_b64 s[10:11], vcc
	s_cbranch_execz .LBB338_551
; %bb.549:
	scratch_load_dword v6, off, s32 offset:824 ; 4-byte Folded Reload
	s_ashr_i32 s21, s20, 31
	s_lshl_b64 s[12:13], s[20:21], 2
	s_getpc_b64 s[22:23]
	s_add_u32 s22, s22, llvm.amdgcn.dynlds.offset.table@rel32@lo+4
	s_addc_u32 s23, s23, llvm.amdgcn.dynlds.offset.table@rel32@hi+12
	s_add_u32 s12, s12, s22
	s_addc_u32 s13, s13, s23
	s_load_dword s12, s[12:13], 0x0
	v_lshlrev_b32_e32 v5, 9, v7
	s_waitcnt vmcnt(0)
	v_lshlrev_b32_e32 v6, 2, v6
	s_waitcnt lgkmcnt(0)
	v_add3_u32 v5, v5, v6, s12
	s_mov_b64 s[12:13], 0
.LBB338_550:                            ; =>This Inner Loop Header: Depth=1
	ds_read2st64_b32 v[6:7], v5 offset1:2
	v_add_u32_e32 v4, -1, v4
	v_cmp_eq_u32_e32 vcc, 0, v4
	s_or_b64 s[12:13], vcc, s[12:13]
	s_waitcnt lgkmcnt(0)
	v_pk_mul_f32 v[6:7], v[2:3], v[6:7]
	ds_write2st64_b32 v5, v6, v7 offset1:2
	v_add_u32_e32 v5, 0x400, v5
	s_andn2_b64 exec, exec, s[12:13]
	s_cbranch_execnz .LBB338_550
.LBB338_551:
	s_or_b64 exec, exec, s[10:11]
	v_add_u32_e32 v3, 1, v1
	scratch_load_dword v1, off, s32 offset:824 ; 4-byte Folded Reload
	v_and_b32_e32 v4, 0x3fffffe, v3
	v_cmp_ne_u32_e32 vcc, v3, v4
	s_orn2_b64 s[10:11], vcc, exec
	s_waitcnt vmcnt(0)
	v_lshl_add_u32 v1, v4, 7, v1
.LBB338_552:
	s_or_b64 exec, exec, s[8:9]
	s_and_b64 exec, exec, s[10:11]
	s_cbranch_execz .LBB338_555
; %bb.553:
	s_ashr_i32 s21, s20, 31
	s_lshl_b64 s[8:9], s[20:21], 2
	s_getpc_b64 s[10:11]
	s_add_u32 s10, s10, llvm.amdgcn.dynlds.offset.table@rel32@lo+4
	s_addc_u32 s11, s11, llvm.amdgcn.dynlds.offset.table@rel32@hi+12
	s_add_u32 s8, s8, s10
	s_addc_u32 s9, s9, s11
	s_load_dword s8, s[8:9], 0x0
	s_waitcnt lgkmcnt(0)
	v_lshl_add_u32 v3, v1, 2, s8
	s_mov_b64 s[8:9], 0
.LBB338_554:                            ; =>This Inner Loop Header: Depth=1
	ds_read_b32 v4, v3
	v_add_u32_e32 v1, 0x80, v1
	v_cmp_ge_i32_e32 vcc, v1, v0
	s_or_b64 s[8:9], vcc, s[8:9]
	s_waitcnt lgkmcnt(0)
	v_mul_f32_e32 v4, v2, v4
	ds_write_b32 v3, v4
	v_add_u32_e32 v3, 0x200, v3
	s_andn2_b64 exec, exec, s[8:9]
	s_cbranch_execnz .LBB338_554
.LBB338_555:
	s_or_b64 exec, exec, s[6:7]
	s_waitcnt lgkmcnt(0)
	s_barrier
	scratch_load_dword v0, off, s32 offset:824 ; 4-byte Folded Reload
	v_mov_b32_e32 v4, 0
	v_mov_b32_e32 v5, 0
	;; [unrolled: 1-line block ×16, first 2 shown]
	s_waitcnt vmcnt(0)
	v_and_b32_e32 v30, 3, v0
	s_and_saveexec_b64 s[6:7], s[4:5]
	s_cbranch_execz .LBB338_1649
; %bb.556:
	scratch_store_dword off, v27, s32 offset:536 ; 4-byte Folded Spill
	scratch_store_dword off, v25, s32 offset:540 ; 4-byte Folded Spill
	;; [unrolled: 1-line block ×3, first 2 shown]
	scratch_load_dwordx2 v[4:5], off, s32 offset:880 ; 8-byte Folded Reload
	v_mov_b32_e32 v37, 0
	s_ashr_i32 s21, s20, 31
	s_lshl_b64 s[4:5], s[20:21], 2
	s_getpc_b64 s[8:9]
	s_add_u32 s8, s8, llvm.amdgcn.dynlds.offset.table@rel32@lo+4
	s_addc_u32 s9, s9, llvm.amdgcn.dynlds.offset.table@rel32@hi+12
	s_add_u32 s8, s4, s8
	s_addc_u32 s9, s5, s9
	s_mov_b64 s[10:11], 0
	s_mov_b32 s21, 0x7f800000
	s_movk_i32 s24, 0x7fff
	v_mov_b32_e32 v17, v37
	v_mov_b32_e32 v16, v37
	s_waitcnt vmcnt(0)
	v_and_b32_e32 v0, 24, v4
	scratch_store_dword off, v0, s32 offset:456 ; 4-byte Folded Spill
	scratch_load_dwordx2 v[2:3], off, s32 offset:904 ; 8-byte Folded Reload
	s_nop 0
	scratch_load_dwordx2 v[0:1], off, s32 offset:924 ; 8-byte Folded Reload
	v_and_b32_e32 v36, 0x1f8, v4
	s_waitcnt vmcnt(0)
	v_lshl_add_u64 v[0:1], v[0:1], 0, v[2:3]
	scratch_store_dwordx2 off, v[0:1], s32 offset:464 ; 8-byte Folded Spill
	scratch_load_dword v0, off, s32 offset:212 ; 4-byte Folded Reload
	v_mov_b32_e32 v1, v37
	v_or_b32_e32 v2, 0x1800, v36
	v_mov_b32_e32 v3, v37
	s_waitcnt vmcnt(0)
	v_add_u32_e32 v0, -1, v0
	scratch_store_dword off, v0, s32 offset:460 ; 4-byte Folded Spill
	v_or_b32_e32 v0, 0x1000, v36
	scratch_store_dwordx2 off, v[0:1], s32 offset:472 ; 8-byte Folded Spill
	v_or_b32_e32 v0, 0x1200, v36
	scratch_store_dwordx2 off, v[0:1], s32 offset:480 ; 8-byte Folded Spill
	;; [unrolled: 2-line block ×4, first 2 shown]
	scratch_load_dword v0, off, s32 offset:900 ; 4-byte Folded Reload
	s_nop 0
	scratch_load_dword v1, off, s32 offset:876 ; 4-byte Folded Reload
	s_waitcnt vmcnt(0)
	v_max_i32_e32 v1, v1, v0
	v_cvt_f32_u32_e32 v0, v1
	scratch_store_dwordx2 off, v[2:3], s32 offset:504 ; 8-byte Folded Spill
	v_or_b32_e32 v2, 0x1a00, v36
	scratch_store_dwordx2 off, v[2:3], s32 offset:512 ; 8-byte Folded Spill
	v_rcp_iflag_f32_e32 v0, v0
	v_or_b32_e32 v2, 0x1c00, v36
	scratch_store_dwordx2 off, v[2:3], s32 offset:520 ; 8-byte Folded Spill
	v_or_b32_e32 v2, 0x1e00, v4
	v_mul_f32_e32 v0, 0x4f7ffffe, v0
	v_cvt_u32_f32_e32 v0, v0
	scratch_store_dwordx2 off, v[2:3], s32 offset:528 ; 8-byte Folded Spill
	scratch_store_dword off, v1, s32 offset:296 ; 4-byte Folded Spill
	v_sub_u32_e32 v1, 0, v1
	scratch_load_dwordx2 v[2:3], off, s32 offset:888 ; 8-byte Folded Reload
	v_mul_lo_u32 v1, v1, v0
	v_mul_hi_u32 v1, v0, v1
	v_add_u32_e32 v0, v0, v1
	scratch_store_dwordx2 off, v[0:1], s32 offset:312 ; 8-byte Folded Spill
	scratch_load_dword v1, off, s32 offset:192 ; 4-byte Folded Reload
	v_lshlrev_b32_e32 v0, 5, v30
	scratch_store_dword off, v30, s32 offset:548 ; 4-byte Folded Spill
	s_waitcnt vmcnt(1)
	v_lshl_or_b32 v47, v1, 7, v0
	scratch_load_dword v0, off, s32 offset:896 ; 4-byte Folded Reload
	v_mov_b32_e32 v1, v37
	s_waitcnt vmcnt(0)
	v_and_b32_e32 v0, 60, v0
	v_lshl_add_u64 v[0:1], v[2:3], 2, v[0:1]
	scratch_load_dwordx2 v[2:3], off, s32 offset:912 ; 8-byte Folded Reload
	s_waitcnt vmcnt(0)
	v_lshl_add_u64 v[10:11], v[2:3], 0, v[0:1]
	v_mov_b32_e32 v1, v37
	v_mov_b32_e32 v0, v37
	scratch_store_dwordx2 off, v[0:1], s32 offset:280 ; 8-byte Folded Spill
	scratch_store_dwordx2 off, v[0:1], s32 offset:196 ; 8-byte Folded Spill
	;; [unrolled: 1-line block ×7, first 2 shown]
	scratch_load_dword v2, off, s32 offset:920 ; 4-byte Folded Reload
	s_branch .LBB338_559
.LBB338_557:                            ;   in Loop: Header=BB338_559 Depth=1
	s_or_b64 exec, exec, s[4:5]
	v_and_b32_e32 v0, 0xffff0000, v5
	v_and_b32_e32 v4, 0xffff0000, v4
	v_add_f32_e32 v0, v4, v0
	v_and_b32_e32 v4, 0xffff0000, v54
	v_and_b32_e32 v5, 0xffff0000, v19
	v_add_f32_e32 v4, v5, v4
	v_add_f32_e32 v0, v0, v4
	v_and_b32_e32 v4, 0xffff0000, v46
	v_and_b32_e32 v5, 0xffff0000, v55
	v_add_f32_e32 v4, v5, v4
	v_add_f32_e32 v0, v0, v4
	v_and_b32_e32 v4, 0xffff0000, v23
	scratch_load_dwordx2 v[22:23], off, s32 offset:280 ; 8-byte Folded Reload
	scratch_load_dwordx2 v[6:7], off, s32 offset:196 ; 8-byte Folded Reload
	v_and_b32_e32 v5, 0xffff0000, v16
	v_add_f32_e32 v4, v4, v5
	v_add_f32_e32 v0, v0, v4
	v_and_b32_e32 v4, 0xffff0000, v49
	v_and_b32_e32 v5, 0xffff0000, v39
	;; [unrolled: 1-line block ×3, first 2 shown]
	s_waitcnt vmcnt(1)
	v_add_f32_e32 v22, v22, v0
	v_and_b32_e32 v0, 0xffff0000, v56
	v_add_f32_e32 v0, v4, v0
	v_and_b32_e32 v4, 0xffff0000, v50
	v_add_f32_e32 v4, v5, v4
	v_add_f32_e32 v0, v0, v4
	v_and_b32_e32 v4, 0xffff0000, v52
	v_and_b32_e32 v5, 0xffff0000, v51
	v_add_f32_e32 v4, v5, v4
	v_add_f32_e32 v0, v0, v4
	v_and_b32_e32 v4, 0xffff0000, v53
	v_and_b32_e32 v5, 0xffff0000, v62
	v_add_f32_e32 v4, v4, v5
	v_add_f32_e32 v0, v0, v4
	s_waitcnt vmcnt(0)
	v_add_f32_e32 v7, v7, v0
	v_and_b32_e32 v0, 0xffff0000, v28
	v_and_b32_e32 v4, 0xffff0000, v25
	v_add_f32_e32 v0, v4, v0
	v_and_b32_e32 v4, 0xffff0000, v30
	v_and_b32_e32 v5, 0xffff0000, v29
	v_add_f32_e32 v4, v5, v4
	v_add_f32_e32 v0, v0, v4
	v_and_b32_e32 v4, 0xffff0000, v32
	v_and_b32_e32 v5, 0xffff0000, v31
	v_add_f32_e32 v4, v5, v4
	v_add_f32_e32 v0, v0, v4
	v_and_b32_e32 v4, 0xffff0000, v33
	v_and_b32_e32 v5, 0xffff0000, v48
	v_add_f32_e32 v4, v4, v5
	v_add_f32_e32 v0, v0, v4
	v_add_f32_e32 v6, v6, v0
	scratch_store_dwordx2 off, v[6:7], s32 offset:196 ; 8-byte Folded Spill
	scratch_load_dwordx2 v[6:7], off, s32 offset:204 ; 8-byte Folded Reload
	v_and_b32_e32 v0, 0xffff0000, v12
	v_and_b32_e32 v4, 0xffff0000, v9
	v_add_f32_e32 v0, v4, v0
	v_and_b32_e32 v4, 0xffff0000, v14
	v_and_b32_e32 v5, 0xffff0000, v13
	v_add_f32_e32 v4, v5, v4
	v_add_f32_e32 v0, v0, v4
	v_and_b32_e32 v4, 0xffff0000, v20
	v_and_b32_e32 v5, 0xffff0000, v15
	scratch_load_dwordx2 v[14:15], off, s32 offset:240 ; 8-byte Folded Reload
	v_add_f32_e32 v4, v5, v4
	v_add_f32_e32 v0, v0, v4
	v_and_b32_e32 v4, 0xffff0000, v21
	v_and_b32_e32 v5, 0xffff0000, v24
	v_add_f32_e32 v4, v4, v5
	v_add_f32_e32 v0, v0, v4
	v_accvgpr_read_b32 v4, a50
	v_and_b32_e32 v4, 0xffff0000, v4
	v_accvgpr_read_b32 v5, a52
	v_and_b32_e32 v5, 0xffff0000, v5
	v_accvgpr_read_b32 v9, a55
	v_accvgpr_read_b32 v12, a8
	v_and_b32_e32 v9, 0xffff0000, v9
	v_and_b32_e32 v12, 0xffff0000, v12
	s_waitcnt vmcnt(1)
	v_add_f32_e32 v7, v7, v0
	v_accvgpr_read_b32 v0, a51
	v_and_b32_e32 v0, 0xffff0000, v0
	v_add_f32_e32 v0, v4, v0
	v_and_b32_e32 v4, 0xffff0000, v58
	v_add_f32_e32 v4, v5, v4
	v_add_f32_e32 v0, v0, v4
	v_and_b32_e32 v4, 0xffff0000, v18
	v_and_b32_e32 v5, 0xffff0000, v60
	v_add_f32_e32 v4, v5, v4
	v_add_f32_e32 v0, v0, v4
	v_and_b32_e32 v4, 0xffff0000, v17
	v_and_b32_e32 v5, 0xffff0000, v8
	v_add_f32_e32 v4, v4, v5
	v_add_f32_e32 v0, v0, v4
	;; [unrolled: 1-line block ×3, first 2 shown]
	scratch_store_dwordx2 off, v[6:7], s32 offset:204 ; 8-byte Folded Spill
	scratch_load_dwordx2 v[6:7], off, s32 offset:256 ; 8-byte Folded Reload
	v_accvgpr_read_b32 v0, a41
	scratch_load_dwordx2 v[16:17], off, s32 offset:328 ; 8-byte Folded Reload
	v_accvgpr_read_b32 v4, a40
	v_and_b32_e32 v0, 0xffff0000, v0
	v_and_b32_e32 v4, 0xffff0000, v4
	v_add_f32_e32 v0, v4, v0
	v_accvgpr_read_b32 v4, a43
	v_accvgpr_read_b32 v5, a42
	v_and_b32_e32 v4, 0xffff0000, v4
	v_and_b32_e32 v5, 0xffff0000, v5
	v_add_f32_e32 v4, v5, v4
	v_add_f32_e32 v0, v0, v4
	v_accvgpr_read_b32 v4, a45
	v_accvgpr_read_b32 v5, a44
	v_and_b32_e32 v4, 0xffff0000, v4
	v_and_b32_e32 v5, 0xffff0000, v5
	v_add_f32_e32 v4, v5, v4
	v_add_f32_e32 v0, v0, v4
	v_accvgpr_read_b32 v4, a48
	v_accvgpr_read_b32 v5, a49
	v_and_b32_e32 v4, 0xffff0000, v4
	v_and_b32_e32 v5, 0xffff0000, v5
	v_add_f32_e32 v4, v4, v5
	v_add_f32_e32 v0, v0, v4
	v_accvgpr_read_b32 v4, a4
	v_and_b32_e32 v4, 0xffff0000, v4
	v_accvgpr_read_b32 v5, a46
	v_and_b32_e32 v5, 0xffff0000, v5
	scratch_load_dword v8, off, s32 offset:440 ; 4-byte Folded Reload
	s_waitcnt vmcnt(2)
	v_add_f32_e32 v7, v7, v0
	v_accvgpr_read_b32 v0, a5
	v_and_b32_e32 v0, 0xffff0000, v0
	v_add_f32_e32 v0, v4, v0
	v_accvgpr_read_b32 v4, a34
	v_and_b32_e32 v4, 0xffff0000, v4
	v_add_f32_e32 v4, v5, v4
	v_add_f32_e32 v0, v0, v4
	v_accvgpr_read_b32 v4, a36
	v_accvgpr_read_b32 v5, a35
	v_and_b32_e32 v4, 0xffff0000, v4
	v_and_b32_e32 v5, 0xffff0000, v5
	v_add_f32_e32 v4, v5, v4
	v_add_f32_e32 v0, v0, v4
	v_accvgpr_read_b32 v4, a10
	v_accvgpr_read_b32 v5, a37
	v_and_b32_e32 v4, 0xffff0000, v4
	v_and_b32_e32 v5, 0xffff0000, v5
	v_add_f32_e32 v4, v4, v5
	v_add_f32_e32 v0, v0, v4
	;; [unrolled: 1-line block ×3, first 2 shown]
	scratch_store_dwordx2 off, v[6:7], s32 offset:256 ; 8-byte Folded Spill
	scratch_load_dwordx2 v[6:7], off, s32 offset:272 ; 8-byte Folded Reload
	v_accvgpr_read_b32 v0, a59
	v_accvgpr_read_b32 v4, a19
	v_and_b32_e32 v0, 0xffff0000, v0
	v_and_b32_e32 v4, 0xffff0000, v4
	v_add_f32_e32 v0, v4, v0
	v_accvgpr_read_b32 v4, a61
	v_accvgpr_read_b32 v5, a60
	v_and_b32_e32 v4, 0xffff0000, v4
	v_and_b32_e32 v5, 0xffff0000, v5
	v_add_f32_e32 v4, v5, v4
	v_add_f32_e32 v0, v0, v4
	v_accvgpr_read_b32 v4, a63
	v_accvgpr_read_b32 v5, a62
	v_and_b32_e32 v4, 0xffff0000, v4
	v_and_b32_e32 v5, 0xffff0000, v5
	v_add_f32_e32 v4, v5, v4
	v_add_f32_e32 v0, v0, v4
	v_accvgpr_read_b32 v4, a30
	v_accvgpr_read_b32 v5, a31
	v_and_b32_e32 v4, 0xffff0000, v4
	v_and_b32_e32 v5, 0xffff0000, v5
	v_add_f32_e32 v4, v4, v5
	v_add_f32_e32 v0, v0, v4
	v_accvgpr_read_b32 v4, a38
	v_and_b32_e32 v4, 0xffff0000, v4
	v_accvgpr_read_b32 v5, a26
	v_and_b32_e32 v5, 0xffff0000, v5
	s_waitcnt vmcnt(2)
	v_and_b32_e32 v8, 0xffff0000, v8
	s_waitcnt vmcnt(0)
	v_add_f32_e32 v7, v7, v0
	v_accvgpr_read_b32 v0, a39
	v_and_b32_e32 v0, 0xffff0000, v0
	v_add_f32_e32 v0, v4, v0
	v_accvgpr_read_b32 v4, a27
	v_and_b32_e32 v4, 0xffff0000, v4
	v_add_f32_e32 v4, v5, v4
	v_add_f32_e32 v0, v0, v4
	v_accvgpr_read_b32 v4, a57
	v_accvgpr_read_b32 v5, a47
	v_and_b32_e32 v4, 0xffff0000, v4
	v_and_b32_e32 v5, 0xffff0000, v5
	v_add_f32_e32 v4, v5, v4
	v_add_f32_e32 v0, v0, v4
	v_accvgpr_read_b32 v4, a58
	v_accvgpr_read_b32 v5, a18
	v_and_b32_e32 v4, 0xffff0000, v4
	v_and_b32_e32 v5, 0xffff0000, v5
	v_add_f32_e32 v4, v4, v5
	v_add_f32_e32 v0, v0, v4
	;; [unrolled: 1-line block ×3, first 2 shown]
	v_accvgpr_read_b32 v0, a21
	v_accvgpr_read_b32 v4, a20
	v_and_b32_e32 v0, 0xffff0000, v0
	v_and_b32_e32 v4, 0xffff0000, v4
	v_add_f32_e32 v0, v4, v0
	v_accvgpr_read_b32 v4, a23
	v_accvgpr_read_b32 v5, a22
	v_and_b32_e32 v4, 0xffff0000, v4
	v_and_b32_e32 v5, 0xffff0000, v5
	v_add_f32_e32 v4, v5, v4
	v_add_f32_e32 v0, v0, v4
	v_accvgpr_read_b32 v4, a33
	v_accvgpr_read_b32 v5, a32
	v_and_b32_e32 v4, 0xffff0000, v4
	v_and_b32_e32 v5, 0xffff0000, v5
	v_add_f32_e32 v4, v5, v4
	;; [unrolled: 6-line block ×3, first 2 shown]
	v_add_f32_e32 v0, v0, v4
	v_add_f32_e32 v17, v17, v0
	v_accvgpr_read_b32 v0, a6
	v_accvgpr_read_b32 v4, a13
	v_and_b32_e32 v0, 0xffff0000, v0
	v_and_b32_e32 v4, 0xffff0000, v4
	v_add_f32_e32 v0, v4, v0
	v_accvgpr_read_b32 v4, a9
	v_accvgpr_read_b32 v5, a7
	v_and_b32_e32 v4, 0xffff0000, v4
	v_and_b32_e32 v5, 0xffff0000, v5
	v_add_f32_e32 v4, v5, v4
	v_add_f32_e32 v0, v0, v4
	v_accvgpr_read_b32 v4, a28
	v_accvgpr_read_b32 v5, a11
	v_and_b32_e32 v4, 0xffff0000, v4
	v_and_b32_e32 v5, 0xffff0000, v5
	scratch_store_dwordx2 off, v[6:7], s32 offset:272 ; 8-byte Folded Spill
	v_add_f32_e32 v4, v5, v4
	v_accvgpr_read_b32 v5, a29
	v_accvgpr_read_b32 v6, a56
	v_and_b32_e32 v5, 0xffff0000, v5
	v_and_b32_e32 v6, 0xffff0000, v6
	v_add_f32_e32 v0, v0, v4
	v_add_f32_e32 v4, v5, v6
	scratch_load_dword v5, off, s32 offset:452 ; 4-byte Folded Reload
	scratch_load_dword v6, off, s32 offset:448 ; 4-byte Folded Reload
	;; [unrolled: 1-line block ×3, first 2 shown]
	v_add_f32_e32 v0, v0, v4
	v_add_f32_e32 v16, v16, v0
	v_accvgpr_read_b32 v0, a54
	v_accvgpr_read_b32 v4, a53
	v_and_b32_e32 v0, 0xffff0000, v0
	v_and_b32_e32 v4, 0xffff0000, v4
	v_add_f32_e32 v0, v4, v0
	v_add_f32_e32 v4, v9, v12
	scratch_load_dword v9, off, s32 offset:432 ; 4-byte Folded Reload
	scratch_load_dword v12, off, s32 offset:436 ; 4-byte Folded Reload
	s_waitcnt vmcnt(4)
	v_and_b32_e32 v5, 0xffff0000, v5
	s_waitcnt vmcnt(3)
	v_and_b32_e32 v6, 0xffff0000, v6
	;; [unrolled: 2-line block ×3, first 2 shown]
	v_add_f32_e32 v7, v8, v7
	v_add_f32_e32 v5, v6, v5
	;; [unrolled: 1-line block ×6, first 2 shown]
	scratch_load_dword v0, off, s32 offset:428 ; 4-byte Folded Reload
	scratch_load_dword v4, off, s32 offset:424 ; 4-byte Folded Reload
	;; [unrolled: 1-line block ×6, first 2 shown]
	s_waitcnt vmcnt(7)
	v_and_b32_e32 v9, 0xffff0000, v9
	s_waitcnt vmcnt(6)
	v_and_b32_e32 v12, 0xffff0000, v12
	;; [unrolled: 2-line block ×8, first 2 shown]
	v_add_f32_e32 v7, v8, v7
	v_add_f32_e32 v5, v6, v5
	;; [unrolled: 1-line block ×8, first 2 shown]
	scratch_load_dword v0, off, s32 offset:396 ; 4-byte Folded Reload
	scratch_load_dword v9, off, s32 offset:400 ; 4-byte Folded Reload
	scratch_load_dword v12, off, s32 offset:404 ; 4-byte Folded Reload
	scratch_load_dword v4, off, s32 offset:392 ; 4-byte Folded Reload
	scratch_load_dword v5, off, s32 offset:388 ; 4-byte Folded Reload
	scratch_load_dword v6, off, s32 offset:384 ; 4-byte Folded Reload
	scratch_load_dword v7, off, s32 offset:380 ; 4-byte Folded Reload
	scratch_load_dword v8, off, s32 offset:376 ; 4-byte Folded Reload
	s_waitcnt vmcnt(7)
	v_and_b32_e32 v0, 0xffff0000, v0
	scratch_store_dwordx2 off, v[14:15], s32 offset:240 ; 8-byte Folded Spill
	scratch_load_dwordx2 v[14:15], off, s32 offset:264 ; 8-byte Folded Reload
	s_waitcnt vmcnt(6)
	v_and_b32_e32 v4, 0xffff0000, v4
	s_waitcnt vmcnt(5)
	v_and_b32_e32 v5, 0xffff0000, v5
	s_waitcnt vmcnt(4)
	v_and_b32_e32 v6, 0xffff0000, v6
	s_waitcnt vmcnt(3)
	v_and_b32_e32 v7, 0xffff0000, v7
	s_waitcnt vmcnt(2)
	v_and_b32_e32 v8, 0xffff0000, v8
	v_add_f32_e32 v7, v8, v7
	scratch_load_dword v8, off, s32 offset:344 ; 4-byte Folded Reload
	v_add_f32_e32 v5, v6, v5
	v_and_b32_e32 v9, 0xffff0000, v9
	v_and_b32_e32 v12, 0xffff0000, v12
	v_add_f32_e32 v5, v7, v5
	v_add_f32_e32 v0, v4, v0
	v_add_f32_e32 v0, v5, v0
	v_add_f32_e32 v4, v9, v12
	v_add_f32_e32 v0, v0, v4
	scratch_load_dword v4, off, s32 offset:360 ; 4-byte Folded Reload
	scratch_load_dword v9, off, s32 offset:368 ; 4-byte Folded Reload
	;; [unrolled: 1-line block ×6, first 2 shown]
	s_waitcnt vmcnt(7)
	v_add_f32_e32 v15, v15, v0
	scratch_load_dword v0, off, s32 offset:364 ; 4-byte Folded Reload
	s_waitcnt vmcnt(7)
	v_and_b32_e32 v8, 0xffff0000, v8
	s_waitcnt vmcnt(6)
	v_and_b32_e32 v4, 0xffff0000, v4
	s_waitcnt vmcnt(5)
	v_and_b32_e32 v9, 0xffff0000, v9
	s_waitcnt vmcnt(4)
	v_and_b32_e32 v5, 0xffff0000, v5
	s_waitcnt vmcnt(3)
	v_and_b32_e32 v6, 0xffff0000, v6
	s_waitcnt vmcnt(2)
	v_and_b32_e32 v7, 0xffff0000, v7
	v_add_f32_e32 v7, v8, v7
	v_add_f32_e32 v5, v6, v5
	s_waitcnt vmcnt(1)
	v_and_b32_e32 v12, 0xffff0000, v12
	v_add_f32_e32 v5, v7, v5
	v_and_b32_e32 v8, 0xffff0000, v2
	v_and_b32_e32 v2, 0xffff0000, v1
	;; [unrolled: 1-line block ×4, first 2 shown]
	s_waitcnt vmcnt(0)
	v_and_b32_e32 v0, 0xffff0000, v0
	v_add_f32_e32 v0, v4, v0
	v_add_f32_e32 v0, v5, v0
	;; [unrolled: 1-line block ×4, first 2 shown]
	v_and_b32_e32 v9, 0xffff0000, v26
	v_add_f32_e32 v14, v14, v0
	v_and_b32_e32 v5, 0xffff0000, v41
	v_and_b32_e32 v4, 0xffff0000, v38
	v_pk_add_f32 v[0:1], v[2:3], v[8:9]
	v_pk_add_f32 v[2:3], v[6:7], v[4:5]
	v_add_f32_e32 v0, v0, v1
	v_add_f32_e32 v0, v0, v2
	;; [unrolled: 1-line block ×4, first 2 shown]
	scratch_store_dwordx2 off, v[14:15], s32 offset:264 ; 8-byte Folded Spill
	scratch_store_dwordx2 off, v[22:23], s32 offset:280 ; 8-byte Folded Spill
.LBB338_558:                            ;   in Loop: Header=BB338_559 Depth=1
	s_or_b64 exec, exec, s[12:13]
	scratch_load_dword v1, off, s32 offset:192 ; 4-byte Folded Reload
	scratch_load_dword v0, off, s32 offset:212 ; 4-byte Folded Reload
	v_accvgpr_read_b32 v2, a14
	v_add_u32_e32 v2, 64, v2
	v_add_u32_e32 v47, 0x100, v47
	v_lshl_add_u64 v[10:11], v[10:11], 0, 8
	s_waitcnt vmcnt(1)
	v_add_u32_e32 v1, 2, v1
	s_waitcnt vmcnt(0)
	v_cmp_ge_i32_e32 vcc, v1, v0
	s_or_b64 s[10:11], vcc, s[10:11]
	scratch_store_dword off, v1, s32 offset:192 ; 4-byte Folded Spill
	s_andn2_b64 exec, exec, s[10:11]
	s_cbranch_execz .LBB338_1648
.LBB338_559:                            ; =>This Inner Loop Header: Depth=1
	scratch_load_dword v0, off, s32 offset:232 ; 4-byte Folded Reload
	scratch_load_dword v3, off, s32 offset:216 ; 4-byte Folded Reload
	s_waitcnt vmcnt(2)
	v_accvgpr_write_b32 a14, v2
	scratch_load_dwordx2 v[4:5], off, s32 offset:312 ; 8-byte Folded Reload
	s_waitcnt vmcnt(2)
	v_mul_hi_u32 v0, v2, v0
	s_waitcnt vmcnt(1)
	v_mul_lo_u32 v1, v0, v3
	v_sub_u32_e32 v1, v2, v1
	v_add_u32_e32 v2, 1, v0
	v_cmp_ge_u32_e32 vcc, v1, v3
	s_nop 1
	v_cndmask_b32_e32 v0, v0, v2, vcc
	v_sub_u32_e32 v2, v1, v3
	v_cndmask_b32_e32 v1, v1, v2, vcc
	v_cmp_ge_u32_e32 vcc, v1, v3
	scratch_load_dword v1, off, s32 offset:220 ; 4-byte Folded Reload
	v_add_u32_e32 v2, 1, v0
	v_cndmask_b32_e32 v0, v0, v2, vcc
	scratch_load_dwordx2 v[2:3], off, s32 offset:224 ; 8-byte Folded Reload
	s_waitcnt vmcnt(1)
	v_xor_b32_e32 v0, v0, v1
	v_sub_u32_e32 v0, v0, v1
	s_waitcnt vmcnt(0)
	v_add_u32_e32 v1, v0, v2
	v_sub_u32_e32 v3, 0, v1
	v_ashrrev_i32_e32 v2, 31, v1
	v_max_i32_e32 v1, v1, v3
	v_mul_hi_u32 v3, v1, v4
	scratch_load_dword v4, off, s32 offset:296 ; 4-byte Folded Reload
	s_waitcnt vmcnt(0)
	v_mul_lo_u32 v3, v3, v4
	v_sub_u32_e32 v1, v1, v3
	v_sub_u32_e32 v3, v1, v4
	v_cmp_ge_u32_e32 vcc, v1, v4
	s_nop 1
	v_cndmask_b32_e32 v1, v1, v3, vcc
	v_sub_u32_e32 v3, v1, v4
	v_cmp_ge_u32_e32 vcc, v1, v4
	s_nop 1
	v_cndmask_b32_e32 v1, v1, v3, vcc
	v_xor_b32_e32 v1, v1, v2
	v_sub_u32_e32 v1, v1, v2
	v_cmp_eq_u32_e32 vcc, 0, v1
	scratch_load_dword v1, off, s32 offset:236 ; 4-byte Folded Reload
	s_waitcnt vmcnt(0)
	v_cmp_gt_i32_e64 s[4:5], v0, v1
	s_or_b64 s[4:5], vcc, s[4:5]
	s_and_saveexec_b64 s[12:13], s[4:5]
	s_cbranch_execz .LBB338_558
; %bb.560:                              ;   in Loop: Header=BB338_559 Depth=1
	flat_load_dword v1, v[10:11]
	s_load_dword s4, s[8:9], 0x0
	scratch_store_dwordx2 off, v[16:17], s32 offset:328 ; 8-byte Folded Spill
                                        ; implicit-def: $vgpr16
	s_waitcnt lgkmcnt(0)
	v_add_u32_e32 v0, s4, v47
	ds_read2_b64 v[6:9], v0 offset1:1
	ds_read2_b64 v[2:5], v0 offset0:2 offset1:3
	s_waitcnt lgkmcnt(0)
	v_and_b32_e32 v0, 0x7f800000, v6
	v_cmp_ne_u32_e32 vcc, s21, v0
	s_and_saveexec_b64 s[4:5], vcc
	s_xor_b64 s[4:5], exec, s[4:5]
; %bb.561:                              ;   in Loop: Header=BB338_559 Depth=1
	v_bfe_u32 v0, v6, 16, 1
	v_add3_u32 v16, v6, v0, s24
; %bb.562:                              ;   in Loop: Header=BB338_559 Depth=1
	s_andn2_saveexec_b64 s[4:5], s[4:5]
; %bb.563:                              ;   in Loop: Header=BB338_559 Depth=1
	v_or_b32_e32 v0, 0x10000, v6
	v_cmp_eq_u32_sdwa vcc, v6, v37 src0_sel:WORD_0 src1_sel:DWORD
	s_nop 1
	v_cndmask_b32_e32 v16, v0, v6, vcc
; %bb.564:                              ;   in Loop: Header=BB338_559 Depth=1
	s_or_b64 exec, exec, s[4:5]
	v_and_b32_e32 v0, 0x7f800000, v7
	v_cmp_ne_u32_e32 vcc, s21, v0
                                        ; implicit-def: $vgpr15
	s_and_saveexec_b64 s[4:5], vcc
	s_xor_b64 s[4:5], exec, s[4:5]
; %bb.565:                              ;   in Loop: Header=BB338_559 Depth=1
	v_bfe_u32 v0, v7, 16, 1
	v_add3_u32 v15, v7, v0, s24
; %bb.566:                              ;   in Loop: Header=BB338_559 Depth=1
	s_andn2_saveexec_b64 s[4:5], s[4:5]
; %bb.567:                              ;   in Loop: Header=BB338_559 Depth=1
	v_or_b32_e32 v0, 0x10000, v7
	v_cmp_eq_u32_sdwa vcc, v7, v37 src0_sel:WORD_0 src1_sel:DWORD
	s_nop 1
	v_cndmask_b32_e32 v15, v0, v7, vcc
; %bb.568:                              ;   in Loop: Header=BB338_559 Depth=1
	s_or_b64 exec, exec, s[4:5]
	v_and_b32_e32 v0, 0x7f800000, v8
	v_cmp_ne_u32_e32 vcc, s21, v0
                                        ; implicit-def: $vgpr14
	s_and_saveexec_b64 s[4:5], vcc
	s_xor_b64 s[4:5], exec, s[4:5]
; %bb.569:                              ;   in Loop: Header=BB338_559 Depth=1
	v_bfe_u32 v0, v8, 16, 1
	v_add3_u32 v14, v8, v0, s24
; %bb.570:                              ;   in Loop: Header=BB338_559 Depth=1
	s_andn2_saveexec_b64 s[4:5], s[4:5]
; %bb.571:                              ;   in Loop: Header=BB338_559 Depth=1
	v_or_b32_e32 v0, 0x10000, v8
	v_cmp_eq_u32_sdwa vcc, v8, v37 src0_sel:WORD_0 src1_sel:DWORD
	s_nop 1
	v_cndmask_b32_e32 v14, v0, v8, vcc
; %bb.572:                              ;   in Loop: Header=BB338_559 Depth=1
	s_or_b64 exec, exec, s[4:5]
	v_and_b32_e32 v0, 0x7f800000, v9
	v_cmp_ne_u32_e32 vcc, s21, v0
                                        ; implicit-def: $vgpr13
	s_and_saveexec_b64 s[4:5], vcc
	s_xor_b64 s[4:5], exec, s[4:5]
; %bb.573:                              ;   in Loop: Header=BB338_559 Depth=1
	v_bfe_u32 v0, v9, 16, 1
	v_add3_u32 v13, v9, v0, s24
                                        ; implicit-def: $vgpr6_vgpr7_vgpr8_vgpr9
; %bb.574:                              ;   in Loop: Header=BB338_559 Depth=1
	s_andn2_saveexec_b64 s[4:5], s[4:5]
; %bb.575:                              ;   in Loop: Header=BB338_559 Depth=1
	v_or_b32_e32 v0, 0x10000, v9
	v_cmp_eq_u32_sdwa vcc, v9, v37 src0_sel:WORD_0 src1_sel:DWORD
	s_nop 1
	v_cndmask_b32_e32 v13, v0, v9, vcc
; %bb.576:                              ;   in Loop: Header=BB338_559 Depth=1
	s_or_b64 exec, exec, s[4:5]
	v_and_b32_e32 v0, 0x7f800000, v2
	v_cmp_ne_u32_e32 vcc, s21, v0
                                        ; implicit-def: $vgpr12
	s_and_saveexec_b64 s[4:5], vcc
	s_xor_b64 s[4:5], exec, s[4:5]
; %bb.577:                              ;   in Loop: Header=BB338_559 Depth=1
	v_bfe_u32 v0, v2, 16, 1
	v_add3_u32 v12, v2, v0, s24
; %bb.578:                              ;   in Loop: Header=BB338_559 Depth=1
	s_andn2_saveexec_b64 s[4:5], s[4:5]
; %bb.579:                              ;   in Loop: Header=BB338_559 Depth=1
	v_or_b32_e32 v0, 0x10000, v2
	v_cmp_eq_u32_sdwa vcc, v2, v37 src0_sel:WORD_0 src1_sel:DWORD
	s_nop 1
	v_cndmask_b32_e32 v12, v0, v2, vcc
; %bb.580:                              ;   in Loop: Header=BB338_559 Depth=1
	s_or_b64 exec, exec, s[4:5]
	v_and_b32_e32 v0, 0x7f800000, v3
	v_cmp_ne_u32_e32 vcc, s21, v0
                                        ; implicit-def: $vgpr9
	s_and_saveexec_b64 s[4:5], vcc
	s_xor_b64 s[4:5], exec, s[4:5]
; %bb.581:                              ;   in Loop: Header=BB338_559 Depth=1
	v_bfe_u32 v0, v3, 16, 1
	v_add3_u32 v9, v3, v0, s24
; %bb.582:                              ;   in Loop: Header=BB338_559 Depth=1
	s_andn2_saveexec_b64 s[4:5], s[4:5]
; %bb.583:                              ;   in Loop: Header=BB338_559 Depth=1
	v_or_b32_e32 v0, 0x10000, v3
	v_cmp_eq_u32_sdwa vcc, v3, v37 src0_sel:WORD_0 src1_sel:DWORD
	s_nop 1
	v_cndmask_b32_e32 v9, v0, v3, vcc
; %bb.584:                              ;   in Loop: Header=BB338_559 Depth=1
	s_or_b64 exec, exec, s[4:5]
	v_and_b32_e32 v0, 0x7f800000, v4
	v_cmp_ne_u32_e32 vcc, s21, v0
                                        ; implicit-def: $vgpr8
	s_and_saveexec_b64 s[4:5], vcc
	s_xor_b64 s[4:5], exec, s[4:5]
; %bb.585:                              ;   in Loop: Header=BB338_559 Depth=1
	v_bfe_u32 v0, v4, 16, 1
	v_add3_u32 v8, v4, v0, s24
; %bb.586:                              ;   in Loop: Header=BB338_559 Depth=1
	s_andn2_saveexec_b64 s[4:5], s[4:5]
; %bb.587:                              ;   in Loop: Header=BB338_559 Depth=1
	v_or_b32_e32 v0, 0x10000, v4
	v_cmp_eq_u32_sdwa vcc, v4, v37 src0_sel:WORD_0 src1_sel:DWORD
	s_nop 1
	v_cndmask_b32_e32 v8, v0, v4, vcc
; %bb.588:                              ;   in Loop: Header=BB338_559 Depth=1
	s_or_b64 exec, exec, s[4:5]
	v_and_b32_e32 v0, 0x7f800000, v5
	v_cmp_ne_u32_e32 vcc, s21, v0
                                        ; implicit-def: $vgpr0
	s_and_saveexec_b64 s[4:5], vcc
	s_xor_b64 s[4:5], exec, s[4:5]
; %bb.589:                              ;   in Loop: Header=BB338_559 Depth=1
	v_bfe_u32 v0, v5, 16, 1
	v_add3_u32 v0, v5, v0, s24
                                        ; implicit-def: $vgpr2_vgpr3_vgpr4_vgpr5
; %bb.590:                              ;   in Loop: Header=BB338_559 Depth=1
	s_andn2_saveexec_b64 s[4:5], s[4:5]
; %bb.591:                              ;   in Loop: Header=BB338_559 Depth=1
	v_or_b32_e32 v0, 0x10000, v5
	v_cmp_eq_u32_sdwa vcc, v5, v37 src0_sel:WORD_0 src1_sel:DWORD
	s_nop 1
	v_cndmask_b32_e32 v0, v0, v5, vcc
; %bb.592:                              ;   in Loop: Header=BB338_559 Depth=1
	s_or_b64 exec, exec, s[4:5]
	scratch_load_dwordx2 v[4:5], off, s32 offset:464 ; 8-byte Folded Reload
	scratch_load_dwordx2 v[2:3], off, s32 offset:248 ; 8-byte Folded Reload
	s_waitcnt vmcnt(0)
	v_mad_i64_i32 v[2:3], s[4:5], v1, v2, v[4:5]
	v_lshl_add_u64 v[4:5], v[2:3], 0, v[36:37]
	flat_load_dwordx2 v[6:7], v[4:5]
	scratch_load_dwordx2 v[18:19], off, s32 offset:828 ; 8-byte Folded Reload
	s_waitcnt vmcnt(0) lgkmcnt(0)
	v_and_b32_e32 v17, 0xff, v6
	flat_load_dword v1, v[18:19]
	v_cvt_f32_fp8_sdwa v17, v17 src0_sel:BYTE_0
	s_waitcnt vmcnt(0) lgkmcnt(0)
	v_mul_f32_e32 v18, v1, v17
	v_and_b32_e32 v17, 0x7f800000, v18
	v_cmp_ne_u32_e32 vcc, s21, v17
                                        ; implicit-def: $vgpr17
	s_and_saveexec_b64 s[4:5], vcc
	s_xor_b64 s[4:5], exec, s[4:5]
; %bb.593:                              ;   in Loop: Header=BB338_559 Depth=1
	v_bfe_u32 v17, v18, 16, 1
	v_add3_u32 v17, v18, v17, s24
                                        ; implicit-def: $vgpr18
; %bb.594:                              ;   in Loop: Header=BB338_559 Depth=1
	s_andn2_saveexec_b64 s[4:5], s[4:5]
; %bb.595:                              ;   in Loop: Header=BB338_559 Depth=1
	v_or_b32_e32 v17, 0x10000, v18
	v_cmp_eq_u32_sdwa vcc, v18, v37 src0_sel:WORD_0 src1_sel:DWORD
	s_nop 1
	v_cndmask_b32_e32 v17, v17, v18, vcc
; %bb.596:                              ;   in Loop: Header=BB338_559 Depth=1
	s_or_b64 exec, exec, s[4:5]
	v_bfe_u32 v18, v6, 8, 8
	v_cvt_f32_fp8_sdwa v18, v18 src0_sel:BYTE_0
	s_nop 0
	v_mul_f32_e32 v19, v1, v18
	v_and_b32_e32 v18, 0x7f800000, v19
	v_cmp_ne_u32_e32 vcc, s21, v18
                                        ; implicit-def: $vgpr18
	s_and_saveexec_b64 s[4:5], vcc
	s_xor_b64 s[4:5], exec, s[4:5]
; %bb.597:                              ;   in Loop: Header=BB338_559 Depth=1
	v_bfe_u32 v18, v19, 16, 1
	v_add3_u32 v18, v19, v18, s24
                                        ; implicit-def: $vgpr19
; %bb.598:                              ;   in Loop: Header=BB338_559 Depth=1
	s_andn2_saveexec_b64 s[4:5], s[4:5]
; %bb.599:                              ;   in Loop: Header=BB338_559 Depth=1
	v_or_b32_e32 v18, 0x10000, v19
	v_cmp_eq_u32_sdwa vcc, v19, v37 src0_sel:WORD_0 src1_sel:DWORD
	s_nop 1
	v_cndmask_b32_e32 v18, v18, v19, vcc
; %bb.600:                              ;   in Loop: Header=BB338_559 Depth=1
	s_or_b64 exec, exec, s[4:5]
	v_bfe_u32 v19, v6, 16, 8
	v_cvt_f32_fp8_sdwa v19, v19 src0_sel:BYTE_0
	s_nop 0
	v_mul_f32_e32 v19, v1, v19
	v_and_b32_e32 v20, 0x7f800000, v19
	v_cmp_ne_u32_e32 vcc, s21, v20
                                        ; implicit-def: $vgpr20
	s_and_saveexec_b64 s[4:5], vcc
	s_xor_b64 s[4:5], exec, s[4:5]
; %bb.601:                              ;   in Loop: Header=BB338_559 Depth=1
	v_bfe_u32 v20, v19, 16, 1
	v_add3_u32 v20, v19, v20, s24
                                        ; implicit-def: $vgpr19
; %bb.602:                              ;   in Loop: Header=BB338_559 Depth=1
	s_andn2_saveexec_b64 s[4:5], s[4:5]
; %bb.603:                              ;   in Loop: Header=BB338_559 Depth=1
	v_or_b32_e32 v20, 0x10000, v19
	v_cmp_eq_u32_sdwa vcc, v19, v37 src0_sel:WORD_0 src1_sel:DWORD
	s_nop 1
	v_cndmask_b32_e32 v20, v20, v19, vcc
; %bb.604:                              ;   in Loop: Header=BB338_559 Depth=1
	s_or_b64 exec, exec, s[4:5]
	v_lshrrev_b32_e32 v6, 24, v6
	v_cvt_f32_fp8_sdwa v6, v6 src0_sel:BYTE_0
	s_nop 0
	v_mul_f32_e32 v19, v1, v6
	v_and_b32_e32 v6, 0x7f800000, v19
	v_cmp_ne_u32_e32 vcc, s21, v6
                                        ; implicit-def: $vgpr6
	s_and_saveexec_b64 s[4:5], vcc
	s_xor_b64 s[4:5], exec, s[4:5]
; %bb.605:                              ;   in Loop: Header=BB338_559 Depth=1
	v_bfe_u32 v6, v19, 16, 1
	v_add3_u32 v6, v19, v6, s24
                                        ; implicit-def: $vgpr19
; %bb.606:                              ;   in Loop: Header=BB338_559 Depth=1
	s_andn2_saveexec_b64 s[4:5], s[4:5]
; %bb.607:                              ;   in Loop: Header=BB338_559 Depth=1
	v_or_b32_e32 v6, 0x10000, v19
	v_cmp_eq_u32_sdwa vcc, v19, v37 src0_sel:WORD_0 src1_sel:DWORD
	s_nop 1
	v_cndmask_b32_e32 v6, v6, v19, vcc
; %bb.608:                              ;   in Loop: Header=BB338_559 Depth=1
	s_or_b64 exec, exec, s[4:5]
	v_and_b32_e32 v19, 0xff, v7
	v_cvt_f32_fp8_sdwa v19, v19 src0_sel:BYTE_0
	s_nop 0
	v_mul_f32_e32 v19, v1, v19
	v_and_b32_e32 v21, 0x7f800000, v19
	v_cmp_ne_u32_e32 vcc, s21, v21
                                        ; implicit-def: $vgpr21
	s_and_saveexec_b64 s[4:5], vcc
	s_xor_b64 s[4:5], exec, s[4:5]
; %bb.609:                              ;   in Loop: Header=BB338_559 Depth=1
	v_bfe_u32 v21, v19, 16, 1
	v_add3_u32 v21, v19, v21, s24
                                        ; implicit-def: $vgpr19
; %bb.610:                              ;   in Loop: Header=BB338_559 Depth=1
	s_andn2_saveexec_b64 s[4:5], s[4:5]
; %bb.611:                              ;   in Loop: Header=BB338_559 Depth=1
	v_or_b32_e32 v21, 0x10000, v19
	v_cmp_eq_u32_sdwa vcc, v19, v37 src0_sel:WORD_0 src1_sel:DWORD
	s_nop 1
	v_cndmask_b32_e32 v21, v21, v19, vcc
; %bb.612:                              ;   in Loop: Header=BB338_559 Depth=1
	s_or_b64 exec, exec, s[4:5]
	v_bfe_u32 v19, v7, 8, 8
	v_cvt_f32_fp8_sdwa v19, v19 src0_sel:BYTE_0
	s_nop 0
	v_mul_f32_e32 v22, v1, v19
	v_and_b32_e32 v19, 0x7f800000, v22
	v_cmp_ne_u32_e32 vcc, s21, v19
                                        ; implicit-def: $vgpr19
	s_and_saveexec_b64 s[4:5], vcc
	s_xor_b64 s[4:5], exec, s[4:5]
; %bb.613:                              ;   in Loop: Header=BB338_559 Depth=1
	v_bfe_u32 v19, v22, 16, 1
	v_add3_u32 v19, v22, v19, s24
                                        ; implicit-def: $vgpr22
; %bb.614:                              ;   in Loop: Header=BB338_559 Depth=1
	s_andn2_saveexec_b64 s[4:5], s[4:5]
; %bb.615:                              ;   in Loop: Header=BB338_559 Depth=1
	v_or_b32_e32 v19, 0x10000, v22
	v_cmp_eq_u32_sdwa vcc, v22, v37 src0_sel:WORD_0 src1_sel:DWORD
	s_nop 1
	v_cndmask_b32_e32 v19, v19, v22, vcc
; %bb.616:                              ;   in Loop: Header=BB338_559 Depth=1
	s_or_b64 exec, exec, s[4:5]
	v_bfe_u32 v22, v7, 16, 8
	v_cvt_f32_fp8_sdwa v22, v22 src0_sel:BYTE_0
	s_nop 0
	v_mul_f32_e32 v22, v1, v22
	v_and_b32_e32 v23, 0x7f800000, v22
	v_cmp_ne_u32_e32 vcc, s21, v23
                                        ; implicit-def: $vgpr23
	s_and_saveexec_b64 s[4:5], vcc
	s_xor_b64 s[4:5], exec, s[4:5]
; %bb.617:                              ;   in Loop: Header=BB338_559 Depth=1
	v_bfe_u32 v23, v22, 16, 1
	v_add3_u32 v23, v22, v23, s24
                                        ; implicit-def: $vgpr22
; %bb.618:                              ;   in Loop: Header=BB338_559 Depth=1
	s_andn2_saveexec_b64 s[4:5], s[4:5]
; %bb.619:                              ;   in Loop: Header=BB338_559 Depth=1
	v_or_b32_e32 v23, 0x10000, v22
	v_cmp_eq_u32_sdwa vcc, v22, v37 src0_sel:WORD_0 src1_sel:DWORD
	s_nop 1
	v_cndmask_b32_e32 v23, v23, v22, vcc
; %bb.620:                              ;   in Loop: Header=BB338_559 Depth=1
	s_or_b64 exec, exec, s[4:5]
	v_lshrrev_b32_e32 v7, 24, v7
	v_cvt_f32_fp8_sdwa v7, v7 src0_sel:BYTE_0
                                        ; implicit-def: $vgpr24
	s_nop 0
	v_mul_f32_e32 v7, v1, v7
	v_and_b32_e32 v22, 0x7f800000, v7
	v_cmp_ne_u32_e32 vcc, s21, v22
	s_and_saveexec_b64 s[4:5], vcc
	s_xor_b64 s[4:5], exec, s[4:5]
; %bb.621:                              ;   in Loop: Header=BB338_559 Depth=1
	v_bfe_u32 v22, v7, 16, 1
	v_add3_u32 v24, v7, v22, s24
                                        ; implicit-def: $vgpr7
; %bb.622:                              ;   in Loop: Header=BB338_559 Depth=1
	s_andn2_saveexec_b64 s[4:5], s[4:5]
; %bb.623:                              ;   in Loop: Header=BB338_559 Depth=1
	v_or_b32_e32 v22, 0x10000, v7
	v_cmp_eq_u32_sdwa vcc, v7, v37 src0_sel:WORD_0 src1_sel:DWORD
	s_nop 1
	v_cndmask_b32_e32 v24, v22, v7, vcc
; %bb.624:                              ;   in Loop: Header=BB338_559 Depth=1
	s_or_b64 exec, exec, s[4:5]
	scratch_load_dword v22, off, s32 offset:460 ; 4-byte Folded Reload
	scratch_load_dword v7, off, s32 offset:192 ; 4-byte Folded Reload
	v_lshrrev_b32_e32 v19, 16, v19
	v_lshrrev_b32_e32 v21, 16, v21
	;; [unrolled: 1-line block ×5, first 2 shown]
	s_waitcnt vmcnt(0)
	v_cmp_eq_u32_e32 vcc, v22, v7
	scratch_load_dword v22, off, s32 offset:456 ; 4-byte Folded Reload
	v_accvgpr_read_b32 v7, a14
	s_waitcnt vmcnt(0)
	v_add_u32_e32 v38, v22, v7
	v_lshrrev_b32_e32 v7, 16, v23
	v_add_u32_e32 v23, 1, v38
	v_accvgpr_write_b32 a2, v23
	v_add_u32_e32 v23, 3, v38
	v_accvgpr_write_b32 a1, v23
	;; [unrolled: 2-line block ×5, first 2 shown]
	v_add_u32_e32 v23, 7, v38
	v_lshrrev_b32_e32 v22, 16, v6
	v_lshrrev_b32_e32 v6, 16, v24
	v_add_u32_e32 v57, 2, v38
	v_accvgpr_write_b32 a17, v23
	s_and_saveexec_b64 s[22:23], vcc
	s_cbranch_execz .LBB338_626
; %bb.625:                              ;   in Loop: Header=BB338_559 Depth=1
	scratch_load_dword v23, off, s32 offset:188 ; 4-byte Folded Reload
	v_accvgpr_read_b32 v24, a2
	s_waitcnt vmcnt(0)
	v_cmp_lt_i32_e64 s[4:5], v38, v23
	s_nop 1
	v_cndmask_b32_e64 v17, 0, v17, s[4:5]
	v_cmp_lt_i32_e64 s[4:5], v24, v23
	v_mov_b32_e32 v24, v57
	s_nop 0
	v_cndmask_b32_e64 v18, 0, v18, s[4:5]
	v_cmp_lt_i32_e64 s[4:5], v24, v23
	v_accvgpr_read_b32 v24, a1
	s_nop 0
	v_cndmask_b32_e64 v20, 0, v20, s[4:5]
	v_cmp_lt_i32_e64 s[4:5], v24, v23
	v_accvgpr_read_b32 v24, a0
	;; [unrolled: 4-line block ×5, first 2 shown]
	s_nop 0
	v_cndmask_b32_e64 v7, 0, v7, s[4:5]
	v_cmp_lt_i32_e64 s[4:5], v24, v23
	s_nop 1
	v_cndmask_b32_e64 v6, 0, v6, s[4:5]
.LBB338_626:                            ;   in Loop: Header=BB338_559 Depth=1
	s_or_b64 exec, exec, s[22:23]
	v_and_b32_e32 v26, 0xffff0000, v16
	v_lshlrev_b32_e32 v16, 16, v17
	v_mul_f32_e32 v16, v26, v16
	v_and_b32_e32 v17, 0x7f800000, v16
	v_cmp_ne_u32_e64 s[4:5], s21, v17
                                        ; implicit-def: $vgpr17
                                        ; kill: killed $vgpr17
	s_and_saveexec_b64 s[22:23], s[4:5]
	s_xor_b64 s[4:5], exec, s[22:23]
	s_cbranch_execz .LBB338_628
; %bb.627:                              ;   in Loop: Header=BB338_559 Depth=1
	v_bfe_u32 v17, v16, 16, 1
	v_add3_u32 v16, v16, v17, s24
	scratch_store_dword off, v16, s32 offset:344 ; 4-byte Folded Spill
                                        ; implicit-def: $vgpr16
.LBB338_628:                            ;   in Loop: Header=BB338_559 Depth=1
	s_andn2_saveexec_b64 s[22:23], s[4:5]
	s_cbranch_execz .LBB338_630
; %bb.629:                              ;   in Loop: Header=BB338_559 Depth=1
	v_or_b32_e32 v17, 0x10000, v16
	v_cmp_eq_u32_sdwa s[4:5], v16, v37 src0_sel:WORD_0 src1_sel:DWORD
	s_nop 1
	v_cndmask_b32_e64 v16, v17, v16, s[4:5]
	scratch_store_dword off, v16, s32 offset:344 ; 4-byte Folded Spill
.LBB338_630:                            ;   in Loop: Header=BB338_559 Depth=1
	s_or_b64 exec, exec, s[22:23]
	v_and_b32_e32 v27, 0xffff0000, v15
	v_lshlrev_b32_e32 v15, 16, v18
	v_mul_f32_e32 v15, v27, v15
	v_and_b32_e32 v16, 0x7f800000, v15
	v_cmp_ne_u32_e64 s[4:5], s21, v16
                                        ; implicit-def: $vgpr16
                                        ; kill: killed $vgpr16
	s_and_saveexec_b64 s[22:23], s[4:5]
	s_xor_b64 s[4:5], exec, s[22:23]
	s_cbranch_execz .LBB338_632
; %bb.631:                              ;   in Loop: Header=BB338_559 Depth=1
	v_bfe_u32 v16, v15, 16, 1
	v_add3_u32 v15, v15, v16, s24
	scratch_store_dword off, v15, s32 offset:348 ; 4-byte Folded Spill
                                        ; implicit-def: $vgpr15
.LBB338_632:                            ;   in Loop: Header=BB338_559 Depth=1
	s_andn2_saveexec_b64 s[22:23], s[4:5]
	s_cbranch_execz .LBB338_634
; %bb.633:                              ;   in Loop: Header=BB338_559 Depth=1
	v_or_b32_e32 v16, 0x10000, v15
	v_cmp_eq_u32_sdwa s[4:5], v15, v37 src0_sel:WORD_0 src1_sel:DWORD
	s_nop 1
	v_cndmask_b32_e64 v15, v16, v15, s[4:5]
	scratch_store_dword off, v15, s32 offset:348 ; 4-byte Folded Spill
.LBB338_634:                            ;   in Loop: Header=BB338_559 Depth=1
	s_or_b64 exec, exec, s[22:23]
	v_and_b32_e32 v40, 0xffff0000, v14
	v_lshlrev_b32_e32 v14, 16, v20
	v_mul_f32_e32 v14, v40, v14
	v_and_b32_e32 v15, 0x7f800000, v14
	v_cmp_ne_u32_e64 s[4:5], s21, v15
                                        ; implicit-def: $vgpr15
                                        ; kill: killed $vgpr15
	s_and_saveexec_b64 s[22:23], s[4:5]
	s_xor_b64 s[4:5], exec, s[22:23]
	s_cbranch_execz .LBB338_636
; %bb.635:                              ;   in Loop: Header=BB338_559 Depth=1
	v_bfe_u32 v15, v14, 16, 1
	v_add3_u32 v14, v14, v15, s24
	scratch_store_dword off, v14, s32 offset:352 ; 4-byte Folded Spill
                                        ; implicit-def: $vgpr14
.LBB338_636:                            ;   in Loop: Header=BB338_559 Depth=1
	s_andn2_saveexec_b64 s[22:23], s[4:5]
	s_cbranch_execz .LBB338_638
; %bb.637:                              ;   in Loop: Header=BB338_559 Depth=1
	v_or_b32_e32 v15, 0x10000, v14
	v_cmp_eq_u32_sdwa s[4:5], v14, v37 src0_sel:WORD_0 src1_sel:DWORD
	s_nop 1
	v_cndmask_b32_e64 v14, v15, v14, s[4:5]
	scratch_store_dword off, v14, s32 offset:352 ; 4-byte Folded Spill
.LBB338_638:                            ;   in Loop: Header=BB338_559 Depth=1
	s_or_b64 exec, exec, s[22:23]
	v_and_b32_e32 v41, 0xffff0000, v13
	v_lshlrev_b32_e32 v13, 16, v22
	v_mul_f32_e32 v13, v41, v13
	v_and_b32_e32 v14, 0x7f800000, v13
	v_cmp_ne_u32_e64 s[4:5], s21, v14
                                        ; implicit-def: $vgpr14
                                        ; kill: killed $vgpr14
	s_and_saveexec_b64 s[22:23], s[4:5]
	s_xor_b64 s[4:5], exec, s[22:23]
	s_cbranch_execz .LBB338_640
; %bb.639:                              ;   in Loop: Header=BB338_559 Depth=1
	v_bfe_u32 v14, v13, 16, 1
	v_add3_u32 v13, v13, v14, s24
	scratch_store_dword off, v13, s32 offset:356 ; 4-byte Folded Spill
                                        ; implicit-def: $vgpr13
.LBB338_640:                            ;   in Loop: Header=BB338_559 Depth=1
	s_andn2_saveexec_b64 s[22:23], s[4:5]
	s_cbranch_execz .LBB338_642
; %bb.641:                              ;   in Loop: Header=BB338_559 Depth=1
	v_or_b32_e32 v14, 0x10000, v13
	v_cmp_eq_u32_sdwa s[4:5], v13, v37 src0_sel:WORD_0 src1_sel:DWORD
	s_nop 1
	v_cndmask_b32_e64 v13, v14, v13, s[4:5]
	scratch_store_dword off, v13, s32 offset:356 ; 4-byte Folded Spill
.LBB338_642:                            ;   in Loop: Header=BB338_559 Depth=1
	s_or_b64 exec, exec, s[22:23]
	v_and_b32_e32 v42, 0xffff0000, v12
	v_lshlrev_b32_e32 v12, 16, v21
	v_mul_f32_e32 v12, v42, v12
	v_and_b32_e32 v13, 0x7f800000, v12
	v_cmp_ne_u32_e64 s[4:5], s21, v13
                                        ; implicit-def: $vgpr13
                                        ; kill: killed $vgpr13
	s_and_saveexec_b64 s[22:23], s[4:5]
	s_xor_b64 s[4:5], exec, s[22:23]
	s_cbranch_execz .LBB338_644
; %bb.643:                              ;   in Loop: Header=BB338_559 Depth=1
	v_bfe_u32 v13, v12, 16, 1
	v_add3_u32 v12, v12, v13, s24
	scratch_store_dword off, v12, s32 offset:360 ; 4-byte Folded Spill
                                        ; implicit-def: $vgpr12
.LBB338_644:                            ;   in Loop: Header=BB338_559 Depth=1
	s_andn2_saveexec_b64 s[22:23], s[4:5]
	s_cbranch_execz .LBB338_646
; %bb.645:                              ;   in Loop: Header=BB338_559 Depth=1
	v_or_b32_e32 v13, 0x10000, v12
	v_cmp_eq_u32_sdwa s[4:5], v12, v37 src0_sel:WORD_0 src1_sel:DWORD
	s_nop 1
	v_cndmask_b32_e64 v12, v13, v12, s[4:5]
	scratch_store_dword off, v12, s32 offset:360 ; 4-byte Folded Spill
.LBB338_646:                            ;   in Loop: Header=BB338_559 Depth=1
	s_or_b64 exec, exec, s[22:23]
	v_and_b32_e32 v43, 0xffff0000, v9
	v_lshlrev_b32_e32 v9, 16, v19
	v_mul_f32_e32 v9, v43, v9
	v_and_b32_e32 v12, 0x7f800000, v9
	v_cmp_ne_u32_e64 s[4:5], s21, v12
                                        ; implicit-def: $vgpr12
                                        ; kill: killed $vgpr12
	s_and_saveexec_b64 s[22:23], s[4:5]
	s_xor_b64 s[4:5], exec, s[22:23]
	s_cbranch_execz .LBB338_648
; %bb.647:                              ;   in Loop: Header=BB338_559 Depth=1
	v_bfe_u32 v12, v9, 16, 1
	v_add3_u32 v9, v9, v12, s24
	scratch_store_dword off, v9, s32 offset:364 ; 4-byte Folded Spill
                                        ; implicit-def: $vgpr9
.LBB338_648:                            ;   in Loop: Header=BB338_559 Depth=1
	s_andn2_saveexec_b64 s[22:23], s[4:5]
	s_cbranch_execz .LBB338_650
; %bb.649:                              ;   in Loop: Header=BB338_559 Depth=1
	v_or_b32_e32 v12, 0x10000, v9
	v_cmp_eq_u32_sdwa s[4:5], v9, v37 src0_sel:WORD_0 src1_sel:DWORD
	s_nop 1
	v_cndmask_b32_e64 v9, v12, v9, s[4:5]
	scratch_store_dword off, v9, s32 offset:364 ; 4-byte Folded Spill
.LBB338_650:                            ;   in Loop: Header=BB338_559 Depth=1
	s_or_b64 exec, exec, s[22:23]
	v_and_b32_e32 v44, 0xffff0000, v8
	v_lshlrev_b32_e32 v7, 16, v7
	v_mul_f32_e32 v7, v44, v7
	v_and_b32_e32 v8, 0x7f800000, v7
	v_cmp_ne_u32_e64 s[4:5], s21, v8
                                        ; implicit-def: $vgpr8
                                        ; kill: killed $vgpr8
	s_and_saveexec_b64 s[22:23], s[4:5]
	s_xor_b64 s[4:5], exec, s[22:23]
	s_cbranch_execz .LBB338_652
; %bb.651:                              ;   in Loop: Header=BB338_559 Depth=1
	v_bfe_u32 v8, v7, 16, 1
	v_add3_u32 v7, v7, v8, s24
	scratch_store_dword off, v7, s32 offset:368 ; 4-byte Folded Spill
                                        ; implicit-def: $vgpr7
.LBB338_652:                            ;   in Loop: Header=BB338_559 Depth=1
	s_andn2_saveexec_b64 s[22:23], s[4:5]
	s_cbranch_execz .LBB338_654
; %bb.653:                              ;   in Loop: Header=BB338_559 Depth=1
	v_or_b32_e32 v8, 0x10000, v7
	v_cmp_eq_u32_sdwa s[4:5], v7, v37 src0_sel:WORD_0 src1_sel:DWORD
	s_nop 1
	v_cndmask_b32_e64 v7, v8, v7, s[4:5]
	scratch_store_dword off, v7, s32 offset:368 ; 4-byte Folded Spill
.LBB338_654:                            ;   in Loop: Header=BB338_559 Depth=1
	s_or_b64 exec, exec, s[22:23]
	v_and_b32_e32 v45, 0xffff0000, v0
	v_lshlrev_b32_e32 v0, 16, v6
	v_mul_f32_e32 v0, v45, v0
	v_and_b32_e32 v6, 0x7f800000, v0
	v_cmp_ne_u32_e64 s[4:5], s21, v6
                                        ; implicit-def: $vgpr6
                                        ; kill: killed $vgpr6
	s_and_saveexec_b64 s[22:23], s[4:5]
	s_xor_b64 s[4:5], exec, s[22:23]
	s_cbranch_execz .LBB338_656
; %bb.655:                              ;   in Loop: Header=BB338_559 Depth=1
	v_bfe_u32 v6, v0, 16, 1
	v_add3_u32 v0, v0, v6, s24
	scratch_store_dword off, v0, s32 offset:372 ; 4-byte Folded Spill
                                        ; implicit-def: $vgpr0
.LBB338_656:                            ;   in Loop: Header=BB338_559 Depth=1
	s_andn2_saveexec_b64 s[22:23], s[4:5]
	s_cbranch_execz .LBB338_658
; %bb.657:                              ;   in Loop: Header=BB338_559 Depth=1
	v_or_b32_e32 v6, 0x10000, v0
	v_cmp_eq_u32_sdwa s[4:5], v0, v37 src0_sel:WORD_0 src1_sel:DWORD
	s_nop 1
	v_cndmask_b32_e64 v0, v6, v0, s[4:5]
	scratch_store_dword off, v0, s32 offset:372 ; 4-byte Folded Spill
.LBB338_658:                            ;   in Loop: Header=BB338_559 Depth=1
	s_or_b64 exec, exec, s[22:23]
	flat_load_dwordx2 v[6:7], v[4:5] offset:512
	s_waitcnt vmcnt(0) lgkmcnt(0)
	v_and_b32_e32 v0, 0xff, v6
	v_cvt_f32_fp8_sdwa v0, v0 src0_sel:BYTE_0
	s_nop 0
	v_mul_f32_e32 v8, v1, v0
	v_and_b32_e32 v0, 0x7f800000, v8
	v_cmp_ne_u32_e64 s[4:5], s21, v0
                                        ; implicit-def: $vgpr0
	s_and_saveexec_b64 s[22:23], s[4:5]
	s_xor_b64 s[4:5], exec, s[22:23]
; %bb.659:                              ;   in Loop: Header=BB338_559 Depth=1
	v_bfe_u32 v0, v8, 16, 1
	v_add3_u32 v0, v8, v0, s24
                                        ; implicit-def: $vgpr8
; %bb.660:                              ;   in Loop: Header=BB338_559 Depth=1
	s_andn2_saveexec_b64 s[22:23], s[4:5]
; %bb.661:                              ;   in Loop: Header=BB338_559 Depth=1
	v_or_b32_e32 v0, 0x10000, v8
	v_cmp_eq_u32_sdwa s[4:5], v8, v37 src0_sel:WORD_0 src1_sel:DWORD
	s_nop 1
	v_cndmask_b32_e64 v0, v0, v8, s[4:5]
; %bb.662:                              ;   in Loop: Header=BB338_559 Depth=1
	s_or_b64 exec, exec, s[22:23]
	v_bfe_u32 v8, v6, 8, 8
	v_cvt_f32_fp8_sdwa v8, v8 src0_sel:BYTE_0
	s_nop 0
	v_mul_f32_e32 v9, v1, v8
	v_and_b32_e32 v8, 0x7f800000, v9
	v_cmp_ne_u32_e64 s[4:5], s21, v8
                                        ; implicit-def: $vgpr8
	s_and_saveexec_b64 s[22:23], s[4:5]
	s_xor_b64 s[4:5], exec, s[22:23]
; %bb.663:                              ;   in Loop: Header=BB338_559 Depth=1
	v_bfe_u32 v8, v9, 16, 1
	v_add3_u32 v8, v9, v8, s24
                                        ; implicit-def: $vgpr9
; %bb.664:                              ;   in Loop: Header=BB338_559 Depth=1
	s_andn2_saveexec_b64 s[22:23], s[4:5]
; %bb.665:                              ;   in Loop: Header=BB338_559 Depth=1
	v_or_b32_e32 v8, 0x10000, v9
	v_cmp_eq_u32_sdwa s[4:5], v9, v37 src0_sel:WORD_0 src1_sel:DWORD
	s_nop 1
	v_cndmask_b32_e64 v8, v8, v9, s[4:5]
; %bb.666:                              ;   in Loop: Header=BB338_559 Depth=1
	s_or_b64 exec, exec, s[22:23]
	v_bfe_u32 v9, v6, 16, 8
	v_cvt_f32_fp8_sdwa v9, v9 src0_sel:BYTE_0
	s_nop 0
	v_mul_f32_e32 v12, v1, v9
	v_and_b32_e32 v9, 0x7f800000, v12
	v_cmp_ne_u32_e64 s[4:5], s21, v9
                                        ; implicit-def: $vgpr9
	s_and_saveexec_b64 s[22:23], s[4:5]
	s_xor_b64 s[4:5], exec, s[22:23]
; %bb.667:                              ;   in Loop: Header=BB338_559 Depth=1
	v_bfe_u32 v9, v12, 16, 1
	v_add3_u32 v9, v12, v9, s24
                                        ; implicit-def: $vgpr12
; %bb.668:                              ;   in Loop: Header=BB338_559 Depth=1
	s_andn2_saveexec_b64 s[22:23], s[4:5]
; %bb.669:                              ;   in Loop: Header=BB338_559 Depth=1
	v_or_b32_e32 v9, 0x10000, v12
	v_cmp_eq_u32_sdwa s[4:5], v12, v37 src0_sel:WORD_0 src1_sel:DWORD
	s_nop 1
	v_cndmask_b32_e64 v9, v9, v12, s[4:5]
; %bb.670:                              ;   in Loop: Header=BB338_559 Depth=1
	s_or_b64 exec, exec, s[22:23]
	v_lshrrev_b32_e32 v6, 24, v6
	v_cvt_f32_fp8_sdwa v6, v6 src0_sel:BYTE_0
	s_nop 0
	v_mul_f32_e32 v12, v1, v6
	v_and_b32_e32 v6, 0x7f800000, v12
	v_cmp_ne_u32_e64 s[4:5], s21, v6
                                        ; implicit-def: $vgpr6
	s_and_saveexec_b64 s[22:23], s[4:5]
	s_xor_b64 s[4:5], exec, s[22:23]
; %bb.671:                              ;   in Loop: Header=BB338_559 Depth=1
	v_bfe_u32 v6, v12, 16, 1
	v_add3_u32 v6, v12, v6, s24
                                        ; implicit-def: $vgpr12
; %bb.672:                              ;   in Loop: Header=BB338_559 Depth=1
	s_andn2_saveexec_b64 s[22:23], s[4:5]
; %bb.673:                              ;   in Loop: Header=BB338_559 Depth=1
	v_or_b32_e32 v6, 0x10000, v12
	v_cmp_eq_u32_sdwa s[4:5], v12, v37 src0_sel:WORD_0 src1_sel:DWORD
	s_nop 1
	v_cndmask_b32_e64 v6, v6, v12, s[4:5]
; %bb.674:                              ;   in Loop: Header=BB338_559 Depth=1
	s_or_b64 exec, exec, s[22:23]
	v_and_b32_e32 v12, 0xff, v7
	v_cvt_f32_fp8_sdwa v12, v12 src0_sel:BYTE_0
	s_nop 0
	v_mul_f32_e32 v13, v1, v12
	v_and_b32_e32 v12, 0x7f800000, v13
	v_cmp_ne_u32_e64 s[4:5], s21, v12
                                        ; implicit-def: $vgpr12
	s_and_saveexec_b64 s[22:23], s[4:5]
	s_xor_b64 s[4:5], exec, s[22:23]
; %bb.675:                              ;   in Loop: Header=BB338_559 Depth=1
	v_bfe_u32 v12, v13, 16, 1
	v_add3_u32 v12, v13, v12, s24
                                        ; implicit-def: $vgpr13
; %bb.676:                              ;   in Loop: Header=BB338_559 Depth=1
	s_andn2_saveexec_b64 s[22:23], s[4:5]
; %bb.677:                              ;   in Loop: Header=BB338_559 Depth=1
	v_or_b32_e32 v12, 0x10000, v13
	v_cmp_eq_u32_sdwa s[4:5], v13, v37 src0_sel:WORD_0 src1_sel:DWORD
	s_nop 1
	v_cndmask_b32_e64 v12, v12, v13, s[4:5]
; %bb.678:                              ;   in Loop: Header=BB338_559 Depth=1
	s_or_b64 exec, exec, s[22:23]
	v_bfe_u32 v13, v7, 8, 8
	v_cvt_f32_fp8_sdwa v13, v13 src0_sel:BYTE_0
	s_nop 0
	v_mul_f32_e32 v14, v1, v13
	v_and_b32_e32 v13, 0x7f800000, v14
	v_cmp_ne_u32_e64 s[4:5], s21, v13
                                        ; implicit-def: $vgpr13
	s_and_saveexec_b64 s[22:23], s[4:5]
	s_xor_b64 s[4:5], exec, s[22:23]
; %bb.679:                              ;   in Loop: Header=BB338_559 Depth=1
	v_bfe_u32 v13, v14, 16, 1
	v_add3_u32 v13, v14, v13, s24
                                        ; implicit-def: $vgpr14
; %bb.680:                              ;   in Loop: Header=BB338_559 Depth=1
	s_andn2_saveexec_b64 s[22:23], s[4:5]
; %bb.681:                              ;   in Loop: Header=BB338_559 Depth=1
	v_or_b32_e32 v13, 0x10000, v14
	v_cmp_eq_u32_sdwa s[4:5], v14, v37 src0_sel:WORD_0 src1_sel:DWORD
	s_nop 1
	v_cndmask_b32_e64 v13, v13, v14, s[4:5]
; %bb.682:                              ;   in Loop: Header=BB338_559 Depth=1
	s_or_b64 exec, exec, s[22:23]
	v_bfe_u32 v14, v7, 16, 8
	v_cvt_f32_fp8_sdwa v14, v14 src0_sel:BYTE_0
	s_nop 0
	v_mul_f32_e32 v15, v1, v14
	v_and_b32_e32 v14, 0x7f800000, v15
	v_cmp_ne_u32_e64 s[4:5], s21, v14
                                        ; implicit-def: $vgpr14
	s_and_saveexec_b64 s[22:23], s[4:5]
	s_xor_b64 s[4:5], exec, s[22:23]
; %bb.683:                              ;   in Loop: Header=BB338_559 Depth=1
	v_bfe_u32 v14, v15, 16, 1
	v_add3_u32 v14, v15, v14, s24
                                        ; implicit-def: $vgpr15
; %bb.684:                              ;   in Loop: Header=BB338_559 Depth=1
	s_andn2_saveexec_b64 s[22:23], s[4:5]
; %bb.685:                              ;   in Loop: Header=BB338_559 Depth=1
	v_or_b32_e32 v14, 0x10000, v15
	v_cmp_eq_u32_sdwa s[4:5], v15, v37 src0_sel:WORD_0 src1_sel:DWORD
	s_nop 1
	v_cndmask_b32_e64 v14, v14, v15, s[4:5]
; %bb.686:                              ;   in Loop: Header=BB338_559 Depth=1
	s_or_b64 exec, exec, s[22:23]
	v_lshrrev_b32_e32 v7, 24, v7
	v_cvt_f32_fp8_sdwa v7, v7 src0_sel:BYTE_0
                                        ; implicit-def: $vgpr16
	s_nop 0
	v_mul_f32_e32 v7, v1, v7
	v_and_b32_e32 v15, 0x7f800000, v7
	v_cmp_ne_u32_e64 s[4:5], s21, v15
	s_and_saveexec_b64 s[22:23], s[4:5]
	s_xor_b64 s[4:5], exec, s[22:23]
; %bb.687:                              ;   in Loop: Header=BB338_559 Depth=1
	v_bfe_u32 v15, v7, 16, 1
	v_add3_u32 v16, v7, v15, s24
                                        ; implicit-def: $vgpr7
; %bb.688:                              ;   in Loop: Header=BB338_559 Depth=1
	s_andn2_saveexec_b64 s[22:23], s[4:5]
; %bb.689:                              ;   in Loop: Header=BB338_559 Depth=1
	v_or_b32_e32 v15, 0x10000, v7
	v_cmp_eq_u32_sdwa s[4:5], v7, v37 src0_sel:WORD_0 src1_sel:DWORD
	s_nop 1
	v_cndmask_b32_e64 v16, v15, v7, s[4:5]
; %bb.690:                              ;   in Loop: Header=BB338_559 Depth=1
	s_or_b64 exec, exec, s[22:23]
	v_lshrrev_b32_e32 v7, 16, v13
	v_lshrrev_b32_e32 v12, 16, v12
	;; [unrolled: 1-line block ×8, first 2 shown]
	s_and_saveexec_b64 s[22:23], vcc
	s_cbranch_execz .LBB338_692
; %bb.691:                              ;   in Loop: Header=BB338_559 Depth=1
	scratch_load_dword v14, off, s32 offset:188 ; 4-byte Folded Reload
	v_accvgpr_read_b32 v16, a2
	s_waitcnt vmcnt(0)
	v_cmp_lt_i32_e64 s[4:5], v38, v14
	s_nop 1
	v_cndmask_b32_e64 v15, 0, v15, s[4:5]
	v_cmp_lt_i32_e64 s[4:5], v16, v14
	v_mov_b32_e32 v16, v57
	s_nop 0
	v_cndmask_b32_e64 v8, 0, v8, s[4:5]
	v_cmp_lt_i32_e64 s[4:5], v16, v14
	v_accvgpr_read_b32 v16, a1
	s_nop 0
	v_cndmask_b32_e64 v9, 0, v9, s[4:5]
	v_cmp_lt_i32_e64 s[4:5], v16, v14
	v_accvgpr_read_b32 v16, a0
	;; [unrolled: 4-line block ×5, first 2 shown]
	s_nop 0
	v_cndmask_b32_e64 v6, 0, v6, s[4:5]
	v_cmp_lt_i32_e64 s[4:5], v16, v14
	s_nop 1
	v_cndmask_b32_e64 v0, 0, v0, s[4:5]
.LBB338_692:                            ;   in Loop: Header=BB338_559 Depth=1
	s_or_b64 exec, exec, s[22:23]
	v_lshlrev_b32_e32 v14, 16, v15
	v_mul_f32_e32 v14, v26, v14
	v_and_b32_e32 v15, 0x7f800000, v14
	v_cmp_ne_u32_e64 s[4:5], s21, v15
                                        ; implicit-def: $vgpr15
                                        ; kill: killed $vgpr15
	s_and_saveexec_b64 s[22:23], s[4:5]
	s_xor_b64 s[4:5], exec, s[22:23]
	s_cbranch_execz .LBB338_694
; %bb.693:                              ;   in Loop: Header=BB338_559 Depth=1
	v_bfe_u32 v15, v14, 16, 1
	v_add3_u32 v14, v14, v15, s24
	scratch_store_dword off, v14, s32 offset:376 ; 4-byte Folded Spill
                                        ; implicit-def: $vgpr14
.LBB338_694:                            ;   in Loop: Header=BB338_559 Depth=1
	s_andn2_saveexec_b64 s[22:23], s[4:5]
	s_cbranch_execz .LBB338_696
; %bb.695:                              ;   in Loop: Header=BB338_559 Depth=1
	v_or_b32_e32 v15, 0x10000, v14
	v_cmp_eq_u32_sdwa s[4:5], v14, v37 src0_sel:WORD_0 src1_sel:DWORD
	s_nop 1
	v_cndmask_b32_e64 v14, v15, v14, s[4:5]
	scratch_store_dword off, v14, s32 offset:376 ; 4-byte Folded Spill
.LBB338_696:                            ;   in Loop: Header=BB338_559 Depth=1
	s_or_b64 exec, exec, s[22:23]
	v_lshlrev_b32_e32 v8, 16, v8
	v_mul_f32_e32 v8, v27, v8
	v_and_b32_e32 v14, 0x7f800000, v8
	v_cmp_ne_u32_e64 s[4:5], s21, v14
                                        ; implicit-def: $vgpr14
                                        ; kill: killed $vgpr14
	s_and_saveexec_b64 s[22:23], s[4:5]
	s_xor_b64 s[4:5], exec, s[22:23]
	s_cbranch_execz .LBB338_698
; %bb.697:                              ;   in Loop: Header=BB338_559 Depth=1
	v_bfe_u32 v14, v8, 16, 1
	v_add3_u32 v8, v8, v14, s24
	scratch_store_dword off, v8, s32 offset:380 ; 4-byte Folded Spill
                                        ; implicit-def: $vgpr8
.LBB338_698:                            ;   in Loop: Header=BB338_559 Depth=1
	s_andn2_saveexec_b64 s[22:23], s[4:5]
	s_cbranch_execz .LBB338_700
; %bb.699:                              ;   in Loop: Header=BB338_559 Depth=1
	v_or_b32_e32 v14, 0x10000, v8
	v_cmp_eq_u32_sdwa s[4:5], v8, v37 src0_sel:WORD_0 src1_sel:DWORD
	s_nop 1
	v_cndmask_b32_e64 v8, v14, v8, s[4:5]
	scratch_store_dword off, v8, s32 offset:380 ; 4-byte Folded Spill
.LBB338_700:                            ;   in Loop: Header=BB338_559 Depth=1
	s_or_b64 exec, exec, s[22:23]
	v_lshlrev_b32_e32 v8, 16, v9
	v_mul_f32_e32 v8, v40, v8
	v_and_b32_e32 v9, 0x7f800000, v8
	v_cmp_ne_u32_e64 s[4:5], s21, v9
                                        ; implicit-def: $vgpr9
                                        ; kill: killed $vgpr9
	s_and_saveexec_b64 s[22:23], s[4:5]
	s_xor_b64 s[4:5], exec, s[22:23]
	s_cbranch_execz .LBB338_702
; %bb.701:                              ;   in Loop: Header=BB338_559 Depth=1
	v_bfe_u32 v9, v8, 16, 1
	v_add3_u32 v8, v8, v9, s24
	scratch_store_dword off, v8, s32 offset:384 ; 4-byte Folded Spill
                                        ; implicit-def: $vgpr8
.LBB338_702:                            ;   in Loop: Header=BB338_559 Depth=1
	s_andn2_saveexec_b64 s[22:23], s[4:5]
	s_cbranch_execz .LBB338_704
; %bb.703:                              ;   in Loop: Header=BB338_559 Depth=1
	v_or_b32_e32 v9, 0x10000, v8
	v_cmp_eq_u32_sdwa s[4:5], v8, v37 src0_sel:WORD_0 src1_sel:DWORD
	s_nop 1
	v_cndmask_b32_e64 v8, v9, v8, s[4:5]
	scratch_store_dword off, v8, s32 offset:384 ; 4-byte Folded Spill
.LBB338_704:                            ;   in Loop: Header=BB338_559 Depth=1
	s_or_b64 exec, exec, s[22:23]
	v_lshlrev_b32_e32 v8, 16, v13
	v_mul_f32_e32 v8, v41, v8
	v_and_b32_e32 v9, 0x7f800000, v8
	v_cmp_ne_u32_e64 s[4:5], s21, v9
                                        ; implicit-def: $vgpr9
                                        ; kill: killed $vgpr9
	;; [unrolled: 25-line block ×3, first 2 shown]
	s_and_saveexec_b64 s[22:23], s[4:5]
	s_xor_b64 s[4:5], exec, s[22:23]
	s_cbranch_execz .LBB338_710
; %bb.709:                              ;   in Loop: Header=BB338_559 Depth=1
	v_bfe_u32 v9, v8, 16, 1
	v_add3_u32 v8, v8, v9, s24
	scratch_store_dword off, v8, s32 offset:392 ; 4-byte Folded Spill
                                        ; implicit-def: $vgpr8
.LBB338_710:                            ;   in Loop: Header=BB338_559 Depth=1
	s_andn2_saveexec_b64 s[22:23], s[4:5]
	s_cbranch_execz .LBB338_712
; %bb.711:                              ;   in Loop: Header=BB338_559 Depth=1
	v_or_b32_e32 v9, 0x10000, v8
	v_cmp_eq_u32_sdwa s[4:5], v8, v37 src0_sel:WORD_0 src1_sel:DWORD
	s_nop 1
	v_cndmask_b32_e64 v8, v9, v8, s[4:5]
	scratch_store_dword off, v8, s32 offset:392 ; 4-byte Folded Spill
.LBB338_712:                            ;   in Loop: Header=BB338_559 Depth=1
	s_or_b64 exec, exec, s[22:23]
	v_lshlrev_b32_e32 v7, 16, v7
	v_mul_f32_e32 v7, v43, v7
	v_and_b32_e32 v8, 0x7f800000, v7
	v_cmp_ne_u32_e64 s[4:5], s21, v8
                                        ; implicit-def: $vgpr8
                                        ; kill: killed $vgpr8
	s_and_saveexec_b64 s[22:23], s[4:5]
	s_xor_b64 s[4:5], exec, s[22:23]
	s_cbranch_execz .LBB338_714
; %bb.713:                              ;   in Loop: Header=BB338_559 Depth=1
	v_bfe_u32 v8, v7, 16, 1
	v_add3_u32 v7, v7, v8, s24
	scratch_store_dword off, v7, s32 offset:396 ; 4-byte Folded Spill
                                        ; implicit-def: $vgpr7
.LBB338_714:                            ;   in Loop: Header=BB338_559 Depth=1
	s_andn2_saveexec_b64 s[22:23], s[4:5]
	s_cbranch_execz .LBB338_716
; %bb.715:                              ;   in Loop: Header=BB338_559 Depth=1
	v_or_b32_e32 v8, 0x10000, v7
	v_cmp_eq_u32_sdwa s[4:5], v7, v37 src0_sel:WORD_0 src1_sel:DWORD
	s_nop 1
	v_cndmask_b32_e64 v7, v8, v7, s[4:5]
	scratch_store_dword off, v7, s32 offset:396 ; 4-byte Folded Spill
.LBB338_716:                            ;   in Loop: Header=BB338_559 Depth=1
	s_or_b64 exec, exec, s[22:23]
	v_lshlrev_b32_e32 v6, 16, v6
	v_mul_f32_e32 v6, v44, v6
	v_and_b32_e32 v7, 0x7f800000, v6
	v_cmp_ne_u32_e64 s[4:5], s21, v7
                                        ; implicit-def: $vgpr7
                                        ; kill: killed $vgpr7
	s_and_saveexec_b64 s[22:23], s[4:5]
	s_xor_b64 s[4:5], exec, s[22:23]
	s_cbranch_execz .LBB338_718
; %bb.717:                              ;   in Loop: Header=BB338_559 Depth=1
	v_bfe_u32 v7, v6, 16, 1
	v_add3_u32 v6, v6, v7, s24
	scratch_store_dword off, v6, s32 offset:400 ; 4-byte Folded Spill
                                        ; implicit-def: $vgpr6
.LBB338_718:                            ;   in Loop: Header=BB338_559 Depth=1
	s_andn2_saveexec_b64 s[22:23], s[4:5]
	s_cbranch_execz .LBB338_720
; %bb.719:                              ;   in Loop: Header=BB338_559 Depth=1
	v_or_b32_e32 v7, 0x10000, v6
	v_cmp_eq_u32_sdwa s[4:5], v6, v37 src0_sel:WORD_0 src1_sel:DWORD
	s_nop 1
	v_cndmask_b32_e64 v6, v7, v6, s[4:5]
	scratch_store_dword off, v6, s32 offset:400 ; 4-byte Folded Spill
.LBB338_720:                            ;   in Loop: Header=BB338_559 Depth=1
	s_or_b64 exec, exec, s[22:23]
	v_lshlrev_b32_e32 v0, 16, v0
	v_mul_f32_e32 v0, v45, v0
	v_and_b32_e32 v6, 0x7f800000, v0
	v_cmp_ne_u32_e64 s[4:5], s21, v6
                                        ; implicit-def: $vgpr6
                                        ; kill: killed $vgpr6
	s_and_saveexec_b64 s[22:23], s[4:5]
	s_xor_b64 s[4:5], exec, s[22:23]
	s_cbranch_execz .LBB338_722
; %bb.721:                              ;   in Loop: Header=BB338_559 Depth=1
	v_bfe_u32 v6, v0, 16, 1
	v_add3_u32 v0, v0, v6, s24
	scratch_store_dword off, v0, s32 offset:404 ; 4-byte Folded Spill
                                        ; implicit-def: $vgpr0
.LBB338_722:                            ;   in Loop: Header=BB338_559 Depth=1
	s_andn2_saveexec_b64 s[22:23], s[4:5]
	s_cbranch_execz .LBB338_724
; %bb.723:                              ;   in Loop: Header=BB338_559 Depth=1
	v_or_b32_e32 v6, 0x10000, v0
	v_cmp_eq_u32_sdwa s[4:5], v0, v37 src0_sel:WORD_0 src1_sel:DWORD
	s_nop 1
	v_cndmask_b32_e64 v0, v6, v0, s[4:5]
	scratch_store_dword off, v0, s32 offset:404 ; 4-byte Folded Spill
.LBB338_724:                            ;   in Loop: Header=BB338_559 Depth=1
	s_or_b64 exec, exec, s[22:23]
	flat_load_dwordx2 v[6:7], v[4:5] offset:1024
	s_waitcnt vmcnt(0) lgkmcnt(0)
	v_and_b32_e32 v0, 0xff, v6
	v_cvt_f32_fp8_sdwa v0, v0 src0_sel:BYTE_0
	s_nop 0
	v_mul_f32_e32 v8, v1, v0
	v_and_b32_e32 v0, 0x7f800000, v8
	v_cmp_ne_u32_e64 s[4:5], s21, v0
                                        ; implicit-def: $vgpr0
	s_and_saveexec_b64 s[22:23], s[4:5]
	s_xor_b64 s[4:5], exec, s[22:23]
; %bb.725:                              ;   in Loop: Header=BB338_559 Depth=1
	v_bfe_u32 v0, v8, 16, 1
	v_add3_u32 v0, v8, v0, s24
                                        ; implicit-def: $vgpr8
; %bb.726:                              ;   in Loop: Header=BB338_559 Depth=1
	s_andn2_saveexec_b64 s[22:23], s[4:5]
; %bb.727:                              ;   in Loop: Header=BB338_559 Depth=1
	v_or_b32_e32 v0, 0x10000, v8
	v_cmp_eq_u32_sdwa s[4:5], v8, v37 src0_sel:WORD_0 src1_sel:DWORD
	s_nop 1
	v_cndmask_b32_e64 v0, v0, v8, s[4:5]
; %bb.728:                              ;   in Loop: Header=BB338_559 Depth=1
	s_or_b64 exec, exec, s[22:23]
	v_bfe_u32 v8, v6, 8, 8
	v_cvt_f32_fp8_sdwa v8, v8 src0_sel:BYTE_0
	s_nop 0
	v_mul_f32_e32 v9, v1, v8
	v_and_b32_e32 v8, 0x7f800000, v9
	v_cmp_ne_u32_e64 s[4:5], s21, v8
                                        ; implicit-def: $vgpr8
	s_and_saveexec_b64 s[22:23], s[4:5]
	s_xor_b64 s[4:5], exec, s[22:23]
; %bb.729:                              ;   in Loop: Header=BB338_559 Depth=1
	v_bfe_u32 v8, v9, 16, 1
	v_add3_u32 v8, v9, v8, s24
                                        ; implicit-def: $vgpr9
; %bb.730:                              ;   in Loop: Header=BB338_559 Depth=1
	s_andn2_saveexec_b64 s[22:23], s[4:5]
; %bb.731:                              ;   in Loop: Header=BB338_559 Depth=1
	v_or_b32_e32 v8, 0x10000, v9
	v_cmp_eq_u32_sdwa s[4:5], v9, v37 src0_sel:WORD_0 src1_sel:DWORD
	s_nop 1
	v_cndmask_b32_e64 v8, v8, v9, s[4:5]
; %bb.732:                              ;   in Loop: Header=BB338_559 Depth=1
	s_or_b64 exec, exec, s[22:23]
	v_bfe_u32 v9, v6, 16, 8
	v_cvt_f32_fp8_sdwa v9, v9 src0_sel:BYTE_0
	s_nop 0
	v_mul_f32_e32 v12, v1, v9
	v_and_b32_e32 v9, 0x7f800000, v12
	v_cmp_ne_u32_e64 s[4:5], s21, v9
                                        ; implicit-def: $vgpr9
	s_and_saveexec_b64 s[22:23], s[4:5]
	s_xor_b64 s[4:5], exec, s[22:23]
; %bb.733:                              ;   in Loop: Header=BB338_559 Depth=1
	v_bfe_u32 v9, v12, 16, 1
	v_add3_u32 v9, v12, v9, s24
                                        ; implicit-def: $vgpr12
; %bb.734:                              ;   in Loop: Header=BB338_559 Depth=1
	s_andn2_saveexec_b64 s[22:23], s[4:5]
; %bb.735:                              ;   in Loop: Header=BB338_559 Depth=1
	v_or_b32_e32 v9, 0x10000, v12
	v_cmp_eq_u32_sdwa s[4:5], v12, v37 src0_sel:WORD_0 src1_sel:DWORD
	s_nop 1
	v_cndmask_b32_e64 v9, v9, v12, s[4:5]
; %bb.736:                              ;   in Loop: Header=BB338_559 Depth=1
	s_or_b64 exec, exec, s[22:23]
	v_lshrrev_b32_e32 v6, 24, v6
	v_cvt_f32_fp8_sdwa v6, v6 src0_sel:BYTE_0
	s_nop 0
	v_mul_f32_e32 v12, v1, v6
	v_and_b32_e32 v6, 0x7f800000, v12
	v_cmp_ne_u32_e64 s[4:5], s21, v6
                                        ; implicit-def: $vgpr6
	s_and_saveexec_b64 s[22:23], s[4:5]
	s_xor_b64 s[4:5], exec, s[22:23]
; %bb.737:                              ;   in Loop: Header=BB338_559 Depth=1
	v_bfe_u32 v6, v12, 16, 1
	v_add3_u32 v6, v12, v6, s24
                                        ; implicit-def: $vgpr12
; %bb.738:                              ;   in Loop: Header=BB338_559 Depth=1
	s_andn2_saveexec_b64 s[22:23], s[4:5]
; %bb.739:                              ;   in Loop: Header=BB338_559 Depth=1
	v_or_b32_e32 v6, 0x10000, v12
	v_cmp_eq_u32_sdwa s[4:5], v12, v37 src0_sel:WORD_0 src1_sel:DWORD
	s_nop 1
	v_cndmask_b32_e64 v6, v6, v12, s[4:5]
; %bb.740:                              ;   in Loop: Header=BB338_559 Depth=1
	s_or_b64 exec, exec, s[22:23]
	v_and_b32_e32 v12, 0xff, v7
	v_cvt_f32_fp8_sdwa v12, v12 src0_sel:BYTE_0
	s_nop 0
	v_mul_f32_e32 v13, v1, v12
	v_and_b32_e32 v12, 0x7f800000, v13
	v_cmp_ne_u32_e64 s[4:5], s21, v12
                                        ; implicit-def: $vgpr12
	s_and_saveexec_b64 s[22:23], s[4:5]
	s_xor_b64 s[4:5], exec, s[22:23]
; %bb.741:                              ;   in Loop: Header=BB338_559 Depth=1
	v_bfe_u32 v12, v13, 16, 1
	v_add3_u32 v12, v13, v12, s24
                                        ; implicit-def: $vgpr13
; %bb.742:                              ;   in Loop: Header=BB338_559 Depth=1
	s_andn2_saveexec_b64 s[22:23], s[4:5]
; %bb.743:                              ;   in Loop: Header=BB338_559 Depth=1
	v_or_b32_e32 v12, 0x10000, v13
	v_cmp_eq_u32_sdwa s[4:5], v13, v37 src0_sel:WORD_0 src1_sel:DWORD
	s_nop 1
	v_cndmask_b32_e64 v12, v12, v13, s[4:5]
; %bb.744:                              ;   in Loop: Header=BB338_559 Depth=1
	s_or_b64 exec, exec, s[22:23]
	v_bfe_u32 v13, v7, 8, 8
	v_cvt_f32_fp8_sdwa v13, v13 src0_sel:BYTE_0
	s_nop 0
	v_mul_f32_e32 v14, v1, v13
	v_and_b32_e32 v13, 0x7f800000, v14
	v_cmp_ne_u32_e64 s[4:5], s21, v13
                                        ; implicit-def: $vgpr13
	s_and_saveexec_b64 s[22:23], s[4:5]
	s_xor_b64 s[4:5], exec, s[22:23]
; %bb.745:                              ;   in Loop: Header=BB338_559 Depth=1
	v_bfe_u32 v13, v14, 16, 1
	v_add3_u32 v13, v14, v13, s24
                                        ; implicit-def: $vgpr14
; %bb.746:                              ;   in Loop: Header=BB338_559 Depth=1
	s_andn2_saveexec_b64 s[22:23], s[4:5]
; %bb.747:                              ;   in Loop: Header=BB338_559 Depth=1
	v_or_b32_e32 v13, 0x10000, v14
	v_cmp_eq_u32_sdwa s[4:5], v14, v37 src0_sel:WORD_0 src1_sel:DWORD
	s_nop 1
	v_cndmask_b32_e64 v13, v13, v14, s[4:5]
; %bb.748:                              ;   in Loop: Header=BB338_559 Depth=1
	s_or_b64 exec, exec, s[22:23]
	v_bfe_u32 v14, v7, 16, 8
	v_cvt_f32_fp8_sdwa v14, v14 src0_sel:BYTE_0
	s_nop 0
	v_mul_f32_e32 v15, v1, v14
	v_and_b32_e32 v14, 0x7f800000, v15
	v_cmp_ne_u32_e64 s[4:5], s21, v14
                                        ; implicit-def: $vgpr14
	s_and_saveexec_b64 s[22:23], s[4:5]
	s_xor_b64 s[4:5], exec, s[22:23]
; %bb.749:                              ;   in Loop: Header=BB338_559 Depth=1
	v_bfe_u32 v14, v15, 16, 1
	v_add3_u32 v14, v15, v14, s24
                                        ; implicit-def: $vgpr15
; %bb.750:                              ;   in Loop: Header=BB338_559 Depth=1
	s_andn2_saveexec_b64 s[22:23], s[4:5]
; %bb.751:                              ;   in Loop: Header=BB338_559 Depth=1
	v_or_b32_e32 v14, 0x10000, v15
	v_cmp_eq_u32_sdwa s[4:5], v15, v37 src0_sel:WORD_0 src1_sel:DWORD
	s_nop 1
	v_cndmask_b32_e64 v14, v14, v15, s[4:5]
; %bb.752:                              ;   in Loop: Header=BB338_559 Depth=1
	s_or_b64 exec, exec, s[22:23]
	v_lshrrev_b32_e32 v7, 24, v7
	v_cvt_f32_fp8_sdwa v7, v7 src0_sel:BYTE_0
                                        ; implicit-def: $vgpr16
	s_nop 0
	v_mul_f32_e32 v7, v1, v7
	v_and_b32_e32 v15, 0x7f800000, v7
	v_cmp_ne_u32_e64 s[4:5], s21, v15
	s_and_saveexec_b64 s[22:23], s[4:5]
	s_xor_b64 s[4:5], exec, s[22:23]
; %bb.753:                              ;   in Loop: Header=BB338_559 Depth=1
	v_bfe_u32 v15, v7, 16, 1
	v_add3_u32 v16, v7, v15, s24
                                        ; implicit-def: $vgpr7
; %bb.754:                              ;   in Loop: Header=BB338_559 Depth=1
	s_andn2_saveexec_b64 s[22:23], s[4:5]
; %bb.755:                              ;   in Loop: Header=BB338_559 Depth=1
	v_or_b32_e32 v15, 0x10000, v7
	v_cmp_eq_u32_sdwa s[4:5], v7, v37 src0_sel:WORD_0 src1_sel:DWORD
	s_nop 1
	v_cndmask_b32_e64 v16, v15, v7, s[4:5]
; %bb.756:                              ;   in Loop: Header=BB338_559 Depth=1
	s_or_b64 exec, exec, s[22:23]
	v_lshrrev_b32_e32 v7, 16, v13
	v_lshrrev_b32_e32 v12, 16, v12
	;; [unrolled: 1-line block ×8, first 2 shown]
	s_and_saveexec_b64 s[22:23], vcc
	s_cbranch_execz .LBB338_758
; %bb.757:                              ;   in Loop: Header=BB338_559 Depth=1
	scratch_load_dword v14, off, s32 offset:188 ; 4-byte Folded Reload
	v_accvgpr_read_b32 v16, a2
	s_waitcnt vmcnt(0)
	v_cmp_lt_i32_e64 s[4:5], v38, v14
	s_nop 1
	v_cndmask_b32_e64 v15, 0, v15, s[4:5]
	v_cmp_lt_i32_e64 s[4:5], v16, v14
	v_mov_b32_e32 v16, v57
	s_nop 0
	v_cndmask_b32_e64 v8, 0, v8, s[4:5]
	v_cmp_lt_i32_e64 s[4:5], v16, v14
	v_accvgpr_read_b32 v16, a1
	s_nop 0
	v_cndmask_b32_e64 v9, 0, v9, s[4:5]
	v_cmp_lt_i32_e64 s[4:5], v16, v14
	v_accvgpr_read_b32 v16, a0
	;; [unrolled: 4-line block ×5, first 2 shown]
	s_nop 0
	v_cndmask_b32_e64 v6, 0, v6, s[4:5]
	v_cmp_lt_i32_e64 s[4:5], v16, v14
	s_nop 1
	v_cndmask_b32_e64 v0, 0, v0, s[4:5]
.LBB338_758:                            ;   in Loop: Header=BB338_559 Depth=1
	s_or_b64 exec, exec, s[22:23]
	v_lshlrev_b32_e32 v14, 16, v15
	v_mul_f32_e32 v14, v26, v14
	v_and_b32_e32 v15, 0x7f800000, v14
	v_cmp_ne_u32_e64 s[4:5], s21, v15
                                        ; implicit-def: $vgpr15
                                        ; kill: killed $vgpr15
	s_and_saveexec_b64 s[22:23], s[4:5]
	s_xor_b64 s[4:5], exec, s[22:23]
	s_cbranch_execz .LBB338_760
; %bb.759:                              ;   in Loop: Header=BB338_559 Depth=1
	v_bfe_u32 v15, v14, 16, 1
	v_add3_u32 v14, v14, v15, s24
	scratch_store_dword off, v14, s32 offset:408 ; 4-byte Folded Spill
                                        ; implicit-def: $vgpr14
.LBB338_760:                            ;   in Loop: Header=BB338_559 Depth=1
	s_andn2_saveexec_b64 s[22:23], s[4:5]
	s_cbranch_execz .LBB338_762
; %bb.761:                              ;   in Loop: Header=BB338_559 Depth=1
	v_or_b32_e32 v15, 0x10000, v14
	v_cmp_eq_u32_sdwa s[4:5], v14, v37 src0_sel:WORD_0 src1_sel:DWORD
	s_nop 1
	v_cndmask_b32_e64 v14, v15, v14, s[4:5]
	scratch_store_dword off, v14, s32 offset:408 ; 4-byte Folded Spill
.LBB338_762:                            ;   in Loop: Header=BB338_559 Depth=1
	s_or_b64 exec, exec, s[22:23]
	v_lshlrev_b32_e32 v8, 16, v8
	v_mul_f32_e32 v8, v27, v8
	v_and_b32_e32 v14, 0x7f800000, v8
	v_cmp_ne_u32_e64 s[4:5], s21, v14
                                        ; implicit-def: $vgpr14
                                        ; kill: killed $vgpr14
	s_and_saveexec_b64 s[22:23], s[4:5]
	s_xor_b64 s[4:5], exec, s[22:23]
	s_cbranch_execz .LBB338_764
; %bb.763:                              ;   in Loop: Header=BB338_559 Depth=1
	v_bfe_u32 v14, v8, 16, 1
	v_add3_u32 v8, v8, v14, s24
	scratch_store_dword off, v8, s32 offset:412 ; 4-byte Folded Spill
                                        ; implicit-def: $vgpr8
.LBB338_764:                            ;   in Loop: Header=BB338_559 Depth=1
	s_andn2_saveexec_b64 s[22:23], s[4:5]
	s_cbranch_execz .LBB338_766
; %bb.765:                              ;   in Loop: Header=BB338_559 Depth=1
	v_or_b32_e32 v14, 0x10000, v8
	v_cmp_eq_u32_sdwa s[4:5], v8, v37 src0_sel:WORD_0 src1_sel:DWORD
	s_nop 1
	v_cndmask_b32_e64 v8, v14, v8, s[4:5]
	scratch_store_dword off, v8, s32 offset:412 ; 4-byte Folded Spill
.LBB338_766:                            ;   in Loop: Header=BB338_559 Depth=1
	s_or_b64 exec, exec, s[22:23]
	v_lshlrev_b32_e32 v8, 16, v9
	v_mul_f32_e32 v8, v40, v8
	v_and_b32_e32 v9, 0x7f800000, v8
	v_cmp_ne_u32_e64 s[4:5], s21, v9
                                        ; implicit-def: $vgpr9
                                        ; kill: killed $vgpr9
	s_and_saveexec_b64 s[22:23], s[4:5]
	s_xor_b64 s[4:5], exec, s[22:23]
	s_cbranch_execz .LBB338_768
; %bb.767:                              ;   in Loop: Header=BB338_559 Depth=1
	v_bfe_u32 v9, v8, 16, 1
	v_add3_u32 v8, v8, v9, s24
	scratch_store_dword off, v8, s32 offset:416 ; 4-byte Folded Spill
                                        ; implicit-def: $vgpr8
.LBB338_768:                            ;   in Loop: Header=BB338_559 Depth=1
	s_andn2_saveexec_b64 s[22:23], s[4:5]
	s_cbranch_execz .LBB338_770
; %bb.769:                              ;   in Loop: Header=BB338_559 Depth=1
	v_or_b32_e32 v9, 0x10000, v8
	v_cmp_eq_u32_sdwa s[4:5], v8, v37 src0_sel:WORD_0 src1_sel:DWORD
	s_nop 1
	v_cndmask_b32_e64 v8, v9, v8, s[4:5]
	scratch_store_dword off, v8, s32 offset:416 ; 4-byte Folded Spill
.LBB338_770:                            ;   in Loop: Header=BB338_559 Depth=1
	s_or_b64 exec, exec, s[22:23]
	v_lshlrev_b32_e32 v8, 16, v13
	v_mul_f32_e32 v8, v41, v8
	v_and_b32_e32 v9, 0x7f800000, v8
	v_cmp_ne_u32_e64 s[4:5], s21, v9
                                        ; implicit-def: $vgpr9
                                        ; kill: killed $vgpr9
	;; [unrolled: 25-line block ×3, first 2 shown]
	s_and_saveexec_b64 s[22:23], s[4:5]
	s_xor_b64 s[4:5], exec, s[22:23]
	s_cbranch_execz .LBB338_776
; %bb.775:                              ;   in Loop: Header=BB338_559 Depth=1
	v_bfe_u32 v9, v8, 16, 1
	v_add3_u32 v8, v8, v9, s24
	scratch_store_dword off, v8, s32 offset:424 ; 4-byte Folded Spill
                                        ; implicit-def: $vgpr8
.LBB338_776:                            ;   in Loop: Header=BB338_559 Depth=1
	s_andn2_saveexec_b64 s[22:23], s[4:5]
	s_cbranch_execz .LBB338_778
; %bb.777:                              ;   in Loop: Header=BB338_559 Depth=1
	v_or_b32_e32 v9, 0x10000, v8
	v_cmp_eq_u32_sdwa s[4:5], v8, v37 src0_sel:WORD_0 src1_sel:DWORD
	s_nop 1
	v_cndmask_b32_e64 v8, v9, v8, s[4:5]
	scratch_store_dword off, v8, s32 offset:424 ; 4-byte Folded Spill
.LBB338_778:                            ;   in Loop: Header=BB338_559 Depth=1
	s_or_b64 exec, exec, s[22:23]
	v_lshlrev_b32_e32 v7, 16, v7
	v_mul_f32_e32 v7, v43, v7
	v_and_b32_e32 v8, 0x7f800000, v7
	v_cmp_ne_u32_e64 s[4:5], s21, v8
                                        ; implicit-def: $vgpr8
                                        ; kill: killed $vgpr8
	s_and_saveexec_b64 s[22:23], s[4:5]
	s_xor_b64 s[4:5], exec, s[22:23]
	s_cbranch_execz .LBB338_780
; %bb.779:                              ;   in Loop: Header=BB338_559 Depth=1
	v_bfe_u32 v8, v7, 16, 1
	v_add3_u32 v7, v7, v8, s24
	scratch_store_dword off, v7, s32 offset:428 ; 4-byte Folded Spill
                                        ; implicit-def: $vgpr7
.LBB338_780:                            ;   in Loop: Header=BB338_559 Depth=1
	s_andn2_saveexec_b64 s[22:23], s[4:5]
	s_cbranch_execz .LBB338_782
; %bb.781:                              ;   in Loop: Header=BB338_559 Depth=1
	v_or_b32_e32 v8, 0x10000, v7
	v_cmp_eq_u32_sdwa s[4:5], v7, v37 src0_sel:WORD_0 src1_sel:DWORD
	s_nop 1
	v_cndmask_b32_e64 v7, v8, v7, s[4:5]
	scratch_store_dword off, v7, s32 offset:428 ; 4-byte Folded Spill
.LBB338_782:                            ;   in Loop: Header=BB338_559 Depth=1
	s_or_b64 exec, exec, s[22:23]
	v_lshlrev_b32_e32 v6, 16, v6
	v_mul_f32_e32 v6, v44, v6
	v_and_b32_e32 v7, 0x7f800000, v6
	v_cmp_ne_u32_e64 s[4:5], s21, v7
                                        ; implicit-def: $vgpr7
                                        ; kill: killed $vgpr7
	s_and_saveexec_b64 s[22:23], s[4:5]
	s_xor_b64 s[4:5], exec, s[22:23]
	s_cbranch_execz .LBB338_784
; %bb.783:                              ;   in Loop: Header=BB338_559 Depth=1
	v_bfe_u32 v7, v6, 16, 1
	v_add3_u32 v6, v6, v7, s24
	scratch_store_dword off, v6, s32 offset:432 ; 4-byte Folded Spill
                                        ; implicit-def: $vgpr6
.LBB338_784:                            ;   in Loop: Header=BB338_559 Depth=1
	s_andn2_saveexec_b64 s[22:23], s[4:5]
	s_cbranch_execz .LBB338_786
; %bb.785:                              ;   in Loop: Header=BB338_559 Depth=1
	v_or_b32_e32 v7, 0x10000, v6
	v_cmp_eq_u32_sdwa s[4:5], v6, v37 src0_sel:WORD_0 src1_sel:DWORD
	s_nop 1
	v_cndmask_b32_e64 v6, v7, v6, s[4:5]
	scratch_store_dword off, v6, s32 offset:432 ; 4-byte Folded Spill
.LBB338_786:                            ;   in Loop: Header=BB338_559 Depth=1
	s_or_b64 exec, exec, s[22:23]
	v_lshlrev_b32_e32 v0, 16, v0
	v_mul_f32_e32 v0, v45, v0
	v_and_b32_e32 v6, 0x7f800000, v0
	v_cmp_ne_u32_e64 s[4:5], s21, v6
                                        ; implicit-def: $vgpr6
                                        ; kill: killed $vgpr6
	s_and_saveexec_b64 s[22:23], s[4:5]
	s_xor_b64 s[4:5], exec, s[22:23]
	s_cbranch_execz .LBB338_788
; %bb.787:                              ;   in Loop: Header=BB338_559 Depth=1
	v_bfe_u32 v6, v0, 16, 1
	v_add3_u32 v0, v0, v6, s24
	scratch_store_dword off, v0, s32 offset:436 ; 4-byte Folded Spill
                                        ; implicit-def: $vgpr0
.LBB338_788:                            ;   in Loop: Header=BB338_559 Depth=1
	s_andn2_saveexec_b64 s[22:23], s[4:5]
	s_cbranch_execz .LBB338_790
; %bb.789:                              ;   in Loop: Header=BB338_559 Depth=1
	v_or_b32_e32 v6, 0x10000, v0
	v_cmp_eq_u32_sdwa s[4:5], v0, v37 src0_sel:WORD_0 src1_sel:DWORD
	s_nop 1
	v_cndmask_b32_e64 v0, v6, v0, s[4:5]
	scratch_store_dword off, v0, s32 offset:436 ; 4-byte Folded Spill
.LBB338_790:                            ;   in Loop: Header=BB338_559 Depth=1
	s_or_b64 exec, exec, s[22:23]
	flat_load_dwordx2 v[6:7], v[4:5] offset:1536
	s_waitcnt vmcnt(0) lgkmcnt(0)
	v_and_b32_e32 v0, 0xff, v6
	v_cvt_f32_fp8_sdwa v0, v0 src0_sel:BYTE_0
	s_nop 0
	v_mul_f32_e32 v8, v1, v0
	v_and_b32_e32 v0, 0x7f800000, v8
	v_cmp_ne_u32_e64 s[4:5], s21, v0
                                        ; implicit-def: $vgpr0
	s_and_saveexec_b64 s[22:23], s[4:5]
	s_xor_b64 s[4:5], exec, s[22:23]
; %bb.791:                              ;   in Loop: Header=BB338_559 Depth=1
	v_bfe_u32 v0, v8, 16, 1
	v_add3_u32 v0, v8, v0, s24
                                        ; implicit-def: $vgpr8
; %bb.792:                              ;   in Loop: Header=BB338_559 Depth=1
	s_andn2_saveexec_b64 s[22:23], s[4:5]
; %bb.793:                              ;   in Loop: Header=BB338_559 Depth=1
	v_or_b32_e32 v0, 0x10000, v8
	v_cmp_eq_u32_sdwa s[4:5], v8, v37 src0_sel:WORD_0 src1_sel:DWORD
	s_nop 1
	v_cndmask_b32_e64 v0, v0, v8, s[4:5]
; %bb.794:                              ;   in Loop: Header=BB338_559 Depth=1
	s_or_b64 exec, exec, s[22:23]
	v_bfe_u32 v8, v6, 8, 8
	v_cvt_f32_fp8_sdwa v8, v8 src0_sel:BYTE_0
	s_nop 0
	v_mul_f32_e32 v9, v1, v8
	v_and_b32_e32 v8, 0x7f800000, v9
	v_cmp_ne_u32_e64 s[4:5], s21, v8
                                        ; implicit-def: $vgpr8
	s_and_saveexec_b64 s[22:23], s[4:5]
	s_xor_b64 s[4:5], exec, s[22:23]
; %bb.795:                              ;   in Loop: Header=BB338_559 Depth=1
	v_bfe_u32 v8, v9, 16, 1
	v_add3_u32 v8, v9, v8, s24
                                        ; implicit-def: $vgpr9
; %bb.796:                              ;   in Loop: Header=BB338_559 Depth=1
	s_andn2_saveexec_b64 s[22:23], s[4:5]
; %bb.797:                              ;   in Loop: Header=BB338_559 Depth=1
	v_or_b32_e32 v8, 0x10000, v9
	v_cmp_eq_u32_sdwa s[4:5], v9, v37 src0_sel:WORD_0 src1_sel:DWORD
	s_nop 1
	v_cndmask_b32_e64 v8, v8, v9, s[4:5]
; %bb.798:                              ;   in Loop: Header=BB338_559 Depth=1
	s_or_b64 exec, exec, s[22:23]
	v_bfe_u32 v9, v6, 16, 8
	v_cvt_f32_fp8_sdwa v9, v9 src0_sel:BYTE_0
	s_nop 0
	v_mul_f32_e32 v12, v1, v9
	v_and_b32_e32 v9, 0x7f800000, v12
	v_cmp_ne_u32_e64 s[4:5], s21, v9
                                        ; implicit-def: $vgpr9
	s_and_saveexec_b64 s[22:23], s[4:5]
	s_xor_b64 s[4:5], exec, s[22:23]
; %bb.799:                              ;   in Loop: Header=BB338_559 Depth=1
	v_bfe_u32 v9, v12, 16, 1
	v_add3_u32 v9, v12, v9, s24
                                        ; implicit-def: $vgpr12
; %bb.800:                              ;   in Loop: Header=BB338_559 Depth=1
	s_andn2_saveexec_b64 s[22:23], s[4:5]
; %bb.801:                              ;   in Loop: Header=BB338_559 Depth=1
	v_or_b32_e32 v9, 0x10000, v12
	v_cmp_eq_u32_sdwa s[4:5], v12, v37 src0_sel:WORD_0 src1_sel:DWORD
	s_nop 1
	v_cndmask_b32_e64 v9, v9, v12, s[4:5]
; %bb.802:                              ;   in Loop: Header=BB338_559 Depth=1
	s_or_b64 exec, exec, s[22:23]
	v_lshrrev_b32_e32 v6, 24, v6
	v_cvt_f32_fp8_sdwa v6, v6 src0_sel:BYTE_0
	s_nop 0
	v_mul_f32_e32 v12, v1, v6
	v_and_b32_e32 v6, 0x7f800000, v12
	v_cmp_ne_u32_e64 s[4:5], s21, v6
                                        ; implicit-def: $vgpr6
	s_and_saveexec_b64 s[22:23], s[4:5]
	s_xor_b64 s[4:5], exec, s[22:23]
; %bb.803:                              ;   in Loop: Header=BB338_559 Depth=1
	v_bfe_u32 v6, v12, 16, 1
	v_add3_u32 v6, v12, v6, s24
                                        ; implicit-def: $vgpr12
; %bb.804:                              ;   in Loop: Header=BB338_559 Depth=1
	s_andn2_saveexec_b64 s[22:23], s[4:5]
; %bb.805:                              ;   in Loop: Header=BB338_559 Depth=1
	v_or_b32_e32 v6, 0x10000, v12
	v_cmp_eq_u32_sdwa s[4:5], v12, v37 src0_sel:WORD_0 src1_sel:DWORD
	s_nop 1
	v_cndmask_b32_e64 v6, v6, v12, s[4:5]
; %bb.806:                              ;   in Loop: Header=BB338_559 Depth=1
	s_or_b64 exec, exec, s[22:23]
	v_and_b32_e32 v12, 0xff, v7
	v_cvt_f32_fp8_sdwa v12, v12 src0_sel:BYTE_0
	s_nop 0
	v_mul_f32_e32 v13, v1, v12
	v_and_b32_e32 v12, 0x7f800000, v13
	v_cmp_ne_u32_e64 s[4:5], s21, v12
                                        ; implicit-def: $vgpr12
	s_and_saveexec_b64 s[22:23], s[4:5]
	s_xor_b64 s[4:5], exec, s[22:23]
; %bb.807:                              ;   in Loop: Header=BB338_559 Depth=1
	v_bfe_u32 v12, v13, 16, 1
	v_add3_u32 v12, v13, v12, s24
                                        ; implicit-def: $vgpr13
; %bb.808:                              ;   in Loop: Header=BB338_559 Depth=1
	s_andn2_saveexec_b64 s[22:23], s[4:5]
; %bb.809:                              ;   in Loop: Header=BB338_559 Depth=1
	v_or_b32_e32 v12, 0x10000, v13
	v_cmp_eq_u32_sdwa s[4:5], v13, v37 src0_sel:WORD_0 src1_sel:DWORD
	s_nop 1
	v_cndmask_b32_e64 v12, v12, v13, s[4:5]
; %bb.810:                              ;   in Loop: Header=BB338_559 Depth=1
	s_or_b64 exec, exec, s[22:23]
	v_bfe_u32 v13, v7, 8, 8
	v_cvt_f32_fp8_sdwa v13, v13 src0_sel:BYTE_0
	s_nop 0
	v_mul_f32_e32 v14, v1, v13
	v_and_b32_e32 v13, 0x7f800000, v14
	v_cmp_ne_u32_e64 s[4:5], s21, v13
                                        ; implicit-def: $vgpr13
	s_and_saveexec_b64 s[22:23], s[4:5]
	s_xor_b64 s[4:5], exec, s[22:23]
; %bb.811:                              ;   in Loop: Header=BB338_559 Depth=1
	v_bfe_u32 v13, v14, 16, 1
	v_add3_u32 v13, v14, v13, s24
                                        ; implicit-def: $vgpr14
; %bb.812:                              ;   in Loop: Header=BB338_559 Depth=1
	s_andn2_saveexec_b64 s[22:23], s[4:5]
; %bb.813:                              ;   in Loop: Header=BB338_559 Depth=1
	v_or_b32_e32 v13, 0x10000, v14
	v_cmp_eq_u32_sdwa s[4:5], v14, v37 src0_sel:WORD_0 src1_sel:DWORD
	s_nop 1
	v_cndmask_b32_e64 v13, v13, v14, s[4:5]
; %bb.814:                              ;   in Loop: Header=BB338_559 Depth=1
	s_or_b64 exec, exec, s[22:23]
	v_bfe_u32 v14, v7, 16, 8
	v_cvt_f32_fp8_sdwa v14, v14 src0_sel:BYTE_0
	s_nop 0
	v_mul_f32_e32 v15, v1, v14
	v_and_b32_e32 v14, 0x7f800000, v15
	v_cmp_ne_u32_e64 s[4:5], s21, v14
                                        ; implicit-def: $vgpr14
	s_and_saveexec_b64 s[22:23], s[4:5]
	s_xor_b64 s[4:5], exec, s[22:23]
; %bb.815:                              ;   in Loop: Header=BB338_559 Depth=1
	v_bfe_u32 v14, v15, 16, 1
	v_add3_u32 v14, v15, v14, s24
                                        ; implicit-def: $vgpr15
; %bb.816:                              ;   in Loop: Header=BB338_559 Depth=1
	s_andn2_saveexec_b64 s[22:23], s[4:5]
; %bb.817:                              ;   in Loop: Header=BB338_559 Depth=1
	v_or_b32_e32 v14, 0x10000, v15
	v_cmp_eq_u32_sdwa s[4:5], v15, v37 src0_sel:WORD_0 src1_sel:DWORD
	s_nop 1
	v_cndmask_b32_e64 v14, v14, v15, s[4:5]
; %bb.818:                              ;   in Loop: Header=BB338_559 Depth=1
	s_or_b64 exec, exec, s[22:23]
	v_lshrrev_b32_e32 v7, 24, v7
	v_cvt_f32_fp8_sdwa v7, v7 src0_sel:BYTE_0
                                        ; implicit-def: $vgpr16
	s_nop 0
	v_mul_f32_e32 v7, v1, v7
	v_and_b32_e32 v15, 0x7f800000, v7
	v_cmp_ne_u32_e64 s[4:5], s21, v15
	s_and_saveexec_b64 s[22:23], s[4:5]
	s_xor_b64 s[4:5], exec, s[22:23]
; %bb.819:                              ;   in Loop: Header=BB338_559 Depth=1
	v_bfe_u32 v15, v7, 16, 1
	v_add3_u32 v16, v7, v15, s24
                                        ; implicit-def: $vgpr7
; %bb.820:                              ;   in Loop: Header=BB338_559 Depth=1
	s_andn2_saveexec_b64 s[22:23], s[4:5]
; %bb.821:                              ;   in Loop: Header=BB338_559 Depth=1
	v_or_b32_e32 v15, 0x10000, v7
	v_cmp_eq_u32_sdwa s[4:5], v7, v37 src0_sel:WORD_0 src1_sel:DWORD
	s_nop 1
	v_cndmask_b32_e64 v16, v15, v7, s[4:5]
; %bb.822:                              ;   in Loop: Header=BB338_559 Depth=1
	s_or_b64 exec, exec, s[22:23]
	v_lshrrev_b32_e32 v7, 16, v13
	v_lshrrev_b32_e32 v12, 16, v12
	;; [unrolled: 1-line block ×8, first 2 shown]
	s_and_saveexec_b64 s[22:23], vcc
	s_cbranch_execz .LBB338_824
; %bb.823:                              ;   in Loop: Header=BB338_559 Depth=1
	scratch_load_dword v14, off, s32 offset:188 ; 4-byte Folded Reload
	v_accvgpr_read_b32 v16, a2
	s_waitcnt vmcnt(0)
	v_cmp_lt_i32_e64 s[4:5], v38, v14
	s_nop 1
	v_cndmask_b32_e64 v15, 0, v15, s[4:5]
	v_cmp_lt_i32_e64 s[4:5], v16, v14
	v_mov_b32_e32 v16, v57
	s_nop 0
	v_cndmask_b32_e64 v8, 0, v8, s[4:5]
	v_cmp_lt_i32_e64 s[4:5], v16, v14
	v_accvgpr_read_b32 v16, a1
	s_nop 0
	v_cndmask_b32_e64 v9, 0, v9, s[4:5]
	v_cmp_lt_i32_e64 s[4:5], v16, v14
	v_accvgpr_read_b32 v16, a0
	;; [unrolled: 4-line block ×5, first 2 shown]
	s_nop 0
	v_cndmask_b32_e64 v6, 0, v6, s[4:5]
	v_cmp_lt_i32_e64 s[4:5], v16, v14
	s_nop 1
	v_cndmask_b32_e64 v0, 0, v0, s[4:5]
.LBB338_824:                            ;   in Loop: Header=BB338_559 Depth=1
	s_or_b64 exec, exec, s[22:23]
	v_lshlrev_b32_e32 v14, 16, v15
	v_mul_f32_e32 v14, v26, v14
	v_and_b32_e32 v15, 0x7f800000, v14
	v_cmp_ne_u32_e64 s[4:5], s21, v15
                                        ; implicit-def: $vgpr15
                                        ; kill: killed $vgpr15
	s_and_saveexec_b64 s[22:23], s[4:5]
	s_xor_b64 s[4:5], exec, s[22:23]
	s_cbranch_execz .LBB338_826
; %bb.825:                              ;   in Loop: Header=BB338_559 Depth=1
	v_bfe_u32 v15, v14, 16, 1
	v_add3_u32 v14, v14, v15, s24
	scratch_store_dword off, v14, s32 offset:440 ; 4-byte Folded Spill
                                        ; implicit-def: $vgpr14
.LBB338_826:                            ;   in Loop: Header=BB338_559 Depth=1
	s_andn2_saveexec_b64 s[22:23], s[4:5]
	s_cbranch_execz .LBB338_828
; %bb.827:                              ;   in Loop: Header=BB338_559 Depth=1
	v_or_b32_e32 v15, 0x10000, v14
	v_cmp_eq_u32_sdwa s[4:5], v14, v37 src0_sel:WORD_0 src1_sel:DWORD
	s_nop 1
	v_cndmask_b32_e64 v14, v15, v14, s[4:5]
	scratch_store_dword off, v14, s32 offset:440 ; 4-byte Folded Spill
.LBB338_828:                            ;   in Loop: Header=BB338_559 Depth=1
	s_or_b64 exec, exec, s[22:23]
	v_lshlrev_b32_e32 v8, 16, v8
	v_mul_f32_e32 v8, v27, v8
	v_and_b32_e32 v14, 0x7f800000, v8
	v_cmp_ne_u32_e64 s[4:5], s21, v14
                                        ; implicit-def: $vgpr14
                                        ; kill: killed $vgpr14
	s_and_saveexec_b64 s[22:23], s[4:5]
	s_xor_b64 s[4:5], exec, s[22:23]
	s_cbranch_execz .LBB338_830
; %bb.829:                              ;   in Loop: Header=BB338_559 Depth=1
	v_bfe_u32 v14, v8, 16, 1
	v_add3_u32 v8, v8, v14, s24
	scratch_store_dword off, v8, s32 offset:444 ; 4-byte Folded Spill
                                        ; implicit-def: $vgpr8
.LBB338_830:                            ;   in Loop: Header=BB338_559 Depth=1
	s_andn2_saveexec_b64 s[22:23], s[4:5]
	s_cbranch_execz .LBB338_832
; %bb.831:                              ;   in Loop: Header=BB338_559 Depth=1
	v_or_b32_e32 v14, 0x10000, v8
	v_cmp_eq_u32_sdwa s[4:5], v8, v37 src0_sel:WORD_0 src1_sel:DWORD
	s_nop 1
	v_cndmask_b32_e64 v8, v14, v8, s[4:5]
	scratch_store_dword off, v8, s32 offset:444 ; 4-byte Folded Spill
.LBB338_832:                            ;   in Loop: Header=BB338_559 Depth=1
	s_or_b64 exec, exec, s[22:23]
	v_lshlrev_b32_e32 v8, 16, v9
	v_mul_f32_e32 v8, v40, v8
	v_and_b32_e32 v9, 0x7f800000, v8
	v_cmp_ne_u32_e64 s[4:5], s21, v9
                                        ; implicit-def: $vgpr9
                                        ; kill: killed $vgpr9
	s_and_saveexec_b64 s[22:23], s[4:5]
	s_xor_b64 s[4:5], exec, s[22:23]
	s_cbranch_execz .LBB338_834
; %bb.833:                              ;   in Loop: Header=BB338_559 Depth=1
	v_bfe_u32 v9, v8, 16, 1
	v_add3_u32 v8, v8, v9, s24
	scratch_store_dword off, v8, s32 offset:448 ; 4-byte Folded Spill
                                        ; implicit-def: $vgpr8
.LBB338_834:                            ;   in Loop: Header=BB338_559 Depth=1
	s_andn2_saveexec_b64 s[22:23], s[4:5]
	s_cbranch_execz .LBB338_836
; %bb.835:                              ;   in Loop: Header=BB338_559 Depth=1
	v_or_b32_e32 v9, 0x10000, v8
	v_cmp_eq_u32_sdwa s[4:5], v8, v37 src0_sel:WORD_0 src1_sel:DWORD
	s_nop 1
	v_cndmask_b32_e64 v8, v9, v8, s[4:5]
	scratch_store_dword off, v8, s32 offset:448 ; 4-byte Folded Spill
.LBB338_836:                            ;   in Loop: Header=BB338_559 Depth=1
	s_or_b64 exec, exec, s[22:23]
	v_lshlrev_b32_e32 v8, 16, v13
	v_mul_f32_e32 v8, v41, v8
	v_and_b32_e32 v9, 0x7f800000, v8
	v_cmp_ne_u32_e64 s[4:5], s21, v9
                                        ; implicit-def: $vgpr9
                                        ; kill: killed $vgpr9
	s_and_saveexec_b64 s[22:23], s[4:5]
	s_xor_b64 s[4:5], exec, s[22:23]
	s_cbranch_execz .LBB338_838
; %bb.837:                              ;   in Loop: Header=BB338_559 Depth=1
	v_bfe_u32 v9, v8, 16, 1
	v_add3_u32 v8, v8, v9, s24
	scratch_store_dword off, v8, s32 offset:452 ; 4-byte Folded Spill
                                        ; implicit-def: $vgpr8
.LBB338_838:                            ;   in Loop: Header=BB338_559 Depth=1
	s_andn2_saveexec_b64 s[22:23], s[4:5]
	s_cbranch_execz .LBB338_840
; %bb.839:                              ;   in Loop: Header=BB338_559 Depth=1
	v_or_b32_e32 v9, 0x10000, v8
	v_cmp_eq_u32_sdwa s[4:5], v8, v37 src0_sel:WORD_0 src1_sel:DWORD
	s_nop 1
	v_cndmask_b32_e64 v8, v9, v8, s[4:5]
	scratch_store_dword off, v8, s32 offset:452 ; 4-byte Folded Spill
.LBB338_840:                            ;   in Loop: Header=BB338_559 Depth=1
	s_or_b64 exec, exec, s[22:23]
	v_lshlrev_b32_e32 v8, 16, v12
	v_mul_f32_e32 v8, v42, v8
	v_and_b32_e32 v9, 0x7f800000, v8
	v_cmp_ne_u32_e64 s[4:5], s21, v9
                                        ; implicit-def: $agpr53
	s_and_saveexec_b64 s[22:23], s[4:5]
	s_xor_b64 s[4:5], exec, s[22:23]
; %bb.841:                              ;   in Loop: Header=BB338_559 Depth=1
	v_bfe_u32 v9, v8, 16, 1
	v_add3_u32 v8, v8, v9, s24
	v_accvgpr_write_b32 a53, v8
                                        ; implicit-def: $vgpr8
; %bb.842:                              ;   in Loop: Header=BB338_559 Depth=1
	s_andn2_saveexec_b64 s[22:23], s[4:5]
; %bb.843:                              ;   in Loop: Header=BB338_559 Depth=1
	v_or_b32_e32 v9, 0x10000, v8
	v_cmp_eq_u32_sdwa s[4:5], v8, v37 src0_sel:WORD_0 src1_sel:DWORD
	s_nop 1
	v_cndmask_b32_e64 v8, v9, v8, s[4:5]
	v_accvgpr_write_b32 a53, v8
; %bb.844:                              ;   in Loop: Header=BB338_559 Depth=1
	s_or_b64 exec, exec, s[22:23]
	v_lshlrev_b32_e32 v7, 16, v7
	v_mul_f32_e32 v7, v43, v7
	v_and_b32_e32 v8, 0x7f800000, v7
	v_cmp_ne_u32_e64 s[4:5], s21, v8
                                        ; implicit-def: $agpr54
	s_and_saveexec_b64 s[22:23], s[4:5]
	s_xor_b64 s[4:5], exec, s[22:23]
; %bb.845:                              ;   in Loop: Header=BB338_559 Depth=1
	v_bfe_u32 v8, v7, 16, 1
	v_add3_u32 v7, v7, v8, s24
	v_accvgpr_write_b32 a54, v7
                                        ; implicit-def: $vgpr7
; %bb.846:                              ;   in Loop: Header=BB338_559 Depth=1
	s_andn2_saveexec_b64 s[22:23], s[4:5]
; %bb.847:                              ;   in Loop: Header=BB338_559 Depth=1
	v_or_b32_e32 v8, 0x10000, v7
	v_cmp_eq_u32_sdwa s[4:5], v7, v37 src0_sel:WORD_0 src1_sel:DWORD
	s_nop 1
	v_cndmask_b32_e64 v7, v8, v7, s[4:5]
	v_accvgpr_write_b32 a54, v7
; %bb.848:                              ;   in Loop: Header=BB338_559 Depth=1
	s_or_b64 exec, exec, s[22:23]
	v_lshlrev_b32_e32 v6, 16, v6
	v_mul_f32_e32 v6, v44, v6
	v_and_b32_e32 v7, 0x7f800000, v6
	v_cmp_ne_u32_e64 s[4:5], s21, v7
                                        ; implicit-def: $agpr55
	s_and_saveexec_b64 s[22:23], s[4:5]
	s_xor_b64 s[4:5], exec, s[22:23]
; %bb.849:                              ;   in Loop: Header=BB338_559 Depth=1
	v_bfe_u32 v7, v6, 16, 1
	v_add3_u32 v6, v6, v7, s24
	v_accvgpr_write_b32 a55, v6
                                        ; implicit-def: $vgpr6
; %bb.850:                              ;   in Loop: Header=BB338_559 Depth=1
	s_andn2_saveexec_b64 s[22:23], s[4:5]
; %bb.851:                              ;   in Loop: Header=BB338_559 Depth=1
	v_or_b32_e32 v7, 0x10000, v6
	v_cmp_eq_u32_sdwa s[4:5], v6, v37 src0_sel:WORD_0 src1_sel:DWORD
	s_nop 1
	v_cndmask_b32_e64 v6, v7, v6, s[4:5]
	v_accvgpr_write_b32 a55, v6
; %bb.852:                              ;   in Loop: Header=BB338_559 Depth=1
	s_or_b64 exec, exec, s[22:23]
	v_lshlrev_b32_e32 v0, 16, v0
	v_mul_f32_e32 v0, v45, v0
	v_and_b32_e32 v6, 0x7f800000, v0
	v_cmp_ne_u32_e64 s[4:5], s21, v6
                                        ; implicit-def: $agpr8
	s_and_saveexec_b64 s[22:23], s[4:5]
	s_xor_b64 s[4:5], exec, s[22:23]
; %bb.853:                              ;   in Loop: Header=BB338_559 Depth=1
	v_bfe_u32 v6, v0, 16, 1
	v_add3_u32 v0, v0, v6, s24
	v_accvgpr_write_b32 a8, v0
                                        ; implicit-def: $vgpr0
; %bb.854:                              ;   in Loop: Header=BB338_559 Depth=1
	s_andn2_saveexec_b64 s[22:23], s[4:5]
; %bb.855:                              ;   in Loop: Header=BB338_559 Depth=1
	v_or_b32_e32 v6, 0x10000, v0
	v_cmp_eq_u32_sdwa s[4:5], v0, v37 src0_sel:WORD_0 src1_sel:DWORD
	s_nop 1
	v_cndmask_b32_e64 v0, v6, v0, s[4:5]
	v_accvgpr_write_b32 a8, v0
; %bb.856:                              ;   in Loop: Header=BB338_559 Depth=1
	s_or_b64 exec, exec, s[22:23]
	flat_load_dwordx2 v[6:7], v[4:5] offset:2048
	s_waitcnt vmcnt(0) lgkmcnt(0)
	v_and_b32_e32 v0, 0xff, v6
	v_cvt_f32_fp8_sdwa v0, v0 src0_sel:BYTE_0
	s_nop 0
	v_mul_f32_e32 v8, v1, v0
	v_and_b32_e32 v0, 0x7f800000, v8
	v_cmp_ne_u32_e64 s[4:5], s21, v0
                                        ; implicit-def: $vgpr0
	s_and_saveexec_b64 s[22:23], s[4:5]
	s_xor_b64 s[4:5], exec, s[22:23]
; %bb.857:                              ;   in Loop: Header=BB338_559 Depth=1
	v_bfe_u32 v0, v8, 16, 1
	v_add3_u32 v0, v8, v0, s24
                                        ; implicit-def: $vgpr8
; %bb.858:                              ;   in Loop: Header=BB338_559 Depth=1
	s_andn2_saveexec_b64 s[22:23], s[4:5]
; %bb.859:                              ;   in Loop: Header=BB338_559 Depth=1
	v_or_b32_e32 v0, 0x10000, v8
	v_cmp_eq_u32_sdwa s[4:5], v8, v37 src0_sel:WORD_0 src1_sel:DWORD
	s_nop 1
	v_cndmask_b32_e64 v0, v0, v8, s[4:5]
; %bb.860:                              ;   in Loop: Header=BB338_559 Depth=1
	s_or_b64 exec, exec, s[22:23]
	v_bfe_u32 v8, v6, 8, 8
	v_cvt_f32_fp8_sdwa v8, v8 src0_sel:BYTE_0
	s_nop 0
	v_mul_f32_e32 v9, v1, v8
	v_and_b32_e32 v8, 0x7f800000, v9
	v_cmp_ne_u32_e64 s[4:5], s21, v8
                                        ; implicit-def: $vgpr8
	s_and_saveexec_b64 s[22:23], s[4:5]
	s_xor_b64 s[4:5], exec, s[22:23]
; %bb.861:                              ;   in Loop: Header=BB338_559 Depth=1
	v_bfe_u32 v8, v9, 16, 1
	v_add3_u32 v8, v9, v8, s24
                                        ; implicit-def: $vgpr9
; %bb.862:                              ;   in Loop: Header=BB338_559 Depth=1
	s_andn2_saveexec_b64 s[22:23], s[4:5]
; %bb.863:                              ;   in Loop: Header=BB338_559 Depth=1
	v_or_b32_e32 v8, 0x10000, v9
	v_cmp_eq_u32_sdwa s[4:5], v9, v37 src0_sel:WORD_0 src1_sel:DWORD
	s_nop 1
	v_cndmask_b32_e64 v8, v8, v9, s[4:5]
; %bb.864:                              ;   in Loop: Header=BB338_559 Depth=1
	s_or_b64 exec, exec, s[22:23]
	v_bfe_u32 v9, v6, 16, 8
	v_cvt_f32_fp8_sdwa v9, v9 src0_sel:BYTE_0
	s_nop 0
	v_mul_f32_e32 v12, v1, v9
	v_and_b32_e32 v9, 0x7f800000, v12
	v_cmp_ne_u32_e64 s[4:5], s21, v9
                                        ; implicit-def: $vgpr9
	s_and_saveexec_b64 s[22:23], s[4:5]
	s_xor_b64 s[4:5], exec, s[22:23]
; %bb.865:                              ;   in Loop: Header=BB338_559 Depth=1
	v_bfe_u32 v9, v12, 16, 1
	v_add3_u32 v9, v12, v9, s24
                                        ; implicit-def: $vgpr12
; %bb.866:                              ;   in Loop: Header=BB338_559 Depth=1
	s_andn2_saveexec_b64 s[22:23], s[4:5]
; %bb.867:                              ;   in Loop: Header=BB338_559 Depth=1
	v_or_b32_e32 v9, 0x10000, v12
	v_cmp_eq_u32_sdwa s[4:5], v12, v37 src0_sel:WORD_0 src1_sel:DWORD
	s_nop 1
	v_cndmask_b32_e64 v9, v9, v12, s[4:5]
; %bb.868:                              ;   in Loop: Header=BB338_559 Depth=1
	s_or_b64 exec, exec, s[22:23]
	v_lshrrev_b32_e32 v6, 24, v6
	v_cvt_f32_fp8_sdwa v6, v6 src0_sel:BYTE_0
	s_nop 0
	v_mul_f32_e32 v12, v1, v6
	v_and_b32_e32 v6, 0x7f800000, v12
	v_cmp_ne_u32_e64 s[4:5], s21, v6
                                        ; implicit-def: $vgpr6
	s_and_saveexec_b64 s[22:23], s[4:5]
	s_xor_b64 s[4:5], exec, s[22:23]
; %bb.869:                              ;   in Loop: Header=BB338_559 Depth=1
	v_bfe_u32 v6, v12, 16, 1
	v_add3_u32 v6, v12, v6, s24
                                        ; implicit-def: $vgpr12
; %bb.870:                              ;   in Loop: Header=BB338_559 Depth=1
	s_andn2_saveexec_b64 s[22:23], s[4:5]
; %bb.871:                              ;   in Loop: Header=BB338_559 Depth=1
	v_or_b32_e32 v6, 0x10000, v12
	v_cmp_eq_u32_sdwa s[4:5], v12, v37 src0_sel:WORD_0 src1_sel:DWORD
	s_nop 1
	v_cndmask_b32_e64 v6, v6, v12, s[4:5]
; %bb.872:                              ;   in Loop: Header=BB338_559 Depth=1
	s_or_b64 exec, exec, s[22:23]
	v_and_b32_e32 v12, 0xff, v7
	v_cvt_f32_fp8_sdwa v12, v12 src0_sel:BYTE_0
	s_nop 0
	v_mul_f32_e32 v13, v1, v12
	v_and_b32_e32 v12, 0x7f800000, v13
	v_cmp_ne_u32_e64 s[4:5], s21, v12
                                        ; implicit-def: $vgpr12
	s_and_saveexec_b64 s[22:23], s[4:5]
	s_xor_b64 s[4:5], exec, s[22:23]
; %bb.873:                              ;   in Loop: Header=BB338_559 Depth=1
	v_bfe_u32 v12, v13, 16, 1
	v_add3_u32 v12, v13, v12, s24
                                        ; implicit-def: $vgpr13
; %bb.874:                              ;   in Loop: Header=BB338_559 Depth=1
	s_andn2_saveexec_b64 s[22:23], s[4:5]
; %bb.875:                              ;   in Loop: Header=BB338_559 Depth=1
	v_or_b32_e32 v12, 0x10000, v13
	v_cmp_eq_u32_sdwa s[4:5], v13, v37 src0_sel:WORD_0 src1_sel:DWORD
	s_nop 1
	v_cndmask_b32_e64 v12, v12, v13, s[4:5]
; %bb.876:                              ;   in Loop: Header=BB338_559 Depth=1
	s_or_b64 exec, exec, s[22:23]
	v_bfe_u32 v13, v7, 8, 8
	v_cvt_f32_fp8_sdwa v13, v13 src0_sel:BYTE_0
	s_nop 0
	v_mul_f32_e32 v14, v1, v13
	v_and_b32_e32 v13, 0x7f800000, v14
	v_cmp_ne_u32_e64 s[4:5], s21, v13
                                        ; implicit-def: $vgpr13
	s_and_saveexec_b64 s[22:23], s[4:5]
	s_xor_b64 s[4:5], exec, s[22:23]
; %bb.877:                              ;   in Loop: Header=BB338_559 Depth=1
	v_bfe_u32 v13, v14, 16, 1
	v_add3_u32 v13, v14, v13, s24
                                        ; implicit-def: $vgpr14
; %bb.878:                              ;   in Loop: Header=BB338_559 Depth=1
	s_andn2_saveexec_b64 s[22:23], s[4:5]
; %bb.879:                              ;   in Loop: Header=BB338_559 Depth=1
	v_or_b32_e32 v13, 0x10000, v14
	v_cmp_eq_u32_sdwa s[4:5], v14, v37 src0_sel:WORD_0 src1_sel:DWORD
	s_nop 1
	v_cndmask_b32_e64 v13, v13, v14, s[4:5]
; %bb.880:                              ;   in Loop: Header=BB338_559 Depth=1
	s_or_b64 exec, exec, s[22:23]
	v_bfe_u32 v14, v7, 16, 8
	v_cvt_f32_fp8_sdwa v14, v14 src0_sel:BYTE_0
	s_nop 0
	v_mul_f32_e32 v15, v1, v14
	v_and_b32_e32 v14, 0x7f800000, v15
	v_cmp_ne_u32_e64 s[4:5], s21, v14
                                        ; implicit-def: $vgpr14
	s_and_saveexec_b64 s[22:23], s[4:5]
	s_xor_b64 s[4:5], exec, s[22:23]
; %bb.881:                              ;   in Loop: Header=BB338_559 Depth=1
	v_bfe_u32 v14, v15, 16, 1
	v_add3_u32 v14, v15, v14, s24
                                        ; implicit-def: $vgpr15
; %bb.882:                              ;   in Loop: Header=BB338_559 Depth=1
	s_andn2_saveexec_b64 s[22:23], s[4:5]
; %bb.883:                              ;   in Loop: Header=BB338_559 Depth=1
	v_or_b32_e32 v14, 0x10000, v15
	v_cmp_eq_u32_sdwa s[4:5], v15, v37 src0_sel:WORD_0 src1_sel:DWORD
	s_nop 1
	v_cndmask_b32_e64 v14, v14, v15, s[4:5]
; %bb.884:                              ;   in Loop: Header=BB338_559 Depth=1
	s_or_b64 exec, exec, s[22:23]
	v_lshrrev_b32_e32 v7, 24, v7
	v_cvt_f32_fp8_sdwa v7, v7 src0_sel:BYTE_0
                                        ; implicit-def: $vgpr16
	s_nop 0
	v_mul_f32_e32 v7, v1, v7
	v_and_b32_e32 v15, 0x7f800000, v7
	v_cmp_ne_u32_e64 s[4:5], s21, v15
	s_and_saveexec_b64 s[22:23], s[4:5]
	s_xor_b64 s[4:5], exec, s[22:23]
; %bb.885:                              ;   in Loop: Header=BB338_559 Depth=1
	v_bfe_u32 v15, v7, 16, 1
	v_add3_u32 v16, v7, v15, s24
                                        ; implicit-def: $vgpr7
; %bb.886:                              ;   in Loop: Header=BB338_559 Depth=1
	s_andn2_saveexec_b64 s[22:23], s[4:5]
; %bb.887:                              ;   in Loop: Header=BB338_559 Depth=1
	v_or_b32_e32 v15, 0x10000, v7
	v_cmp_eq_u32_sdwa s[4:5], v7, v37 src0_sel:WORD_0 src1_sel:DWORD
	s_nop 1
	v_cndmask_b32_e64 v16, v15, v7, s[4:5]
; %bb.888:                              ;   in Loop: Header=BB338_559 Depth=1
	s_or_b64 exec, exec, s[22:23]
	v_lshrrev_b32_e32 v7, 16, v13
	v_lshrrev_b32_e32 v12, 16, v12
	;; [unrolled: 1-line block ×8, first 2 shown]
	s_and_saveexec_b64 s[22:23], vcc
	s_cbranch_execz .LBB338_890
; %bb.889:                              ;   in Loop: Header=BB338_559 Depth=1
	scratch_load_dword v14, off, s32 offset:188 ; 4-byte Folded Reload
	v_accvgpr_read_b32 v16, a2
	s_waitcnt vmcnt(0)
	v_cmp_lt_i32_e64 s[4:5], v38, v14
	s_nop 1
	v_cndmask_b32_e64 v15, 0, v15, s[4:5]
	v_cmp_lt_i32_e64 s[4:5], v16, v14
	v_mov_b32_e32 v16, v57
	s_nop 0
	v_cndmask_b32_e64 v8, 0, v8, s[4:5]
	v_cmp_lt_i32_e64 s[4:5], v16, v14
	v_accvgpr_read_b32 v16, a1
	s_nop 0
	v_cndmask_b32_e64 v9, 0, v9, s[4:5]
	v_cmp_lt_i32_e64 s[4:5], v16, v14
	v_accvgpr_read_b32 v16, a0
	;; [unrolled: 4-line block ×5, first 2 shown]
	s_nop 0
	v_cndmask_b32_e64 v6, 0, v6, s[4:5]
	v_cmp_lt_i32_e64 s[4:5], v16, v14
	s_nop 1
	v_cndmask_b32_e64 v0, 0, v0, s[4:5]
.LBB338_890:                            ;   in Loop: Header=BB338_559 Depth=1
	s_or_b64 exec, exec, s[22:23]
	v_lshlrev_b32_e32 v14, 16, v15
	v_mul_f32_e32 v14, v26, v14
	v_and_b32_e32 v15, 0x7f800000, v14
	v_cmp_ne_u32_e64 s[4:5], s21, v15
                                        ; implicit-def: $agpr13
	s_and_saveexec_b64 s[22:23], s[4:5]
	s_xor_b64 s[4:5], exec, s[22:23]
; %bb.891:                              ;   in Loop: Header=BB338_559 Depth=1
	v_bfe_u32 v15, v14, 16, 1
	v_add3_u32 v14, v14, v15, s24
	v_accvgpr_write_b32 a13, v14
                                        ; implicit-def: $vgpr14
; %bb.892:                              ;   in Loop: Header=BB338_559 Depth=1
	s_andn2_saveexec_b64 s[22:23], s[4:5]
; %bb.893:                              ;   in Loop: Header=BB338_559 Depth=1
	v_or_b32_e32 v15, 0x10000, v14
	v_cmp_eq_u32_sdwa s[4:5], v14, v37 src0_sel:WORD_0 src1_sel:DWORD
	s_nop 1
	v_cndmask_b32_e64 v14, v15, v14, s[4:5]
	v_accvgpr_write_b32 a13, v14
; %bb.894:                              ;   in Loop: Header=BB338_559 Depth=1
	s_or_b64 exec, exec, s[22:23]
	v_lshlrev_b32_e32 v8, 16, v8
	v_mul_f32_e32 v8, v27, v8
	v_and_b32_e32 v14, 0x7f800000, v8
	v_cmp_ne_u32_e64 s[4:5], s21, v14
                                        ; implicit-def: $agpr6
	s_and_saveexec_b64 s[22:23], s[4:5]
	s_xor_b64 s[4:5], exec, s[22:23]
; %bb.895:                              ;   in Loop: Header=BB338_559 Depth=1
	v_bfe_u32 v14, v8, 16, 1
	v_add3_u32 v8, v8, v14, s24
	v_accvgpr_write_b32 a6, v8
                                        ; implicit-def: $vgpr8
; %bb.896:                              ;   in Loop: Header=BB338_559 Depth=1
	s_andn2_saveexec_b64 s[22:23], s[4:5]
; %bb.897:                              ;   in Loop: Header=BB338_559 Depth=1
	v_or_b32_e32 v14, 0x10000, v8
	v_cmp_eq_u32_sdwa s[4:5], v8, v37 src0_sel:WORD_0 src1_sel:DWORD
	s_nop 1
	v_cndmask_b32_e64 v8, v14, v8, s[4:5]
	v_accvgpr_write_b32 a6, v8
; %bb.898:                              ;   in Loop: Header=BB338_559 Depth=1
	s_or_b64 exec, exec, s[22:23]
	v_lshlrev_b32_e32 v8, 16, v9
	v_mul_f32_e32 v8, v40, v8
	v_and_b32_e32 v9, 0x7f800000, v8
	v_cmp_ne_u32_e64 s[4:5], s21, v9
                                        ; implicit-def: $agpr7
	s_and_saveexec_b64 s[22:23], s[4:5]
	s_xor_b64 s[4:5], exec, s[22:23]
; %bb.899:                              ;   in Loop: Header=BB338_559 Depth=1
	v_bfe_u32 v9, v8, 16, 1
	v_add3_u32 v8, v8, v9, s24
	v_accvgpr_write_b32 a7, v8
                                        ; implicit-def: $vgpr8
; %bb.900:                              ;   in Loop: Header=BB338_559 Depth=1
	s_andn2_saveexec_b64 s[22:23], s[4:5]
; %bb.901:                              ;   in Loop: Header=BB338_559 Depth=1
	v_or_b32_e32 v9, 0x10000, v8
	v_cmp_eq_u32_sdwa s[4:5], v8, v37 src0_sel:WORD_0 src1_sel:DWORD
	s_nop 1
	v_cndmask_b32_e64 v8, v9, v8, s[4:5]
	v_accvgpr_write_b32 a7, v8
; %bb.902:                              ;   in Loop: Header=BB338_559 Depth=1
	s_or_b64 exec, exec, s[22:23]
	v_lshlrev_b32_e32 v8, 16, v13
	v_mul_f32_e32 v8, v41, v8
	v_and_b32_e32 v9, 0x7f800000, v8
	v_cmp_ne_u32_e64 s[4:5], s21, v9
                                        ; implicit-def: $agpr9
	s_and_saveexec_b64 s[22:23], s[4:5]
	s_xor_b64 s[4:5], exec, s[22:23]
; %bb.903:                              ;   in Loop: Header=BB338_559 Depth=1
	v_bfe_u32 v9, v8, 16, 1
	v_add3_u32 v8, v8, v9, s24
	v_accvgpr_write_b32 a9, v8
                                        ; implicit-def: $vgpr8
; %bb.904:                              ;   in Loop: Header=BB338_559 Depth=1
	s_andn2_saveexec_b64 s[22:23], s[4:5]
; %bb.905:                              ;   in Loop: Header=BB338_559 Depth=1
	v_or_b32_e32 v9, 0x10000, v8
	v_cmp_eq_u32_sdwa s[4:5], v8, v37 src0_sel:WORD_0 src1_sel:DWORD
	s_nop 1
	v_cndmask_b32_e64 v8, v9, v8, s[4:5]
	v_accvgpr_write_b32 a9, v8
; %bb.906:                              ;   in Loop: Header=BB338_559 Depth=1
	s_or_b64 exec, exec, s[22:23]
	v_lshlrev_b32_e32 v8, 16, v12
	v_mul_f32_e32 v8, v42, v8
	v_and_b32_e32 v9, 0x7f800000, v8
	v_cmp_ne_u32_e64 s[4:5], s21, v9
                                        ; implicit-def: $agpr11
	s_and_saveexec_b64 s[22:23], s[4:5]
	s_xor_b64 s[4:5], exec, s[22:23]
; %bb.907:                              ;   in Loop: Header=BB338_559 Depth=1
	v_bfe_u32 v9, v8, 16, 1
	v_add3_u32 v8, v8, v9, s24
	v_accvgpr_write_b32 a11, v8
                                        ; implicit-def: $vgpr8
; %bb.908:                              ;   in Loop: Header=BB338_559 Depth=1
	s_andn2_saveexec_b64 s[22:23], s[4:5]
; %bb.909:                              ;   in Loop: Header=BB338_559 Depth=1
	v_or_b32_e32 v9, 0x10000, v8
	v_cmp_eq_u32_sdwa s[4:5], v8, v37 src0_sel:WORD_0 src1_sel:DWORD
	s_nop 1
	v_cndmask_b32_e64 v8, v9, v8, s[4:5]
	v_accvgpr_write_b32 a11, v8
; %bb.910:                              ;   in Loop: Header=BB338_559 Depth=1
	s_or_b64 exec, exec, s[22:23]
	v_lshlrev_b32_e32 v7, 16, v7
	v_mul_f32_e32 v7, v43, v7
	v_and_b32_e32 v8, 0x7f800000, v7
	v_cmp_ne_u32_e64 s[4:5], s21, v8
                                        ; implicit-def: $agpr28
	s_and_saveexec_b64 s[22:23], s[4:5]
	s_xor_b64 s[4:5], exec, s[22:23]
; %bb.911:                              ;   in Loop: Header=BB338_559 Depth=1
	v_bfe_u32 v8, v7, 16, 1
	v_add3_u32 v7, v7, v8, s24
	v_accvgpr_write_b32 a28, v7
                                        ; implicit-def: $vgpr7
; %bb.912:                              ;   in Loop: Header=BB338_559 Depth=1
	s_andn2_saveexec_b64 s[22:23], s[4:5]
; %bb.913:                              ;   in Loop: Header=BB338_559 Depth=1
	v_or_b32_e32 v8, 0x10000, v7
	v_cmp_eq_u32_sdwa s[4:5], v7, v37 src0_sel:WORD_0 src1_sel:DWORD
	s_nop 1
	v_cndmask_b32_e64 v7, v8, v7, s[4:5]
	v_accvgpr_write_b32 a28, v7
; %bb.914:                              ;   in Loop: Header=BB338_559 Depth=1
	s_or_b64 exec, exec, s[22:23]
	v_lshlrev_b32_e32 v6, 16, v6
	v_mul_f32_e32 v6, v44, v6
	v_and_b32_e32 v7, 0x7f800000, v6
	v_cmp_ne_u32_e64 s[4:5], s21, v7
                                        ; implicit-def: $agpr29
	s_and_saveexec_b64 s[22:23], s[4:5]
	s_xor_b64 s[4:5], exec, s[22:23]
; %bb.915:                              ;   in Loop: Header=BB338_559 Depth=1
	v_bfe_u32 v7, v6, 16, 1
	v_add3_u32 v6, v6, v7, s24
	v_accvgpr_write_b32 a29, v6
                                        ; implicit-def: $vgpr6
; %bb.916:                              ;   in Loop: Header=BB338_559 Depth=1
	s_andn2_saveexec_b64 s[22:23], s[4:5]
; %bb.917:                              ;   in Loop: Header=BB338_559 Depth=1
	v_or_b32_e32 v7, 0x10000, v6
	v_cmp_eq_u32_sdwa s[4:5], v6, v37 src0_sel:WORD_0 src1_sel:DWORD
	s_nop 1
	v_cndmask_b32_e64 v6, v7, v6, s[4:5]
	v_accvgpr_write_b32 a29, v6
; %bb.918:                              ;   in Loop: Header=BB338_559 Depth=1
	s_or_b64 exec, exec, s[22:23]
	v_lshlrev_b32_e32 v0, 16, v0
	v_mul_f32_e32 v0, v45, v0
	v_and_b32_e32 v6, 0x7f800000, v0
	v_cmp_ne_u32_e64 s[4:5], s21, v6
                                        ; implicit-def: $agpr56
	s_and_saveexec_b64 s[22:23], s[4:5]
	s_xor_b64 s[4:5], exec, s[22:23]
; %bb.919:                              ;   in Loop: Header=BB338_559 Depth=1
	v_bfe_u32 v6, v0, 16, 1
	v_add3_u32 v0, v0, v6, s24
	v_accvgpr_write_b32 a56, v0
                                        ; implicit-def: $vgpr0
; %bb.920:                              ;   in Loop: Header=BB338_559 Depth=1
	s_andn2_saveexec_b64 s[22:23], s[4:5]
; %bb.921:                              ;   in Loop: Header=BB338_559 Depth=1
	v_or_b32_e32 v6, 0x10000, v0
	v_cmp_eq_u32_sdwa s[4:5], v0, v37 src0_sel:WORD_0 src1_sel:DWORD
	s_nop 1
	v_cndmask_b32_e64 v0, v6, v0, s[4:5]
	v_accvgpr_write_b32 a56, v0
; %bb.922:                              ;   in Loop: Header=BB338_559 Depth=1
	s_or_b64 exec, exec, s[22:23]
	flat_load_dwordx2 v[6:7], v[4:5] offset:2560
	s_waitcnt vmcnt(0) lgkmcnt(0)
	v_and_b32_e32 v0, 0xff, v6
	v_cvt_f32_fp8_sdwa v0, v0 src0_sel:BYTE_0
	s_nop 0
	v_mul_f32_e32 v8, v1, v0
	v_and_b32_e32 v0, 0x7f800000, v8
	v_cmp_ne_u32_e64 s[4:5], s21, v0
                                        ; implicit-def: $vgpr0
	s_and_saveexec_b64 s[22:23], s[4:5]
	s_xor_b64 s[4:5], exec, s[22:23]
; %bb.923:                              ;   in Loop: Header=BB338_559 Depth=1
	v_bfe_u32 v0, v8, 16, 1
	v_add3_u32 v0, v8, v0, s24
                                        ; implicit-def: $vgpr8
; %bb.924:                              ;   in Loop: Header=BB338_559 Depth=1
	s_andn2_saveexec_b64 s[22:23], s[4:5]
; %bb.925:                              ;   in Loop: Header=BB338_559 Depth=1
	v_or_b32_e32 v0, 0x10000, v8
	v_cmp_eq_u32_sdwa s[4:5], v8, v37 src0_sel:WORD_0 src1_sel:DWORD
	s_nop 1
	v_cndmask_b32_e64 v0, v0, v8, s[4:5]
; %bb.926:                              ;   in Loop: Header=BB338_559 Depth=1
	s_or_b64 exec, exec, s[22:23]
	v_bfe_u32 v8, v6, 8, 8
	v_cvt_f32_fp8_sdwa v8, v8 src0_sel:BYTE_0
	s_nop 0
	v_mul_f32_e32 v9, v1, v8
	v_and_b32_e32 v8, 0x7f800000, v9
	v_cmp_ne_u32_e64 s[4:5], s21, v8
                                        ; implicit-def: $vgpr8
	s_and_saveexec_b64 s[22:23], s[4:5]
	s_xor_b64 s[4:5], exec, s[22:23]
; %bb.927:                              ;   in Loop: Header=BB338_559 Depth=1
	v_bfe_u32 v8, v9, 16, 1
	v_add3_u32 v8, v9, v8, s24
                                        ; implicit-def: $vgpr9
; %bb.928:                              ;   in Loop: Header=BB338_559 Depth=1
	s_andn2_saveexec_b64 s[22:23], s[4:5]
; %bb.929:                              ;   in Loop: Header=BB338_559 Depth=1
	v_or_b32_e32 v8, 0x10000, v9
	v_cmp_eq_u32_sdwa s[4:5], v9, v37 src0_sel:WORD_0 src1_sel:DWORD
	s_nop 1
	v_cndmask_b32_e64 v8, v8, v9, s[4:5]
; %bb.930:                              ;   in Loop: Header=BB338_559 Depth=1
	s_or_b64 exec, exec, s[22:23]
	v_bfe_u32 v9, v6, 16, 8
	v_cvt_f32_fp8_sdwa v9, v9 src0_sel:BYTE_0
	s_nop 0
	v_mul_f32_e32 v12, v1, v9
	v_and_b32_e32 v9, 0x7f800000, v12
	v_cmp_ne_u32_e64 s[4:5], s21, v9
                                        ; implicit-def: $vgpr9
	s_and_saveexec_b64 s[22:23], s[4:5]
	s_xor_b64 s[4:5], exec, s[22:23]
; %bb.931:                              ;   in Loop: Header=BB338_559 Depth=1
	v_bfe_u32 v9, v12, 16, 1
	v_add3_u32 v9, v12, v9, s24
                                        ; implicit-def: $vgpr12
; %bb.932:                              ;   in Loop: Header=BB338_559 Depth=1
	s_andn2_saveexec_b64 s[22:23], s[4:5]
; %bb.933:                              ;   in Loop: Header=BB338_559 Depth=1
	v_or_b32_e32 v9, 0x10000, v12
	v_cmp_eq_u32_sdwa s[4:5], v12, v37 src0_sel:WORD_0 src1_sel:DWORD
	s_nop 1
	v_cndmask_b32_e64 v9, v9, v12, s[4:5]
; %bb.934:                              ;   in Loop: Header=BB338_559 Depth=1
	s_or_b64 exec, exec, s[22:23]
	v_lshrrev_b32_e32 v6, 24, v6
	v_cvt_f32_fp8_sdwa v6, v6 src0_sel:BYTE_0
	s_nop 0
	v_mul_f32_e32 v12, v1, v6
	v_and_b32_e32 v6, 0x7f800000, v12
	v_cmp_ne_u32_e64 s[4:5], s21, v6
                                        ; implicit-def: $vgpr6
	s_and_saveexec_b64 s[22:23], s[4:5]
	s_xor_b64 s[4:5], exec, s[22:23]
; %bb.935:                              ;   in Loop: Header=BB338_559 Depth=1
	v_bfe_u32 v6, v12, 16, 1
	v_add3_u32 v6, v12, v6, s24
                                        ; implicit-def: $vgpr12
; %bb.936:                              ;   in Loop: Header=BB338_559 Depth=1
	s_andn2_saveexec_b64 s[22:23], s[4:5]
; %bb.937:                              ;   in Loop: Header=BB338_559 Depth=1
	v_or_b32_e32 v6, 0x10000, v12
	v_cmp_eq_u32_sdwa s[4:5], v12, v37 src0_sel:WORD_0 src1_sel:DWORD
	s_nop 1
	v_cndmask_b32_e64 v6, v6, v12, s[4:5]
; %bb.938:                              ;   in Loop: Header=BB338_559 Depth=1
	s_or_b64 exec, exec, s[22:23]
	v_and_b32_e32 v12, 0xff, v7
	v_cvt_f32_fp8_sdwa v12, v12 src0_sel:BYTE_0
	s_nop 0
	v_mul_f32_e32 v13, v1, v12
	v_and_b32_e32 v12, 0x7f800000, v13
	v_cmp_ne_u32_e64 s[4:5], s21, v12
                                        ; implicit-def: $vgpr12
	s_and_saveexec_b64 s[22:23], s[4:5]
	s_xor_b64 s[4:5], exec, s[22:23]
; %bb.939:                              ;   in Loop: Header=BB338_559 Depth=1
	v_bfe_u32 v12, v13, 16, 1
	v_add3_u32 v12, v13, v12, s24
                                        ; implicit-def: $vgpr13
; %bb.940:                              ;   in Loop: Header=BB338_559 Depth=1
	s_andn2_saveexec_b64 s[22:23], s[4:5]
; %bb.941:                              ;   in Loop: Header=BB338_559 Depth=1
	v_or_b32_e32 v12, 0x10000, v13
	v_cmp_eq_u32_sdwa s[4:5], v13, v37 src0_sel:WORD_0 src1_sel:DWORD
	s_nop 1
	v_cndmask_b32_e64 v12, v12, v13, s[4:5]
; %bb.942:                              ;   in Loop: Header=BB338_559 Depth=1
	s_or_b64 exec, exec, s[22:23]
	v_bfe_u32 v13, v7, 8, 8
	v_cvt_f32_fp8_sdwa v13, v13 src0_sel:BYTE_0
	s_nop 0
	v_mul_f32_e32 v14, v1, v13
	v_and_b32_e32 v13, 0x7f800000, v14
	v_cmp_ne_u32_e64 s[4:5], s21, v13
                                        ; implicit-def: $vgpr13
	s_and_saveexec_b64 s[22:23], s[4:5]
	s_xor_b64 s[4:5], exec, s[22:23]
; %bb.943:                              ;   in Loop: Header=BB338_559 Depth=1
	v_bfe_u32 v13, v14, 16, 1
	v_add3_u32 v13, v14, v13, s24
                                        ; implicit-def: $vgpr14
; %bb.944:                              ;   in Loop: Header=BB338_559 Depth=1
	s_andn2_saveexec_b64 s[22:23], s[4:5]
; %bb.945:                              ;   in Loop: Header=BB338_559 Depth=1
	v_or_b32_e32 v13, 0x10000, v14
	v_cmp_eq_u32_sdwa s[4:5], v14, v37 src0_sel:WORD_0 src1_sel:DWORD
	s_nop 1
	v_cndmask_b32_e64 v13, v13, v14, s[4:5]
; %bb.946:                              ;   in Loop: Header=BB338_559 Depth=1
	s_or_b64 exec, exec, s[22:23]
	v_bfe_u32 v14, v7, 16, 8
	v_cvt_f32_fp8_sdwa v14, v14 src0_sel:BYTE_0
	s_nop 0
	v_mul_f32_e32 v15, v1, v14
	v_and_b32_e32 v14, 0x7f800000, v15
	v_cmp_ne_u32_e64 s[4:5], s21, v14
                                        ; implicit-def: $vgpr14
	s_and_saveexec_b64 s[22:23], s[4:5]
	s_xor_b64 s[4:5], exec, s[22:23]
; %bb.947:                              ;   in Loop: Header=BB338_559 Depth=1
	v_bfe_u32 v14, v15, 16, 1
	v_add3_u32 v14, v15, v14, s24
                                        ; implicit-def: $vgpr15
; %bb.948:                              ;   in Loop: Header=BB338_559 Depth=1
	s_andn2_saveexec_b64 s[22:23], s[4:5]
; %bb.949:                              ;   in Loop: Header=BB338_559 Depth=1
	v_or_b32_e32 v14, 0x10000, v15
	v_cmp_eq_u32_sdwa s[4:5], v15, v37 src0_sel:WORD_0 src1_sel:DWORD
	s_nop 1
	v_cndmask_b32_e64 v14, v14, v15, s[4:5]
; %bb.950:                              ;   in Loop: Header=BB338_559 Depth=1
	s_or_b64 exec, exec, s[22:23]
	v_lshrrev_b32_e32 v7, 24, v7
	v_cvt_f32_fp8_sdwa v7, v7 src0_sel:BYTE_0
                                        ; implicit-def: $vgpr16
	s_nop 0
	v_mul_f32_e32 v7, v1, v7
	v_and_b32_e32 v15, 0x7f800000, v7
	v_cmp_ne_u32_e64 s[4:5], s21, v15
	s_and_saveexec_b64 s[22:23], s[4:5]
	s_xor_b64 s[4:5], exec, s[22:23]
; %bb.951:                              ;   in Loop: Header=BB338_559 Depth=1
	v_bfe_u32 v15, v7, 16, 1
	v_add3_u32 v16, v7, v15, s24
                                        ; implicit-def: $vgpr7
; %bb.952:                              ;   in Loop: Header=BB338_559 Depth=1
	s_andn2_saveexec_b64 s[22:23], s[4:5]
; %bb.953:                              ;   in Loop: Header=BB338_559 Depth=1
	v_or_b32_e32 v15, 0x10000, v7
	v_cmp_eq_u32_sdwa s[4:5], v7, v37 src0_sel:WORD_0 src1_sel:DWORD
	s_nop 1
	v_cndmask_b32_e64 v16, v15, v7, s[4:5]
; %bb.954:                              ;   in Loop: Header=BB338_559 Depth=1
	s_or_b64 exec, exec, s[22:23]
	v_lshrrev_b32_e32 v7, 16, v13
	v_lshrrev_b32_e32 v12, 16, v12
	;; [unrolled: 1-line block ×8, first 2 shown]
	s_and_saveexec_b64 s[22:23], vcc
	s_cbranch_execz .LBB338_956
; %bb.955:                              ;   in Loop: Header=BB338_559 Depth=1
	scratch_load_dword v14, off, s32 offset:188 ; 4-byte Folded Reload
	v_accvgpr_read_b32 v16, a2
	s_waitcnt vmcnt(0)
	v_cmp_lt_i32_e64 s[4:5], v38, v14
	s_nop 1
	v_cndmask_b32_e64 v15, 0, v15, s[4:5]
	v_cmp_lt_i32_e64 s[4:5], v16, v14
	v_mov_b32_e32 v16, v57
	s_nop 0
	v_cndmask_b32_e64 v8, 0, v8, s[4:5]
	v_cmp_lt_i32_e64 s[4:5], v16, v14
	v_accvgpr_read_b32 v16, a1
	s_nop 0
	v_cndmask_b32_e64 v9, 0, v9, s[4:5]
	v_cmp_lt_i32_e64 s[4:5], v16, v14
	v_accvgpr_read_b32 v16, a0
	;; [unrolled: 4-line block ×5, first 2 shown]
	s_nop 0
	v_cndmask_b32_e64 v6, 0, v6, s[4:5]
	v_cmp_lt_i32_e64 s[4:5], v16, v14
	s_nop 1
	v_cndmask_b32_e64 v0, 0, v0, s[4:5]
.LBB338_956:                            ;   in Loop: Header=BB338_559 Depth=1
	s_or_b64 exec, exec, s[22:23]
	v_lshlrev_b32_e32 v14, 16, v15
	v_mul_f32_e32 v14, v26, v14
	v_and_b32_e32 v15, 0x7f800000, v14
	v_cmp_ne_u32_e64 s[4:5], s21, v15
                                        ; implicit-def: $agpr20
	s_and_saveexec_b64 s[22:23], s[4:5]
	s_xor_b64 s[4:5], exec, s[22:23]
; %bb.957:                              ;   in Loop: Header=BB338_559 Depth=1
	v_bfe_u32 v15, v14, 16, 1
	v_add3_u32 v14, v14, v15, s24
	v_accvgpr_write_b32 a20, v14
                                        ; implicit-def: $vgpr14
; %bb.958:                              ;   in Loop: Header=BB338_559 Depth=1
	s_andn2_saveexec_b64 s[22:23], s[4:5]
; %bb.959:                              ;   in Loop: Header=BB338_559 Depth=1
	v_or_b32_e32 v15, 0x10000, v14
	v_cmp_eq_u32_sdwa s[4:5], v14, v37 src0_sel:WORD_0 src1_sel:DWORD
	s_nop 1
	v_cndmask_b32_e64 v14, v15, v14, s[4:5]
	v_accvgpr_write_b32 a20, v14
; %bb.960:                              ;   in Loop: Header=BB338_559 Depth=1
	s_or_b64 exec, exec, s[22:23]
	v_lshlrev_b32_e32 v8, 16, v8
	v_mul_f32_e32 v8, v27, v8
	v_and_b32_e32 v14, 0x7f800000, v8
	v_cmp_ne_u32_e64 s[4:5], s21, v14
                                        ; implicit-def: $agpr21
	s_and_saveexec_b64 s[22:23], s[4:5]
	s_xor_b64 s[4:5], exec, s[22:23]
; %bb.961:                              ;   in Loop: Header=BB338_559 Depth=1
	v_bfe_u32 v14, v8, 16, 1
	v_add3_u32 v8, v8, v14, s24
	v_accvgpr_write_b32 a21, v8
                                        ; implicit-def: $vgpr8
; %bb.962:                              ;   in Loop: Header=BB338_559 Depth=1
	s_andn2_saveexec_b64 s[22:23], s[4:5]
; %bb.963:                              ;   in Loop: Header=BB338_559 Depth=1
	v_or_b32_e32 v14, 0x10000, v8
	v_cmp_eq_u32_sdwa s[4:5], v8, v37 src0_sel:WORD_0 src1_sel:DWORD
	s_nop 1
	v_cndmask_b32_e64 v8, v14, v8, s[4:5]
	v_accvgpr_write_b32 a21, v8
; %bb.964:                              ;   in Loop: Header=BB338_559 Depth=1
	s_or_b64 exec, exec, s[22:23]
	v_lshlrev_b32_e32 v8, 16, v9
	v_mul_f32_e32 v8, v40, v8
	v_and_b32_e32 v9, 0x7f800000, v8
	v_cmp_ne_u32_e64 s[4:5], s21, v9
                                        ; implicit-def: $agpr22
	s_and_saveexec_b64 s[22:23], s[4:5]
	s_xor_b64 s[4:5], exec, s[22:23]
; %bb.965:                              ;   in Loop: Header=BB338_559 Depth=1
	v_bfe_u32 v9, v8, 16, 1
	v_add3_u32 v8, v8, v9, s24
	v_accvgpr_write_b32 a22, v8
                                        ; implicit-def: $vgpr8
; %bb.966:                              ;   in Loop: Header=BB338_559 Depth=1
	s_andn2_saveexec_b64 s[22:23], s[4:5]
; %bb.967:                              ;   in Loop: Header=BB338_559 Depth=1
	v_or_b32_e32 v9, 0x10000, v8
	v_cmp_eq_u32_sdwa s[4:5], v8, v37 src0_sel:WORD_0 src1_sel:DWORD
	s_nop 1
	v_cndmask_b32_e64 v8, v9, v8, s[4:5]
	v_accvgpr_write_b32 a22, v8
; %bb.968:                              ;   in Loop: Header=BB338_559 Depth=1
	s_or_b64 exec, exec, s[22:23]
	v_lshlrev_b32_e32 v8, 16, v13
	v_mul_f32_e32 v8, v41, v8
	v_and_b32_e32 v9, 0x7f800000, v8
	v_cmp_ne_u32_e64 s[4:5], s21, v9
                                        ; implicit-def: $agpr23
	s_and_saveexec_b64 s[22:23], s[4:5]
	s_xor_b64 s[4:5], exec, s[22:23]
; %bb.969:                              ;   in Loop: Header=BB338_559 Depth=1
	v_bfe_u32 v9, v8, 16, 1
	v_add3_u32 v8, v8, v9, s24
	v_accvgpr_write_b32 a23, v8
                                        ; implicit-def: $vgpr8
; %bb.970:                              ;   in Loop: Header=BB338_559 Depth=1
	s_andn2_saveexec_b64 s[22:23], s[4:5]
; %bb.971:                              ;   in Loop: Header=BB338_559 Depth=1
	v_or_b32_e32 v9, 0x10000, v8
	v_cmp_eq_u32_sdwa s[4:5], v8, v37 src0_sel:WORD_0 src1_sel:DWORD
	s_nop 1
	v_cndmask_b32_e64 v8, v9, v8, s[4:5]
	v_accvgpr_write_b32 a23, v8
; %bb.972:                              ;   in Loop: Header=BB338_559 Depth=1
	s_or_b64 exec, exec, s[22:23]
	v_lshlrev_b32_e32 v8, 16, v12
	v_mul_f32_e32 v8, v42, v8
	v_and_b32_e32 v9, 0x7f800000, v8
	v_cmp_ne_u32_e64 s[4:5], s21, v9
                                        ; implicit-def: $agpr32
	s_and_saveexec_b64 s[22:23], s[4:5]
	s_xor_b64 s[4:5], exec, s[22:23]
; %bb.973:                              ;   in Loop: Header=BB338_559 Depth=1
	v_bfe_u32 v9, v8, 16, 1
	v_add3_u32 v8, v8, v9, s24
	v_accvgpr_write_b32 a32, v8
                                        ; implicit-def: $vgpr8
; %bb.974:                              ;   in Loop: Header=BB338_559 Depth=1
	s_andn2_saveexec_b64 s[22:23], s[4:5]
; %bb.975:                              ;   in Loop: Header=BB338_559 Depth=1
	v_or_b32_e32 v9, 0x10000, v8
	v_cmp_eq_u32_sdwa s[4:5], v8, v37 src0_sel:WORD_0 src1_sel:DWORD
	s_nop 1
	v_cndmask_b32_e64 v8, v9, v8, s[4:5]
	v_accvgpr_write_b32 a32, v8
; %bb.976:                              ;   in Loop: Header=BB338_559 Depth=1
	s_or_b64 exec, exec, s[22:23]
	v_lshlrev_b32_e32 v7, 16, v7
	v_mul_f32_e32 v7, v43, v7
	v_and_b32_e32 v8, 0x7f800000, v7
	v_cmp_ne_u32_e64 s[4:5], s21, v8
                                        ; implicit-def: $agpr33
	s_and_saveexec_b64 s[22:23], s[4:5]
	s_xor_b64 s[4:5], exec, s[22:23]
; %bb.977:                              ;   in Loop: Header=BB338_559 Depth=1
	v_bfe_u32 v8, v7, 16, 1
	v_add3_u32 v7, v7, v8, s24
	v_accvgpr_write_b32 a33, v7
                                        ; implicit-def: $vgpr7
; %bb.978:                              ;   in Loop: Header=BB338_559 Depth=1
	s_andn2_saveexec_b64 s[22:23], s[4:5]
; %bb.979:                              ;   in Loop: Header=BB338_559 Depth=1
	v_or_b32_e32 v8, 0x10000, v7
	v_cmp_eq_u32_sdwa s[4:5], v7, v37 src0_sel:WORD_0 src1_sel:DWORD
	s_nop 1
	v_cndmask_b32_e64 v7, v8, v7, s[4:5]
	v_accvgpr_write_b32 a33, v7
; %bb.980:                              ;   in Loop: Header=BB338_559 Depth=1
	s_or_b64 exec, exec, s[22:23]
	v_lshlrev_b32_e32 v6, 16, v6
	v_mul_f32_e32 v6, v44, v6
	v_and_b32_e32 v7, 0x7f800000, v6
	v_cmp_ne_u32_e64 s[4:5], s21, v7
                                        ; implicit-def: $agpr24
	s_and_saveexec_b64 s[22:23], s[4:5]
	s_xor_b64 s[4:5], exec, s[22:23]
; %bb.981:                              ;   in Loop: Header=BB338_559 Depth=1
	v_bfe_u32 v7, v6, 16, 1
	v_add3_u32 v6, v6, v7, s24
	v_accvgpr_write_b32 a24, v6
                                        ; implicit-def: $vgpr6
; %bb.982:                              ;   in Loop: Header=BB338_559 Depth=1
	s_andn2_saveexec_b64 s[22:23], s[4:5]
; %bb.983:                              ;   in Loop: Header=BB338_559 Depth=1
	v_or_b32_e32 v7, 0x10000, v6
	v_cmp_eq_u32_sdwa s[4:5], v6, v37 src0_sel:WORD_0 src1_sel:DWORD
	s_nop 1
	v_cndmask_b32_e64 v6, v7, v6, s[4:5]
	v_accvgpr_write_b32 a24, v6
; %bb.984:                              ;   in Loop: Header=BB338_559 Depth=1
	s_or_b64 exec, exec, s[22:23]
	v_lshlrev_b32_e32 v0, 16, v0
	v_mul_f32_e32 v0, v45, v0
	v_and_b32_e32 v6, 0x7f800000, v0
	v_cmp_ne_u32_e64 s[4:5], s21, v6
                                        ; implicit-def: $agpr25
	s_and_saveexec_b64 s[22:23], s[4:5]
	s_xor_b64 s[4:5], exec, s[22:23]
; %bb.985:                              ;   in Loop: Header=BB338_559 Depth=1
	v_bfe_u32 v6, v0, 16, 1
	v_add3_u32 v0, v0, v6, s24
	v_accvgpr_write_b32 a25, v0
                                        ; implicit-def: $vgpr0
; %bb.986:                              ;   in Loop: Header=BB338_559 Depth=1
	s_andn2_saveexec_b64 s[22:23], s[4:5]
; %bb.987:                              ;   in Loop: Header=BB338_559 Depth=1
	v_or_b32_e32 v6, 0x10000, v0
	v_cmp_eq_u32_sdwa s[4:5], v0, v37 src0_sel:WORD_0 src1_sel:DWORD
	s_nop 1
	v_cndmask_b32_e64 v0, v6, v0, s[4:5]
	v_accvgpr_write_b32 a25, v0
; %bb.988:                              ;   in Loop: Header=BB338_559 Depth=1
	s_or_b64 exec, exec, s[22:23]
	flat_load_dwordx2 v[6:7], v[4:5] offset:3072
	s_waitcnt vmcnt(0) lgkmcnt(0)
	v_and_b32_e32 v0, 0xff, v6
	v_cvt_f32_fp8_sdwa v0, v0 src0_sel:BYTE_0
	s_nop 0
	v_mul_f32_e32 v8, v1, v0
	v_and_b32_e32 v0, 0x7f800000, v8
	v_cmp_ne_u32_e64 s[4:5], s21, v0
                                        ; implicit-def: $vgpr0
	s_and_saveexec_b64 s[22:23], s[4:5]
	s_xor_b64 s[4:5], exec, s[22:23]
; %bb.989:                              ;   in Loop: Header=BB338_559 Depth=1
	v_bfe_u32 v0, v8, 16, 1
	v_add3_u32 v0, v8, v0, s24
                                        ; implicit-def: $vgpr8
; %bb.990:                              ;   in Loop: Header=BB338_559 Depth=1
	s_andn2_saveexec_b64 s[22:23], s[4:5]
; %bb.991:                              ;   in Loop: Header=BB338_559 Depth=1
	v_or_b32_e32 v0, 0x10000, v8
	v_cmp_eq_u32_sdwa s[4:5], v8, v37 src0_sel:WORD_0 src1_sel:DWORD
	s_nop 1
	v_cndmask_b32_e64 v0, v0, v8, s[4:5]
; %bb.992:                              ;   in Loop: Header=BB338_559 Depth=1
	s_or_b64 exec, exec, s[22:23]
	v_bfe_u32 v8, v6, 8, 8
	v_cvt_f32_fp8_sdwa v8, v8 src0_sel:BYTE_0
	s_nop 0
	v_mul_f32_e32 v9, v1, v8
	v_and_b32_e32 v8, 0x7f800000, v9
	v_cmp_ne_u32_e64 s[4:5], s21, v8
                                        ; implicit-def: $vgpr8
	s_and_saveexec_b64 s[22:23], s[4:5]
	s_xor_b64 s[4:5], exec, s[22:23]
; %bb.993:                              ;   in Loop: Header=BB338_559 Depth=1
	v_bfe_u32 v8, v9, 16, 1
	v_add3_u32 v8, v9, v8, s24
                                        ; implicit-def: $vgpr9
; %bb.994:                              ;   in Loop: Header=BB338_559 Depth=1
	s_andn2_saveexec_b64 s[22:23], s[4:5]
; %bb.995:                              ;   in Loop: Header=BB338_559 Depth=1
	v_or_b32_e32 v8, 0x10000, v9
	v_cmp_eq_u32_sdwa s[4:5], v9, v37 src0_sel:WORD_0 src1_sel:DWORD
	s_nop 1
	v_cndmask_b32_e64 v8, v8, v9, s[4:5]
; %bb.996:                              ;   in Loop: Header=BB338_559 Depth=1
	s_or_b64 exec, exec, s[22:23]
	v_bfe_u32 v9, v6, 16, 8
	v_cvt_f32_fp8_sdwa v9, v9 src0_sel:BYTE_0
	s_nop 0
	v_mul_f32_e32 v12, v1, v9
	v_and_b32_e32 v9, 0x7f800000, v12
	v_cmp_ne_u32_e64 s[4:5], s21, v9
                                        ; implicit-def: $vgpr9
	s_and_saveexec_b64 s[22:23], s[4:5]
	s_xor_b64 s[4:5], exec, s[22:23]
; %bb.997:                              ;   in Loop: Header=BB338_559 Depth=1
	v_bfe_u32 v9, v12, 16, 1
	v_add3_u32 v9, v12, v9, s24
                                        ; implicit-def: $vgpr12
; %bb.998:                              ;   in Loop: Header=BB338_559 Depth=1
	s_andn2_saveexec_b64 s[22:23], s[4:5]
; %bb.999:                              ;   in Loop: Header=BB338_559 Depth=1
	v_or_b32_e32 v9, 0x10000, v12
	v_cmp_eq_u32_sdwa s[4:5], v12, v37 src0_sel:WORD_0 src1_sel:DWORD
	s_nop 1
	v_cndmask_b32_e64 v9, v9, v12, s[4:5]
; %bb.1000:                             ;   in Loop: Header=BB338_559 Depth=1
	s_or_b64 exec, exec, s[22:23]
	v_lshrrev_b32_e32 v6, 24, v6
	v_cvt_f32_fp8_sdwa v6, v6 src0_sel:BYTE_0
	s_nop 0
	v_mul_f32_e32 v12, v1, v6
	v_and_b32_e32 v6, 0x7f800000, v12
	v_cmp_ne_u32_e64 s[4:5], s21, v6
                                        ; implicit-def: $vgpr6
	s_and_saveexec_b64 s[22:23], s[4:5]
	s_xor_b64 s[4:5], exec, s[22:23]
; %bb.1001:                             ;   in Loop: Header=BB338_559 Depth=1
	v_bfe_u32 v6, v12, 16, 1
	v_add3_u32 v6, v12, v6, s24
                                        ; implicit-def: $vgpr12
; %bb.1002:                             ;   in Loop: Header=BB338_559 Depth=1
	s_andn2_saveexec_b64 s[22:23], s[4:5]
; %bb.1003:                             ;   in Loop: Header=BB338_559 Depth=1
	v_or_b32_e32 v6, 0x10000, v12
	v_cmp_eq_u32_sdwa s[4:5], v12, v37 src0_sel:WORD_0 src1_sel:DWORD
	s_nop 1
	v_cndmask_b32_e64 v6, v6, v12, s[4:5]
; %bb.1004:                             ;   in Loop: Header=BB338_559 Depth=1
	s_or_b64 exec, exec, s[22:23]
	v_and_b32_e32 v12, 0xff, v7
	v_cvt_f32_fp8_sdwa v12, v12 src0_sel:BYTE_0
	s_nop 0
	v_mul_f32_e32 v13, v1, v12
	v_and_b32_e32 v12, 0x7f800000, v13
	v_cmp_ne_u32_e64 s[4:5], s21, v12
                                        ; implicit-def: $vgpr12
	s_and_saveexec_b64 s[22:23], s[4:5]
	s_xor_b64 s[4:5], exec, s[22:23]
; %bb.1005:                             ;   in Loop: Header=BB338_559 Depth=1
	v_bfe_u32 v12, v13, 16, 1
	v_add3_u32 v12, v13, v12, s24
                                        ; implicit-def: $vgpr13
; %bb.1006:                             ;   in Loop: Header=BB338_559 Depth=1
	s_andn2_saveexec_b64 s[22:23], s[4:5]
; %bb.1007:                             ;   in Loop: Header=BB338_559 Depth=1
	v_or_b32_e32 v12, 0x10000, v13
	v_cmp_eq_u32_sdwa s[4:5], v13, v37 src0_sel:WORD_0 src1_sel:DWORD
	s_nop 1
	v_cndmask_b32_e64 v12, v12, v13, s[4:5]
; %bb.1008:                             ;   in Loop: Header=BB338_559 Depth=1
	s_or_b64 exec, exec, s[22:23]
	v_bfe_u32 v13, v7, 8, 8
	v_cvt_f32_fp8_sdwa v13, v13 src0_sel:BYTE_0
	s_nop 0
	v_mul_f32_e32 v14, v1, v13
	v_and_b32_e32 v13, 0x7f800000, v14
	v_cmp_ne_u32_e64 s[4:5], s21, v13
                                        ; implicit-def: $vgpr13
	s_and_saveexec_b64 s[22:23], s[4:5]
	s_xor_b64 s[4:5], exec, s[22:23]
; %bb.1009:                             ;   in Loop: Header=BB338_559 Depth=1
	v_bfe_u32 v13, v14, 16, 1
	v_add3_u32 v13, v14, v13, s24
                                        ; implicit-def: $vgpr14
; %bb.1010:                             ;   in Loop: Header=BB338_559 Depth=1
	s_andn2_saveexec_b64 s[22:23], s[4:5]
; %bb.1011:                             ;   in Loop: Header=BB338_559 Depth=1
	v_or_b32_e32 v13, 0x10000, v14
	v_cmp_eq_u32_sdwa s[4:5], v14, v37 src0_sel:WORD_0 src1_sel:DWORD
	s_nop 1
	v_cndmask_b32_e64 v13, v13, v14, s[4:5]
; %bb.1012:                             ;   in Loop: Header=BB338_559 Depth=1
	s_or_b64 exec, exec, s[22:23]
	v_bfe_u32 v14, v7, 16, 8
	v_cvt_f32_fp8_sdwa v14, v14 src0_sel:BYTE_0
	s_nop 0
	v_mul_f32_e32 v15, v1, v14
	v_and_b32_e32 v14, 0x7f800000, v15
	v_cmp_ne_u32_e64 s[4:5], s21, v14
                                        ; implicit-def: $vgpr14
	s_and_saveexec_b64 s[22:23], s[4:5]
	s_xor_b64 s[4:5], exec, s[22:23]
; %bb.1013:                             ;   in Loop: Header=BB338_559 Depth=1
	v_bfe_u32 v14, v15, 16, 1
	v_add3_u32 v14, v15, v14, s24
                                        ; implicit-def: $vgpr15
; %bb.1014:                             ;   in Loop: Header=BB338_559 Depth=1
	s_andn2_saveexec_b64 s[22:23], s[4:5]
; %bb.1015:                             ;   in Loop: Header=BB338_559 Depth=1
	v_or_b32_e32 v14, 0x10000, v15
	v_cmp_eq_u32_sdwa s[4:5], v15, v37 src0_sel:WORD_0 src1_sel:DWORD
	s_nop 1
	v_cndmask_b32_e64 v14, v14, v15, s[4:5]
; %bb.1016:                             ;   in Loop: Header=BB338_559 Depth=1
	s_or_b64 exec, exec, s[22:23]
	v_lshrrev_b32_e32 v7, 24, v7
	v_cvt_f32_fp8_sdwa v7, v7 src0_sel:BYTE_0
                                        ; implicit-def: $vgpr16
	s_nop 0
	v_mul_f32_e32 v7, v1, v7
	v_and_b32_e32 v15, 0x7f800000, v7
	v_cmp_ne_u32_e64 s[4:5], s21, v15
	s_and_saveexec_b64 s[22:23], s[4:5]
	s_xor_b64 s[4:5], exec, s[22:23]
; %bb.1017:                             ;   in Loop: Header=BB338_559 Depth=1
	v_bfe_u32 v15, v7, 16, 1
	v_add3_u32 v16, v7, v15, s24
                                        ; implicit-def: $vgpr7
; %bb.1018:                             ;   in Loop: Header=BB338_559 Depth=1
	s_andn2_saveexec_b64 s[22:23], s[4:5]
; %bb.1019:                             ;   in Loop: Header=BB338_559 Depth=1
	v_or_b32_e32 v15, 0x10000, v7
	v_cmp_eq_u32_sdwa s[4:5], v7, v37 src0_sel:WORD_0 src1_sel:DWORD
	s_nop 1
	v_cndmask_b32_e64 v16, v15, v7, s[4:5]
; %bb.1020:                             ;   in Loop: Header=BB338_559 Depth=1
	s_or_b64 exec, exec, s[22:23]
	v_lshrrev_b32_e32 v7, 16, v13
	v_lshrrev_b32_e32 v12, 16, v12
	;; [unrolled: 1-line block ×8, first 2 shown]
	s_and_saveexec_b64 s[22:23], vcc
	s_cbranch_execz .LBB338_1022
; %bb.1021:                             ;   in Loop: Header=BB338_559 Depth=1
	scratch_load_dword v14, off, s32 offset:188 ; 4-byte Folded Reload
	v_accvgpr_read_b32 v16, a2
	s_waitcnt vmcnt(0)
	v_cmp_lt_i32_e64 s[4:5], v38, v14
	s_nop 1
	v_cndmask_b32_e64 v15, 0, v15, s[4:5]
	v_cmp_lt_i32_e64 s[4:5], v16, v14
	v_mov_b32_e32 v16, v57
	s_nop 0
	v_cndmask_b32_e64 v8, 0, v8, s[4:5]
	v_cmp_lt_i32_e64 s[4:5], v16, v14
	v_accvgpr_read_b32 v16, a1
	s_nop 0
	v_cndmask_b32_e64 v9, 0, v9, s[4:5]
	v_cmp_lt_i32_e64 s[4:5], v16, v14
	v_accvgpr_read_b32 v16, a0
	;; [unrolled: 4-line block ×5, first 2 shown]
	s_nop 0
	v_cndmask_b32_e64 v6, 0, v6, s[4:5]
	v_cmp_lt_i32_e64 s[4:5], v16, v14
	s_nop 1
	v_cndmask_b32_e64 v0, 0, v0, s[4:5]
.LBB338_1022:                           ;   in Loop: Header=BB338_559 Depth=1
	s_or_b64 exec, exec, s[22:23]
	v_lshlrev_b32_e32 v14, 16, v15
	v_mul_f32_e32 v14, v26, v14
	v_and_b32_e32 v15, 0x7f800000, v14
	v_cmp_ne_u32_e64 s[4:5], s21, v15
                                        ; implicit-def: $agpr38
	s_and_saveexec_b64 s[22:23], s[4:5]
	s_xor_b64 s[4:5], exec, s[22:23]
; %bb.1023:                             ;   in Loop: Header=BB338_559 Depth=1
	v_bfe_u32 v15, v14, 16, 1
	v_add3_u32 v14, v14, v15, s24
	v_accvgpr_write_b32 a38, v14
                                        ; implicit-def: $vgpr14
; %bb.1024:                             ;   in Loop: Header=BB338_559 Depth=1
	s_andn2_saveexec_b64 s[22:23], s[4:5]
; %bb.1025:                             ;   in Loop: Header=BB338_559 Depth=1
	v_or_b32_e32 v15, 0x10000, v14
	v_cmp_eq_u32_sdwa s[4:5], v14, v37 src0_sel:WORD_0 src1_sel:DWORD
	s_nop 1
	v_cndmask_b32_e64 v14, v15, v14, s[4:5]
	v_accvgpr_write_b32 a38, v14
; %bb.1026:                             ;   in Loop: Header=BB338_559 Depth=1
	s_or_b64 exec, exec, s[22:23]
	v_lshlrev_b32_e32 v8, 16, v8
	v_mul_f32_e32 v8, v27, v8
	v_and_b32_e32 v14, 0x7f800000, v8
	v_cmp_ne_u32_e64 s[4:5], s21, v14
                                        ; implicit-def: $agpr39
	s_and_saveexec_b64 s[22:23], s[4:5]
	s_xor_b64 s[4:5], exec, s[22:23]
; %bb.1027:                             ;   in Loop: Header=BB338_559 Depth=1
	v_bfe_u32 v14, v8, 16, 1
	v_add3_u32 v8, v8, v14, s24
	v_accvgpr_write_b32 a39, v8
                                        ; implicit-def: $vgpr8
; %bb.1028:                             ;   in Loop: Header=BB338_559 Depth=1
	s_andn2_saveexec_b64 s[22:23], s[4:5]
; %bb.1029:                             ;   in Loop: Header=BB338_559 Depth=1
	v_or_b32_e32 v14, 0x10000, v8
	v_cmp_eq_u32_sdwa s[4:5], v8, v37 src0_sel:WORD_0 src1_sel:DWORD
	s_nop 1
	v_cndmask_b32_e64 v8, v14, v8, s[4:5]
	v_accvgpr_write_b32 a39, v8
; %bb.1030:                             ;   in Loop: Header=BB338_559 Depth=1
	s_or_b64 exec, exec, s[22:23]
	v_lshlrev_b32_e32 v8, 16, v9
	v_mul_f32_e32 v8, v40, v8
	v_and_b32_e32 v9, 0x7f800000, v8
	v_cmp_ne_u32_e64 s[4:5], s21, v9
                                        ; implicit-def: $agpr26
	s_and_saveexec_b64 s[22:23], s[4:5]
	s_xor_b64 s[4:5], exec, s[22:23]
; %bb.1031:                             ;   in Loop: Header=BB338_559 Depth=1
	v_bfe_u32 v9, v8, 16, 1
	v_add3_u32 v8, v8, v9, s24
	v_accvgpr_write_b32 a26, v8
                                        ; implicit-def: $vgpr8
; %bb.1032:                             ;   in Loop: Header=BB338_559 Depth=1
	s_andn2_saveexec_b64 s[22:23], s[4:5]
; %bb.1033:                             ;   in Loop: Header=BB338_559 Depth=1
	v_or_b32_e32 v9, 0x10000, v8
	v_cmp_eq_u32_sdwa s[4:5], v8, v37 src0_sel:WORD_0 src1_sel:DWORD
	s_nop 1
	v_cndmask_b32_e64 v8, v9, v8, s[4:5]
	v_accvgpr_write_b32 a26, v8
; %bb.1034:                             ;   in Loop: Header=BB338_559 Depth=1
	s_or_b64 exec, exec, s[22:23]
	v_lshlrev_b32_e32 v8, 16, v13
	v_mul_f32_e32 v8, v41, v8
	v_and_b32_e32 v9, 0x7f800000, v8
	v_cmp_ne_u32_e64 s[4:5], s21, v9
                                        ; implicit-def: $agpr27
	s_and_saveexec_b64 s[22:23], s[4:5]
	s_xor_b64 s[4:5], exec, s[22:23]
; %bb.1035:                             ;   in Loop: Header=BB338_559 Depth=1
	v_bfe_u32 v9, v8, 16, 1
	v_add3_u32 v8, v8, v9, s24
	v_accvgpr_write_b32 a27, v8
                                        ; implicit-def: $vgpr8
; %bb.1036:                             ;   in Loop: Header=BB338_559 Depth=1
	s_andn2_saveexec_b64 s[22:23], s[4:5]
; %bb.1037:                             ;   in Loop: Header=BB338_559 Depth=1
	v_or_b32_e32 v9, 0x10000, v8
	v_cmp_eq_u32_sdwa s[4:5], v8, v37 src0_sel:WORD_0 src1_sel:DWORD
	s_nop 1
	v_cndmask_b32_e64 v8, v9, v8, s[4:5]
	v_accvgpr_write_b32 a27, v8
; %bb.1038:                             ;   in Loop: Header=BB338_559 Depth=1
	s_or_b64 exec, exec, s[22:23]
	v_lshlrev_b32_e32 v8, 16, v12
	v_mul_f32_e32 v8, v42, v8
	v_and_b32_e32 v9, 0x7f800000, v8
	v_cmp_ne_u32_e64 s[4:5], s21, v9
                                        ; implicit-def: $agpr47
	s_and_saveexec_b64 s[22:23], s[4:5]
	s_xor_b64 s[4:5], exec, s[22:23]
; %bb.1039:                             ;   in Loop: Header=BB338_559 Depth=1
	v_bfe_u32 v9, v8, 16, 1
	v_add3_u32 v8, v8, v9, s24
	v_accvgpr_write_b32 a47, v8
                                        ; implicit-def: $vgpr8
; %bb.1040:                             ;   in Loop: Header=BB338_559 Depth=1
	s_andn2_saveexec_b64 s[22:23], s[4:5]
; %bb.1041:                             ;   in Loop: Header=BB338_559 Depth=1
	v_or_b32_e32 v9, 0x10000, v8
	v_cmp_eq_u32_sdwa s[4:5], v8, v37 src0_sel:WORD_0 src1_sel:DWORD
	s_nop 1
	v_cndmask_b32_e64 v8, v9, v8, s[4:5]
	v_accvgpr_write_b32 a47, v8
; %bb.1042:                             ;   in Loop: Header=BB338_559 Depth=1
	s_or_b64 exec, exec, s[22:23]
	v_lshlrev_b32_e32 v7, 16, v7
	v_mul_f32_e32 v7, v43, v7
	v_and_b32_e32 v8, 0x7f800000, v7
	v_cmp_ne_u32_e64 s[4:5], s21, v8
                                        ; implicit-def: $agpr57
	s_and_saveexec_b64 s[22:23], s[4:5]
	s_xor_b64 s[4:5], exec, s[22:23]
; %bb.1043:                             ;   in Loop: Header=BB338_559 Depth=1
	v_bfe_u32 v8, v7, 16, 1
	v_add3_u32 v7, v7, v8, s24
	v_accvgpr_write_b32 a57, v7
                                        ; implicit-def: $vgpr7
; %bb.1044:                             ;   in Loop: Header=BB338_559 Depth=1
	s_andn2_saveexec_b64 s[22:23], s[4:5]
; %bb.1045:                             ;   in Loop: Header=BB338_559 Depth=1
	v_or_b32_e32 v8, 0x10000, v7
	v_cmp_eq_u32_sdwa s[4:5], v7, v37 src0_sel:WORD_0 src1_sel:DWORD
	s_nop 1
	v_cndmask_b32_e64 v7, v8, v7, s[4:5]
	v_accvgpr_write_b32 a57, v7
; %bb.1046:                             ;   in Loop: Header=BB338_559 Depth=1
	s_or_b64 exec, exec, s[22:23]
	v_lshlrev_b32_e32 v6, 16, v6
	v_mul_f32_e32 v6, v44, v6
	v_and_b32_e32 v7, 0x7f800000, v6
	v_cmp_ne_u32_e64 s[4:5], s21, v7
                                        ; implicit-def: $agpr58
	s_and_saveexec_b64 s[22:23], s[4:5]
	s_xor_b64 s[4:5], exec, s[22:23]
; %bb.1047:                             ;   in Loop: Header=BB338_559 Depth=1
	v_bfe_u32 v7, v6, 16, 1
	v_add3_u32 v6, v6, v7, s24
	v_accvgpr_write_b32 a58, v6
                                        ; implicit-def: $vgpr6
; %bb.1048:                             ;   in Loop: Header=BB338_559 Depth=1
	s_andn2_saveexec_b64 s[22:23], s[4:5]
; %bb.1049:                             ;   in Loop: Header=BB338_559 Depth=1
	v_or_b32_e32 v7, 0x10000, v6
	v_cmp_eq_u32_sdwa s[4:5], v6, v37 src0_sel:WORD_0 src1_sel:DWORD
	s_nop 1
	v_cndmask_b32_e64 v6, v7, v6, s[4:5]
	v_accvgpr_write_b32 a58, v6
; %bb.1050:                             ;   in Loop: Header=BB338_559 Depth=1
	s_or_b64 exec, exec, s[22:23]
	v_lshlrev_b32_e32 v0, 16, v0
	v_mul_f32_e32 v0, v45, v0
	v_and_b32_e32 v6, 0x7f800000, v0
	v_cmp_ne_u32_e64 s[4:5], s21, v6
                                        ; implicit-def: $agpr18
	s_and_saveexec_b64 s[22:23], s[4:5]
	s_xor_b64 s[4:5], exec, s[22:23]
; %bb.1051:                             ;   in Loop: Header=BB338_559 Depth=1
	v_bfe_u32 v6, v0, 16, 1
	v_add3_u32 v0, v0, v6, s24
	v_accvgpr_write_b32 a18, v0
                                        ; implicit-def: $vgpr0
; %bb.1052:                             ;   in Loop: Header=BB338_559 Depth=1
	s_andn2_saveexec_b64 s[22:23], s[4:5]
; %bb.1053:                             ;   in Loop: Header=BB338_559 Depth=1
	v_or_b32_e32 v6, 0x10000, v0
	v_cmp_eq_u32_sdwa s[4:5], v0, v37 src0_sel:WORD_0 src1_sel:DWORD
	s_nop 1
	v_cndmask_b32_e64 v0, v6, v0, s[4:5]
	v_accvgpr_write_b32 a18, v0
; %bb.1054:                             ;   in Loop: Header=BB338_559 Depth=1
	s_or_b64 exec, exec, s[22:23]
	flat_load_dwordx2 v[4:5], v[4:5] offset:3584
	s_waitcnt vmcnt(0) lgkmcnt(0)
	v_and_b32_e32 v0, 0xff, v4
	v_cvt_f32_fp8_sdwa v0, v0 src0_sel:BYTE_0
	s_nop 0
	v_mul_f32_e32 v6, v1, v0
	v_and_b32_e32 v0, 0x7f800000, v6
	v_cmp_ne_u32_e64 s[4:5], s21, v0
                                        ; implicit-def: $vgpr0
	s_and_saveexec_b64 s[22:23], s[4:5]
	s_xor_b64 s[4:5], exec, s[22:23]
; %bb.1055:                             ;   in Loop: Header=BB338_559 Depth=1
	v_bfe_u32 v0, v6, 16, 1
	v_add3_u32 v0, v6, v0, s24
                                        ; implicit-def: $vgpr6
; %bb.1056:                             ;   in Loop: Header=BB338_559 Depth=1
	s_andn2_saveexec_b64 s[22:23], s[4:5]
; %bb.1057:                             ;   in Loop: Header=BB338_559 Depth=1
	v_or_b32_e32 v0, 0x10000, v6
	v_cmp_eq_u32_sdwa s[4:5], v6, v37 src0_sel:WORD_0 src1_sel:DWORD
	s_nop 1
	v_cndmask_b32_e64 v0, v0, v6, s[4:5]
; %bb.1058:                             ;   in Loop: Header=BB338_559 Depth=1
	s_or_b64 exec, exec, s[22:23]
	v_bfe_u32 v6, v4, 8, 8
	v_cvt_f32_fp8_sdwa v6, v6 src0_sel:BYTE_0
	s_nop 0
	v_mul_f32_e32 v7, v1, v6
	v_and_b32_e32 v6, 0x7f800000, v7
	v_cmp_ne_u32_e64 s[4:5], s21, v6
                                        ; implicit-def: $vgpr6
	s_and_saveexec_b64 s[22:23], s[4:5]
	s_xor_b64 s[4:5], exec, s[22:23]
; %bb.1059:                             ;   in Loop: Header=BB338_559 Depth=1
	v_bfe_u32 v6, v7, 16, 1
	v_add3_u32 v6, v7, v6, s24
                                        ; implicit-def: $vgpr7
; %bb.1060:                             ;   in Loop: Header=BB338_559 Depth=1
	s_andn2_saveexec_b64 s[22:23], s[4:5]
; %bb.1061:                             ;   in Loop: Header=BB338_559 Depth=1
	v_or_b32_e32 v6, 0x10000, v7
	v_cmp_eq_u32_sdwa s[4:5], v7, v37 src0_sel:WORD_0 src1_sel:DWORD
	s_nop 1
	v_cndmask_b32_e64 v6, v6, v7, s[4:5]
; %bb.1062:                             ;   in Loop: Header=BB338_559 Depth=1
	s_or_b64 exec, exec, s[22:23]
	v_bfe_u32 v7, v4, 16, 8
	v_cvt_f32_fp8_sdwa v7, v7 src0_sel:BYTE_0
	s_nop 0
	v_mul_f32_e32 v8, v1, v7
	v_and_b32_e32 v7, 0x7f800000, v8
	v_cmp_ne_u32_e64 s[4:5], s21, v7
                                        ; implicit-def: $vgpr7
	s_and_saveexec_b64 s[22:23], s[4:5]
	s_xor_b64 s[4:5], exec, s[22:23]
; %bb.1063:                             ;   in Loop: Header=BB338_559 Depth=1
	v_bfe_u32 v7, v8, 16, 1
	v_add3_u32 v7, v8, v7, s24
                                        ; implicit-def: $vgpr8
; %bb.1064:                             ;   in Loop: Header=BB338_559 Depth=1
	s_andn2_saveexec_b64 s[22:23], s[4:5]
; %bb.1065:                             ;   in Loop: Header=BB338_559 Depth=1
	v_or_b32_e32 v7, 0x10000, v8
	v_cmp_eq_u32_sdwa s[4:5], v8, v37 src0_sel:WORD_0 src1_sel:DWORD
	s_nop 1
	v_cndmask_b32_e64 v7, v7, v8, s[4:5]
; %bb.1066:                             ;   in Loop: Header=BB338_559 Depth=1
	s_or_b64 exec, exec, s[22:23]
	v_lshrrev_b32_e32 v4, 24, v4
	v_cvt_f32_fp8_sdwa v4, v4 src0_sel:BYTE_0
	s_nop 0
	v_mul_f32_e32 v8, v1, v4
	v_and_b32_e32 v4, 0x7f800000, v8
	v_cmp_ne_u32_e64 s[4:5], s21, v4
                                        ; implicit-def: $vgpr4
	s_and_saveexec_b64 s[22:23], s[4:5]
	s_xor_b64 s[4:5], exec, s[22:23]
; %bb.1067:                             ;   in Loop: Header=BB338_559 Depth=1
	v_bfe_u32 v4, v8, 16, 1
	v_add3_u32 v4, v8, v4, s24
                                        ; implicit-def: $vgpr8
; %bb.1068:                             ;   in Loop: Header=BB338_559 Depth=1
	s_andn2_saveexec_b64 s[22:23], s[4:5]
; %bb.1069:                             ;   in Loop: Header=BB338_559 Depth=1
	v_or_b32_e32 v4, 0x10000, v8
	v_cmp_eq_u32_sdwa s[4:5], v8, v37 src0_sel:WORD_0 src1_sel:DWORD
	s_nop 1
	v_cndmask_b32_e64 v4, v4, v8, s[4:5]
; %bb.1070:                             ;   in Loop: Header=BB338_559 Depth=1
	s_or_b64 exec, exec, s[22:23]
	v_and_b32_e32 v8, 0xff, v5
	v_cvt_f32_fp8_sdwa v8, v8 src0_sel:BYTE_0
	s_nop 0
	v_mul_f32_e32 v9, v1, v8
	v_and_b32_e32 v8, 0x7f800000, v9
	v_cmp_ne_u32_e64 s[4:5], s21, v8
                                        ; implicit-def: $vgpr8
	s_and_saveexec_b64 s[22:23], s[4:5]
	s_xor_b64 s[4:5], exec, s[22:23]
; %bb.1071:                             ;   in Loop: Header=BB338_559 Depth=1
	v_bfe_u32 v8, v9, 16, 1
	v_add3_u32 v8, v9, v8, s24
                                        ; implicit-def: $vgpr9
; %bb.1072:                             ;   in Loop: Header=BB338_559 Depth=1
	s_andn2_saveexec_b64 s[22:23], s[4:5]
; %bb.1073:                             ;   in Loop: Header=BB338_559 Depth=1
	v_or_b32_e32 v8, 0x10000, v9
	v_cmp_eq_u32_sdwa s[4:5], v9, v37 src0_sel:WORD_0 src1_sel:DWORD
	s_nop 1
	v_cndmask_b32_e64 v8, v8, v9, s[4:5]
; %bb.1074:                             ;   in Loop: Header=BB338_559 Depth=1
	s_or_b64 exec, exec, s[22:23]
	v_bfe_u32 v9, v5, 8, 8
	v_cvt_f32_fp8_sdwa v9, v9 src0_sel:BYTE_0
	s_nop 0
	v_mul_f32_e32 v12, v1, v9
	v_and_b32_e32 v9, 0x7f800000, v12
	v_cmp_ne_u32_e64 s[4:5], s21, v9
                                        ; implicit-def: $vgpr9
	s_and_saveexec_b64 s[22:23], s[4:5]
	s_xor_b64 s[4:5], exec, s[22:23]
; %bb.1075:                             ;   in Loop: Header=BB338_559 Depth=1
	v_bfe_u32 v9, v12, 16, 1
	v_add3_u32 v9, v12, v9, s24
                                        ; implicit-def: $vgpr12
; %bb.1076:                             ;   in Loop: Header=BB338_559 Depth=1
	s_andn2_saveexec_b64 s[22:23], s[4:5]
; %bb.1077:                             ;   in Loop: Header=BB338_559 Depth=1
	v_or_b32_e32 v9, 0x10000, v12
	v_cmp_eq_u32_sdwa s[4:5], v12, v37 src0_sel:WORD_0 src1_sel:DWORD
	s_nop 1
	v_cndmask_b32_e64 v9, v9, v12, s[4:5]
; %bb.1078:                             ;   in Loop: Header=BB338_559 Depth=1
	s_or_b64 exec, exec, s[22:23]
	v_bfe_u32 v12, v5, 16, 8
	v_cvt_f32_fp8_sdwa v12, v12 src0_sel:BYTE_0
	s_nop 0
	v_mul_f32_e32 v13, v1, v12
	v_and_b32_e32 v12, 0x7f800000, v13
	v_cmp_ne_u32_e64 s[4:5], s21, v12
                                        ; implicit-def: $vgpr12
	s_and_saveexec_b64 s[22:23], s[4:5]
	s_xor_b64 s[4:5], exec, s[22:23]
; %bb.1079:                             ;   in Loop: Header=BB338_559 Depth=1
	v_bfe_u32 v12, v13, 16, 1
	v_add3_u32 v12, v13, v12, s24
                                        ; implicit-def: $vgpr13
; %bb.1080:                             ;   in Loop: Header=BB338_559 Depth=1
	s_andn2_saveexec_b64 s[22:23], s[4:5]
; %bb.1081:                             ;   in Loop: Header=BB338_559 Depth=1
	v_or_b32_e32 v12, 0x10000, v13
	v_cmp_eq_u32_sdwa s[4:5], v13, v37 src0_sel:WORD_0 src1_sel:DWORD
	s_nop 1
	v_cndmask_b32_e64 v12, v12, v13, s[4:5]
; %bb.1082:                             ;   in Loop: Header=BB338_559 Depth=1
	s_or_b64 exec, exec, s[22:23]
	v_lshrrev_b32_e32 v5, 24, v5
	v_cvt_f32_fp8_sdwa v5, v5 src0_sel:BYTE_0
                                        ; implicit-def: $vgpr14
	s_nop 0
	v_mul_f32_e32 v5, v1, v5
	v_and_b32_e32 v13, 0x7f800000, v5
	v_cmp_ne_u32_e64 s[4:5], s21, v13
	s_and_saveexec_b64 s[22:23], s[4:5]
	s_xor_b64 s[4:5], exec, s[22:23]
; %bb.1083:                             ;   in Loop: Header=BB338_559 Depth=1
	v_bfe_u32 v13, v5, 16, 1
	v_add3_u32 v14, v5, v13, s24
                                        ; implicit-def: $vgpr5
; %bb.1084:                             ;   in Loop: Header=BB338_559 Depth=1
	s_andn2_saveexec_b64 s[22:23], s[4:5]
; %bb.1085:                             ;   in Loop: Header=BB338_559 Depth=1
	v_or_b32_e32 v13, 0x10000, v5
	v_cmp_eq_u32_sdwa s[4:5], v5, v37 src0_sel:WORD_0 src1_sel:DWORD
	s_nop 1
	v_cndmask_b32_e64 v14, v13, v5, s[4:5]
; %bb.1086:                             ;   in Loop: Header=BB338_559 Depth=1
	s_or_b64 exec, exec, s[22:23]
	v_lshrrev_b32_e32 v5, 16, v9
	v_lshrrev_b32_e32 v8, 16, v8
	;; [unrolled: 1-line block ×8, first 2 shown]
	s_and_saveexec_b64 s[22:23], vcc
	s_cbranch_execz .LBB338_1088
; %bb.1087:                             ;   in Loop: Header=BB338_559 Depth=1
	scratch_load_dword v12, off, s32 offset:188 ; 4-byte Folded Reload
	v_accvgpr_read_b32 v14, a2
	s_waitcnt vmcnt(0)
	v_cmp_lt_i32_e64 s[4:5], v38, v12
	s_nop 1
	v_cndmask_b32_e64 v13, 0, v13, s[4:5]
	v_cmp_lt_i32_e64 s[4:5], v14, v12
	v_mov_b32_e32 v14, v57
	s_nop 0
	v_cndmask_b32_e64 v6, 0, v6, s[4:5]
	v_cmp_lt_i32_e64 s[4:5], v14, v12
	v_accvgpr_read_b32 v14, a1
	s_nop 0
	v_cndmask_b32_e64 v7, 0, v7, s[4:5]
	v_cmp_lt_i32_e64 s[4:5], v14, v12
	v_accvgpr_read_b32 v14, a0
	;; [unrolled: 4-line block ×5, first 2 shown]
	s_nop 0
	v_cndmask_b32_e64 v4, 0, v4, s[4:5]
	v_cmp_lt_i32_e64 s[4:5], v14, v12
	s_nop 1
	v_cndmask_b32_e64 v0, 0, v0, s[4:5]
.LBB338_1088:                           ;   in Loop: Header=BB338_559 Depth=1
	s_or_b64 exec, exec, s[22:23]
	v_lshlrev_b32_e32 v12, 16, v13
	v_mul_f32_e32 v12, v26, v12
	v_and_b32_e32 v13, 0x7f800000, v12
	v_cmp_ne_u32_e64 s[4:5], s21, v13
                                        ; implicit-def: $agpr19
	s_and_saveexec_b64 s[22:23], s[4:5]
	s_xor_b64 s[4:5], exec, s[22:23]
; %bb.1089:                             ;   in Loop: Header=BB338_559 Depth=1
	v_bfe_u32 v13, v12, 16, 1
	v_add3_u32 v12, v12, v13, s24
	v_accvgpr_write_b32 a19, v12
                                        ; implicit-def: $vgpr12
; %bb.1090:                             ;   in Loop: Header=BB338_559 Depth=1
	s_andn2_saveexec_b64 s[22:23], s[4:5]
; %bb.1091:                             ;   in Loop: Header=BB338_559 Depth=1
	v_or_b32_e32 v13, 0x10000, v12
	v_cmp_eq_u32_sdwa s[4:5], v12, v37 src0_sel:WORD_0 src1_sel:DWORD
	s_nop 1
	v_cndmask_b32_e64 v12, v13, v12, s[4:5]
	v_accvgpr_write_b32 a19, v12
; %bb.1092:                             ;   in Loop: Header=BB338_559 Depth=1
	s_or_b64 exec, exec, s[22:23]
	v_lshlrev_b32_e32 v6, 16, v6
	v_mul_f32_e32 v6, v27, v6
	v_and_b32_e32 v12, 0x7f800000, v6
	v_cmp_ne_u32_e64 s[4:5], s21, v12
                                        ; implicit-def: $agpr59
	s_and_saveexec_b64 s[22:23], s[4:5]
	s_xor_b64 s[4:5], exec, s[22:23]
; %bb.1093:                             ;   in Loop: Header=BB338_559 Depth=1
	v_bfe_u32 v12, v6, 16, 1
	v_add3_u32 v6, v6, v12, s24
	v_accvgpr_write_b32 a59, v6
                                        ; implicit-def: $vgpr6
; %bb.1094:                             ;   in Loop: Header=BB338_559 Depth=1
	s_andn2_saveexec_b64 s[22:23], s[4:5]
; %bb.1095:                             ;   in Loop: Header=BB338_559 Depth=1
	v_or_b32_e32 v12, 0x10000, v6
	v_cmp_eq_u32_sdwa s[4:5], v6, v37 src0_sel:WORD_0 src1_sel:DWORD
	s_nop 1
	v_cndmask_b32_e64 v6, v12, v6, s[4:5]
	v_accvgpr_write_b32 a59, v6
; %bb.1096:                             ;   in Loop: Header=BB338_559 Depth=1
	s_or_b64 exec, exec, s[22:23]
	v_lshlrev_b32_e32 v6, 16, v7
	v_mul_f32_e32 v6, v40, v6
	v_and_b32_e32 v7, 0x7f800000, v6
	v_cmp_ne_u32_e64 s[4:5], s21, v7
                                        ; implicit-def: $agpr60
	s_and_saveexec_b64 s[22:23], s[4:5]
	s_xor_b64 s[4:5], exec, s[22:23]
; %bb.1097:                             ;   in Loop: Header=BB338_559 Depth=1
	v_bfe_u32 v7, v6, 16, 1
	v_add3_u32 v6, v6, v7, s24
	v_accvgpr_write_b32 a60, v6
                                        ; implicit-def: $vgpr6
; %bb.1098:                             ;   in Loop: Header=BB338_559 Depth=1
	s_andn2_saveexec_b64 s[22:23], s[4:5]
; %bb.1099:                             ;   in Loop: Header=BB338_559 Depth=1
	v_or_b32_e32 v7, 0x10000, v6
	v_cmp_eq_u32_sdwa s[4:5], v6, v37 src0_sel:WORD_0 src1_sel:DWORD
	s_nop 1
	v_cndmask_b32_e64 v6, v7, v6, s[4:5]
	v_accvgpr_write_b32 a60, v6
; %bb.1100:                             ;   in Loop: Header=BB338_559 Depth=1
	s_or_b64 exec, exec, s[22:23]
	v_lshlrev_b32_e32 v6, 16, v9
	v_mul_f32_e32 v6, v41, v6
	v_and_b32_e32 v7, 0x7f800000, v6
	v_cmp_ne_u32_e64 s[4:5], s21, v7
                                        ; implicit-def: $agpr61
	s_and_saveexec_b64 s[22:23], s[4:5]
	s_xor_b64 s[4:5], exec, s[22:23]
; %bb.1101:                             ;   in Loop: Header=BB338_559 Depth=1
	v_bfe_u32 v7, v6, 16, 1
	v_add3_u32 v6, v6, v7, s24
	v_accvgpr_write_b32 a61, v6
                                        ; implicit-def: $vgpr6
; %bb.1102:                             ;   in Loop: Header=BB338_559 Depth=1
	s_andn2_saveexec_b64 s[22:23], s[4:5]
; %bb.1103:                             ;   in Loop: Header=BB338_559 Depth=1
	v_or_b32_e32 v7, 0x10000, v6
	v_cmp_eq_u32_sdwa s[4:5], v6, v37 src0_sel:WORD_0 src1_sel:DWORD
	s_nop 1
	v_cndmask_b32_e64 v6, v7, v6, s[4:5]
	v_accvgpr_write_b32 a61, v6
; %bb.1104:                             ;   in Loop: Header=BB338_559 Depth=1
	s_or_b64 exec, exec, s[22:23]
	v_lshlrev_b32_e32 v6, 16, v8
	v_mul_f32_e32 v6, v42, v6
	v_and_b32_e32 v7, 0x7f800000, v6
	v_cmp_ne_u32_e64 s[4:5], s21, v7
                                        ; implicit-def: $agpr62
	s_and_saveexec_b64 s[22:23], s[4:5]
	s_xor_b64 s[4:5], exec, s[22:23]
; %bb.1105:                             ;   in Loop: Header=BB338_559 Depth=1
	v_bfe_u32 v7, v6, 16, 1
	v_add3_u32 v6, v6, v7, s24
	v_accvgpr_write_b32 a62, v6
                                        ; implicit-def: $vgpr6
; %bb.1106:                             ;   in Loop: Header=BB338_559 Depth=1
	s_andn2_saveexec_b64 s[22:23], s[4:5]
; %bb.1107:                             ;   in Loop: Header=BB338_559 Depth=1
	v_or_b32_e32 v7, 0x10000, v6
	v_cmp_eq_u32_sdwa s[4:5], v6, v37 src0_sel:WORD_0 src1_sel:DWORD
	s_nop 1
	v_cndmask_b32_e64 v6, v7, v6, s[4:5]
	v_accvgpr_write_b32 a62, v6
; %bb.1108:                             ;   in Loop: Header=BB338_559 Depth=1
	s_or_b64 exec, exec, s[22:23]
	v_lshlrev_b32_e32 v5, 16, v5
	v_mul_f32_e32 v5, v43, v5
	v_and_b32_e32 v6, 0x7f800000, v5
	v_cmp_ne_u32_e64 s[4:5], s21, v6
                                        ; implicit-def: $agpr63
	s_and_saveexec_b64 s[22:23], s[4:5]
	s_xor_b64 s[4:5], exec, s[22:23]
; %bb.1109:                             ;   in Loop: Header=BB338_559 Depth=1
	v_bfe_u32 v6, v5, 16, 1
	v_add3_u32 v5, v5, v6, s24
	v_accvgpr_write_b32 a63, v5
                                        ; implicit-def: $vgpr5
; %bb.1110:                             ;   in Loop: Header=BB338_559 Depth=1
	s_andn2_saveexec_b64 s[22:23], s[4:5]
; %bb.1111:                             ;   in Loop: Header=BB338_559 Depth=1
	v_or_b32_e32 v6, 0x10000, v5
	v_cmp_eq_u32_sdwa s[4:5], v5, v37 src0_sel:WORD_0 src1_sel:DWORD
	s_nop 1
	v_cndmask_b32_e64 v5, v6, v5, s[4:5]
	v_accvgpr_write_b32 a63, v5
; %bb.1112:                             ;   in Loop: Header=BB338_559 Depth=1
	s_or_b64 exec, exec, s[22:23]
	v_lshlrev_b32_e32 v4, 16, v4
	v_mul_f32_e32 v4, v44, v4
	v_and_b32_e32 v5, 0x7f800000, v4
	v_cmp_ne_u32_e64 s[4:5], s21, v5
                                        ; implicit-def: $agpr30
	s_and_saveexec_b64 s[22:23], s[4:5]
	s_xor_b64 s[4:5], exec, s[22:23]
; %bb.1113:                             ;   in Loop: Header=BB338_559 Depth=1
	v_bfe_u32 v5, v4, 16, 1
	v_add3_u32 v4, v4, v5, s24
	v_accvgpr_write_b32 a30, v4
                                        ; implicit-def: $vgpr4
; %bb.1114:                             ;   in Loop: Header=BB338_559 Depth=1
	s_andn2_saveexec_b64 s[22:23], s[4:5]
; %bb.1115:                             ;   in Loop: Header=BB338_559 Depth=1
	v_or_b32_e32 v5, 0x10000, v4
	v_cmp_eq_u32_sdwa s[4:5], v4, v37 src0_sel:WORD_0 src1_sel:DWORD
	s_nop 1
	v_cndmask_b32_e64 v4, v5, v4, s[4:5]
	v_accvgpr_write_b32 a30, v4
; %bb.1116:                             ;   in Loop: Header=BB338_559 Depth=1
	s_or_b64 exec, exec, s[22:23]
	v_lshlrev_b32_e32 v0, 16, v0
	v_mul_f32_e32 v0, v45, v0
	v_and_b32_e32 v4, 0x7f800000, v0
	v_cmp_ne_u32_e64 s[4:5], s21, v4
                                        ; implicit-def: $agpr31
	s_and_saveexec_b64 s[22:23], s[4:5]
	s_xor_b64 s[4:5], exec, s[22:23]
; %bb.1117:                             ;   in Loop: Header=BB338_559 Depth=1
	v_bfe_u32 v4, v0, 16, 1
	v_add3_u32 v0, v0, v4, s24
	v_accvgpr_write_b32 a31, v0
                                        ; implicit-def: $vgpr0
; %bb.1118:                             ;   in Loop: Header=BB338_559 Depth=1
	s_andn2_saveexec_b64 s[22:23], s[4:5]
; %bb.1119:                             ;   in Loop: Header=BB338_559 Depth=1
	v_or_b32_e32 v4, 0x10000, v0
	v_cmp_eq_u32_sdwa s[4:5], v0, v37 src0_sel:WORD_0 src1_sel:DWORD
	s_nop 1
	v_cndmask_b32_e64 v0, v4, v0, s[4:5]
	v_accvgpr_write_b32 a31, v0
; %bb.1120:                             ;   in Loop: Header=BB338_559 Depth=1
	s_or_b64 exec, exec, s[22:23]
	scratch_load_dwordx2 v[4:5], off, s32 offset:472 ; 8-byte Folded Reload
	s_waitcnt vmcnt(0)
	v_lshl_add_u64 v[4:5], v[2:3], 0, v[4:5]
	flat_load_dwordx2 v[4:5], v[4:5]
	s_waitcnt vmcnt(0) lgkmcnt(0)
	v_and_b32_e32 v0, 0xff, v4
	v_cvt_f32_fp8_sdwa v0, v0 src0_sel:BYTE_0
	s_nop 0
	v_mul_f32_e32 v6, v1, v0
	v_and_b32_e32 v0, 0x7f800000, v6
	v_cmp_ne_u32_e64 s[4:5], s21, v0
                                        ; implicit-def: $vgpr0
	s_and_saveexec_b64 s[22:23], s[4:5]
	s_xor_b64 s[4:5], exec, s[22:23]
; %bb.1121:                             ;   in Loop: Header=BB338_559 Depth=1
	v_bfe_u32 v0, v6, 16, 1
	v_add3_u32 v0, v6, v0, s24
                                        ; implicit-def: $vgpr6
; %bb.1122:                             ;   in Loop: Header=BB338_559 Depth=1
	s_andn2_saveexec_b64 s[22:23], s[4:5]
; %bb.1123:                             ;   in Loop: Header=BB338_559 Depth=1
	v_or_b32_e32 v0, 0x10000, v6
	v_cmp_eq_u32_sdwa s[4:5], v6, v37 src0_sel:WORD_0 src1_sel:DWORD
	s_nop 1
	v_cndmask_b32_e64 v0, v0, v6, s[4:5]
; %bb.1124:                             ;   in Loop: Header=BB338_559 Depth=1
	s_or_b64 exec, exec, s[22:23]
	v_bfe_u32 v6, v4, 8, 8
	v_cvt_f32_fp8_sdwa v6, v6 src0_sel:BYTE_0
	s_nop 0
	v_mul_f32_e32 v7, v1, v6
	v_and_b32_e32 v6, 0x7f800000, v7
	v_cmp_ne_u32_e64 s[4:5], s21, v6
                                        ; implicit-def: $vgpr6
	s_and_saveexec_b64 s[22:23], s[4:5]
	s_xor_b64 s[4:5], exec, s[22:23]
; %bb.1125:                             ;   in Loop: Header=BB338_559 Depth=1
	v_bfe_u32 v6, v7, 16, 1
	v_add3_u32 v6, v7, v6, s24
                                        ; implicit-def: $vgpr7
; %bb.1126:                             ;   in Loop: Header=BB338_559 Depth=1
	s_andn2_saveexec_b64 s[22:23], s[4:5]
; %bb.1127:                             ;   in Loop: Header=BB338_559 Depth=1
	v_or_b32_e32 v6, 0x10000, v7
	v_cmp_eq_u32_sdwa s[4:5], v7, v37 src0_sel:WORD_0 src1_sel:DWORD
	s_nop 1
	v_cndmask_b32_e64 v6, v6, v7, s[4:5]
; %bb.1128:                             ;   in Loop: Header=BB338_559 Depth=1
	s_or_b64 exec, exec, s[22:23]
	v_bfe_u32 v7, v4, 16, 8
	v_cvt_f32_fp8_sdwa v7, v7 src0_sel:BYTE_0
	s_nop 0
	v_mul_f32_e32 v8, v1, v7
	v_and_b32_e32 v7, 0x7f800000, v8
	v_cmp_ne_u32_e64 s[4:5], s21, v7
                                        ; implicit-def: $vgpr7
	s_and_saveexec_b64 s[22:23], s[4:5]
	s_xor_b64 s[4:5], exec, s[22:23]
; %bb.1129:                             ;   in Loop: Header=BB338_559 Depth=1
	v_bfe_u32 v7, v8, 16, 1
	v_add3_u32 v7, v8, v7, s24
                                        ; implicit-def: $vgpr8
; %bb.1130:                             ;   in Loop: Header=BB338_559 Depth=1
	s_andn2_saveexec_b64 s[22:23], s[4:5]
; %bb.1131:                             ;   in Loop: Header=BB338_559 Depth=1
	v_or_b32_e32 v7, 0x10000, v8
	v_cmp_eq_u32_sdwa s[4:5], v8, v37 src0_sel:WORD_0 src1_sel:DWORD
	s_nop 1
	v_cndmask_b32_e64 v7, v7, v8, s[4:5]
; %bb.1132:                             ;   in Loop: Header=BB338_559 Depth=1
	s_or_b64 exec, exec, s[22:23]
	v_lshrrev_b32_e32 v4, 24, v4
	v_cvt_f32_fp8_sdwa v4, v4 src0_sel:BYTE_0
	s_nop 0
	v_mul_f32_e32 v8, v1, v4
	v_and_b32_e32 v4, 0x7f800000, v8
	v_cmp_ne_u32_e64 s[4:5], s21, v4
                                        ; implicit-def: $vgpr4
	s_and_saveexec_b64 s[22:23], s[4:5]
	s_xor_b64 s[4:5], exec, s[22:23]
; %bb.1133:                             ;   in Loop: Header=BB338_559 Depth=1
	v_bfe_u32 v4, v8, 16, 1
	v_add3_u32 v4, v8, v4, s24
                                        ; implicit-def: $vgpr8
; %bb.1134:                             ;   in Loop: Header=BB338_559 Depth=1
	s_andn2_saveexec_b64 s[22:23], s[4:5]
; %bb.1135:                             ;   in Loop: Header=BB338_559 Depth=1
	v_or_b32_e32 v4, 0x10000, v8
	v_cmp_eq_u32_sdwa s[4:5], v8, v37 src0_sel:WORD_0 src1_sel:DWORD
	s_nop 1
	v_cndmask_b32_e64 v4, v4, v8, s[4:5]
; %bb.1136:                             ;   in Loop: Header=BB338_559 Depth=1
	s_or_b64 exec, exec, s[22:23]
	v_and_b32_e32 v8, 0xff, v5
	v_cvt_f32_fp8_sdwa v8, v8 src0_sel:BYTE_0
	s_nop 0
	v_mul_f32_e32 v9, v1, v8
	v_and_b32_e32 v8, 0x7f800000, v9
	v_cmp_ne_u32_e64 s[4:5], s21, v8
                                        ; implicit-def: $vgpr8
	s_and_saveexec_b64 s[22:23], s[4:5]
	s_xor_b64 s[4:5], exec, s[22:23]
; %bb.1137:                             ;   in Loop: Header=BB338_559 Depth=1
	v_bfe_u32 v8, v9, 16, 1
	v_add3_u32 v8, v9, v8, s24
                                        ; implicit-def: $vgpr9
; %bb.1138:                             ;   in Loop: Header=BB338_559 Depth=1
	s_andn2_saveexec_b64 s[22:23], s[4:5]
; %bb.1139:                             ;   in Loop: Header=BB338_559 Depth=1
	v_or_b32_e32 v8, 0x10000, v9
	v_cmp_eq_u32_sdwa s[4:5], v9, v37 src0_sel:WORD_0 src1_sel:DWORD
	s_nop 1
	v_cndmask_b32_e64 v8, v8, v9, s[4:5]
; %bb.1140:                             ;   in Loop: Header=BB338_559 Depth=1
	s_or_b64 exec, exec, s[22:23]
	v_bfe_u32 v9, v5, 8, 8
	v_cvt_f32_fp8_sdwa v9, v9 src0_sel:BYTE_0
	s_nop 0
	v_mul_f32_e32 v12, v1, v9
	v_and_b32_e32 v9, 0x7f800000, v12
	v_cmp_ne_u32_e64 s[4:5], s21, v9
                                        ; implicit-def: $vgpr9
	s_and_saveexec_b64 s[22:23], s[4:5]
	s_xor_b64 s[4:5], exec, s[22:23]
; %bb.1141:                             ;   in Loop: Header=BB338_559 Depth=1
	v_bfe_u32 v9, v12, 16, 1
	v_add3_u32 v9, v12, v9, s24
                                        ; implicit-def: $vgpr12
; %bb.1142:                             ;   in Loop: Header=BB338_559 Depth=1
	s_andn2_saveexec_b64 s[22:23], s[4:5]
; %bb.1143:                             ;   in Loop: Header=BB338_559 Depth=1
	v_or_b32_e32 v9, 0x10000, v12
	v_cmp_eq_u32_sdwa s[4:5], v12, v37 src0_sel:WORD_0 src1_sel:DWORD
	s_nop 1
	v_cndmask_b32_e64 v9, v9, v12, s[4:5]
; %bb.1144:                             ;   in Loop: Header=BB338_559 Depth=1
	s_or_b64 exec, exec, s[22:23]
	v_bfe_u32 v12, v5, 16, 8
	v_cvt_f32_fp8_sdwa v12, v12 src0_sel:BYTE_0
	s_nop 0
	v_mul_f32_e32 v13, v1, v12
	v_and_b32_e32 v12, 0x7f800000, v13
	v_cmp_ne_u32_e64 s[4:5], s21, v12
                                        ; implicit-def: $vgpr12
	s_and_saveexec_b64 s[22:23], s[4:5]
	s_xor_b64 s[4:5], exec, s[22:23]
; %bb.1145:                             ;   in Loop: Header=BB338_559 Depth=1
	v_bfe_u32 v12, v13, 16, 1
	v_add3_u32 v12, v13, v12, s24
                                        ; implicit-def: $vgpr13
; %bb.1146:                             ;   in Loop: Header=BB338_559 Depth=1
	s_andn2_saveexec_b64 s[22:23], s[4:5]
; %bb.1147:                             ;   in Loop: Header=BB338_559 Depth=1
	v_or_b32_e32 v12, 0x10000, v13
	v_cmp_eq_u32_sdwa s[4:5], v13, v37 src0_sel:WORD_0 src1_sel:DWORD
	s_nop 1
	v_cndmask_b32_e64 v12, v12, v13, s[4:5]
; %bb.1148:                             ;   in Loop: Header=BB338_559 Depth=1
	s_or_b64 exec, exec, s[22:23]
	v_lshrrev_b32_e32 v5, 24, v5
	v_cvt_f32_fp8_sdwa v5, v5 src0_sel:BYTE_0
                                        ; implicit-def: $vgpr14
	s_nop 0
	v_mul_f32_e32 v5, v1, v5
	v_and_b32_e32 v13, 0x7f800000, v5
	v_cmp_ne_u32_e64 s[4:5], s21, v13
	s_and_saveexec_b64 s[22:23], s[4:5]
	s_xor_b64 s[4:5], exec, s[22:23]
; %bb.1149:                             ;   in Loop: Header=BB338_559 Depth=1
	v_bfe_u32 v13, v5, 16, 1
	v_add3_u32 v14, v5, v13, s24
                                        ; implicit-def: $vgpr5
; %bb.1150:                             ;   in Loop: Header=BB338_559 Depth=1
	s_andn2_saveexec_b64 s[22:23], s[4:5]
; %bb.1151:                             ;   in Loop: Header=BB338_559 Depth=1
	v_or_b32_e32 v13, 0x10000, v5
	v_cmp_eq_u32_sdwa s[4:5], v5, v37 src0_sel:WORD_0 src1_sel:DWORD
	s_nop 1
	v_cndmask_b32_e64 v14, v13, v5, s[4:5]
; %bb.1152:                             ;   in Loop: Header=BB338_559 Depth=1
	s_or_b64 exec, exec, s[22:23]
	v_lshrrev_b32_e32 v5, 16, v9
	v_lshrrev_b32_e32 v8, 16, v8
	;; [unrolled: 1-line block ×8, first 2 shown]
	s_and_saveexec_b64 s[22:23], vcc
	s_cbranch_execz .LBB338_1154
; %bb.1153:                             ;   in Loop: Header=BB338_559 Depth=1
	scratch_load_dword v12, off, s32 offset:188 ; 4-byte Folded Reload
	v_accvgpr_read_b32 v14, a2
	s_waitcnt vmcnt(0)
	v_cmp_lt_i32_e64 s[4:5], v38, v12
	s_nop 1
	v_cndmask_b32_e64 v13, 0, v13, s[4:5]
	v_cmp_lt_i32_e64 s[4:5], v14, v12
	v_mov_b32_e32 v14, v57
	s_nop 0
	v_cndmask_b32_e64 v6, 0, v6, s[4:5]
	v_cmp_lt_i32_e64 s[4:5], v14, v12
	v_accvgpr_read_b32 v14, a1
	s_nop 0
	v_cndmask_b32_e64 v7, 0, v7, s[4:5]
	v_cmp_lt_i32_e64 s[4:5], v14, v12
	v_accvgpr_read_b32 v14, a0
	;; [unrolled: 4-line block ×5, first 2 shown]
	s_nop 0
	v_cndmask_b32_e64 v4, 0, v4, s[4:5]
	v_cmp_lt_i32_e64 s[4:5], v14, v12
	s_nop 1
	v_cndmask_b32_e64 v0, 0, v0, s[4:5]
.LBB338_1154:                           ;   in Loop: Header=BB338_559 Depth=1
	s_or_b64 exec, exec, s[22:23]
	v_lshlrev_b32_e32 v12, 16, v13
	v_mul_f32_e32 v12, v26, v12
	v_and_b32_e32 v13, 0x7f800000, v12
	v_cmp_ne_u32_e64 s[4:5], s21, v13
                                        ; implicit-def: $agpr4
	s_and_saveexec_b64 s[22:23], s[4:5]
	s_xor_b64 s[4:5], exec, s[22:23]
; %bb.1155:                             ;   in Loop: Header=BB338_559 Depth=1
	v_bfe_u32 v13, v12, 16, 1
	v_add3_u32 v12, v12, v13, s24
	v_accvgpr_write_b32 a4, v12
                                        ; implicit-def: $vgpr12
; %bb.1156:                             ;   in Loop: Header=BB338_559 Depth=1
	s_andn2_saveexec_b64 s[22:23], s[4:5]
; %bb.1157:                             ;   in Loop: Header=BB338_559 Depth=1
	v_or_b32_e32 v13, 0x10000, v12
	v_cmp_eq_u32_sdwa s[4:5], v12, v37 src0_sel:WORD_0 src1_sel:DWORD
	s_nop 1
	v_cndmask_b32_e64 v12, v13, v12, s[4:5]
	v_accvgpr_write_b32 a4, v12
; %bb.1158:                             ;   in Loop: Header=BB338_559 Depth=1
	s_or_b64 exec, exec, s[22:23]
	v_lshlrev_b32_e32 v6, 16, v6
	v_mul_f32_e32 v6, v27, v6
	v_and_b32_e32 v12, 0x7f800000, v6
	v_cmp_ne_u32_e64 s[4:5], s21, v12
                                        ; implicit-def: $agpr5
	s_and_saveexec_b64 s[22:23], s[4:5]
	s_xor_b64 s[4:5], exec, s[22:23]
; %bb.1159:                             ;   in Loop: Header=BB338_559 Depth=1
	v_bfe_u32 v12, v6, 16, 1
	v_add3_u32 v6, v6, v12, s24
	v_accvgpr_write_b32 a5, v6
                                        ; implicit-def: $vgpr6
; %bb.1160:                             ;   in Loop: Header=BB338_559 Depth=1
	s_andn2_saveexec_b64 s[22:23], s[4:5]
; %bb.1161:                             ;   in Loop: Header=BB338_559 Depth=1
	v_or_b32_e32 v12, 0x10000, v6
	v_cmp_eq_u32_sdwa s[4:5], v6, v37 src0_sel:WORD_0 src1_sel:DWORD
	s_nop 1
	v_cndmask_b32_e64 v6, v12, v6, s[4:5]
	v_accvgpr_write_b32 a5, v6
; %bb.1162:                             ;   in Loop: Header=BB338_559 Depth=1
	s_or_b64 exec, exec, s[22:23]
	v_lshlrev_b32_e32 v6, 16, v7
	v_mul_f32_e32 v6, v40, v6
	v_and_b32_e32 v7, 0x7f800000, v6
	v_cmp_ne_u32_e64 s[4:5], s21, v7
                                        ; implicit-def: $agpr46
	s_and_saveexec_b64 s[22:23], s[4:5]
	s_xor_b64 s[4:5], exec, s[22:23]
; %bb.1163:                             ;   in Loop: Header=BB338_559 Depth=1
	v_bfe_u32 v7, v6, 16, 1
	v_add3_u32 v6, v6, v7, s24
	v_accvgpr_write_b32 a46, v6
                                        ; implicit-def: $vgpr6
; %bb.1164:                             ;   in Loop: Header=BB338_559 Depth=1
	s_andn2_saveexec_b64 s[22:23], s[4:5]
; %bb.1165:                             ;   in Loop: Header=BB338_559 Depth=1
	v_or_b32_e32 v7, 0x10000, v6
	v_cmp_eq_u32_sdwa s[4:5], v6, v37 src0_sel:WORD_0 src1_sel:DWORD
	s_nop 1
	v_cndmask_b32_e64 v6, v7, v6, s[4:5]
	v_accvgpr_write_b32 a46, v6
; %bb.1166:                             ;   in Loop: Header=BB338_559 Depth=1
	s_or_b64 exec, exec, s[22:23]
	v_lshlrev_b32_e32 v6, 16, v9
	v_mul_f32_e32 v6, v41, v6
	v_and_b32_e32 v7, 0x7f800000, v6
	v_cmp_ne_u32_e64 s[4:5], s21, v7
                                        ; implicit-def: $agpr34
	s_and_saveexec_b64 s[22:23], s[4:5]
	s_xor_b64 s[4:5], exec, s[22:23]
; %bb.1167:                             ;   in Loop: Header=BB338_559 Depth=1
	v_bfe_u32 v7, v6, 16, 1
	v_add3_u32 v6, v6, v7, s24
	v_accvgpr_write_b32 a34, v6
                                        ; implicit-def: $vgpr6
; %bb.1168:                             ;   in Loop: Header=BB338_559 Depth=1
	s_andn2_saveexec_b64 s[22:23], s[4:5]
; %bb.1169:                             ;   in Loop: Header=BB338_559 Depth=1
	v_or_b32_e32 v7, 0x10000, v6
	v_cmp_eq_u32_sdwa s[4:5], v6, v37 src0_sel:WORD_0 src1_sel:DWORD
	s_nop 1
	v_cndmask_b32_e64 v6, v7, v6, s[4:5]
	v_accvgpr_write_b32 a34, v6
; %bb.1170:                             ;   in Loop: Header=BB338_559 Depth=1
	s_or_b64 exec, exec, s[22:23]
	v_lshlrev_b32_e32 v6, 16, v8
	v_mul_f32_e32 v6, v42, v6
	v_and_b32_e32 v7, 0x7f800000, v6
	v_cmp_ne_u32_e64 s[4:5], s21, v7
                                        ; implicit-def: $agpr35
	s_and_saveexec_b64 s[22:23], s[4:5]
	s_xor_b64 s[4:5], exec, s[22:23]
; %bb.1171:                             ;   in Loop: Header=BB338_559 Depth=1
	v_bfe_u32 v7, v6, 16, 1
	v_add3_u32 v6, v6, v7, s24
	v_accvgpr_write_b32 a35, v6
                                        ; implicit-def: $vgpr6
; %bb.1172:                             ;   in Loop: Header=BB338_559 Depth=1
	s_andn2_saveexec_b64 s[22:23], s[4:5]
; %bb.1173:                             ;   in Loop: Header=BB338_559 Depth=1
	v_or_b32_e32 v7, 0x10000, v6
	v_cmp_eq_u32_sdwa s[4:5], v6, v37 src0_sel:WORD_0 src1_sel:DWORD
	s_nop 1
	v_cndmask_b32_e64 v6, v7, v6, s[4:5]
	v_accvgpr_write_b32 a35, v6
; %bb.1174:                             ;   in Loop: Header=BB338_559 Depth=1
	s_or_b64 exec, exec, s[22:23]
	v_lshlrev_b32_e32 v5, 16, v5
	v_mul_f32_e32 v5, v43, v5
	v_and_b32_e32 v6, 0x7f800000, v5
	v_cmp_ne_u32_e64 s[4:5], s21, v6
                                        ; implicit-def: $agpr36
	s_and_saveexec_b64 s[22:23], s[4:5]
	s_xor_b64 s[4:5], exec, s[22:23]
; %bb.1175:                             ;   in Loop: Header=BB338_559 Depth=1
	v_bfe_u32 v6, v5, 16, 1
	v_add3_u32 v5, v5, v6, s24
	v_accvgpr_write_b32 a36, v5
                                        ; implicit-def: $vgpr5
; %bb.1176:                             ;   in Loop: Header=BB338_559 Depth=1
	s_andn2_saveexec_b64 s[22:23], s[4:5]
; %bb.1177:                             ;   in Loop: Header=BB338_559 Depth=1
	v_or_b32_e32 v6, 0x10000, v5
	v_cmp_eq_u32_sdwa s[4:5], v5, v37 src0_sel:WORD_0 src1_sel:DWORD
	s_nop 1
	v_cndmask_b32_e64 v5, v6, v5, s[4:5]
	v_accvgpr_write_b32 a36, v5
; %bb.1178:                             ;   in Loop: Header=BB338_559 Depth=1
	s_or_b64 exec, exec, s[22:23]
	v_lshlrev_b32_e32 v4, 16, v4
	v_mul_f32_e32 v4, v44, v4
	v_and_b32_e32 v5, 0x7f800000, v4
	v_cmp_ne_u32_e64 s[4:5], s21, v5
                                        ; implicit-def: $agpr10
	s_and_saveexec_b64 s[22:23], s[4:5]
	s_xor_b64 s[4:5], exec, s[22:23]
; %bb.1179:                             ;   in Loop: Header=BB338_559 Depth=1
	v_bfe_u32 v5, v4, 16, 1
	v_add3_u32 v4, v4, v5, s24
	v_accvgpr_write_b32 a10, v4
                                        ; implicit-def: $vgpr4
; %bb.1180:                             ;   in Loop: Header=BB338_559 Depth=1
	s_andn2_saveexec_b64 s[22:23], s[4:5]
; %bb.1181:                             ;   in Loop: Header=BB338_559 Depth=1
	v_or_b32_e32 v5, 0x10000, v4
	v_cmp_eq_u32_sdwa s[4:5], v4, v37 src0_sel:WORD_0 src1_sel:DWORD
	s_nop 1
	v_cndmask_b32_e64 v4, v5, v4, s[4:5]
	v_accvgpr_write_b32 a10, v4
; %bb.1182:                             ;   in Loop: Header=BB338_559 Depth=1
	s_or_b64 exec, exec, s[22:23]
	v_lshlrev_b32_e32 v0, 16, v0
	v_mul_f32_e32 v0, v45, v0
	v_and_b32_e32 v4, 0x7f800000, v0
	v_cmp_ne_u32_e64 s[4:5], s21, v4
                                        ; implicit-def: $agpr37
	s_and_saveexec_b64 s[22:23], s[4:5]
	s_xor_b64 s[4:5], exec, s[22:23]
; %bb.1183:                             ;   in Loop: Header=BB338_559 Depth=1
	v_bfe_u32 v4, v0, 16, 1
	v_add3_u32 v0, v0, v4, s24
	v_accvgpr_write_b32 a37, v0
                                        ; implicit-def: $vgpr0
; %bb.1184:                             ;   in Loop: Header=BB338_559 Depth=1
	s_andn2_saveexec_b64 s[22:23], s[4:5]
; %bb.1185:                             ;   in Loop: Header=BB338_559 Depth=1
	v_or_b32_e32 v4, 0x10000, v0
	v_cmp_eq_u32_sdwa s[4:5], v0, v37 src0_sel:WORD_0 src1_sel:DWORD
	s_nop 1
	v_cndmask_b32_e64 v0, v4, v0, s[4:5]
	v_accvgpr_write_b32 a37, v0
; %bb.1186:                             ;   in Loop: Header=BB338_559 Depth=1
	s_or_b64 exec, exec, s[22:23]
	scratch_load_dwordx2 v[4:5], off, s32 offset:480 ; 8-byte Folded Reload
	s_waitcnt vmcnt(0)
	v_lshl_add_u64 v[4:5], v[2:3], 0, v[4:5]
	flat_load_dwordx2 v[4:5], v[4:5]
	s_waitcnt vmcnt(0) lgkmcnt(0)
	v_and_b32_e32 v0, 0xff, v4
	v_cvt_f32_fp8_sdwa v0, v0 src0_sel:BYTE_0
	s_nop 0
	v_mul_f32_e32 v6, v1, v0
	v_and_b32_e32 v0, 0x7f800000, v6
	v_cmp_ne_u32_e64 s[4:5], s21, v0
                                        ; implicit-def: $vgpr0
	s_and_saveexec_b64 s[22:23], s[4:5]
	s_xor_b64 s[4:5], exec, s[22:23]
; %bb.1187:                             ;   in Loop: Header=BB338_559 Depth=1
	v_bfe_u32 v0, v6, 16, 1
	v_add3_u32 v0, v6, v0, s24
                                        ; implicit-def: $vgpr6
; %bb.1188:                             ;   in Loop: Header=BB338_559 Depth=1
	s_andn2_saveexec_b64 s[22:23], s[4:5]
; %bb.1189:                             ;   in Loop: Header=BB338_559 Depth=1
	v_or_b32_e32 v0, 0x10000, v6
	v_cmp_eq_u32_sdwa s[4:5], v6, v37 src0_sel:WORD_0 src1_sel:DWORD
	s_nop 1
	v_cndmask_b32_e64 v0, v0, v6, s[4:5]
; %bb.1190:                             ;   in Loop: Header=BB338_559 Depth=1
	s_or_b64 exec, exec, s[22:23]
	v_bfe_u32 v6, v4, 8, 8
	v_cvt_f32_fp8_sdwa v6, v6 src0_sel:BYTE_0
	s_nop 0
	v_mul_f32_e32 v7, v1, v6
	v_and_b32_e32 v6, 0x7f800000, v7
	v_cmp_ne_u32_e64 s[4:5], s21, v6
                                        ; implicit-def: $vgpr6
	s_and_saveexec_b64 s[22:23], s[4:5]
	s_xor_b64 s[4:5], exec, s[22:23]
; %bb.1191:                             ;   in Loop: Header=BB338_559 Depth=1
	v_bfe_u32 v6, v7, 16, 1
	v_add3_u32 v6, v7, v6, s24
                                        ; implicit-def: $vgpr7
; %bb.1192:                             ;   in Loop: Header=BB338_559 Depth=1
	s_andn2_saveexec_b64 s[22:23], s[4:5]
; %bb.1193:                             ;   in Loop: Header=BB338_559 Depth=1
	v_or_b32_e32 v6, 0x10000, v7
	v_cmp_eq_u32_sdwa s[4:5], v7, v37 src0_sel:WORD_0 src1_sel:DWORD
	s_nop 1
	v_cndmask_b32_e64 v6, v6, v7, s[4:5]
; %bb.1194:                             ;   in Loop: Header=BB338_559 Depth=1
	s_or_b64 exec, exec, s[22:23]
	v_bfe_u32 v7, v4, 16, 8
	v_cvt_f32_fp8_sdwa v7, v7 src0_sel:BYTE_0
	s_nop 0
	v_mul_f32_e32 v8, v1, v7
	v_and_b32_e32 v7, 0x7f800000, v8
	v_cmp_ne_u32_e64 s[4:5], s21, v7
                                        ; implicit-def: $vgpr7
	s_and_saveexec_b64 s[22:23], s[4:5]
	s_xor_b64 s[4:5], exec, s[22:23]
; %bb.1195:                             ;   in Loop: Header=BB338_559 Depth=1
	v_bfe_u32 v7, v8, 16, 1
	v_add3_u32 v7, v8, v7, s24
                                        ; implicit-def: $vgpr8
; %bb.1196:                             ;   in Loop: Header=BB338_559 Depth=1
	s_andn2_saveexec_b64 s[22:23], s[4:5]
; %bb.1197:                             ;   in Loop: Header=BB338_559 Depth=1
	v_or_b32_e32 v7, 0x10000, v8
	v_cmp_eq_u32_sdwa s[4:5], v8, v37 src0_sel:WORD_0 src1_sel:DWORD
	s_nop 1
	v_cndmask_b32_e64 v7, v7, v8, s[4:5]
; %bb.1198:                             ;   in Loop: Header=BB338_559 Depth=1
	s_or_b64 exec, exec, s[22:23]
	v_lshrrev_b32_e32 v4, 24, v4
	v_cvt_f32_fp8_sdwa v4, v4 src0_sel:BYTE_0
	s_nop 0
	v_mul_f32_e32 v8, v1, v4
	v_and_b32_e32 v4, 0x7f800000, v8
	v_cmp_ne_u32_e64 s[4:5], s21, v4
                                        ; implicit-def: $vgpr4
	s_and_saveexec_b64 s[22:23], s[4:5]
	s_xor_b64 s[4:5], exec, s[22:23]
; %bb.1199:                             ;   in Loop: Header=BB338_559 Depth=1
	v_bfe_u32 v4, v8, 16, 1
	v_add3_u32 v4, v8, v4, s24
                                        ; implicit-def: $vgpr8
; %bb.1200:                             ;   in Loop: Header=BB338_559 Depth=1
	s_andn2_saveexec_b64 s[22:23], s[4:5]
; %bb.1201:                             ;   in Loop: Header=BB338_559 Depth=1
	v_or_b32_e32 v4, 0x10000, v8
	v_cmp_eq_u32_sdwa s[4:5], v8, v37 src0_sel:WORD_0 src1_sel:DWORD
	s_nop 1
	v_cndmask_b32_e64 v4, v4, v8, s[4:5]
; %bb.1202:                             ;   in Loop: Header=BB338_559 Depth=1
	s_or_b64 exec, exec, s[22:23]
	v_and_b32_e32 v8, 0xff, v5
	v_cvt_f32_fp8_sdwa v8, v8 src0_sel:BYTE_0
	s_nop 0
	v_mul_f32_e32 v9, v1, v8
	v_and_b32_e32 v8, 0x7f800000, v9
	v_cmp_ne_u32_e64 s[4:5], s21, v8
                                        ; implicit-def: $vgpr8
	s_and_saveexec_b64 s[22:23], s[4:5]
	s_xor_b64 s[4:5], exec, s[22:23]
; %bb.1203:                             ;   in Loop: Header=BB338_559 Depth=1
	v_bfe_u32 v8, v9, 16, 1
	v_add3_u32 v8, v9, v8, s24
                                        ; implicit-def: $vgpr9
; %bb.1204:                             ;   in Loop: Header=BB338_559 Depth=1
	s_andn2_saveexec_b64 s[22:23], s[4:5]
; %bb.1205:                             ;   in Loop: Header=BB338_559 Depth=1
	v_or_b32_e32 v8, 0x10000, v9
	v_cmp_eq_u32_sdwa s[4:5], v9, v37 src0_sel:WORD_0 src1_sel:DWORD
	s_nop 1
	v_cndmask_b32_e64 v8, v8, v9, s[4:5]
; %bb.1206:                             ;   in Loop: Header=BB338_559 Depth=1
	s_or_b64 exec, exec, s[22:23]
	v_bfe_u32 v9, v5, 8, 8
	v_cvt_f32_fp8_sdwa v9, v9 src0_sel:BYTE_0
	s_nop 0
	v_mul_f32_e32 v12, v1, v9
	v_and_b32_e32 v9, 0x7f800000, v12
	v_cmp_ne_u32_e64 s[4:5], s21, v9
                                        ; implicit-def: $vgpr9
	s_and_saveexec_b64 s[22:23], s[4:5]
	s_xor_b64 s[4:5], exec, s[22:23]
; %bb.1207:                             ;   in Loop: Header=BB338_559 Depth=1
	v_bfe_u32 v9, v12, 16, 1
	v_add3_u32 v9, v12, v9, s24
                                        ; implicit-def: $vgpr12
; %bb.1208:                             ;   in Loop: Header=BB338_559 Depth=1
	s_andn2_saveexec_b64 s[22:23], s[4:5]
; %bb.1209:                             ;   in Loop: Header=BB338_559 Depth=1
	v_or_b32_e32 v9, 0x10000, v12
	v_cmp_eq_u32_sdwa s[4:5], v12, v37 src0_sel:WORD_0 src1_sel:DWORD
	s_nop 1
	v_cndmask_b32_e64 v9, v9, v12, s[4:5]
; %bb.1210:                             ;   in Loop: Header=BB338_559 Depth=1
	s_or_b64 exec, exec, s[22:23]
	v_bfe_u32 v12, v5, 16, 8
	v_cvt_f32_fp8_sdwa v12, v12 src0_sel:BYTE_0
	s_nop 0
	v_mul_f32_e32 v13, v1, v12
	v_and_b32_e32 v12, 0x7f800000, v13
	v_cmp_ne_u32_e64 s[4:5], s21, v12
                                        ; implicit-def: $vgpr12
	s_and_saveexec_b64 s[22:23], s[4:5]
	s_xor_b64 s[4:5], exec, s[22:23]
; %bb.1211:                             ;   in Loop: Header=BB338_559 Depth=1
	v_bfe_u32 v12, v13, 16, 1
	v_add3_u32 v12, v13, v12, s24
                                        ; implicit-def: $vgpr13
; %bb.1212:                             ;   in Loop: Header=BB338_559 Depth=1
	s_andn2_saveexec_b64 s[22:23], s[4:5]
; %bb.1213:                             ;   in Loop: Header=BB338_559 Depth=1
	v_or_b32_e32 v12, 0x10000, v13
	v_cmp_eq_u32_sdwa s[4:5], v13, v37 src0_sel:WORD_0 src1_sel:DWORD
	s_nop 1
	v_cndmask_b32_e64 v12, v12, v13, s[4:5]
; %bb.1214:                             ;   in Loop: Header=BB338_559 Depth=1
	s_or_b64 exec, exec, s[22:23]
	v_lshrrev_b32_e32 v5, 24, v5
	v_cvt_f32_fp8_sdwa v5, v5 src0_sel:BYTE_0
                                        ; implicit-def: $vgpr14
	s_nop 0
	v_mul_f32_e32 v5, v1, v5
	v_and_b32_e32 v13, 0x7f800000, v5
	v_cmp_ne_u32_e64 s[4:5], s21, v13
	s_and_saveexec_b64 s[22:23], s[4:5]
	s_xor_b64 s[4:5], exec, s[22:23]
; %bb.1215:                             ;   in Loop: Header=BB338_559 Depth=1
	v_bfe_u32 v13, v5, 16, 1
	v_add3_u32 v14, v5, v13, s24
                                        ; implicit-def: $vgpr5
; %bb.1216:                             ;   in Loop: Header=BB338_559 Depth=1
	s_andn2_saveexec_b64 s[22:23], s[4:5]
; %bb.1217:                             ;   in Loop: Header=BB338_559 Depth=1
	v_or_b32_e32 v13, 0x10000, v5
	v_cmp_eq_u32_sdwa s[4:5], v5, v37 src0_sel:WORD_0 src1_sel:DWORD
	s_nop 1
	v_cndmask_b32_e64 v14, v13, v5, s[4:5]
; %bb.1218:                             ;   in Loop: Header=BB338_559 Depth=1
	s_or_b64 exec, exec, s[22:23]
	v_lshrrev_b32_e32 v5, 16, v9
	v_lshrrev_b32_e32 v8, 16, v8
	;; [unrolled: 1-line block ×8, first 2 shown]
	s_and_saveexec_b64 s[22:23], vcc
	s_cbranch_execz .LBB338_1220
; %bb.1219:                             ;   in Loop: Header=BB338_559 Depth=1
	scratch_load_dword v12, off, s32 offset:188 ; 4-byte Folded Reload
	v_accvgpr_read_b32 v14, a2
	s_waitcnt vmcnt(0)
	v_cmp_lt_i32_e64 s[4:5], v38, v12
	s_nop 1
	v_cndmask_b32_e64 v13, 0, v13, s[4:5]
	v_cmp_lt_i32_e64 s[4:5], v14, v12
	v_mov_b32_e32 v14, v57
	s_nop 0
	v_cndmask_b32_e64 v6, 0, v6, s[4:5]
	v_cmp_lt_i32_e64 s[4:5], v14, v12
	v_accvgpr_read_b32 v14, a1
	s_nop 0
	v_cndmask_b32_e64 v7, 0, v7, s[4:5]
	v_cmp_lt_i32_e64 s[4:5], v14, v12
	v_accvgpr_read_b32 v14, a0
	;; [unrolled: 4-line block ×5, first 2 shown]
	s_nop 0
	v_cndmask_b32_e64 v4, 0, v4, s[4:5]
	v_cmp_lt_i32_e64 s[4:5], v14, v12
	s_nop 1
	v_cndmask_b32_e64 v0, 0, v0, s[4:5]
.LBB338_1220:                           ;   in Loop: Header=BB338_559 Depth=1
	s_or_b64 exec, exec, s[22:23]
	v_lshlrev_b32_e32 v12, 16, v13
	v_mul_f32_e32 v12, v26, v12
	v_and_b32_e32 v13, 0x7f800000, v12
	v_cmp_ne_u32_e64 s[4:5], s21, v13
                                        ; implicit-def: $agpr40
	s_and_saveexec_b64 s[22:23], s[4:5]
	s_xor_b64 s[4:5], exec, s[22:23]
; %bb.1221:                             ;   in Loop: Header=BB338_559 Depth=1
	v_bfe_u32 v13, v12, 16, 1
	v_add3_u32 v12, v12, v13, s24
	v_accvgpr_write_b32 a40, v12
                                        ; implicit-def: $vgpr12
; %bb.1222:                             ;   in Loop: Header=BB338_559 Depth=1
	s_andn2_saveexec_b64 s[22:23], s[4:5]
; %bb.1223:                             ;   in Loop: Header=BB338_559 Depth=1
	v_or_b32_e32 v13, 0x10000, v12
	v_cmp_eq_u32_sdwa s[4:5], v12, v37 src0_sel:WORD_0 src1_sel:DWORD
	s_nop 1
	v_cndmask_b32_e64 v12, v13, v12, s[4:5]
	v_accvgpr_write_b32 a40, v12
; %bb.1224:                             ;   in Loop: Header=BB338_559 Depth=1
	s_or_b64 exec, exec, s[22:23]
	v_lshlrev_b32_e32 v6, 16, v6
	v_mul_f32_e32 v6, v27, v6
	v_and_b32_e32 v12, 0x7f800000, v6
	v_cmp_ne_u32_e64 s[4:5], s21, v12
                                        ; implicit-def: $agpr41
	s_and_saveexec_b64 s[22:23], s[4:5]
	s_xor_b64 s[4:5], exec, s[22:23]
; %bb.1225:                             ;   in Loop: Header=BB338_559 Depth=1
	v_bfe_u32 v12, v6, 16, 1
	v_add3_u32 v6, v6, v12, s24
	v_accvgpr_write_b32 a41, v6
                                        ; implicit-def: $vgpr6
; %bb.1226:                             ;   in Loop: Header=BB338_559 Depth=1
	s_andn2_saveexec_b64 s[22:23], s[4:5]
; %bb.1227:                             ;   in Loop: Header=BB338_559 Depth=1
	v_or_b32_e32 v12, 0x10000, v6
	v_cmp_eq_u32_sdwa s[4:5], v6, v37 src0_sel:WORD_0 src1_sel:DWORD
	s_nop 1
	v_cndmask_b32_e64 v6, v12, v6, s[4:5]
	v_accvgpr_write_b32 a41, v6
; %bb.1228:                             ;   in Loop: Header=BB338_559 Depth=1
	s_or_b64 exec, exec, s[22:23]
	v_lshlrev_b32_e32 v6, 16, v7
	v_mul_f32_e32 v6, v40, v6
	v_and_b32_e32 v7, 0x7f800000, v6
	v_cmp_ne_u32_e64 s[4:5], s21, v7
                                        ; implicit-def: $agpr42
	s_and_saveexec_b64 s[22:23], s[4:5]
	s_xor_b64 s[4:5], exec, s[22:23]
; %bb.1229:                             ;   in Loop: Header=BB338_559 Depth=1
	v_bfe_u32 v7, v6, 16, 1
	v_add3_u32 v6, v6, v7, s24
	v_accvgpr_write_b32 a42, v6
                                        ; implicit-def: $vgpr6
; %bb.1230:                             ;   in Loop: Header=BB338_559 Depth=1
	s_andn2_saveexec_b64 s[22:23], s[4:5]
; %bb.1231:                             ;   in Loop: Header=BB338_559 Depth=1
	v_or_b32_e32 v7, 0x10000, v6
	v_cmp_eq_u32_sdwa s[4:5], v6, v37 src0_sel:WORD_0 src1_sel:DWORD
	s_nop 1
	v_cndmask_b32_e64 v6, v7, v6, s[4:5]
	v_accvgpr_write_b32 a42, v6
; %bb.1232:                             ;   in Loop: Header=BB338_559 Depth=1
	s_or_b64 exec, exec, s[22:23]
	v_lshlrev_b32_e32 v6, 16, v9
	v_mul_f32_e32 v6, v41, v6
	v_and_b32_e32 v7, 0x7f800000, v6
	v_cmp_ne_u32_e64 s[4:5], s21, v7
                                        ; implicit-def: $agpr43
	s_and_saveexec_b64 s[22:23], s[4:5]
	s_xor_b64 s[4:5], exec, s[22:23]
; %bb.1233:                             ;   in Loop: Header=BB338_559 Depth=1
	v_bfe_u32 v7, v6, 16, 1
	v_add3_u32 v6, v6, v7, s24
	v_accvgpr_write_b32 a43, v6
                                        ; implicit-def: $vgpr6
; %bb.1234:                             ;   in Loop: Header=BB338_559 Depth=1
	s_andn2_saveexec_b64 s[22:23], s[4:5]
; %bb.1235:                             ;   in Loop: Header=BB338_559 Depth=1
	v_or_b32_e32 v7, 0x10000, v6
	v_cmp_eq_u32_sdwa s[4:5], v6, v37 src0_sel:WORD_0 src1_sel:DWORD
	s_nop 1
	v_cndmask_b32_e64 v6, v7, v6, s[4:5]
	v_accvgpr_write_b32 a43, v6
; %bb.1236:                             ;   in Loop: Header=BB338_559 Depth=1
	s_or_b64 exec, exec, s[22:23]
	v_lshlrev_b32_e32 v6, 16, v8
	v_mul_f32_e32 v6, v42, v6
	v_and_b32_e32 v7, 0x7f800000, v6
	v_cmp_ne_u32_e64 s[4:5], s21, v7
                                        ; implicit-def: $agpr44
	s_and_saveexec_b64 s[22:23], s[4:5]
	s_xor_b64 s[4:5], exec, s[22:23]
; %bb.1237:                             ;   in Loop: Header=BB338_559 Depth=1
	v_bfe_u32 v7, v6, 16, 1
	v_add3_u32 v6, v6, v7, s24
	v_accvgpr_write_b32 a44, v6
                                        ; implicit-def: $vgpr6
; %bb.1238:                             ;   in Loop: Header=BB338_559 Depth=1
	s_andn2_saveexec_b64 s[22:23], s[4:5]
; %bb.1239:                             ;   in Loop: Header=BB338_559 Depth=1
	v_or_b32_e32 v7, 0x10000, v6
	v_cmp_eq_u32_sdwa s[4:5], v6, v37 src0_sel:WORD_0 src1_sel:DWORD
	s_nop 1
	v_cndmask_b32_e64 v6, v7, v6, s[4:5]
	v_accvgpr_write_b32 a44, v6
; %bb.1240:                             ;   in Loop: Header=BB338_559 Depth=1
	s_or_b64 exec, exec, s[22:23]
	v_lshlrev_b32_e32 v5, 16, v5
	v_mul_f32_e32 v5, v43, v5
	v_and_b32_e32 v6, 0x7f800000, v5
	v_cmp_ne_u32_e64 s[4:5], s21, v6
                                        ; implicit-def: $agpr45
	s_and_saveexec_b64 s[22:23], s[4:5]
	s_xor_b64 s[4:5], exec, s[22:23]
; %bb.1241:                             ;   in Loop: Header=BB338_559 Depth=1
	v_bfe_u32 v6, v5, 16, 1
	v_add3_u32 v5, v5, v6, s24
	v_accvgpr_write_b32 a45, v5
                                        ; implicit-def: $vgpr5
; %bb.1242:                             ;   in Loop: Header=BB338_559 Depth=1
	s_andn2_saveexec_b64 s[22:23], s[4:5]
; %bb.1243:                             ;   in Loop: Header=BB338_559 Depth=1
	v_or_b32_e32 v6, 0x10000, v5
	v_cmp_eq_u32_sdwa s[4:5], v5, v37 src0_sel:WORD_0 src1_sel:DWORD
	s_nop 1
	v_cndmask_b32_e64 v5, v6, v5, s[4:5]
	v_accvgpr_write_b32 a45, v5
; %bb.1244:                             ;   in Loop: Header=BB338_559 Depth=1
	s_or_b64 exec, exec, s[22:23]
	v_lshlrev_b32_e32 v4, 16, v4
	v_mul_f32_e32 v4, v44, v4
	v_and_b32_e32 v5, 0x7f800000, v4
	v_cmp_ne_u32_e64 s[4:5], s21, v5
                                        ; implicit-def: $agpr48
	s_and_saveexec_b64 s[22:23], s[4:5]
	s_xor_b64 s[4:5], exec, s[22:23]
; %bb.1245:                             ;   in Loop: Header=BB338_559 Depth=1
	v_bfe_u32 v5, v4, 16, 1
	v_add3_u32 v4, v4, v5, s24
	v_accvgpr_write_b32 a48, v4
                                        ; implicit-def: $vgpr4
; %bb.1246:                             ;   in Loop: Header=BB338_559 Depth=1
	s_andn2_saveexec_b64 s[22:23], s[4:5]
; %bb.1247:                             ;   in Loop: Header=BB338_559 Depth=1
	v_or_b32_e32 v5, 0x10000, v4
	v_cmp_eq_u32_sdwa s[4:5], v4, v37 src0_sel:WORD_0 src1_sel:DWORD
	s_nop 1
	v_cndmask_b32_e64 v4, v5, v4, s[4:5]
	v_accvgpr_write_b32 a48, v4
; %bb.1248:                             ;   in Loop: Header=BB338_559 Depth=1
	s_or_b64 exec, exec, s[22:23]
	v_lshlrev_b32_e32 v0, 16, v0
	v_mul_f32_e32 v0, v45, v0
	v_and_b32_e32 v4, 0x7f800000, v0
	v_cmp_ne_u32_e64 s[4:5], s21, v4
                                        ; implicit-def: $agpr49
	s_and_saveexec_b64 s[22:23], s[4:5]
	s_xor_b64 s[4:5], exec, s[22:23]
; %bb.1249:                             ;   in Loop: Header=BB338_559 Depth=1
	v_bfe_u32 v4, v0, 16, 1
	v_add3_u32 v0, v0, v4, s24
	v_accvgpr_write_b32 a49, v0
                                        ; implicit-def: $vgpr0
; %bb.1250:                             ;   in Loop: Header=BB338_559 Depth=1
	s_andn2_saveexec_b64 s[22:23], s[4:5]
; %bb.1251:                             ;   in Loop: Header=BB338_559 Depth=1
	v_or_b32_e32 v4, 0x10000, v0
	v_cmp_eq_u32_sdwa s[4:5], v0, v37 src0_sel:WORD_0 src1_sel:DWORD
	s_nop 1
	v_cndmask_b32_e64 v0, v4, v0, s[4:5]
	v_accvgpr_write_b32 a49, v0
; %bb.1252:                             ;   in Loop: Header=BB338_559 Depth=1
	s_or_b64 exec, exec, s[22:23]
	scratch_load_dwordx2 v[4:5], off, s32 offset:488 ; 8-byte Folded Reload
	s_waitcnt vmcnt(0)
	v_lshl_add_u64 v[4:5], v[2:3], 0, v[4:5]
	flat_load_dwordx2 v[4:5], v[4:5]
	s_waitcnt vmcnt(0) lgkmcnt(0)
	v_and_b32_e32 v0, 0xff, v4
	v_cvt_f32_fp8_sdwa v0, v0 src0_sel:BYTE_0
	s_nop 0
	v_mul_f32_e32 v0, v1, v0
	v_and_b32_e32 v6, 0x7f800000, v0
	v_cmp_ne_u32_e64 s[4:5], s21, v6
                                        ; implicit-def: $vgpr6
	s_and_saveexec_b64 s[22:23], s[4:5]
	s_xor_b64 s[4:5], exec, s[22:23]
; %bb.1253:                             ;   in Loop: Header=BB338_559 Depth=1
	v_bfe_u32 v6, v0, 16, 1
	v_add3_u32 v6, v0, v6, s24
                                        ; implicit-def: $vgpr0
; %bb.1254:                             ;   in Loop: Header=BB338_559 Depth=1
	s_andn2_saveexec_b64 s[22:23], s[4:5]
; %bb.1255:                             ;   in Loop: Header=BB338_559 Depth=1
	v_or_b32_e32 v6, 0x10000, v0
	v_cmp_eq_u32_sdwa s[4:5], v0, v37 src0_sel:WORD_0 src1_sel:DWORD
	s_nop 1
	v_cndmask_b32_e64 v6, v6, v0, s[4:5]
; %bb.1256:                             ;   in Loop: Header=BB338_559 Depth=1
	s_or_b64 exec, exec, s[22:23]
	v_bfe_u32 v0, v4, 8, 8
	v_cvt_f32_fp8_sdwa v0, v0 src0_sel:BYTE_0
	s_nop 0
	v_mul_f32_e32 v0, v1, v0
	v_and_b32_e32 v7, 0x7f800000, v0
	v_cmp_ne_u32_e64 s[4:5], s21, v7
                                        ; implicit-def: $vgpr7
	s_and_saveexec_b64 s[22:23], s[4:5]
	s_xor_b64 s[4:5], exec, s[22:23]
; %bb.1257:                             ;   in Loop: Header=BB338_559 Depth=1
	v_bfe_u32 v7, v0, 16, 1
	v_add3_u32 v7, v0, v7, s24
                                        ; implicit-def: $vgpr0
; %bb.1258:                             ;   in Loop: Header=BB338_559 Depth=1
	s_andn2_saveexec_b64 s[22:23], s[4:5]
; %bb.1259:                             ;   in Loop: Header=BB338_559 Depth=1
	v_or_b32_e32 v7, 0x10000, v0
	v_cmp_eq_u32_sdwa s[4:5], v0, v37 src0_sel:WORD_0 src1_sel:DWORD
	s_nop 1
	v_cndmask_b32_e64 v7, v7, v0, s[4:5]
; %bb.1260:                             ;   in Loop: Header=BB338_559 Depth=1
	s_or_b64 exec, exec, s[22:23]
	v_bfe_u32 v0, v4, 16, 8
	v_cvt_f32_fp8_sdwa v0, v0 src0_sel:BYTE_0
                                        ; implicit-def: $vgpr9
	s_nop 0
	v_mul_f32_e32 v0, v1, v0
	v_and_b32_e32 v8, 0x7f800000, v0
	v_cmp_ne_u32_e64 s[4:5], s21, v8
	s_and_saveexec_b64 s[22:23], s[4:5]
	s_xor_b64 s[4:5], exec, s[22:23]
; %bb.1261:                             ;   in Loop: Header=BB338_559 Depth=1
	v_bfe_u32 v8, v0, 16, 1
	v_add3_u32 v9, v0, v8, s24
                                        ; implicit-def: $vgpr0
; %bb.1262:                             ;   in Loop: Header=BB338_559 Depth=1
	s_andn2_saveexec_b64 s[22:23], s[4:5]
; %bb.1263:                             ;   in Loop: Header=BB338_559 Depth=1
	v_or_b32_e32 v8, 0x10000, v0
	v_cmp_eq_u32_sdwa s[4:5], v0, v37 src0_sel:WORD_0 src1_sel:DWORD
	s_nop 1
	v_cndmask_b32_e64 v9, v8, v0, s[4:5]
; %bb.1264:                             ;   in Loop: Header=BB338_559 Depth=1
	s_or_b64 exec, exec, s[22:23]
	v_lshrrev_b32_e32 v0, 24, v4
	v_cvt_f32_fp8_sdwa v0, v0 src0_sel:BYTE_0
	s_nop 0
	v_mul_f32_e32 v4, v1, v0
	v_and_b32_e32 v0, 0x7f800000, v4
	v_cmp_ne_u32_e64 s[4:5], s21, v0
                                        ; implicit-def: $vgpr0
	s_and_saveexec_b64 s[22:23], s[4:5]
	s_xor_b64 s[4:5], exec, s[22:23]
; %bb.1265:                             ;   in Loop: Header=BB338_559 Depth=1
	v_bfe_u32 v0, v4, 16, 1
	v_add3_u32 v0, v4, v0, s24
                                        ; implicit-def: $vgpr4
; %bb.1266:                             ;   in Loop: Header=BB338_559 Depth=1
	s_andn2_saveexec_b64 s[22:23], s[4:5]
; %bb.1267:                             ;   in Loop: Header=BB338_559 Depth=1
	v_or_b32_e32 v0, 0x10000, v4
	v_cmp_eq_u32_sdwa s[4:5], v4, v37 src0_sel:WORD_0 src1_sel:DWORD
	s_nop 1
	v_cndmask_b32_e64 v0, v0, v4, s[4:5]
; %bb.1268:                             ;   in Loop: Header=BB338_559 Depth=1
	s_or_b64 exec, exec, s[22:23]
	v_and_b32_e32 v4, 0xff, v5
	v_cvt_f32_fp8_sdwa v4, v4 src0_sel:BYTE_0
	s_nop 0
	v_mul_f32_e32 v8, v1, v4
	v_and_b32_e32 v4, 0x7f800000, v8
	v_cmp_ne_u32_e64 s[4:5], s21, v4
                                        ; implicit-def: $vgpr4
	s_and_saveexec_b64 s[22:23], s[4:5]
	s_xor_b64 s[4:5], exec, s[22:23]
; %bb.1269:                             ;   in Loop: Header=BB338_559 Depth=1
	v_bfe_u32 v4, v8, 16, 1
	v_add3_u32 v4, v8, v4, s24
                                        ; implicit-def: $vgpr8
; %bb.1270:                             ;   in Loop: Header=BB338_559 Depth=1
	s_andn2_saveexec_b64 s[22:23], s[4:5]
; %bb.1271:                             ;   in Loop: Header=BB338_559 Depth=1
	v_or_b32_e32 v4, 0x10000, v8
	v_cmp_eq_u32_sdwa s[4:5], v8, v37 src0_sel:WORD_0 src1_sel:DWORD
	s_nop 1
	v_cndmask_b32_e64 v4, v4, v8, s[4:5]
; %bb.1272:                             ;   in Loop: Header=BB338_559 Depth=1
	s_or_b64 exec, exec, s[22:23]
	v_bfe_u32 v8, v5, 8, 8
	v_cvt_f32_fp8_sdwa v8, v8 src0_sel:BYTE_0
	s_nop 0
	v_mul_f32_e32 v12, v1, v8
	v_and_b32_e32 v8, 0x7f800000, v12
	v_cmp_ne_u32_e64 s[4:5], s21, v8
                                        ; implicit-def: $vgpr8
	s_and_saveexec_b64 s[22:23], s[4:5]
	s_xor_b64 s[4:5], exec, s[22:23]
; %bb.1273:                             ;   in Loop: Header=BB338_559 Depth=1
	v_bfe_u32 v8, v12, 16, 1
	v_add3_u32 v8, v12, v8, s24
                                        ; implicit-def: $vgpr12
; %bb.1274:                             ;   in Loop: Header=BB338_559 Depth=1
	s_andn2_saveexec_b64 s[22:23], s[4:5]
; %bb.1275:                             ;   in Loop: Header=BB338_559 Depth=1
	v_or_b32_e32 v8, 0x10000, v12
	v_cmp_eq_u32_sdwa s[4:5], v12, v37 src0_sel:WORD_0 src1_sel:DWORD
	s_nop 1
	v_cndmask_b32_e64 v8, v8, v12, s[4:5]
; %bb.1276:                             ;   in Loop: Header=BB338_559 Depth=1
	s_or_b64 exec, exec, s[22:23]
	v_bfe_u32 v12, v5, 16, 8
	v_cvt_f32_fp8_sdwa v12, v12 src0_sel:BYTE_0
	s_nop 0
	v_mul_f32_e32 v12, v1, v12
	v_and_b32_e32 v13, 0x7f800000, v12
	v_cmp_ne_u32_e64 s[4:5], s21, v13
                                        ; implicit-def: $vgpr13
	s_and_saveexec_b64 s[22:23], s[4:5]
	s_xor_b64 s[4:5], exec, s[22:23]
; %bb.1277:                             ;   in Loop: Header=BB338_559 Depth=1
	v_bfe_u32 v13, v12, 16, 1
	v_add3_u32 v13, v12, v13, s24
                                        ; implicit-def: $vgpr12
; %bb.1278:                             ;   in Loop: Header=BB338_559 Depth=1
	s_andn2_saveexec_b64 s[22:23], s[4:5]
; %bb.1279:                             ;   in Loop: Header=BB338_559 Depth=1
	v_or_b32_e32 v13, 0x10000, v12
	v_cmp_eq_u32_sdwa s[4:5], v12, v37 src0_sel:WORD_0 src1_sel:DWORD
	s_nop 1
	v_cndmask_b32_e64 v13, v13, v12, s[4:5]
; %bb.1280:                             ;   in Loop: Header=BB338_559 Depth=1
	s_or_b64 exec, exec, s[22:23]
	v_lshrrev_b32_e32 v5, 24, v5
	v_cvt_f32_fp8_sdwa v5, v5 src0_sel:BYTE_0
                                        ; implicit-def: $vgpr14
	s_nop 0
	v_mul_f32_e32 v5, v1, v5
	v_and_b32_e32 v12, 0x7f800000, v5
	v_cmp_ne_u32_e64 s[4:5], s21, v12
	s_and_saveexec_b64 s[22:23], s[4:5]
	s_xor_b64 s[4:5], exec, s[22:23]
; %bb.1281:                             ;   in Loop: Header=BB338_559 Depth=1
	v_bfe_u32 v12, v5, 16, 1
	v_add3_u32 v14, v5, v12, s24
                                        ; implicit-def: $vgpr5
; %bb.1282:                             ;   in Loop: Header=BB338_559 Depth=1
	s_andn2_saveexec_b64 s[22:23], s[4:5]
; %bb.1283:                             ;   in Loop: Header=BB338_559 Depth=1
	v_or_b32_e32 v12, 0x10000, v5
	v_cmp_eq_u32_sdwa s[4:5], v5, v37 src0_sel:WORD_0 src1_sel:DWORD
	s_nop 1
	v_cndmask_b32_e64 v14, v12, v5, s[4:5]
; %bb.1284:                             ;   in Loop: Header=BB338_559 Depth=1
	s_or_b64 exec, exec, s[22:23]
	v_lshrrev_b32_e32 v8, 16, v8
	v_lshrrev_b32_e32 v12, 16, v4
	;; [unrolled: 1-line block ×8, first 2 shown]
	s_and_saveexec_b64 s[22:23], vcc
	s_cbranch_execz .LBB338_1286
; %bb.1285:                             ;   in Loop: Header=BB338_559 Depth=1
	scratch_load_dword v13, off, s32 offset:188 ; 4-byte Folded Reload
	v_accvgpr_read_b32 v14, a2
	s_waitcnt vmcnt(0)
	v_cmp_lt_i32_e64 s[4:5], v38, v13
	s_nop 1
	v_cndmask_b32_e64 v6, 0, v6, s[4:5]
	v_cmp_lt_i32_e64 s[4:5], v14, v13
	v_mov_b32_e32 v14, v57
	s_nop 0
	v_cndmask_b32_e64 v7, 0, v7, s[4:5]
	v_cmp_lt_i32_e64 s[4:5], v14, v13
	v_accvgpr_read_b32 v14, a1
	s_nop 0
	v_cndmask_b32_e64 v9, 0, v9, s[4:5]
	v_cmp_lt_i32_e64 s[4:5], v14, v13
	v_accvgpr_read_b32 v14, a0
	;; [unrolled: 4-line block ×5, first 2 shown]
	s_nop 0
	v_cndmask_b32_e64 v5, 0, v5, s[4:5]
	v_cmp_lt_i32_e64 s[4:5], v14, v13
	s_nop 1
	v_cndmask_b32_e64 v4, 0, v4, s[4:5]
.LBB338_1286:                           ;   in Loop: Header=BB338_559 Depth=1
	s_or_b64 exec, exec, s[22:23]
	v_lshlrev_b32_e32 v6, 16, v6
	v_mul_f32_e32 v6, v26, v6
	v_and_b32_e32 v13, 0x7f800000, v6
	v_cmp_ne_u32_e64 s[4:5], s21, v13
                                        ; implicit-def: $agpr50
	s_and_saveexec_b64 s[22:23], s[4:5]
	s_xor_b64 s[4:5], exec, s[22:23]
; %bb.1287:                             ;   in Loop: Header=BB338_559 Depth=1
	v_bfe_u32 v13, v6, 16, 1
	v_add3_u32 v6, v6, v13, s24
	v_accvgpr_write_b32 a50, v6
                                        ; implicit-def: $vgpr6
; %bb.1288:                             ;   in Loop: Header=BB338_559 Depth=1
	s_andn2_saveexec_b64 s[22:23], s[4:5]
; %bb.1289:                             ;   in Loop: Header=BB338_559 Depth=1
	v_or_b32_e32 v13, 0x10000, v6
	v_cmp_eq_u32_sdwa s[4:5], v6, v37 src0_sel:WORD_0 src1_sel:DWORD
	s_nop 1
	v_cndmask_b32_e64 v6, v13, v6, s[4:5]
	v_accvgpr_write_b32 a50, v6
; %bb.1290:                             ;   in Loop: Header=BB338_559 Depth=1
	s_or_b64 exec, exec, s[22:23]
	v_lshlrev_b32_e32 v6, 16, v7
	v_mul_f32_e32 v6, v27, v6
	v_and_b32_e32 v7, 0x7f800000, v6
	v_cmp_ne_u32_e64 s[4:5], s21, v7
                                        ; implicit-def: $agpr51
	s_and_saveexec_b64 s[22:23], s[4:5]
	s_xor_b64 s[4:5], exec, s[22:23]
; %bb.1291:                             ;   in Loop: Header=BB338_559 Depth=1
	v_bfe_u32 v7, v6, 16, 1
	v_add3_u32 v6, v6, v7, s24
	v_accvgpr_write_b32 a51, v6
                                        ; implicit-def: $vgpr6
; %bb.1292:                             ;   in Loop: Header=BB338_559 Depth=1
	s_andn2_saveexec_b64 s[22:23], s[4:5]
; %bb.1293:                             ;   in Loop: Header=BB338_559 Depth=1
	v_or_b32_e32 v7, 0x10000, v6
	v_cmp_eq_u32_sdwa s[4:5], v6, v37 src0_sel:WORD_0 src1_sel:DWORD
	s_nop 1
	v_cndmask_b32_e64 v6, v7, v6, s[4:5]
	v_accvgpr_write_b32 a51, v6
; %bb.1294:                             ;   in Loop: Header=BB338_559 Depth=1
	s_or_b64 exec, exec, s[22:23]
	v_lshlrev_b32_e32 v6, 16, v9
	v_mul_f32_e32 v6, v40, v6
	v_and_b32_e32 v7, 0x7f800000, v6
	v_cmp_ne_u32_e64 s[4:5], s21, v7
                                        ; implicit-def: $agpr52
	s_and_saveexec_b64 s[22:23], s[4:5]
	s_xor_b64 s[4:5], exec, s[22:23]
; %bb.1295:                             ;   in Loop: Header=BB338_559 Depth=1
	v_bfe_u32 v7, v6, 16, 1
	v_add3_u32 v6, v6, v7, s24
	v_accvgpr_write_b32 a52, v6
                                        ; implicit-def: $vgpr6
; %bb.1296:                             ;   in Loop: Header=BB338_559 Depth=1
	s_andn2_saveexec_b64 s[22:23], s[4:5]
; %bb.1297:                             ;   in Loop: Header=BB338_559 Depth=1
	v_or_b32_e32 v7, 0x10000, v6
	v_cmp_eq_u32_sdwa s[4:5], v6, v37 src0_sel:WORD_0 src1_sel:DWORD
	s_nop 1
	v_cndmask_b32_e64 v6, v7, v6, s[4:5]
	v_accvgpr_write_b32 a52, v6
; %bb.1298:                             ;   in Loop: Header=BB338_559 Depth=1
	s_or_b64 exec, exec, s[22:23]
	v_lshlrev_b32_e32 v0, 16, v0
	v_mul_f32_e32 v0, v41, v0
	v_and_b32_e32 v6, 0x7f800000, v0
	v_cmp_ne_u32_e64 s[4:5], s21, v6
                                        ; implicit-def: $vgpr58
	s_and_saveexec_b64 s[22:23], s[4:5]
	s_xor_b64 s[4:5], exec, s[22:23]
; %bb.1299:                             ;   in Loop: Header=BB338_559 Depth=1
	v_bfe_u32 v6, v0, 16, 1
	v_add3_u32 v58, v0, v6, s24
                                        ; implicit-def: $vgpr0
; %bb.1300:                             ;   in Loop: Header=BB338_559 Depth=1
	s_andn2_saveexec_b64 s[22:23], s[4:5]
; %bb.1301:                             ;   in Loop: Header=BB338_559 Depth=1
	v_or_b32_e32 v6, 0x10000, v0
	v_cmp_eq_u32_sdwa s[4:5], v0, v37 src0_sel:WORD_0 src1_sel:DWORD
	s_nop 1
	v_cndmask_b32_e64 v58, v6, v0, s[4:5]
; %bb.1302:                             ;   in Loop: Header=BB338_559 Depth=1
	s_or_b64 exec, exec, s[22:23]
	v_lshlrev_b32_e32 v0, 16, v12
	v_mul_f32_e32 v0, v42, v0
	v_and_b32_e32 v6, 0x7f800000, v0
	v_cmp_ne_u32_e64 s[4:5], s21, v6
                                        ; implicit-def: $vgpr60
	s_and_saveexec_b64 s[22:23], s[4:5]
	s_xor_b64 s[4:5], exec, s[22:23]
; %bb.1303:                             ;   in Loop: Header=BB338_559 Depth=1
	v_bfe_u32 v6, v0, 16, 1
	v_add3_u32 v60, v0, v6, s24
                                        ; implicit-def: $vgpr0
; %bb.1304:                             ;   in Loop: Header=BB338_559 Depth=1
	s_andn2_saveexec_b64 s[22:23], s[4:5]
; %bb.1305:                             ;   in Loop: Header=BB338_559 Depth=1
	v_or_b32_e32 v6, 0x10000, v0
	v_cmp_eq_u32_sdwa s[4:5], v0, v37 src0_sel:WORD_0 src1_sel:DWORD
	s_nop 1
	v_cndmask_b32_e64 v60, v6, v0, s[4:5]
; %bb.1306:                             ;   in Loop: Header=BB338_559 Depth=1
	s_or_b64 exec, exec, s[22:23]
	v_lshlrev_b32_e32 v0, 16, v8
	v_mul_f32_e32 v0, v43, v0
	v_and_b32_e32 v6, 0x7f800000, v0
	v_cmp_ne_u32_e64 s[4:5], s21, v6
                                        ; implicit-def: $vgpr18
	s_and_saveexec_b64 s[22:23], s[4:5]
	s_xor_b64 s[4:5], exec, s[22:23]
; %bb.1307:                             ;   in Loop: Header=BB338_559 Depth=1
	v_bfe_u32 v6, v0, 16, 1
	v_add3_u32 v18, v0, v6, s24
                                        ; implicit-def: $vgpr0
; %bb.1308:                             ;   in Loop: Header=BB338_559 Depth=1
	s_andn2_saveexec_b64 s[22:23], s[4:5]
; %bb.1309:                             ;   in Loop: Header=BB338_559 Depth=1
	v_or_b32_e32 v6, 0x10000, v0
	v_cmp_eq_u32_sdwa s[4:5], v0, v37 src0_sel:WORD_0 src1_sel:DWORD
	s_nop 1
	v_cndmask_b32_e64 v18, v6, v0, s[4:5]
; %bb.1310:                             ;   in Loop: Header=BB338_559 Depth=1
	s_or_b64 exec, exec, s[22:23]
	v_lshlrev_b32_e32 v0, 16, v5
	v_mul_f32_e32 v0, v44, v0
	v_and_b32_e32 v5, 0x7f800000, v0
	v_cmp_ne_u32_e64 s[4:5], s21, v5
                                        ; implicit-def: $vgpr17
	s_and_saveexec_b64 s[22:23], s[4:5]
	s_xor_b64 s[4:5], exec, s[22:23]
; %bb.1311:                             ;   in Loop: Header=BB338_559 Depth=1
	v_bfe_u32 v5, v0, 16, 1
	v_add3_u32 v17, v0, v5, s24
                                        ; implicit-def: $vgpr0
; %bb.1312:                             ;   in Loop: Header=BB338_559 Depth=1
	s_andn2_saveexec_b64 s[22:23], s[4:5]
; %bb.1313:                             ;   in Loop: Header=BB338_559 Depth=1
	v_or_b32_e32 v5, 0x10000, v0
	v_cmp_eq_u32_sdwa s[4:5], v0, v37 src0_sel:WORD_0 src1_sel:DWORD
	s_nop 1
	v_cndmask_b32_e64 v17, v5, v0, s[4:5]
; %bb.1314:                             ;   in Loop: Header=BB338_559 Depth=1
	s_or_b64 exec, exec, s[22:23]
	v_lshlrev_b32_e32 v0, 16, v4
	v_mul_f32_e32 v0, v45, v0
	v_and_b32_e32 v4, 0x7f800000, v0
	v_cmp_ne_u32_e64 s[4:5], s21, v4
                                        ; implicit-def: $vgpr8
	s_and_saveexec_b64 s[22:23], s[4:5]
	s_xor_b64 s[4:5], exec, s[22:23]
; %bb.1315:                             ;   in Loop: Header=BB338_559 Depth=1
	v_bfe_u32 v4, v0, 16, 1
	v_add3_u32 v8, v0, v4, s24
                                        ; implicit-def: $vgpr0
; %bb.1316:                             ;   in Loop: Header=BB338_559 Depth=1
	s_andn2_saveexec_b64 s[22:23], s[4:5]
; %bb.1317:                             ;   in Loop: Header=BB338_559 Depth=1
	v_or_b32_e32 v4, 0x10000, v0
	v_cmp_eq_u32_sdwa s[4:5], v0, v37 src0_sel:WORD_0 src1_sel:DWORD
	s_nop 1
	v_cndmask_b32_e64 v8, v4, v0, s[4:5]
; %bb.1318:                             ;   in Loop: Header=BB338_559 Depth=1
	s_or_b64 exec, exec, s[22:23]
	scratch_load_dwordx2 v[4:5], off, s32 offset:496 ; 8-byte Folded Reload
                                        ; implicit-def: $vgpr9
	s_waitcnt vmcnt(0)
	v_lshl_add_u64 v[4:5], v[2:3], 0, v[4:5]
	flat_load_dwordx2 v[4:5], v[4:5]
	s_waitcnt vmcnt(0) lgkmcnt(0)
	v_and_b32_e32 v0, 0xff, v4
	v_cvt_f32_fp8_sdwa v0, v0 src0_sel:BYTE_0
	s_nop 0
	v_mul_f32_e32 v0, v1, v0
	v_and_b32_e32 v6, 0x7f800000, v0
	v_cmp_ne_u32_e64 s[4:5], s21, v6
	s_and_saveexec_b64 s[22:23], s[4:5]
	s_xor_b64 s[4:5], exec, s[22:23]
; %bb.1319:                             ;   in Loop: Header=BB338_559 Depth=1
	v_bfe_u32 v6, v0, 16, 1
	v_add3_u32 v9, v0, v6, s24
                                        ; implicit-def: $vgpr0
; %bb.1320:                             ;   in Loop: Header=BB338_559 Depth=1
	s_andn2_saveexec_b64 s[22:23], s[4:5]
; %bb.1321:                             ;   in Loop: Header=BB338_559 Depth=1
	v_or_b32_e32 v6, 0x10000, v0
	v_cmp_eq_u32_sdwa s[4:5], v0, v37 src0_sel:WORD_0 src1_sel:DWORD
	s_nop 1
	v_cndmask_b32_e64 v9, v6, v0, s[4:5]
; %bb.1322:                             ;   in Loop: Header=BB338_559 Depth=1
	s_or_b64 exec, exec, s[22:23]
	v_bfe_u32 v0, v4, 8, 8
	v_cvt_f32_fp8_sdwa v0, v0 src0_sel:BYTE_0
                                        ; implicit-def: $vgpr12
	s_nop 0
	v_mul_f32_e32 v0, v1, v0
	v_and_b32_e32 v6, 0x7f800000, v0
	v_cmp_ne_u32_e64 s[4:5], s21, v6
	s_and_saveexec_b64 s[22:23], s[4:5]
	s_xor_b64 s[4:5], exec, s[22:23]
; %bb.1323:                             ;   in Loop: Header=BB338_559 Depth=1
	v_bfe_u32 v6, v0, 16, 1
	v_add3_u32 v12, v0, v6, s24
                                        ; implicit-def: $vgpr0
; %bb.1324:                             ;   in Loop: Header=BB338_559 Depth=1
	s_andn2_saveexec_b64 s[22:23], s[4:5]
; %bb.1325:                             ;   in Loop: Header=BB338_559 Depth=1
	v_or_b32_e32 v6, 0x10000, v0
	v_cmp_eq_u32_sdwa s[4:5], v0, v37 src0_sel:WORD_0 src1_sel:DWORD
	s_nop 1
	v_cndmask_b32_e64 v12, v6, v0, s[4:5]
; %bb.1326:                             ;   in Loop: Header=BB338_559 Depth=1
	s_or_b64 exec, exec, s[22:23]
	v_bfe_u32 v0, v4, 16, 8
	v_cvt_f32_fp8_sdwa v0, v0 src0_sel:BYTE_0
                                        ; implicit-def: $vgpr13
	s_nop 0
	v_mul_f32_e32 v0, v1, v0
	v_and_b32_e32 v6, 0x7f800000, v0
	v_cmp_ne_u32_e64 s[4:5], s21, v6
	s_and_saveexec_b64 s[22:23], s[4:5]
	s_xor_b64 s[4:5], exec, s[22:23]
; %bb.1327:                             ;   in Loop: Header=BB338_559 Depth=1
	v_bfe_u32 v6, v0, 16, 1
	v_add3_u32 v13, v0, v6, s24
                                        ; implicit-def: $vgpr0
; %bb.1328:                             ;   in Loop: Header=BB338_559 Depth=1
	s_andn2_saveexec_b64 s[22:23], s[4:5]
; %bb.1329:                             ;   in Loop: Header=BB338_559 Depth=1
	v_or_b32_e32 v6, 0x10000, v0
	v_cmp_eq_u32_sdwa s[4:5], v0, v37 src0_sel:WORD_0 src1_sel:DWORD
	s_nop 1
	v_cndmask_b32_e64 v13, v6, v0, s[4:5]
; %bb.1330:                             ;   in Loop: Header=BB338_559 Depth=1
	s_or_b64 exec, exec, s[22:23]
	v_lshrrev_b32_e32 v0, 24, v4
	v_cvt_f32_fp8_sdwa v0, v0 src0_sel:BYTE_0
	s_nop 0
	v_mul_f32_e32 v4, v1, v0
	v_and_b32_e32 v0, 0x7f800000, v4
	v_cmp_ne_u32_e64 s[4:5], s21, v0
                                        ; implicit-def: $vgpr0
	s_and_saveexec_b64 s[22:23], s[4:5]
	s_xor_b64 s[4:5], exec, s[22:23]
; %bb.1331:                             ;   in Loop: Header=BB338_559 Depth=1
	v_bfe_u32 v0, v4, 16, 1
	v_add3_u32 v0, v4, v0, s24
                                        ; implicit-def: $vgpr4
; %bb.1332:                             ;   in Loop: Header=BB338_559 Depth=1
	s_andn2_saveexec_b64 s[22:23], s[4:5]
; %bb.1333:                             ;   in Loop: Header=BB338_559 Depth=1
	v_or_b32_e32 v0, 0x10000, v4
	v_cmp_eq_u32_sdwa s[4:5], v4, v37 src0_sel:WORD_0 src1_sel:DWORD
	s_nop 1
	v_cndmask_b32_e64 v0, v0, v4, s[4:5]
; %bb.1334:                             ;   in Loop: Header=BB338_559 Depth=1
	s_or_b64 exec, exec, s[22:23]
	v_and_b32_e32 v4, 0xff, v5
	v_cvt_f32_fp8_sdwa v4, v4 src0_sel:BYTE_0
	s_nop 0
	v_mul_f32_e32 v6, v1, v4
	v_and_b32_e32 v4, 0x7f800000, v6
	v_cmp_ne_u32_e64 s[4:5], s21, v4
                                        ; implicit-def: $vgpr4
	s_and_saveexec_b64 s[22:23], s[4:5]
	s_xor_b64 s[4:5], exec, s[22:23]
; %bb.1335:                             ;   in Loop: Header=BB338_559 Depth=1
	v_bfe_u32 v4, v6, 16, 1
	v_add3_u32 v4, v6, v4, s24
                                        ; implicit-def: $vgpr6
; %bb.1336:                             ;   in Loop: Header=BB338_559 Depth=1
	s_andn2_saveexec_b64 s[22:23], s[4:5]
; %bb.1337:                             ;   in Loop: Header=BB338_559 Depth=1
	v_or_b32_e32 v4, 0x10000, v6
	v_cmp_eq_u32_sdwa s[4:5], v6, v37 src0_sel:WORD_0 src1_sel:DWORD
	s_nop 1
	v_cndmask_b32_e64 v4, v4, v6, s[4:5]
; %bb.1338:                             ;   in Loop: Header=BB338_559 Depth=1
	s_or_b64 exec, exec, s[22:23]
	v_bfe_u32 v6, v5, 8, 8
	v_cvt_f32_fp8_sdwa v6, v6 src0_sel:BYTE_0
                                        ; implicit-def: $vgpr14
	s_nop 0
	v_mul_f32_e32 v6, v1, v6
	v_and_b32_e32 v7, 0x7f800000, v6
	v_cmp_ne_u32_e64 s[4:5], s21, v7
	s_and_saveexec_b64 s[22:23], s[4:5]
	s_xor_b64 s[4:5], exec, s[22:23]
; %bb.1339:                             ;   in Loop: Header=BB338_559 Depth=1
	v_bfe_u32 v7, v6, 16, 1
	v_add3_u32 v14, v6, v7, s24
                                        ; implicit-def: $vgpr6
; %bb.1340:                             ;   in Loop: Header=BB338_559 Depth=1
	s_andn2_saveexec_b64 s[22:23], s[4:5]
; %bb.1341:                             ;   in Loop: Header=BB338_559 Depth=1
	v_or_b32_e32 v7, 0x10000, v6
	v_cmp_eq_u32_sdwa s[4:5], v6, v37 src0_sel:WORD_0 src1_sel:DWORD
	s_nop 1
	v_cndmask_b32_e64 v14, v7, v6, s[4:5]
; %bb.1342:                             ;   in Loop: Header=BB338_559 Depth=1
	s_or_b64 exec, exec, s[22:23]
	v_bfe_u32 v6, v5, 16, 8
	v_cvt_f32_fp8_sdwa v6, v6 src0_sel:BYTE_0
                                        ; implicit-def: $vgpr19
	s_nop 0
	v_mul_f32_e32 v6, v1, v6
	v_and_b32_e32 v7, 0x7f800000, v6
	v_cmp_ne_u32_e64 s[4:5], s21, v7
	s_and_saveexec_b64 s[22:23], s[4:5]
	s_xor_b64 s[4:5], exec, s[22:23]
; %bb.1343:                             ;   in Loop: Header=BB338_559 Depth=1
	v_bfe_u32 v7, v6, 16, 1
	v_add3_u32 v19, v6, v7, s24
                                        ; implicit-def: $vgpr6
; %bb.1344:                             ;   in Loop: Header=BB338_559 Depth=1
	s_andn2_saveexec_b64 s[22:23], s[4:5]
; %bb.1345:                             ;   in Loop: Header=BB338_559 Depth=1
	v_or_b32_e32 v7, 0x10000, v6
	v_cmp_eq_u32_sdwa s[4:5], v6, v37 src0_sel:WORD_0 src1_sel:DWORD
	s_nop 1
	v_cndmask_b32_e64 v19, v7, v6, s[4:5]
; %bb.1346:                             ;   in Loop: Header=BB338_559 Depth=1
	s_or_b64 exec, exec, s[22:23]
	v_lshrrev_b32_e32 v5, 24, v5
	v_cvt_f32_fp8_sdwa v5, v5 src0_sel:BYTE_0
                                        ; implicit-def: $vgpr20
	s_nop 0
	v_mul_f32_e32 v5, v1, v5
	v_and_b32_e32 v6, 0x7f800000, v5
	v_cmp_ne_u32_e64 s[4:5], s21, v6
	s_and_saveexec_b64 s[22:23], s[4:5]
	s_xor_b64 s[4:5], exec, s[22:23]
; %bb.1347:                             ;   in Loop: Header=BB338_559 Depth=1
	v_bfe_u32 v6, v5, 16, 1
	v_add3_u32 v20, v5, v6, s24
                                        ; implicit-def: $vgpr5
; %bb.1348:                             ;   in Loop: Header=BB338_559 Depth=1
	s_andn2_saveexec_b64 s[22:23], s[4:5]
; %bb.1349:                             ;   in Loop: Header=BB338_559 Depth=1
	v_or_b32_e32 v6, 0x10000, v5
	v_cmp_eq_u32_sdwa s[4:5], v5, v37 src0_sel:WORD_0 src1_sel:DWORD
	s_nop 1
	v_cndmask_b32_e64 v20, v6, v5, s[4:5]
; %bb.1350:                             ;   in Loop: Header=BB338_559 Depth=1
	s_or_b64 exec, exec, s[22:23]
	v_lshrrev_b32_e32 v16, 16, v14
	v_lshrrev_b32_e32 v15, 16, v4
	;; [unrolled: 1-line block ×8, first 2 shown]
	s_and_saveexec_b64 s[22:23], vcc
	s_cbranch_execz .LBB338_1352
; %bb.1351:                             ;   in Loop: Header=BB338_559 Depth=1
	scratch_load_dword v7, off, s32 offset:188 ; 4-byte Folded Reload
	v_accvgpr_read_b32 v9, a2
	s_waitcnt vmcnt(0)
	v_cmp_lt_i32_e64 s[4:5], v38, v7
	s_nop 1
	v_cndmask_b32_e64 v6, 0, v6, s[4:5]
	v_cmp_lt_i32_e64 s[4:5], v9, v7
	v_mov_b32_e32 v9, v57
	s_nop 0
	v_cndmask_b32_e64 v12, 0, v12, s[4:5]
	v_cmp_lt_i32_e64 s[4:5], v9, v7
	v_accvgpr_read_b32 v9, a1
	s_nop 0
	v_cndmask_b32_e64 v13, 0, v13, s[4:5]
	v_cmp_lt_i32_e64 s[4:5], v9, v7
	v_accvgpr_read_b32 v9, a0
	;; [unrolled: 4-line block ×5, first 2 shown]
	s_nop 0
	v_cndmask_b32_e64 v5, 0, v5, s[4:5]
	v_cmp_lt_i32_e64 s[4:5], v9, v7
	s_nop 1
	v_cndmask_b32_e64 v4, 0, v4, s[4:5]
.LBB338_1352:                           ;   in Loop: Header=BB338_559 Depth=1
	s_or_b64 exec, exec, s[22:23]
	v_lshlrev_b32_e32 v6, 16, v6
	v_mul_f32_e32 v6, v26, v6
	v_and_b32_e32 v7, 0x7f800000, v6
	v_cmp_ne_u32_e64 s[4:5], s21, v7
                                        ; implicit-def: $vgpr9
	s_and_saveexec_b64 s[22:23], s[4:5]
	s_xor_b64 s[4:5], exec, s[22:23]
; %bb.1353:                             ;   in Loop: Header=BB338_559 Depth=1
	v_bfe_u32 v7, v6, 16, 1
	v_add3_u32 v9, v6, v7, s24
                                        ; implicit-def: $vgpr6
; %bb.1354:                             ;   in Loop: Header=BB338_559 Depth=1
	s_andn2_saveexec_b64 s[22:23], s[4:5]
; %bb.1355:                             ;   in Loop: Header=BB338_559 Depth=1
	v_or_b32_e32 v7, 0x10000, v6
	v_cmp_eq_u32_sdwa s[4:5], v6, v37 src0_sel:WORD_0 src1_sel:DWORD
	s_nop 1
	v_cndmask_b32_e64 v9, v7, v6, s[4:5]
; %bb.1356:                             ;   in Loop: Header=BB338_559 Depth=1
	s_or_b64 exec, exec, s[22:23]
	v_lshlrev_b32_e32 v6, 16, v12
	v_mul_f32_e32 v6, v27, v6
	v_and_b32_e32 v7, 0x7f800000, v6
	v_cmp_ne_u32_e64 s[4:5], s21, v7
                                        ; implicit-def: $vgpr12
	s_and_saveexec_b64 s[22:23], s[4:5]
	s_xor_b64 s[4:5], exec, s[22:23]
; %bb.1357:                             ;   in Loop: Header=BB338_559 Depth=1
	v_bfe_u32 v7, v6, 16, 1
	v_add3_u32 v12, v6, v7, s24
                                        ; implicit-def: $vgpr6
; %bb.1358:                             ;   in Loop: Header=BB338_559 Depth=1
	s_andn2_saveexec_b64 s[22:23], s[4:5]
; %bb.1359:                             ;   in Loop: Header=BB338_559 Depth=1
	v_or_b32_e32 v7, 0x10000, v6
	v_cmp_eq_u32_sdwa s[4:5], v6, v37 src0_sel:WORD_0 src1_sel:DWORD
	s_nop 1
	v_cndmask_b32_e64 v12, v7, v6, s[4:5]
; %bb.1360:                             ;   in Loop: Header=BB338_559 Depth=1
	s_or_b64 exec, exec, s[22:23]
	v_lshlrev_b32_e32 v6, 16, v13
	v_mul_f32_e32 v6, v40, v6
	v_and_b32_e32 v7, 0x7f800000, v6
	v_cmp_ne_u32_e64 s[4:5], s21, v7
                                        ; implicit-def: $vgpr13
	s_and_saveexec_b64 s[22:23], s[4:5]
	s_xor_b64 s[4:5], exec, s[22:23]
; %bb.1361:                             ;   in Loop: Header=BB338_559 Depth=1
	v_bfe_u32 v7, v6, 16, 1
	v_add3_u32 v13, v6, v7, s24
                                        ; implicit-def: $vgpr6
; %bb.1362:                             ;   in Loop: Header=BB338_559 Depth=1
	s_andn2_saveexec_b64 s[22:23], s[4:5]
; %bb.1363:                             ;   in Loop: Header=BB338_559 Depth=1
	v_or_b32_e32 v7, 0x10000, v6
	v_cmp_eq_u32_sdwa s[4:5], v6, v37 src0_sel:WORD_0 src1_sel:DWORD
	s_nop 1
	v_cndmask_b32_e64 v13, v7, v6, s[4:5]
; %bb.1364:                             ;   in Loop: Header=BB338_559 Depth=1
	s_or_b64 exec, exec, s[22:23]
	v_lshlrev_b32_e32 v0, 16, v0
	v_mul_f32_e32 v0, v41, v0
	v_and_b32_e32 v6, 0x7f800000, v0
	v_cmp_ne_u32_e64 s[4:5], s21, v6
                                        ; implicit-def: $vgpr14
	s_and_saveexec_b64 s[22:23], s[4:5]
	s_xor_b64 s[4:5], exec, s[22:23]
; %bb.1365:                             ;   in Loop: Header=BB338_559 Depth=1
	v_bfe_u32 v6, v0, 16, 1
	v_add3_u32 v14, v0, v6, s24
                                        ; implicit-def: $vgpr0
; %bb.1366:                             ;   in Loop: Header=BB338_559 Depth=1
	s_andn2_saveexec_b64 s[22:23], s[4:5]
; %bb.1367:                             ;   in Loop: Header=BB338_559 Depth=1
	v_or_b32_e32 v6, 0x10000, v0
	v_cmp_eq_u32_sdwa s[4:5], v0, v37 src0_sel:WORD_0 src1_sel:DWORD
	s_nop 1
	v_cndmask_b32_e64 v14, v6, v0, s[4:5]
; %bb.1368:                             ;   in Loop: Header=BB338_559 Depth=1
	s_or_b64 exec, exec, s[22:23]
	v_lshlrev_b32_e32 v0, 16, v15
	v_mul_f32_e32 v0, v42, v0
	v_and_b32_e32 v6, 0x7f800000, v0
	v_cmp_ne_u32_e64 s[4:5], s21, v6
                                        ; implicit-def: $vgpr15
	s_and_saveexec_b64 s[22:23], s[4:5]
	s_xor_b64 s[4:5], exec, s[22:23]
; %bb.1369:                             ;   in Loop: Header=BB338_559 Depth=1
	v_bfe_u32 v6, v0, 16, 1
	v_add3_u32 v15, v0, v6, s24
                                        ; implicit-def: $vgpr0
; %bb.1370:                             ;   in Loop: Header=BB338_559 Depth=1
	s_andn2_saveexec_b64 s[22:23], s[4:5]
; %bb.1371:                             ;   in Loop: Header=BB338_559 Depth=1
	v_or_b32_e32 v6, 0x10000, v0
	v_cmp_eq_u32_sdwa s[4:5], v0, v37 src0_sel:WORD_0 src1_sel:DWORD
	s_nop 1
	v_cndmask_b32_e64 v15, v6, v0, s[4:5]
; %bb.1372:                             ;   in Loop: Header=BB338_559 Depth=1
	s_or_b64 exec, exec, s[22:23]
	v_lshlrev_b32_e32 v0, 16, v16
	v_mul_f32_e32 v0, v43, v0
	v_and_b32_e32 v6, 0x7f800000, v0
	v_cmp_ne_u32_e64 s[4:5], s21, v6
                                        ; implicit-def: $vgpr20
	s_and_saveexec_b64 s[22:23], s[4:5]
	s_xor_b64 s[4:5], exec, s[22:23]
; %bb.1373:                             ;   in Loop: Header=BB338_559 Depth=1
	v_bfe_u32 v6, v0, 16, 1
	v_add3_u32 v20, v0, v6, s24
                                        ; implicit-def: $vgpr0
; %bb.1374:                             ;   in Loop: Header=BB338_559 Depth=1
	s_andn2_saveexec_b64 s[22:23], s[4:5]
; %bb.1375:                             ;   in Loop: Header=BB338_559 Depth=1
	v_or_b32_e32 v6, 0x10000, v0
	v_cmp_eq_u32_sdwa s[4:5], v0, v37 src0_sel:WORD_0 src1_sel:DWORD
	s_nop 1
	v_cndmask_b32_e64 v20, v6, v0, s[4:5]
; %bb.1376:                             ;   in Loop: Header=BB338_559 Depth=1
	s_or_b64 exec, exec, s[22:23]
	v_lshlrev_b32_e32 v0, 16, v5
	v_mul_f32_e32 v0, v44, v0
	v_and_b32_e32 v5, 0x7f800000, v0
	v_cmp_ne_u32_e64 s[4:5], s21, v5
                                        ; implicit-def: $vgpr21
	s_and_saveexec_b64 s[22:23], s[4:5]
	s_xor_b64 s[4:5], exec, s[22:23]
; %bb.1377:                             ;   in Loop: Header=BB338_559 Depth=1
	v_bfe_u32 v5, v0, 16, 1
	v_add3_u32 v21, v0, v5, s24
                                        ; implicit-def: $vgpr0
; %bb.1378:                             ;   in Loop: Header=BB338_559 Depth=1
	s_andn2_saveexec_b64 s[22:23], s[4:5]
; %bb.1379:                             ;   in Loop: Header=BB338_559 Depth=1
	v_or_b32_e32 v5, 0x10000, v0
	v_cmp_eq_u32_sdwa s[4:5], v0, v37 src0_sel:WORD_0 src1_sel:DWORD
	s_nop 1
	v_cndmask_b32_e64 v21, v5, v0, s[4:5]
; %bb.1380:                             ;   in Loop: Header=BB338_559 Depth=1
	s_or_b64 exec, exec, s[22:23]
	v_lshlrev_b32_e32 v0, 16, v4
	v_mul_f32_e32 v0, v45, v0
	v_and_b32_e32 v4, 0x7f800000, v0
	v_cmp_ne_u32_e64 s[4:5], s21, v4
                                        ; implicit-def: $vgpr24
	s_and_saveexec_b64 s[22:23], s[4:5]
	s_xor_b64 s[4:5], exec, s[22:23]
; %bb.1381:                             ;   in Loop: Header=BB338_559 Depth=1
	v_bfe_u32 v4, v0, 16, 1
	v_add3_u32 v24, v0, v4, s24
                                        ; implicit-def: $vgpr0
; %bb.1382:                             ;   in Loop: Header=BB338_559 Depth=1
	s_andn2_saveexec_b64 s[22:23], s[4:5]
; %bb.1383:                             ;   in Loop: Header=BB338_559 Depth=1
	v_or_b32_e32 v4, 0x10000, v0
	v_cmp_eq_u32_sdwa s[4:5], v0, v37 src0_sel:WORD_0 src1_sel:DWORD
	s_nop 1
	v_cndmask_b32_e64 v24, v4, v0, s[4:5]
; %bb.1384:                             ;   in Loop: Header=BB338_559 Depth=1
	s_or_b64 exec, exec, s[22:23]
	scratch_load_dwordx2 v[4:5], off, s32 offset:504 ; 8-byte Folded Reload
                                        ; implicit-def: $vgpr16
	s_waitcnt vmcnt(0)
	v_lshl_add_u64 v[4:5], v[2:3], 0, v[4:5]
	flat_load_dwordx2 v[4:5], v[4:5]
	s_waitcnt vmcnt(0) lgkmcnt(0)
	v_and_b32_e32 v0, 0xff, v4
	v_cvt_f32_fp8_sdwa v0, v0 src0_sel:BYTE_0
	s_nop 0
	v_mul_f32_e32 v0, v1, v0
	v_and_b32_e32 v6, 0x7f800000, v0
	v_cmp_ne_u32_e64 s[4:5], s21, v6
	s_and_saveexec_b64 s[22:23], s[4:5]
	s_xor_b64 s[4:5], exec, s[22:23]
; %bb.1385:                             ;   in Loop: Header=BB338_559 Depth=1
	v_bfe_u32 v6, v0, 16, 1
	v_add3_u32 v16, v0, v6, s24
                                        ; implicit-def: $vgpr0
; %bb.1386:                             ;   in Loop: Header=BB338_559 Depth=1
	s_andn2_saveexec_b64 s[22:23], s[4:5]
; %bb.1387:                             ;   in Loop: Header=BB338_559 Depth=1
	v_or_b32_e32 v6, 0x10000, v0
	v_cmp_eq_u32_sdwa s[4:5], v0, v37 src0_sel:WORD_0 src1_sel:DWORD
	s_nop 1
	v_cndmask_b32_e64 v16, v6, v0, s[4:5]
; %bb.1388:                             ;   in Loop: Header=BB338_559 Depth=1
	s_or_b64 exec, exec, s[22:23]
	v_bfe_u32 v0, v4, 8, 8
	v_cvt_f32_fp8_sdwa v0, v0 src0_sel:BYTE_0
                                        ; implicit-def: $vgpr19
	s_nop 0
	v_mul_f32_e32 v0, v1, v0
	v_and_b32_e32 v6, 0x7f800000, v0
	v_cmp_ne_u32_e64 s[4:5], s21, v6
	s_and_saveexec_b64 s[22:23], s[4:5]
	s_xor_b64 s[4:5], exec, s[22:23]
; %bb.1389:                             ;   in Loop: Header=BB338_559 Depth=1
	v_bfe_u32 v6, v0, 16, 1
	v_add3_u32 v19, v0, v6, s24
                                        ; implicit-def: $vgpr0
; %bb.1390:                             ;   in Loop: Header=BB338_559 Depth=1
	s_andn2_saveexec_b64 s[22:23], s[4:5]
; %bb.1391:                             ;   in Loop: Header=BB338_559 Depth=1
	v_or_b32_e32 v6, 0x10000, v0
	v_cmp_eq_u32_sdwa s[4:5], v0, v37 src0_sel:WORD_0 src1_sel:DWORD
	s_nop 1
	v_cndmask_b32_e64 v19, v6, v0, s[4:5]
; %bb.1392:                             ;   in Loop: Header=BB338_559 Depth=1
	s_or_b64 exec, exec, s[22:23]
	v_bfe_u32 v0, v4, 16, 8
	v_cvt_f32_fp8_sdwa v0, v0 src0_sel:BYTE_0
                                        ; implicit-def: $vgpr23
	s_nop 0
	v_mul_f32_e32 v0, v1, v0
	v_and_b32_e32 v6, 0x7f800000, v0
	v_cmp_ne_u32_e64 s[4:5], s21, v6
	s_and_saveexec_b64 s[22:23], s[4:5]
	s_xor_b64 s[4:5], exec, s[22:23]
; %bb.1393:                             ;   in Loop: Header=BB338_559 Depth=1
	v_bfe_u32 v6, v0, 16, 1
	v_add3_u32 v23, v0, v6, s24
                                        ; implicit-def: $vgpr0
; %bb.1394:                             ;   in Loop: Header=BB338_559 Depth=1
	s_andn2_saveexec_b64 s[22:23], s[4:5]
; %bb.1395:                             ;   in Loop: Header=BB338_559 Depth=1
	v_or_b32_e32 v6, 0x10000, v0
	v_cmp_eq_u32_sdwa s[4:5], v0, v37 src0_sel:WORD_0 src1_sel:DWORD
	s_nop 1
	v_cndmask_b32_e64 v23, v6, v0, s[4:5]
; %bb.1396:                             ;   in Loop: Header=BB338_559 Depth=1
	s_or_b64 exec, exec, s[22:23]
	v_lshrrev_b32_e32 v0, 24, v4
	v_cvt_f32_fp8_sdwa v0, v0 src0_sel:BYTE_0
	s_nop 0
	v_mul_f32_e32 v4, v1, v0
	v_and_b32_e32 v0, 0x7f800000, v4
	v_cmp_ne_u32_e64 s[4:5], s21, v0
                                        ; implicit-def: $vgpr0
	s_and_saveexec_b64 s[22:23], s[4:5]
	s_xor_b64 s[4:5], exec, s[22:23]
; %bb.1397:                             ;   in Loop: Header=BB338_559 Depth=1
	v_bfe_u32 v0, v4, 16, 1
	v_add3_u32 v0, v4, v0, s24
                                        ; implicit-def: $vgpr4
; %bb.1398:                             ;   in Loop: Header=BB338_559 Depth=1
	s_andn2_saveexec_b64 s[22:23], s[4:5]
; %bb.1399:                             ;   in Loop: Header=BB338_559 Depth=1
	v_or_b32_e32 v0, 0x10000, v4
	v_cmp_eq_u32_sdwa s[4:5], v4, v37 src0_sel:WORD_0 src1_sel:DWORD
	s_nop 1
	v_cndmask_b32_e64 v0, v0, v4, s[4:5]
; %bb.1400:                             ;   in Loop: Header=BB338_559 Depth=1
	s_or_b64 exec, exec, s[22:23]
	v_and_b32_e32 v4, 0xff, v5
	v_cvt_f32_fp8_sdwa v4, v4 src0_sel:BYTE_0
	s_nop 0
	v_mul_f32_e32 v6, v1, v4
	v_and_b32_e32 v4, 0x7f800000, v6
	v_cmp_ne_u32_e64 s[4:5], s21, v4
                                        ; implicit-def: $vgpr4
	s_and_saveexec_b64 s[22:23], s[4:5]
	s_xor_b64 s[4:5], exec, s[22:23]
; %bb.1401:                             ;   in Loop: Header=BB338_559 Depth=1
	v_bfe_u32 v4, v6, 16, 1
	v_add3_u32 v4, v6, v4, s24
                                        ; implicit-def: $vgpr6
; %bb.1402:                             ;   in Loop: Header=BB338_559 Depth=1
	s_andn2_saveexec_b64 s[22:23], s[4:5]
; %bb.1403:                             ;   in Loop: Header=BB338_559 Depth=1
	v_or_b32_e32 v4, 0x10000, v6
	v_cmp_eq_u32_sdwa s[4:5], v6, v37 src0_sel:WORD_0 src1_sel:DWORD
	s_nop 1
	v_cndmask_b32_e64 v4, v4, v6, s[4:5]
; %bb.1404:                             ;   in Loop: Header=BB338_559 Depth=1
	s_or_b64 exec, exec, s[22:23]
	v_bfe_u32 v6, v5, 8, 8
	v_cvt_f32_fp8_sdwa v6, v6 src0_sel:BYTE_0
                                        ; implicit-def: $vgpr22
	s_nop 0
	v_mul_f32_e32 v6, v1, v6
	v_and_b32_e32 v7, 0x7f800000, v6
	v_cmp_ne_u32_e64 s[4:5], s21, v7
	s_and_saveexec_b64 s[22:23], s[4:5]
	s_xor_b64 s[4:5], exec, s[22:23]
; %bb.1405:                             ;   in Loop: Header=BB338_559 Depth=1
	v_bfe_u32 v7, v6, 16, 1
	v_add3_u32 v22, v6, v7, s24
                                        ; implicit-def: $vgpr6
; %bb.1406:                             ;   in Loop: Header=BB338_559 Depth=1
	s_andn2_saveexec_b64 s[22:23], s[4:5]
; %bb.1407:                             ;   in Loop: Header=BB338_559 Depth=1
	v_or_b32_e32 v7, 0x10000, v6
	v_cmp_eq_u32_sdwa s[4:5], v6, v37 src0_sel:WORD_0 src1_sel:DWORD
	s_nop 1
	v_cndmask_b32_e64 v22, v7, v6, s[4:5]
; %bb.1408:                             ;   in Loop: Header=BB338_559 Depth=1
	s_or_b64 exec, exec, s[22:23]
	v_bfe_u32 v6, v5, 16, 8
	v_cvt_f32_fp8_sdwa v6, v6 src0_sel:BYTE_0
                                        ; implicit-def: $vgpr25
	s_nop 0
	v_mul_f32_e32 v6, v1, v6
	v_and_b32_e32 v7, 0x7f800000, v6
	v_cmp_ne_u32_e64 s[4:5], s21, v7
	s_and_saveexec_b64 s[22:23], s[4:5]
	s_xor_b64 s[4:5], exec, s[22:23]
; %bb.1409:                             ;   in Loop: Header=BB338_559 Depth=1
	v_bfe_u32 v7, v6, 16, 1
	v_add3_u32 v25, v6, v7, s24
                                        ; implicit-def: $vgpr6
; %bb.1410:                             ;   in Loop: Header=BB338_559 Depth=1
	s_andn2_saveexec_b64 s[22:23], s[4:5]
; %bb.1411:                             ;   in Loop: Header=BB338_559 Depth=1
	v_or_b32_e32 v7, 0x10000, v6
	v_cmp_eq_u32_sdwa s[4:5], v6, v37 src0_sel:WORD_0 src1_sel:DWORD
	s_nop 1
	v_cndmask_b32_e64 v25, v7, v6, s[4:5]
; %bb.1412:                             ;   in Loop: Header=BB338_559 Depth=1
	s_or_b64 exec, exec, s[22:23]
	v_lshrrev_b32_e32 v5, 24, v5
	v_cvt_f32_fp8_sdwa v5, v5 src0_sel:BYTE_0
                                        ; implicit-def: $vgpr28
	s_nop 0
	v_mul_f32_e32 v5, v1, v5
	v_and_b32_e32 v6, 0x7f800000, v5
	v_cmp_ne_u32_e64 s[4:5], s21, v6
	s_and_saveexec_b64 s[22:23], s[4:5]
	s_xor_b64 s[4:5], exec, s[22:23]
; %bb.1413:                             ;   in Loop: Header=BB338_559 Depth=1
	v_bfe_u32 v6, v5, 16, 1
	v_add3_u32 v28, v5, v6, s24
                                        ; implicit-def: $vgpr5
; %bb.1414:                             ;   in Loop: Header=BB338_559 Depth=1
	s_andn2_saveexec_b64 s[22:23], s[4:5]
; %bb.1415:                             ;   in Loop: Header=BB338_559 Depth=1
	v_or_b32_e32 v6, 0x10000, v5
	v_cmp_eq_u32_sdwa s[4:5], v5, v37 src0_sel:WORD_0 src1_sel:DWORD
	s_nop 1
	v_cndmask_b32_e64 v28, v6, v5, s[4:5]
; %bb.1416:                             ;   in Loop: Header=BB338_559 Depth=1
	s_or_b64 exec, exec, s[22:23]
	v_lshrrev_b32_e32 v22, 16, v22
	v_lshrrev_b32_e32 v31, 16, v4
	;; [unrolled: 1-line block ×8, first 2 shown]
	s_and_saveexec_b64 s[22:23], vcc
	s_cbranch_execz .LBB338_1418
; %bb.1417:                             ;   in Loop: Header=BB338_559 Depth=1
	scratch_load_dword v7, off, s32 offset:188 ; 4-byte Folded Reload
	v_accvgpr_read_b32 v16, a2
	s_waitcnt vmcnt(0)
	v_cmp_lt_i32_e64 s[4:5], v38, v7
	s_nop 1
	v_cndmask_b32_e64 v6, 0, v6, s[4:5]
	v_cmp_lt_i32_e64 s[4:5], v16, v7
	v_mov_b32_e32 v16, v57
	s_nop 0
	v_cndmask_b32_e64 v19, 0, v19, s[4:5]
	v_cmp_lt_i32_e64 s[4:5], v16, v7
	v_accvgpr_read_b32 v16, a1
	s_nop 0
	v_cndmask_b32_e64 v23, 0, v23, s[4:5]
	v_cmp_lt_i32_e64 s[4:5], v16, v7
	v_accvgpr_read_b32 v16, a0
	;; [unrolled: 4-line block ×5, first 2 shown]
	s_nop 0
	v_cndmask_b32_e64 v5, 0, v5, s[4:5]
	v_cmp_lt_i32_e64 s[4:5], v16, v7
	s_nop 1
	v_cndmask_b32_e64 v4, 0, v4, s[4:5]
.LBB338_1418:                           ;   in Loop: Header=BB338_559 Depth=1
	s_or_b64 exec, exec, s[22:23]
	v_lshlrev_b32_e32 v6, 16, v6
	v_mul_f32_e32 v6, v26, v6
	v_and_b32_e32 v7, 0x7f800000, v6
	v_cmp_ne_u32_e64 s[4:5], s21, v7
                                        ; implicit-def: $vgpr25
	s_and_saveexec_b64 s[22:23], s[4:5]
	s_xor_b64 s[4:5], exec, s[22:23]
; %bb.1419:                             ;   in Loop: Header=BB338_559 Depth=1
	v_bfe_u32 v7, v6, 16, 1
	v_add3_u32 v25, v6, v7, s24
                                        ; implicit-def: $vgpr6
; %bb.1420:                             ;   in Loop: Header=BB338_559 Depth=1
	s_andn2_saveexec_b64 s[22:23], s[4:5]
; %bb.1421:                             ;   in Loop: Header=BB338_559 Depth=1
	v_or_b32_e32 v7, 0x10000, v6
	v_cmp_eq_u32_sdwa s[4:5], v6, v37 src0_sel:WORD_0 src1_sel:DWORD
	s_nop 1
	v_cndmask_b32_e64 v25, v7, v6, s[4:5]
; %bb.1422:                             ;   in Loop: Header=BB338_559 Depth=1
	s_or_b64 exec, exec, s[22:23]
	v_lshlrev_b32_e32 v6, 16, v19
	v_mul_f32_e32 v6, v27, v6
	v_and_b32_e32 v7, 0x7f800000, v6
	v_cmp_ne_u32_e64 s[4:5], s21, v7
                                        ; implicit-def: $vgpr28
	s_and_saveexec_b64 s[22:23], s[4:5]
	s_xor_b64 s[4:5], exec, s[22:23]
; %bb.1423:                             ;   in Loop: Header=BB338_559 Depth=1
	v_bfe_u32 v7, v6, 16, 1
	v_add3_u32 v28, v6, v7, s24
                                        ; implicit-def: $vgpr6
; %bb.1424:                             ;   in Loop: Header=BB338_559 Depth=1
	s_andn2_saveexec_b64 s[22:23], s[4:5]
; %bb.1425:                             ;   in Loop: Header=BB338_559 Depth=1
	v_or_b32_e32 v7, 0x10000, v6
	v_cmp_eq_u32_sdwa s[4:5], v6, v37 src0_sel:WORD_0 src1_sel:DWORD
	s_nop 1
	v_cndmask_b32_e64 v28, v7, v6, s[4:5]
; %bb.1426:                             ;   in Loop: Header=BB338_559 Depth=1
	s_or_b64 exec, exec, s[22:23]
	v_lshlrev_b32_e32 v6, 16, v23
	v_mul_f32_e32 v6, v40, v6
	v_and_b32_e32 v7, 0x7f800000, v6
	v_cmp_ne_u32_e64 s[4:5], s21, v7
                                        ; implicit-def: $vgpr29
	s_and_saveexec_b64 s[22:23], s[4:5]
	s_xor_b64 s[4:5], exec, s[22:23]
; %bb.1427:                             ;   in Loop: Header=BB338_559 Depth=1
	v_bfe_u32 v7, v6, 16, 1
	v_add3_u32 v29, v6, v7, s24
                                        ; implicit-def: $vgpr6
; %bb.1428:                             ;   in Loop: Header=BB338_559 Depth=1
	s_andn2_saveexec_b64 s[22:23], s[4:5]
; %bb.1429:                             ;   in Loop: Header=BB338_559 Depth=1
	v_or_b32_e32 v7, 0x10000, v6
	v_cmp_eq_u32_sdwa s[4:5], v6, v37 src0_sel:WORD_0 src1_sel:DWORD
	s_nop 1
	v_cndmask_b32_e64 v29, v7, v6, s[4:5]
; %bb.1430:                             ;   in Loop: Header=BB338_559 Depth=1
	s_or_b64 exec, exec, s[22:23]
	v_lshlrev_b32_e32 v0, 16, v0
	v_mul_f32_e32 v0, v41, v0
	v_and_b32_e32 v6, 0x7f800000, v0
	v_cmp_ne_u32_e64 s[4:5], s21, v6
                                        ; implicit-def: $vgpr30
	s_and_saveexec_b64 s[22:23], s[4:5]
	s_xor_b64 s[4:5], exec, s[22:23]
; %bb.1431:                             ;   in Loop: Header=BB338_559 Depth=1
	v_bfe_u32 v6, v0, 16, 1
	v_add3_u32 v30, v0, v6, s24
                                        ; implicit-def: $vgpr0
; %bb.1432:                             ;   in Loop: Header=BB338_559 Depth=1
	s_andn2_saveexec_b64 s[22:23], s[4:5]
; %bb.1433:                             ;   in Loop: Header=BB338_559 Depth=1
	v_or_b32_e32 v6, 0x10000, v0
	v_cmp_eq_u32_sdwa s[4:5], v0, v37 src0_sel:WORD_0 src1_sel:DWORD
	s_nop 1
	v_cndmask_b32_e64 v30, v6, v0, s[4:5]
; %bb.1434:                             ;   in Loop: Header=BB338_559 Depth=1
	s_or_b64 exec, exec, s[22:23]
	v_lshlrev_b32_e32 v0, 16, v31
	v_mul_f32_e32 v0, v42, v0
	v_and_b32_e32 v6, 0x7f800000, v0
	v_cmp_ne_u32_e64 s[4:5], s21, v6
                                        ; implicit-def: $vgpr31
	s_and_saveexec_b64 s[22:23], s[4:5]
	s_xor_b64 s[4:5], exec, s[22:23]
; %bb.1435:                             ;   in Loop: Header=BB338_559 Depth=1
	v_bfe_u32 v6, v0, 16, 1
	v_add3_u32 v31, v0, v6, s24
                                        ; implicit-def: $vgpr0
; %bb.1436:                             ;   in Loop: Header=BB338_559 Depth=1
	s_andn2_saveexec_b64 s[22:23], s[4:5]
; %bb.1437:                             ;   in Loop: Header=BB338_559 Depth=1
	v_or_b32_e32 v6, 0x10000, v0
	v_cmp_eq_u32_sdwa s[4:5], v0, v37 src0_sel:WORD_0 src1_sel:DWORD
	s_nop 1
	v_cndmask_b32_e64 v31, v6, v0, s[4:5]
; %bb.1438:                             ;   in Loop: Header=BB338_559 Depth=1
	s_or_b64 exec, exec, s[22:23]
	v_lshlrev_b32_e32 v0, 16, v22
	v_mul_f32_e32 v0, v43, v0
	v_and_b32_e32 v6, 0x7f800000, v0
	v_cmp_ne_u32_e64 s[4:5], s21, v6
                                        ; implicit-def: $vgpr32
	s_and_saveexec_b64 s[22:23], s[4:5]
	s_xor_b64 s[4:5], exec, s[22:23]
; %bb.1439:                             ;   in Loop: Header=BB338_559 Depth=1
	v_bfe_u32 v6, v0, 16, 1
	v_add3_u32 v32, v0, v6, s24
                                        ; implicit-def: $vgpr0
; %bb.1440:                             ;   in Loop: Header=BB338_559 Depth=1
	s_andn2_saveexec_b64 s[22:23], s[4:5]
; %bb.1441:                             ;   in Loop: Header=BB338_559 Depth=1
	v_or_b32_e32 v6, 0x10000, v0
	v_cmp_eq_u32_sdwa s[4:5], v0, v37 src0_sel:WORD_0 src1_sel:DWORD
	s_nop 1
	v_cndmask_b32_e64 v32, v6, v0, s[4:5]
; %bb.1442:                             ;   in Loop: Header=BB338_559 Depth=1
	s_or_b64 exec, exec, s[22:23]
	v_lshlrev_b32_e32 v0, 16, v5
	v_mul_f32_e32 v0, v44, v0
	v_and_b32_e32 v5, 0x7f800000, v0
	v_cmp_ne_u32_e64 s[4:5], s21, v5
                                        ; implicit-def: $vgpr33
	s_and_saveexec_b64 s[22:23], s[4:5]
	s_xor_b64 s[4:5], exec, s[22:23]
; %bb.1443:                             ;   in Loop: Header=BB338_559 Depth=1
	v_bfe_u32 v5, v0, 16, 1
	v_add3_u32 v33, v0, v5, s24
                                        ; implicit-def: $vgpr0
; %bb.1444:                             ;   in Loop: Header=BB338_559 Depth=1
	s_andn2_saveexec_b64 s[22:23], s[4:5]
; %bb.1445:                             ;   in Loop: Header=BB338_559 Depth=1
	v_or_b32_e32 v5, 0x10000, v0
	v_cmp_eq_u32_sdwa s[4:5], v0, v37 src0_sel:WORD_0 src1_sel:DWORD
	s_nop 1
	v_cndmask_b32_e64 v33, v5, v0, s[4:5]
; %bb.1446:                             ;   in Loop: Header=BB338_559 Depth=1
	s_or_b64 exec, exec, s[22:23]
	v_lshlrev_b32_e32 v0, 16, v4
	v_mul_f32_e32 v0, v45, v0
	v_and_b32_e32 v4, 0x7f800000, v0
	v_cmp_ne_u32_e64 s[4:5], s21, v4
                                        ; implicit-def: $vgpr48
	s_and_saveexec_b64 s[22:23], s[4:5]
	s_xor_b64 s[4:5], exec, s[22:23]
; %bb.1447:                             ;   in Loop: Header=BB338_559 Depth=1
	v_bfe_u32 v4, v0, 16, 1
	v_add3_u32 v48, v0, v4, s24
                                        ; implicit-def: $vgpr0
; %bb.1448:                             ;   in Loop: Header=BB338_559 Depth=1
	s_andn2_saveexec_b64 s[22:23], s[4:5]
; %bb.1449:                             ;   in Loop: Header=BB338_559 Depth=1
	v_or_b32_e32 v4, 0x10000, v0
	v_cmp_eq_u32_sdwa s[4:5], v0, v37 src0_sel:WORD_0 src1_sel:DWORD
	s_nop 1
	v_cndmask_b32_e64 v48, v4, v0, s[4:5]
; %bb.1450:                             ;   in Loop: Header=BB338_559 Depth=1
	s_or_b64 exec, exec, s[22:23]
	scratch_load_dwordx2 v[4:5], off, s32 offset:512 ; 8-byte Folded Reload
                                        ; implicit-def: $vgpr16
	s_waitcnt vmcnt(0)
	v_lshl_add_u64 v[4:5], v[2:3], 0, v[4:5]
	flat_load_dwordx2 v[4:5], v[4:5]
	s_waitcnt vmcnt(0) lgkmcnt(0)
	v_and_b32_e32 v0, 0xff, v4
	v_cvt_f32_fp8_sdwa v0, v0 src0_sel:BYTE_0
	s_nop 0
	v_mul_f32_e32 v0, v1, v0
	v_and_b32_e32 v6, 0x7f800000, v0
	v_cmp_ne_u32_e64 s[4:5], s21, v6
	s_and_saveexec_b64 s[22:23], s[4:5]
	s_xor_b64 s[4:5], exec, s[22:23]
; %bb.1451:                             ;   in Loop: Header=BB338_559 Depth=1
	v_bfe_u32 v6, v0, 16, 1
	v_add3_u32 v16, v0, v6, s24
                                        ; implicit-def: $vgpr0
; %bb.1452:                             ;   in Loop: Header=BB338_559 Depth=1
	s_andn2_saveexec_b64 s[22:23], s[4:5]
; %bb.1453:                             ;   in Loop: Header=BB338_559 Depth=1
	v_or_b32_e32 v6, 0x10000, v0
	v_cmp_eq_u32_sdwa s[4:5], v0, v37 src0_sel:WORD_0 src1_sel:DWORD
	s_nop 1
	v_cndmask_b32_e64 v16, v6, v0, s[4:5]
; %bb.1454:                             ;   in Loop: Header=BB338_559 Depth=1
	s_or_b64 exec, exec, s[22:23]
	v_bfe_u32 v0, v4, 8, 8
	v_cvt_f32_fp8_sdwa v0, v0 src0_sel:BYTE_0
                                        ; implicit-def: $vgpr19
	s_nop 0
	v_mul_f32_e32 v0, v1, v0
	v_and_b32_e32 v6, 0x7f800000, v0
	v_cmp_ne_u32_e64 s[4:5], s21, v6
	s_and_saveexec_b64 s[22:23], s[4:5]
	s_xor_b64 s[4:5], exec, s[22:23]
; %bb.1455:                             ;   in Loop: Header=BB338_559 Depth=1
	v_bfe_u32 v6, v0, 16, 1
	v_add3_u32 v19, v0, v6, s24
                                        ; implicit-def: $vgpr0
; %bb.1456:                             ;   in Loop: Header=BB338_559 Depth=1
	s_andn2_saveexec_b64 s[22:23], s[4:5]
; %bb.1457:                             ;   in Loop: Header=BB338_559 Depth=1
	v_or_b32_e32 v6, 0x10000, v0
	v_cmp_eq_u32_sdwa s[4:5], v0, v37 src0_sel:WORD_0 src1_sel:DWORD
	s_nop 1
	v_cndmask_b32_e64 v19, v6, v0, s[4:5]
; %bb.1458:                             ;   in Loop: Header=BB338_559 Depth=1
	s_or_b64 exec, exec, s[22:23]
	v_bfe_u32 v0, v4, 16, 8
	v_cvt_f32_fp8_sdwa v0, v0 src0_sel:BYTE_0
                                        ; implicit-def: $vgpr23
	s_nop 0
	v_mul_f32_e32 v0, v1, v0
	v_and_b32_e32 v6, 0x7f800000, v0
	v_cmp_ne_u32_e64 s[4:5], s21, v6
	s_and_saveexec_b64 s[22:23], s[4:5]
	s_xor_b64 s[4:5], exec, s[22:23]
; %bb.1459:                             ;   in Loop: Header=BB338_559 Depth=1
	v_bfe_u32 v6, v0, 16, 1
	v_add3_u32 v23, v0, v6, s24
                                        ; implicit-def: $vgpr0
; %bb.1460:                             ;   in Loop: Header=BB338_559 Depth=1
	s_andn2_saveexec_b64 s[22:23], s[4:5]
; %bb.1461:                             ;   in Loop: Header=BB338_559 Depth=1
	v_or_b32_e32 v6, 0x10000, v0
	v_cmp_eq_u32_sdwa s[4:5], v0, v37 src0_sel:WORD_0 src1_sel:DWORD
	s_nop 1
	v_cndmask_b32_e64 v23, v6, v0, s[4:5]
; %bb.1462:                             ;   in Loop: Header=BB338_559 Depth=1
	s_or_b64 exec, exec, s[22:23]
	v_lshrrev_b32_e32 v0, 24, v4
	v_cvt_f32_fp8_sdwa v0, v0 src0_sel:BYTE_0
	s_nop 0
	v_mul_f32_e32 v4, v1, v0
	v_and_b32_e32 v0, 0x7f800000, v4
	v_cmp_ne_u32_e64 s[4:5], s21, v0
                                        ; implicit-def: $vgpr0
	s_and_saveexec_b64 s[22:23], s[4:5]
	s_xor_b64 s[4:5], exec, s[22:23]
; %bb.1463:                             ;   in Loop: Header=BB338_559 Depth=1
	v_bfe_u32 v0, v4, 16, 1
	v_add3_u32 v0, v4, v0, s24
                                        ; implicit-def: $vgpr4
; %bb.1464:                             ;   in Loop: Header=BB338_559 Depth=1
	s_andn2_saveexec_b64 s[22:23], s[4:5]
; %bb.1465:                             ;   in Loop: Header=BB338_559 Depth=1
	v_or_b32_e32 v0, 0x10000, v4
	v_cmp_eq_u32_sdwa s[4:5], v4, v37 src0_sel:WORD_0 src1_sel:DWORD
	s_nop 1
	v_cndmask_b32_e64 v0, v0, v4, s[4:5]
; %bb.1466:                             ;   in Loop: Header=BB338_559 Depth=1
	s_or_b64 exec, exec, s[22:23]
	v_and_b32_e32 v4, 0xff, v5
	v_cvt_f32_fp8_sdwa v4, v4 src0_sel:BYTE_0
	s_nop 0
	v_mul_f32_e32 v6, v1, v4
	v_and_b32_e32 v4, 0x7f800000, v6
	v_cmp_ne_u32_e64 s[4:5], s21, v4
                                        ; implicit-def: $vgpr4
	s_and_saveexec_b64 s[22:23], s[4:5]
	s_xor_b64 s[4:5], exec, s[22:23]
; %bb.1467:                             ;   in Loop: Header=BB338_559 Depth=1
	v_bfe_u32 v4, v6, 16, 1
	v_add3_u32 v4, v6, v4, s24
                                        ; implicit-def: $vgpr6
; %bb.1468:                             ;   in Loop: Header=BB338_559 Depth=1
	s_andn2_saveexec_b64 s[22:23], s[4:5]
; %bb.1469:                             ;   in Loop: Header=BB338_559 Depth=1
	v_or_b32_e32 v4, 0x10000, v6
	v_cmp_eq_u32_sdwa s[4:5], v6, v37 src0_sel:WORD_0 src1_sel:DWORD
	s_nop 1
	v_cndmask_b32_e64 v4, v4, v6, s[4:5]
; %bb.1470:                             ;   in Loop: Header=BB338_559 Depth=1
	s_or_b64 exec, exec, s[22:23]
	v_bfe_u32 v6, v5, 8, 8
	v_cvt_f32_fp8_sdwa v6, v6 src0_sel:BYTE_0
                                        ; implicit-def: $vgpr22
	s_nop 0
	v_mul_f32_e32 v6, v1, v6
	v_and_b32_e32 v7, 0x7f800000, v6
	v_cmp_ne_u32_e64 s[4:5], s21, v7
	s_and_saveexec_b64 s[22:23], s[4:5]
	s_xor_b64 s[4:5], exec, s[22:23]
; %bb.1471:                             ;   in Loop: Header=BB338_559 Depth=1
	v_bfe_u32 v7, v6, 16, 1
	v_add3_u32 v22, v6, v7, s24
                                        ; implicit-def: $vgpr6
; %bb.1472:                             ;   in Loop: Header=BB338_559 Depth=1
	s_andn2_saveexec_b64 s[22:23], s[4:5]
; %bb.1473:                             ;   in Loop: Header=BB338_559 Depth=1
	v_or_b32_e32 v7, 0x10000, v6
	v_cmp_eq_u32_sdwa s[4:5], v6, v37 src0_sel:WORD_0 src1_sel:DWORD
	s_nop 1
	v_cndmask_b32_e64 v22, v7, v6, s[4:5]
; %bb.1474:                             ;   in Loop: Header=BB338_559 Depth=1
	s_or_b64 exec, exec, s[22:23]
	v_bfe_u32 v6, v5, 16, 8
	v_cvt_f32_fp8_sdwa v6, v6 src0_sel:BYTE_0
                                        ; implicit-def: $vgpr35
	s_nop 0
	v_mul_f32_e32 v6, v1, v6
	v_and_b32_e32 v7, 0x7f800000, v6
	v_cmp_ne_u32_e64 s[4:5], s21, v7
	s_and_saveexec_b64 s[22:23], s[4:5]
	s_xor_b64 s[4:5], exec, s[22:23]
; %bb.1475:                             ;   in Loop: Header=BB338_559 Depth=1
	v_bfe_u32 v7, v6, 16, 1
	v_add3_u32 v35, v6, v7, s24
                                        ; implicit-def: $vgpr6
; %bb.1476:                             ;   in Loop: Header=BB338_559 Depth=1
	s_andn2_saveexec_b64 s[22:23], s[4:5]
; %bb.1477:                             ;   in Loop: Header=BB338_559 Depth=1
	v_or_b32_e32 v7, 0x10000, v6
	v_cmp_eq_u32_sdwa s[4:5], v6, v37 src0_sel:WORD_0 src1_sel:DWORD
	s_nop 1
	v_cndmask_b32_e64 v35, v7, v6, s[4:5]
; %bb.1478:                             ;   in Loop: Header=BB338_559 Depth=1
	s_or_b64 exec, exec, s[22:23]
	v_lshrrev_b32_e32 v5, 24, v5
	v_cvt_f32_fp8_sdwa v5, v5 src0_sel:BYTE_0
                                        ; implicit-def: $vgpr39
	s_nop 0
	v_mul_f32_e32 v5, v1, v5
	v_and_b32_e32 v6, 0x7f800000, v5
	v_cmp_ne_u32_e64 s[4:5], s21, v6
	s_and_saveexec_b64 s[22:23], s[4:5]
	s_xor_b64 s[4:5], exec, s[22:23]
; %bb.1479:                             ;   in Loop: Header=BB338_559 Depth=1
	v_bfe_u32 v6, v5, 16, 1
	v_add3_u32 v39, v5, v6, s24
                                        ; implicit-def: $vgpr5
; %bb.1480:                             ;   in Loop: Header=BB338_559 Depth=1
	s_andn2_saveexec_b64 s[22:23], s[4:5]
; %bb.1481:                             ;   in Loop: Header=BB338_559 Depth=1
	v_or_b32_e32 v6, 0x10000, v5
	v_cmp_eq_u32_sdwa s[4:5], v5, v37 src0_sel:WORD_0 src1_sel:DWORD
	s_nop 1
	v_cndmask_b32_e64 v39, v6, v5, s[4:5]
; %bb.1482:                             ;   in Loop: Header=BB338_559 Depth=1
	s_or_b64 exec, exec, s[22:23]
	v_lshrrev_b32_e32 v22, 16, v22
	v_lshrrev_b32_e32 v34, 16, v4
	;; [unrolled: 1-line block ×8, first 2 shown]
	s_and_saveexec_b64 s[22:23], vcc
	s_cbranch_execz .LBB338_1484
; %bb.1483:                             ;   in Loop: Header=BB338_559 Depth=1
	scratch_load_dword v7, off, s32 offset:188 ; 4-byte Folded Reload
	v_accvgpr_read_b32 v16, a2
	s_waitcnt vmcnt(0)
	v_cmp_lt_i32_e64 s[4:5], v38, v7
	s_nop 1
	v_cndmask_b32_e64 v6, 0, v6, s[4:5]
	v_cmp_lt_i32_e64 s[4:5], v16, v7
	v_mov_b32_e32 v16, v57
	s_nop 0
	v_cndmask_b32_e64 v19, 0, v19, s[4:5]
	v_cmp_lt_i32_e64 s[4:5], v16, v7
	v_accvgpr_read_b32 v16, a1
	s_nop 0
	v_cndmask_b32_e64 v23, 0, v23, s[4:5]
	v_cmp_lt_i32_e64 s[4:5], v16, v7
	v_accvgpr_read_b32 v16, a0
	;; [unrolled: 4-line block ×5, first 2 shown]
	s_nop 0
	v_cndmask_b32_e64 v5, 0, v5, s[4:5]
	v_cmp_lt_i32_e64 s[4:5], v16, v7
	s_nop 1
	v_cndmask_b32_e64 v4, 0, v4, s[4:5]
.LBB338_1484:                           ;   in Loop: Header=BB338_559 Depth=1
	s_or_b64 exec, exec, s[22:23]
	v_lshlrev_b32_e32 v6, 16, v6
	v_mul_f32_e32 v6, v26, v6
	v_and_b32_e32 v7, 0x7f800000, v6
	v_cmp_ne_u32_e64 s[4:5], s21, v7
                                        ; implicit-def: $vgpr49
	s_and_saveexec_b64 s[22:23], s[4:5]
	s_xor_b64 s[4:5], exec, s[22:23]
; %bb.1485:                             ;   in Loop: Header=BB338_559 Depth=1
	v_bfe_u32 v7, v6, 16, 1
	v_add3_u32 v49, v6, v7, s24
                                        ; implicit-def: $vgpr6
; %bb.1486:                             ;   in Loop: Header=BB338_559 Depth=1
	s_andn2_saveexec_b64 s[22:23], s[4:5]
; %bb.1487:                             ;   in Loop: Header=BB338_559 Depth=1
	v_or_b32_e32 v7, 0x10000, v6
	v_cmp_eq_u32_sdwa s[4:5], v6, v37 src0_sel:WORD_0 src1_sel:DWORD
	s_nop 1
	v_cndmask_b32_e64 v49, v7, v6, s[4:5]
; %bb.1488:                             ;   in Loop: Header=BB338_559 Depth=1
	s_or_b64 exec, exec, s[22:23]
	v_lshlrev_b32_e32 v6, 16, v19
	v_mul_f32_e32 v6, v27, v6
	v_and_b32_e32 v7, 0x7f800000, v6
	v_cmp_ne_u32_e64 s[4:5], s21, v7
                                        ; implicit-def: $vgpr56
	s_and_saveexec_b64 s[22:23], s[4:5]
	s_xor_b64 s[4:5], exec, s[22:23]
; %bb.1489:                             ;   in Loop: Header=BB338_559 Depth=1
	v_bfe_u32 v7, v6, 16, 1
	v_add3_u32 v56, v6, v7, s24
                                        ; implicit-def: $vgpr6
; %bb.1490:                             ;   in Loop: Header=BB338_559 Depth=1
	s_andn2_saveexec_b64 s[22:23], s[4:5]
; %bb.1491:                             ;   in Loop: Header=BB338_559 Depth=1
	v_or_b32_e32 v7, 0x10000, v6
	v_cmp_eq_u32_sdwa s[4:5], v6, v37 src0_sel:WORD_0 src1_sel:DWORD
	s_nop 1
	v_cndmask_b32_e64 v56, v7, v6, s[4:5]
; %bb.1492:                             ;   in Loop: Header=BB338_559 Depth=1
	s_or_b64 exec, exec, s[22:23]
	v_lshlrev_b32_e32 v6, 16, v23
	v_mul_f32_e32 v6, v40, v6
	v_and_b32_e32 v7, 0x7f800000, v6
	v_cmp_ne_u32_e64 s[4:5], s21, v7
                                        ; implicit-def: $vgpr39
	s_and_saveexec_b64 s[22:23], s[4:5]
	s_xor_b64 s[4:5], exec, s[22:23]
; %bb.1493:                             ;   in Loop: Header=BB338_559 Depth=1
	v_bfe_u32 v7, v6, 16, 1
	v_add3_u32 v39, v6, v7, s24
                                        ; implicit-def: $vgpr6
; %bb.1494:                             ;   in Loop: Header=BB338_559 Depth=1
	s_andn2_saveexec_b64 s[22:23], s[4:5]
; %bb.1495:                             ;   in Loop: Header=BB338_559 Depth=1
	v_or_b32_e32 v7, 0x10000, v6
	v_cmp_eq_u32_sdwa s[4:5], v6, v37 src0_sel:WORD_0 src1_sel:DWORD
	s_nop 1
	v_cndmask_b32_e64 v39, v7, v6, s[4:5]
; %bb.1496:                             ;   in Loop: Header=BB338_559 Depth=1
	s_or_b64 exec, exec, s[22:23]
	v_lshlrev_b32_e32 v0, 16, v0
	v_mul_f32_e32 v0, v41, v0
	v_and_b32_e32 v6, 0x7f800000, v0
	v_cmp_ne_u32_e64 s[4:5], s21, v6
                                        ; implicit-def: $vgpr50
	s_and_saveexec_b64 s[22:23], s[4:5]
	s_xor_b64 s[4:5], exec, s[22:23]
; %bb.1497:                             ;   in Loop: Header=BB338_559 Depth=1
	v_bfe_u32 v6, v0, 16, 1
	v_add3_u32 v50, v0, v6, s24
                                        ; implicit-def: $vgpr0
; %bb.1498:                             ;   in Loop: Header=BB338_559 Depth=1
	s_andn2_saveexec_b64 s[22:23], s[4:5]
; %bb.1499:                             ;   in Loop: Header=BB338_559 Depth=1
	v_or_b32_e32 v6, 0x10000, v0
	v_cmp_eq_u32_sdwa s[4:5], v0, v37 src0_sel:WORD_0 src1_sel:DWORD
	s_nop 1
	v_cndmask_b32_e64 v50, v6, v0, s[4:5]
; %bb.1500:                             ;   in Loop: Header=BB338_559 Depth=1
	s_or_b64 exec, exec, s[22:23]
	v_lshlrev_b32_e32 v0, 16, v34
	v_mul_f32_e32 v0, v42, v0
	v_and_b32_e32 v6, 0x7f800000, v0
	v_cmp_ne_u32_e64 s[4:5], s21, v6
                                        ; implicit-def: $vgpr51
	s_and_saveexec_b64 s[22:23], s[4:5]
	s_xor_b64 s[4:5], exec, s[22:23]
; %bb.1501:                             ;   in Loop: Header=BB338_559 Depth=1
	v_bfe_u32 v6, v0, 16, 1
	v_add3_u32 v51, v0, v6, s24
                                        ; implicit-def: $vgpr0
; %bb.1502:                             ;   in Loop: Header=BB338_559 Depth=1
	s_andn2_saveexec_b64 s[22:23], s[4:5]
; %bb.1503:                             ;   in Loop: Header=BB338_559 Depth=1
	v_or_b32_e32 v6, 0x10000, v0
	v_cmp_eq_u32_sdwa s[4:5], v0, v37 src0_sel:WORD_0 src1_sel:DWORD
	s_nop 1
	v_cndmask_b32_e64 v51, v6, v0, s[4:5]
; %bb.1504:                             ;   in Loop: Header=BB338_559 Depth=1
	s_or_b64 exec, exec, s[22:23]
	v_lshlrev_b32_e32 v0, 16, v22
	v_mul_f32_e32 v0, v43, v0
	v_and_b32_e32 v6, 0x7f800000, v0
	v_cmp_ne_u32_e64 s[4:5], s21, v6
                                        ; implicit-def: $vgpr52
	s_and_saveexec_b64 s[22:23], s[4:5]
	s_xor_b64 s[4:5], exec, s[22:23]
; %bb.1505:                             ;   in Loop: Header=BB338_559 Depth=1
	v_bfe_u32 v6, v0, 16, 1
	v_add3_u32 v52, v0, v6, s24
                                        ; implicit-def: $vgpr0
; %bb.1506:                             ;   in Loop: Header=BB338_559 Depth=1
	s_andn2_saveexec_b64 s[22:23], s[4:5]
; %bb.1507:                             ;   in Loop: Header=BB338_559 Depth=1
	v_or_b32_e32 v6, 0x10000, v0
	v_cmp_eq_u32_sdwa s[4:5], v0, v37 src0_sel:WORD_0 src1_sel:DWORD
	s_nop 1
	v_cndmask_b32_e64 v52, v6, v0, s[4:5]
; %bb.1508:                             ;   in Loop: Header=BB338_559 Depth=1
	s_or_b64 exec, exec, s[22:23]
	v_lshlrev_b32_e32 v0, 16, v5
	v_mul_f32_e32 v0, v44, v0
	v_and_b32_e32 v5, 0x7f800000, v0
	v_cmp_ne_u32_e64 s[4:5], s21, v5
                                        ; implicit-def: $vgpr53
	s_and_saveexec_b64 s[22:23], s[4:5]
	s_xor_b64 s[4:5], exec, s[22:23]
; %bb.1509:                             ;   in Loop: Header=BB338_559 Depth=1
	v_bfe_u32 v5, v0, 16, 1
	v_add3_u32 v53, v0, v5, s24
                                        ; implicit-def: $vgpr0
; %bb.1510:                             ;   in Loop: Header=BB338_559 Depth=1
	s_andn2_saveexec_b64 s[22:23], s[4:5]
; %bb.1511:                             ;   in Loop: Header=BB338_559 Depth=1
	v_or_b32_e32 v5, 0x10000, v0
	v_cmp_eq_u32_sdwa s[4:5], v0, v37 src0_sel:WORD_0 src1_sel:DWORD
	s_nop 1
	v_cndmask_b32_e64 v53, v5, v0, s[4:5]
; %bb.1512:                             ;   in Loop: Header=BB338_559 Depth=1
	s_or_b64 exec, exec, s[22:23]
	v_lshlrev_b32_e32 v0, 16, v4
	v_mul_f32_e32 v0, v45, v0
	v_and_b32_e32 v4, 0x7f800000, v0
	v_cmp_ne_u32_e64 s[4:5], s21, v4
                                        ; implicit-def: $vgpr62
	s_and_saveexec_b64 s[22:23], s[4:5]
	s_xor_b64 s[4:5], exec, s[22:23]
; %bb.1513:                             ;   in Loop: Header=BB338_559 Depth=1
	v_bfe_u32 v4, v0, 16, 1
	v_add3_u32 v62, v0, v4, s24
                                        ; implicit-def: $vgpr0
; %bb.1514:                             ;   in Loop: Header=BB338_559 Depth=1
	s_andn2_saveexec_b64 s[22:23], s[4:5]
; %bb.1515:                             ;   in Loop: Header=BB338_559 Depth=1
	v_or_b32_e32 v4, 0x10000, v0
	v_cmp_eq_u32_sdwa s[4:5], v0, v37 src0_sel:WORD_0 src1_sel:DWORD
	s_nop 1
	v_cndmask_b32_e64 v62, v4, v0, s[4:5]
; %bb.1516:                             ;   in Loop: Header=BB338_559 Depth=1
	s_or_b64 exec, exec, s[22:23]
	scratch_load_dwordx2 v[4:5], off, s32 offset:520 ; 8-byte Folded Reload
                                        ; implicit-def: $vgpr16
	s_waitcnt vmcnt(0)
	v_lshl_add_u64 v[4:5], v[2:3], 0, v[4:5]
	flat_load_dwordx2 v[4:5], v[4:5]
	s_waitcnt vmcnt(0) lgkmcnt(0)
	v_and_b32_e32 v0, 0xff, v4
	v_cvt_f32_fp8_sdwa v0, v0 src0_sel:BYTE_0
	s_nop 0
	v_mul_f32_e32 v0, v1, v0
	v_and_b32_e32 v6, 0x7f800000, v0
	v_cmp_ne_u32_e64 s[4:5], s21, v6
	s_and_saveexec_b64 s[22:23], s[4:5]
	s_xor_b64 s[4:5], exec, s[22:23]
; %bb.1517:                             ;   in Loop: Header=BB338_559 Depth=1
	v_bfe_u32 v6, v0, 16, 1
	v_add3_u32 v16, v0, v6, s24
                                        ; implicit-def: $vgpr0
; %bb.1518:                             ;   in Loop: Header=BB338_559 Depth=1
	s_andn2_saveexec_b64 s[22:23], s[4:5]
; %bb.1519:                             ;   in Loop: Header=BB338_559 Depth=1
	v_or_b32_e32 v6, 0x10000, v0
	v_cmp_eq_u32_sdwa s[4:5], v0, v37 src0_sel:WORD_0 src1_sel:DWORD
	s_nop 1
	v_cndmask_b32_e64 v16, v6, v0, s[4:5]
; %bb.1520:                             ;   in Loop: Header=BB338_559 Depth=1
	s_or_b64 exec, exec, s[22:23]
	v_bfe_u32 v0, v4, 8, 8
	v_cvt_f32_fp8_sdwa v0, v0 src0_sel:BYTE_0
                                        ; implicit-def: $vgpr19
	s_nop 0
	v_mul_f32_e32 v0, v1, v0
	v_and_b32_e32 v6, 0x7f800000, v0
	v_cmp_ne_u32_e64 s[4:5], s21, v6
	s_and_saveexec_b64 s[22:23], s[4:5]
	s_xor_b64 s[4:5], exec, s[22:23]
; %bb.1521:                             ;   in Loop: Header=BB338_559 Depth=1
	v_bfe_u32 v6, v0, 16, 1
	v_add3_u32 v19, v0, v6, s24
                                        ; implicit-def: $vgpr0
; %bb.1522:                             ;   in Loop: Header=BB338_559 Depth=1
	s_andn2_saveexec_b64 s[22:23], s[4:5]
; %bb.1523:                             ;   in Loop: Header=BB338_559 Depth=1
	v_or_b32_e32 v6, 0x10000, v0
	v_cmp_eq_u32_sdwa s[4:5], v0, v37 src0_sel:WORD_0 src1_sel:DWORD
	s_nop 1
	v_cndmask_b32_e64 v19, v6, v0, s[4:5]
; %bb.1524:                             ;   in Loop: Header=BB338_559 Depth=1
	s_or_b64 exec, exec, s[22:23]
	v_bfe_u32 v0, v4, 16, 8
	v_cvt_f32_fp8_sdwa v0, v0 src0_sel:BYTE_0
                                        ; implicit-def: $vgpr23
	s_nop 0
	v_mul_f32_e32 v0, v1, v0
	v_and_b32_e32 v6, 0x7f800000, v0
	v_cmp_ne_u32_e64 s[4:5], s21, v6
	s_and_saveexec_b64 s[22:23], s[4:5]
	s_xor_b64 s[4:5], exec, s[22:23]
; %bb.1525:                             ;   in Loop: Header=BB338_559 Depth=1
	v_bfe_u32 v6, v0, 16, 1
	v_add3_u32 v23, v0, v6, s24
                                        ; implicit-def: $vgpr0
; %bb.1526:                             ;   in Loop: Header=BB338_559 Depth=1
	s_andn2_saveexec_b64 s[22:23], s[4:5]
; %bb.1527:                             ;   in Loop: Header=BB338_559 Depth=1
	v_or_b32_e32 v6, 0x10000, v0
	v_cmp_eq_u32_sdwa s[4:5], v0, v37 src0_sel:WORD_0 src1_sel:DWORD
	s_nop 1
	v_cndmask_b32_e64 v23, v6, v0, s[4:5]
; %bb.1528:                             ;   in Loop: Header=BB338_559 Depth=1
	s_or_b64 exec, exec, s[22:23]
	v_lshrrev_b32_e32 v0, 24, v4
	v_cvt_f32_fp8_sdwa v0, v0 src0_sel:BYTE_0
	s_nop 0
	v_mul_f32_e32 v4, v1, v0
	v_and_b32_e32 v0, 0x7f800000, v4
	v_cmp_ne_u32_e64 s[4:5], s21, v0
                                        ; implicit-def: $vgpr0
	s_and_saveexec_b64 s[22:23], s[4:5]
	s_xor_b64 s[4:5], exec, s[22:23]
; %bb.1529:                             ;   in Loop: Header=BB338_559 Depth=1
	v_bfe_u32 v0, v4, 16, 1
	v_add3_u32 v0, v4, v0, s24
                                        ; implicit-def: $vgpr4
; %bb.1530:                             ;   in Loop: Header=BB338_559 Depth=1
	s_andn2_saveexec_b64 s[22:23], s[4:5]
; %bb.1531:                             ;   in Loop: Header=BB338_559 Depth=1
	v_or_b32_e32 v0, 0x10000, v4
	v_cmp_eq_u32_sdwa s[4:5], v4, v37 src0_sel:WORD_0 src1_sel:DWORD
	s_nop 1
	v_cndmask_b32_e64 v0, v0, v4, s[4:5]
; %bb.1532:                             ;   in Loop: Header=BB338_559 Depth=1
	s_or_b64 exec, exec, s[22:23]
	v_and_b32_e32 v4, 0xff, v5
	v_cvt_f32_fp8_sdwa v4, v4 src0_sel:BYTE_0
	s_nop 0
	v_mul_f32_e32 v6, v1, v4
	v_and_b32_e32 v4, 0x7f800000, v6
	v_cmp_ne_u32_e64 s[4:5], s21, v4
                                        ; implicit-def: $vgpr4
	s_and_saveexec_b64 s[22:23], s[4:5]
	s_xor_b64 s[4:5], exec, s[22:23]
; %bb.1533:                             ;   in Loop: Header=BB338_559 Depth=1
	v_bfe_u32 v4, v6, 16, 1
	v_add3_u32 v4, v6, v4, s24
                                        ; implicit-def: $vgpr6
; %bb.1534:                             ;   in Loop: Header=BB338_559 Depth=1
	s_andn2_saveexec_b64 s[22:23], s[4:5]
; %bb.1535:                             ;   in Loop: Header=BB338_559 Depth=1
	v_or_b32_e32 v4, 0x10000, v6
	v_cmp_eq_u32_sdwa s[4:5], v6, v37 src0_sel:WORD_0 src1_sel:DWORD
	s_nop 1
	v_cndmask_b32_e64 v4, v4, v6, s[4:5]
; %bb.1536:                             ;   in Loop: Header=BB338_559 Depth=1
	s_or_b64 exec, exec, s[22:23]
	v_bfe_u32 v6, v5, 8, 8
	v_cvt_f32_fp8_sdwa v6, v6 src0_sel:BYTE_0
                                        ; implicit-def: $vgpr22
	s_nop 0
	v_mul_f32_e32 v6, v1, v6
	v_and_b32_e32 v7, 0x7f800000, v6
	v_cmp_ne_u32_e64 s[4:5], s21, v7
	s_and_saveexec_b64 s[22:23], s[4:5]
	s_xor_b64 s[4:5], exec, s[22:23]
; %bb.1537:                             ;   in Loop: Header=BB338_559 Depth=1
	v_bfe_u32 v7, v6, 16, 1
	v_add3_u32 v22, v6, v7, s24
                                        ; implicit-def: $vgpr6
; %bb.1538:                             ;   in Loop: Header=BB338_559 Depth=1
	s_andn2_saveexec_b64 s[22:23], s[4:5]
; %bb.1539:                             ;   in Loop: Header=BB338_559 Depth=1
	v_or_b32_e32 v7, 0x10000, v6
	v_cmp_eq_u32_sdwa s[4:5], v6, v37 src0_sel:WORD_0 src1_sel:DWORD
	s_nop 1
	v_cndmask_b32_e64 v22, v7, v6, s[4:5]
; %bb.1540:                             ;   in Loop: Header=BB338_559 Depth=1
	s_or_b64 exec, exec, s[22:23]
	v_bfe_u32 v6, v5, 16, 8
	v_cvt_f32_fp8_sdwa v6, v6 src0_sel:BYTE_0
                                        ; implicit-def: $vgpr54
	s_nop 0
	v_mul_f32_e32 v6, v1, v6
	v_and_b32_e32 v7, 0x7f800000, v6
	v_cmp_ne_u32_e64 s[4:5], s21, v7
	s_and_saveexec_b64 s[22:23], s[4:5]
	s_xor_b64 s[4:5], exec, s[22:23]
; %bb.1541:                             ;   in Loop: Header=BB338_559 Depth=1
	v_bfe_u32 v7, v6, 16, 1
	v_add3_u32 v54, v6, v7, s24
                                        ; implicit-def: $vgpr6
; %bb.1542:                             ;   in Loop: Header=BB338_559 Depth=1
	s_andn2_saveexec_b64 s[22:23], s[4:5]
; %bb.1543:                             ;   in Loop: Header=BB338_559 Depth=1
	v_or_b32_e32 v7, 0x10000, v6
	v_cmp_eq_u32_sdwa s[4:5], v6, v37 src0_sel:WORD_0 src1_sel:DWORD
	s_nop 1
	v_cndmask_b32_e64 v54, v7, v6, s[4:5]
; %bb.1544:                             ;   in Loop: Header=BB338_559 Depth=1
	s_or_b64 exec, exec, s[22:23]
	v_lshrrev_b32_e32 v5, 24, v5
	v_cvt_f32_fp8_sdwa v5, v5 src0_sel:BYTE_0
	s_nop 0
	v_mul_f32_e32 v5, v1, v5
	v_and_b32_e32 v6, 0x7f800000, v5
	v_cmp_ne_u32_e64 s[4:5], s21, v6
                                        ; implicit-def: $vgpr6
	s_and_saveexec_b64 s[22:23], s[4:5]
	s_xor_b64 s[4:5], exec, s[22:23]
; %bb.1545:                             ;   in Loop: Header=BB338_559 Depth=1
	v_bfe_u32 v6, v5, 16, 1
	v_add3_u32 v6, v5, v6, s24
                                        ; implicit-def: $vgpr5
; %bb.1546:                             ;   in Loop: Header=BB338_559 Depth=1
	s_andn2_saveexec_b64 s[22:23], s[4:5]
; %bb.1547:                             ;   in Loop: Header=BB338_559 Depth=1
	v_or_b32_e32 v6, 0x10000, v5
	v_cmp_eq_u32_sdwa s[4:5], v5, v37 src0_sel:WORD_0 src1_sel:DWORD
	s_nop 1
	v_cndmask_b32_e64 v6, v6, v5, s[4:5]
; %bb.1548:                             ;   in Loop: Header=BB338_559 Depth=1
	s_or_b64 exec, exec, s[22:23]
	v_lshrrev_b32_e32 v22, 16, v22
	v_lshrrev_b32_e32 v34, 16, v4
	;; [unrolled: 1-line block ×8, first 2 shown]
	s_and_saveexec_b64 s[22:23], vcc
	s_cbranch_execz .LBB338_1550
; %bb.1549:                             ;   in Loop: Header=BB338_559 Depth=1
	scratch_load_dword v6, off, s32 offset:188 ; 4-byte Folded Reload
	v_accvgpr_read_b32 v7, a2
	s_waitcnt vmcnt(0)
	v_cmp_lt_i32_e64 s[4:5], v38, v6
	s_nop 1
	v_cndmask_b32_e64 v4, 0, v4, s[4:5]
	v_cmp_lt_i32_e64 s[4:5], v7, v6
	v_mov_b32_e32 v7, v57
	s_nop 0
	v_cndmask_b32_e64 v5, 0, v5, s[4:5]
	v_cmp_lt_i32_e64 s[4:5], v7, v6
	v_accvgpr_read_b32 v7, a1
	s_nop 0
	v_cndmask_b32_e64 v35, 0, v35, s[4:5]
	v_cmp_lt_i32_e64 s[4:5], v7, v6
	v_accvgpr_read_b32 v7, a0
	;; [unrolled: 4-line block ×5, first 2 shown]
	s_nop 0
	v_cndmask_b32_e64 v23, 0, v23, s[4:5]
	v_cmp_lt_i32_e64 s[4:5], v7, v6
	s_nop 1
	v_cndmask_b32_e64 v16, 0, v16, s[4:5]
.LBB338_1550:                           ;   in Loop: Header=BB338_559 Depth=1
	s_or_b64 exec, exec, s[22:23]
	v_lshlrev_b32_e32 v4, 16, v4
	v_mul_f32_e32 v6, v26, v4
	v_and_b32_e32 v4, 0x7f800000, v6
	v_cmp_ne_u32_e64 s[4:5], s21, v4
                                        ; implicit-def: $vgpr4
	s_and_saveexec_b64 s[22:23], s[4:5]
	s_xor_b64 s[4:5], exec, s[22:23]
; %bb.1551:                             ;   in Loop: Header=BB338_559 Depth=1
	v_bfe_u32 v4, v6, 16, 1
	v_add3_u32 v4, v6, v4, s24
                                        ; implicit-def: $vgpr6
; %bb.1552:                             ;   in Loop: Header=BB338_559 Depth=1
	s_andn2_saveexec_b64 s[22:23], s[4:5]
; %bb.1553:                             ;   in Loop: Header=BB338_559 Depth=1
	v_or_b32_e32 v4, 0x10000, v6
	v_cmp_eq_u32_sdwa s[4:5], v6, v37 src0_sel:WORD_0 src1_sel:DWORD
	s_nop 1
	v_cndmask_b32_e64 v4, v4, v6, s[4:5]
; %bb.1554:                             ;   in Loop: Header=BB338_559 Depth=1
	s_or_b64 exec, exec, s[22:23]
	v_lshlrev_b32_e32 v5, 16, v5
	v_mul_f32_e32 v6, v27, v5
	v_and_b32_e32 v5, 0x7f800000, v6
	v_cmp_ne_u32_e64 s[4:5], s21, v5
                                        ; implicit-def: $vgpr5
	s_and_saveexec_b64 s[22:23], s[4:5]
	s_xor_b64 s[4:5], exec, s[22:23]
; %bb.1555:                             ;   in Loop: Header=BB338_559 Depth=1
	v_bfe_u32 v5, v6, 16, 1
	v_add3_u32 v5, v6, v5, s24
                                        ; implicit-def: $vgpr6
; %bb.1556:                             ;   in Loop: Header=BB338_559 Depth=1
	s_andn2_saveexec_b64 s[22:23], s[4:5]
; %bb.1557:                             ;   in Loop: Header=BB338_559 Depth=1
	v_or_b32_e32 v5, 0x10000, v6
	v_cmp_eq_u32_sdwa s[4:5], v6, v37 src0_sel:WORD_0 src1_sel:DWORD
	s_nop 1
	v_cndmask_b32_e64 v5, v5, v6, s[4:5]
; %bb.1558:                             ;   in Loop: Header=BB338_559 Depth=1
	s_or_b64 exec, exec, s[22:23]
	v_lshlrev_b32_e32 v6, 16, v35
	v_mul_f32_e32 v6, v40, v6
	v_and_b32_e32 v7, 0x7f800000, v6
	v_cmp_ne_u32_e64 s[4:5], s21, v7
                                        ; implicit-def: $vgpr19
	s_and_saveexec_b64 s[22:23], s[4:5]
	s_xor_b64 s[4:5], exec, s[22:23]
; %bb.1559:                             ;   in Loop: Header=BB338_559 Depth=1
	v_bfe_u32 v7, v6, 16, 1
	v_add3_u32 v19, v6, v7, s24
                                        ; implicit-def: $vgpr6
; %bb.1560:                             ;   in Loop: Header=BB338_559 Depth=1
	s_andn2_saveexec_b64 s[22:23], s[4:5]
; %bb.1561:                             ;   in Loop: Header=BB338_559 Depth=1
	v_or_b32_e32 v7, 0x10000, v6
	v_cmp_eq_u32_sdwa s[4:5], v6, v37 src0_sel:WORD_0 src1_sel:DWORD
	s_nop 1
	v_cndmask_b32_e64 v19, v7, v6, s[4:5]
; %bb.1562:                             ;   in Loop: Header=BB338_559 Depth=1
	s_or_b64 exec, exec, s[22:23]
	v_lshlrev_b32_e32 v0, 16, v0
	v_mul_f32_e32 v0, v41, v0
	v_and_b32_e32 v6, 0x7f800000, v0
	v_cmp_ne_u32_e64 s[4:5], s21, v6
                                        ; implicit-def: $vgpr54
	s_and_saveexec_b64 s[22:23], s[4:5]
	s_xor_b64 s[4:5], exec, s[22:23]
; %bb.1563:                             ;   in Loop: Header=BB338_559 Depth=1
	v_bfe_u32 v6, v0, 16, 1
	v_add3_u32 v54, v0, v6, s24
                                        ; implicit-def: $vgpr0
; %bb.1564:                             ;   in Loop: Header=BB338_559 Depth=1
	s_andn2_saveexec_b64 s[22:23], s[4:5]
; %bb.1565:                             ;   in Loop: Header=BB338_559 Depth=1
	v_or_b32_e32 v6, 0x10000, v0
	v_cmp_eq_u32_sdwa s[4:5], v0, v37 src0_sel:WORD_0 src1_sel:DWORD
	s_nop 1
	v_cndmask_b32_e64 v54, v6, v0, s[4:5]
; %bb.1566:                             ;   in Loop: Header=BB338_559 Depth=1
	s_or_b64 exec, exec, s[22:23]
	v_lshlrev_b32_e32 v0, 16, v34
	v_mul_f32_e32 v0, v42, v0
	v_and_b32_e32 v6, 0x7f800000, v0
	v_cmp_ne_u32_e64 s[4:5], s21, v6
                                        ; implicit-def: $vgpr55
	s_and_saveexec_b64 s[22:23], s[4:5]
	s_xor_b64 s[4:5], exec, s[22:23]
; %bb.1567:                             ;   in Loop: Header=BB338_559 Depth=1
	v_bfe_u32 v6, v0, 16, 1
	v_add3_u32 v55, v0, v6, s24
                                        ; implicit-def: $vgpr0
; %bb.1568:                             ;   in Loop: Header=BB338_559 Depth=1
	s_andn2_saveexec_b64 s[22:23], s[4:5]
; %bb.1569:                             ;   in Loop: Header=BB338_559 Depth=1
	v_or_b32_e32 v6, 0x10000, v0
	v_cmp_eq_u32_sdwa s[4:5], v0, v37 src0_sel:WORD_0 src1_sel:DWORD
	s_nop 1
	v_cndmask_b32_e64 v55, v6, v0, s[4:5]
; %bb.1570:                             ;   in Loop: Header=BB338_559 Depth=1
	s_or_b64 exec, exec, s[22:23]
	v_lshlrev_b32_e32 v0, 16, v22
	v_mul_f32_e32 v0, v43, v0
	v_and_b32_e32 v6, 0x7f800000, v0
	v_cmp_ne_u32_e64 s[4:5], s21, v6
                                        ; implicit-def: $vgpr46
	s_and_saveexec_b64 s[22:23], s[4:5]
	s_xor_b64 s[4:5], exec, s[22:23]
; %bb.1571:                             ;   in Loop: Header=BB338_559 Depth=1
	v_bfe_u32 v6, v0, 16, 1
	v_add3_u32 v46, v0, v6, s24
                                        ; implicit-def: $vgpr0
; %bb.1572:                             ;   in Loop: Header=BB338_559 Depth=1
	s_andn2_saveexec_b64 s[22:23], s[4:5]
; %bb.1573:                             ;   in Loop: Header=BB338_559 Depth=1
	v_or_b32_e32 v6, 0x10000, v0
	v_cmp_eq_u32_sdwa s[4:5], v0, v37 src0_sel:WORD_0 src1_sel:DWORD
	s_nop 1
	v_cndmask_b32_e64 v46, v6, v0, s[4:5]
; %bb.1574:                             ;   in Loop: Header=BB338_559 Depth=1
	s_or_b64 exec, exec, s[22:23]
	v_lshlrev_b32_e32 v0, 16, v23
	v_mul_f32_e32 v0, v44, v0
	v_and_b32_e32 v6, 0x7f800000, v0
	v_cmp_ne_u32_e64 s[4:5], s21, v6
                                        ; implicit-def: $vgpr23
	s_and_saveexec_b64 s[22:23], s[4:5]
	s_xor_b64 s[4:5], exec, s[22:23]
; %bb.1575:                             ;   in Loop: Header=BB338_559 Depth=1
	v_bfe_u32 v6, v0, 16, 1
	v_add3_u32 v23, v0, v6, s24
                                        ; implicit-def: $vgpr0
; %bb.1576:                             ;   in Loop: Header=BB338_559 Depth=1
	s_andn2_saveexec_b64 s[22:23], s[4:5]
; %bb.1577:                             ;   in Loop: Header=BB338_559 Depth=1
	v_or_b32_e32 v6, 0x10000, v0
	v_cmp_eq_u32_sdwa s[4:5], v0, v37 src0_sel:WORD_0 src1_sel:DWORD
	s_nop 1
	v_cndmask_b32_e64 v23, v6, v0, s[4:5]
; %bb.1578:                             ;   in Loop: Header=BB338_559 Depth=1
	s_or_b64 exec, exec, s[22:23]
	v_lshlrev_b32_e32 v0, 16, v16
	v_mul_f32_e32 v0, v45, v0
	v_and_b32_e32 v6, 0x7f800000, v0
	v_cmp_ne_u32_e64 s[4:5], s21, v6
                                        ; implicit-def: $vgpr16
	s_and_saveexec_b64 s[22:23], s[4:5]
	s_xor_b64 s[4:5], exec, s[22:23]
; %bb.1579:                             ;   in Loop: Header=BB338_559 Depth=1
	v_bfe_u32 v6, v0, 16, 1
	v_add3_u32 v16, v0, v6, s24
                                        ; implicit-def: $vgpr0
; %bb.1580:                             ;   in Loop: Header=BB338_559 Depth=1
	s_andn2_saveexec_b64 s[22:23], s[4:5]
; %bb.1581:                             ;   in Loop: Header=BB338_559 Depth=1
	v_or_b32_e32 v6, 0x10000, v0
	v_cmp_eq_u32_sdwa s[4:5], v0, v37 src0_sel:WORD_0 src1_sel:DWORD
	s_nop 1
	v_cndmask_b32_e64 v16, v6, v0, s[4:5]
; %bb.1582:                             ;   in Loop: Header=BB338_559 Depth=1
	s_or_b64 exec, exec, s[22:23]
	scratch_load_dwordx2 v[6:7], off, s32 offset:528 ; 8-byte Folded Reload
                                        ; implicit-def: $vgpr61
	s_waitcnt vmcnt(0)
	v_lshl_add_u64 v[2:3], v[2:3], 0, v[6:7]
	flat_load_dwordx2 v[2:3], v[2:3]
	s_waitcnt vmcnt(0) lgkmcnt(0)
	v_and_b32_e32 v0, 0xff, v2
	v_cvt_f32_fp8_sdwa v0, v0 src0_sel:BYTE_0
	s_nop 0
	v_mul_f32_e32 v0, v1, v0
	v_and_b32_e32 v6, 0x7f800000, v0
	v_cmp_ne_u32_e64 s[4:5], s21, v6
	s_and_saveexec_b64 s[22:23], s[4:5]
	s_xor_b64 s[4:5], exec, s[22:23]
; %bb.1583:                             ;   in Loop: Header=BB338_559 Depth=1
	v_bfe_u32 v6, v0, 16, 1
	v_add3_u32 v61, v0, v6, s24
                                        ; implicit-def: $vgpr0
; %bb.1584:                             ;   in Loop: Header=BB338_559 Depth=1
	s_andn2_saveexec_b64 s[22:23], s[4:5]
; %bb.1585:                             ;   in Loop: Header=BB338_559 Depth=1
	v_or_b32_e32 v6, 0x10000, v0
	v_cmp_eq_u32_sdwa s[4:5], v0, v37 src0_sel:WORD_0 src1_sel:DWORD
	s_nop 1
	v_cndmask_b32_e64 v61, v6, v0, s[4:5]
; %bb.1586:                             ;   in Loop: Header=BB338_559 Depth=1
	s_or_b64 exec, exec, s[22:23]
	v_bfe_u32 v0, v2, 8, 8
	v_cvt_f32_fp8_sdwa v0, v0 src0_sel:BYTE_0
                                        ; implicit-def: $vgpr22
	s_nop 0
	v_mul_f32_e32 v0, v1, v0
	v_and_b32_e32 v6, 0x7f800000, v0
	v_cmp_ne_u32_e64 s[4:5], s21, v6
	s_and_saveexec_b64 s[22:23], s[4:5]
	s_xor_b64 s[4:5], exec, s[22:23]
; %bb.1587:                             ;   in Loop: Header=BB338_559 Depth=1
	v_bfe_u32 v6, v0, 16, 1
	v_add3_u32 v22, v0, v6, s24
                                        ; implicit-def: $vgpr0
; %bb.1588:                             ;   in Loop: Header=BB338_559 Depth=1
	s_andn2_saveexec_b64 s[22:23], s[4:5]
; %bb.1589:                             ;   in Loop: Header=BB338_559 Depth=1
	v_or_b32_e32 v6, 0x10000, v0
	v_cmp_eq_u32_sdwa s[4:5], v0, v37 src0_sel:WORD_0 src1_sel:DWORD
	s_nop 1
	v_cndmask_b32_e64 v22, v6, v0, s[4:5]
; %bb.1590:                             ;   in Loop: Header=BB338_559 Depth=1
	s_or_b64 exec, exec, s[22:23]
	v_bfe_u32 v0, v2, 16, 8
	v_cvt_f32_fp8_sdwa v0, v0 src0_sel:BYTE_0
                                        ; implicit-def: $vgpr35
	s_nop 0
	v_mul_f32_e32 v0, v1, v0
	v_and_b32_e32 v6, 0x7f800000, v0
	v_cmp_ne_u32_e64 s[4:5], s21, v6
	s_and_saveexec_b64 s[22:23], s[4:5]
	s_xor_b64 s[4:5], exec, s[22:23]
; %bb.1591:                             ;   in Loop: Header=BB338_559 Depth=1
	v_bfe_u32 v6, v0, 16, 1
	v_add3_u32 v35, v0, v6, s24
                                        ; implicit-def: $vgpr0
; %bb.1592:                             ;   in Loop: Header=BB338_559 Depth=1
	s_andn2_saveexec_b64 s[22:23], s[4:5]
; %bb.1593:                             ;   in Loop: Header=BB338_559 Depth=1
	v_or_b32_e32 v6, 0x10000, v0
	v_cmp_eq_u32_sdwa s[4:5], v0, v37 src0_sel:WORD_0 src1_sel:DWORD
	s_nop 1
	v_cndmask_b32_e64 v35, v6, v0, s[4:5]
; %bb.1594:                             ;   in Loop: Header=BB338_559 Depth=1
	s_or_b64 exec, exec, s[22:23]
	v_lshrrev_b32_e32 v0, 24, v2
	v_cvt_f32_fp8_sdwa v0, v0 src0_sel:BYTE_0
	s_nop 0
	v_mul_f32_e32 v0, v1, v0
	v_and_b32_e32 v2, 0x7f800000, v0
	v_cmp_ne_u32_e64 s[4:5], s21, v2
                                        ; implicit-def: $vgpr2
	s_and_saveexec_b64 s[22:23], s[4:5]
	s_xor_b64 s[4:5], exec, s[22:23]
; %bb.1595:                             ;   in Loop: Header=BB338_559 Depth=1
	v_bfe_u32 v2, v0, 16, 1
	v_add3_u32 v2, v0, v2, s24
                                        ; implicit-def: $vgpr0
; %bb.1596:                             ;   in Loop: Header=BB338_559 Depth=1
	s_andn2_saveexec_b64 s[22:23], s[4:5]
; %bb.1597:                             ;   in Loop: Header=BB338_559 Depth=1
	v_or_b32_e32 v2, 0x10000, v0
	v_cmp_eq_u32_sdwa s[4:5], v0, v37 src0_sel:WORD_0 src1_sel:DWORD
	s_nop 1
	v_cndmask_b32_e64 v2, v2, v0, s[4:5]
; %bb.1598:                             ;   in Loop: Header=BB338_559 Depth=1
	s_or_b64 exec, exec, s[22:23]
	v_and_b32_e32 v0, 0xff, v3
	v_cvt_f32_fp8_sdwa v0, v0 src0_sel:BYTE_0
	s_nop 0
	v_mul_f32_e32 v6, v1, v0
	v_and_b32_e32 v0, 0x7f800000, v6
	v_cmp_ne_u32_e64 s[4:5], s21, v0
                                        ; implicit-def: $vgpr0
	s_and_saveexec_b64 s[22:23], s[4:5]
	s_xor_b64 s[4:5], exec, s[22:23]
; %bb.1599:                             ;   in Loop: Header=BB338_559 Depth=1
	v_bfe_u32 v0, v6, 16, 1
	v_add3_u32 v0, v6, v0, s24
                                        ; implicit-def: $vgpr6
; %bb.1600:                             ;   in Loop: Header=BB338_559 Depth=1
	s_andn2_saveexec_b64 s[22:23], s[4:5]
; %bb.1601:                             ;   in Loop: Header=BB338_559 Depth=1
	v_or_b32_e32 v0, 0x10000, v6
	v_cmp_eq_u32_sdwa s[4:5], v6, v37 src0_sel:WORD_0 src1_sel:DWORD
	s_nop 1
	v_cndmask_b32_e64 v0, v0, v6, s[4:5]
; %bb.1602:                             ;   in Loop: Header=BB338_559 Depth=1
	s_or_b64 exec, exec, s[22:23]
	v_bfe_u32 v6, v3, 8, 8
	v_cvt_f32_fp8_sdwa v6, v6 src0_sel:BYTE_0
                                        ; implicit-def: $vgpr34
	s_nop 0
	v_mul_f32_e32 v6, v1, v6
	v_and_b32_e32 v7, 0x7f800000, v6
	v_cmp_ne_u32_e64 s[4:5], s21, v7
	s_and_saveexec_b64 s[22:23], s[4:5]
	s_xor_b64 s[4:5], exec, s[22:23]
; %bb.1603:                             ;   in Loop: Header=BB338_559 Depth=1
	v_bfe_u32 v7, v6, 16, 1
	v_add3_u32 v34, v6, v7, s24
                                        ; implicit-def: $vgpr6
; %bb.1604:                             ;   in Loop: Header=BB338_559 Depth=1
	s_andn2_saveexec_b64 s[22:23], s[4:5]
; %bb.1605:                             ;   in Loop: Header=BB338_559 Depth=1
	v_or_b32_e32 v7, 0x10000, v6
	v_cmp_eq_u32_sdwa s[4:5], v6, v37 src0_sel:WORD_0 src1_sel:DWORD
	s_nop 1
	v_cndmask_b32_e64 v34, v7, v6, s[4:5]
; %bb.1606:                             ;   in Loop: Header=BB338_559 Depth=1
	s_or_b64 exec, exec, s[22:23]
	v_bfe_u32 v6, v3, 16, 8
	v_cvt_f32_fp8_sdwa v6, v6 src0_sel:BYTE_0
	s_nop 0
	v_mul_f32_e32 v7, v1, v6
	v_and_b32_e32 v6, 0x7f800000, v7
	v_cmp_ne_u32_e64 s[4:5], s21, v6
                                        ; implicit-def: $vgpr6
	s_and_saveexec_b64 s[22:23], s[4:5]
	s_xor_b64 s[4:5], exec, s[22:23]
; %bb.1607:                             ;   in Loop: Header=BB338_559 Depth=1
	v_bfe_u32 v6, v7, 16, 1
	v_add3_u32 v6, v7, v6, s24
                                        ; implicit-def: $vgpr7
; %bb.1608:                             ;   in Loop: Header=BB338_559 Depth=1
	s_andn2_saveexec_b64 s[22:23], s[4:5]
; %bb.1609:                             ;   in Loop: Header=BB338_559 Depth=1
	v_or_b32_e32 v6, 0x10000, v7
	v_cmp_eq_u32_sdwa s[4:5], v7, v37 src0_sel:WORD_0 src1_sel:DWORD
	s_nop 1
	v_cndmask_b32_e64 v6, v6, v7, s[4:5]
; %bb.1610:                             ;   in Loop: Header=BB338_559 Depth=1
	s_or_b64 exec, exec, s[22:23]
	v_lshrrev_b32_e32 v3, 24, v3
	v_cvt_f32_fp8_sdwa v3, v3 src0_sel:BYTE_0
                                        ; implicit-def: $vgpr7
	s_nop 0
	v_mul_f32_e32 v1, v1, v3
	v_and_b32_e32 v3, 0x7f800000, v1
	v_cmp_ne_u32_e64 s[4:5], s21, v3
	s_and_saveexec_b64 s[22:23], s[4:5]
	s_xor_b64 s[4:5], exec, s[22:23]
; %bb.1611:                             ;   in Loop: Header=BB338_559 Depth=1
	v_bfe_u32 v3, v1, 16, 1
	v_add3_u32 v7, v1, v3, s24
                                        ; implicit-def: $vgpr1
; %bb.1612:                             ;   in Loop: Header=BB338_559 Depth=1
	s_andn2_saveexec_b64 s[22:23], s[4:5]
; %bb.1613:                             ;   in Loop: Header=BB338_559 Depth=1
	v_or_b32_e32 v3, 0x10000, v1
	v_cmp_eq_u32_sdwa s[4:5], v1, v37 src0_sel:WORD_0 src1_sel:DWORD
	s_nop 1
	v_cndmask_b32_e64 v7, v3, v1, s[4:5]
; %bb.1614:                             ;   in Loop: Header=BB338_559 Depth=1
	s_or_b64 exec, exec, s[22:23]
	v_lshrrev_b32_e32 v34, 16, v34
	v_lshrrev_b32_e32 v0, 16, v0
	v_lshrrev_b32_e32 v59, 16, v2
	v_lshrrev_b32_e32 v3, 16, v35
	v_lshrrev_b32_e32 v2, 16, v22
	v_lshrrev_b32_e32 v1, 16, v61
	v_lshrrev_b32_e32 v22, 16, v6
	v_lshrrev_b32_e32 v61, 16, v7
	s_and_saveexec_b64 s[4:5], vcc
	s_cbranch_execz .LBB338_1616
; %bb.1615:                             ;   in Loop: Header=BB338_559 Depth=1
	scratch_load_dword v6, off, s32 offset:188 ; 4-byte Folded Reload
	v_accvgpr_read_b32 v7, a2
	s_waitcnt vmcnt(0)
	v_cmp_lt_i32_e32 vcc, v38, v6
	s_nop 1
	v_cndmask_b32_e32 v1, 0, v1, vcc
	v_cmp_lt_i32_e32 vcc, v7, v6
	v_accvgpr_read_b32 v7, a1
	s_nop 0
	v_cndmask_b32_e32 v2, 0, v2, vcc
	v_cmp_lt_i32_e32 vcc, v57, v6
	s_nop 1
	v_cndmask_b32_e32 v3, 0, v3, vcc
	v_cmp_lt_i32_e32 vcc, v7, v6
	v_accvgpr_read_b32 v7, a0
	s_nop 0
	v_cndmask_b32_e32 v59, 0, v59, vcc
	v_cmp_lt_i32_e32 vcc, v7, v6
	v_accvgpr_read_b32 v7, a15
	;; [unrolled: 4-line block ×4, first 2 shown]
	s_nop 0
	v_cndmask_b32_e32 v22, 0, v22, vcc
	v_cmp_lt_i32_e32 vcc, v7, v6
	s_nop 1
	v_cndmask_b32_e32 v61, 0, v61, vcc
.LBB338_1616:                           ;   in Loop: Header=BB338_559 Depth=1
	s_or_b64 exec, exec, s[4:5]
	v_lshlrev_b32_e32 v1, 16, v1
	v_mul_f32_e32 v6, v26, v1
	v_and_b32_e32 v1, 0x7f800000, v6
	v_cmp_ne_u32_e32 vcc, s21, v1
                                        ; implicit-def: $vgpr1
	s_and_saveexec_b64 s[4:5], vcc
	s_xor_b64 s[4:5], exec, s[4:5]
; %bb.1617:                             ;   in Loop: Header=BB338_559 Depth=1
	v_bfe_u32 v1, v6, 16, 1
	v_add3_u32 v1, v6, v1, s24
                                        ; implicit-def: $vgpr6
; %bb.1618:                             ;   in Loop: Header=BB338_559 Depth=1
	s_andn2_saveexec_b64 s[4:5], s[4:5]
; %bb.1619:                             ;   in Loop: Header=BB338_559 Depth=1
	v_or_b32_e32 v1, 0x10000, v6
	v_cmp_eq_u32_sdwa vcc, v6, v37 src0_sel:WORD_0 src1_sel:DWORD
	s_nop 1
	v_cndmask_b32_e32 v1, v1, v6, vcc
; %bb.1620:                             ;   in Loop: Header=BB338_559 Depth=1
	s_or_b64 exec, exec, s[4:5]
	v_lshlrev_b32_e32 v2, 16, v2
	v_mul_f32_e32 v6, v27, v2
	v_and_b32_e32 v2, 0x7f800000, v6
	v_cmp_ne_u32_e32 vcc, s21, v2
                                        ; implicit-def: $vgpr2
	s_and_saveexec_b64 s[4:5], vcc
	s_xor_b64 s[4:5], exec, s[4:5]
; %bb.1621:                             ;   in Loop: Header=BB338_559 Depth=1
	v_bfe_u32 v2, v6, 16, 1
	v_add3_u32 v2, v6, v2, s24
                                        ; implicit-def: $vgpr6
; %bb.1622:                             ;   in Loop: Header=BB338_559 Depth=1
	s_andn2_saveexec_b64 s[4:5], s[4:5]
; %bb.1623:                             ;   in Loop: Header=BB338_559 Depth=1
	v_or_b32_e32 v2, 0x10000, v6
	v_cmp_eq_u32_sdwa vcc, v6, v37 src0_sel:WORD_0 src1_sel:DWORD
	s_nop 1
	v_cndmask_b32_e32 v2, v2, v6, vcc
; %bb.1624:                             ;   in Loop: Header=BB338_559 Depth=1
	s_or_b64 exec, exec, s[4:5]
	v_lshlrev_b32_e32 v3, 16, v3
	v_mul_f32_e32 v6, v40, v3
	v_and_b32_e32 v3, 0x7f800000, v6
	v_cmp_ne_u32_e32 vcc, s21, v3
                                        ; implicit-def: $vgpr3
	s_and_saveexec_b64 s[4:5], vcc
	s_xor_b64 s[4:5], exec, s[4:5]
; %bb.1625:                             ;   in Loop: Header=BB338_559 Depth=1
	v_bfe_u32 v3, v6, 16, 1
	v_add3_u32 v3, v6, v3, s24
                                        ; implicit-def: $vgpr6
; %bb.1626:                             ;   in Loop: Header=BB338_559 Depth=1
	s_andn2_saveexec_b64 s[4:5], s[4:5]
; %bb.1627:                             ;   in Loop: Header=BB338_559 Depth=1
	v_or_b32_e32 v3, 0x10000, v6
	v_cmp_eq_u32_sdwa vcc, v6, v37 src0_sel:WORD_0 src1_sel:DWORD
	s_nop 1
	v_cndmask_b32_e32 v3, v3, v6, vcc
; %bb.1628:                             ;   in Loop: Header=BB338_559 Depth=1
	s_or_b64 exec, exec, s[4:5]
	v_lshlrev_b32_e32 v6, 16, v59
	v_mul_f32_e32 v6, v41, v6
	v_and_b32_e32 v7, 0x7f800000, v6
	v_cmp_ne_u32_e32 vcc, s21, v7
                                        ; implicit-def: $vgpr26
	s_and_saveexec_b64 s[4:5], vcc
	s_xor_b64 s[4:5], exec, s[4:5]
; %bb.1629:                             ;   in Loop: Header=BB338_559 Depth=1
	v_bfe_u32 v7, v6, 16, 1
	v_add3_u32 v26, v6, v7, s24
                                        ; implicit-def: $vgpr6
; %bb.1630:                             ;   in Loop: Header=BB338_559 Depth=1
	s_andn2_saveexec_b64 s[4:5], s[4:5]
; %bb.1631:                             ;   in Loop: Header=BB338_559 Depth=1
	v_or_b32_e32 v7, 0x10000, v6
	v_cmp_eq_u32_sdwa vcc, v6, v37 src0_sel:WORD_0 src1_sel:DWORD
	s_nop 1
	v_cndmask_b32_e32 v26, v7, v6, vcc
; %bb.1632:                             ;   in Loop: Header=BB338_559 Depth=1
	s_or_b64 exec, exec, s[4:5]
	v_lshlrev_b32_e32 v0, 16, v0
	v_mul_f32_e32 v0, v42, v0
	v_and_b32_e32 v6, 0x7f800000, v0
	v_cmp_ne_u32_e32 vcc, s21, v6
                                        ; implicit-def: $vgpr27
	s_and_saveexec_b64 s[4:5], vcc
	s_xor_b64 s[4:5], exec, s[4:5]
; %bb.1633:                             ;   in Loop: Header=BB338_559 Depth=1
	v_bfe_u32 v6, v0, 16, 1
	v_add3_u32 v27, v0, v6, s24
                                        ; implicit-def: $vgpr0
; %bb.1634:                             ;   in Loop: Header=BB338_559 Depth=1
	s_andn2_saveexec_b64 s[4:5], s[4:5]
; %bb.1635:                             ;   in Loop: Header=BB338_559 Depth=1
	v_or_b32_e32 v6, 0x10000, v0
	v_cmp_eq_u32_sdwa vcc, v0, v37 src0_sel:WORD_0 src1_sel:DWORD
	s_nop 1
	v_cndmask_b32_e32 v27, v6, v0, vcc
; %bb.1636:                             ;   in Loop: Header=BB338_559 Depth=1
	s_or_b64 exec, exec, s[4:5]
	v_lshlrev_b32_e32 v0, 16, v34
	v_mul_f32_e32 v0, v43, v0
	v_and_b32_e32 v6, 0x7f800000, v0
	v_cmp_ne_u32_e32 vcc, s21, v6
                                        ; implicit-def: $vgpr38
	s_and_saveexec_b64 s[4:5], vcc
	s_xor_b64 s[4:5], exec, s[4:5]
; %bb.1637:                             ;   in Loop: Header=BB338_559 Depth=1
	v_bfe_u32 v6, v0, 16, 1
	v_add3_u32 v38, v0, v6, s24
                                        ; implicit-def: $vgpr0
; %bb.1638:                             ;   in Loop: Header=BB338_559 Depth=1
	s_andn2_saveexec_b64 s[4:5], s[4:5]
; %bb.1639:                             ;   in Loop: Header=BB338_559 Depth=1
	v_or_b32_e32 v6, 0x10000, v0
	v_cmp_eq_u32_sdwa vcc, v0, v37 src0_sel:WORD_0 src1_sel:DWORD
	s_nop 1
	v_cndmask_b32_e32 v38, v6, v0, vcc
; %bb.1640:                             ;   in Loop: Header=BB338_559 Depth=1
	s_or_b64 exec, exec, s[4:5]
	v_lshlrev_b32_e32 v0, 16, v22
	v_mul_f32_e32 v0, v44, v0
	v_and_b32_e32 v6, 0x7f800000, v0
	v_cmp_ne_u32_e32 vcc, s21, v6
                                        ; implicit-def: $vgpr40
	s_and_saveexec_b64 s[4:5], vcc
	s_xor_b64 s[4:5], exec, s[4:5]
; %bb.1641:                             ;   in Loop: Header=BB338_559 Depth=1
	v_bfe_u32 v6, v0, 16, 1
	v_add3_u32 v40, v0, v6, s24
                                        ; implicit-def: $vgpr0
; %bb.1642:                             ;   in Loop: Header=BB338_559 Depth=1
	s_andn2_saveexec_b64 s[4:5], s[4:5]
; %bb.1643:                             ;   in Loop: Header=BB338_559 Depth=1
	v_or_b32_e32 v6, 0x10000, v0
	v_cmp_eq_u32_sdwa vcc, v0, v37 src0_sel:WORD_0 src1_sel:DWORD
	s_nop 1
	v_cndmask_b32_e32 v40, v6, v0, vcc
; %bb.1644:                             ;   in Loop: Header=BB338_559 Depth=1
	s_or_b64 exec, exec, s[4:5]
	v_lshlrev_b32_e32 v0, 16, v61
	v_mul_f32_e32 v0, v45, v0
	v_and_b32_e32 v6, 0x7f800000, v0
	v_cmp_ne_u32_e32 vcc, s21, v6
                                        ; implicit-def: $vgpr41
	s_and_saveexec_b64 s[4:5], vcc
	s_xor_b64 s[4:5], exec, s[4:5]
; %bb.1645:                             ;   in Loop: Header=BB338_559 Depth=1
	v_bfe_u32 v6, v0, 16, 1
	v_add3_u32 v41, v0, v6, s24
                                        ; implicit-def: $vgpr0
; %bb.1646:                             ;   in Loop: Header=BB338_559 Depth=1
	s_andn2_saveexec_b64 s[4:5], s[4:5]
	s_cbranch_execz .LBB338_557
; %bb.1647:                             ;   in Loop: Header=BB338_559 Depth=1
	v_or_b32_e32 v6, 0x10000, v0
	v_cmp_eq_u32_sdwa vcc, v0, v37 src0_sel:WORD_0 src1_sel:DWORD
	s_nop 1
	v_cndmask_b32_e32 v41, v6, v0, vcc
	s_branch .LBB338_557
.LBB338_1648:
	s_or_b64 exec, exec, s[10:11]
	scratch_load_dword v31, off, s32 offset:544 ; 4-byte Folded Reload
	scratch_load_dword v25, off, s32 offset:540 ; 4-byte Folded Reload
	;; [unrolled: 1-line block ×3, first 2 shown]
	scratch_load_dwordx2 v[28:29], off, s32 offset:280 ; 8-byte Folded Reload
	scratch_load_dwordx2 v[14:15], off, s32 offset:196 ; 8-byte Folded Reload
	;; [unrolled: 1-line block ×7, first 2 shown]
	scratch_load_dword v30, off, s32 offset:548 ; 4-byte Folded Reload
.LBB338_1649:
	s_or_b64 exec, exec, s[6:7]
	s_waitcnt vmcnt(1)
	ds_bpermute_b32 v0, v25, v4
	ds_bpermute_b32 v1, v25, v5
	;; [unrolled: 1-line block ×6, first 2 shown]
	s_waitcnt lgkmcnt(4)
	v_pk_add_f32 v[0:1], v[4:5], v[0:1]
	ds_bpermute_b32 v4, v27, v0
	ds_bpermute_b32 v5, v27, v1
	s_waitcnt lgkmcnt(4)
	v_pk_add_f32 v[2:3], v[8:9], v[2:3]
	ds_bpermute_b32 v8, v27, v2
	ds_bpermute_b32 v9, v27, v3
	s_waitcnt lgkmcnt(0)
	v_pk_add_f32 v[22:23], v[0:1], v[4:5]
	v_pk_add_f32 v[0:1], v[16:17], v[6:7]
	ds_bpermute_b32 v4, v27, v0
	ds_bpermute_b32 v5, v27, v1
	;; [unrolled: 1-line block ×4, first 2 shown]
	v_pk_add_f32 v[18:19], v[2:3], v[8:9]
	ds_bpermute_b32 v2, v25, v10
	ds_bpermute_b32 v3, v25, v11
	s_waitcnt lgkmcnt(4)
	v_pk_add_f32 v[16:17], v[0:1], v[4:5]
	s_waitcnt lgkmcnt(2)
	v_pk_add_f32 v[0:1], v[20:21], v[6:7]
	ds_bpermute_b32 v4, v27, v0
	ds_bpermute_b32 v5, v27, v1
	s_waitcnt lgkmcnt(2)
	v_pk_add_f32 v[2:3], v[10:11], v[2:3]
	ds_bpermute_b32 v10, v25, v14
	ds_bpermute_b32 v11, v25, v15
	s_barrier
	s_waitcnt lgkmcnt(0)
	ds_bpermute_b32 v6, v25, v12
	ds_bpermute_b32 v7, v25, v13
	v_pk_add_f32 v[14:15], v[14:15], v[10:11]
	v_pk_add_f32 v[10:11], v[0:1], v[4:5]
	scratch_load_dword v0, off, s32 offset:824 ; 4-byte Folded Reload
	ds_bpermute_b32 v24, v25, v28
	s_waitcnt lgkmcnt(1)
	v_pk_add_f32 v[6:7], v[12:13], v[6:7]
	ds_bpermute_b32 v25, v25, v29
	ds_bpermute_b32 v12, v27, v6
	;; [unrolled: 1-line block ×7, first 2 shown]
	s_waitcnt lgkmcnt(6)
	v_pk_add_f32 v[4:5], v[28:29], v[24:25]
	s_waitcnt lgkmcnt(4)
	v_pk_add_f32 v[6:7], v[6:7], v[12:13]
	ds_bpermute_b32 v12, v27, v4
	ds_bpermute_b32 v13, v27, v5
	s_waitcnt lgkmcnt(4)
	v_pk_add_f32 v[8:9], v[2:3], v[8:9]
	s_waitcnt lgkmcnt(2)
	v_pk_add_f32 v[2:3], v[14:15], v[20:21]
	s_waitcnt vmcnt(0)
	v_and_b32_e32 v0, 0x3c3, v0
	v_cmp_ne_u32_e32 vcc, 64, v0
	s_and_saveexec_b64 s[4:5], vcc
	s_xor_b64 s[4:5], exec, s[4:5]
; %bb.1650:
                                        ; implicit-def: $vgpr31
; %bb.1651:
	s_or_saveexec_b64 s[4:5], s[4:5]
	s_waitcnt lgkmcnt(0)
	v_pk_add_f32 v[4:5], v[4:5], v[12:13]
	s_xor_b64 exec, exec, s[4:5]
	s_cbranch_execz .LBB338_1653
; %bb.1652:
	s_ashr_i32 s21, s20, 31
	s_lshl_b64 s[6:7], s[20:21], 2
	s_getpc_b64 s[8:9]
	s_add_u32 s8, s8, llvm.amdgcn.dynlds.offset.table@rel32@lo+4
	s_addc_u32 s9, s9, llvm.amdgcn.dynlds.offset.table@rel32@hi+12
	s_add_u32 s6, s6, s8
	s_addc_u32 s7, s7, s9
	s_load_dword s6, s[6:7], 0x0
	s_waitcnt lgkmcnt(0)
	v_add_u32_e32 v0, s6, v31
	ds_write2_b32 v0, v22, v23 offset1:16
	ds_write2_b32 v0, v18, v19 offset0:32 offset1:48
	ds_write2_b32 v0, v16, v17 offset0:64 offset1:80
	ds_write2_b32 v0, v10, v11 offset0:96 offset1:112
	ds_write2_b32 v0, v8, v9 offset0:128 offset1:144
	ds_write2_b32 v0, v6, v7 offset0:160 offset1:176
	ds_write2_b32 v0, v2, v3 offset0:192 offset1:208
	ds_write2_b32 v0, v4, v5 offset0:224 offset1:240
.LBB338_1653:
	s_or_b64 exec, exec, s[4:5]
	s_waitcnt lgkmcnt(0)
	s_barrier
	s_and_saveexec_b64 s[4:5], s[2:3]
	s_xor_b64 s[2:3], exec, s[4:5]
	s_andn2_saveexec_b64 s[2:3], s[2:3]
	s_cbranch_execz .LBB338_1672
; %bb.1654:
	scratch_load_dword v0, off, s32 offset:824 ; 4-byte Folded Reload
	v_cmp_eq_u32_e32 vcc, 0, v30
	s_waitcnt vmcnt(0)
	v_lshrrev_b32_e32 v0, 2, v0
	s_and_saveexec_b64 s[4:5], vcc
	s_cbranch_execnz .LBB338_1740
; %bb.1655:
	s_or_b64 exec, exec, s[4:5]
	s_and_saveexec_b64 s[4:5], vcc
	s_cbranch_execnz .LBB338_1741
.LBB338_1656:
	s_or_b64 exec, exec, s[4:5]
	s_and_saveexec_b64 s[4:5], vcc
	s_cbranch_execnz .LBB338_1742
.LBB338_1657:
	s_or_b64 exec, exec, s[4:5]
	s_and_saveexec_b64 s[4:5], vcc
	s_cbranch_execnz .LBB338_1743
.LBB338_1658:
	s_or_b64 exec, exec, s[4:5]
	s_and_saveexec_b64 s[4:5], vcc
	s_cbranch_execnz .LBB338_1744
.LBB338_1659:
	s_or_b64 exec, exec, s[4:5]
	s_and_saveexec_b64 s[4:5], vcc
	s_cbranch_execnz .LBB338_1745
.LBB338_1660:
	s_or_b64 exec, exec, s[4:5]
	s_and_saveexec_b64 s[4:5], vcc
	s_cbranch_execnz .LBB338_1746
.LBB338_1661:
	s_or_b64 exec, exec, s[4:5]
	s_and_saveexec_b64 s[4:5], vcc
	s_cbranch_execnz .LBB338_1747
.LBB338_1662:
	s_or_b64 exec, exec, s[4:5]
	s_and_saveexec_b64 s[4:5], vcc
	s_cbranch_execnz .LBB338_1748
.LBB338_1663:
	s_or_b64 exec, exec, s[4:5]
	s_and_saveexec_b64 s[4:5], vcc
	s_cbranch_execnz .LBB338_1749
.LBB338_1664:
	s_or_b64 exec, exec, s[4:5]
	s_and_saveexec_b64 s[4:5], vcc
	s_cbranch_execnz .LBB338_1750
.LBB338_1665:
	s_or_b64 exec, exec, s[4:5]
	s_and_saveexec_b64 s[4:5], vcc
	s_cbranch_execnz .LBB338_1751
.LBB338_1666:
	s_or_b64 exec, exec, s[4:5]
	s_and_saveexec_b64 s[4:5], vcc
	s_cbranch_execnz .LBB338_1752
.LBB338_1667:
	s_or_b64 exec, exec, s[4:5]
	s_and_saveexec_b64 s[4:5], vcc
	s_cbranch_execnz .LBB338_1753
.LBB338_1668:
	s_or_b64 exec, exec, s[4:5]
	s_and_saveexec_b64 s[4:5], vcc
	s_cbranch_execnz .LBB338_1754
.LBB338_1669:
	s_or_b64 exec, exec, s[4:5]
	s_and_saveexec_b64 s[4:5], vcc
	s_cbranch_execz .LBB338_1671
.LBB338_1670:
	s_ashr_i32 s21, s20, 31
	s_lshl_b64 s[6:7], s[20:21], 2
	s_getpc_b64 s[8:9]
	s_add_u32 s8, s8, llvm.amdgcn.dynlds.offset.table@rel32@lo+4
	s_addc_u32 s9, s9, llvm.amdgcn.dynlds.offset.table@rel32@hi+12
	s_add_u32 s6, s6, s8
	s_addc_u32 s7, s7, s9
	s_load_dword s6, s[6:7], 0x0
	s_waitcnt lgkmcnt(0)
	v_lshl_add_u32 v0, v0, 2, s6
	ds_read_b32 v0, v0 offset:960
	s_waitcnt lgkmcnt(0)
	v_add_f32_e32 v5, v0, v5
.LBB338_1671:
	s_or_b64 exec, exec, s[4:5]
.LBB338_1672:
	s_or_b64 exec, exec, s[2:3]
	s_barrier
	s_and_saveexec_b64 s[2:3], s[0:1]
	s_cbranch_execz .LBB338_1739
; %bb.1673:
	v_cmp_eq_u32_e32 vcc, 0, v30
	s_and_b64 exec, exec, vcc
	s_cbranch_execz .LBB338_1739
; %bb.1674:
	s_mov_b32 s0, 0x7f800000
	v_and_b32_e32 v0, 0x7f800000, v22
	v_cmp_ne_u32_e32 vcc, s0, v0
                                        ; implicit-def: $vgpr12
	s_and_saveexec_b64 s[0:1], vcc
	s_xor_b64 s[0:1], exec, s[0:1]
; %bb.1675:
	v_bfe_u32 v0, v22, 16, 1
	s_movk_i32 s4, 0x7fff
	v_add3_u32 v12, v22, v0, s4
; %bb.1676:
	s_andn2_saveexec_b64 s[0:1], s[0:1]
; %bb.1677:
	v_mov_b32_e32 v0, 0
	v_or_b32_e32 v1, 0x10000, v22
	v_cmp_eq_u32_sdwa vcc, v22, v0 src0_sel:WORD_0 src1_sel:DWORD
	s_nop 1
	v_cndmask_b32_e32 v12, v1, v22, vcc
; %bb.1678:
	s_or_b64 exec, exec, s[0:1]
	scratch_load_dwordx2 v[0:1], off, s32 offset:932 ; 8-byte Folded Reload
	scratch_load_dword v13, off, s32 offset:824 ; 4-byte Folded Reload
	v_cmp_ne_u16_e64 s[0:1], s19, 0
	s_cmp_lg_u64 s[0:1], 0
	s_addc_u32 s4, s17, 0
	s_mul_i32 s0, s16, s4
	s_mul_i32 s0, s0, s15
	s_lshl_b32 s0, s0, 8
	s_mul_i32 s4, s18, s4
	s_lshl_b32 s6, s14, 8
	s_ashr_i32 s1, s0, 31
	s_ashr_i32 s5, s4, 31
	s_ashr_i32 s7, s6, 31
	s_lshl_b64 s[0:1], s[0:1], 1
	s_lshl_b64 s[4:5], s[4:5], 1
	;; [unrolled: 1-line block ×3, first 2 shown]
	s_add_u32 s4, s6, s4
	s_addc_u32 s5, s7, s5
	s_add_u32 s0, s4, s0
	s_addc_u32 s1, s5, s1
	v_mov_b32_e32 v15, 0
	s_waitcnt vmcnt(1)
	v_lshl_add_u64 v[0:1], s[0:1], 0, v[0:1]
	s_waitcnt vmcnt(0)
	v_lshrrev_b32_e32 v13, 1, v13
	v_and_b32_e32 v14, 0x1fe, v13
	v_lshl_add_u64 v[0:1], v[0:1], 0, v[14:15]
	flat_store_short_d16_hi v[0:1], v12
	s_mov_b32 s0, 0x7f800000
	v_and_b32_e32 v12, 0x7f800000, v23
	v_cmp_ne_u32_e32 vcc, s0, v12
                                        ; implicit-def: $vgpr12
	s_and_saveexec_b64 s[0:1], vcc
	s_xor_b64 s[0:1], exec, s[0:1]
; %bb.1679:
	v_bfe_u32 v12, v23, 16, 1
	s_movk_i32 s4, 0x7fff
	v_add3_u32 v12, v23, v12, s4
                                        ; implicit-def: $vgpr22_vgpr23
; %bb.1680:
	s_andn2_saveexec_b64 s[0:1], s[0:1]
; %bb.1681:
	v_mov_b32_e32 v12, 0
	v_or_b32_e32 v13, 0x10000, v23
	v_cmp_eq_u32_sdwa vcc, v23, v12 src0_sel:WORD_0 src1_sel:DWORD
	s_nop 1
	v_cndmask_b32_e32 v12, v13, v23, vcc
; %bb.1682:
	s_or_b64 exec, exec, s[0:1]
	flat_store_short_d16_hi v[0:1], v12 offset:32
	s_mov_b32 s0, 0x7f800000
	v_and_b32_e32 v12, 0x7f800000, v18
	v_cmp_ne_u32_e32 vcc, s0, v12
                                        ; implicit-def: $vgpr12
	s_and_saveexec_b64 s[0:1], vcc
	s_xor_b64 s[0:1], exec, s[0:1]
; %bb.1683:
	v_bfe_u32 v12, v18, 16, 1
	s_movk_i32 s4, 0x7fff
	v_add3_u32 v12, v18, v12, s4
; %bb.1684:
	s_andn2_saveexec_b64 s[0:1], s[0:1]
; %bb.1685:
	v_mov_b32_e32 v12, 0
	v_or_b32_e32 v13, 0x10000, v18
	v_cmp_eq_u32_sdwa vcc, v18, v12 src0_sel:WORD_0 src1_sel:DWORD
	s_nop 1
	v_cndmask_b32_e32 v12, v13, v18, vcc
; %bb.1686:
	s_or_b64 exec, exec, s[0:1]
	flat_store_short_d16_hi v[0:1], v12 offset:64
	s_mov_b32 s0, 0x7f800000
	v_and_b32_e32 v12, 0x7f800000, v19
	v_cmp_ne_u32_e32 vcc, s0, v12
                                        ; implicit-def: $vgpr12
	s_and_saveexec_b64 s[0:1], vcc
	s_xor_b64 s[0:1], exec, s[0:1]
; %bb.1687:
	v_bfe_u32 v12, v19, 16, 1
	s_movk_i32 s4, 0x7fff
	v_add3_u32 v12, v19, v12, s4
                                        ; implicit-def: $vgpr18_vgpr19
; %bb.1688:
	s_andn2_saveexec_b64 s[0:1], s[0:1]
; %bb.1689:
	v_mov_b32_e32 v12, 0
	v_or_b32_e32 v13, 0x10000, v19
	v_cmp_eq_u32_sdwa vcc, v19, v12 src0_sel:WORD_0 src1_sel:DWORD
	s_nop 1
	v_cndmask_b32_e32 v12, v13, v19, vcc
; %bb.1690:
	s_or_b64 exec, exec, s[0:1]
	flat_store_short_d16_hi v[0:1], v12 offset:96
	s_mov_b32 s0, 0x7f800000
	v_and_b32_e32 v12, 0x7f800000, v16
	v_cmp_ne_u32_e32 vcc, s0, v12
                                        ; implicit-def: $vgpr12
	s_and_saveexec_b64 s[0:1], vcc
	s_xor_b64 s[0:1], exec, s[0:1]
; %bb.1691:
	v_bfe_u32 v12, v16, 16, 1
	s_movk_i32 s4, 0x7fff
	v_add3_u32 v12, v16, v12, s4
; %bb.1692:
	s_andn2_saveexec_b64 s[0:1], s[0:1]
; %bb.1693:
	v_mov_b32_e32 v12, 0
	v_or_b32_e32 v13, 0x10000, v16
	v_cmp_eq_u32_sdwa vcc, v16, v12 src0_sel:WORD_0 src1_sel:DWORD
	s_nop 1
	v_cndmask_b32_e32 v12, v13, v16, vcc
; %bb.1694:
	s_or_b64 exec, exec, s[0:1]
	flat_store_short_d16_hi v[0:1], v12 offset:128
	s_mov_b32 s0, 0x7f800000
	v_and_b32_e32 v12, 0x7f800000, v17
	v_cmp_ne_u32_e32 vcc, s0, v12
                                        ; implicit-def: $vgpr12
	s_and_saveexec_b64 s[0:1], vcc
	s_xor_b64 s[0:1], exec, s[0:1]
; %bb.1695:
	v_bfe_u32 v12, v17, 16, 1
	s_movk_i32 s4, 0x7fff
	v_add3_u32 v12, v17, v12, s4
                                        ; implicit-def: $vgpr16_vgpr17
; %bb.1696:
	s_andn2_saveexec_b64 s[0:1], s[0:1]
; %bb.1697:
	v_mov_b32_e32 v12, 0
	v_or_b32_e32 v13, 0x10000, v17
	v_cmp_eq_u32_sdwa vcc, v17, v12 src0_sel:WORD_0 src1_sel:DWORD
	s_nop 1
	v_cndmask_b32_e32 v12, v13, v17, vcc
; %bb.1698:
	s_or_b64 exec, exec, s[0:1]
	flat_store_short_d16_hi v[0:1], v12 offset:160
	s_mov_b32 s0, 0x7f800000
	v_and_b32_e32 v12, 0x7f800000, v10
	v_cmp_ne_u32_e32 vcc, s0, v12
                                        ; implicit-def: $vgpr12
	s_and_saveexec_b64 s[0:1], vcc
	s_xor_b64 s[0:1], exec, s[0:1]
; %bb.1699:
	v_bfe_u32 v12, v10, 16, 1
	s_movk_i32 s4, 0x7fff
	v_add3_u32 v12, v10, v12, s4
; %bb.1700:
	s_andn2_saveexec_b64 s[0:1], s[0:1]
; %bb.1701:
	v_mov_b32_e32 v12, 0
	v_or_b32_e32 v13, 0x10000, v10
	v_cmp_eq_u32_sdwa vcc, v10, v12 src0_sel:WORD_0 src1_sel:DWORD
	s_nop 1
	v_cndmask_b32_e32 v12, v13, v10, vcc
; %bb.1702:
	s_or_b64 exec, exec, s[0:1]
	s_mov_b32 s0, 0x7f800000
	v_and_b32_e32 v10, 0x7f800000, v11
	v_cmp_ne_u32_e32 vcc, s0, v10
	flat_store_short_d16_hi v[0:1], v12 offset:192
                                        ; implicit-def: $vgpr12
	s_and_saveexec_b64 s[0:1], vcc
	s_xor_b64 s[0:1], exec, s[0:1]
; %bb.1703:
	v_bfe_u32 v10, v11, 16, 1
	s_movk_i32 s4, 0x7fff
	v_add3_u32 v12, v11, v10, s4
                                        ; implicit-def: $vgpr10_vgpr11
; %bb.1704:
	s_andn2_saveexec_b64 s[0:1], s[0:1]
; %bb.1705:
	v_mov_b32_e32 v10, 0
	v_or_b32_e32 v12, 0x10000, v11
	v_cmp_eq_u32_sdwa vcc, v11, v10 src0_sel:WORD_0 src1_sel:DWORD
	s_nop 1
	v_cndmask_b32_e32 v12, v12, v11, vcc
; %bb.1706:
	s_or_b64 exec, exec, s[0:1]
	s_mov_b32 s0, 0x7f800000
	v_and_b32_e32 v10, 0x7f800000, v8
	v_cmp_ne_u32_e32 vcc, s0, v10
	flat_store_short_d16_hi v[0:1], v12 offset:224
                                        ; implicit-def: $vgpr10
	s_and_saveexec_b64 s[0:1], vcc
	s_xor_b64 s[0:1], exec, s[0:1]
; %bb.1707:
	v_bfe_u32 v10, v8, 16, 1
	s_movk_i32 s4, 0x7fff
	v_add3_u32 v10, v8, v10, s4
; %bb.1708:
	s_andn2_saveexec_b64 s[0:1], s[0:1]
; %bb.1709:
	v_mov_b32_e32 v10, 0
	v_or_b32_e32 v11, 0x10000, v8
	v_cmp_eq_u32_sdwa vcc, v8, v10 src0_sel:WORD_0 src1_sel:DWORD
	s_nop 1
	v_cndmask_b32_e32 v10, v11, v8, vcc
; %bb.1710:
	s_or_b64 exec, exec, s[0:1]
	s_mov_b32 s0, 0x7f800000
	v_and_b32_e32 v8, 0x7f800000, v9
	v_cmp_ne_u32_e32 vcc, s0, v8
	flat_store_short_d16_hi v[0:1], v10 offset:256
                                        ; implicit-def: $vgpr10
	s_and_saveexec_b64 s[0:1], vcc
	s_xor_b64 s[0:1], exec, s[0:1]
; %bb.1711:
	v_bfe_u32 v8, v9, 16, 1
	s_movk_i32 s4, 0x7fff
	v_add3_u32 v10, v9, v8, s4
                                        ; implicit-def: $vgpr8_vgpr9
; %bb.1712:
	s_andn2_saveexec_b64 s[0:1], s[0:1]
; %bb.1713:
	v_mov_b32_e32 v8, 0
	v_or_b32_e32 v10, 0x10000, v9
	v_cmp_eq_u32_sdwa vcc, v9, v8 src0_sel:WORD_0 src1_sel:DWORD
	s_nop 1
	v_cndmask_b32_e32 v10, v10, v9, vcc
; %bb.1714:
	s_or_b64 exec, exec, s[0:1]
	s_mov_b32 s0, 0x7f800000
	v_and_b32_e32 v8, 0x7f800000, v6
	v_cmp_ne_u32_e32 vcc, s0, v8
	flat_store_short_d16_hi v[0:1], v10 offset:288
                                        ; implicit-def: $vgpr8
	s_and_saveexec_b64 s[0:1], vcc
	s_xor_b64 s[0:1], exec, s[0:1]
; %bb.1715:
	v_bfe_u32 v8, v6, 16, 1
	s_movk_i32 s4, 0x7fff
	v_add3_u32 v8, v6, v8, s4
; %bb.1716:
	s_andn2_saveexec_b64 s[0:1], s[0:1]
; %bb.1717:
	v_mov_b32_e32 v8, 0
	v_or_b32_e32 v9, 0x10000, v6
	v_cmp_eq_u32_sdwa vcc, v6, v8 src0_sel:WORD_0 src1_sel:DWORD
	s_nop 1
	v_cndmask_b32_e32 v8, v9, v6, vcc
; %bb.1718:
	s_or_b64 exec, exec, s[0:1]
	s_mov_b32 s0, 0x7f800000
	v_and_b32_e32 v6, 0x7f800000, v7
	v_cmp_ne_u32_e32 vcc, s0, v6
	flat_store_short_d16_hi v[0:1], v8 offset:320
                                        ; implicit-def: $vgpr8
	s_and_saveexec_b64 s[0:1], vcc
	s_xor_b64 s[0:1], exec, s[0:1]
; %bb.1719:
	v_bfe_u32 v6, v7, 16, 1
	s_movk_i32 s4, 0x7fff
	v_add3_u32 v8, v7, v6, s4
                                        ; implicit-def: $vgpr6_vgpr7
; %bb.1720:
	s_andn2_saveexec_b64 s[0:1], s[0:1]
; %bb.1721:
	v_mov_b32_e32 v6, 0
	v_or_b32_e32 v8, 0x10000, v7
	v_cmp_eq_u32_sdwa vcc, v7, v6 src0_sel:WORD_0 src1_sel:DWORD
	s_nop 1
	v_cndmask_b32_e32 v8, v8, v7, vcc
; %bb.1722:
	s_or_b64 exec, exec, s[0:1]
	s_mov_b32 s0, 0x7f800000
	v_and_b32_e32 v6, 0x7f800000, v2
	v_cmp_ne_u32_e32 vcc, s0, v6
	flat_store_short_d16_hi v[0:1], v8 offset:352
                                        ; implicit-def: $vgpr6
	s_and_saveexec_b64 s[0:1], vcc
	s_xor_b64 s[0:1], exec, s[0:1]
; %bb.1723:
	v_bfe_u32 v6, v2, 16, 1
	s_movk_i32 s4, 0x7fff
	v_add3_u32 v6, v2, v6, s4
; %bb.1724:
	s_andn2_saveexec_b64 s[0:1], s[0:1]
; %bb.1725:
	v_mov_b32_e32 v6, 0
	v_or_b32_e32 v7, 0x10000, v2
	v_cmp_eq_u32_sdwa vcc, v2, v6 src0_sel:WORD_0 src1_sel:DWORD
	s_nop 1
	v_cndmask_b32_e32 v6, v7, v2, vcc
; %bb.1726:
	s_or_b64 exec, exec, s[0:1]
	s_mov_b32 s0, 0x7f800000
	v_and_b32_e32 v2, 0x7f800000, v3
	v_cmp_ne_u32_e32 vcc, s0, v2
	flat_store_short_d16_hi v[0:1], v6 offset:384
                                        ; implicit-def: $vgpr6
	s_and_saveexec_b64 s[0:1], vcc
	s_xor_b64 s[0:1], exec, s[0:1]
; %bb.1727:
	v_bfe_u32 v2, v3, 16, 1
	s_movk_i32 s4, 0x7fff
	v_add3_u32 v6, v3, v2, s4
                                        ; implicit-def: $vgpr2_vgpr3
; %bb.1728:
	s_andn2_saveexec_b64 s[0:1], s[0:1]
; %bb.1729:
	v_mov_b32_e32 v2, 0
	v_or_b32_e32 v6, 0x10000, v3
	v_cmp_eq_u32_sdwa vcc, v3, v2 src0_sel:WORD_0 src1_sel:DWORD
	s_nop 1
	v_cndmask_b32_e32 v6, v6, v3, vcc
; %bb.1730:
	s_or_b64 exec, exec, s[0:1]
	s_mov_b32 s0, 0x7f800000
	v_and_b32_e32 v2, 0x7f800000, v4
	v_cmp_ne_u32_e32 vcc, s0, v2
	flat_store_short_d16_hi v[0:1], v6 offset:416
                                        ; implicit-def: $vgpr2
	s_and_saveexec_b64 s[0:1], vcc
	s_xor_b64 s[0:1], exec, s[0:1]
; %bb.1731:
	v_bfe_u32 v2, v4, 16, 1
	s_movk_i32 s4, 0x7fff
	v_add3_u32 v2, v4, v2, s4
; %bb.1732:
	s_andn2_saveexec_b64 s[0:1], s[0:1]
; %bb.1733:
	v_mov_b32_e32 v2, 0
	v_or_b32_e32 v3, 0x10000, v4
	v_cmp_eq_u32_sdwa vcc, v4, v2 src0_sel:WORD_0 src1_sel:DWORD
	s_nop 1
	v_cndmask_b32_e32 v2, v3, v4, vcc
; %bb.1734:
	s_or_b64 exec, exec, s[0:1]
	flat_store_short_d16_hi v[0:1], v2 offset:448
	s_mov_b32 s0, 0x7f800000
	v_and_b32_e32 v2, 0x7f800000, v5
	v_cmp_ne_u32_e32 vcc, s0, v2
                                        ; implicit-def: $vgpr2
	s_and_saveexec_b64 s[0:1], vcc
	s_xor_b64 s[0:1], exec, s[0:1]
; %bb.1735:
	v_bfe_u32 v2, v5, 16, 1
	s_movk_i32 s4, 0x7fff
	v_add3_u32 v2, v5, v2, s4
                                        ; implicit-def: $vgpr4_vgpr5
; %bb.1736:
	s_andn2_saveexec_b64 s[0:1], s[0:1]
; %bb.1737:
	v_mov_b32_e32 v2, 0
	v_or_b32_e32 v3, 0x10000, v5
	v_cmp_eq_u32_sdwa vcc, v5, v2 src0_sel:WORD_0 src1_sel:DWORD
	s_nop 1
	v_cndmask_b32_e32 v2, v3, v5, vcc
; %bb.1738:
	s_or_b64 exec, exec, s[0:1]
	flat_store_short_d16_hi v[0:1], v2 offset:480
.LBB338_1739:
	s_or_b64 exec, exec, s[2:3]
	scratch_load_dword a63, off, s32        ; 4-byte Folded Reload
	scratch_load_dword a62, off, s32 offset:4 ; 4-byte Folded Reload
	scratch_load_dword a61, off, s32 offset:8 ; 4-byte Folded Reload
	;; [unrolled: 1-line block ×46, first 2 shown]
	v_readlane_b32 s30, v63, 15
	v_readlane_b32 s31, v63, 16
	v_readlane_b32 s49, v63, 14
	v_readlane_b32 s48, v63, 13
	v_readlane_b32 s46, v63, 12
	v_readlane_b32 s45, v63, 11
	v_readlane_b32 s44, v63, 10
	v_readlane_b32 s43, v63, 9
	v_readlane_b32 s42, v63, 8
	v_readlane_b32 s41, v63, 7
	v_readlane_b32 s40, v63, 6
	v_readlane_b32 s39, v63, 5
	v_readlane_b32 s38, v63, 4
	v_readlane_b32 s37, v63, 3
	v_readlane_b32 s36, v63, 2
	v_readlane_b32 s35, v63, 1
	v_readlane_b32 s34, v63, 0
	s_or_saveexec_b64 s[0:1], -1
	scratch_load_dword v63, off, s32 offset:940 ; 4-byte Folded Reload
	s_mov_b64 exec, s[0:1]
	s_waitcnt vmcnt(0) lgkmcnt(0)
	s_setpc_b64 s[30:31]
.LBB338_1740:
	s_ashr_i32 s21, s20, 31
	s_lshl_b64 s[6:7], s[20:21], 2
	s_getpc_b64 s[8:9]
	s_add_u32 s8, s8, llvm.amdgcn.dynlds.offset.table@rel32@lo+4
	s_addc_u32 s9, s9, llvm.amdgcn.dynlds.offset.table@rel32@hi+12
	s_add_u32 s6, s6, s8
	s_addc_u32 s7, s7, s9
	s_load_dword s6, s[6:7], 0x0
	s_waitcnt lgkmcnt(0)
	v_lshl_add_u32 v1, v0, 2, s6
	ds_read_b32 v1, v1
	s_waitcnt lgkmcnt(0)
	v_add_f32_e32 v22, v1, v22
	s_or_b64 exec, exec, s[4:5]
	s_and_saveexec_b64 s[4:5], vcc
	s_cbranch_execz .LBB338_1656
.LBB338_1741:
	s_ashr_i32 s21, s20, 31
	s_lshl_b64 s[6:7], s[20:21], 2
	s_getpc_b64 s[8:9]
	s_add_u32 s8, s8, llvm.amdgcn.dynlds.offset.table@rel32@lo+4
	s_addc_u32 s9, s9, llvm.amdgcn.dynlds.offset.table@rel32@hi+12
	s_add_u32 s6, s6, s8
	s_addc_u32 s7, s7, s9
	s_load_dword s6, s[6:7], 0x0
	s_waitcnt lgkmcnt(0)
	v_lshl_add_u32 v1, v0, 2, s6
	ds_read_b32 v1, v1 offset:64
	s_waitcnt lgkmcnt(0)
	v_add_f32_e32 v23, v1, v23
	s_or_b64 exec, exec, s[4:5]
	s_and_saveexec_b64 s[4:5], vcc
	s_cbranch_execz .LBB338_1657
.LBB338_1742:
	s_ashr_i32 s21, s20, 31
	s_lshl_b64 s[6:7], s[20:21], 2
	s_getpc_b64 s[8:9]
	s_add_u32 s8, s8, llvm.amdgcn.dynlds.offset.table@rel32@lo+4
	s_addc_u32 s9, s9, llvm.amdgcn.dynlds.offset.table@rel32@hi+12
	s_add_u32 s6, s6, s8
	s_addc_u32 s7, s7, s9
	s_load_dword s6, s[6:7], 0x0
	s_waitcnt lgkmcnt(0)
	v_lshl_add_u32 v1, v0, 2, s6
	ds_read_b32 v1, v1 offset:128
	s_waitcnt lgkmcnt(0)
	v_add_f32_e32 v18, v1, v18
	s_or_b64 exec, exec, s[4:5]
	s_and_saveexec_b64 s[4:5], vcc
	s_cbranch_execz .LBB338_1658
.LBB338_1743:
	s_ashr_i32 s21, s20, 31
	s_lshl_b64 s[6:7], s[20:21], 2
	s_getpc_b64 s[8:9]
	s_add_u32 s8, s8, llvm.amdgcn.dynlds.offset.table@rel32@lo+4
	s_addc_u32 s9, s9, llvm.amdgcn.dynlds.offset.table@rel32@hi+12
	s_add_u32 s6, s6, s8
	s_addc_u32 s7, s7, s9
	s_load_dword s6, s[6:7], 0x0
	s_waitcnt lgkmcnt(0)
	v_lshl_add_u32 v1, v0, 2, s6
	ds_read_b32 v1, v1 offset:192
	s_waitcnt lgkmcnt(0)
	v_add_f32_e32 v19, v1, v19
	s_or_b64 exec, exec, s[4:5]
	s_and_saveexec_b64 s[4:5], vcc
	s_cbranch_execz .LBB338_1659
.LBB338_1744:
	s_ashr_i32 s21, s20, 31
	s_lshl_b64 s[6:7], s[20:21], 2
	s_getpc_b64 s[8:9]
	s_add_u32 s8, s8, llvm.amdgcn.dynlds.offset.table@rel32@lo+4
	s_addc_u32 s9, s9, llvm.amdgcn.dynlds.offset.table@rel32@hi+12
	s_add_u32 s6, s6, s8
	s_addc_u32 s7, s7, s9
	s_load_dword s6, s[6:7], 0x0
	s_waitcnt lgkmcnt(0)
	v_lshl_add_u32 v1, v0, 2, s6
	ds_read_b32 v1, v1 offset:256
	s_waitcnt lgkmcnt(0)
	v_add_f32_e32 v16, v1, v16
	s_or_b64 exec, exec, s[4:5]
	s_and_saveexec_b64 s[4:5], vcc
	s_cbranch_execz .LBB338_1660
.LBB338_1745:
	s_ashr_i32 s21, s20, 31
	s_lshl_b64 s[6:7], s[20:21], 2
	s_getpc_b64 s[8:9]
	s_add_u32 s8, s8, llvm.amdgcn.dynlds.offset.table@rel32@lo+4
	s_addc_u32 s9, s9, llvm.amdgcn.dynlds.offset.table@rel32@hi+12
	s_add_u32 s6, s6, s8
	s_addc_u32 s7, s7, s9
	s_load_dword s6, s[6:7], 0x0
	s_waitcnt lgkmcnt(0)
	v_lshl_add_u32 v1, v0, 2, s6
	ds_read_b32 v1, v1 offset:320
	s_waitcnt lgkmcnt(0)
	v_add_f32_e32 v17, v1, v17
	s_or_b64 exec, exec, s[4:5]
	s_and_saveexec_b64 s[4:5], vcc
	s_cbranch_execz .LBB338_1661
.LBB338_1746:
	s_ashr_i32 s21, s20, 31
	s_lshl_b64 s[6:7], s[20:21], 2
	s_getpc_b64 s[8:9]
	s_add_u32 s8, s8, llvm.amdgcn.dynlds.offset.table@rel32@lo+4
	s_addc_u32 s9, s9, llvm.amdgcn.dynlds.offset.table@rel32@hi+12
	s_add_u32 s6, s6, s8
	s_addc_u32 s7, s7, s9
	s_load_dword s6, s[6:7], 0x0
	s_waitcnt lgkmcnt(0)
	v_lshl_add_u32 v1, v0, 2, s6
	ds_read_b32 v1, v1 offset:384
	s_waitcnt lgkmcnt(0)
	v_add_f32_e32 v10, v1, v10
	s_or_b64 exec, exec, s[4:5]
	s_and_saveexec_b64 s[4:5], vcc
	s_cbranch_execz .LBB338_1662
.LBB338_1747:
	s_ashr_i32 s21, s20, 31
	s_lshl_b64 s[6:7], s[20:21], 2
	s_getpc_b64 s[8:9]
	s_add_u32 s8, s8, llvm.amdgcn.dynlds.offset.table@rel32@lo+4
	s_addc_u32 s9, s9, llvm.amdgcn.dynlds.offset.table@rel32@hi+12
	s_add_u32 s6, s6, s8
	s_addc_u32 s7, s7, s9
	s_load_dword s6, s[6:7], 0x0
	s_waitcnt lgkmcnt(0)
	v_lshl_add_u32 v1, v0, 2, s6
	ds_read_b32 v1, v1 offset:448
	s_waitcnt lgkmcnt(0)
	v_add_f32_e32 v11, v1, v11
	s_or_b64 exec, exec, s[4:5]
	s_and_saveexec_b64 s[4:5], vcc
	s_cbranch_execz .LBB338_1663
.LBB338_1748:
	s_ashr_i32 s21, s20, 31
	s_lshl_b64 s[6:7], s[20:21], 2
	s_getpc_b64 s[8:9]
	s_add_u32 s8, s8, llvm.amdgcn.dynlds.offset.table@rel32@lo+4
	s_addc_u32 s9, s9, llvm.amdgcn.dynlds.offset.table@rel32@hi+12
	s_add_u32 s6, s6, s8
	s_addc_u32 s7, s7, s9
	s_load_dword s6, s[6:7], 0x0
	s_waitcnt lgkmcnt(0)
	v_lshl_add_u32 v1, v0, 2, s6
	ds_read_b32 v1, v1 offset:512
	s_waitcnt lgkmcnt(0)
	v_add_f32_e32 v8, v1, v8
	s_or_b64 exec, exec, s[4:5]
	s_and_saveexec_b64 s[4:5], vcc
	s_cbranch_execz .LBB338_1664
.LBB338_1749:
	s_ashr_i32 s21, s20, 31
	s_lshl_b64 s[6:7], s[20:21], 2
	s_getpc_b64 s[8:9]
	s_add_u32 s8, s8, llvm.amdgcn.dynlds.offset.table@rel32@lo+4
	s_addc_u32 s9, s9, llvm.amdgcn.dynlds.offset.table@rel32@hi+12
	s_add_u32 s6, s6, s8
	s_addc_u32 s7, s7, s9
	s_load_dword s6, s[6:7], 0x0
	s_waitcnt lgkmcnt(0)
	v_lshl_add_u32 v1, v0, 2, s6
	ds_read_b32 v1, v1 offset:576
	s_waitcnt lgkmcnt(0)
	v_add_f32_e32 v9, v1, v9
	s_or_b64 exec, exec, s[4:5]
	s_and_saveexec_b64 s[4:5], vcc
	s_cbranch_execz .LBB338_1665
.LBB338_1750:
	s_ashr_i32 s21, s20, 31
	s_lshl_b64 s[6:7], s[20:21], 2
	s_getpc_b64 s[8:9]
	s_add_u32 s8, s8, llvm.amdgcn.dynlds.offset.table@rel32@lo+4
	s_addc_u32 s9, s9, llvm.amdgcn.dynlds.offset.table@rel32@hi+12
	s_add_u32 s6, s6, s8
	s_addc_u32 s7, s7, s9
	s_load_dword s6, s[6:7], 0x0
	s_waitcnt lgkmcnt(0)
	v_lshl_add_u32 v1, v0, 2, s6
	ds_read_b32 v1, v1 offset:640
	s_waitcnt lgkmcnt(0)
	v_add_f32_e32 v6, v1, v6
	s_or_b64 exec, exec, s[4:5]
	s_and_saveexec_b64 s[4:5], vcc
	s_cbranch_execz .LBB338_1666
.LBB338_1751:
	s_ashr_i32 s21, s20, 31
	s_lshl_b64 s[6:7], s[20:21], 2
	s_getpc_b64 s[8:9]
	s_add_u32 s8, s8, llvm.amdgcn.dynlds.offset.table@rel32@lo+4
	s_addc_u32 s9, s9, llvm.amdgcn.dynlds.offset.table@rel32@hi+12
	s_add_u32 s6, s6, s8
	s_addc_u32 s7, s7, s9
	s_load_dword s6, s[6:7], 0x0
	s_waitcnt lgkmcnt(0)
	v_lshl_add_u32 v1, v0, 2, s6
	ds_read_b32 v1, v1 offset:704
	s_waitcnt lgkmcnt(0)
	v_add_f32_e32 v7, v1, v7
	s_or_b64 exec, exec, s[4:5]
	s_and_saveexec_b64 s[4:5], vcc
	s_cbranch_execz .LBB338_1667
.LBB338_1752:
	s_ashr_i32 s21, s20, 31
	s_lshl_b64 s[6:7], s[20:21], 2
	s_getpc_b64 s[8:9]
	s_add_u32 s8, s8, llvm.amdgcn.dynlds.offset.table@rel32@lo+4
	s_addc_u32 s9, s9, llvm.amdgcn.dynlds.offset.table@rel32@hi+12
	s_add_u32 s6, s6, s8
	s_addc_u32 s7, s7, s9
	s_load_dword s6, s[6:7], 0x0
	s_waitcnt lgkmcnt(0)
	v_lshl_add_u32 v1, v0, 2, s6
	ds_read_b32 v1, v1 offset:768
	s_waitcnt lgkmcnt(0)
	v_add_f32_e32 v2, v1, v2
	s_or_b64 exec, exec, s[4:5]
	s_and_saveexec_b64 s[4:5], vcc
	s_cbranch_execz .LBB338_1668
.LBB338_1753:
	s_ashr_i32 s21, s20, 31
	s_lshl_b64 s[6:7], s[20:21], 2
	s_getpc_b64 s[8:9]
	s_add_u32 s8, s8, llvm.amdgcn.dynlds.offset.table@rel32@lo+4
	s_addc_u32 s9, s9, llvm.amdgcn.dynlds.offset.table@rel32@hi+12
	s_add_u32 s6, s6, s8
	s_addc_u32 s7, s7, s9
	s_load_dword s6, s[6:7], 0x0
	s_waitcnt lgkmcnt(0)
	v_lshl_add_u32 v1, v0, 2, s6
	ds_read_b32 v1, v1 offset:832
	s_waitcnt lgkmcnt(0)
	v_add_f32_e32 v3, v1, v3
	s_or_b64 exec, exec, s[4:5]
	s_and_saveexec_b64 s[4:5], vcc
	s_cbranch_execz .LBB338_1669
.LBB338_1754:
	s_ashr_i32 s21, s20, 31
	s_lshl_b64 s[6:7], s[20:21], 2
	s_getpc_b64 s[8:9]
	s_add_u32 s8, s8, llvm.amdgcn.dynlds.offset.table@rel32@lo+4
	s_addc_u32 s9, s9, llvm.amdgcn.dynlds.offset.table@rel32@hi+12
	s_add_u32 s6, s6, s8
	s_addc_u32 s7, s7, s9
	s_load_dword s6, s[6:7], 0x0
	s_waitcnt lgkmcnt(0)
	v_lshl_add_u32 v1, v0, 2, s6
	ds_read_b32 v1, v1 offset:896
	s_waitcnt lgkmcnt(0)
	v_add_f32_e32 v4, v1, v4
	s_or_b64 exec, exec, s[4:5]
	s_and_saveexec_b64 s[4:5], vcc
	s_cbranch_execnz .LBB338_1670
	s_branch .LBB338_1671
.Lfunc_end338:
	.size	_ZN4vllm22paged_attention_kernelI14__hip_bfloat16hLi256ELi32ELi128ELNS_18Fp8KVCacheDataTypeE1ELb1ELi0EEEvPfS3_PT_PKS4_PKT0_SA_ifPKiSC_iPKfiiiSE_SE_iiiii, .Lfunc_end338-_ZN4vllm22paged_attention_kernelI14__hip_bfloat16hLi256ELi32ELi128ELNS_18Fp8KVCacheDataTypeE1ELb1ELi0EEEvPfS3_PT_PKS4_PKT0_SA_ifPKiSC_iPKfiiiSE_SE_iiiii
                                        ; -- End function
	.section	.AMDGPU.csdata,"",@progbits
; Function info:
; codeLenInByte = 64644
; NumSgprs: 56
; NumVgprs: 64
; NumAgprs: 64
; TotalNumVgprs: 128
; ScratchSize: 948
; MemoryBound: 0
	.section	.text._ZN4vllm25paged_attention_v1_kernelI14__hip_bfloat16hLi256ELi32ELi128ELNS_18Fp8KVCacheDataTypeE1ELb1EEEvPT_PKS3_PKT0_S9_ifPKiSB_iPKfiiiSD_SD_iiiii,"axG",@progbits,_ZN4vllm25paged_attention_v1_kernelI14__hip_bfloat16hLi256ELi32ELi128ELNS_18Fp8KVCacheDataTypeE1ELb1EEEvPT_PKS3_PKT0_S9_ifPKiSB_iPKfiiiSD_SD_iiiii,comdat
	.protected	_ZN4vllm25paged_attention_v1_kernelI14__hip_bfloat16hLi256ELi32ELi128ELNS_18Fp8KVCacheDataTypeE1ELb1EEEvPT_PKS3_PKT0_S9_ifPKiSB_iPKfiiiSD_SD_iiiii ; -- Begin function _ZN4vllm25paged_attention_v1_kernelI14__hip_bfloat16hLi256ELi32ELi128ELNS_18Fp8KVCacheDataTypeE1ELb1EEEvPT_PKS3_PKT0_S9_ifPKiSB_iPKfiiiSD_SD_iiiii
	.globl	_ZN4vllm25paged_attention_v1_kernelI14__hip_bfloat16hLi256ELi32ELi128ELNS_18Fp8KVCacheDataTypeE1ELb1EEEvPT_PKS3_PKT0_S9_ifPKiSB_iPKfiiiSD_SD_iiiii
	.p2align	8
	.type	_ZN4vllm25paged_attention_v1_kernelI14__hip_bfloat16hLi256ELi32ELi128ELNS_18Fp8KVCacheDataTypeE1ELb1EEEvPT_PKS3_PKT0_S9_ifPKiSB_iPKfiiiSD_SD_iiiii,@function
_ZN4vllm25paged_attention_v1_kernelI14__hip_bfloat16hLi256ELi32ELi128ELNS_18Fp8KVCacheDataTypeE1ELb1EEEvPT_PKS3_PKT0_S9_ifPKiSB_iPKfiiiSD_SD_iiiii: ; @_ZN4vllm25paged_attention_v1_kernelI14__hip_bfloat16hLi256ELi32ELi128ELNS_18Fp8KVCacheDataTypeE1ELb1EEEvPT_PKS3_PKT0_S9_ifPKiSB_iPKfiiiSD_SD_iiiii
; %bb.0:
	s_load_dwordx8 s[16:23], s[0:1], 0x0
	s_load_dwordx4 s[36:39], s[0:1], 0x20
	s_load_dwordx2 s[6:7], s[0:1], 0x30
	s_load_dword s5, s[0:1], 0x38
	s_load_dwordx2 s[10:11], s[0:1], 0x40
	s_load_dwordx8 s[24:31], s[0:1], 0x48
	s_waitcnt lgkmcnt(0)
	s_load_dword s27, s[0:1], 0x78
	s_load_dwordx4 s[40:43], s[0:1], 0x68
	s_add_u32 s8, s0, 0x80
	s_addc_u32 s9, s1, 0
	s_mov_b32 s12, s2
	s_mov_b32 s13, s3
	;; [unrolled: 1-line block ×4, first 2 shown]
	v_mov_b32_e32 v31, v0
	v_mov_b32_e32 v0, s16
	;; [unrolled: 1-line block ×25, first 2 shown]
	s_waitcnt lgkmcnt(0)
	v_mov_b32_e32 v24, s40
	v_mov_b32_e32 v25, s41
	;; [unrolled: 1-line block ×5, first 2 shown]
	s_mov_b32 s32, 0
	s_getpc_b64 s[0:1]
	s_add_u32 s0, s0, _ZN4vllm22paged_attention_kernelI14__hip_bfloat16hLi256ELi32ELi128ELNS_18Fp8KVCacheDataTypeE1ELb1ELi0EEEvPfS3_PT_PKS4_PKT0_SA_ifPKiSC_iPKfiiiSE_SE_iiiii@rel32@lo+4
	s_addc_u32 s1, s1, _ZN4vllm22paged_attention_kernelI14__hip_bfloat16hLi256ELi32ELi128ELNS_18Fp8KVCacheDataTypeE1ELb1ELi0EEEvPfS3_PT_PKS4_PKT0_SA_ifPKiSC_iPKfiiiSE_SE_iiiii@rel32@hi+12
	s_swappc_b64 s[30:31], s[0:1]
	s_endpgm
	.section	.rodata,"a",@progbits
	.p2align	6, 0x0
	.amdhsa_kernel _ZN4vllm25paged_attention_v1_kernelI14__hip_bfloat16hLi256ELi32ELi128ELNS_18Fp8KVCacheDataTypeE1ELb1EEEvPT_PKS3_PKT0_S9_ifPKiSB_iPKfiiiSD_SD_iiiii
		.amdhsa_group_segment_fixed_size 528
		.amdhsa_private_segment_fixed_size 948
		.amdhsa_kernarg_size 384
		.amdhsa_user_sgpr_count 2
		.amdhsa_user_sgpr_dispatch_ptr 0
		.amdhsa_user_sgpr_queue_ptr 0
		.amdhsa_user_sgpr_kernarg_segment_ptr 1
		.amdhsa_user_sgpr_dispatch_id 0
		.amdhsa_user_sgpr_kernarg_preload_length 0
		.amdhsa_user_sgpr_kernarg_preload_offset 0
		.amdhsa_user_sgpr_private_segment_size 0
		.amdhsa_uses_dynamic_stack 0
		.amdhsa_enable_private_segment 1
		.amdhsa_system_sgpr_workgroup_id_x 1
		.amdhsa_system_sgpr_workgroup_id_y 1
		.amdhsa_system_sgpr_workgroup_id_z 1
		.amdhsa_system_sgpr_workgroup_info 0
		.amdhsa_system_vgpr_workitem_id 0
		.amdhsa_next_free_vgpr 128
		.amdhsa_next_free_sgpr 50
		.amdhsa_accum_offset 64
		.amdhsa_reserve_vcc 1
		.amdhsa_float_round_mode_32 0
		.amdhsa_float_round_mode_16_64 0
		.amdhsa_float_denorm_mode_32 3
		.amdhsa_float_denorm_mode_16_64 3
		.amdhsa_dx10_clamp 1
		.amdhsa_ieee_mode 1
		.amdhsa_fp16_overflow 0
		.amdhsa_tg_split 0
		.amdhsa_exception_fp_ieee_invalid_op 0
		.amdhsa_exception_fp_denorm_src 0
		.amdhsa_exception_fp_ieee_div_zero 0
		.amdhsa_exception_fp_ieee_overflow 0
		.amdhsa_exception_fp_ieee_underflow 0
		.amdhsa_exception_fp_ieee_inexact 0
		.amdhsa_exception_int_div_zero 0
	.end_amdhsa_kernel
	.section	.text._ZN4vllm25paged_attention_v1_kernelI14__hip_bfloat16hLi256ELi32ELi128ELNS_18Fp8KVCacheDataTypeE1ELb1EEEvPT_PKS3_PKT0_S9_ifPKiSB_iPKfiiiSD_SD_iiiii,"axG",@progbits,_ZN4vllm25paged_attention_v1_kernelI14__hip_bfloat16hLi256ELi32ELi128ELNS_18Fp8KVCacheDataTypeE1ELb1EEEvPT_PKS3_PKT0_S9_ifPKiSB_iPKfiiiSD_SD_iiiii,comdat
.Lfunc_end339:
	.size	_ZN4vllm25paged_attention_v1_kernelI14__hip_bfloat16hLi256ELi32ELi128ELNS_18Fp8KVCacheDataTypeE1ELb1EEEvPT_PKS3_PKT0_S9_ifPKiSB_iPKfiiiSD_SD_iiiii, .Lfunc_end339-_ZN4vllm25paged_attention_v1_kernelI14__hip_bfloat16hLi256ELi32ELi128ELNS_18Fp8KVCacheDataTypeE1ELb1EEEvPT_PKS3_PKT0_S9_ifPKiSB_iPKfiiiSD_SD_iiiii
                                        ; -- End function
	.section	.AMDGPU.csdata,"",@progbits
; Kernel info:
; codeLenInByte = 252
; NumSgprs: 56
; NumVgprs: 64
; NumAgprs: 64
; TotalNumVgprs: 128
; ScratchSize: 948
; MemoryBound: 0
; FloatMode: 240
; IeeeMode: 1
; LDSByteSize: 528 bytes/workgroup (compile time only)
; SGPRBlocks: 6
; VGPRBlocks: 15
; NumSGPRsForWavesPerEU: 56
; NumVGPRsForWavesPerEU: 128
; AccumOffset: 64
; Occupancy: 4
; WaveLimiterHint : 1
; COMPUTE_PGM_RSRC2:SCRATCH_EN: 1
; COMPUTE_PGM_RSRC2:USER_SGPR: 2
; COMPUTE_PGM_RSRC2:TRAP_HANDLER: 0
; COMPUTE_PGM_RSRC2:TGID_X_EN: 1
; COMPUTE_PGM_RSRC2:TGID_Y_EN: 1
; COMPUTE_PGM_RSRC2:TGID_Z_EN: 1
; COMPUTE_PGM_RSRC2:TIDIG_COMP_CNT: 0
; COMPUTE_PGM_RSRC3_GFX90A:ACCUM_OFFSET: 15
; COMPUTE_PGM_RSRC3_GFX90A:TG_SPLIT: 0
	.section	.text._ZN4vllm25paged_attention_v1_kernelI14__hip_bfloat16hLi32ELi32ELi128ELNS_18Fp8KVCacheDataTypeE1ELb0EEEvPT_PKS3_PKT0_S9_ifPKiSB_iPKfiiiSD_SD_iiiii,"axG",@progbits,_ZN4vllm25paged_attention_v1_kernelI14__hip_bfloat16hLi32ELi32ELi128ELNS_18Fp8KVCacheDataTypeE1ELb0EEEvPT_PKS3_PKT0_S9_ifPKiSB_iPKfiiiSD_SD_iiiii,comdat
	.protected	_ZN4vllm25paged_attention_v1_kernelI14__hip_bfloat16hLi32ELi32ELi128ELNS_18Fp8KVCacheDataTypeE1ELb0EEEvPT_PKS3_PKT0_S9_ifPKiSB_iPKfiiiSD_SD_iiiii ; -- Begin function _ZN4vllm25paged_attention_v1_kernelI14__hip_bfloat16hLi32ELi32ELi128ELNS_18Fp8KVCacheDataTypeE1ELb0EEEvPT_PKS3_PKT0_S9_ifPKiSB_iPKfiiiSD_SD_iiiii
	.globl	_ZN4vllm25paged_attention_v1_kernelI14__hip_bfloat16hLi32ELi32ELi128ELNS_18Fp8KVCacheDataTypeE1ELb0EEEvPT_PKS3_PKT0_S9_ifPKiSB_iPKfiiiSD_SD_iiiii
	.p2align	8
	.type	_ZN4vllm25paged_attention_v1_kernelI14__hip_bfloat16hLi32ELi32ELi128ELNS_18Fp8KVCacheDataTypeE1ELb0EEEvPT_PKS3_PKT0_S9_ifPKiSB_iPKfiiiSD_SD_iiiii,@function
_ZN4vllm25paged_attention_v1_kernelI14__hip_bfloat16hLi32ELi32ELi128ELNS_18Fp8KVCacheDataTypeE1ELb0EEEvPT_PKS3_PKT0_S9_ifPKiSB_iPKfiiiSD_SD_iiiii: ; @_ZN4vllm25paged_attention_v1_kernelI14__hip_bfloat16hLi32ELi32ELi128ELNS_18Fp8KVCacheDataTypeE1ELb0EEEvPT_PKS3_PKT0_S9_ifPKiSB_iPKfiiiSD_SD_iiiii
; %bb.0:
	s_load_dword s5, s[0:1], 0x80
	s_load_dwordx2 s[6:7], s[0:1], 0x30
	s_load_dwordx2 s[28:29], s[0:1], 0x20
	s_mov_b32 s16, s3
	s_ashr_i32 s17, s3, 31
	s_lshl_b64 s[8:9], s[16:17], 2
	s_waitcnt lgkmcnt(0)
	s_add_u32 s6, s6, s8
	s_addc_u32 s7, s7, s9
	s_abs_i32 s3, s28
	v_cvt_f32_u32_e32 v1, s3
	s_sub_i32 s10, 0, s3
	s_abs_i32 s9, s5
	s_xor_b32 s8, s5, s28
	v_rcp_iflag_f32_e32 v1, v1
	s_ashr_i32 s8, s8, 31
	s_mov_b32 s28, 0
	v_mul_f32_e32 v1, 0x4f7ffffe, v1
	v_cvt_u32_f32_e32 v1, v1
	s_nop 0
	v_readfirstlane_b32 s11, v1
	s_mul_i32 s10, s10, s11
	s_mul_hi_u32 s10, s11, s10
	s_add_i32 s11, s11, s10
	s_mul_hi_u32 s10, s9, s11
	s_mul_i32 s11, s10, s3
	s_sub_i32 s9, s9, s11
	s_add_i32 s11, s10, 1
	s_sub_i32 s12, s9, s3
	s_cmp_ge_u32 s9, s3
	s_cselect_b32 s10, s11, s10
	s_cselect_b32 s9, s12, s9
	s_add_i32 s11, s10, 1
	s_cmp_ge_u32 s9, s3
	s_cselect_b32 s3, s11, s10
	s_xor_b32 s3, s3, s8
	s_sub_i32 s12, s3, s8
	s_abs_i32 s10, s12
	v_cvt_f32_u32_e32 v1, s10
	s_load_dwordx2 s[8:9], s[0:1], 0x40
	s_sub_i32 s3, 0, s10
	s_abs_i32 s11, s2
	v_rcp_iflag_f32_e32 v1, v1
	s_nop 0
	v_mul_f32_e32 v1, 0x4f7ffffe, v1
	v_cvt_u32_f32_e32 v1, v1
	s_nop 0
	v_readfirstlane_b32 s13, v1
	s_mul_i32 s3, s3, s13
	s_mul_hi_u32 s3, s13, s3
	s_add_i32 s13, s13, s3
	s_waitcnt lgkmcnt(0)
	s_cmp_eq_u64 s[8:9], 0
	s_mul_hi_u32 s20, s11, s13
	s_cbranch_scc1 .LBB340_2
; %bb.1:
	s_ashr_i32 s3, s2, 31
	s_lshl_b64 s[14:15], s[2:3], 2
	s_add_u32 s8, s8, s14
	s_addc_u32 s9, s9, s15
	s_load_dword s28, s[8:9], 0x0
.LBB340_2:
	s_load_dword s17, s[6:7], 0x0
	s_ashr_i32 s7, s12, 31
	s_load_dwordx4 s[12:15], s[0:1], 0x48
	s_ashr_i32 s6, s2, 31
	v_and_b32_e32 v6, 1, v0
	s_lshl_b32 s18, s2, 5
	v_cmp_gt_u32_e32 vcc, 8, v0
	v_lshlrev_b32_e32 v10, 3, v0
	s_and_saveexec_b64 s[2:3], vcc
	s_cbranch_execz .LBB340_4
; %bb.3:
	s_load_dwordx2 s[8:9], s[0:1], 0x8
	s_waitcnt lgkmcnt(0)
	s_mul_i32 s22, s16, s12
	s_ashr_i32 s23, s22, 31
	s_lshl_b64 s[22:23], s[22:23], 1
	v_lshlrev_b32_e32 v1, 2, v0
	s_add_u32 s12, s8, s22
	s_addc_u32 s15, s9, s23
	s_ashr_i32 s19, s18, 31
	s_lshl_b64 s[8:9], s[18:19], 1
	s_add_u32 s8, s12, s8
	s_addc_u32 s9, s15, s9
	global_load_dwordx2 v[2:3], v10, s[8:9]
	v_and_b32_e32 v1, 0xff8, v1
	v_lshl_add_u32 v1, v6, 5, v1
	s_waitcnt vmcnt(0)
	ds_write_b64 v1, v[2:3]
.LBB340_4:
	s_or_b64 exec, exec, s[2:3]
	s_waitcnt lgkmcnt(0)
	s_add_i32 s3, s17, 31
	s_ashr_i32 s8, s3, 31
	s_lshr_b32 s8, s8, 27
	s_add_i32 s3, s3, s8
	s_ashr_i32 s19, s3, 5
	s_xor_b32 s3, s6, s7
	s_mul_i32 s6, s20, s10
	s_sub_i32 s6, s11, s6
	s_add_i32 s7, s20, 1
	s_sub_i32 s8, s6, s10
	s_load_dwordx2 s[22:23], s[0:1], 0x28
	s_load_dword s2, s[0:1], 0x38
	s_cmp_ge_u32 s6, s10
	s_cselect_b32 s7, s7, s20
	s_cselect_b32 s6, s8, s6
	s_add_i32 s8, s7, 1
	s_cmp_ge_u32 s6, s10
	s_cselect_b32 s6, s8, s7
	v_lshrrev_b32_e32 v1, 6, v0
	s_xor_b32 s6, s6, s3
	s_waitcnt lgkmcnt(0)
	s_mul_i32 s24, s16, s2
	s_sub_i32 s33, s6, s3
	s_ashr_i32 s25, s24, 31
	v_cmp_gt_i32_e64 s[6:7], s19, v1
	v_cmp_le_i32_e32 vcc, s19, v1
	v_mbcnt_lo_u32_b32 v7, -1, 0
	s_barrier
	s_waitcnt lgkmcnt(0)
                                        ; implicit-def: $sgpr15
                                        ; implicit-def: $vgpr11
                                        ; implicit-def: $vgpr12
	s_and_saveexec_b64 s[2:3], vcc
	s_xor_b64 s[2:3], exec, s[2:3]
; %bb.5:
	v_mbcnt_hi_u32_b32 v11, -1, v7
	v_and_b32_e32 v2, 64, v11
	v_add_u32_e32 v12, 64, v2
	s_mov_b32 s15, 0xff7fffff
                                        ; implicit-def: $vgpr6
                                        ; implicit-def: $vgpr7
; %bb.6:
	s_or_saveexec_b64 s[30:31], s[2:3]
	s_load_dwordx2 s[20:21], s[0:1], 0x0
	s_load_dwordx2 s[26:27], s[0:1], 0x18
	s_load_dword s12, s[0:1], 0x88
	s_load_dwordx4 s[8:11], s[0:1], 0x58
	v_mov_b32_e32 v26, s15
	s_mul_i32 s33, s33, s14
	v_lshrrev_b32_e32 v16, 4, v0
	s_xor_b64 exec, exec, s[30:31]
	s_cbranch_execz .LBB340_76
; %bb.7:
	s_load_dwordx2 s[0:1], s[0:1], 0x10
	v_lshlrev_b32_e32 v9, 5, v6
	v_mbcnt_hi_u32_b32 v11, -1, v7
	s_ashr_i32 s2, s33, 31
	ds_read_b128 v[18:21], v9
	ds_read_b128 v[28:31], v9 offset:16
	v_and_b32_e32 v9, 64, v11
	v_bfe_u32 v8, v0, 1, 5
	s_waitcnt lgkmcnt(0)
	s_add_u32 s0, s0, s33
	v_xor_b32_e32 v7, 1, v11
	v_add_u32_e32 v12, 64, v9
	v_lshlrev_b32_e32 v2, 4, v8
	s_addc_u32 s1, s1, s2
	v_mov_b32_e32 v3, 0
	v_cmp_lt_i32_e32 vcc, v7, v12
	s_load_dword s35, s[8:9], 0x0
	v_lshl_add_u64 v[4:5], s[0:1], 0, v[2:3]
	v_lshlrev_b32_e32 v2, 2, v6
	v_cndmask_b32_e32 v7, v11, v7, vcc
	v_cmp_eq_u32_e32 vcc, 0, v6
	s_sub_i32 s36, 1, s17
	v_lshlrev_b32_e32 v6, 2, v8
	s_lshl_b64 s[0:1], s[24:25], 2
	v_lshl_or_b32 v6, v1, 7, v6
	s_add_u32 s0, s22, s0
	v_lshlrev_b32_e32 v22, 16, v28
	v_and_b32_e32 v23, 0xffff0000, v28
	v_lshlrev_b32_e32 v24, 16, v29
	v_and_b32_e32 v25, 0xffff0000, v29
	;; [unrolled: 2-line block ×4, first 2 shown]
	v_lshlrev_b32_e32 v31, 2, v7
	v_add_u32_e32 v33, 0x50, v6
	v_and_b32_e32 v6, 60, v16
	v_mov_b32_e32 v7, v3
	s_addc_u32 s1, s23, s1
	s_mov_b32 s34, s13
	v_lshlrev_b32_e32 v13, 16, v18
	v_and_b32_e32 v14, 0xffff0000, v18
	v_lshlrev_b32_e32 v15, 16, v19
	v_and_b32_e32 v17, 0xffff0000, v19
	;; [unrolled: 2-line block ×4, first 2 shown]
	v_cmp_neq_f32_e64 s[2:3], s28, 0
	v_lshl_or_b32 v32, v1, 5, v8
	v_lshl_add_u64 v[6:7], s[0:1], 0, v[6:7]
	s_mov_b64 s[8:9], 0
	v_mov_b32_e32 v26, 0xff7fffff
	s_mov_b32 s37, 0x7f800000
	s_movk_i32 s38, 0x7fff
	v_mov_b32_e32 v34, v1
	s_branch .LBB340_9
.LBB340_8:                              ;   in Loop: Header=BB340_9 Depth=1
	s_or_b64 exec, exec, s[14:15]
	v_add_u32_e32 v34, 2, v34
	v_cmp_le_i32_e64 s[0:1], s19, v34
	v_add_u32_e32 v32, 64, v32
	v_add_u32_e32 v33, 0x100, v33
	s_or_b64 s[8:9], s[0:1], s[8:9]
	v_lshl_add_u64 v[6:7], v[6:7], 0, 8
	s_andn2_b64 exec, exec, s[8:9]
	s_cbranch_execz .LBB340_75
.LBB340_9:                              ; =>This Inner Loop Header: Depth=1
	global_load_dword v8, v[6:7], off
	s_waitcnt vmcnt(0) lgkmcnt(0)
	v_mad_i64_i32 v[8:9], s[0:1], v8, s34, v[4:5]
	v_lshl_add_u64 v[8:9], v[8:9], 0, v[2:3]
	global_load_dword v38, v[8:9], off
	s_waitcnt vmcnt(0)
	v_and_b32_e32 v35, 0xff, v38
	v_cvt_f32_fp8_sdwa v35, v35 src0_sel:BYTE_0
	s_waitcnt lgkmcnt(0)
	v_mul_f32_e32 v36, s35, v35
	v_and_b32_e32 v35, 0x7f800000, v36
	v_cmp_ne_u32_e64 s[0:1], s37, v35
                                        ; implicit-def: $vgpr35
	s_and_saveexec_b64 s[14:15], s[0:1]
	s_xor_b64 s[0:1], exec, s[14:15]
; %bb.10:                               ;   in Loop: Header=BB340_9 Depth=1
	v_bfe_u32 v35, v36, 16, 1
	v_add3_u32 v35, v36, v35, s38
                                        ; implicit-def: $vgpr36
; %bb.11:                               ;   in Loop: Header=BB340_9 Depth=1
	s_andn2_saveexec_b64 s[14:15], s[0:1]
; %bb.12:                               ;   in Loop: Header=BB340_9 Depth=1
	v_or_b32_e32 v35, 0x10000, v36
	v_cmp_eq_u32_sdwa s[0:1], v36, v3 src0_sel:WORD_0 src1_sel:DWORD
	s_nop 1
	v_cndmask_b32_e64 v35, v35, v36, s[0:1]
; %bb.13:                               ;   in Loop: Header=BB340_9 Depth=1
	s_or_b64 exec, exec, s[14:15]
	v_bfe_u32 v36, v38, 8, 8
	v_cvt_f32_fp8_sdwa v36, v36 src0_sel:BYTE_0
	s_nop 0
	v_mul_f32_e32 v37, s35, v36
	v_and_b32_e32 v36, 0x7f800000, v37
	v_cmp_ne_u32_e64 s[0:1], s37, v36
                                        ; implicit-def: $vgpr36
	s_and_saveexec_b64 s[14:15], s[0:1]
	s_xor_b64 s[0:1], exec, s[14:15]
; %bb.14:                               ;   in Loop: Header=BB340_9 Depth=1
	v_bfe_u32 v36, v37, 16, 1
	v_add3_u32 v36, v37, v36, s38
                                        ; implicit-def: $vgpr37
; %bb.15:                               ;   in Loop: Header=BB340_9 Depth=1
	s_andn2_saveexec_b64 s[14:15], s[0:1]
; %bb.16:                               ;   in Loop: Header=BB340_9 Depth=1
	v_or_b32_e32 v36, 0x10000, v37
	v_cmp_eq_u32_sdwa s[0:1], v37, v3 src0_sel:WORD_0 src1_sel:DWORD
	s_nop 1
	v_cndmask_b32_e64 v36, v36, v37, s[0:1]
; %bb.17:                               ;   in Loop: Header=BB340_9 Depth=1
	s_or_b64 exec, exec, s[14:15]
	v_bfe_u32 v37, v38, 16, 8
	v_cvt_f32_fp8_sdwa v37, v37 src0_sel:BYTE_0
	s_nop 0
	v_mul_f32_e32 v39, s35, v37
	v_and_b32_e32 v37, 0x7f800000, v39
	v_cmp_ne_u32_e64 s[0:1], s37, v37
                                        ; implicit-def: $vgpr37
	s_and_saveexec_b64 s[14:15], s[0:1]
	s_xor_b64 s[0:1], exec, s[14:15]
; %bb.18:                               ;   in Loop: Header=BB340_9 Depth=1
	v_bfe_u32 v37, v39, 16, 1
	v_add3_u32 v37, v39, v37, s38
                                        ; implicit-def: $vgpr39
; %bb.19:                               ;   in Loop: Header=BB340_9 Depth=1
	s_andn2_saveexec_b64 s[14:15], s[0:1]
; %bb.20:                               ;   in Loop: Header=BB340_9 Depth=1
	v_or_b32_e32 v37, 0x10000, v39
	v_cmp_eq_u32_sdwa s[0:1], v39, v3 src0_sel:WORD_0 src1_sel:DWORD
	s_nop 1
	v_cndmask_b32_e64 v37, v37, v39, s[0:1]
; %bb.21:                               ;   in Loop: Header=BB340_9 Depth=1
	s_or_b64 exec, exec, s[14:15]
	v_lshrrev_b32_e32 v38, 24, v38
	v_cvt_f32_fp8_sdwa v38, v38 src0_sel:BYTE_0
	s_nop 0
	v_mul_f32_e32 v39, s35, v38
	v_and_b32_e32 v38, 0x7f800000, v39
	v_cmp_ne_u32_e64 s[0:1], s37, v38
                                        ; implicit-def: $vgpr38
	s_and_saveexec_b64 s[14:15], s[0:1]
	s_xor_b64 s[0:1], exec, s[14:15]
; %bb.22:                               ;   in Loop: Header=BB340_9 Depth=1
	v_bfe_u32 v38, v39, 16, 1
	v_add3_u32 v38, v39, v38, s38
                                        ; implicit-def: $vgpr39
; %bb.23:                               ;   in Loop: Header=BB340_9 Depth=1
	s_andn2_saveexec_b64 s[14:15], s[0:1]
; %bb.24:                               ;   in Loop: Header=BB340_9 Depth=1
	v_or_b32_e32 v38, 0x10000, v39
	v_cmp_eq_u32_sdwa s[0:1], v39, v3 src0_sel:WORD_0 src1_sel:DWORD
	s_nop 1
	v_cndmask_b32_e64 v38, v38, v39, s[0:1]
; %bb.25:                               ;   in Loop: Header=BB340_9 Depth=1
	s_or_b64 exec, exec, s[14:15]
	global_load_dword v42, v[8:9], off offset:8
	s_waitcnt vmcnt(0)
	v_and_b32_e32 v39, 0xff, v42
	v_cvt_f32_fp8_sdwa v39, v39 src0_sel:BYTE_0
	s_nop 0
	v_mul_f32_e32 v40, s35, v39
	v_and_b32_e32 v39, 0x7f800000, v40
	v_cmp_ne_u32_e64 s[0:1], s37, v39
                                        ; implicit-def: $vgpr39
	s_and_saveexec_b64 s[14:15], s[0:1]
	s_xor_b64 s[0:1], exec, s[14:15]
; %bb.26:                               ;   in Loop: Header=BB340_9 Depth=1
	v_bfe_u32 v39, v40, 16, 1
	v_add3_u32 v39, v40, v39, s38
                                        ; implicit-def: $vgpr40
; %bb.27:                               ;   in Loop: Header=BB340_9 Depth=1
	s_andn2_saveexec_b64 s[14:15], s[0:1]
; %bb.28:                               ;   in Loop: Header=BB340_9 Depth=1
	v_or_b32_e32 v39, 0x10000, v40
	v_cmp_eq_u32_sdwa s[0:1], v40, v3 src0_sel:WORD_0 src1_sel:DWORD
	s_nop 1
	v_cndmask_b32_e64 v39, v39, v40, s[0:1]
; %bb.29:                               ;   in Loop: Header=BB340_9 Depth=1
	s_or_b64 exec, exec, s[14:15]
	v_bfe_u32 v40, v42, 8, 8
	v_cvt_f32_fp8_sdwa v40, v40 src0_sel:BYTE_0
	s_nop 0
	v_mul_f32_e32 v41, s35, v40
	v_and_b32_e32 v40, 0x7f800000, v41
	v_cmp_ne_u32_e64 s[0:1], s37, v40
                                        ; implicit-def: $vgpr40
	s_and_saveexec_b64 s[14:15], s[0:1]
	s_xor_b64 s[0:1], exec, s[14:15]
; %bb.30:                               ;   in Loop: Header=BB340_9 Depth=1
	v_bfe_u32 v40, v41, 16, 1
	v_add3_u32 v40, v41, v40, s38
                                        ; implicit-def: $vgpr41
; %bb.31:                               ;   in Loop: Header=BB340_9 Depth=1
	s_andn2_saveexec_b64 s[14:15], s[0:1]
; %bb.32:                               ;   in Loop: Header=BB340_9 Depth=1
	v_or_b32_e32 v40, 0x10000, v41
	v_cmp_eq_u32_sdwa s[0:1], v41, v3 src0_sel:WORD_0 src1_sel:DWORD
	s_nop 1
	v_cndmask_b32_e64 v40, v40, v41, s[0:1]
; %bb.33:                               ;   in Loop: Header=BB340_9 Depth=1
	s_or_b64 exec, exec, s[14:15]
	v_bfe_u32 v41, v42, 16, 8
	v_cvt_f32_fp8_sdwa v41, v41 src0_sel:BYTE_0
	s_nop 0
	v_mul_f32_e32 v43, s35, v41
	v_and_b32_e32 v41, 0x7f800000, v43
	v_cmp_ne_u32_e64 s[0:1], s37, v41
                                        ; implicit-def: $vgpr41
	s_and_saveexec_b64 s[14:15], s[0:1]
	s_xor_b64 s[0:1], exec, s[14:15]
; %bb.34:                               ;   in Loop: Header=BB340_9 Depth=1
	v_bfe_u32 v41, v43, 16, 1
	v_add3_u32 v41, v43, v41, s38
                                        ; implicit-def: $vgpr43
; %bb.35:                               ;   in Loop: Header=BB340_9 Depth=1
	s_andn2_saveexec_b64 s[14:15], s[0:1]
; %bb.36:                               ;   in Loop: Header=BB340_9 Depth=1
	v_or_b32_e32 v41, 0x10000, v43
	v_cmp_eq_u32_sdwa s[0:1], v43, v3 src0_sel:WORD_0 src1_sel:DWORD
	s_nop 1
	v_cndmask_b32_e64 v41, v41, v43, s[0:1]
; %bb.37:                               ;   in Loop: Header=BB340_9 Depth=1
	s_or_b64 exec, exec, s[14:15]
	v_lshrrev_b32_e32 v42, 24, v42
	v_cvt_f32_fp8_sdwa v42, v42 src0_sel:BYTE_0
	s_nop 0
	v_mul_f32_e32 v43, s35, v42
	v_and_b32_e32 v42, 0x7f800000, v43
	v_cmp_ne_u32_e64 s[0:1], s37, v42
                                        ; implicit-def: $vgpr42
	s_and_saveexec_b64 s[14:15], s[0:1]
	s_xor_b64 s[0:1], exec, s[14:15]
; %bb.38:                               ;   in Loop: Header=BB340_9 Depth=1
	v_bfe_u32 v42, v43, 16, 1
	v_add3_u32 v42, v43, v42, s38
                                        ; implicit-def: $vgpr43
; %bb.39:                               ;   in Loop: Header=BB340_9 Depth=1
	s_andn2_saveexec_b64 s[14:15], s[0:1]
; %bb.40:                               ;   in Loop: Header=BB340_9 Depth=1
	v_or_b32_e32 v42, 0x10000, v43
	v_cmp_eq_u32_sdwa s[0:1], v43, v3 src0_sel:WORD_0 src1_sel:DWORD
	s_nop 1
	v_cndmask_b32_e64 v42, v42, v43, s[0:1]
; %bb.41:                               ;   in Loop: Header=BB340_9 Depth=1
	s_or_b64 exec, exec, s[14:15]
	global_load_dword v46, v[8:9], off offset:512
	s_waitcnt vmcnt(0)
	v_and_b32_e32 v43, 0xff, v46
	v_cvt_f32_fp8_sdwa v43, v43 src0_sel:BYTE_0
	s_nop 0
	v_mul_f32_e32 v44, s35, v43
	v_and_b32_e32 v43, 0x7f800000, v44
	v_cmp_ne_u32_e64 s[0:1], s37, v43
                                        ; implicit-def: $vgpr43
	s_and_saveexec_b64 s[14:15], s[0:1]
	s_xor_b64 s[0:1], exec, s[14:15]
; %bb.42:                               ;   in Loop: Header=BB340_9 Depth=1
	v_bfe_u32 v43, v44, 16, 1
	v_add3_u32 v43, v44, v43, s38
                                        ; implicit-def: $vgpr44
; %bb.43:                               ;   in Loop: Header=BB340_9 Depth=1
	s_andn2_saveexec_b64 s[14:15], s[0:1]
; %bb.44:                               ;   in Loop: Header=BB340_9 Depth=1
	v_or_b32_e32 v43, 0x10000, v44
	v_cmp_eq_u32_sdwa s[0:1], v44, v3 src0_sel:WORD_0 src1_sel:DWORD
	s_nop 1
	v_cndmask_b32_e64 v43, v43, v44, s[0:1]
; %bb.45:                               ;   in Loop: Header=BB340_9 Depth=1
	s_or_b64 exec, exec, s[14:15]
	v_bfe_u32 v44, v46, 8, 8
	v_cvt_f32_fp8_sdwa v44, v44 src0_sel:BYTE_0
	s_nop 0
	v_mul_f32_e32 v45, s35, v44
	v_and_b32_e32 v44, 0x7f800000, v45
	v_cmp_ne_u32_e64 s[0:1], s37, v44
                                        ; implicit-def: $vgpr44
	s_and_saveexec_b64 s[14:15], s[0:1]
	s_xor_b64 s[0:1], exec, s[14:15]
; %bb.46:                               ;   in Loop: Header=BB340_9 Depth=1
	v_bfe_u32 v44, v45, 16, 1
	v_add3_u32 v44, v45, v44, s38
                                        ; implicit-def: $vgpr45
; %bb.47:                               ;   in Loop: Header=BB340_9 Depth=1
	s_andn2_saveexec_b64 s[14:15], s[0:1]
; %bb.48:                               ;   in Loop: Header=BB340_9 Depth=1
	v_or_b32_e32 v44, 0x10000, v45
	v_cmp_eq_u32_sdwa s[0:1], v45, v3 src0_sel:WORD_0 src1_sel:DWORD
	s_nop 1
	v_cndmask_b32_e64 v44, v44, v45, s[0:1]
; %bb.49:                               ;   in Loop: Header=BB340_9 Depth=1
	s_or_b64 exec, exec, s[14:15]
	v_bfe_u32 v45, v46, 16, 8
	v_cvt_f32_fp8_sdwa v45, v45 src0_sel:BYTE_0
	s_nop 0
	v_mul_f32_e32 v47, s35, v45
	v_and_b32_e32 v45, 0x7f800000, v47
	v_cmp_ne_u32_e64 s[0:1], s37, v45
                                        ; implicit-def: $vgpr45
	s_and_saveexec_b64 s[14:15], s[0:1]
	s_xor_b64 s[0:1], exec, s[14:15]
; %bb.50:                               ;   in Loop: Header=BB340_9 Depth=1
	v_bfe_u32 v45, v47, 16, 1
	v_add3_u32 v45, v47, v45, s38
                                        ; implicit-def: $vgpr47
; %bb.51:                               ;   in Loop: Header=BB340_9 Depth=1
	s_andn2_saveexec_b64 s[14:15], s[0:1]
; %bb.52:                               ;   in Loop: Header=BB340_9 Depth=1
	v_or_b32_e32 v45, 0x10000, v47
	v_cmp_eq_u32_sdwa s[0:1], v47, v3 src0_sel:WORD_0 src1_sel:DWORD
	s_nop 1
	v_cndmask_b32_e64 v45, v45, v47, s[0:1]
; %bb.53:                               ;   in Loop: Header=BB340_9 Depth=1
	s_or_b64 exec, exec, s[14:15]
	v_lshrrev_b32_e32 v46, 24, v46
	v_cvt_f32_fp8_sdwa v46, v46 src0_sel:BYTE_0
	s_nop 0
	v_mul_f32_e32 v47, s35, v46
	v_and_b32_e32 v46, 0x7f800000, v47
	v_cmp_ne_u32_e64 s[0:1], s37, v46
                                        ; implicit-def: $vgpr46
	s_and_saveexec_b64 s[14:15], s[0:1]
	s_xor_b64 s[0:1], exec, s[14:15]
; %bb.54:                               ;   in Loop: Header=BB340_9 Depth=1
	v_bfe_u32 v46, v47, 16, 1
	v_add3_u32 v46, v47, v46, s38
                                        ; implicit-def: $vgpr47
; %bb.55:                               ;   in Loop: Header=BB340_9 Depth=1
	s_andn2_saveexec_b64 s[14:15], s[0:1]
; %bb.56:                               ;   in Loop: Header=BB340_9 Depth=1
	v_or_b32_e32 v46, 0x10000, v47
	v_cmp_eq_u32_sdwa s[0:1], v47, v3 src0_sel:WORD_0 src1_sel:DWORD
	s_nop 1
	v_cndmask_b32_e64 v46, v46, v47, s[0:1]
; %bb.57:                               ;   in Loop: Header=BB340_9 Depth=1
	s_or_b64 exec, exec, s[14:15]
	global_load_dword v9, v[8:9], off offset:520
	s_waitcnt vmcnt(0)
	v_and_b32_e32 v8, 0xff, v9
	v_cvt_f32_fp8_sdwa v8, v8 src0_sel:BYTE_0
	s_nop 0
	v_mul_f32_e32 v47, s35, v8
	v_and_b32_e32 v8, 0x7f800000, v47
	v_cmp_ne_u32_e64 s[0:1], s37, v8
                                        ; implicit-def: $vgpr8
	s_and_saveexec_b64 s[14:15], s[0:1]
	s_xor_b64 s[0:1], exec, s[14:15]
; %bb.58:                               ;   in Loop: Header=BB340_9 Depth=1
	v_bfe_u32 v8, v47, 16, 1
	v_add3_u32 v8, v47, v8, s38
                                        ; implicit-def: $vgpr47
; %bb.59:                               ;   in Loop: Header=BB340_9 Depth=1
	s_andn2_saveexec_b64 s[14:15], s[0:1]
; %bb.60:                               ;   in Loop: Header=BB340_9 Depth=1
	v_or_b32_e32 v8, 0x10000, v47
	v_cmp_eq_u32_sdwa s[0:1], v47, v3 src0_sel:WORD_0 src1_sel:DWORD
	s_nop 1
	v_cndmask_b32_e64 v8, v8, v47, s[0:1]
; %bb.61:                               ;   in Loop: Header=BB340_9 Depth=1
	s_or_b64 exec, exec, s[14:15]
	v_bfe_u32 v47, v9, 8, 8
	v_cvt_f32_fp8_sdwa v47, v47 src0_sel:BYTE_0
	s_nop 0
	v_mul_f32_e32 v48, s35, v47
	v_and_b32_e32 v47, 0x7f800000, v48
	v_cmp_ne_u32_e64 s[0:1], s37, v47
                                        ; implicit-def: $vgpr47
	s_and_saveexec_b64 s[14:15], s[0:1]
	s_xor_b64 s[0:1], exec, s[14:15]
; %bb.62:                               ;   in Loop: Header=BB340_9 Depth=1
	v_bfe_u32 v47, v48, 16, 1
	v_add3_u32 v47, v48, v47, s38
                                        ; implicit-def: $vgpr48
; %bb.63:                               ;   in Loop: Header=BB340_9 Depth=1
	s_andn2_saveexec_b64 s[14:15], s[0:1]
; %bb.64:                               ;   in Loop: Header=BB340_9 Depth=1
	v_or_b32_e32 v47, 0x10000, v48
	v_cmp_eq_u32_sdwa s[0:1], v48, v3 src0_sel:WORD_0 src1_sel:DWORD
	s_nop 1
	v_cndmask_b32_e64 v47, v47, v48, s[0:1]
; %bb.65:                               ;   in Loop: Header=BB340_9 Depth=1
	s_or_b64 exec, exec, s[14:15]
	v_bfe_u32 v48, v9, 16, 8
	v_cvt_f32_fp8_sdwa v48, v48 src0_sel:BYTE_0
	s_nop 0
	v_mul_f32_e32 v49, s35, v48
	v_and_b32_e32 v48, 0x7f800000, v49
	v_cmp_ne_u32_e64 s[0:1], s37, v48
                                        ; implicit-def: $vgpr48
	s_and_saveexec_b64 s[14:15], s[0:1]
	s_xor_b64 s[0:1], exec, s[14:15]
; %bb.66:                               ;   in Loop: Header=BB340_9 Depth=1
	v_bfe_u32 v48, v49, 16, 1
	v_add3_u32 v48, v49, v48, s38
                                        ; implicit-def: $vgpr49
; %bb.67:                               ;   in Loop: Header=BB340_9 Depth=1
	s_andn2_saveexec_b64 s[14:15], s[0:1]
; %bb.68:                               ;   in Loop: Header=BB340_9 Depth=1
	v_or_b32_e32 v48, 0x10000, v49
	v_cmp_eq_u32_sdwa s[0:1], v49, v3 src0_sel:WORD_0 src1_sel:DWORD
	s_nop 1
	v_cndmask_b32_e64 v48, v48, v49, s[0:1]
; %bb.69:                               ;   in Loop: Header=BB340_9 Depth=1
	s_or_b64 exec, exec, s[14:15]
	v_lshrrev_b32_e32 v9, 24, v9
	v_cvt_f32_fp8_sdwa v9, v9 src0_sel:BYTE_0
	s_nop 0
	v_mul_f32_e32 v49, s35, v9
	v_and_b32_e32 v9, 0x7f800000, v49
	v_cmp_ne_u32_e64 s[0:1], s37, v9
                                        ; implicit-def: $vgpr9
	s_and_saveexec_b64 s[14:15], s[0:1]
	s_xor_b64 s[0:1], exec, s[14:15]
; %bb.70:                               ;   in Loop: Header=BB340_9 Depth=1
	v_bfe_u32 v9, v49, 16, 1
	v_add3_u32 v9, v49, v9, s38
                                        ; implicit-def: $vgpr49
; %bb.71:                               ;   in Loop: Header=BB340_9 Depth=1
	s_andn2_saveexec_b64 s[14:15], s[0:1]
; %bb.72:                               ;   in Loop: Header=BB340_9 Depth=1
	v_or_b32_e32 v9, 0x10000, v49
	v_cmp_eq_u32_sdwa s[0:1], v49, v3 src0_sel:WORD_0 src1_sel:DWORD
	s_nop 1
	v_cndmask_b32_e64 v9, v9, v49, s[0:1]
; %bb.73:                               ;   in Loop: Header=BB340_9 Depth=1
	s_or_b64 exec, exec, s[14:15]
	v_and_b32_e32 v39, 0xffff0000, v39
	v_and_b32_e32 v40, 0xffff0000, v40
	;; [unrolled: 1-line block ×3, first 2 shown]
	v_mul_f32_e32 v39, v18, v39
	v_and_b32_e32 v41, 0xffff0000, v41
	v_and_b32_e32 v36, 0xffff0000, v36
	v_fmac_f32_e32 v39, v13, v35
	v_mul_f32_e32 v35, v19, v40
	v_and_b32_e32 v44, 0xffff0000, v44
	v_and_b32_e32 v43, 0xffff0000, v43
	;; [unrolled: 1-line block ×4, first 2 shown]
	v_fmac_f32_e32 v35, v14, v36
	v_mul_f32_e32 v36, v20, v41
	v_and_b32_e32 v47, 0xffff0000, v47
	v_and_b32_e32 v8, 0xffff0000, v8
	;; [unrolled: 1-line block ×4, first 2 shown]
	v_fmac_f32_e32 v36, v15, v37
	v_mul_f32_e32 v37, v21, v42
	v_fmac_f32_e32 v39, v22, v43
	v_fmac_f32_e32 v35, v23, v44
	v_and_b32_e32 v46, 0xffff0000, v46
	v_and_b32_e32 v48, 0xffff0000, v48
	v_fmac_f32_e32 v37, v17, v38
	v_fmac_f32_e32 v36, v24, v45
	;; [unrolled: 1-line block ×4, first 2 shown]
	v_and_b32_e32 v9, 0xffff0000, v9
	v_fmac_f32_e32 v37, v25, v46
	v_fmac_f32_e32 v36, v29, v48
	v_add_f32_e32 v8, v39, v35
	v_fmac_f32_e32 v37, v30, v9
	v_add_f32_e32 v8, v8, v36
	v_add_f32_e32 v8, v8, v37
	ds_bpermute_b32 v9, v31, v8
	s_and_saveexec_b64 s[14:15], vcc
	s_cbranch_execz .LBB340_8
; %bb.74:                               ;   in Loop: Header=BB340_9 Depth=1
	v_add_u32_e32 v35, s36, v32
	v_cvt_f32_i32_e32 v35, v35
	s_waitcnt lgkmcnt(0)
	v_add_f32_e32 v8, v8, v9
	v_cmp_gt_i32_e64 s[0:1], s17, v32
	v_max_f32_e32 v9, v26, v26
	v_mul_f32_e32 v35, s28, v35
	v_cndmask_b32_e64 v35, 0, v35, s[2:3]
	v_fmac_f32_e32 v35, s29, v8
	v_cndmask_b32_e64 v8, 0, v35, s[0:1]
	ds_write_b32 v33, v8
	v_max_f32_e32 v8, v9, v35
	v_cndmask_b32_e64 v26, v26, v8, s[0:1]
	s_branch .LBB340_8
.LBB340_75:
	s_or_b64 exec, exec, s[8:9]
.LBB340_76:
	s_or_b64 exec, exec, s[30:31]
	v_xor_b32_e32 v2, 32, v11
	v_cmp_lt_i32_e32 vcc, v2, v12
	v_xor_b32_e32 v5, 16, v11
	v_max_f32_e32 v4, v26, v26
	v_cndmask_b32_e32 v2, v11, v2, vcc
	v_lshlrev_b32_e32 v2, 2, v2
	ds_bpermute_b32 v3, v2, v26
	v_cmp_lt_i32_e32 vcc, v5, v12
	v_xor_b32_e32 v6, 8, v11
	v_xor_b32_e32 v7, 4, v11
	;; [unrolled: 1-line block ×3, first 2 shown]
	s_waitcnt lgkmcnt(0)
	v_max_f32_e32 v3, v3, v3
	v_max_f32_e32 v4, v4, v3
	v_cndmask_b32_e32 v3, v11, v5, vcc
	v_lshlrev_b32_e32 v3, 2, v3
	ds_bpermute_b32 v5, v3, v4
	v_cmp_lt_i32_e32 vcc, v6, v12
	v_and_b32_e32 v18, 63, v0
	s_waitcnt lgkmcnt(0)
	v_max_f32_e32 v5, v5, v5
	v_max_f32_e32 v5, v4, v5
	v_cndmask_b32_e32 v4, v11, v6, vcc
	v_lshlrev_b32_e32 v4, 2, v4
	ds_bpermute_b32 v6, v4, v5
	v_cmp_lt_i32_e32 vcc, v7, v12
	s_waitcnt lgkmcnt(0)
	v_max_f32_e32 v6, v6, v6
	v_max_f32_e32 v6, v5, v6
	v_cndmask_b32_e32 v5, v11, v7, vcc
	v_lshlrev_b32_e32 v5, 2, v5
	ds_bpermute_b32 v7, v5, v6
	v_cmp_lt_i32_e32 vcc, v8, v12
	s_waitcnt lgkmcnt(0)
	v_max_f32_e32 v7, v7, v7
	v_max_f32_e32 v7, v6, v7
	v_cndmask_b32_e32 v6, v11, v8, vcc
	v_lshlrev_b32_e32 v19, 2, v6
	ds_bpermute_b32 v8, v19, v7
	v_cmp_eq_u32_e32 vcc, 0, v18
	v_lshlrev_b32_e32 v6, 2, v1
	s_and_saveexec_b64 s[0:1], vcc
	s_cbranch_execz .LBB340_78
; %bb.77:
	s_waitcnt lgkmcnt(0)
	v_max_f32_e32 v8, v8, v8
	v_max_f32_e32 v7, v7, v7
	;; [unrolled: 1-line block ×3, first 2 shown]
	ds_write_b32 v6, v7 offset:64
.LBB340_78:
	s_or_b64 exec, exec, s[0:1]
	v_cmp_gt_u32_e64 s[0:1], 2, v18
	s_waitcnt lgkmcnt(0)
	v_mov_b32_e32 v8, 0xff7fffff
	v_lshlrev_b32_e32 v7, 2, v18
	s_barrier
	s_and_saveexec_b64 s[2:3], s[0:1]
	s_cbranch_execz .LBB340_80
; %bb.79:
	ds_read_b32 v8, v7 offset:64
.LBB340_80:
	s_or_b64 exec, exec, s[2:3]
	v_xor_b32_e32 v9, 1, v11
	v_cmp_lt_i32_e64 s[2:3], v9, v12
	s_nop 1
	v_cndmask_b32_e64 v9, v11, v9, s[2:3]
	v_lshlrev_b32_e32 v20, 2, v9
	s_waitcnt lgkmcnt(0)
	ds_bpermute_b32 v9, v20, v8
	v_max_f32_e32 v8, v8, v8
	v_lshlrev_b32_e32 v11, 2, v11
	s_lshl_b32 s2, s19, 5
	s_min_i32 s30, s2, s17
	s_waitcnt lgkmcnt(0)
	v_max_f32_e32 v9, v9, v9
	v_max_f32_e32 v9, v8, v9
	v_and_b32_e32 v8, 0xffffff00, v11
	ds_bpermute_b32 v11, v8, v9
	v_cmp_gt_i32_e64 s[2:3], s30, v0
	v_mov_b32_e32 v9, 0
	s_and_saveexec_b64 s[14:15], s[2:3]
	s_cbranch_execz .LBB340_84
; %bb.81:
	v_mov_b32_e32 v9, 0x50
	v_lshl_add_u32 v12, v0, 2, v9
	s_mov_b64 s[28:29], 0
	v_mov_b32_e32 v9, 0
	v_mov_b32_e32 v13, v0
.LBB340_82:                             ; =>This Inner Loop Header: Depth=1
	ds_read_b32 v14, v12
	v_add_u32_e32 v13, 0x80, v13
	v_cmp_le_i32_e64 s[8:9], s30, v13
	s_or_b64 s[28:29], s[8:9], s[28:29]
	s_waitcnt lgkmcnt(0)
	v_sub_f32_e32 v14, v14, v11
	v_mul_f32_e32 v14, 0x3fb8aa3b, v14
	v_exp_f32_e32 v14, v14
	ds_write_b32 v12, v14
	v_add_f32_e32 v9, v9, v14
	v_add_u32_e32 v12, 0x200, v12
	s_andn2_b64 exec, exec, s[28:29]
	s_cbranch_execnz .LBB340_82
; %bb.83:
	s_or_b64 exec, exec, s[28:29]
.LBB340_84:
	s_or_b64 exec, exec, s[14:15]
	ds_bpermute_b32 v2, v2, v9
	s_waitcnt lgkmcnt(0)
	v_add_f32_e32 v2, v9, v2
	ds_bpermute_b32 v3, v3, v2
	s_waitcnt lgkmcnt(0)
	v_add_f32_e32 v2, v2, v3
	;; [unrolled: 3-line block ×6, first 2 shown]
	s_and_saveexec_b64 s[8:9], vcc
	s_cbranch_execz .LBB340_86
; %bb.85:
	ds_write_b32 v6, v2 offset:72
.LBB340_86:
	s_or_b64 exec, exec, s[8:9]
	s_waitcnt lgkmcnt(0)
	s_barrier
	s_and_saveexec_b64 s[8:9], s[0:1]
	s_cbranch_execz .LBB340_88
; %bb.87:
	ds_read_b32 v2, v7 offset:72
.LBB340_88:
	s_or_b64 exec, exec, s[8:9]
	s_waitcnt lgkmcnt(0)
	ds_bpermute_b32 v3, v20, v2
	s_waitcnt lgkmcnt(0)
	v_add_f32_e32 v2, v2, v3
	ds_bpermute_b32 v2, v8, v2
	s_and_saveexec_b64 s[0:1], s[2:3]
	s_cbranch_execz .LBB340_101
; %bb.89:
	s_waitcnt lgkmcnt(0)
	v_add_f32_e32 v2, 0x358637bd, v2
	v_div_scale_f32 v3, s[2:3], v2, v2, 1.0
	v_rcp_f32_e32 v4, v3
	v_div_scale_f32 v5, vcc, 1.0, v2, 1.0
	s_movk_i32 s2, 0x7f
	v_fma_f32 v6, -v3, v4, 1.0
	v_fmac_f32_e32 v4, v6, v4
	v_mul_f32_e32 v6, v5, v4
	v_fma_f32 v7, -v3, v6, v5
	v_fmac_f32_e32 v6, v7, v4
	v_fma_f32 v3, -v3, v6, v5
	v_div_fmas_f32 v3, v3, v4, v6
	v_xad_u32 v4, v0, -1, s30
	v_div_fixup_f32 v2, v3, v2, 1.0
	v_cmp_lt_u32_e32 vcc, s2, v4
	s_mov_b64 s[8:9], -1
	v_mov_b32_e32 v3, v0
	s_and_saveexec_b64 s[2:3], vcc
	s_cbranch_execz .LBB340_98
; %bb.90:
	v_lshrrev_b32_e32 v4, 7, v4
	v_add_u32_e32 v6, -1, v4
	v_lshrrev_b32_e32 v5, 1, v6
	v_mov_b32_e32 v3, v2
	v_add_u32_e32 v5, 1, v5
	v_cmp_lt_u32_e32 vcc, 13, v6
	v_mov_b32_e32 v8, 0
	s_and_saveexec_b64 s[8:9], vcc
	s_cbranch_execz .LBB340_94
; %bb.91:
	v_mov_b32_e32 v7, 0x50
	v_and_b32_e32 v6, -8, v5
	v_lshl_add_u32 v7, v0, 2, v7
	s_mov_b32 s28, 0
	s_mov_b64 s[14:15], 0
.LBB340_92:                             ; =>This Inner Loop Header: Depth=1
	ds_read2st64_b32 v[8:9], v7 offset1:2
	ds_read2st64_b32 v[12:13], v7 offset0:4 offset1:6
	ds_read2st64_b32 v[14:15], v7 offset0:8 offset1:10
	;; [unrolled: 1-line block ×3, first 2 shown]
	v_add_u32_e32 v6, -8, v6
	s_waitcnt lgkmcnt(3)
	v_pk_mul_f32 v[8:9], v[2:3], v[8:9]
	s_waitcnt lgkmcnt(2)
	v_pk_mul_f32 v[12:13], v[2:3], v[12:13]
	ds_write2st64_b32 v7, v8, v9 offset1:2
	ds_write2st64_b32 v7, v12, v13 offset0:4 offset1:6
	ds_read2st64_b32 v[12:13], v7 offset0:16 offset1:18
	s_waitcnt lgkmcnt(4)
	v_pk_mul_f32 v[8:9], v[2:3], v[14:15]
	ds_write2st64_b32 v7, v8, v9 offset0:8 offset1:10
	s_waitcnt lgkmcnt(4)
	v_pk_mul_f32 v[8:9], v[2:3], v[22:23]
	ds_write2st64_b32 v7, v8, v9 offset0:12 offset1:14
	ds_read2st64_b32 v[8:9], v7 offset0:20 offset1:22
	s_waitcnt lgkmcnt(3)
	v_pk_mul_f32 v[12:13], v[2:3], v[12:13]
	ds_read2st64_b32 v[14:15], v7 offset0:24 offset1:26
	ds_write2st64_b32 v7, v12, v13 offset0:16 offset1:18
	ds_read2st64_b32 v[12:13], v7 offset0:28 offset1:30
	s_waitcnt lgkmcnt(3)
	v_pk_mul_f32 v[8:9], v[2:3], v[8:9]
	ds_write2st64_b32 v7, v8, v9 offset0:20 offset1:22
	s_waitcnt lgkmcnt(3)
	v_pk_mul_f32 v[8:9], v[2:3], v[14:15]
	ds_write2st64_b32 v7, v8, v9 offset0:24 offset1:26
	s_waitcnt lgkmcnt(2)
	v_pk_mul_f32 v[8:9], v[2:3], v[12:13]
	s_add_i32 s28, s28, 16
	v_cmp_eq_u32_e32 vcc, 0, v6
	ds_write2st64_b32 v7, v8, v9 offset0:28 offset1:30
	v_add_u32_e32 v7, 0x2000, v7
	s_or_b64 s[14:15], vcc, s[14:15]
	v_mov_b32_e32 v8, s28
	s_andn2_b64 exec, exec, s[14:15]
	s_cbranch_execnz .LBB340_92
; %bb.93:
	s_or_b64 exec, exec, s[14:15]
.LBB340_94:
	s_or_b64 exec, exec, s[8:9]
	v_and_b32_e32 v5, 7, v5
	v_cmp_ne_u32_e32 vcc, 0, v5
	s_and_saveexec_b64 s[8:9], vcc
	s_cbranch_execz .LBB340_97
; %bb.95:
	v_lshlrev_b32_e32 v6, 9, v8
	v_lshlrev_b32_e32 v7, 2, v0
	s_movk_i32 s14, 0x50
	v_add3_u32 v6, v6, v7, s14
	s_mov_b64 s[14:15], 0
.LBB340_96:                             ; =>This Inner Loop Header: Depth=1
	ds_read2st64_b32 v[8:9], v6 offset1:2
	v_add_u32_e32 v5, -1, v5
	v_cmp_eq_u32_e32 vcc, 0, v5
	s_or_b64 s[14:15], vcc, s[14:15]
	s_waitcnt lgkmcnt(0)
	v_pk_mul_f32 v[8:9], v[2:3], v[8:9]
	ds_write2st64_b32 v6, v8, v9 offset1:2
	v_add_u32_e32 v6, 0x400, v6
	s_andn2_b64 exec, exec, s[14:15]
	s_cbranch_execnz .LBB340_96
.LBB340_97:
	s_or_b64 exec, exec, s[8:9]
	v_add_u32_e32 v4, 1, v4
	v_and_b32_e32 v5, 0x3fffffe, v4
	v_cmp_ne_u32_e32 vcc, v4, v5
	v_lshl_add_u32 v3, v5, 7, v0
	s_orn2_b64 s[8:9], vcc, exec
.LBB340_98:
	s_or_b64 exec, exec, s[2:3]
	s_and_b64 exec, exec, s[8:9]
	s_cbranch_execz .LBB340_101
; %bb.99:
	v_mov_b32_e32 v4, 0x50
	v_lshl_add_u32 v4, v3, 2, v4
	s_mov_b64 s[2:3], 0
.LBB340_100:                            ; =>This Inner Loop Header: Depth=1
	ds_read_b32 v5, v4
	v_add_u32_e32 v3, 0x80, v3
	v_cmp_le_i32_e32 vcc, s30, v3
	s_or_b64 s[2:3], vcc, s[2:3]
	s_waitcnt lgkmcnt(0)
	v_mul_f32_e32 v5, v2, v5
	ds_write_b32 v4, v5
	v_add_u32_e32 v4, 0x200, v4
	s_andn2_b64 exec, exec, s[2:3]
	s_cbranch_execnz .LBB340_100
.LBB340_101:
	s_or_b64 exec, exec, s[0:1]
	v_mov_b32_e32 v13, 0
	v_and_b32_e32 v21, 3, v0
	v_mov_b32_e32 v12, v13
	s_waitcnt lgkmcnt(0)
	s_barrier
	s_and_saveexec_b64 s[2:3], s[6:7]
	s_cbranch_execz .LBB340_269
; %bb.102:
	s_ashr_i32 s1, s33, 31
	s_add_u32 s0, s26, s33
	v_and_b32_e32 v2, 24, v10
	s_addc_u32 s1, s27, s1
	s_load_dword s10, s[10:11], 0x0
	v_and_b32_e32 v10, 0x1f8, v10
	v_mov_b32_e32 v11, 0
	s_add_i32 s11, s19, -1
	v_lshl_add_u64 v[14:15], s[0:1], 0, v[10:11]
	v_lshlrev_b32_e32 v3, 5, v1
	s_lshl_b64 s[0:1], s[24:25], 2
	v_or3_b32 v22, v3, v2, 7
	v_lshlrev_b32_e32 v2, 5, v21
	s_add_u32 s0, s22, s0
	v_lshl_or_b32 v2, v1, 7, v2
	v_and_b32_e32 v10, 60, v16
	s_addc_u32 s1, s23, s1
	v_add_u32_e32 v23, 0x50, v2
	v_lshl_add_u64 v[16:17], s[0:1], 0, v[10:11]
	s_mov_b64 s[6:7], 0
	s_mov_b32 s14, 0x7f800000
	s_movk_i32 s15, 0x7fff
	v_mov_b32_e32 v12, 0
	v_mov_b32_e32 v13, v11
	s_branch .LBB340_104
.LBB340_103:                            ;   in Loop: Header=BB340_104 Depth=1
	s_or_b64 exec, exec, s[0:1]
	v_and_b32_e32 v33, 0xffff0000, v7
	v_and_b32_e32 v32, 0xffff0000, v5
	;; [unrolled: 1-line block ×4, first 2 shown]
	v_pk_add_f32 v[4:5], v[4:5], v[32:33]
	v_and_b32_e32 v31, 0xffff0000, v31
	v_and_b32_e32 v30, 0xffff0000, v9
	;; [unrolled: 1-line block ×4, first 2 shown]
	v_mov_b32_e32 v6, v5
	v_pk_add_f32 v[4:5], v[4:5], v[6:7]
	v_pk_add_f32 v[6:7], v[8:9], v[30:31]
	v_and_b32_e32 v8, 0xffff0000, v27
	v_pk_add_f32 v[4:5], v[4:5], v[6:7]
	v_mov_b32_e32 v6, v7
	v_pk_add_f32 v[4:5], v[4:5], v[6:7]
	v_and_b32_e32 v7, 0xffff0000, v3
	v_and_b32_e32 v27, 0xffff0000, v26
	;; [unrolled: 1-line block ×5, first 2 shown]
	v_pk_add_f32 v[2:3], v[2:3], v[26:27]
	v_and_b32_e32 v6, 0xffff0000, v28
	v_and_b32_e32 v9, 0xffff0000, v29
	v_mov_b32_e32 v10, v3
	v_pk_add_f32 v[2:3], v[2:3], v[10:11]
	v_pk_add_f32 v[6:7], v[8:9], v[6:7]
	v_add_u32_e32 v1, 2, v1
	v_pk_add_f32 v[2:3], v[2:3], v[6:7]
	v_mov_b32_e32 v6, v7
	v_pk_add_f32 v[2:3], v[2:3], v[6:7]
	v_pk_add_f32 v[4:5], v[12:13], v[4:5]
	v_mov_b32_e32 v3, v2
	v_pk_add_f32 v[12:13], v[12:13], v[2:3]
	v_cmp_le_i32_e32 vcc, s19, v1
	v_mov_b32_e32 v12, v4
	v_add_u32_e32 v22, 64, v22
	v_add_u32_e32 v23, 0x100, v23
	s_or_b64 s[6:7], vcc, s[6:7]
	v_lshl_add_u64 v[16:17], v[16:17], 0, 8
	s_andn2_b64 exec, exec, s[6:7]
	s_cbranch_execz .LBB340_268
.LBB340_104:                            ; =>This Inner Loop Header: Depth=1
	global_load_dword v24, v[16:17], off
	ds_read2_b64 v[6:9], v23 offset1:1
	ds_read2_b64 v[2:5], v23 offset0:2 offset1:3
                                        ; implicit-def: $vgpr32
	s_waitcnt lgkmcnt(0)
	v_and_b32_e32 v10, 0x7f800000, v6
	v_cmp_ne_u32_e32 vcc, s14, v10
	s_and_saveexec_b64 s[0:1], vcc
	s_xor_b64 s[0:1], exec, s[0:1]
; %bb.105:                              ;   in Loop: Header=BB340_104 Depth=1
	v_bfe_u32 v10, v6, 16, 1
	v_add3_u32 v32, v6, v10, s15
; %bb.106:                              ;   in Loop: Header=BB340_104 Depth=1
	s_andn2_saveexec_b64 s[0:1], s[0:1]
; %bb.107:                              ;   in Loop: Header=BB340_104 Depth=1
	v_or_b32_e32 v10, 0x10000, v6
	v_cmp_eq_u32_sdwa vcc, v6, v11 src0_sel:WORD_0 src1_sel:DWORD
	s_nop 1
	v_cndmask_b32_e32 v32, v10, v6, vcc
; %bb.108:                              ;   in Loop: Header=BB340_104 Depth=1
	s_or_b64 exec, exec, s[0:1]
	v_and_b32_e32 v6, 0x7f800000, v7
	v_cmp_ne_u32_e32 vcc, s14, v6
                                        ; implicit-def: $vgpr33
	s_and_saveexec_b64 s[0:1], vcc
	s_xor_b64 s[0:1], exec, s[0:1]
; %bb.109:                              ;   in Loop: Header=BB340_104 Depth=1
	v_bfe_u32 v6, v7, 16, 1
	v_add3_u32 v33, v7, v6, s15
; %bb.110:                              ;   in Loop: Header=BB340_104 Depth=1
	s_andn2_saveexec_b64 s[0:1], s[0:1]
; %bb.111:                              ;   in Loop: Header=BB340_104 Depth=1
	v_or_b32_e32 v6, 0x10000, v7
	v_cmp_eq_u32_sdwa vcc, v7, v11 src0_sel:WORD_0 src1_sel:DWORD
	s_nop 1
	v_cndmask_b32_e32 v33, v6, v7, vcc
; %bb.112:                              ;   in Loop: Header=BB340_104 Depth=1
	s_or_b64 exec, exec, s[0:1]
	v_and_b32_e32 v6, 0x7f800000, v8
	v_cmp_ne_u32_e32 vcc, s14, v6
                                        ; implicit-def: $vgpr34
	s_and_saveexec_b64 s[0:1], vcc
	s_xor_b64 s[0:1], exec, s[0:1]
; %bb.113:                              ;   in Loop: Header=BB340_104 Depth=1
	v_bfe_u32 v6, v8, 16, 1
	v_add3_u32 v34, v8, v6, s15
; %bb.114:                              ;   in Loop: Header=BB340_104 Depth=1
	s_andn2_saveexec_b64 s[0:1], s[0:1]
; %bb.115:                              ;   in Loop: Header=BB340_104 Depth=1
	v_or_b32_e32 v6, 0x10000, v8
	v_cmp_eq_u32_sdwa vcc, v8, v11 src0_sel:WORD_0 src1_sel:DWORD
	s_nop 1
	v_cndmask_b32_e32 v34, v6, v8, vcc
; %bb.116:                              ;   in Loop: Header=BB340_104 Depth=1
	s_or_b64 exec, exec, s[0:1]
	v_and_b32_e32 v6, 0x7f800000, v9
	v_cmp_ne_u32_e32 vcc, s14, v6
                                        ; implicit-def: $vgpr35
	s_and_saveexec_b64 s[0:1], vcc
	s_xor_b64 s[0:1], exec, s[0:1]
; %bb.117:                              ;   in Loop: Header=BB340_104 Depth=1
	v_bfe_u32 v6, v9, 16, 1
	v_add3_u32 v35, v9, v6, s15
                                        ; implicit-def: $vgpr6_vgpr7_vgpr8_vgpr9
; %bb.118:                              ;   in Loop: Header=BB340_104 Depth=1
	s_andn2_saveexec_b64 s[0:1], s[0:1]
; %bb.119:                              ;   in Loop: Header=BB340_104 Depth=1
	v_or_b32_e32 v6, 0x10000, v9
	v_cmp_eq_u32_sdwa vcc, v9, v11 src0_sel:WORD_0 src1_sel:DWORD
	s_nop 1
	v_cndmask_b32_e32 v35, v6, v9, vcc
; %bb.120:                              ;   in Loop: Header=BB340_104 Depth=1
	s_or_b64 exec, exec, s[0:1]
	v_and_b32_e32 v6, 0x7f800000, v2
	v_cmp_ne_u32_e32 vcc, s14, v6
                                        ; implicit-def: $vgpr8
	s_and_saveexec_b64 s[0:1], vcc
	s_xor_b64 s[0:1], exec, s[0:1]
; %bb.121:                              ;   in Loop: Header=BB340_104 Depth=1
	v_bfe_u32 v6, v2, 16, 1
	v_add3_u32 v8, v2, v6, s15
; %bb.122:                              ;   in Loop: Header=BB340_104 Depth=1
	s_andn2_saveexec_b64 s[0:1], s[0:1]
; %bb.123:                              ;   in Loop: Header=BB340_104 Depth=1
	v_or_b32_e32 v6, 0x10000, v2
	v_cmp_eq_u32_sdwa vcc, v2, v11 src0_sel:WORD_0 src1_sel:DWORD
	s_nop 1
	v_cndmask_b32_e32 v8, v6, v2, vcc
; %bb.124:                              ;   in Loop: Header=BB340_104 Depth=1
	s_or_b64 exec, exec, s[0:1]
	v_and_b32_e32 v2, 0x7f800000, v3
	v_cmp_ne_u32_e32 vcc, s14, v2
                                        ; implicit-def: $vgpr9
	s_and_saveexec_b64 s[0:1], vcc
	s_xor_b64 s[0:1], exec, s[0:1]
; %bb.125:                              ;   in Loop: Header=BB340_104 Depth=1
	v_bfe_u32 v2, v3, 16, 1
	v_add3_u32 v9, v3, v2, s15
; %bb.126:                              ;   in Loop: Header=BB340_104 Depth=1
	s_andn2_saveexec_b64 s[0:1], s[0:1]
; %bb.127:                              ;   in Loop: Header=BB340_104 Depth=1
	v_or_b32_e32 v2, 0x10000, v3
	v_cmp_eq_u32_sdwa vcc, v3, v11 src0_sel:WORD_0 src1_sel:DWORD
	s_nop 1
	v_cndmask_b32_e32 v9, v2, v3, vcc
; %bb.128:                              ;   in Loop: Header=BB340_104 Depth=1
	s_or_b64 exec, exec, s[0:1]
	v_and_b32_e32 v2, 0x7f800000, v4
	v_cmp_ne_u32_e32 vcc, s14, v2
                                        ; implicit-def: $vgpr10
	s_and_saveexec_b64 s[0:1], vcc
	s_xor_b64 s[0:1], exec, s[0:1]
; %bb.129:                              ;   in Loop: Header=BB340_104 Depth=1
	v_bfe_u32 v2, v4, 16, 1
	v_add3_u32 v10, v4, v2, s15
; %bb.130:                              ;   in Loop: Header=BB340_104 Depth=1
	s_andn2_saveexec_b64 s[0:1], s[0:1]
; %bb.131:                              ;   in Loop: Header=BB340_104 Depth=1
	v_or_b32_e32 v2, 0x10000, v4
	v_cmp_eq_u32_sdwa vcc, v4, v11 src0_sel:WORD_0 src1_sel:DWORD
	s_nop 1
	v_cndmask_b32_e32 v10, v2, v4, vcc
; %bb.132:                              ;   in Loop: Header=BB340_104 Depth=1
	s_or_b64 exec, exec, s[0:1]
	v_and_b32_e32 v2, 0x7f800000, v5
	v_cmp_ne_u32_e32 vcc, s14, v2
                                        ; implicit-def: $vgpr31
	s_and_saveexec_b64 s[0:1], vcc
	s_xor_b64 s[0:1], exec, s[0:1]
; %bb.133:                              ;   in Loop: Header=BB340_104 Depth=1
	v_bfe_u32 v2, v5, 16, 1
	v_add3_u32 v31, v5, v2, s15
                                        ; implicit-def: $vgpr2_vgpr3_vgpr4_vgpr5
; %bb.134:                              ;   in Loop: Header=BB340_104 Depth=1
	s_andn2_saveexec_b64 s[0:1], s[0:1]
; %bb.135:                              ;   in Loop: Header=BB340_104 Depth=1
	v_or_b32_e32 v2, 0x10000, v5
	v_cmp_eq_u32_sdwa vcc, v5, v11 src0_sel:WORD_0 src1_sel:DWORD
	s_nop 1
	v_cndmask_b32_e32 v31, v2, v5, vcc
; %bb.136:                              ;   in Loop: Header=BB340_104 Depth=1
	s_or_b64 exec, exec, s[0:1]
	s_waitcnt vmcnt(0)
	v_mad_i64_i32 v[2:3], s[0:1], v24, s13, v[14:15]
	global_load_dwordx2 v[4:5], v[2:3], off
	s_waitcnt vmcnt(0)
	v_and_b32_e32 v6, 0xff, v4
	v_cvt_f32_fp8_sdwa v6, v6 src0_sel:BYTE_0
	s_nop 0
	v_mul_f32_e32 v7, s10, v6
	v_and_b32_e32 v6, 0x7f800000, v7
	v_cmp_ne_u32_e32 vcc, s14, v6
                                        ; implicit-def: $vgpr6
	s_and_saveexec_b64 s[0:1], vcc
	s_xor_b64 s[0:1], exec, s[0:1]
; %bb.137:                              ;   in Loop: Header=BB340_104 Depth=1
	v_bfe_u32 v6, v7, 16, 1
	v_add3_u32 v6, v7, v6, s15
                                        ; implicit-def: $vgpr7
; %bb.138:                              ;   in Loop: Header=BB340_104 Depth=1
	s_andn2_saveexec_b64 s[0:1], s[0:1]
; %bb.139:                              ;   in Loop: Header=BB340_104 Depth=1
	v_or_b32_e32 v6, 0x10000, v7
	v_cmp_eq_u32_sdwa vcc, v7, v11 src0_sel:WORD_0 src1_sel:DWORD
	s_nop 1
	v_cndmask_b32_e32 v6, v6, v7, vcc
; %bb.140:                              ;   in Loop: Header=BB340_104 Depth=1
	s_or_b64 exec, exec, s[0:1]
	v_bfe_u32 v7, v4, 8, 8
	v_cvt_f32_fp8_sdwa v7, v7 src0_sel:BYTE_0
	s_nop 0
	v_mul_f32_e32 v24, s10, v7
	v_and_b32_e32 v7, 0x7f800000, v24
	v_cmp_ne_u32_e32 vcc, s14, v7
                                        ; implicit-def: $vgpr7
	s_and_saveexec_b64 s[0:1], vcc
	s_xor_b64 s[0:1], exec, s[0:1]
; %bb.141:                              ;   in Loop: Header=BB340_104 Depth=1
	v_bfe_u32 v7, v24, 16, 1
	v_add3_u32 v7, v24, v7, s15
                                        ; implicit-def: $vgpr24
; %bb.142:                              ;   in Loop: Header=BB340_104 Depth=1
	s_andn2_saveexec_b64 s[0:1], s[0:1]
; %bb.143:                              ;   in Loop: Header=BB340_104 Depth=1
	v_or_b32_e32 v7, 0x10000, v24
	v_cmp_eq_u32_sdwa vcc, v24, v11 src0_sel:WORD_0 src1_sel:DWORD
	s_nop 1
	v_cndmask_b32_e32 v7, v7, v24, vcc
; %bb.144:                              ;   in Loop: Header=BB340_104 Depth=1
	s_or_b64 exec, exec, s[0:1]
	v_bfe_u32 v24, v4, 16, 8
	v_cvt_f32_fp8_sdwa v24, v24 src0_sel:BYTE_0
	s_nop 0
	v_mul_f32_e32 v24, s10, v24
	v_and_b32_e32 v25, 0x7f800000, v24
	v_cmp_ne_u32_e32 vcc, s14, v25
                                        ; implicit-def: $vgpr25
	s_and_saveexec_b64 s[0:1], vcc
	s_xor_b64 s[0:1], exec, s[0:1]
; %bb.145:                              ;   in Loop: Header=BB340_104 Depth=1
	v_bfe_u32 v25, v24, 16, 1
	v_add3_u32 v25, v24, v25, s15
                                        ; implicit-def: $vgpr24
; %bb.146:                              ;   in Loop: Header=BB340_104 Depth=1
	s_andn2_saveexec_b64 s[0:1], s[0:1]
; %bb.147:                              ;   in Loop: Header=BB340_104 Depth=1
	v_or_b32_e32 v25, 0x10000, v24
	v_cmp_eq_u32_sdwa vcc, v24, v11 src0_sel:WORD_0 src1_sel:DWORD
	s_nop 1
	v_cndmask_b32_e32 v25, v25, v24, vcc
; %bb.148:                              ;   in Loop: Header=BB340_104 Depth=1
	s_or_b64 exec, exec, s[0:1]
	v_lshrrev_b32_e32 v4, 24, v4
	v_cvt_f32_fp8_sdwa v4, v4 src0_sel:BYTE_0
	s_nop 0
	v_mul_f32_e32 v24, s10, v4
	v_and_b32_e32 v4, 0x7f800000, v24
	v_cmp_ne_u32_e32 vcc, s14, v4
                                        ; implicit-def: $vgpr4
	s_and_saveexec_b64 s[0:1], vcc
	s_xor_b64 s[0:1], exec, s[0:1]
; %bb.149:                              ;   in Loop: Header=BB340_104 Depth=1
	v_bfe_u32 v4, v24, 16, 1
	v_add3_u32 v4, v24, v4, s15
                                        ; implicit-def: $vgpr24
; %bb.150:                              ;   in Loop: Header=BB340_104 Depth=1
	s_andn2_saveexec_b64 s[0:1], s[0:1]
; %bb.151:                              ;   in Loop: Header=BB340_104 Depth=1
	v_or_b32_e32 v4, 0x10000, v24
	v_cmp_eq_u32_sdwa vcc, v24, v11 src0_sel:WORD_0 src1_sel:DWORD
	s_nop 1
	v_cndmask_b32_e32 v4, v4, v24, vcc
; %bb.152:                              ;   in Loop: Header=BB340_104 Depth=1
	s_or_b64 exec, exec, s[0:1]
	v_and_b32_e32 v24, 0xff, v5
	v_cvt_f32_fp8_sdwa v24, v24 src0_sel:BYTE_0
	s_nop 0
	v_mul_f32_e32 v24, s10, v24
	v_and_b32_e32 v26, 0x7f800000, v24
	v_cmp_ne_u32_e32 vcc, s14, v26
                                        ; implicit-def: $vgpr26
	s_and_saveexec_b64 s[0:1], vcc
	s_xor_b64 s[0:1], exec, s[0:1]
; %bb.153:                              ;   in Loop: Header=BB340_104 Depth=1
	v_bfe_u32 v26, v24, 16, 1
	v_add3_u32 v26, v24, v26, s15
                                        ; implicit-def: $vgpr24
; %bb.154:                              ;   in Loop: Header=BB340_104 Depth=1
	s_andn2_saveexec_b64 s[0:1], s[0:1]
; %bb.155:                              ;   in Loop: Header=BB340_104 Depth=1
	v_or_b32_e32 v26, 0x10000, v24
	v_cmp_eq_u32_sdwa vcc, v24, v11 src0_sel:WORD_0 src1_sel:DWORD
	s_nop 1
	v_cndmask_b32_e32 v26, v26, v24, vcc
; %bb.156:                              ;   in Loop: Header=BB340_104 Depth=1
	s_or_b64 exec, exec, s[0:1]
	v_bfe_u32 v24, v5, 8, 8
	v_cvt_f32_fp8_sdwa v24, v24 src0_sel:BYTE_0
	s_nop 0
	v_mul_f32_e32 v24, s10, v24
	v_and_b32_e32 v27, 0x7f800000, v24
	v_cmp_ne_u32_e32 vcc, s14, v27
                                        ; implicit-def: $vgpr27
	s_and_saveexec_b64 s[0:1], vcc
	s_xor_b64 s[0:1], exec, s[0:1]
; %bb.157:                              ;   in Loop: Header=BB340_104 Depth=1
	v_bfe_u32 v27, v24, 16, 1
	v_add3_u32 v27, v24, v27, s15
                                        ; implicit-def: $vgpr24
; %bb.158:                              ;   in Loop: Header=BB340_104 Depth=1
	s_andn2_saveexec_b64 s[0:1], s[0:1]
; %bb.159:                              ;   in Loop: Header=BB340_104 Depth=1
	v_or_b32_e32 v27, 0x10000, v24
	v_cmp_eq_u32_sdwa vcc, v24, v11 src0_sel:WORD_0 src1_sel:DWORD
	s_nop 1
	v_cndmask_b32_e32 v27, v27, v24, vcc
; %bb.160:                              ;   in Loop: Header=BB340_104 Depth=1
	s_or_b64 exec, exec, s[0:1]
	v_bfe_u32 v24, v5, 16, 8
	v_cvt_f32_fp8_sdwa v24, v24 src0_sel:BYTE_0
	s_nop 0
	v_mul_f32_e32 v24, s10, v24
	v_and_b32_e32 v28, 0x7f800000, v24
	v_cmp_ne_u32_e32 vcc, s14, v28
                                        ; implicit-def: $vgpr28
	s_and_saveexec_b64 s[0:1], vcc
	s_xor_b64 s[0:1], exec, s[0:1]
; %bb.161:                              ;   in Loop: Header=BB340_104 Depth=1
	v_bfe_u32 v28, v24, 16, 1
	v_add3_u32 v28, v24, v28, s15
                                        ; implicit-def: $vgpr24
; %bb.162:                              ;   in Loop: Header=BB340_104 Depth=1
	s_andn2_saveexec_b64 s[0:1], s[0:1]
; %bb.163:                              ;   in Loop: Header=BB340_104 Depth=1
	v_or_b32_e32 v28, 0x10000, v24
	v_cmp_eq_u32_sdwa vcc, v24, v11 src0_sel:WORD_0 src1_sel:DWORD
	s_nop 1
	v_cndmask_b32_e32 v28, v28, v24, vcc
; %bb.164:                              ;   in Loop: Header=BB340_104 Depth=1
	s_or_b64 exec, exec, s[0:1]
	v_lshrrev_b32_e32 v5, 24, v5
	v_cvt_f32_fp8_sdwa v5, v5 src0_sel:BYTE_0
                                        ; implicit-def: $vgpr29
	s_nop 0
	v_mul_f32_e32 v5, s10, v5
	v_and_b32_e32 v24, 0x7f800000, v5
	v_cmp_ne_u32_e32 vcc, s14, v24
	s_and_saveexec_b64 s[0:1], vcc
	s_xor_b64 s[0:1], exec, s[0:1]
; %bb.165:                              ;   in Loop: Header=BB340_104 Depth=1
	v_bfe_u32 v24, v5, 16, 1
	v_add3_u32 v29, v5, v24, s15
                                        ; implicit-def: $vgpr5
; %bb.166:                              ;   in Loop: Header=BB340_104 Depth=1
	s_andn2_saveexec_b64 s[0:1], s[0:1]
; %bb.167:                              ;   in Loop: Header=BB340_104 Depth=1
	v_or_b32_e32 v24, 0x10000, v5
	v_cmp_eq_u32_sdwa vcc, v5, v11 src0_sel:WORD_0 src1_sel:DWORD
	s_nop 1
	v_cndmask_b32_e32 v29, v24, v5, vcc
; %bb.168:                              ;   in Loop: Header=BB340_104 Depth=1
	s_or_b64 exec, exec, s[0:1]
	v_cmp_eq_u32_e32 vcc, s11, v1
	v_add_u32_e32 v24, -7, v22
	v_lshrrev_b32_e32 v38, 16, v27
	v_lshrrev_b32_e32 v37, 16, v26
	;; [unrolled: 1-line block ×8, first 2 shown]
	v_add_u32_e32 v30, -6, v22
	v_add_u32_e32 v29, -5, v22
	;; [unrolled: 1-line block ×6, first 2 shown]
	s_and_saveexec_b64 s[8:9], vcc
	s_cbranch_execz .LBB340_170
; %bb.169:                              ;   in Loop: Header=BB340_104 Depth=1
	v_cmp_gt_i32_e64 s[0:1], s17, v24
	s_nop 1
	v_cndmask_b32_e64 v4, 0, v4, s[0:1]
	v_cmp_gt_i32_e64 s[0:1], s17, v30
	s_nop 1
	v_cndmask_b32_e64 v5, 0, v5, s[0:1]
	;; [unrolled: 3-line block ×8, first 2 shown]
.LBB340_170:                            ;   in Loop: Header=BB340_104 Depth=1
	s_or_b64 exec, exec, s[8:9]
	v_and_b32_e32 v32, 0xffff0000, v32
	v_lshlrev_b32_e32 v4, 16, v4
	v_mul_f32_e32 v6, v32, v4
	v_and_b32_e32 v4, 0x7f800000, v6
	v_cmp_ne_u32_e64 s[0:1], s14, v4
                                        ; implicit-def: $vgpr4
	s_and_saveexec_b64 s[8:9], s[0:1]
	s_xor_b64 s[0:1], exec, s[8:9]
; %bb.171:                              ;   in Loop: Header=BB340_104 Depth=1
	v_bfe_u32 v4, v6, 16, 1
	v_add3_u32 v4, v6, v4, s15
                                        ; implicit-def: $vgpr6
; %bb.172:                              ;   in Loop: Header=BB340_104 Depth=1
	s_andn2_saveexec_b64 s[8:9], s[0:1]
; %bb.173:                              ;   in Loop: Header=BB340_104 Depth=1
	v_or_b32_e32 v4, 0x10000, v6
	v_cmp_eq_u32_sdwa s[0:1], v6, v11 src0_sel:WORD_0 src1_sel:DWORD
	s_nop 1
	v_cndmask_b32_e64 v4, v4, v6, s[0:1]
; %bb.174:                              ;   in Loop: Header=BB340_104 Depth=1
	s_or_b64 exec, exec, s[8:9]
	v_and_b32_e32 v33, 0xffff0000, v33
	v_lshlrev_b32_e32 v5, 16, v5
	v_mul_f32_e32 v6, v33, v5
	v_and_b32_e32 v5, 0x7f800000, v6
	v_cmp_ne_u32_e64 s[0:1], s14, v5
                                        ; implicit-def: $vgpr5
	s_and_saveexec_b64 s[8:9], s[0:1]
	s_xor_b64 s[0:1], exec, s[8:9]
; %bb.175:                              ;   in Loop: Header=BB340_104 Depth=1
	v_bfe_u32 v5, v6, 16, 1
	v_add3_u32 v5, v6, v5, s15
                                        ; implicit-def: $vgpr6
; %bb.176:                              ;   in Loop: Header=BB340_104 Depth=1
	s_andn2_saveexec_b64 s[8:9], s[0:1]
; %bb.177:                              ;   in Loop: Header=BB340_104 Depth=1
	v_or_b32_e32 v5, 0x10000, v6
	v_cmp_eq_u32_sdwa s[0:1], v6, v11 src0_sel:WORD_0 src1_sel:DWORD
	s_nop 1
	v_cndmask_b32_e64 v5, v5, v6, s[0:1]
; %bb.178:                              ;   in Loop: Header=BB340_104 Depth=1
	s_or_b64 exec, exec, s[8:9]
	v_and_b32_e32 v34, 0xffff0000, v34
	v_lshlrev_b32_e32 v6, 16, v41
	v_mul_f32_e32 v7, v34, v6
	v_and_b32_e32 v6, 0x7f800000, v7
	v_cmp_ne_u32_e64 s[0:1], s14, v6
                                        ; implicit-def: $vgpr6
	s_and_saveexec_b64 s[8:9], s[0:1]
	s_xor_b64 s[0:1], exec, s[8:9]
; %bb.179:                              ;   in Loop: Header=BB340_104 Depth=1
	v_bfe_u32 v6, v7, 16, 1
	v_add3_u32 v6, v7, v6, s15
                                        ; implicit-def: $vgpr7
; %bb.180:                              ;   in Loop: Header=BB340_104 Depth=1
	s_andn2_saveexec_b64 s[8:9], s[0:1]
; %bb.181:                              ;   in Loop: Header=BB340_104 Depth=1
	v_or_b32_e32 v6, 0x10000, v7
	v_cmp_eq_u32_sdwa s[0:1], v7, v11 src0_sel:WORD_0 src1_sel:DWORD
	s_nop 1
	v_cndmask_b32_e64 v6, v6, v7, s[0:1]
; %bb.182:                              ;   in Loop: Header=BB340_104 Depth=1
	s_or_b64 exec, exec, s[8:9]
	v_and_b32_e32 v35, 0xffff0000, v35
	v_lshlrev_b32_e32 v7, 16, v36
	v_mul_f32_e32 v36, v35, v7
	v_and_b32_e32 v7, 0x7f800000, v36
	v_cmp_ne_u32_e64 s[0:1], s14, v7
                                        ; implicit-def: $vgpr7
	s_and_saveexec_b64 s[8:9], s[0:1]
	s_xor_b64 s[0:1], exec, s[8:9]
; %bb.183:                              ;   in Loop: Header=BB340_104 Depth=1
	v_bfe_u32 v7, v36, 16, 1
	v_add3_u32 v7, v36, v7, s15
                                        ; implicit-def: $vgpr36
; %bb.184:                              ;   in Loop: Header=BB340_104 Depth=1
	s_andn2_saveexec_b64 s[8:9], s[0:1]
; %bb.185:                              ;   in Loop: Header=BB340_104 Depth=1
	v_or_b32_e32 v7, 0x10000, v36
	v_cmp_eq_u32_sdwa s[0:1], v36, v11 src0_sel:WORD_0 src1_sel:DWORD
	s_nop 1
	v_cndmask_b32_e64 v7, v7, v36, s[0:1]
; %bb.186:                              ;   in Loop: Header=BB340_104 Depth=1
	s_or_b64 exec, exec, s[8:9]
	v_and_b32_e32 v36, 0xffff0000, v8
	v_lshlrev_b32_e32 v8, 16, v37
	v_mul_f32_e32 v37, v36, v8
	v_and_b32_e32 v8, 0x7f800000, v37
	v_cmp_ne_u32_e64 s[0:1], s14, v8
                                        ; implicit-def: $vgpr8
	s_and_saveexec_b64 s[8:9], s[0:1]
	s_xor_b64 s[0:1], exec, s[8:9]
; %bb.187:                              ;   in Loop: Header=BB340_104 Depth=1
	v_bfe_u32 v8, v37, 16, 1
	v_add3_u32 v8, v37, v8, s15
                                        ; implicit-def: $vgpr37
; %bb.188:                              ;   in Loop: Header=BB340_104 Depth=1
	s_andn2_saveexec_b64 s[8:9], s[0:1]
; %bb.189:                              ;   in Loop: Header=BB340_104 Depth=1
	v_or_b32_e32 v8, 0x10000, v37
	v_cmp_eq_u32_sdwa s[0:1], v37, v11 src0_sel:WORD_0 src1_sel:DWORD
	s_nop 1
	v_cndmask_b32_e64 v8, v8, v37, s[0:1]
; %bb.190:                              ;   in Loop: Header=BB340_104 Depth=1
	s_or_b64 exec, exec, s[8:9]
	v_and_b32_e32 v37, 0xffff0000, v9
	v_lshlrev_b32_e32 v9, 16, v38
	v_mul_f32_e32 v38, v37, v9
	v_and_b32_e32 v9, 0x7f800000, v38
	v_cmp_ne_u32_e64 s[0:1], s14, v9
                                        ; implicit-def: $vgpr9
	s_and_saveexec_b64 s[8:9], s[0:1]
	s_xor_b64 s[0:1], exec, s[8:9]
; %bb.191:                              ;   in Loop: Header=BB340_104 Depth=1
	v_bfe_u32 v9, v38, 16, 1
	v_add3_u32 v9, v38, v9, s15
                                        ; implicit-def: $vgpr38
; %bb.192:                              ;   in Loop: Header=BB340_104 Depth=1
	s_andn2_saveexec_b64 s[8:9], s[0:1]
; %bb.193:                              ;   in Loop: Header=BB340_104 Depth=1
	v_or_b32_e32 v9, 0x10000, v38
	v_cmp_eq_u32_sdwa s[0:1], v38, v11 src0_sel:WORD_0 src1_sel:DWORD
	s_nop 1
	v_cndmask_b32_e64 v9, v9, v38, s[0:1]
; %bb.194:                              ;   in Loop: Header=BB340_104 Depth=1
	s_or_b64 exec, exec, s[8:9]
	v_and_b32_e32 v38, 0xffff0000, v10
	v_lshlrev_b32_e32 v10, 16, v39
	v_mul_f32_e32 v39, v38, v10
	v_and_b32_e32 v10, 0x7f800000, v39
	v_cmp_ne_u32_e64 s[0:1], s14, v10
                                        ; implicit-def: $vgpr10
	s_and_saveexec_b64 s[8:9], s[0:1]
	s_xor_b64 s[0:1], exec, s[8:9]
; %bb.195:                              ;   in Loop: Header=BB340_104 Depth=1
	v_bfe_u32 v10, v39, 16, 1
	v_add3_u32 v10, v39, v10, s15
                                        ; implicit-def: $vgpr39
; %bb.196:                              ;   in Loop: Header=BB340_104 Depth=1
	s_andn2_saveexec_b64 s[8:9], s[0:1]
; %bb.197:                              ;   in Loop: Header=BB340_104 Depth=1
	v_or_b32_e32 v10, 0x10000, v39
	v_cmp_eq_u32_sdwa s[0:1], v39, v11 src0_sel:WORD_0 src1_sel:DWORD
	s_nop 1
	v_cndmask_b32_e64 v10, v10, v39, s[0:1]
; %bb.198:                              ;   in Loop: Header=BB340_104 Depth=1
	s_or_b64 exec, exec, s[8:9]
	v_and_b32_e32 v39, 0xffff0000, v31
	v_lshlrev_b32_e32 v31, 16, v40
	v_mul_f32_e32 v40, v39, v31
	v_and_b32_e32 v31, 0x7f800000, v40
	v_cmp_ne_u32_e64 s[0:1], s14, v31
                                        ; implicit-def: $vgpr31
	s_and_saveexec_b64 s[8:9], s[0:1]
	s_xor_b64 s[0:1], exec, s[8:9]
; %bb.199:                              ;   in Loop: Header=BB340_104 Depth=1
	v_bfe_u32 v31, v40, 16, 1
	v_add3_u32 v31, v40, v31, s15
                                        ; implicit-def: $vgpr40
; %bb.200:                              ;   in Loop: Header=BB340_104 Depth=1
	s_andn2_saveexec_b64 s[8:9], s[0:1]
; %bb.201:                              ;   in Loop: Header=BB340_104 Depth=1
	v_or_b32_e32 v31, 0x10000, v40
	v_cmp_eq_u32_sdwa s[0:1], v40, v11 src0_sel:WORD_0 src1_sel:DWORD
	s_nop 1
	v_cndmask_b32_e64 v31, v31, v40, s[0:1]
; %bb.202:                              ;   in Loop: Header=BB340_104 Depth=1
	s_or_b64 exec, exec, s[8:9]
	global_load_dwordx2 v[2:3], v[2:3], off offset:512
	s_waitcnt vmcnt(0)
	v_and_b32_e32 v40, 0xff, v2
	v_cvt_f32_fp8_sdwa v40, v40 src0_sel:BYTE_0
	s_nop 0
	v_mul_f32_e32 v41, s10, v40
	v_and_b32_e32 v40, 0x7f800000, v41
	v_cmp_ne_u32_e64 s[0:1], s14, v40
                                        ; implicit-def: $vgpr40
	s_and_saveexec_b64 s[8:9], s[0:1]
	s_xor_b64 s[0:1], exec, s[8:9]
; %bb.203:                              ;   in Loop: Header=BB340_104 Depth=1
	v_bfe_u32 v40, v41, 16, 1
	v_add3_u32 v40, v41, v40, s15
                                        ; implicit-def: $vgpr41
; %bb.204:                              ;   in Loop: Header=BB340_104 Depth=1
	s_andn2_saveexec_b64 s[8:9], s[0:1]
; %bb.205:                              ;   in Loop: Header=BB340_104 Depth=1
	v_or_b32_e32 v40, 0x10000, v41
	v_cmp_eq_u32_sdwa s[0:1], v41, v11 src0_sel:WORD_0 src1_sel:DWORD
	s_nop 1
	v_cndmask_b32_e64 v40, v40, v41, s[0:1]
; %bb.206:                              ;   in Loop: Header=BB340_104 Depth=1
	s_or_b64 exec, exec, s[8:9]
	v_bfe_u32 v41, v2, 8, 8
	v_cvt_f32_fp8_sdwa v41, v41 src0_sel:BYTE_0
	s_nop 0
	v_mul_f32_e32 v42, s10, v41
	v_and_b32_e32 v41, 0x7f800000, v42
	v_cmp_ne_u32_e64 s[0:1], s14, v41
                                        ; implicit-def: $vgpr41
	s_and_saveexec_b64 s[8:9], s[0:1]
	s_xor_b64 s[0:1], exec, s[8:9]
; %bb.207:                              ;   in Loop: Header=BB340_104 Depth=1
	v_bfe_u32 v41, v42, 16, 1
	v_add3_u32 v41, v42, v41, s15
                                        ; implicit-def: $vgpr42
; %bb.208:                              ;   in Loop: Header=BB340_104 Depth=1
	s_andn2_saveexec_b64 s[8:9], s[0:1]
; %bb.209:                              ;   in Loop: Header=BB340_104 Depth=1
	v_or_b32_e32 v41, 0x10000, v42
	v_cmp_eq_u32_sdwa s[0:1], v42, v11 src0_sel:WORD_0 src1_sel:DWORD
	s_nop 1
	v_cndmask_b32_e64 v41, v41, v42, s[0:1]
; %bb.210:                              ;   in Loop: Header=BB340_104 Depth=1
	s_or_b64 exec, exec, s[8:9]
	v_bfe_u32 v42, v2, 16, 8
	v_cvt_f32_fp8_sdwa v42, v42 src0_sel:BYTE_0
	s_nop 0
	v_mul_f32_e32 v42, s10, v42
	v_and_b32_e32 v43, 0x7f800000, v42
	v_cmp_ne_u32_e64 s[0:1], s14, v43
                                        ; implicit-def: $vgpr43
	s_and_saveexec_b64 s[8:9], s[0:1]
	s_xor_b64 s[0:1], exec, s[8:9]
; %bb.211:                              ;   in Loop: Header=BB340_104 Depth=1
	v_bfe_u32 v43, v42, 16, 1
	v_add3_u32 v43, v42, v43, s15
                                        ; implicit-def: $vgpr42
; %bb.212:                              ;   in Loop: Header=BB340_104 Depth=1
	s_andn2_saveexec_b64 s[8:9], s[0:1]
; %bb.213:                              ;   in Loop: Header=BB340_104 Depth=1
	v_or_b32_e32 v43, 0x10000, v42
	v_cmp_eq_u32_sdwa s[0:1], v42, v11 src0_sel:WORD_0 src1_sel:DWORD
	s_nop 1
	v_cndmask_b32_e64 v43, v43, v42, s[0:1]
; %bb.214:                              ;   in Loop: Header=BB340_104 Depth=1
	s_or_b64 exec, exec, s[8:9]
	v_lshrrev_b32_e32 v2, 24, v2
	v_cvt_f32_fp8_sdwa v2, v2 src0_sel:BYTE_0
	s_nop 0
	v_mul_f32_e32 v42, s10, v2
	v_and_b32_e32 v2, 0x7f800000, v42
	v_cmp_ne_u32_e64 s[0:1], s14, v2
                                        ; implicit-def: $vgpr2
	s_and_saveexec_b64 s[8:9], s[0:1]
	s_xor_b64 s[0:1], exec, s[8:9]
; %bb.215:                              ;   in Loop: Header=BB340_104 Depth=1
	v_bfe_u32 v2, v42, 16, 1
	v_add3_u32 v2, v42, v2, s15
                                        ; implicit-def: $vgpr42
; %bb.216:                              ;   in Loop: Header=BB340_104 Depth=1
	s_andn2_saveexec_b64 s[8:9], s[0:1]
; %bb.217:                              ;   in Loop: Header=BB340_104 Depth=1
	v_or_b32_e32 v2, 0x10000, v42
	v_cmp_eq_u32_sdwa s[0:1], v42, v11 src0_sel:WORD_0 src1_sel:DWORD
	s_nop 1
	v_cndmask_b32_e64 v2, v2, v42, s[0:1]
; %bb.218:                              ;   in Loop: Header=BB340_104 Depth=1
	s_or_b64 exec, exec, s[8:9]
	v_and_b32_e32 v42, 0xff, v3
	v_cvt_f32_fp8_sdwa v42, v42 src0_sel:BYTE_0
	s_nop 0
	v_mul_f32_e32 v42, s10, v42
	v_and_b32_e32 v44, 0x7f800000, v42
	v_cmp_ne_u32_e64 s[0:1], s14, v44
                                        ; implicit-def: $vgpr44
	s_and_saveexec_b64 s[8:9], s[0:1]
	s_xor_b64 s[0:1], exec, s[8:9]
; %bb.219:                              ;   in Loop: Header=BB340_104 Depth=1
	v_bfe_u32 v44, v42, 16, 1
	v_add3_u32 v44, v42, v44, s15
                                        ; implicit-def: $vgpr42
; %bb.220:                              ;   in Loop: Header=BB340_104 Depth=1
	s_andn2_saveexec_b64 s[8:9], s[0:1]
; %bb.221:                              ;   in Loop: Header=BB340_104 Depth=1
	v_or_b32_e32 v44, 0x10000, v42
	v_cmp_eq_u32_sdwa s[0:1], v42, v11 src0_sel:WORD_0 src1_sel:DWORD
	s_nop 1
	v_cndmask_b32_e64 v44, v44, v42, s[0:1]
; %bb.222:                              ;   in Loop: Header=BB340_104 Depth=1
	s_or_b64 exec, exec, s[8:9]
	v_bfe_u32 v42, v3, 8, 8
	v_cvt_f32_fp8_sdwa v42, v42 src0_sel:BYTE_0
	s_nop 0
	v_mul_f32_e32 v45, s10, v42
	v_and_b32_e32 v42, 0x7f800000, v45
	v_cmp_ne_u32_e64 s[0:1], s14, v42
                                        ; implicit-def: $vgpr42
	s_and_saveexec_b64 s[8:9], s[0:1]
	s_xor_b64 s[0:1], exec, s[8:9]
; %bb.223:                              ;   in Loop: Header=BB340_104 Depth=1
	v_bfe_u32 v42, v45, 16, 1
	v_add3_u32 v42, v45, v42, s15
                                        ; implicit-def: $vgpr45
; %bb.224:                              ;   in Loop: Header=BB340_104 Depth=1
	s_andn2_saveexec_b64 s[8:9], s[0:1]
; %bb.225:                              ;   in Loop: Header=BB340_104 Depth=1
	v_or_b32_e32 v42, 0x10000, v45
	v_cmp_eq_u32_sdwa s[0:1], v45, v11 src0_sel:WORD_0 src1_sel:DWORD
	s_nop 1
	v_cndmask_b32_e64 v42, v42, v45, s[0:1]
; %bb.226:                              ;   in Loop: Header=BB340_104 Depth=1
	s_or_b64 exec, exec, s[8:9]
	v_bfe_u32 v45, v3, 16, 8
	v_cvt_f32_fp8_sdwa v45, v45 src0_sel:BYTE_0
	s_nop 0
	v_mul_f32_e32 v45, s10, v45
	v_and_b32_e32 v46, 0x7f800000, v45
	v_cmp_ne_u32_e64 s[0:1], s14, v46
                                        ; implicit-def: $vgpr46
	s_and_saveexec_b64 s[8:9], s[0:1]
	s_xor_b64 s[0:1], exec, s[8:9]
; %bb.227:                              ;   in Loop: Header=BB340_104 Depth=1
	v_bfe_u32 v46, v45, 16, 1
	v_add3_u32 v46, v45, v46, s15
                                        ; implicit-def: $vgpr45
; %bb.228:                              ;   in Loop: Header=BB340_104 Depth=1
	s_andn2_saveexec_b64 s[8:9], s[0:1]
; %bb.229:                              ;   in Loop: Header=BB340_104 Depth=1
	v_or_b32_e32 v46, 0x10000, v45
	v_cmp_eq_u32_sdwa s[0:1], v45, v11 src0_sel:WORD_0 src1_sel:DWORD
	s_nop 1
	v_cndmask_b32_e64 v46, v46, v45, s[0:1]
; %bb.230:                              ;   in Loop: Header=BB340_104 Depth=1
	s_or_b64 exec, exec, s[8:9]
	v_lshrrev_b32_e32 v3, 24, v3
	v_cvt_f32_fp8_sdwa v3, v3 src0_sel:BYTE_0
	s_nop 0
	v_mul_f32_e32 v45, s10, v3
	v_and_b32_e32 v3, 0x7f800000, v45
	v_cmp_ne_u32_e64 s[0:1], s14, v3
                                        ; implicit-def: $vgpr3
	s_and_saveexec_b64 s[8:9], s[0:1]
	s_xor_b64 s[0:1], exec, s[8:9]
; %bb.231:                              ;   in Loop: Header=BB340_104 Depth=1
	v_bfe_u32 v3, v45, 16, 1
	v_add3_u32 v3, v45, v3, s15
                                        ; implicit-def: $vgpr45
; %bb.232:                              ;   in Loop: Header=BB340_104 Depth=1
	s_andn2_saveexec_b64 s[8:9], s[0:1]
; %bb.233:                              ;   in Loop: Header=BB340_104 Depth=1
	v_or_b32_e32 v3, 0x10000, v45
	v_cmp_eq_u32_sdwa s[0:1], v45, v11 src0_sel:WORD_0 src1_sel:DWORD
	s_nop 1
	v_cndmask_b32_e64 v3, v3, v45, s[0:1]
; %bb.234:                              ;   in Loop: Header=BB340_104 Depth=1
	s_or_b64 exec, exec, s[8:9]
	v_lshrrev_b32_e32 v42, 16, v42
	v_lshrrev_b32_e32 v44, 16, v44
	v_lshrrev_b32_e32 v45, 16, v2
	v_lshrrev_b32_e32 v43, 16, v43
	v_lshrrev_b32_e32 v41, 16, v41
	v_lshrrev_b32_e32 v2, 16, v40
	v_lshrrev_b32_e32 v40, 16, v46
	v_lshrrev_b32_e32 v3, 16, v3
	s_and_saveexec_b64 s[0:1], vcc
	s_cbranch_execz .LBB340_236
; %bb.235:                              ;   in Loop: Header=BB340_104 Depth=1
	v_cmp_gt_i32_e32 vcc, s17, v24
	s_nop 1
	v_cndmask_b32_e32 v2, 0, v2, vcc
	v_cmp_gt_i32_e32 vcc, s17, v30
	s_nop 1
	v_cndmask_b32_e32 v41, 0, v41, vcc
	v_cmp_gt_i32_e32 vcc, s17, v29
	s_nop 1
	v_cndmask_b32_e32 v43, 0, v43, vcc
	v_cmp_gt_i32_e32 vcc, s17, v28
	s_nop 1
	v_cndmask_b32_e32 v45, 0, v45, vcc
	v_cmp_gt_i32_e32 vcc, s17, v27
	s_nop 1
	v_cndmask_b32_e32 v44, 0, v44, vcc
	v_cmp_gt_i32_e32 vcc, s17, v26
	s_nop 1
	v_cndmask_b32_e32 v42, 0, v42, vcc
	v_cmp_gt_i32_e32 vcc, s17, v25
	s_nop 1
	v_cndmask_b32_e32 v40, 0, v40, vcc
	v_cmp_gt_i32_e32 vcc, s17, v22
	s_nop 1
	v_cndmask_b32_e32 v3, 0, v3, vcc
.LBB340_236:                            ;   in Loop: Header=BB340_104 Depth=1
	s_or_b64 exec, exec, s[0:1]
	v_lshlrev_b32_e32 v2, 16, v2
	v_mul_f32_e32 v24, v32, v2
	v_and_b32_e32 v2, 0x7f800000, v24
	v_cmp_ne_u32_e32 vcc, s14, v2
                                        ; implicit-def: $vgpr2
	s_and_saveexec_b64 s[0:1], vcc
	s_xor_b64 s[0:1], exec, s[0:1]
; %bb.237:                              ;   in Loop: Header=BB340_104 Depth=1
	v_bfe_u32 v2, v24, 16, 1
	v_add3_u32 v2, v24, v2, s15
                                        ; implicit-def: $vgpr24
; %bb.238:                              ;   in Loop: Header=BB340_104 Depth=1
	s_andn2_saveexec_b64 s[0:1], s[0:1]
; %bb.239:                              ;   in Loop: Header=BB340_104 Depth=1
	v_or_b32_e32 v2, 0x10000, v24
	v_cmp_eq_u32_sdwa vcc, v24, v11 src0_sel:WORD_0 src1_sel:DWORD
	s_nop 1
	v_cndmask_b32_e32 v2, v2, v24, vcc
; %bb.240:                              ;   in Loop: Header=BB340_104 Depth=1
	s_or_b64 exec, exec, s[0:1]
	v_lshlrev_b32_e32 v24, 16, v41
	v_mul_f32_e32 v25, v33, v24
	v_and_b32_e32 v24, 0x7f800000, v25
	v_cmp_ne_u32_e32 vcc, s14, v24
                                        ; implicit-def: $vgpr24
	s_and_saveexec_b64 s[0:1], vcc
	s_xor_b64 s[0:1], exec, s[0:1]
; %bb.241:                              ;   in Loop: Header=BB340_104 Depth=1
	v_bfe_u32 v24, v25, 16, 1
	v_add3_u32 v24, v25, v24, s15
                                        ; implicit-def: $vgpr25
; %bb.242:                              ;   in Loop: Header=BB340_104 Depth=1
	s_andn2_saveexec_b64 s[0:1], s[0:1]
; %bb.243:                              ;   in Loop: Header=BB340_104 Depth=1
	v_or_b32_e32 v24, 0x10000, v25
	v_cmp_eq_u32_sdwa vcc, v25, v11 src0_sel:WORD_0 src1_sel:DWORD
	s_nop 1
	v_cndmask_b32_e32 v24, v24, v25, vcc
; %bb.244:                              ;   in Loop: Header=BB340_104 Depth=1
	s_or_b64 exec, exec, s[0:1]
	v_lshlrev_b32_e32 v25, 16, v43
	v_mul_f32_e32 v26, v34, v25
	v_and_b32_e32 v25, 0x7f800000, v26
	v_cmp_ne_u32_e32 vcc, s14, v25
                                        ; implicit-def: $vgpr25
	s_and_saveexec_b64 s[0:1], vcc
	s_xor_b64 s[0:1], exec, s[0:1]
; %bb.245:                              ;   in Loop: Header=BB340_104 Depth=1
	v_bfe_u32 v25, v26, 16, 1
	v_add3_u32 v25, v26, v25, s15
                                        ; implicit-def: $vgpr26
; %bb.246:                              ;   in Loop: Header=BB340_104 Depth=1
	s_andn2_saveexec_b64 s[0:1], s[0:1]
; %bb.247:                              ;   in Loop: Header=BB340_104 Depth=1
	v_or_b32_e32 v25, 0x10000, v26
	v_cmp_eq_u32_sdwa vcc, v26, v11 src0_sel:WORD_0 src1_sel:DWORD
	s_nop 1
	v_cndmask_b32_e32 v25, v25, v26, vcc
; %bb.248:                              ;   in Loop: Header=BB340_104 Depth=1
	s_or_b64 exec, exec, s[0:1]
	v_lshlrev_b32_e32 v26, 16, v45
	v_mul_f32_e32 v27, v35, v26
	v_and_b32_e32 v26, 0x7f800000, v27
	v_cmp_ne_u32_e32 vcc, s14, v26
                                        ; implicit-def: $vgpr26
	s_and_saveexec_b64 s[0:1], vcc
	s_xor_b64 s[0:1], exec, s[0:1]
; %bb.249:                              ;   in Loop: Header=BB340_104 Depth=1
	v_bfe_u32 v26, v27, 16, 1
	v_add3_u32 v26, v27, v26, s15
                                        ; implicit-def: $vgpr27
; %bb.250:                              ;   in Loop: Header=BB340_104 Depth=1
	s_andn2_saveexec_b64 s[0:1], s[0:1]
; %bb.251:                              ;   in Loop: Header=BB340_104 Depth=1
	v_or_b32_e32 v26, 0x10000, v27
	v_cmp_eq_u32_sdwa vcc, v27, v11 src0_sel:WORD_0 src1_sel:DWORD
	s_nop 1
	v_cndmask_b32_e32 v26, v26, v27, vcc
; %bb.252:                              ;   in Loop: Header=BB340_104 Depth=1
	s_or_b64 exec, exec, s[0:1]
	v_lshlrev_b32_e32 v27, 16, v44
	v_mul_f32_e32 v28, v36, v27
	v_and_b32_e32 v27, 0x7f800000, v28
	v_cmp_ne_u32_e32 vcc, s14, v27
                                        ; implicit-def: $vgpr27
	s_and_saveexec_b64 s[0:1], vcc
	s_xor_b64 s[0:1], exec, s[0:1]
; %bb.253:                              ;   in Loop: Header=BB340_104 Depth=1
	v_bfe_u32 v27, v28, 16, 1
	v_add3_u32 v27, v28, v27, s15
                                        ; implicit-def: $vgpr28
; %bb.254:                              ;   in Loop: Header=BB340_104 Depth=1
	s_andn2_saveexec_b64 s[0:1], s[0:1]
; %bb.255:                              ;   in Loop: Header=BB340_104 Depth=1
	v_or_b32_e32 v27, 0x10000, v28
	v_cmp_eq_u32_sdwa vcc, v28, v11 src0_sel:WORD_0 src1_sel:DWORD
	s_nop 1
	v_cndmask_b32_e32 v27, v27, v28, vcc
; %bb.256:                              ;   in Loop: Header=BB340_104 Depth=1
	s_or_b64 exec, exec, s[0:1]
	v_lshlrev_b32_e32 v28, 16, v42
	v_mul_f32_e32 v29, v37, v28
	v_and_b32_e32 v28, 0x7f800000, v29
	v_cmp_ne_u32_e32 vcc, s14, v28
                                        ; implicit-def: $vgpr28
	s_and_saveexec_b64 s[0:1], vcc
	s_xor_b64 s[0:1], exec, s[0:1]
; %bb.257:                              ;   in Loop: Header=BB340_104 Depth=1
	v_bfe_u32 v28, v29, 16, 1
	v_add3_u32 v28, v29, v28, s15
                                        ; implicit-def: $vgpr29
; %bb.258:                              ;   in Loop: Header=BB340_104 Depth=1
	s_andn2_saveexec_b64 s[0:1], s[0:1]
; %bb.259:                              ;   in Loop: Header=BB340_104 Depth=1
	v_or_b32_e32 v28, 0x10000, v29
	v_cmp_eq_u32_sdwa vcc, v29, v11 src0_sel:WORD_0 src1_sel:DWORD
	s_nop 1
	v_cndmask_b32_e32 v28, v28, v29, vcc
; %bb.260:                              ;   in Loop: Header=BB340_104 Depth=1
	s_or_b64 exec, exec, s[0:1]
	v_lshlrev_b32_e32 v29, 16, v40
	v_mul_f32_e32 v30, v38, v29
	v_and_b32_e32 v29, 0x7f800000, v30
	v_cmp_ne_u32_e32 vcc, s14, v29
                                        ; implicit-def: $vgpr29
	s_and_saveexec_b64 s[0:1], vcc
	s_xor_b64 s[0:1], exec, s[0:1]
; %bb.261:                              ;   in Loop: Header=BB340_104 Depth=1
	v_bfe_u32 v29, v30, 16, 1
	v_add3_u32 v29, v30, v29, s15
                                        ; implicit-def: $vgpr30
; %bb.262:                              ;   in Loop: Header=BB340_104 Depth=1
	s_andn2_saveexec_b64 s[0:1], s[0:1]
; %bb.263:                              ;   in Loop: Header=BB340_104 Depth=1
	v_or_b32_e32 v29, 0x10000, v30
	v_cmp_eq_u32_sdwa vcc, v30, v11 src0_sel:WORD_0 src1_sel:DWORD
	s_nop 1
	v_cndmask_b32_e32 v29, v29, v30, vcc
; %bb.264:                              ;   in Loop: Header=BB340_104 Depth=1
	s_or_b64 exec, exec, s[0:1]
	v_lshlrev_b32_e32 v3, 16, v3
	v_mul_f32_e32 v30, v39, v3
	v_and_b32_e32 v3, 0x7f800000, v30
	v_cmp_ne_u32_e32 vcc, s14, v3
                                        ; implicit-def: $vgpr3
	s_and_saveexec_b64 s[0:1], vcc
	s_xor_b64 s[0:1], exec, s[0:1]
; %bb.265:                              ;   in Loop: Header=BB340_104 Depth=1
	v_bfe_u32 v3, v30, 16, 1
	v_add3_u32 v3, v30, v3, s15
                                        ; implicit-def: $vgpr30
; %bb.266:                              ;   in Loop: Header=BB340_104 Depth=1
	s_andn2_saveexec_b64 s[0:1], s[0:1]
	s_cbranch_execz .LBB340_103
; %bb.267:                              ;   in Loop: Header=BB340_104 Depth=1
	v_or_b32_e32 v3, 0x10000, v30
	v_cmp_eq_u32_sdwa vcc, v30, v11 src0_sel:WORD_0 src1_sel:DWORD
	s_nop 1
	v_cndmask_b32_e32 v3, v3, v30, vcc
	s_branch .LBB340_103
.LBB340_268:
	s_or_b64 exec, exec, s[6:7]
.LBB340_269:
	s_or_b64 exec, exec, s[2:3]
	ds_bpermute_b32 v2, v19, v12
	ds_bpermute_b32 v3, v19, v13
	v_and_b32_e32 v1, 0x3c3, v0
	v_cmp_eq_u32_e32 vcc, 64, v1
	s_waitcnt lgkmcnt(0)
	s_barrier
	v_pk_add_f32 v[2:3], v[12:13], v[2:3]
	ds_bpermute_b32 v4, v20, v2
	ds_bpermute_b32 v5, v20, v3
	s_waitcnt lgkmcnt(0)
	v_pk_add_f32 v[2:3], v[2:3], v[4:5]
	s_and_saveexec_b64 s[0:1], vcc
	s_cbranch_execz .LBB340_271
; %bb.270:
	v_add_u32_e32 v4, 0x50, v18
	v_add_u32_e32 v1, 0x50, v0
	ds_write_b32 v4, v2
	ds_write_b32 v1, v3
.LBB340_271:
	s_or_b64 exec, exec, s[0:1]
	v_cmp_gt_u32_e32 vcc, 64, v0
	s_waitcnt lgkmcnt(0)
	s_barrier
	s_and_saveexec_b64 s[2:3], vcc
	s_cbranch_execz .LBB340_277
; %bb.272:
	v_cmp_eq_u32_e64 s[0:1], 0, v21
	v_lshrrev_b32_e32 v1, 2, v0
	s_and_saveexec_b64 s[6:7], s[0:1]
	s_cbranch_execz .LBB340_274
; %bb.273:
	v_mov_b32_e32 v4, 0x50
	v_lshl_add_u32 v4, v1, 2, v4
	ds_read_b32 v4, v4
	s_waitcnt lgkmcnt(0)
	v_add_f32_e32 v2, v2, v4
.LBB340_274:
	s_or_b64 exec, exec, s[6:7]
	s_and_saveexec_b64 s[6:7], s[0:1]
	s_cbranch_execz .LBB340_276
; %bb.275:
	v_mov_b32_e32 v4, 0x50
	v_lshl_add_u32 v1, v1, 2, v4
	ds_read_b32 v1, v1 offset:64
	s_waitcnt lgkmcnt(0)
	v_add_f32_e32 v3, v3, v1
.LBB340_276:
	s_or_b64 exec, exec, s[6:7]
.LBB340_277:
	s_or_b64 exec, exec, s[2:3]
	s_barrier
	s_and_saveexec_b64 s[0:1], vcc
	s_cbranch_execz .LBB340_288
; %bb.278:
	v_cmp_eq_u32_e32 vcc, 0, v21
	s_and_b64 exec, exec, vcc
	s_cbranch_execz .LBB340_288
; %bb.279:
	s_mov_b32 s0, 0x7f800000
	v_and_b32_e32 v1, 0x7f800000, v2
	v_cmp_ne_u32_e32 vcc, s0, v1
                                        ; implicit-def: $vgpr4
	s_and_saveexec_b64 s[0:1], vcc
	s_xor_b64 s[0:1], exec, s[0:1]
; %bb.280:
	v_bfe_u32 v1, v2, 16, 1
	s_movk_i32 s2, 0x7fff
	v_add3_u32 v4, v2, v1, s2
; %bb.281:
	s_andn2_saveexec_b64 s[0:1], s[0:1]
; %bb.282:
	v_mov_b32_e32 v1, 0
	v_or_b32_e32 v4, 0x10000, v2
	v_cmp_eq_u32_sdwa vcc, v2, v1 src0_sel:WORD_0 src1_sel:DWORD
	s_nop 1
	v_cndmask_b32_e32 v4, v4, v2, vcc
; %bb.283:
	s_or_b64 exec, exec, s[0:1]
	s_mul_i32 s0, s16, s12
	s_mul_i32 s0, s0, s5
	s_lshl_b32 s0, s0, 5
	s_ashr_i32 s1, s0, 31
	s_lshl_b64 s[0:1], s[0:1], 1
	s_add_u32 s2, s20, s0
	s_mul_i32 s0, s12, s18
	s_addc_u32 s3, s21, s1
	s_ashr_i32 s1, s0, 31
	s_lshl_b64 s[0:1], s[0:1], 1
	s_add_u32 s2, s2, s0
	s_addc_u32 s3, s3, s1
	s_lshl_b32 s0, s4, 5
	s_ashr_i32 s1, s0, 31
	s_lshl_b64 s[0:1], s[0:1], 1
	s_add_u32 s0, s2, s0
	v_lshrrev_b32_e32 v0, 1, v0
	s_mov_b32 s2, 0x7f800000
	v_and_b32_e32 v2, 0x7f800000, v3
	s_addc_u32 s1, s3, s1
	v_and_b32_e32 v0, 0x1fe, v0
	v_mov_b32_e32 v1, 0
	v_cmp_ne_u32_e32 vcc, s2, v2
	global_store_short_d16_hi v0, v4, s[0:1]
                                        ; implicit-def: $vgpr4
	s_and_saveexec_b64 s[2:3], vcc
	s_xor_b64 s[2:3], exec, s[2:3]
; %bb.284:
	v_bfe_u32 v2, v3, 16, 1
	s_movk_i32 s4, 0x7fff
	v_add3_u32 v4, v3, v2, s4
                                        ; implicit-def: $vgpr2_vgpr3
; %bb.285:
	s_or_saveexec_b64 s[2:3], s[2:3]
	v_lshl_add_u64 v[0:1], s[0:1], 0, v[0:1]
	s_xor_b64 exec, exec, s[2:3]
; %bb.286:
	v_mov_b32_e32 v2, 0
	v_or_b32_e32 v4, 0x10000, v3
	v_cmp_eq_u32_sdwa vcc, v3, v2 src0_sel:WORD_0 src1_sel:DWORD
	s_nop 1
	v_cndmask_b32_e32 v4, v4, v3, vcc
; %bb.287:
	s_or_b64 exec, exec, s[2:3]
	global_store_short_d16_hi v[0:1], v4, off offset:32
.LBB340_288:
	s_endpgm
	.section	.rodata,"a",@progbits
	.p2align	6, 0x0
	.amdhsa_kernel _ZN4vllm25paged_attention_v1_kernelI14__hip_bfloat16hLi32ELi32ELi128ELNS_18Fp8KVCacheDataTypeE1ELb0EEEvPT_PKS3_PKT0_S9_ifPKiSB_iPKfiiiSD_SD_iiiii
		.amdhsa_group_segment_fixed_size 80
		.amdhsa_private_segment_fixed_size 0
		.amdhsa_kernarg_size 384
		.amdhsa_user_sgpr_count 2
		.amdhsa_user_sgpr_dispatch_ptr 0
		.amdhsa_user_sgpr_queue_ptr 0
		.amdhsa_user_sgpr_kernarg_segment_ptr 1
		.amdhsa_user_sgpr_dispatch_id 0
		.amdhsa_user_sgpr_kernarg_preload_length 0
		.amdhsa_user_sgpr_kernarg_preload_offset 0
		.amdhsa_user_sgpr_private_segment_size 0
		.amdhsa_uses_dynamic_stack 0
		.amdhsa_enable_private_segment 0
		.amdhsa_system_sgpr_workgroup_id_x 1
		.amdhsa_system_sgpr_workgroup_id_y 1
		.amdhsa_system_sgpr_workgroup_id_z 1
		.amdhsa_system_sgpr_workgroup_info 0
		.amdhsa_system_vgpr_workitem_id 0
		.amdhsa_next_free_vgpr 50
		.amdhsa_next_free_sgpr 39
		.amdhsa_accum_offset 52
		.amdhsa_reserve_vcc 1
		.amdhsa_float_round_mode_32 0
		.amdhsa_float_round_mode_16_64 0
		.amdhsa_float_denorm_mode_32 3
		.amdhsa_float_denorm_mode_16_64 3
		.amdhsa_dx10_clamp 1
		.amdhsa_ieee_mode 1
		.amdhsa_fp16_overflow 0
		.amdhsa_tg_split 0
		.amdhsa_exception_fp_ieee_invalid_op 0
		.amdhsa_exception_fp_denorm_src 0
		.amdhsa_exception_fp_ieee_div_zero 0
		.amdhsa_exception_fp_ieee_overflow 0
		.amdhsa_exception_fp_ieee_underflow 0
		.amdhsa_exception_fp_ieee_inexact 0
		.amdhsa_exception_int_div_zero 0
	.end_amdhsa_kernel
	.section	.text._ZN4vllm25paged_attention_v1_kernelI14__hip_bfloat16hLi32ELi32ELi128ELNS_18Fp8KVCacheDataTypeE1ELb0EEEvPT_PKS3_PKT0_S9_ifPKiSB_iPKfiiiSD_SD_iiiii,"axG",@progbits,_ZN4vllm25paged_attention_v1_kernelI14__hip_bfloat16hLi32ELi32ELi128ELNS_18Fp8KVCacheDataTypeE1ELb0EEEvPT_PKS3_PKT0_S9_ifPKiSB_iPKfiiiSD_SD_iiiii,comdat
.Lfunc_end340:
	.size	_ZN4vllm25paged_attention_v1_kernelI14__hip_bfloat16hLi32ELi32ELi128ELNS_18Fp8KVCacheDataTypeE1ELb0EEEvPT_PKS3_PKT0_S9_ifPKiSB_iPKfiiiSD_SD_iiiii, .Lfunc_end340-_ZN4vllm25paged_attention_v1_kernelI14__hip_bfloat16hLi32ELi32ELi128ELNS_18Fp8KVCacheDataTypeE1ELb0EEEvPT_PKS3_PKT0_S9_ifPKiSB_iPKfiiiSD_SD_iiiii
                                        ; -- End function
	.section	.AMDGPU.csdata,"",@progbits
; Kernel info:
; codeLenInByte = 9152
; NumSgprs: 45
; NumVgprs: 50
; NumAgprs: 0
; TotalNumVgprs: 50
; ScratchSize: 0
; MemoryBound: 0
; FloatMode: 240
; IeeeMode: 1
; LDSByteSize: 80 bytes/workgroup (compile time only)
; SGPRBlocks: 5
; VGPRBlocks: 6
; NumSGPRsForWavesPerEU: 45
; NumVGPRsForWavesPerEU: 50
; AccumOffset: 52
; Occupancy: 8
; WaveLimiterHint : 1
; COMPUTE_PGM_RSRC2:SCRATCH_EN: 0
; COMPUTE_PGM_RSRC2:USER_SGPR: 2
; COMPUTE_PGM_RSRC2:TRAP_HANDLER: 0
; COMPUTE_PGM_RSRC2:TGID_X_EN: 1
; COMPUTE_PGM_RSRC2:TGID_Y_EN: 1
; COMPUTE_PGM_RSRC2:TGID_Z_EN: 1
; COMPUTE_PGM_RSRC2:TIDIG_COMP_CNT: 0
; COMPUTE_PGM_RSRC3_GFX90A:ACCUM_OFFSET: 12
; COMPUTE_PGM_RSRC3_GFX90A:TG_SPLIT: 0
	.section	.text._ZN4vllm25paged_attention_v1_kernelI14__hip_bfloat16hLi64ELi32ELi128ELNS_18Fp8KVCacheDataTypeE1ELb0EEEvPT_PKS3_PKT0_S9_ifPKiSB_iPKfiiiSD_SD_iiiii,"axG",@progbits,_ZN4vllm25paged_attention_v1_kernelI14__hip_bfloat16hLi64ELi32ELi128ELNS_18Fp8KVCacheDataTypeE1ELb0EEEvPT_PKS3_PKT0_S9_ifPKiSB_iPKfiiiSD_SD_iiiii,comdat
	.protected	_ZN4vllm25paged_attention_v1_kernelI14__hip_bfloat16hLi64ELi32ELi128ELNS_18Fp8KVCacheDataTypeE1ELb0EEEvPT_PKS3_PKT0_S9_ifPKiSB_iPKfiiiSD_SD_iiiii ; -- Begin function _ZN4vllm25paged_attention_v1_kernelI14__hip_bfloat16hLi64ELi32ELi128ELNS_18Fp8KVCacheDataTypeE1ELb0EEEvPT_PKS3_PKT0_S9_ifPKiSB_iPKfiiiSD_SD_iiiii
	.globl	_ZN4vllm25paged_attention_v1_kernelI14__hip_bfloat16hLi64ELi32ELi128ELNS_18Fp8KVCacheDataTypeE1ELb0EEEvPT_PKS3_PKT0_S9_ifPKiSB_iPKfiiiSD_SD_iiiii
	.p2align	8
	.type	_ZN4vllm25paged_attention_v1_kernelI14__hip_bfloat16hLi64ELi32ELi128ELNS_18Fp8KVCacheDataTypeE1ELb0EEEvPT_PKS3_PKT0_S9_ifPKiSB_iPKfiiiSD_SD_iiiii,@function
_ZN4vllm25paged_attention_v1_kernelI14__hip_bfloat16hLi64ELi32ELi128ELNS_18Fp8KVCacheDataTypeE1ELb0EEEvPT_PKS3_PKT0_S9_ifPKiSB_iPKfiiiSD_SD_iiiii: ; @_ZN4vllm25paged_attention_v1_kernelI14__hip_bfloat16hLi64ELi32ELi128ELNS_18Fp8KVCacheDataTypeE1ELb0EEEvPT_PKS3_PKT0_S9_ifPKiSB_iPKfiiiSD_SD_iiiii
; %bb.0:
	s_load_dword s5, s[0:1], 0x80
	s_load_dwordx2 s[6:7], s[0:1], 0x30
	s_load_dwordx2 s[28:29], s[0:1], 0x20
	s_mov_b32 s16, s3
	s_ashr_i32 s17, s3, 31
	s_lshl_b64 s[8:9], s[16:17], 2
	s_waitcnt lgkmcnt(0)
	s_add_u32 s6, s6, s8
	s_addc_u32 s7, s7, s9
	s_abs_i32 s3, s28
	v_cvt_f32_u32_e32 v1, s3
	s_sub_i32 s10, 0, s3
	s_abs_i32 s9, s5
	s_xor_b32 s8, s5, s28
	v_rcp_iflag_f32_e32 v1, v1
	s_ashr_i32 s8, s8, 31
	s_mov_b32 s28, 0
	v_mul_f32_e32 v1, 0x4f7ffffe, v1
	v_cvt_u32_f32_e32 v1, v1
	s_nop 0
	v_readfirstlane_b32 s11, v1
	s_mul_i32 s10, s10, s11
	s_mul_hi_u32 s10, s11, s10
	s_add_i32 s11, s11, s10
	s_mul_hi_u32 s10, s9, s11
	s_mul_i32 s11, s10, s3
	s_sub_i32 s9, s9, s11
	s_add_i32 s11, s10, 1
	s_sub_i32 s12, s9, s3
	s_cmp_ge_u32 s9, s3
	s_cselect_b32 s10, s11, s10
	s_cselect_b32 s9, s12, s9
	s_add_i32 s11, s10, 1
	s_cmp_ge_u32 s9, s3
	s_cselect_b32 s3, s11, s10
	s_xor_b32 s3, s3, s8
	s_sub_i32 s12, s3, s8
	s_abs_i32 s10, s12
	v_cvt_f32_u32_e32 v1, s10
	s_load_dwordx2 s[8:9], s[0:1], 0x40
	s_sub_i32 s3, 0, s10
	s_abs_i32 s11, s2
	v_rcp_iflag_f32_e32 v1, v1
	s_nop 0
	v_mul_f32_e32 v1, 0x4f7ffffe, v1
	v_cvt_u32_f32_e32 v1, v1
	s_nop 0
	v_readfirstlane_b32 s13, v1
	s_mul_i32 s3, s3, s13
	s_mul_hi_u32 s3, s13, s3
	s_add_i32 s13, s13, s3
	s_waitcnt lgkmcnt(0)
	s_cmp_eq_u64 s[8:9], 0
	s_mul_hi_u32 s20, s11, s13
	s_cbranch_scc1 .LBB341_2
; %bb.1:
	s_ashr_i32 s3, s2, 31
	s_lshl_b64 s[14:15], s[2:3], 2
	s_add_u32 s8, s8, s14
	s_addc_u32 s9, s9, s15
	s_load_dword s28, s[8:9], 0x0
.LBB341_2:
	s_load_dword s17, s[6:7], 0x0
	s_ashr_i32 s7, s12, 31
	s_load_dwordx4 s[12:15], s[0:1], 0x48
	s_ashr_i32 s6, s2, 31
	v_and_b32_e32 v6, 1, v0
	s_lshl_b32 s18, s2, 6
	v_cmp_gt_u32_e32 vcc, 16, v0
	v_lshlrev_b32_e32 v14, 3, v0
	s_and_saveexec_b64 s[2:3], vcc
	s_cbranch_execz .LBB341_4
; %bb.3:
	s_load_dwordx2 s[8:9], s[0:1], 0x8
	s_waitcnt lgkmcnt(0)
	s_mul_i32 s22, s16, s12
	s_ashr_i32 s23, s22, 31
	s_lshl_b64 s[22:23], s[22:23], 1
	v_lshlrev_b32_e32 v1, 2, v0
	s_add_u32 s12, s8, s22
	s_addc_u32 s15, s9, s23
	s_ashr_i32 s19, s18, 31
	s_lshl_b64 s[8:9], s[18:19], 1
	s_add_u32 s8, s12, s8
	s_addc_u32 s9, s15, s9
	global_load_dwordx2 v[2:3], v14, s[8:9]
	v_and_b32_e32 v1, 0xff8, v1
	v_lshl_add_u32 v1, v6, 6, v1
	s_waitcnt vmcnt(0)
	ds_write_b64 v1, v[2:3]
.LBB341_4:
	s_or_b64 exec, exec, s[2:3]
	s_waitcnt lgkmcnt(0)
	s_add_i32 s3, s17, 31
	s_ashr_i32 s8, s3, 31
	s_lshr_b32 s8, s8, 27
	s_add_i32 s3, s3, s8
	s_ashr_i32 s19, s3, 5
	s_xor_b32 s3, s6, s7
	s_mul_i32 s6, s20, s10
	s_sub_i32 s6, s11, s6
	s_add_i32 s7, s20, 1
	s_sub_i32 s8, s6, s10
	s_load_dwordx2 s[22:23], s[0:1], 0x28
	s_load_dword s2, s[0:1], 0x38
	s_cmp_ge_u32 s6, s10
	s_cselect_b32 s7, s7, s20
	s_cselect_b32 s6, s8, s6
	s_add_i32 s8, s7, 1
	s_cmp_ge_u32 s6, s10
	s_cselect_b32 s6, s8, s7
	v_lshrrev_b32_e32 v1, 6, v0
	s_xor_b32 s6, s6, s3
	s_waitcnt lgkmcnt(0)
	s_mul_i32 s24, s16, s2
	s_sub_i32 s33, s6, s3
	s_ashr_i32 s25, s24, 31
	v_cmp_gt_i32_e64 s[6:7], s19, v1
	v_cmp_le_i32_e32 vcc, s19, v1
	v_mbcnt_lo_u32_b32 v7, -1, 0
	s_barrier
	s_waitcnt lgkmcnt(0)
                                        ; implicit-def: $sgpr15
                                        ; implicit-def: $vgpr10
                                        ; implicit-def: $vgpr11
	s_and_saveexec_b64 s[2:3], vcc
	s_xor_b64 s[2:3], exec, s[2:3]
; %bb.5:
	v_mbcnt_hi_u32_b32 v10, -1, v7
	v_and_b32_e32 v2, 64, v10
	v_add_u32_e32 v11, 64, v2
	s_mov_b32 s15, 0xff7fffff
                                        ; implicit-def: $vgpr6
                                        ; implicit-def: $vgpr7
; %bb.6:
	s_or_saveexec_b64 s[30:31], s[2:3]
	s_load_dwordx2 s[20:21], s[0:1], 0x0
	s_load_dwordx2 s[26:27], s[0:1], 0x18
	s_load_dword s12, s[0:1], 0x88
	s_load_dwordx4 s[8:11], s[0:1], 0x58
	v_mov_b32_e32 v42, s15
	s_mul_i32 s33, s33, s14
	v_lshrrev_b32_e32 v18, 4, v0
	s_xor_b64 exec, exec, s[30:31]
	s_cbranch_execz .LBB341_140
; %bb.7:
	v_lshlrev_b32_e32 v12, 6, v6
	ds_read_b128 v[8:11], v12
	s_load_dwordx2 s[0:1], s[0:1], 0x10
	s_ashr_i32 s2, s33, 31
	ds_read_b128 v[26:29], v12 offset:16
	ds_read_b128 v[34:37], v12 offset:32
	ds_read_b128 v[44:47], v12 offset:48
	v_bfe_u32 v42, v0, 1, 5
	s_waitcnt lgkmcnt(0)
	v_lshlrev_b32_e32 v17, 16, v10
	v_and_b32_e32 v19, 0xffff0000, v10
	v_mbcnt_hi_u32_b32 v10, -1, v7
	v_lshlrev_b32_e32 v12, 16, v8
	v_and_b32_e32 v13, 0xffff0000, v8
	v_and_b32_e32 v8, 64, v10
	s_add_u32 s0, s0, s33
	v_lshlrev_b32_e32 v20, 16, v11
	v_and_b32_e32 v21, 0xffff0000, v11
	v_xor_b32_e32 v7, 1, v10
	v_add_u32_e32 v11, 64, v8
	v_lshlrev_b32_e32 v2, 4, v42
	s_addc_u32 s1, s1, s2
	v_mov_b32_e32 v3, 0
	v_cmp_lt_i32_e32 vcc, v7, v11
	s_load_dword s35, s[8:9], 0x0
	v_lshl_add_u64 v[4:5], s[0:1], 0, v[2:3]
	v_lshlrev_b32_e32 v2, 2, v6
	v_cndmask_b32_e32 v7, v10, v7, vcc
	v_cmp_eq_u32_e32 vcc, 0, v6
	s_sub_i32 s36, 1, s17
	v_lshlrev_b32_e32 v6, 2, v42
	s_lshl_b64 s[0:1], s[24:25], 2
	v_lshl_or_b32 v6, v1, 7, v6
	s_add_u32 s0, s22, s0
	v_lshlrev_b32_e32 v38, 16, v44
	v_and_b32_e32 v39, 0xffff0000, v44
	v_lshlrev_b32_e32 v40, 16, v45
	v_and_b32_e32 v41, 0xffff0000, v45
	;; [unrolled: 2-line block ×4, first 2 shown]
	v_lshlrev_b32_e32 v47, 2, v7
	v_add_u32_e32 v49, 0x90, v6
	v_and_b32_e32 v6, 60, v18
	v_mov_b32_e32 v7, v3
	s_addc_u32 s1, s23, s1
	s_mov_b32 s34, s13
	v_lshlrev_b32_e32 v15, 16, v9
	v_and_b32_e32 v16, 0xffff0000, v9
	v_lshlrev_b32_e32 v22, 16, v26
	v_and_b32_e32 v23, 0xffff0000, v26
	;; [unrolled: 2-line block ×9, first 2 shown]
	v_cmp_neq_f32_e64 s[2:3], s28, 0
	v_lshl_or_b32 v48, v1, 5, v42
	v_lshl_add_u64 v[6:7], s[0:1], 0, v[6:7]
	s_mov_b64 s[8:9], 0
	v_mov_b32_e32 v42, 0xff7fffff
	s_mov_b32 s37, 0x7f800000
	s_movk_i32 s38, 0x7fff
	v_mov_b32_e32 v50, v1
	s_branch .LBB341_9
.LBB341_8:                              ;   in Loop: Header=BB341_9 Depth=1
	s_or_b64 exec, exec, s[14:15]
	v_add_u32_e32 v50, 2, v50
	v_cmp_le_i32_e64 s[0:1], s19, v50
	v_add_u32_e32 v48, 64, v48
	v_add_u32_e32 v49, 0x100, v49
	s_or_b64 s[8:9], s[0:1], s[8:9]
	v_lshl_add_u64 v[6:7], v[6:7], 0, 8
	s_andn2_b64 exec, exec, s[8:9]
	s_cbranch_execz .LBB341_139
.LBB341_9:                              ; =>This Inner Loop Header: Depth=1
	global_load_dword v8, v[6:7], off
	s_waitcnt vmcnt(0) lgkmcnt(0)
	v_mad_i64_i32 v[8:9], s[0:1], v8, s34, v[4:5]
	v_lshl_add_u64 v[8:9], v[8:9], 0, v[2:3]
	global_load_dword v54, v[8:9], off
	s_waitcnt vmcnt(0)
	v_and_b32_e32 v51, 0xff, v54
	v_cvt_f32_fp8_sdwa v51, v51 src0_sel:BYTE_0
	s_waitcnt lgkmcnt(0)
	v_mul_f32_e32 v52, s35, v51
	v_and_b32_e32 v51, 0x7f800000, v52
	v_cmp_ne_u32_e64 s[0:1], s37, v51
                                        ; implicit-def: $vgpr51
	s_and_saveexec_b64 s[14:15], s[0:1]
	s_xor_b64 s[0:1], exec, s[14:15]
; %bb.10:                               ;   in Loop: Header=BB341_9 Depth=1
	v_bfe_u32 v51, v52, 16, 1
	v_add3_u32 v51, v52, v51, s38
                                        ; implicit-def: $vgpr52
; %bb.11:                               ;   in Loop: Header=BB341_9 Depth=1
	s_andn2_saveexec_b64 s[14:15], s[0:1]
; %bb.12:                               ;   in Loop: Header=BB341_9 Depth=1
	v_or_b32_e32 v51, 0x10000, v52
	v_cmp_eq_u32_sdwa s[0:1], v52, v3 src0_sel:WORD_0 src1_sel:DWORD
	s_nop 1
	v_cndmask_b32_e64 v51, v51, v52, s[0:1]
; %bb.13:                               ;   in Loop: Header=BB341_9 Depth=1
	s_or_b64 exec, exec, s[14:15]
	v_bfe_u32 v52, v54, 8, 8
	v_cvt_f32_fp8_sdwa v52, v52 src0_sel:BYTE_0
	s_nop 0
	v_mul_f32_e32 v53, s35, v52
	v_and_b32_e32 v52, 0x7f800000, v53
	v_cmp_ne_u32_e64 s[0:1], s37, v52
                                        ; implicit-def: $vgpr52
	s_and_saveexec_b64 s[14:15], s[0:1]
	s_xor_b64 s[0:1], exec, s[14:15]
; %bb.14:                               ;   in Loop: Header=BB341_9 Depth=1
	v_bfe_u32 v52, v53, 16, 1
	v_add3_u32 v52, v53, v52, s38
                                        ; implicit-def: $vgpr53
; %bb.15:                               ;   in Loop: Header=BB341_9 Depth=1
	s_andn2_saveexec_b64 s[14:15], s[0:1]
; %bb.16:                               ;   in Loop: Header=BB341_9 Depth=1
	v_or_b32_e32 v52, 0x10000, v53
	v_cmp_eq_u32_sdwa s[0:1], v53, v3 src0_sel:WORD_0 src1_sel:DWORD
	s_nop 1
	v_cndmask_b32_e64 v52, v52, v53, s[0:1]
; %bb.17:                               ;   in Loop: Header=BB341_9 Depth=1
	s_or_b64 exec, exec, s[14:15]
	v_bfe_u32 v53, v54, 16, 8
	v_cvt_f32_fp8_sdwa v53, v53 src0_sel:BYTE_0
	s_nop 0
	v_mul_f32_e32 v55, s35, v53
	v_and_b32_e32 v53, 0x7f800000, v55
	v_cmp_ne_u32_e64 s[0:1], s37, v53
                                        ; implicit-def: $vgpr53
	s_and_saveexec_b64 s[14:15], s[0:1]
	s_xor_b64 s[0:1], exec, s[14:15]
; %bb.18:                               ;   in Loop: Header=BB341_9 Depth=1
	v_bfe_u32 v53, v55, 16, 1
	v_add3_u32 v53, v55, v53, s38
                                        ; implicit-def: $vgpr55
; %bb.19:                               ;   in Loop: Header=BB341_9 Depth=1
	s_andn2_saveexec_b64 s[14:15], s[0:1]
; %bb.20:                               ;   in Loop: Header=BB341_9 Depth=1
	v_or_b32_e32 v53, 0x10000, v55
	v_cmp_eq_u32_sdwa s[0:1], v55, v3 src0_sel:WORD_0 src1_sel:DWORD
	s_nop 1
	v_cndmask_b32_e64 v53, v53, v55, s[0:1]
; %bb.21:                               ;   in Loop: Header=BB341_9 Depth=1
	s_or_b64 exec, exec, s[14:15]
	v_lshrrev_b32_e32 v54, 24, v54
	v_cvt_f32_fp8_sdwa v54, v54 src0_sel:BYTE_0
	s_nop 0
	v_mul_f32_e32 v55, s35, v54
	v_and_b32_e32 v54, 0x7f800000, v55
	v_cmp_ne_u32_e64 s[0:1], s37, v54
                                        ; implicit-def: $vgpr54
	s_and_saveexec_b64 s[14:15], s[0:1]
	s_xor_b64 s[0:1], exec, s[14:15]
; %bb.22:                               ;   in Loop: Header=BB341_9 Depth=1
	v_bfe_u32 v54, v55, 16, 1
	v_add3_u32 v54, v55, v54, s38
                                        ; implicit-def: $vgpr55
; %bb.23:                               ;   in Loop: Header=BB341_9 Depth=1
	s_andn2_saveexec_b64 s[14:15], s[0:1]
; %bb.24:                               ;   in Loop: Header=BB341_9 Depth=1
	v_or_b32_e32 v54, 0x10000, v55
	v_cmp_eq_u32_sdwa s[0:1], v55, v3 src0_sel:WORD_0 src1_sel:DWORD
	s_nop 1
	v_cndmask_b32_e64 v54, v54, v55, s[0:1]
; %bb.25:                               ;   in Loop: Header=BB341_9 Depth=1
	s_or_b64 exec, exec, s[14:15]
	global_load_dword v58, v[8:9], off offset:8
	s_waitcnt vmcnt(0)
	v_and_b32_e32 v55, 0xff, v58
	v_cvt_f32_fp8_sdwa v55, v55 src0_sel:BYTE_0
	s_nop 0
	v_mul_f32_e32 v56, s35, v55
	v_and_b32_e32 v55, 0x7f800000, v56
	v_cmp_ne_u32_e64 s[0:1], s37, v55
                                        ; implicit-def: $vgpr55
	s_and_saveexec_b64 s[14:15], s[0:1]
	s_xor_b64 s[0:1], exec, s[14:15]
; %bb.26:                               ;   in Loop: Header=BB341_9 Depth=1
	v_bfe_u32 v55, v56, 16, 1
	v_add3_u32 v55, v56, v55, s38
                                        ; implicit-def: $vgpr56
; %bb.27:                               ;   in Loop: Header=BB341_9 Depth=1
	s_andn2_saveexec_b64 s[14:15], s[0:1]
; %bb.28:                               ;   in Loop: Header=BB341_9 Depth=1
	v_or_b32_e32 v55, 0x10000, v56
	v_cmp_eq_u32_sdwa s[0:1], v56, v3 src0_sel:WORD_0 src1_sel:DWORD
	s_nop 1
	v_cndmask_b32_e64 v55, v55, v56, s[0:1]
; %bb.29:                               ;   in Loop: Header=BB341_9 Depth=1
	s_or_b64 exec, exec, s[14:15]
	v_bfe_u32 v56, v58, 8, 8
	v_cvt_f32_fp8_sdwa v56, v56 src0_sel:BYTE_0
	s_nop 0
	v_mul_f32_e32 v57, s35, v56
	v_and_b32_e32 v56, 0x7f800000, v57
	v_cmp_ne_u32_e64 s[0:1], s37, v56
                                        ; implicit-def: $vgpr56
	s_and_saveexec_b64 s[14:15], s[0:1]
	s_xor_b64 s[0:1], exec, s[14:15]
; %bb.30:                               ;   in Loop: Header=BB341_9 Depth=1
	v_bfe_u32 v56, v57, 16, 1
	v_add3_u32 v56, v57, v56, s38
                                        ; implicit-def: $vgpr57
; %bb.31:                               ;   in Loop: Header=BB341_9 Depth=1
	s_andn2_saveexec_b64 s[14:15], s[0:1]
; %bb.32:                               ;   in Loop: Header=BB341_9 Depth=1
	v_or_b32_e32 v56, 0x10000, v57
	v_cmp_eq_u32_sdwa s[0:1], v57, v3 src0_sel:WORD_0 src1_sel:DWORD
	s_nop 1
	v_cndmask_b32_e64 v56, v56, v57, s[0:1]
; %bb.33:                               ;   in Loop: Header=BB341_9 Depth=1
	s_or_b64 exec, exec, s[14:15]
	v_bfe_u32 v57, v58, 16, 8
	v_cvt_f32_fp8_sdwa v57, v57 src0_sel:BYTE_0
	s_nop 0
	v_mul_f32_e32 v59, s35, v57
	v_and_b32_e32 v57, 0x7f800000, v59
	v_cmp_ne_u32_e64 s[0:1], s37, v57
                                        ; implicit-def: $vgpr57
	s_and_saveexec_b64 s[14:15], s[0:1]
	s_xor_b64 s[0:1], exec, s[14:15]
; %bb.34:                               ;   in Loop: Header=BB341_9 Depth=1
	v_bfe_u32 v57, v59, 16, 1
	v_add3_u32 v57, v59, v57, s38
                                        ; implicit-def: $vgpr59
; %bb.35:                               ;   in Loop: Header=BB341_9 Depth=1
	s_andn2_saveexec_b64 s[14:15], s[0:1]
; %bb.36:                               ;   in Loop: Header=BB341_9 Depth=1
	v_or_b32_e32 v57, 0x10000, v59
	v_cmp_eq_u32_sdwa s[0:1], v59, v3 src0_sel:WORD_0 src1_sel:DWORD
	s_nop 1
	v_cndmask_b32_e64 v57, v57, v59, s[0:1]
; %bb.37:                               ;   in Loop: Header=BB341_9 Depth=1
	s_or_b64 exec, exec, s[14:15]
	v_lshrrev_b32_e32 v58, 24, v58
	v_cvt_f32_fp8_sdwa v58, v58 src0_sel:BYTE_0
	s_nop 0
	v_mul_f32_e32 v59, s35, v58
	v_and_b32_e32 v58, 0x7f800000, v59
	v_cmp_ne_u32_e64 s[0:1], s37, v58
                                        ; implicit-def: $vgpr58
	s_and_saveexec_b64 s[14:15], s[0:1]
	s_xor_b64 s[0:1], exec, s[14:15]
; %bb.38:                               ;   in Loop: Header=BB341_9 Depth=1
	v_bfe_u32 v58, v59, 16, 1
	v_add3_u32 v58, v59, v58, s38
                                        ; implicit-def: $vgpr59
; %bb.39:                               ;   in Loop: Header=BB341_9 Depth=1
	s_andn2_saveexec_b64 s[14:15], s[0:1]
; %bb.40:                               ;   in Loop: Header=BB341_9 Depth=1
	v_or_b32_e32 v58, 0x10000, v59
	v_cmp_eq_u32_sdwa s[0:1], v59, v3 src0_sel:WORD_0 src1_sel:DWORD
	s_nop 1
	v_cndmask_b32_e64 v58, v58, v59, s[0:1]
; %bb.41:                               ;   in Loop: Header=BB341_9 Depth=1
	s_or_b64 exec, exec, s[14:15]
	global_load_dword v62, v[8:9], off offset:512
	s_waitcnt vmcnt(0)
	v_and_b32_e32 v59, 0xff, v62
	v_cvt_f32_fp8_sdwa v59, v59 src0_sel:BYTE_0
	s_nop 0
	v_mul_f32_e32 v60, s35, v59
	v_and_b32_e32 v59, 0x7f800000, v60
	v_cmp_ne_u32_e64 s[0:1], s37, v59
                                        ; implicit-def: $vgpr59
	s_and_saveexec_b64 s[14:15], s[0:1]
	s_xor_b64 s[0:1], exec, s[14:15]
; %bb.42:                               ;   in Loop: Header=BB341_9 Depth=1
	v_bfe_u32 v59, v60, 16, 1
	v_add3_u32 v59, v60, v59, s38
                                        ; implicit-def: $vgpr60
; %bb.43:                               ;   in Loop: Header=BB341_9 Depth=1
	s_andn2_saveexec_b64 s[14:15], s[0:1]
; %bb.44:                               ;   in Loop: Header=BB341_9 Depth=1
	v_or_b32_e32 v59, 0x10000, v60
	v_cmp_eq_u32_sdwa s[0:1], v60, v3 src0_sel:WORD_0 src1_sel:DWORD
	s_nop 1
	v_cndmask_b32_e64 v59, v59, v60, s[0:1]
; %bb.45:                               ;   in Loop: Header=BB341_9 Depth=1
	s_or_b64 exec, exec, s[14:15]
	v_bfe_u32 v60, v62, 8, 8
	v_cvt_f32_fp8_sdwa v60, v60 src0_sel:BYTE_0
	s_nop 0
	v_mul_f32_e32 v61, s35, v60
	v_and_b32_e32 v60, 0x7f800000, v61
	v_cmp_ne_u32_e64 s[0:1], s37, v60
                                        ; implicit-def: $vgpr60
	s_and_saveexec_b64 s[14:15], s[0:1]
	s_xor_b64 s[0:1], exec, s[14:15]
; %bb.46:                               ;   in Loop: Header=BB341_9 Depth=1
	v_bfe_u32 v60, v61, 16, 1
	v_add3_u32 v60, v61, v60, s38
                                        ; implicit-def: $vgpr61
; %bb.47:                               ;   in Loop: Header=BB341_9 Depth=1
	s_andn2_saveexec_b64 s[14:15], s[0:1]
; %bb.48:                               ;   in Loop: Header=BB341_9 Depth=1
	v_or_b32_e32 v60, 0x10000, v61
	v_cmp_eq_u32_sdwa s[0:1], v61, v3 src0_sel:WORD_0 src1_sel:DWORD
	s_nop 1
	v_cndmask_b32_e64 v60, v60, v61, s[0:1]
; %bb.49:                               ;   in Loop: Header=BB341_9 Depth=1
	s_or_b64 exec, exec, s[14:15]
	v_bfe_u32 v61, v62, 16, 8
	v_cvt_f32_fp8_sdwa v61, v61 src0_sel:BYTE_0
	s_nop 0
	v_mul_f32_e32 v63, s35, v61
	v_and_b32_e32 v61, 0x7f800000, v63
	v_cmp_ne_u32_e64 s[0:1], s37, v61
                                        ; implicit-def: $vgpr61
	s_and_saveexec_b64 s[14:15], s[0:1]
	s_xor_b64 s[0:1], exec, s[14:15]
; %bb.50:                               ;   in Loop: Header=BB341_9 Depth=1
	v_bfe_u32 v61, v63, 16, 1
	v_add3_u32 v61, v63, v61, s38
                                        ; implicit-def: $vgpr63
; %bb.51:                               ;   in Loop: Header=BB341_9 Depth=1
	s_andn2_saveexec_b64 s[14:15], s[0:1]
; %bb.52:                               ;   in Loop: Header=BB341_9 Depth=1
	v_or_b32_e32 v61, 0x10000, v63
	v_cmp_eq_u32_sdwa s[0:1], v63, v3 src0_sel:WORD_0 src1_sel:DWORD
	s_nop 1
	v_cndmask_b32_e64 v61, v61, v63, s[0:1]
; %bb.53:                               ;   in Loop: Header=BB341_9 Depth=1
	s_or_b64 exec, exec, s[14:15]
	v_lshrrev_b32_e32 v62, 24, v62
	v_cvt_f32_fp8_sdwa v62, v62 src0_sel:BYTE_0
	s_nop 0
	v_mul_f32_e32 v63, s35, v62
	v_and_b32_e32 v62, 0x7f800000, v63
	v_cmp_ne_u32_e64 s[0:1], s37, v62
                                        ; implicit-def: $vgpr62
	s_and_saveexec_b64 s[14:15], s[0:1]
	s_xor_b64 s[0:1], exec, s[14:15]
; %bb.54:                               ;   in Loop: Header=BB341_9 Depth=1
	v_bfe_u32 v62, v63, 16, 1
	v_add3_u32 v62, v63, v62, s38
                                        ; implicit-def: $vgpr63
; %bb.55:                               ;   in Loop: Header=BB341_9 Depth=1
	s_andn2_saveexec_b64 s[14:15], s[0:1]
; %bb.56:                               ;   in Loop: Header=BB341_9 Depth=1
	v_or_b32_e32 v62, 0x10000, v63
	v_cmp_eq_u32_sdwa s[0:1], v63, v3 src0_sel:WORD_0 src1_sel:DWORD
	s_nop 1
	v_cndmask_b32_e64 v62, v62, v63, s[0:1]
; %bb.57:                               ;   in Loop: Header=BB341_9 Depth=1
	s_or_b64 exec, exec, s[14:15]
	global_load_dword v66, v[8:9], off offset:520
	s_waitcnt vmcnt(0)
	v_and_b32_e32 v63, 0xff, v66
	v_cvt_f32_fp8_sdwa v63, v63 src0_sel:BYTE_0
	s_nop 0
	v_mul_f32_e32 v64, s35, v63
	v_and_b32_e32 v63, 0x7f800000, v64
	v_cmp_ne_u32_e64 s[0:1], s37, v63
                                        ; implicit-def: $vgpr63
	s_and_saveexec_b64 s[14:15], s[0:1]
	s_xor_b64 s[0:1], exec, s[14:15]
; %bb.58:                               ;   in Loop: Header=BB341_9 Depth=1
	v_bfe_u32 v63, v64, 16, 1
	v_add3_u32 v63, v64, v63, s38
                                        ; implicit-def: $vgpr64
; %bb.59:                               ;   in Loop: Header=BB341_9 Depth=1
	s_andn2_saveexec_b64 s[14:15], s[0:1]
; %bb.60:                               ;   in Loop: Header=BB341_9 Depth=1
	v_or_b32_e32 v63, 0x10000, v64
	v_cmp_eq_u32_sdwa s[0:1], v64, v3 src0_sel:WORD_0 src1_sel:DWORD
	s_nop 1
	v_cndmask_b32_e64 v63, v63, v64, s[0:1]
; %bb.61:                               ;   in Loop: Header=BB341_9 Depth=1
	s_or_b64 exec, exec, s[14:15]
	v_bfe_u32 v64, v66, 8, 8
	v_cvt_f32_fp8_sdwa v64, v64 src0_sel:BYTE_0
	s_nop 0
	v_mul_f32_e32 v65, s35, v64
	v_and_b32_e32 v64, 0x7f800000, v65
	v_cmp_ne_u32_e64 s[0:1], s37, v64
                                        ; implicit-def: $vgpr64
	s_and_saveexec_b64 s[14:15], s[0:1]
	s_xor_b64 s[0:1], exec, s[14:15]
; %bb.62:                               ;   in Loop: Header=BB341_9 Depth=1
	v_bfe_u32 v64, v65, 16, 1
	v_add3_u32 v64, v65, v64, s38
                                        ; implicit-def: $vgpr65
; %bb.63:                               ;   in Loop: Header=BB341_9 Depth=1
	s_andn2_saveexec_b64 s[14:15], s[0:1]
; %bb.64:                               ;   in Loop: Header=BB341_9 Depth=1
	v_or_b32_e32 v64, 0x10000, v65
	v_cmp_eq_u32_sdwa s[0:1], v65, v3 src0_sel:WORD_0 src1_sel:DWORD
	s_nop 1
	v_cndmask_b32_e64 v64, v64, v65, s[0:1]
; %bb.65:                               ;   in Loop: Header=BB341_9 Depth=1
	s_or_b64 exec, exec, s[14:15]
	v_bfe_u32 v65, v66, 16, 8
	v_cvt_f32_fp8_sdwa v65, v65 src0_sel:BYTE_0
	s_nop 0
	v_mul_f32_e32 v67, s35, v65
	v_and_b32_e32 v65, 0x7f800000, v67
	v_cmp_ne_u32_e64 s[0:1], s37, v65
                                        ; implicit-def: $vgpr65
	s_and_saveexec_b64 s[14:15], s[0:1]
	s_xor_b64 s[0:1], exec, s[14:15]
; %bb.66:                               ;   in Loop: Header=BB341_9 Depth=1
	v_bfe_u32 v65, v67, 16, 1
	v_add3_u32 v65, v67, v65, s38
                                        ; implicit-def: $vgpr67
; %bb.67:                               ;   in Loop: Header=BB341_9 Depth=1
	s_andn2_saveexec_b64 s[14:15], s[0:1]
; %bb.68:                               ;   in Loop: Header=BB341_9 Depth=1
	v_or_b32_e32 v65, 0x10000, v67
	v_cmp_eq_u32_sdwa s[0:1], v67, v3 src0_sel:WORD_0 src1_sel:DWORD
	s_nop 1
	v_cndmask_b32_e64 v65, v65, v67, s[0:1]
; %bb.69:                               ;   in Loop: Header=BB341_9 Depth=1
	s_or_b64 exec, exec, s[14:15]
	v_lshrrev_b32_e32 v66, 24, v66
	v_cvt_f32_fp8_sdwa v66, v66 src0_sel:BYTE_0
	s_nop 0
	v_mul_f32_e32 v67, s35, v66
	v_and_b32_e32 v66, 0x7f800000, v67
	v_cmp_ne_u32_e64 s[0:1], s37, v66
                                        ; implicit-def: $vgpr66
	s_and_saveexec_b64 s[14:15], s[0:1]
	s_xor_b64 s[0:1], exec, s[14:15]
; %bb.70:                               ;   in Loop: Header=BB341_9 Depth=1
	v_bfe_u32 v66, v67, 16, 1
	v_add3_u32 v66, v67, v66, s38
                                        ; implicit-def: $vgpr67
; %bb.71:                               ;   in Loop: Header=BB341_9 Depth=1
	s_andn2_saveexec_b64 s[14:15], s[0:1]
; %bb.72:                               ;   in Loop: Header=BB341_9 Depth=1
	v_or_b32_e32 v66, 0x10000, v67
	v_cmp_eq_u32_sdwa s[0:1], v67, v3 src0_sel:WORD_0 src1_sel:DWORD
	s_nop 1
	v_cndmask_b32_e64 v66, v66, v67, s[0:1]
; %bb.73:                               ;   in Loop: Header=BB341_9 Depth=1
	s_or_b64 exec, exec, s[14:15]
	global_load_dword v70, v[8:9], off offset:1024
	s_waitcnt vmcnt(0)
	v_and_b32_e32 v67, 0xff, v70
	v_cvt_f32_fp8_sdwa v67, v67 src0_sel:BYTE_0
	s_nop 0
	v_mul_f32_e32 v68, s35, v67
	v_and_b32_e32 v67, 0x7f800000, v68
	v_cmp_ne_u32_e64 s[0:1], s37, v67
                                        ; implicit-def: $vgpr67
	s_and_saveexec_b64 s[14:15], s[0:1]
	s_xor_b64 s[0:1], exec, s[14:15]
; %bb.74:                               ;   in Loop: Header=BB341_9 Depth=1
	v_bfe_u32 v67, v68, 16, 1
	v_add3_u32 v67, v68, v67, s38
                                        ; implicit-def: $vgpr68
; %bb.75:                               ;   in Loop: Header=BB341_9 Depth=1
	s_andn2_saveexec_b64 s[14:15], s[0:1]
; %bb.76:                               ;   in Loop: Header=BB341_9 Depth=1
	v_or_b32_e32 v67, 0x10000, v68
	v_cmp_eq_u32_sdwa s[0:1], v68, v3 src0_sel:WORD_0 src1_sel:DWORD
	s_nop 1
	v_cndmask_b32_e64 v67, v67, v68, s[0:1]
; %bb.77:                               ;   in Loop: Header=BB341_9 Depth=1
	s_or_b64 exec, exec, s[14:15]
	v_bfe_u32 v68, v70, 8, 8
	v_cvt_f32_fp8_sdwa v68, v68 src0_sel:BYTE_0
	s_nop 0
	v_mul_f32_e32 v69, s35, v68
	v_and_b32_e32 v68, 0x7f800000, v69
	v_cmp_ne_u32_e64 s[0:1], s37, v68
                                        ; implicit-def: $vgpr68
	s_and_saveexec_b64 s[14:15], s[0:1]
	s_xor_b64 s[0:1], exec, s[14:15]
; %bb.78:                               ;   in Loop: Header=BB341_9 Depth=1
	v_bfe_u32 v68, v69, 16, 1
	v_add3_u32 v68, v69, v68, s38
                                        ; implicit-def: $vgpr69
; %bb.79:                               ;   in Loop: Header=BB341_9 Depth=1
	s_andn2_saveexec_b64 s[14:15], s[0:1]
; %bb.80:                               ;   in Loop: Header=BB341_9 Depth=1
	v_or_b32_e32 v68, 0x10000, v69
	v_cmp_eq_u32_sdwa s[0:1], v69, v3 src0_sel:WORD_0 src1_sel:DWORD
	s_nop 1
	v_cndmask_b32_e64 v68, v68, v69, s[0:1]
; %bb.81:                               ;   in Loop: Header=BB341_9 Depth=1
	s_or_b64 exec, exec, s[14:15]
	v_bfe_u32 v69, v70, 16, 8
	v_cvt_f32_fp8_sdwa v69, v69 src0_sel:BYTE_0
	s_nop 0
	v_mul_f32_e32 v71, s35, v69
	v_and_b32_e32 v69, 0x7f800000, v71
	v_cmp_ne_u32_e64 s[0:1], s37, v69
                                        ; implicit-def: $vgpr69
	s_and_saveexec_b64 s[14:15], s[0:1]
	s_xor_b64 s[0:1], exec, s[14:15]
; %bb.82:                               ;   in Loop: Header=BB341_9 Depth=1
	v_bfe_u32 v69, v71, 16, 1
	v_add3_u32 v69, v71, v69, s38
                                        ; implicit-def: $vgpr71
; %bb.83:                               ;   in Loop: Header=BB341_9 Depth=1
	s_andn2_saveexec_b64 s[14:15], s[0:1]
; %bb.84:                               ;   in Loop: Header=BB341_9 Depth=1
	v_or_b32_e32 v69, 0x10000, v71
	v_cmp_eq_u32_sdwa s[0:1], v71, v3 src0_sel:WORD_0 src1_sel:DWORD
	s_nop 1
	v_cndmask_b32_e64 v69, v69, v71, s[0:1]
; %bb.85:                               ;   in Loop: Header=BB341_9 Depth=1
	s_or_b64 exec, exec, s[14:15]
	v_lshrrev_b32_e32 v70, 24, v70
	v_cvt_f32_fp8_sdwa v70, v70 src0_sel:BYTE_0
	s_nop 0
	v_mul_f32_e32 v71, s35, v70
	v_and_b32_e32 v70, 0x7f800000, v71
	v_cmp_ne_u32_e64 s[0:1], s37, v70
                                        ; implicit-def: $vgpr70
	s_and_saveexec_b64 s[14:15], s[0:1]
	s_xor_b64 s[0:1], exec, s[14:15]
; %bb.86:                               ;   in Loop: Header=BB341_9 Depth=1
	v_bfe_u32 v70, v71, 16, 1
	v_add3_u32 v70, v71, v70, s38
                                        ; implicit-def: $vgpr71
; %bb.87:                               ;   in Loop: Header=BB341_9 Depth=1
	s_andn2_saveexec_b64 s[14:15], s[0:1]
; %bb.88:                               ;   in Loop: Header=BB341_9 Depth=1
	v_or_b32_e32 v70, 0x10000, v71
	v_cmp_eq_u32_sdwa s[0:1], v71, v3 src0_sel:WORD_0 src1_sel:DWORD
	s_nop 1
	v_cndmask_b32_e64 v70, v70, v71, s[0:1]
; %bb.89:                               ;   in Loop: Header=BB341_9 Depth=1
	s_or_b64 exec, exec, s[14:15]
	global_load_dword v74, v[8:9], off offset:1032
	s_waitcnt vmcnt(0)
	v_and_b32_e32 v71, 0xff, v74
	v_cvt_f32_fp8_sdwa v71, v71 src0_sel:BYTE_0
	s_nop 0
	v_mul_f32_e32 v72, s35, v71
	v_and_b32_e32 v71, 0x7f800000, v72
	v_cmp_ne_u32_e64 s[0:1], s37, v71
                                        ; implicit-def: $vgpr71
	s_and_saveexec_b64 s[14:15], s[0:1]
	s_xor_b64 s[0:1], exec, s[14:15]
; %bb.90:                               ;   in Loop: Header=BB341_9 Depth=1
	v_bfe_u32 v71, v72, 16, 1
	v_add3_u32 v71, v72, v71, s38
                                        ; implicit-def: $vgpr72
; %bb.91:                               ;   in Loop: Header=BB341_9 Depth=1
	s_andn2_saveexec_b64 s[14:15], s[0:1]
; %bb.92:                               ;   in Loop: Header=BB341_9 Depth=1
	v_or_b32_e32 v71, 0x10000, v72
	v_cmp_eq_u32_sdwa s[0:1], v72, v3 src0_sel:WORD_0 src1_sel:DWORD
	s_nop 1
	v_cndmask_b32_e64 v71, v71, v72, s[0:1]
; %bb.93:                               ;   in Loop: Header=BB341_9 Depth=1
	s_or_b64 exec, exec, s[14:15]
	v_bfe_u32 v72, v74, 8, 8
	v_cvt_f32_fp8_sdwa v72, v72 src0_sel:BYTE_0
	s_nop 0
	v_mul_f32_e32 v73, s35, v72
	v_and_b32_e32 v72, 0x7f800000, v73
	v_cmp_ne_u32_e64 s[0:1], s37, v72
                                        ; implicit-def: $vgpr72
	s_and_saveexec_b64 s[14:15], s[0:1]
	s_xor_b64 s[0:1], exec, s[14:15]
; %bb.94:                               ;   in Loop: Header=BB341_9 Depth=1
	v_bfe_u32 v72, v73, 16, 1
	v_add3_u32 v72, v73, v72, s38
                                        ; implicit-def: $vgpr73
; %bb.95:                               ;   in Loop: Header=BB341_9 Depth=1
	s_andn2_saveexec_b64 s[14:15], s[0:1]
; %bb.96:                               ;   in Loop: Header=BB341_9 Depth=1
	v_or_b32_e32 v72, 0x10000, v73
	v_cmp_eq_u32_sdwa s[0:1], v73, v3 src0_sel:WORD_0 src1_sel:DWORD
	s_nop 1
	v_cndmask_b32_e64 v72, v72, v73, s[0:1]
; %bb.97:                               ;   in Loop: Header=BB341_9 Depth=1
	s_or_b64 exec, exec, s[14:15]
	v_bfe_u32 v73, v74, 16, 8
	v_cvt_f32_fp8_sdwa v73, v73 src0_sel:BYTE_0
	s_nop 0
	v_mul_f32_e32 v75, s35, v73
	v_and_b32_e32 v73, 0x7f800000, v75
	v_cmp_ne_u32_e64 s[0:1], s37, v73
                                        ; implicit-def: $vgpr73
	s_and_saveexec_b64 s[14:15], s[0:1]
	s_xor_b64 s[0:1], exec, s[14:15]
; %bb.98:                               ;   in Loop: Header=BB341_9 Depth=1
	v_bfe_u32 v73, v75, 16, 1
	v_add3_u32 v73, v75, v73, s38
                                        ; implicit-def: $vgpr75
; %bb.99:                               ;   in Loop: Header=BB341_9 Depth=1
	s_andn2_saveexec_b64 s[14:15], s[0:1]
; %bb.100:                              ;   in Loop: Header=BB341_9 Depth=1
	v_or_b32_e32 v73, 0x10000, v75
	v_cmp_eq_u32_sdwa s[0:1], v75, v3 src0_sel:WORD_0 src1_sel:DWORD
	s_nop 1
	v_cndmask_b32_e64 v73, v73, v75, s[0:1]
; %bb.101:                              ;   in Loop: Header=BB341_9 Depth=1
	s_or_b64 exec, exec, s[14:15]
	v_lshrrev_b32_e32 v74, 24, v74
	v_cvt_f32_fp8_sdwa v74, v74 src0_sel:BYTE_0
	s_nop 0
	v_mul_f32_e32 v75, s35, v74
	v_and_b32_e32 v74, 0x7f800000, v75
	v_cmp_ne_u32_e64 s[0:1], s37, v74
                                        ; implicit-def: $vgpr74
	s_and_saveexec_b64 s[14:15], s[0:1]
	s_xor_b64 s[0:1], exec, s[14:15]
; %bb.102:                              ;   in Loop: Header=BB341_9 Depth=1
	v_bfe_u32 v74, v75, 16, 1
	v_add3_u32 v74, v75, v74, s38
                                        ; implicit-def: $vgpr75
; %bb.103:                              ;   in Loop: Header=BB341_9 Depth=1
	s_andn2_saveexec_b64 s[14:15], s[0:1]
; %bb.104:                              ;   in Loop: Header=BB341_9 Depth=1
	v_or_b32_e32 v74, 0x10000, v75
	v_cmp_eq_u32_sdwa s[0:1], v75, v3 src0_sel:WORD_0 src1_sel:DWORD
	s_nop 1
	v_cndmask_b32_e64 v74, v74, v75, s[0:1]
; %bb.105:                              ;   in Loop: Header=BB341_9 Depth=1
	s_or_b64 exec, exec, s[14:15]
	global_load_dword v78, v[8:9], off offset:1536
	s_waitcnt vmcnt(0)
	v_and_b32_e32 v75, 0xff, v78
	v_cvt_f32_fp8_sdwa v75, v75 src0_sel:BYTE_0
	s_nop 0
	v_mul_f32_e32 v76, s35, v75
	v_and_b32_e32 v75, 0x7f800000, v76
	v_cmp_ne_u32_e64 s[0:1], s37, v75
                                        ; implicit-def: $vgpr75
	s_and_saveexec_b64 s[14:15], s[0:1]
	s_xor_b64 s[0:1], exec, s[14:15]
; %bb.106:                              ;   in Loop: Header=BB341_9 Depth=1
	v_bfe_u32 v75, v76, 16, 1
	v_add3_u32 v75, v76, v75, s38
                                        ; implicit-def: $vgpr76
; %bb.107:                              ;   in Loop: Header=BB341_9 Depth=1
	s_andn2_saveexec_b64 s[14:15], s[0:1]
; %bb.108:                              ;   in Loop: Header=BB341_9 Depth=1
	v_or_b32_e32 v75, 0x10000, v76
	v_cmp_eq_u32_sdwa s[0:1], v76, v3 src0_sel:WORD_0 src1_sel:DWORD
	s_nop 1
	v_cndmask_b32_e64 v75, v75, v76, s[0:1]
; %bb.109:                              ;   in Loop: Header=BB341_9 Depth=1
	s_or_b64 exec, exec, s[14:15]
	v_bfe_u32 v76, v78, 8, 8
	v_cvt_f32_fp8_sdwa v76, v76 src0_sel:BYTE_0
	s_nop 0
	v_mul_f32_e32 v77, s35, v76
	v_and_b32_e32 v76, 0x7f800000, v77
	v_cmp_ne_u32_e64 s[0:1], s37, v76
                                        ; implicit-def: $vgpr76
	s_and_saveexec_b64 s[14:15], s[0:1]
	s_xor_b64 s[0:1], exec, s[14:15]
; %bb.110:                              ;   in Loop: Header=BB341_9 Depth=1
	v_bfe_u32 v76, v77, 16, 1
	v_add3_u32 v76, v77, v76, s38
                                        ; implicit-def: $vgpr77
; %bb.111:                              ;   in Loop: Header=BB341_9 Depth=1
	s_andn2_saveexec_b64 s[14:15], s[0:1]
; %bb.112:                              ;   in Loop: Header=BB341_9 Depth=1
	v_or_b32_e32 v76, 0x10000, v77
	v_cmp_eq_u32_sdwa s[0:1], v77, v3 src0_sel:WORD_0 src1_sel:DWORD
	s_nop 1
	v_cndmask_b32_e64 v76, v76, v77, s[0:1]
; %bb.113:                              ;   in Loop: Header=BB341_9 Depth=1
	s_or_b64 exec, exec, s[14:15]
	v_bfe_u32 v77, v78, 16, 8
	v_cvt_f32_fp8_sdwa v77, v77 src0_sel:BYTE_0
	s_nop 0
	v_mul_f32_e32 v79, s35, v77
	v_and_b32_e32 v77, 0x7f800000, v79
	v_cmp_ne_u32_e64 s[0:1], s37, v77
                                        ; implicit-def: $vgpr77
	s_and_saveexec_b64 s[14:15], s[0:1]
	s_xor_b64 s[0:1], exec, s[14:15]
; %bb.114:                              ;   in Loop: Header=BB341_9 Depth=1
	v_bfe_u32 v77, v79, 16, 1
	v_add3_u32 v77, v79, v77, s38
                                        ; implicit-def: $vgpr79
; %bb.115:                              ;   in Loop: Header=BB341_9 Depth=1
	s_andn2_saveexec_b64 s[14:15], s[0:1]
; %bb.116:                              ;   in Loop: Header=BB341_9 Depth=1
	v_or_b32_e32 v77, 0x10000, v79
	v_cmp_eq_u32_sdwa s[0:1], v79, v3 src0_sel:WORD_0 src1_sel:DWORD
	s_nop 1
	v_cndmask_b32_e64 v77, v77, v79, s[0:1]
; %bb.117:                              ;   in Loop: Header=BB341_9 Depth=1
	s_or_b64 exec, exec, s[14:15]
	v_lshrrev_b32_e32 v78, 24, v78
	v_cvt_f32_fp8_sdwa v78, v78 src0_sel:BYTE_0
	s_nop 0
	v_mul_f32_e32 v79, s35, v78
	v_and_b32_e32 v78, 0x7f800000, v79
	v_cmp_ne_u32_e64 s[0:1], s37, v78
                                        ; implicit-def: $vgpr78
	s_and_saveexec_b64 s[14:15], s[0:1]
	s_xor_b64 s[0:1], exec, s[14:15]
; %bb.118:                              ;   in Loop: Header=BB341_9 Depth=1
	v_bfe_u32 v78, v79, 16, 1
	v_add3_u32 v78, v79, v78, s38
                                        ; implicit-def: $vgpr79
; %bb.119:                              ;   in Loop: Header=BB341_9 Depth=1
	s_andn2_saveexec_b64 s[14:15], s[0:1]
; %bb.120:                              ;   in Loop: Header=BB341_9 Depth=1
	v_or_b32_e32 v78, 0x10000, v79
	v_cmp_eq_u32_sdwa s[0:1], v79, v3 src0_sel:WORD_0 src1_sel:DWORD
	s_nop 1
	v_cndmask_b32_e64 v78, v78, v79, s[0:1]
; %bb.121:                              ;   in Loop: Header=BB341_9 Depth=1
	s_or_b64 exec, exec, s[14:15]
	global_load_dword v9, v[8:9], off offset:1544
	s_waitcnt vmcnt(0)
	v_and_b32_e32 v8, 0xff, v9
	v_cvt_f32_fp8_sdwa v8, v8 src0_sel:BYTE_0
	s_nop 0
	v_mul_f32_e32 v79, s35, v8
	v_and_b32_e32 v8, 0x7f800000, v79
	v_cmp_ne_u32_e64 s[0:1], s37, v8
                                        ; implicit-def: $vgpr8
	s_and_saveexec_b64 s[14:15], s[0:1]
	s_xor_b64 s[0:1], exec, s[14:15]
; %bb.122:                              ;   in Loop: Header=BB341_9 Depth=1
	v_bfe_u32 v8, v79, 16, 1
	v_add3_u32 v8, v79, v8, s38
                                        ; implicit-def: $vgpr79
; %bb.123:                              ;   in Loop: Header=BB341_9 Depth=1
	s_andn2_saveexec_b64 s[14:15], s[0:1]
; %bb.124:                              ;   in Loop: Header=BB341_9 Depth=1
	v_or_b32_e32 v8, 0x10000, v79
	v_cmp_eq_u32_sdwa s[0:1], v79, v3 src0_sel:WORD_0 src1_sel:DWORD
	s_nop 1
	v_cndmask_b32_e64 v8, v8, v79, s[0:1]
; %bb.125:                              ;   in Loop: Header=BB341_9 Depth=1
	s_or_b64 exec, exec, s[14:15]
	v_bfe_u32 v79, v9, 8, 8
	v_cvt_f32_fp8_sdwa v79, v79 src0_sel:BYTE_0
	s_nop 0
	v_mul_f32_e32 v80, s35, v79
	v_and_b32_e32 v79, 0x7f800000, v80
	v_cmp_ne_u32_e64 s[0:1], s37, v79
                                        ; implicit-def: $vgpr79
	s_and_saveexec_b64 s[14:15], s[0:1]
	s_xor_b64 s[0:1], exec, s[14:15]
; %bb.126:                              ;   in Loop: Header=BB341_9 Depth=1
	v_bfe_u32 v79, v80, 16, 1
	v_add3_u32 v79, v80, v79, s38
                                        ; implicit-def: $vgpr80
; %bb.127:                              ;   in Loop: Header=BB341_9 Depth=1
	s_andn2_saveexec_b64 s[14:15], s[0:1]
; %bb.128:                              ;   in Loop: Header=BB341_9 Depth=1
	v_or_b32_e32 v79, 0x10000, v80
	v_cmp_eq_u32_sdwa s[0:1], v80, v3 src0_sel:WORD_0 src1_sel:DWORD
	s_nop 1
	v_cndmask_b32_e64 v79, v79, v80, s[0:1]
; %bb.129:                              ;   in Loop: Header=BB341_9 Depth=1
	s_or_b64 exec, exec, s[14:15]
	v_bfe_u32 v80, v9, 16, 8
	v_cvt_f32_fp8_sdwa v80, v80 src0_sel:BYTE_0
	s_nop 0
	v_mul_f32_e32 v81, s35, v80
	v_and_b32_e32 v80, 0x7f800000, v81
	v_cmp_ne_u32_e64 s[0:1], s37, v80
                                        ; implicit-def: $vgpr80
	s_and_saveexec_b64 s[14:15], s[0:1]
	s_xor_b64 s[0:1], exec, s[14:15]
; %bb.130:                              ;   in Loop: Header=BB341_9 Depth=1
	v_bfe_u32 v80, v81, 16, 1
	v_add3_u32 v80, v81, v80, s38
                                        ; implicit-def: $vgpr81
; %bb.131:                              ;   in Loop: Header=BB341_9 Depth=1
	s_andn2_saveexec_b64 s[14:15], s[0:1]
; %bb.132:                              ;   in Loop: Header=BB341_9 Depth=1
	v_or_b32_e32 v80, 0x10000, v81
	v_cmp_eq_u32_sdwa s[0:1], v81, v3 src0_sel:WORD_0 src1_sel:DWORD
	s_nop 1
	v_cndmask_b32_e64 v80, v80, v81, s[0:1]
; %bb.133:                              ;   in Loop: Header=BB341_9 Depth=1
	s_or_b64 exec, exec, s[14:15]
	v_lshrrev_b32_e32 v9, 24, v9
	v_cvt_f32_fp8_sdwa v9, v9 src0_sel:BYTE_0
	s_nop 0
	v_mul_f32_e32 v81, s35, v9
	v_and_b32_e32 v9, 0x7f800000, v81
	v_cmp_ne_u32_e64 s[0:1], s37, v9
                                        ; implicit-def: $vgpr9
	s_and_saveexec_b64 s[14:15], s[0:1]
	s_xor_b64 s[0:1], exec, s[14:15]
; %bb.134:                              ;   in Loop: Header=BB341_9 Depth=1
	v_bfe_u32 v9, v81, 16, 1
	v_add3_u32 v9, v81, v9, s38
                                        ; implicit-def: $vgpr81
; %bb.135:                              ;   in Loop: Header=BB341_9 Depth=1
	s_andn2_saveexec_b64 s[14:15], s[0:1]
; %bb.136:                              ;   in Loop: Header=BB341_9 Depth=1
	v_or_b32_e32 v9, 0x10000, v81
	v_cmp_eq_u32_sdwa s[0:1], v81, v3 src0_sel:WORD_0 src1_sel:DWORD
	s_nop 1
	v_cndmask_b32_e64 v9, v9, v81, s[0:1]
; %bb.137:                              ;   in Loop: Header=BB341_9 Depth=1
	s_or_b64 exec, exec, s[14:15]
	v_and_b32_e32 v55, 0xffff0000, v55
	v_and_b32_e32 v56, 0xffff0000, v56
	;; [unrolled: 1-line block ×3, first 2 shown]
	v_mul_f32_e32 v55, v17, v55
	v_and_b32_e32 v57, 0xffff0000, v57
	v_and_b32_e32 v52, 0xffff0000, v52
	v_fmac_f32_e32 v55, v12, v51
	v_mul_f32_e32 v51, v19, v56
	v_and_b32_e32 v60, 0xffff0000, v60
	v_and_b32_e32 v59, 0xffff0000, v59
	v_and_b32_e32 v58, 0xffff0000, v58
	v_and_b32_e32 v53, 0xffff0000, v53
	v_fmac_f32_e32 v51, v13, v52
	v_mul_f32_e32 v52, v20, v57
	v_and_b32_e32 v64, 0xffff0000, v64
	v_and_b32_e32 v63, 0xffff0000, v63
	;; [unrolled: 1-line block ×4, first 2 shown]
	v_fmac_f32_e32 v52, v15, v53
	v_mul_f32_e32 v53, v21, v58
	v_fmac_f32_e32 v55, v22, v59
	v_fmac_f32_e32 v51, v23, v60
	v_and_b32_e32 v68, 0xffff0000, v68
	v_and_b32_e32 v67, 0xffff0000, v67
	v_and_b32_e32 v65, 0xffff0000, v65
	v_and_b32_e32 v62, 0xffff0000, v62
	v_fmac_f32_e32 v53, v16, v54
	v_fmac_f32_e32 v52, v24, v61
	v_fmac_f32_e32 v55, v26, v63
	v_fmac_f32_e32 v51, v27, v64
	v_and_b32_e32 v72, 0xffff0000, v72
	v_and_b32_e32 v71, 0xffff0000, v71
	v_and_b32_e32 v69, 0xffff0000, v69
	v_and_b32_e32 v66, 0xffff0000, v66
	v_fmac_f32_e32 v53, v25, v62
	v_fmac_f32_e32 v52, v28, v65
	;; [unrolled: 8-line block ×4, first 2 shown]
	v_fmac_f32_e32 v55, v38, v75
	v_fmac_f32_e32 v51, v39, v76
	v_and_b32_e32 v78, 0xffff0000, v78
	v_and_b32_e32 v80, 0xffff0000, v80
	v_fmac_f32_e32 v53, v37, v74
	v_fmac_f32_e32 v52, v40, v77
	v_fmac_f32_e32 v55, v43, v8
	v_fmac_f32_e32 v51, v44, v79
	v_and_b32_e32 v9, 0xffff0000, v9
	v_fmac_f32_e32 v53, v41, v78
	v_fmac_f32_e32 v52, v45, v80
	v_add_f32_e32 v8, v55, v51
	v_fmac_f32_e32 v53, v46, v9
	v_add_f32_e32 v8, v8, v52
	v_add_f32_e32 v8, v8, v53
	ds_bpermute_b32 v9, v47, v8
	s_and_saveexec_b64 s[14:15], vcc
	s_cbranch_execz .LBB341_8
; %bb.138:                              ;   in Loop: Header=BB341_9 Depth=1
	v_add_u32_e32 v51, s36, v48
	v_cvt_f32_i32_e32 v51, v51
	s_waitcnt lgkmcnt(0)
	v_add_f32_e32 v8, v8, v9
	v_cmp_gt_i32_e64 s[0:1], s17, v48
	v_max_f32_e32 v9, v42, v42
	v_mul_f32_e32 v51, s28, v51
	v_cndmask_b32_e64 v51, 0, v51, s[2:3]
	v_fmac_f32_e32 v51, s29, v8
	v_cndmask_b32_e64 v8, 0, v51, s[0:1]
	ds_write_b32 v49, v8
	v_max_f32_e32 v8, v9, v51
	v_cndmask_b32_e64 v42, v42, v8, s[0:1]
	s_branch .LBB341_8
.LBB341_139:
	s_or_b64 exec, exec, s[8:9]
.LBB341_140:
	s_or_b64 exec, exec, s[30:31]
	v_xor_b32_e32 v2, 32, v10
	v_cmp_lt_i32_e32 vcc, v2, v11
	v_xor_b32_e32 v5, 16, v10
	v_max_f32_e32 v4, v42, v42
	v_cndmask_b32_e32 v2, v10, v2, vcc
	v_lshlrev_b32_e32 v2, 2, v2
	ds_bpermute_b32 v3, v2, v42
	v_cmp_lt_i32_e32 vcc, v5, v11
	v_xor_b32_e32 v6, 8, v10
	v_xor_b32_e32 v7, 4, v10
	;; [unrolled: 1-line block ×3, first 2 shown]
	s_waitcnt lgkmcnt(0)
	v_max_f32_e32 v3, v3, v3
	v_max_f32_e32 v4, v4, v3
	v_cndmask_b32_e32 v3, v10, v5, vcc
	v_lshlrev_b32_e32 v3, 2, v3
	ds_bpermute_b32 v5, v3, v4
	v_cmp_lt_i32_e32 vcc, v6, v11
	v_and_b32_e32 v20, 63, v0
	s_waitcnt lgkmcnt(0)
	v_max_f32_e32 v5, v5, v5
	v_max_f32_e32 v5, v4, v5
	v_cndmask_b32_e32 v4, v10, v6, vcc
	v_lshlrev_b32_e32 v4, 2, v4
	ds_bpermute_b32 v6, v4, v5
	v_cmp_lt_i32_e32 vcc, v7, v11
	s_waitcnt lgkmcnt(0)
	v_max_f32_e32 v6, v6, v6
	v_max_f32_e32 v6, v5, v6
	v_cndmask_b32_e32 v5, v10, v7, vcc
	v_lshlrev_b32_e32 v5, 2, v5
	ds_bpermute_b32 v7, v5, v6
	v_cmp_lt_i32_e32 vcc, v8, v11
	s_waitcnt lgkmcnt(0)
	v_max_f32_e32 v7, v7, v7
	v_max_f32_e32 v7, v6, v7
	v_cndmask_b32_e32 v6, v10, v8, vcc
	v_lshlrev_b32_e32 v21, 2, v6
	ds_bpermute_b32 v8, v21, v7
	v_cmp_eq_u32_e32 vcc, 0, v20
	v_lshlrev_b32_e32 v6, 2, v1
	s_and_saveexec_b64 s[0:1], vcc
	s_cbranch_execz .LBB341_142
; %bb.141:
	s_waitcnt lgkmcnt(0)
	v_max_f32_e32 v8, v8, v8
	v_max_f32_e32 v7, v7, v7
	;; [unrolled: 1-line block ×3, first 2 shown]
	ds_write_b32 v6, v7 offset:128
.LBB341_142:
	s_or_b64 exec, exec, s[0:1]
	v_cmp_gt_u32_e64 s[0:1], 2, v20
	s_waitcnt lgkmcnt(0)
	v_mov_b32_e32 v8, 0xff7fffff
	v_lshlrev_b32_e32 v7, 2, v20
	s_barrier
	s_and_saveexec_b64 s[2:3], s[0:1]
	s_cbranch_execz .LBB341_144
; %bb.143:
	ds_read_b32 v8, v7 offset:128
.LBB341_144:
	s_or_b64 exec, exec, s[2:3]
	v_xor_b32_e32 v9, 1, v10
	v_cmp_lt_i32_e64 s[2:3], v9, v11
	s_nop 1
	v_cndmask_b32_e64 v9, v10, v9, s[2:3]
	v_lshlrev_b32_e32 v22, 2, v9
	s_waitcnt lgkmcnt(0)
	ds_bpermute_b32 v9, v22, v8
	v_max_f32_e32 v8, v8, v8
	v_lshlrev_b32_e32 v10, 2, v10
	s_lshl_b32 s2, s19, 5
	s_min_i32 s30, s2, s17
	s_waitcnt lgkmcnt(0)
	v_max_f32_e32 v9, v9, v9
	v_max_f32_e32 v9, v8, v9
	v_and_b32_e32 v8, 0xffffff00, v10
	ds_bpermute_b32 v10, v8, v9
	v_cmp_gt_i32_e64 s[2:3], s30, v0
	v_mov_b32_e32 v9, 0
	s_and_saveexec_b64 s[14:15], s[2:3]
	s_cbranch_execz .LBB341_148
; %bb.145:
	v_mov_b32_e32 v9, 0x90
	v_lshl_add_u32 v11, v0, 2, v9
	s_mov_b64 s[28:29], 0
	v_mov_b32_e32 v9, 0
	v_mov_b32_e32 v12, v0
.LBB341_146:                            ; =>This Inner Loop Header: Depth=1
	ds_read_b32 v13, v11
	v_add_u32_e32 v12, 0x80, v12
	v_cmp_le_i32_e64 s[8:9], s30, v12
	s_or_b64 s[28:29], s[8:9], s[28:29]
	s_waitcnt lgkmcnt(0)
	v_sub_f32_e32 v13, v13, v10
	v_mul_f32_e32 v13, 0x3fb8aa3b, v13
	v_exp_f32_e32 v13, v13
	ds_write_b32 v11, v13
	v_add_f32_e32 v9, v9, v13
	v_add_u32_e32 v11, 0x200, v11
	s_andn2_b64 exec, exec, s[28:29]
	s_cbranch_execnz .LBB341_146
; %bb.147:
	s_or_b64 exec, exec, s[28:29]
.LBB341_148:
	s_or_b64 exec, exec, s[14:15]
	ds_bpermute_b32 v2, v2, v9
	s_waitcnt lgkmcnt(0)
	v_add_f32_e32 v2, v9, v2
	ds_bpermute_b32 v3, v3, v2
	s_waitcnt lgkmcnt(0)
	v_add_f32_e32 v2, v2, v3
	;; [unrolled: 3-line block ×6, first 2 shown]
	s_and_saveexec_b64 s[8:9], vcc
	s_cbranch_execz .LBB341_150
; %bb.149:
	ds_write_b32 v6, v2 offset:136
.LBB341_150:
	s_or_b64 exec, exec, s[8:9]
	s_waitcnt lgkmcnt(0)
	s_barrier
	s_and_saveexec_b64 s[8:9], s[0:1]
	s_cbranch_execz .LBB341_152
; %bb.151:
	ds_read_b32 v2, v7 offset:136
.LBB341_152:
	s_or_b64 exec, exec, s[8:9]
	s_waitcnt lgkmcnt(0)
	ds_bpermute_b32 v3, v22, v2
	s_waitcnt lgkmcnt(0)
	v_add_f32_e32 v2, v2, v3
	ds_bpermute_b32 v2, v8, v2
	s_and_saveexec_b64 s[0:1], s[2:3]
	s_cbranch_execz .LBB341_165
; %bb.153:
	s_waitcnt lgkmcnt(0)
	v_add_f32_e32 v2, 0x358637bd, v2
	v_div_scale_f32 v3, s[2:3], v2, v2, 1.0
	v_rcp_f32_e32 v4, v3
	v_div_scale_f32 v5, vcc, 1.0, v2, 1.0
	s_movk_i32 s2, 0x7f
	v_fma_f32 v6, -v3, v4, 1.0
	v_fmac_f32_e32 v4, v6, v4
	v_mul_f32_e32 v6, v5, v4
	v_fma_f32 v7, -v3, v6, v5
	v_fmac_f32_e32 v6, v7, v4
	v_fma_f32 v3, -v3, v6, v5
	v_div_fmas_f32 v3, v3, v4, v6
	v_xad_u32 v4, v0, -1, s30
	v_div_fixup_f32 v2, v3, v2, 1.0
	v_cmp_lt_u32_e32 vcc, s2, v4
	s_mov_b64 s[8:9], -1
	v_mov_b32_e32 v3, v0
	s_and_saveexec_b64 s[2:3], vcc
	s_cbranch_execz .LBB341_162
; %bb.154:
	v_lshrrev_b32_e32 v4, 7, v4
	v_add_u32_e32 v6, -1, v4
	v_lshrrev_b32_e32 v5, 1, v6
	v_mov_b32_e32 v3, v2
	v_add_u32_e32 v5, 1, v5
	v_cmp_lt_u32_e32 vcc, 13, v6
	v_mov_b32_e32 v8, 0
	s_and_saveexec_b64 s[8:9], vcc
	s_cbranch_execz .LBB341_158
; %bb.155:
	v_mov_b32_e32 v7, 0x90
	v_and_b32_e32 v6, -8, v5
	v_lshl_add_u32 v7, v0, 2, v7
	s_mov_b32 s28, 0
	s_mov_b64 s[14:15], 0
.LBB341_156:                            ; =>This Inner Loop Header: Depth=1
	ds_read2st64_b32 v[8:9], v7 offset1:2
	ds_read2st64_b32 v[10:11], v7 offset0:4 offset1:6
	ds_read2st64_b32 v[12:13], v7 offset0:8 offset1:10
	;; [unrolled: 1-line block ×3, first 2 shown]
	v_add_u32_e32 v6, -8, v6
	s_waitcnt lgkmcnt(3)
	v_pk_mul_f32 v[8:9], v[2:3], v[8:9]
	s_waitcnt lgkmcnt(2)
	v_pk_mul_f32 v[10:11], v[2:3], v[10:11]
	ds_write2st64_b32 v7, v8, v9 offset1:2
	ds_write2st64_b32 v7, v10, v11 offset0:4 offset1:6
	ds_read2st64_b32 v[10:11], v7 offset0:16 offset1:18
	s_waitcnt lgkmcnt(4)
	v_pk_mul_f32 v[8:9], v[2:3], v[12:13]
	ds_write2st64_b32 v7, v8, v9 offset0:8 offset1:10
	s_waitcnt lgkmcnt(4)
	v_pk_mul_f32 v[8:9], v[2:3], v[16:17]
	ds_write2st64_b32 v7, v8, v9 offset0:12 offset1:14
	ds_read2st64_b32 v[8:9], v7 offset0:20 offset1:22
	s_waitcnt lgkmcnt(3)
	v_pk_mul_f32 v[10:11], v[2:3], v[10:11]
	ds_read2st64_b32 v[12:13], v7 offset0:24 offset1:26
	ds_write2st64_b32 v7, v10, v11 offset0:16 offset1:18
	ds_read2st64_b32 v[10:11], v7 offset0:28 offset1:30
	s_waitcnt lgkmcnt(3)
	v_pk_mul_f32 v[8:9], v[2:3], v[8:9]
	ds_write2st64_b32 v7, v8, v9 offset0:20 offset1:22
	s_waitcnt lgkmcnt(3)
	v_pk_mul_f32 v[8:9], v[2:3], v[12:13]
	ds_write2st64_b32 v7, v8, v9 offset0:24 offset1:26
	s_waitcnt lgkmcnt(2)
	v_pk_mul_f32 v[8:9], v[2:3], v[10:11]
	s_add_i32 s28, s28, 16
	v_cmp_eq_u32_e32 vcc, 0, v6
	ds_write2st64_b32 v7, v8, v9 offset0:28 offset1:30
	v_add_u32_e32 v7, 0x2000, v7
	s_or_b64 s[14:15], vcc, s[14:15]
	v_mov_b32_e32 v8, s28
	s_andn2_b64 exec, exec, s[14:15]
	s_cbranch_execnz .LBB341_156
; %bb.157:
	s_or_b64 exec, exec, s[14:15]
.LBB341_158:
	s_or_b64 exec, exec, s[8:9]
	v_and_b32_e32 v5, 7, v5
	v_cmp_ne_u32_e32 vcc, 0, v5
	s_and_saveexec_b64 s[8:9], vcc
	s_cbranch_execz .LBB341_161
; %bb.159:
	v_lshlrev_b32_e32 v6, 9, v8
	v_lshlrev_b32_e32 v7, 2, v0
	s_movk_i32 s14, 0x90
	v_add3_u32 v6, v6, v7, s14
	s_mov_b64 s[14:15], 0
.LBB341_160:                            ; =>This Inner Loop Header: Depth=1
	ds_read2st64_b32 v[8:9], v6 offset1:2
	v_add_u32_e32 v5, -1, v5
	v_cmp_eq_u32_e32 vcc, 0, v5
	s_or_b64 s[14:15], vcc, s[14:15]
	s_waitcnt lgkmcnt(0)
	v_pk_mul_f32 v[8:9], v[2:3], v[8:9]
	ds_write2st64_b32 v6, v8, v9 offset1:2
	v_add_u32_e32 v6, 0x400, v6
	s_andn2_b64 exec, exec, s[14:15]
	s_cbranch_execnz .LBB341_160
.LBB341_161:
	s_or_b64 exec, exec, s[8:9]
	v_add_u32_e32 v4, 1, v4
	v_and_b32_e32 v5, 0x3fffffe, v4
	v_cmp_ne_u32_e32 vcc, v4, v5
	v_lshl_add_u32 v3, v5, 7, v0
	s_orn2_b64 s[8:9], vcc, exec
.LBB341_162:
	s_or_b64 exec, exec, s[2:3]
	s_and_b64 exec, exec, s[8:9]
	s_cbranch_execz .LBB341_165
; %bb.163:
	v_mov_b32_e32 v4, 0x90
	v_lshl_add_u32 v4, v3, 2, v4
	s_mov_b64 s[2:3], 0
.LBB341_164:                            ; =>This Inner Loop Header: Depth=1
	ds_read_b32 v5, v4
	v_add_u32_e32 v3, 0x80, v3
	v_cmp_le_i32_e32 vcc, s30, v3
	s_or_b64 s[2:3], vcc, s[2:3]
	s_waitcnt lgkmcnt(0)
	v_mul_f32_e32 v5, v2, v5
	ds_write_b32 v4, v5
	v_add_u32_e32 v4, 0x200, v4
	s_andn2_b64 exec, exec, s[2:3]
	s_cbranch_execnz .LBB341_164
.LBB341_165:
	s_or_b64 exec, exec, s[0:1]
	v_mov_b32_e32 v11, 0
	v_and_b32_e32 v23, 3, v0
	v_mov_b32_e32 v10, 0
	v_mov_b32_e32 v13, 0
	;; [unrolled: 1-line block ×3, first 2 shown]
	s_waitcnt lgkmcnt(0)
	s_barrier
	s_and_saveexec_b64 s[2:3], s[6:7]
	s_cbranch_execz .LBB341_465
; %bb.166:
	s_ashr_i32 s1, s33, 31
	s_add_u32 s0, s26, s33
	v_and_b32_e32 v2, 24, v14
	s_addc_u32 s1, s27, s1
	s_load_dword s10, s[10:11], 0x0
	v_and_b32_e32 v14, 0x1f8, v14
	v_mov_b32_e32 v15, 0
	s_add_i32 s11, s19, -1
	v_lshl_add_u64 v[16:17], s[0:1], 0, v[14:15]
	v_lshlrev_b32_e32 v3, 5, v1
	s_lshl_b64 s[0:1], s[24:25], 2
	v_or3_b32 v24, v3, v2, 7
	v_lshlrev_b32_e32 v2, 5, v23
	s_add_u32 s0, s22, s0
	v_lshl_or_b32 v2, v1, 7, v2
	v_and_b32_e32 v14, 60, v18
	s_addc_u32 s1, s23, s1
	v_add_u32_e32 v25, 0x90, v2
	v_lshl_add_u64 v[18:19], s[0:1], 0, v[14:15]
	s_mov_b64 s[6:7], 0
	s_mov_b32 s14, 0x7f800000
	s_movk_i32 s15, 0x7fff
	v_mov_b32_e32 v12, 0
	v_mov_b32_e32 v13, 0
	;; [unrolled: 1-line block ×4, first 2 shown]
	s_branch .LBB341_168
.LBB341_167:                            ;   in Loop: Header=BB341_168 Depth=1
	s_or_b64 exec, exec, s[0:1]
	v_and_b32_e32 v37, 0xffff0000, v9
	v_and_b32_e32 v36, 0xffff0000, v7
	;; [unrolled: 1-line block ×8, first 2 shown]
	v_pk_add_f32 v[6:7], v[6:7], v[36:37]
	v_pk_add_f32 v[8:9], v[26:27], v[34:35]
	v_add_f32_e32 v6, v6, v7
	v_add_f32_e32 v6, v6, v8
	v_add_f32_e32 v6, v6, v9
	v_and_b32_e32 v27, 0xffff0000, v47
	v_and_b32_e32 v26, 0xffff0000, v45
	v_and_b32_e32 v35, 0xffff0000, v46
	v_and_b32_e32 v34, 0xffff0000, v44
	v_add_f32_e32 v12, v12, v6
	v_and_b32_e32 v7, 0xffff0000, v51
	v_and_b32_e32 v6, 0xffff0000, v49
	v_and_b32_e32 v9, 0xffff0000, v50
	v_and_b32_e32 v8, 0xffff0000, v48
	v_pk_add_f32 v[26:27], v[34:35], v[26:27]
	v_pk_add_f32 v[6:7], v[8:9], v[6:7]
	v_add_f32_e32 v8, v26, v27
	v_add_f32_e32 v6, v8, v6
	v_add_f32_e32 v6, v6, v7
	v_and_b32_e32 v27, 0xffff0000, v53
	v_and_b32_e32 v26, 0xffff0000, v5
	v_and_b32_e32 v5, 0xffff0000, v52
	v_and_b32_e32 v4, 0xffff0000, v4
	v_add_f32_e32 v13, v13, v6
	v_and_b32_e32 v7, 0xffff0000, v57
	v_and_b32_e32 v6, 0xffff0000, v55
	v_and_b32_e32 v9, 0xffff0000, v56
	v_and_b32_e32 v8, 0xffff0000, v54
	;; [unrolled: 14-line block ×3, first 2 shown]
	v_pk_add_f32 v[2:3], v[2:3], v[8:9]
	v_pk_add_f32 v[4:5], v[6:7], v[4:5]
	v_add_f32_e32 v2, v2, v3
	v_add_f32_e32 v2, v2, v4
	v_add_u32_e32 v1, 2, v1
	v_add_f32_e32 v2, v2, v5
	v_cmp_le_i32_e32 vcc, s19, v1
	v_add_f32_e32 v11, v11, v2
	v_add_u32_e32 v24, 64, v24
	v_add_u32_e32 v25, 0x100, v25
	s_or_b64 s[6:7], vcc, s[6:7]
	v_lshl_add_u64 v[18:19], v[18:19], 0, 8
	s_andn2_b64 exec, exec, s[6:7]
	s_cbranch_execz .LBB341_464
.LBB341_168:                            ; =>This Inner Loop Header: Depth=1
	global_load_dword v28, v[18:19], off
	ds_read2_b64 v[6:9], v25 offset1:1
	ds_read2_b64 v[2:5], v25 offset0:2 offset1:3
                                        ; implicit-def: $vgpr36
	s_waitcnt lgkmcnt(0)
	v_and_b32_e32 v14, 0x7f800000, v6
	v_cmp_ne_u32_e32 vcc, s14, v14
	s_and_saveexec_b64 s[0:1], vcc
	s_xor_b64 s[0:1], exec, s[0:1]
; %bb.169:                              ;   in Loop: Header=BB341_168 Depth=1
	v_bfe_u32 v14, v6, 16, 1
	v_add3_u32 v36, v6, v14, s15
; %bb.170:                              ;   in Loop: Header=BB341_168 Depth=1
	s_andn2_saveexec_b64 s[0:1], s[0:1]
; %bb.171:                              ;   in Loop: Header=BB341_168 Depth=1
	v_or_b32_e32 v14, 0x10000, v6
	v_cmp_eq_u32_sdwa vcc, v6, v15 src0_sel:WORD_0 src1_sel:DWORD
	s_nop 1
	v_cndmask_b32_e32 v36, v14, v6, vcc
; %bb.172:                              ;   in Loop: Header=BB341_168 Depth=1
	s_or_b64 exec, exec, s[0:1]
	v_and_b32_e32 v6, 0x7f800000, v7
	v_cmp_ne_u32_e32 vcc, s14, v6
                                        ; implicit-def: $vgpr37
	s_and_saveexec_b64 s[0:1], vcc
	s_xor_b64 s[0:1], exec, s[0:1]
; %bb.173:                              ;   in Loop: Header=BB341_168 Depth=1
	v_bfe_u32 v6, v7, 16, 1
	v_add3_u32 v37, v7, v6, s15
; %bb.174:                              ;   in Loop: Header=BB341_168 Depth=1
	s_andn2_saveexec_b64 s[0:1], s[0:1]
; %bb.175:                              ;   in Loop: Header=BB341_168 Depth=1
	v_or_b32_e32 v6, 0x10000, v7
	v_cmp_eq_u32_sdwa vcc, v7, v15 src0_sel:WORD_0 src1_sel:DWORD
	s_nop 1
	v_cndmask_b32_e32 v37, v6, v7, vcc
; %bb.176:                              ;   in Loop: Header=BB341_168 Depth=1
	s_or_b64 exec, exec, s[0:1]
	v_and_b32_e32 v6, 0x7f800000, v8
	v_cmp_ne_u32_e32 vcc, s14, v6
                                        ; implicit-def: $vgpr38
	s_and_saveexec_b64 s[0:1], vcc
	s_xor_b64 s[0:1], exec, s[0:1]
; %bb.177:                              ;   in Loop: Header=BB341_168 Depth=1
	v_bfe_u32 v6, v8, 16, 1
	v_add3_u32 v38, v8, v6, s15
; %bb.178:                              ;   in Loop: Header=BB341_168 Depth=1
	s_andn2_saveexec_b64 s[0:1], s[0:1]
; %bb.179:                              ;   in Loop: Header=BB341_168 Depth=1
	v_or_b32_e32 v6, 0x10000, v8
	v_cmp_eq_u32_sdwa vcc, v8, v15 src0_sel:WORD_0 src1_sel:DWORD
	s_nop 1
	v_cndmask_b32_e32 v38, v6, v8, vcc
; %bb.180:                              ;   in Loop: Header=BB341_168 Depth=1
	s_or_b64 exec, exec, s[0:1]
	v_and_b32_e32 v6, 0x7f800000, v9
	v_cmp_ne_u32_e32 vcc, s14, v6
                                        ; implicit-def: $vgpr39
	s_and_saveexec_b64 s[0:1], vcc
	s_xor_b64 s[0:1], exec, s[0:1]
; %bb.181:                              ;   in Loop: Header=BB341_168 Depth=1
	v_bfe_u32 v6, v9, 16, 1
	v_add3_u32 v39, v9, v6, s15
                                        ; implicit-def: $vgpr6_vgpr7_vgpr8_vgpr9
; %bb.182:                              ;   in Loop: Header=BB341_168 Depth=1
	s_andn2_saveexec_b64 s[0:1], s[0:1]
; %bb.183:                              ;   in Loop: Header=BB341_168 Depth=1
	v_or_b32_e32 v6, 0x10000, v9
	v_cmp_eq_u32_sdwa vcc, v9, v15 src0_sel:WORD_0 src1_sel:DWORD
	s_nop 1
	v_cndmask_b32_e32 v39, v6, v9, vcc
; %bb.184:                              ;   in Loop: Header=BB341_168 Depth=1
	s_or_b64 exec, exec, s[0:1]
	v_and_b32_e32 v6, 0x7f800000, v2
	v_cmp_ne_u32_e32 vcc, s14, v6
                                        ; implicit-def: $vgpr14
	s_and_saveexec_b64 s[0:1], vcc
	s_xor_b64 s[0:1], exec, s[0:1]
; %bb.185:                              ;   in Loop: Header=BB341_168 Depth=1
	v_bfe_u32 v6, v2, 16, 1
	v_add3_u32 v14, v2, v6, s15
; %bb.186:                              ;   in Loop: Header=BB341_168 Depth=1
	s_andn2_saveexec_b64 s[0:1], s[0:1]
; %bb.187:                              ;   in Loop: Header=BB341_168 Depth=1
	v_or_b32_e32 v6, 0x10000, v2
	v_cmp_eq_u32_sdwa vcc, v2, v15 src0_sel:WORD_0 src1_sel:DWORD
	s_nop 1
	v_cndmask_b32_e32 v14, v6, v2, vcc
; %bb.188:                              ;   in Loop: Header=BB341_168 Depth=1
	s_or_b64 exec, exec, s[0:1]
	v_and_b32_e32 v2, 0x7f800000, v3
	v_cmp_ne_u32_e32 vcc, s14, v2
                                        ; implicit-def: $vgpr26
	s_and_saveexec_b64 s[0:1], vcc
	s_xor_b64 s[0:1], exec, s[0:1]
; %bb.189:                              ;   in Loop: Header=BB341_168 Depth=1
	v_bfe_u32 v2, v3, 16, 1
	v_add3_u32 v26, v3, v2, s15
; %bb.190:                              ;   in Loop: Header=BB341_168 Depth=1
	s_andn2_saveexec_b64 s[0:1], s[0:1]
; %bb.191:                              ;   in Loop: Header=BB341_168 Depth=1
	v_or_b32_e32 v2, 0x10000, v3
	v_cmp_eq_u32_sdwa vcc, v3, v15 src0_sel:WORD_0 src1_sel:DWORD
	s_nop 1
	v_cndmask_b32_e32 v26, v2, v3, vcc
; %bb.192:                              ;   in Loop: Header=BB341_168 Depth=1
	s_or_b64 exec, exec, s[0:1]
	v_and_b32_e32 v2, 0x7f800000, v4
	v_cmp_ne_u32_e32 vcc, s14, v2
                                        ; implicit-def: $vgpr27
	s_and_saveexec_b64 s[0:1], vcc
	s_xor_b64 s[0:1], exec, s[0:1]
; %bb.193:                              ;   in Loop: Header=BB341_168 Depth=1
	v_bfe_u32 v2, v4, 16, 1
	v_add3_u32 v27, v4, v2, s15
; %bb.194:                              ;   in Loop: Header=BB341_168 Depth=1
	s_andn2_saveexec_b64 s[0:1], s[0:1]
; %bb.195:                              ;   in Loop: Header=BB341_168 Depth=1
	v_or_b32_e32 v2, 0x10000, v4
	v_cmp_eq_u32_sdwa vcc, v4, v15 src0_sel:WORD_0 src1_sel:DWORD
	s_nop 1
	v_cndmask_b32_e32 v27, v2, v4, vcc
; %bb.196:                              ;   in Loop: Header=BB341_168 Depth=1
	s_or_b64 exec, exec, s[0:1]
	v_and_b32_e32 v2, 0x7f800000, v5
	v_cmp_ne_u32_e32 vcc, s14, v2
                                        ; implicit-def: $vgpr35
	s_and_saveexec_b64 s[0:1], vcc
	s_xor_b64 s[0:1], exec, s[0:1]
; %bb.197:                              ;   in Loop: Header=BB341_168 Depth=1
	v_bfe_u32 v2, v5, 16, 1
	v_add3_u32 v35, v5, v2, s15
                                        ; implicit-def: $vgpr2_vgpr3_vgpr4_vgpr5
; %bb.198:                              ;   in Loop: Header=BB341_168 Depth=1
	s_andn2_saveexec_b64 s[0:1], s[0:1]
; %bb.199:                              ;   in Loop: Header=BB341_168 Depth=1
	v_or_b32_e32 v2, 0x10000, v5
	v_cmp_eq_u32_sdwa vcc, v5, v15 src0_sel:WORD_0 src1_sel:DWORD
	s_nop 1
	v_cndmask_b32_e32 v35, v2, v5, vcc
; %bb.200:                              ;   in Loop: Header=BB341_168 Depth=1
	s_or_b64 exec, exec, s[0:1]
	s_waitcnt vmcnt(0)
	v_mad_i64_i32 v[2:3], s[0:1], v28, s13, v[16:17]
	global_load_dwordx2 v[4:5], v[2:3], off
	s_waitcnt vmcnt(0)
	v_and_b32_e32 v6, 0xff, v4
	v_cvt_f32_fp8_sdwa v6, v6 src0_sel:BYTE_0
	s_nop 0
	v_mul_f32_e32 v7, s10, v6
	v_and_b32_e32 v6, 0x7f800000, v7
	v_cmp_ne_u32_e32 vcc, s14, v6
                                        ; implicit-def: $vgpr6
	s_and_saveexec_b64 s[0:1], vcc
	s_xor_b64 s[0:1], exec, s[0:1]
; %bb.201:                              ;   in Loop: Header=BB341_168 Depth=1
	v_bfe_u32 v6, v7, 16, 1
	v_add3_u32 v6, v7, v6, s15
                                        ; implicit-def: $vgpr7
; %bb.202:                              ;   in Loop: Header=BB341_168 Depth=1
	s_andn2_saveexec_b64 s[0:1], s[0:1]
; %bb.203:                              ;   in Loop: Header=BB341_168 Depth=1
	v_or_b32_e32 v6, 0x10000, v7
	v_cmp_eq_u32_sdwa vcc, v7, v15 src0_sel:WORD_0 src1_sel:DWORD
	s_nop 1
	v_cndmask_b32_e32 v6, v6, v7, vcc
; %bb.204:                              ;   in Loop: Header=BB341_168 Depth=1
	s_or_b64 exec, exec, s[0:1]
	v_bfe_u32 v7, v4, 8, 8
	v_cvt_f32_fp8_sdwa v7, v7 src0_sel:BYTE_0
	s_nop 0
	v_mul_f32_e32 v8, s10, v7
	v_and_b32_e32 v7, 0x7f800000, v8
	v_cmp_ne_u32_e32 vcc, s14, v7
                                        ; implicit-def: $vgpr7
	s_and_saveexec_b64 s[0:1], vcc
	s_xor_b64 s[0:1], exec, s[0:1]
; %bb.205:                              ;   in Loop: Header=BB341_168 Depth=1
	v_bfe_u32 v7, v8, 16, 1
	v_add3_u32 v7, v8, v7, s15
                                        ; implicit-def: $vgpr8
; %bb.206:                              ;   in Loop: Header=BB341_168 Depth=1
	s_andn2_saveexec_b64 s[0:1], s[0:1]
; %bb.207:                              ;   in Loop: Header=BB341_168 Depth=1
	v_or_b32_e32 v7, 0x10000, v8
	v_cmp_eq_u32_sdwa vcc, v8, v15 src0_sel:WORD_0 src1_sel:DWORD
	s_nop 1
	v_cndmask_b32_e32 v7, v7, v8, vcc
; %bb.208:                              ;   in Loop: Header=BB341_168 Depth=1
	s_or_b64 exec, exec, s[0:1]
	v_bfe_u32 v8, v4, 16, 8
	v_cvt_f32_fp8_sdwa v8, v8 src0_sel:BYTE_0
	s_nop 0
	v_mul_f32_e32 v9, s10, v8
	v_and_b32_e32 v8, 0x7f800000, v9
	v_cmp_ne_u32_e32 vcc, s14, v8
                                        ; implicit-def: $vgpr8
	s_and_saveexec_b64 s[0:1], vcc
	s_xor_b64 s[0:1], exec, s[0:1]
; %bb.209:                              ;   in Loop: Header=BB341_168 Depth=1
	v_bfe_u32 v8, v9, 16, 1
	v_add3_u32 v8, v9, v8, s15
                                        ; implicit-def: $vgpr9
; %bb.210:                              ;   in Loop: Header=BB341_168 Depth=1
	s_andn2_saveexec_b64 s[0:1], s[0:1]
; %bb.211:                              ;   in Loop: Header=BB341_168 Depth=1
	v_or_b32_e32 v8, 0x10000, v9
	v_cmp_eq_u32_sdwa vcc, v9, v15 src0_sel:WORD_0 src1_sel:DWORD
	s_nop 1
	v_cndmask_b32_e32 v8, v8, v9, vcc
; %bb.212:                              ;   in Loop: Header=BB341_168 Depth=1
	s_or_b64 exec, exec, s[0:1]
	v_lshrrev_b32_e32 v4, 24, v4
	v_cvt_f32_fp8_sdwa v4, v4 src0_sel:BYTE_0
	s_nop 0
	v_mul_f32_e32 v9, s10, v4
	v_and_b32_e32 v4, 0x7f800000, v9
	v_cmp_ne_u32_e32 vcc, s14, v4
                                        ; implicit-def: $vgpr4
	s_and_saveexec_b64 s[0:1], vcc
	s_xor_b64 s[0:1], exec, s[0:1]
; %bb.213:                              ;   in Loop: Header=BB341_168 Depth=1
	v_bfe_u32 v4, v9, 16, 1
	v_add3_u32 v4, v9, v4, s15
                                        ; implicit-def: $vgpr9
; %bb.214:                              ;   in Loop: Header=BB341_168 Depth=1
	s_andn2_saveexec_b64 s[0:1], s[0:1]
; %bb.215:                              ;   in Loop: Header=BB341_168 Depth=1
	v_or_b32_e32 v4, 0x10000, v9
	v_cmp_eq_u32_sdwa vcc, v9, v15 src0_sel:WORD_0 src1_sel:DWORD
	s_nop 1
	v_cndmask_b32_e32 v4, v4, v9, vcc
; %bb.216:                              ;   in Loop: Header=BB341_168 Depth=1
	s_or_b64 exec, exec, s[0:1]
	v_and_b32_e32 v9, 0xff, v5
	v_cvt_f32_fp8_sdwa v9, v9 src0_sel:BYTE_0
	s_nop 0
	v_mul_f32_e32 v28, s10, v9
	v_and_b32_e32 v9, 0x7f800000, v28
	v_cmp_ne_u32_e32 vcc, s14, v9
                                        ; implicit-def: $vgpr9
	s_and_saveexec_b64 s[0:1], vcc
	s_xor_b64 s[0:1], exec, s[0:1]
; %bb.217:                              ;   in Loop: Header=BB341_168 Depth=1
	v_bfe_u32 v9, v28, 16, 1
	v_add3_u32 v9, v28, v9, s15
                                        ; implicit-def: $vgpr28
; %bb.218:                              ;   in Loop: Header=BB341_168 Depth=1
	s_andn2_saveexec_b64 s[0:1], s[0:1]
; %bb.219:                              ;   in Loop: Header=BB341_168 Depth=1
	v_or_b32_e32 v9, 0x10000, v28
	v_cmp_eq_u32_sdwa vcc, v28, v15 src0_sel:WORD_0 src1_sel:DWORD
	s_nop 1
	v_cndmask_b32_e32 v9, v9, v28, vcc
; %bb.220:                              ;   in Loop: Header=BB341_168 Depth=1
	s_or_b64 exec, exec, s[0:1]
	v_bfe_u32 v28, v5, 8, 8
	v_cvt_f32_fp8_sdwa v28, v28 src0_sel:BYTE_0
	s_nop 0
	v_mul_f32_e32 v28, s10, v28
	v_and_b32_e32 v29, 0x7f800000, v28
	v_cmp_ne_u32_e32 vcc, s14, v29
                                        ; implicit-def: $vgpr29
	s_and_saveexec_b64 s[0:1], vcc
	s_xor_b64 s[0:1], exec, s[0:1]
; %bb.221:                              ;   in Loop: Header=BB341_168 Depth=1
	v_bfe_u32 v29, v28, 16, 1
	v_add3_u32 v29, v28, v29, s15
                                        ; implicit-def: $vgpr28
; %bb.222:                              ;   in Loop: Header=BB341_168 Depth=1
	s_andn2_saveexec_b64 s[0:1], s[0:1]
; %bb.223:                              ;   in Loop: Header=BB341_168 Depth=1
	v_or_b32_e32 v29, 0x10000, v28
	v_cmp_eq_u32_sdwa vcc, v28, v15 src0_sel:WORD_0 src1_sel:DWORD
	s_nop 1
	v_cndmask_b32_e32 v29, v29, v28, vcc
; %bb.224:                              ;   in Loop: Header=BB341_168 Depth=1
	s_or_b64 exec, exec, s[0:1]
	v_bfe_u32 v28, v5, 16, 8
	v_cvt_f32_fp8_sdwa v28, v28 src0_sel:BYTE_0
	s_nop 0
	v_mul_f32_e32 v28, s10, v28
	v_and_b32_e32 v30, 0x7f800000, v28
	v_cmp_ne_u32_e32 vcc, s14, v30
                                        ; implicit-def: $vgpr30
	s_and_saveexec_b64 s[0:1], vcc
	s_xor_b64 s[0:1], exec, s[0:1]
; %bb.225:                              ;   in Loop: Header=BB341_168 Depth=1
	v_bfe_u32 v30, v28, 16, 1
	v_add3_u32 v30, v28, v30, s15
                                        ; implicit-def: $vgpr28
; %bb.226:                              ;   in Loop: Header=BB341_168 Depth=1
	s_andn2_saveexec_b64 s[0:1], s[0:1]
; %bb.227:                              ;   in Loop: Header=BB341_168 Depth=1
	v_or_b32_e32 v30, 0x10000, v28
	v_cmp_eq_u32_sdwa vcc, v28, v15 src0_sel:WORD_0 src1_sel:DWORD
	s_nop 1
	v_cndmask_b32_e32 v30, v30, v28, vcc
; %bb.228:                              ;   in Loop: Header=BB341_168 Depth=1
	s_or_b64 exec, exec, s[0:1]
	v_lshrrev_b32_e32 v5, 24, v5
	v_cvt_f32_fp8_sdwa v5, v5 src0_sel:BYTE_0
                                        ; implicit-def: $vgpr31
	s_nop 0
	v_mul_f32_e32 v5, s10, v5
	v_and_b32_e32 v28, 0x7f800000, v5
	v_cmp_ne_u32_e32 vcc, s14, v28
	s_and_saveexec_b64 s[0:1], vcc
	s_xor_b64 s[0:1], exec, s[0:1]
; %bb.229:                              ;   in Loop: Header=BB341_168 Depth=1
	v_bfe_u32 v28, v5, 16, 1
	v_add3_u32 v31, v5, v28, s15
                                        ; implicit-def: $vgpr5
; %bb.230:                              ;   in Loop: Header=BB341_168 Depth=1
	s_andn2_saveexec_b64 s[0:1], s[0:1]
; %bb.231:                              ;   in Loop: Header=BB341_168 Depth=1
	v_or_b32_e32 v28, 0x10000, v5
	v_cmp_eq_u32_sdwa vcc, v5, v15 src0_sel:WORD_0 src1_sel:DWORD
	s_nop 1
	v_cndmask_b32_e32 v31, v28, v5, vcc
; %bb.232:                              ;   in Loop: Header=BB341_168 Depth=1
	s_or_b64 exec, exec, s[0:1]
	v_cmp_eq_u32_e32 vcc, s11, v1
	v_add_u32_e32 v28, -7, v24
	v_lshrrev_b32_e32 v42, 16, v29
	v_lshrrev_b32_e32 v41, 16, v9
	;; [unrolled: 1-line block ×8, first 2 shown]
	v_add_u32_e32 v34, -6, v24
	v_add_u32_e32 v33, -5, v24
	;; [unrolled: 1-line block ×6, first 2 shown]
	s_and_saveexec_b64 s[8:9], vcc
	s_cbranch_execz .LBB341_234
; %bb.233:                              ;   in Loop: Header=BB341_168 Depth=1
	v_cmp_gt_i32_e64 s[0:1], s17, v28
	s_nop 1
	v_cndmask_b32_e64 v6, 0, v6, s[0:1]
	v_cmp_gt_i32_e64 s[0:1], s17, v34
	s_nop 1
	v_cndmask_b32_e64 v7, 0, v7, s[0:1]
	;; [unrolled: 3-line block ×8, first 2 shown]
.LBB341_234:                            ;   in Loop: Header=BB341_168 Depth=1
	s_or_b64 exec, exec, s[8:9]
	v_and_b32_e32 v36, 0xffff0000, v36
	v_lshlrev_b32_e32 v6, 16, v6
	v_mul_f32_e32 v40, v36, v6
	v_and_b32_e32 v6, 0x7f800000, v40
	v_cmp_ne_u32_e64 s[0:1], s14, v6
                                        ; implicit-def: $vgpr6
	s_and_saveexec_b64 s[8:9], s[0:1]
	s_xor_b64 s[0:1], exec, s[8:9]
; %bb.235:                              ;   in Loop: Header=BB341_168 Depth=1
	v_bfe_u32 v6, v40, 16, 1
	v_add3_u32 v6, v40, v6, s15
                                        ; implicit-def: $vgpr40
; %bb.236:                              ;   in Loop: Header=BB341_168 Depth=1
	s_andn2_saveexec_b64 s[8:9], s[0:1]
; %bb.237:                              ;   in Loop: Header=BB341_168 Depth=1
	v_or_b32_e32 v6, 0x10000, v40
	v_cmp_eq_u32_sdwa s[0:1], v40, v15 src0_sel:WORD_0 src1_sel:DWORD
	s_nop 1
	v_cndmask_b32_e64 v6, v6, v40, s[0:1]
; %bb.238:                              ;   in Loop: Header=BB341_168 Depth=1
	s_or_b64 exec, exec, s[8:9]
	v_and_b32_e32 v37, 0xffff0000, v37
	v_lshlrev_b32_e32 v7, 16, v7
	v_mul_f32_e32 v40, v37, v7
	v_and_b32_e32 v7, 0x7f800000, v40
	v_cmp_ne_u32_e64 s[0:1], s14, v7
                                        ; implicit-def: $vgpr7
	s_and_saveexec_b64 s[8:9], s[0:1]
	s_xor_b64 s[0:1], exec, s[8:9]
; %bb.239:                              ;   in Loop: Header=BB341_168 Depth=1
	v_bfe_u32 v7, v40, 16, 1
	v_add3_u32 v7, v40, v7, s15
                                        ; implicit-def: $vgpr40
; %bb.240:                              ;   in Loop: Header=BB341_168 Depth=1
	s_andn2_saveexec_b64 s[8:9], s[0:1]
; %bb.241:                              ;   in Loop: Header=BB341_168 Depth=1
	v_or_b32_e32 v7, 0x10000, v40
	v_cmp_eq_u32_sdwa s[0:1], v40, v15 src0_sel:WORD_0 src1_sel:DWORD
	s_nop 1
	v_cndmask_b32_e64 v7, v7, v40, s[0:1]
; %bb.242:                              ;   in Loop: Header=BB341_168 Depth=1
	s_or_b64 exec, exec, s[8:9]
	v_and_b32_e32 v38, 0xffff0000, v38
	v_lshlrev_b32_e32 v8, 16, v8
	v_mul_f32_e32 v40, v38, v8
	v_and_b32_e32 v8, 0x7f800000, v40
	v_cmp_ne_u32_e64 s[0:1], s14, v8
                                        ; implicit-def: $vgpr8
	s_and_saveexec_b64 s[8:9], s[0:1]
	s_xor_b64 s[0:1], exec, s[8:9]
; %bb.243:                              ;   in Loop: Header=BB341_168 Depth=1
	v_bfe_u32 v8, v40, 16, 1
	v_add3_u32 v8, v40, v8, s15
                                        ; implicit-def: $vgpr40
; %bb.244:                              ;   in Loop: Header=BB341_168 Depth=1
	s_andn2_saveexec_b64 s[8:9], s[0:1]
; %bb.245:                              ;   in Loop: Header=BB341_168 Depth=1
	v_or_b32_e32 v8, 0x10000, v40
	v_cmp_eq_u32_sdwa s[0:1], v40, v15 src0_sel:WORD_0 src1_sel:DWORD
	s_nop 1
	v_cndmask_b32_e64 v8, v8, v40, s[0:1]
; %bb.246:                              ;   in Loop: Header=BB341_168 Depth=1
	s_or_b64 exec, exec, s[8:9]
	v_and_b32_e32 v39, 0xffff0000, v39
	v_lshlrev_b32_e32 v9, 16, v9
	v_mul_f32_e32 v40, v39, v9
	v_and_b32_e32 v9, 0x7f800000, v40
	v_cmp_ne_u32_e64 s[0:1], s14, v9
                                        ; implicit-def: $vgpr9
	s_and_saveexec_b64 s[8:9], s[0:1]
	s_xor_b64 s[0:1], exec, s[8:9]
; %bb.247:                              ;   in Loop: Header=BB341_168 Depth=1
	v_bfe_u32 v9, v40, 16, 1
	v_add3_u32 v9, v40, v9, s15
                                        ; implicit-def: $vgpr40
; %bb.248:                              ;   in Loop: Header=BB341_168 Depth=1
	s_andn2_saveexec_b64 s[8:9], s[0:1]
; %bb.249:                              ;   in Loop: Header=BB341_168 Depth=1
	v_or_b32_e32 v9, 0x10000, v40
	v_cmp_eq_u32_sdwa s[0:1], v40, v15 src0_sel:WORD_0 src1_sel:DWORD
	s_nop 1
	v_cndmask_b32_e64 v9, v9, v40, s[0:1]
; %bb.250:                              ;   in Loop: Header=BB341_168 Depth=1
	s_or_b64 exec, exec, s[8:9]
	v_and_b32_e32 v40, 0xffff0000, v14
	v_lshlrev_b32_e32 v14, 16, v41
	v_mul_f32_e32 v41, v40, v14
	v_and_b32_e32 v14, 0x7f800000, v41
	v_cmp_ne_u32_e64 s[0:1], s14, v14
                                        ; implicit-def: $vgpr14
	s_and_saveexec_b64 s[8:9], s[0:1]
	s_xor_b64 s[0:1], exec, s[8:9]
; %bb.251:                              ;   in Loop: Header=BB341_168 Depth=1
	v_bfe_u32 v14, v41, 16, 1
	v_add3_u32 v14, v41, v14, s15
                                        ; implicit-def: $vgpr41
; %bb.252:                              ;   in Loop: Header=BB341_168 Depth=1
	s_andn2_saveexec_b64 s[8:9], s[0:1]
; %bb.253:                              ;   in Loop: Header=BB341_168 Depth=1
	v_or_b32_e32 v14, 0x10000, v41
	v_cmp_eq_u32_sdwa s[0:1], v41, v15 src0_sel:WORD_0 src1_sel:DWORD
	s_nop 1
	v_cndmask_b32_e64 v14, v14, v41, s[0:1]
; %bb.254:                              ;   in Loop: Header=BB341_168 Depth=1
	s_or_b64 exec, exec, s[8:9]
	v_and_b32_e32 v41, 0xffff0000, v26
	v_lshlrev_b32_e32 v26, 16, v42
	v_mul_f32_e32 v42, v41, v26
	v_and_b32_e32 v26, 0x7f800000, v42
	v_cmp_ne_u32_e64 s[0:1], s14, v26
                                        ; implicit-def: $vgpr26
	s_and_saveexec_b64 s[8:9], s[0:1]
	s_xor_b64 s[0:1], exec, s[8:9]
; %bb.255:                              ;   in Loop: Header=BB341_168 Depth=1
	v_bfe_u32 v26, v42, 16, 1
	v_add3_u32 v26, v42, v26, s15
                                        ; implicit-def: $vgpr42
; %bb.256:                              ;   in Loop: Header=BB341_168 Depth=1
	s_andn2_saveexec_b64 s[8:9], s[0:1]
; %bb.257:                              ;   in Loop: Header=BB341_168 Depth=1
	v_or_b32_e32 v26, 0x10000, v42
	v_cmp_eq_u32_sdwa s[0:1], v42, v15 src0_sel:WORD_0 src1_sel:DWORD
	s_nop 1
	v_cndmask_b32_e64 v26, v26, v42, s[0:1]
; %bb.258:                              ;   in Loop: Header=BB341_168 Depth=1
	s_or_b64 exec, exec, s[8:9]
	v_and_b32_e32 v42, 0xffff0000, v27
	v_lshlrev_b32_e32 v5, 16, v5
	v_mul_f32_e32 v5, v42, v5
	v_and_b32_e32 v27, 0x7f800000, v5
	v_cmp_ne_u32_e64 s[0:1], s14, v27
                                        ; implicit-def: $vgpr27
	s_and_saveexec_b64 s[8:9], s[0:1]
	s_xor_b64 s[0:1], exec, s[8:9]
; %bb.259:                              ;   in Loop: Header=BB341_168 Depth=1
	v_bfe_u32 v27, v5, 16, 1
	v_add3_u32 v27, v5, v27, s15
                                        ; implicit-def: $vgpr5
; %bb.260:                              ;   in Loop: Header=BB341_168 Depth=1
	s_andn2_saveexec_b64 s[8:9], s[0:1]
; %bb.261:                              ;   in Loop: Header=BB341_168 Depth=1
	v_or_b32_e32 v27, 0x10000, v5
	v_cmp_eq_u32_sdwa s[0:1], v5, v15 src0_sel:WORD_0 src1_sel:DWORD
	s_nop 1
	v_cndmask_b32_e64 v27, v27, v5, s[0:1]
; %bb.262:                              ;   in Loop: Header=BB341_168 Depth=1
	s_or_b64 exec, exec, s[8:9]
	v_and_b32_e32 v43, 0xffff0000, v35
	v_lshlrev_b32_e32 v4, 16, v4
	v_mul_f32_e32 v4, v43, v4
	v_and_b32_e32 v5, 0x7f800000, v4
	v_cmp_ne_u32_e64 s[0:1], s14, v5
                                        ; implicit-def: $vgpr35
	s_and_saveexec_b64 s[8:9], s[0:1]
	s_xor_b64 s[0:1], exec, s[8:9]
; %bb.263:                              ;   in Loop: Header=BB341_168 Depth=1
	v_bfe_u32 v5, v4, 16, 1
	v_add3_u32 v35, v4, v5, s15
                                        ; implicit-def: $vgpr4
; %bb.264:                              ;   in Loop: Header=BB341_168 Depth=1
	s_andn2_saveexec_b64 s[8:9], s[0:1]
; %bb.265:                              ;   in Loop: Header=BB341_168 Depth=1
	v_or_b32_e32 v5, 0x10000, v4
	v_cmp_eq_u32_sdwa s[0:1], v4, v15 src0_sel:WORD_0 src1_sel:DWORD
	s_nop 1
	v_cndmask_b32_e64 v35, v5, v4, s[0:1]
; %bb.266:                              ;   in Loop: Header=BB341_168 Depth=1
	s_or_b64 exec, exec, s[8:9]
	global_load_dwordx2 v[4:5], v[2:3], off offset:512
	s_waitcnt vmcnt(0)
	v_and_b32_e32 v44, 0xff, v4
	v_cvt_f32_fp8_sdwa v44, v44 src0_sel:BYTE_0
	s_nop 0
	v_mul_f32_e32 v45, s10, v44
	v_and_b32_e32 v44, 0x7f800000, v45
	v_cmp_ne_u32_e64 s[0:1], s14, v44
                                        ; implicit-def: $vgpr44
	s_and_saveexec_b64 s[8:9], s[0:1]
	s_xor_b64 s[0:1], exec, s[8:9]
; %bb.267:                              ;   in Loop: Header=BB341_168 Depth=1
	v_bfe_u32 v44, v45, 16, 1
	v_add3_u32 v44, v45, v44, s15
                                        ; implicit-def: $vgpr45
; %bb.268:                              ;   in Loop: Header=BB341_168 Depth=1
	s_andn2_saveexec_b64 s[8:9], s[0:1]
; %bb.269:                              ;   in Loop: Header=BB341_168 Depth=1
	v_or_b32_e32 v44, 0x10000, v45
	v_cmp_eq_u32_sdwa s[0:1], v45, v15 src0_sel:WORD_0 src1_sel:DWORD
	s_nop 1
	v_cndmask_b32_e64 v44, v44, v45, s[0:1]
; %bb.270:                              ;   in Loop: Header=BB341_168 Depth=1
	s_or_b64 exec, exec, s[8:9]
	v_bfe_u32 v45, v4, 8, 8
	v_cvt_f32_fp8_sdwa v45, v45 src0_sel:BYTE_0
	s_nop 0
	v_mul_f32_e32 v46, s10, v45
	v_and_b32_e32 v45, 0x7f800000, v46
	v_cmp_ne_u32_e64 s[0:1], s14, v45
                                        ; implicit-def: $vgpr45
	s_and_saveexec_b64 s[8:9], s[0:1]
	s_xor_b64 s[0:1], exec, s[8:9]
; %bb.271:                              ;   in Loop: Header=BB341_168 Depth=1
	v_bfe_u32 v45, v46, 16, 1
	v_add3_u32 v45, v46, v45, s15
                                        ; implicit-def: $vgpr46
; %bb.272:                              ;   in Loop: Header=BB341_168 Depth=1
	s_andn2_saveexec_b64 s[8:9], s[0:1]
; %bb.273:                              ;   in Loop: Header=BB341_168 Depth=1
	v_or_b32_e32 v45, 0x10000, v46
	v_cmp_eq_u32_sdwa s[0:1], v46, v15 src0_sel:WORD_0 src1_sel:DWORD
	s_nop 1
	v_cndmask_b32_e64 v45, v45, v46, s[0:1]
; %bb.274:                              ;   in Loop: Header=BB341_168 Depth=1
	s_or_b64 exec, exec, s[8:9]
	v_bfe_u32 v46, v4, 16, 8
	v_cvt_f32_fp8_sdwa v46, v46 src0_sel:BYTE_0
	s_nop 0
	v_mul_f32_e32 v47, s10, v46
	v_and_b32_e32 v46, 0x7f800000, v47
	v_cmp_ne_u32_e64 s[0:1], s14, v46
                                        ; implicit-def: $vgpr46
	s_and_saveexec_b64 s[8:9], s[0:1]
	s_xor_b64 s[0:1], exec, s[8:9]
; %bb.275:                              ;   in Loop: Header=BB341_168 Depth=1
	v_bfe_u32 v46, v47, 16, 1
	v_add3_u32 v46, v47, v46, s15
                                        ; implicit-def: $vgpr47
; %bb.276:                              ;   in Loop: Header=BB341_168 Depth=1
	s_andn2_saveexec_b64 s[8:9], s[0:1]
; %bb.277:                              ;   in Loop: Header=BB341_168 Depth=1
	v_or_b32_e32 v46, 0x10000, v47
	v_cmp_eq_u32_sdwa s[0:1], v47, v15 src0_sel:WORD_0 src1_sel:DWORD
	s_nop 1
	v_cndmask_b32_e64 v46, v46, v47, s[0:1]
; %bb.278:                              ;   in Loop: Header=BB341_168 Depth=1
	s_or_b64 exec, exec, s[8:9]
	v_lshrrev_b32_e32 v4, 24, v4
	v_cvt_f32_fp8_sdwa v4, v4 src0_sel:BYTE_0
	s_nop 0
	v_mul_f32_e32 v47, s10, v4
	v_and_b32_e32 v4, 0x7f800000, v47
	v_cmp_ne_u32_e64 s[0:1], s14, v4
                                        ; implicit-def: $vgpr4
	s_and_saveexec_b64 s[8:9], s[0:1]
	s_xor_b64 s[0:1], exec, s[8:9]
; %bb.279:                              ;   in Loop: Header=BB341_168 Depth=1
	v_bfe_u32 v4, v47, 16, 1
	v_add3_u32 v4, v47, v4, s15
                                        ; implicit-def: $vgpr47
; %bb.280:                              ;   in Loop: Header=BB341_168 Depth=1
	s_andn2_saveexec_b64 s[8:9], s[0:1]
; %bb.281:                              ;   in Loop: Header=BB341_168 Depth=1
	v_or_b32_e32 v4, 0x10000, v47
	v_cmp_eq_u32_sdwa s[0:1], v47, v15 src0_sel:WORD_0 src1_sel:DWORD
	s_nop 1
	v_cndmask_b32_e64 v4, v4, v47, s[0:1]
; %bb.282:                              ;   in Loop: Header=BB341_168 Depth=1
	s_or_b64 exec, exec, s[8:9]
	v_and_b32_e32 v47, 0xff, v5
	v_cvt_f32_fp8_sdwa v47, v47 src0_sel:BYTE_0
	s_nop 0
	v_mul_f32_e32 v48, s10, v47
	v_and_b32_e32 v47, 0x7f800000, v48
	v_cmp_ne_u32_e64 s[0:1], s14, v47
                                        ; implicit-def: $vgpr47
	s_and_saveexec_b64 s[8:9], s[0:1]
	s_xor_b64 s[0:1], exec, s[8:9]
; %bb.283:                              ;   in Loop: Header=BB341_168 Depth=1
	v_bfe_u32 v47, v48, 16, 1
	v_add3_u32 v47, v48, v47, s15
                                        ; implicit-def: $vgpr48
; %bb.284:                              ;   in Loop: Header=BB341_168 Depth=1
	s_andn2_saveexec_b64 s[8:9], s[0:1]
; %bb.285:                              ;   in Loop: Header=BB341_168 Depth=1
	v_or_b32_e32 v47, 0x10000, v48
	v_cmp_eq_u32_sdwa s[0:1], v48, v15 src0_sel:WORD_0 src1_sel:DWORD
	s_nop 1
	v_cndmask_b32_e64 v47, v47, v48, s[0:1]
; %bb.286:                              ;   in Loop: Header=BB341_168 Depth=1
	s_or_b64 exec, exec, s[8:9]
	v_bfe_u32 v48, v5, 8, 8
	v_cvt_f32_fp8_sdwa v48, v48 src0_sel:BYTE_0
	s_nop 0
	v_mul_f32_e32 v49, s10, v48
	v_and_b32_e32 v48, 0x7f800000, v49
	v_cmp_ne_u32_e64 s[0:1], s14, v48
                                        ; implicit-def: $vgpr48
	s_and_saveexec_b64 s[8:9], s[0:1]
	s_xor_b64 s[0:1], exec, s[8:9]
; %bb.287:                              ;   in Loop: Header=BB341_168 Depth=1
	v_bfe_u32 v48, v49, 16, 1
	v_add3_u32 v48, v49, v48, s15
                                        ; implicit-def: $vgpr49
; %bb.288:                              ;   in Loop: Header=BB341_168 Depth=1
	s_andn2_saveexec_b64 s[8:9], s[0:1]
; %bb.289:                              ;   in Loop: Header=BB341_168 Depth=1
	v_or_b32_e32 v48, 0x10000, v49
	v_cmp_eq_u32_sdwa s[0:1], v49, v15 src0_sel:WORD_0 src1_sel:DWORD
	s_nop 1
	v_cndmask_b32_e64 v48, v48, v49, s[0:1]
; %bb.290:                              ;   in Loop: Header=BB341_168 Depth=1
	s_or_b64 exec, exec, s[8:9]
	v_bfe_u32 v49, v5, 16, 8
	v_cvt_f32_fp8_sdwa v49, v49 src0_sel:BYTE_0
	s_nop 0
	v_mul_f32_e32 v49, s10, v49
	v_and_b32_e32 v50, 0x7f800000, v49
	v_cmp_ne_u32_e64 s[0:1], s14, v50
                                        ; implicit-def: $vgpr50
	s_and_saveexec_b64 s[8:9], s[0:1]
	s_xor_b64 s[0:1], exec, s[8:9]
; %bb.291:                              ;   in Loop: Header=BB341_168 Depth=1
	v_bfe_u32 v50, v49, 16, 1
	v_add3_u32 v50, v49, v50, s15
                                        ; implicit-def: $vgpr49
; %bb.292:                              ;   in Loop: Header=BB341_168 Depth=1
	s_andn2_saveexec_b64 s[8:9], s[0:1]
; %bb.293:                              ;   in Loop: Header=BB341_168 Depth=1
	v_or_b32_e32 v50, 0x10000, v49
	v_cmp_eq_u32_sdwa s[0:1], v49, v15 src0_sel:WORD_0 src1_sel:DWORD
	s_nop 1
	v_cndmask_b32_e64 v50, v50, v49, s[0:1]
; %bb.294:                              ;   in Loop: Header=BB341_168 Depth=1
	s_or_b64 exec, exec, s[8:9]
	v_lshrrev_b32_e32 v5, 24, v5
	v_cvt_f32_fp8_sdwa v5, v5 src0_sel:BYTE_0
                                        ; implicit-def: $vgpr51
	s_nop 0
	v_mul_f32_e32 v5, s10, v5
	v_and_b32_e32 v49, 0x7f800000, v5
	v_cmp_ne_u32_e64 s[0:1], s14, v49
	s_and_saveexec_b64 s[8:9], s[0:1]
	s_xor_b64 s[0:1], exec, s[8:9]
; %bb.295:                              ;   in Loop: Header=BB341_168 Depth=1
	v_bfe_u32 v49, v5, 16, 1
	v_add3_u32 v51, v5, v49, s15
                                        ; implicit-def: $vgpr5
; %bb.296:                              ;   in Loop: Header=BB341_168 Depth=1
	s_andn2_saveexec_b64 s[8:9], s[0:1]
; %bb.297:                              ;   in Loop: Header=BB341_168 Depth=1
	v_or_b32_e32 v49, 0x10000, v5
	v_cmp_eq_u32_sdwa s[0:1], v5, v15 src0_sel:WORD_0 src1_sel:DWORD
	s_nop 1
	v_cndmask_b32_e64 v51, v49, v5, s[0:1]
; %bb.298:                              ;   in Loop: Header=BB341_168 Depth=1
	s_or_b64 exec, exec, s[8:9]
	v_lshrrev_b32_e32 v49, 16, v48
	v_lshrrev_b32_e32 v48, 16, v47
	;; [unrolled: 1-line block ×8, first 2 shown]
	s_and_saveexec_b64 s[8:9], vcc
	s_cbranch_execz .LBB341_300
; %bb.299:                              ;   in Loop: Header=BB341_168 Depth=1
	v_cmp_gt_i32_e64 s[0:1], s17, v28
	s_nop 1
	v_cndmask_b32_e64 v44, 0, v44, s[0:1]
	v_cmp_gt_i32_e64 s[0:1], s17, v34
	s_nop 1
	v_cndmask_b32_e64 v45, 0, v45, s[0:1]
	;; [unrolled: 3-line block ×8, first 2 shown]
.LBB341_300:                            ;   in Loop: Header=BB341_168 Depth=1
	s_or_b64 exec, exec, s[8:9]
	v_lshlrev_b32_e32 v44, 16, v44
	v_mul_f32_e32 v50, v36, v44
	v_and_b32_e32 v44, 0x7f800000, v50
	v_cmp_ne_u32_e64 s[0:1], s14, v44
                                        ; implicit-def: $vgpr44
	s_and_saveexec_b64 s[8:9], s[0:1]
	s_xor_b64 s[0:1], exec, s[8:9]
; %bb.301:                              ;   in Loop: Header=BB341_168 Depth=1
	v_bfe_u32 v44, v50, 16, 1
	v_add3_u32 v44, v50, v44, s15
                                        ; implicit-def: $vgpr50
; %bb.302:                              ;   in Loop: Header=BB341_168 Depth=1
	s_andn2_saveexec_b64 s[8:9], s[0:1]
; %bb.303:                              ;   in Loop: Header=BB341_168 Depth=1
	v_or_b32_e32 v44, 0x10000, v50
	v_cmp_eq_u32_sdwa s[0:1], v50, v15 src0_sel:WORD_0 src1_sel:DWORD
	s_nop 1
	v_cndmask_b32_e64 v44, v44, v50, s[0:1]
; %bb.304:                              ;   in Loop: Header=BB341_168 Depth=1
	s_or_b64 exec, exec, s[8:9]
	v_lshlrev_b32_e32 v45, 16, v45
	v_mul_f32_e32 v50, v37, v45
	v_and_b32_e32 v45, 0x7f800000, v50
	v_cmp_ne_u32_e64 s[0:1], s14, v45
                                        ; implicit-def: $vgpr45
	s_and_saveexec_b64 s[8:9], s[0:1]
	s_xor_b64 s[0:1], exec, s[8:9]
; %bb.305:                              ;   in Loop: Header=BB341_168 Depth=1
	v_bfe_u32 v45, v50, 16, 1
	v_add3_u32 v45, v50, v45, s15
                                        ; implicit-def: $vgpr50
; %bb.306:                              ;   in Loop: Header=BB341_168 Depth=1
	s_andn2_saveexec_b64 s[8:9], s[0:1]
; %bb.307:                              ;   in Loop: Header=BB341_168 Depth=1
	v_or_b32_e32 v45, 0x10000, v50
	v_cmp_eq_u32_sdwa s[0:1], v50, v15 src0_sel:WORD_0 src1_sel:DWORD
	s_nop 1
	v_cndmask_b32_e64 v45, v45, v50, s[0:1]
; %bb.308:                              ;   in Loop: Header=BB341_168 Depth=1
	s_or_b64 exec, exec, s[8:9]
	v_lshlrev_b32_e32 v46, 16, v46
	v_mul_f32_e32 v50, v38, v46
	v_and_b32_e32 v46, 0x7f800000, v50
	v_cmp_ne_u32_e64 s[0:1], s14, v46
                                        ; implicit-def: $vgpr46
	s_and_saveexec_b64 s[8:9], s[0:1]
	s_xor_b64 s[0:1], exec, s[8:9]
; %bb.309:                              ;   in Loop: Header=BB341_168 Depth=1
	v_bfe_u32 v46, v50, 16, 1
	v_add3_u32 v46, v50, v46, s15
                                        ; implicit-def: $vgpr50
; %bb.310:                              ;   in Loop: Header=BB341_168 Depth=1
	s_andn2_saveexec_b64 s[8:9], s[0:1]
; %bb.311:                              ;   in Loop: Header=BB341_168 Depth=1
	v_or_b32_e32 v46, 0x10000, v50
	v_cmp_eq_u32_sdwa s[0:1], v50, v15 src0_sel:WORD_0 src1_sel:DWORD
	s_nop 1
	v_cndmask_b32_e64 v46, v46, v50, s[0:1]
; %bb.312:                              ;   in Loop: Header=BB341_168 Depth=1
	s_or_b64 exec, exec, s[8:9]
	v_lshlrev_b32_e32 v47, 16, v47
	v_mul_f32_e32 v50, v39, v47
	v_and_b32_e32 v47, 0x7f800000, v50
	v_cmp_ne_u32_e64 s[0:1], s14, v47
                                        ; implicit-def: $vgpr47
	s_and_saveexec_b64 s[8:9], s[0:1]
	s_xor_b64 s[0:1], exec, s[8:9]
; %bb.313:                              ;   in Loop: Header=BB341_168 Depth=1
	v_bfe_u32 v47, v50, 16, 1
	v_add3_u32 v47, v50, v47, s15
                                        ; implicit-def: $vgpr50
; %bb.314:                              ;   in Loop: Header=BB341_168 Depth=1
	s_andn2_saveexec_b64 s[8:9], s[0:1]
; %bb.315:                              ;   in Loop: Header=BB341_168 Depth=1
	v_or_b32_e32 v47, 0x10000, v50
	v_cmp_eq_u32_sdwa s[0:1], v50, v15 src0_sel:WORD_0 src1_sel:DWORD
	s_nop 1
	v_cndmask_b32_e64 v47, v47, v50, s[0:1]
; %bb.316:                              ;   in Loop: Header=BB341_168 Depth=1
	s_or_b64 exec, exec, s[8:9]
	v_lshlrev_b32_e32 v48, 16, v48
	v_mul_f32_e32 v50, v40, v48
	v_and_b32_e32 v48, 0x7f800000, v50
	v_cmp_ne_u32_e64 s[0:1], s14, v48
                                        ; implicit-def: $vgpr48
	s_and_saveexec_b64 s[8:9], s[0:1]
	s_xor_b64 s[0:1], exec, s[8:9]
; %bb.317:                              ;   in Loop: Header=BB341_168 Depth=1
	v_bfe_u32 v48, v50, 16, 1
	v_add3_u32 v48, v50, v48, s15
                                        ; implicit-def: $vgpr50
; %bb.318:                              ;   in Loop: Header=BB341_168 Depth=1
	s_andn2_saveexec_b64 s[8:9], s[0:1]
; %bb.319:                              ;   in Loop: Header=BB341_168 Depth=1
	v_or_b32_e32 v48, 0x10000, v50
	v_cmp_eq_u32_sdwa s[0:1], v50, v15 src0_sel:WORD_0 src1_sel:DWORD
	s_nop 1
	v_cndmask_b32_e64 v48, v48, v50, s[0:1]
; %bb.320:                              ;   in Loop: Header=BB341_168 Depth=1
	s_or_b64 exec, exec, s[8:9]
	v_lshlrev_b32_e32 v49, 16, v49
	v_mul_f32_e32 v50, v41, v49
	v_and_b32_e32 v49, 0x7f800000, v50
	v_cmp_ne_u32_e64 s[0:1], s14, v49
                                        ; implicit-def: $vgpr49
	s_and_saveexec_b64 s[8:9], s[0:1]
	s_xor_b64 s[0:1], exec, s[8:9]
; %bb.321:                              ;   in Loop: Header=BB341_168 Depth=1
	v_bfe_u32 v49, v50, 16, 1
	v_add3_u32 v49, v50, v49, s15
                                        ; implicit-def: $vgpr50
; %bb.322:                              ;   in Loop: Header=BB341_168 Depth=1
	s_andn2_saveexec_b64 s[8:9], s[0:1]
; %bb.323:                              ;   in Loop: Header=BB341_168 Depth=1
	v_or_b32_e32 v49, 0x10000, v50
	v_cmp_eq_u32_sdwa s[0:1], v50, v15 src0_sel:WORD_0 src1_sel:DWORD
	s_nop 1
	v_cndmask_b32_e64 v49, v49, v50, s[0:1]
; %bb.324:                              ;   in Loop: Header=BB341_168 Depth=1
	s_or_b64 exec, exec, s[8:9]
	v_lshlrev_b32_e32 v5, 16, v5
	v_mul_f32_e32 v5, v42, v5
	v_and_b32_e32 v50, 0x7f800000, v5
	v_cmp_ne_u32_e64 s[0:1], s14, v50
                                        ; implicit-def: $vgpr50
	s_and_saveexec_b64 s[8:9], s[0:1]
	s_xor_b64 s[0:1], exec, s[8:9]
; %bb.325:                              ;   in Loop: Header=BB341_168 Depth=1
	v_bfe_u32 v50, v5, 16, 1
	v_add3_u32 v50, v5, v50, s15
                                        ; implicit-def: $vgpr5
; %bb.326:                              ;   in Loop: Header=BB341_168 Depth=1
	s_andn2_saveexec_b64 s[8:9], s[0:1]
; %bb.327:                              ;   in Loop: Header=BB341_168 Depth=1
	v_or_b32_e32 v50, 0x10000, v5
	v_cmp_eq_u32_sdwa s[0:1], v5, v15 src0_sel:WORD_0 src1_sel:DWORD
	s_nop 1
	v_cndmask_b32_e64 v50, v50, v5, s[0:1]
; %bb.328:                              ;   in Loop: Header=BB341_168 Depth=1
	s_or_b64 exec, exec, s[8:9]
	v_lshlrev_b32_e32 v4, 16, v4
	v_mul_f32_e32 v4, v43, v4
	v_and_b32_e32 v5, 0x7f800000, v4
	v_cmp_ne_u32_e64 s[0:1], s14, v5
                                        ; implicit-def: $vgpr51
	s_and_saveexec_b64 s[8:9], s[0:1]
	s_xor_b64 s[0:1], exec, s[8:9]
; %bb.329:                              ;   in Loop: Header=BB341_168 Depth=1
	v_bfe_u32 v5, v4, 16, 1
	v_add3_u32 v51, v4, v5, s15
                                        ; implicit-def: $vgpr4
; %bb.330:                              ;   in Loop: Header=BB341_168 Depth=1
	s_andn2_saveexec_b64 s[8:9], s[0:1]
; %bb.331:                              ;   in Loop: Header=BB341_168 Depth=1
	v_or_b32_e32 v5, 0x10000, v4
	v_cmp_eq_u32_sdwa s[0:1], v4, v15 src0_sel:WORD_0 src1_sel:DWORD
	s_nop 1
	v_cndmask_b32_e64 v51, v5, v4, s[0:1]
; %bb.332:                              ;   in Loop: Header=BB341_168 Depth=1
	s_or_b64 exec, exec, s[8:9]
	global_load_dwordx2 v[4:5], v[2:3], off offset:1024
	s_waitcnt vmcnt(0)
	v_and_b32_e32 v52, 0xff, v4
	v_cvt_f32_fp8_sdwa v52, v52 src0_sel:BYTE_0
	s_nop 0
	v_mul_f32_e32 v53, s10, v52
	v_and_b32_e32 v52, 0x7f800000, v53
	v_cmp_ne_u32_e64 s[0:1], s14, v52
                                        ; implicit-def: $vgpr52
	s_and_saveexec_b64 s[8:9], s[0:1]
	s_xor_b64 s[0:1], exec, s[8:9]
; %bb.333:                              ;   in Loop: Header=BB341_168 Depth=1
	v_bfe_u32 v52, v53, 16, 1
	v_add3_u32 v52, v53, v52, s15
                                        ; implicit-def: $vgpr53
; %bb.334:                              ;   in Loop: Header=BB341_168 Depth=1
	s_andn2_saveexec_b64 s[8:9], s[0:1]
; %bb.335:                              ;   in Loop: Header=BB341_168 Depth=1
	v_or_b32_e32 v52, 0x10000, v53
	v_cmp_eq_u32_sdwa s[0:1], v53, v15 src0_sel:WORD_0 src1_sel:DWORD
	s_nop 1
	v_cndmask_b32_e64 v52, v52, v53, s[0:1]
; %bb.336:                              ;   in Loop: Header=BB341_168 Depth=1
	s_or_b64 exec, exec, s[8:9]
	v_bfe_u32 v53, v4, 8, 8
	v_cvt_f32_fp8_sdwa v53, v53 src0_sel:BYTE_0
	s_nop 0
	v_mul_f32_e32 v54, s10, v53
	v_and_b32_e32 v53, 0x7f800000, v54
	v_cmp_ne_u32_e64 s[0:1], s14, v53
                                        ; implicit-def: $vgpr53
	s_and_saveexec_b64 s[8:9], s[0:1]
	s_xor_b64 s[0:1], exec, s[8:9]
; %bb.337:                              ;   in Loop: Header=BB341_168 Depth=1
	v_bfe_u32 v53, v54, 16, 1
	v_add3_u32 v53, v54, v53, s15
                                        ; implicit-def: $vgpr54
; %bb.338:                              ;   in Loop: Header=BB341_168 Depth=1
	s_andn2_saveexec_b64 s[8:9], s[0:1]
; %bb.339:                              ;   in Loop: Header=BB341_168 Depth=1
	v_or_b32_e32 v53, 0x10000, v54
	v_cmp_eq_u32_sdwa s[0:1], v54, v15 src0_sel:WORD_0 src1_sel:DWORD
	s_nop 1
	v_cndmask_b32_e64 v53, v53, v54, s[0:1]
; %bb.340:                              ;   in Loop: Header=BB341_168 Depth=1
	s_or_b64 exec, exec, s[8:9]
	v_bfe_u32 v54, v4, 16, 8
	v_cvt_f32_fp8_sdwa v54, v54 src0_sel:BYTE_0
	s_nop 0
	v_mul_f32_e32 v55, s10, v54
	v_and_b32_e32 v54, 0x7f800000, v55
	v_cmp_ne_u32_e64 s[0:1], s14, v54
                                        ; implicit-def: $vgpr54
	s_and_saveexec_b64 s[8:9], s[0:1]
	s_xor_b64 s[0:1], exec, s[8:9]
; %bb.341:                              ;   in Loop: Header=BB341_168 Depth=1
	v_bfe_u32 v54, v55, 16, 1
	v_add3_u32 v54, v55, v54, s15
                                        ; implicit-def: $vgpr55
; %bb.342:                              ;   in Loop: Header=BB341_168 Depth=1
	s_andn2_saveexec_b64 s[8:9], s[0:1]
; %bb.343:                              ;   in Loop: Header=BB341_168 Depth=1
	v_or_b32_e32 v54, 0x10000, v55
	v_cmp_eq_u32_sdwa s[0:1], v55, v15 src0_sel:WORD_0 src1_sel:DWORD
	s_nop 1
	v_cndmask_b32_e64 v54, v54, v55, s[0:1]
; %bb.344:                              ;   in Loop: Header=BB341_168 Depth=1
	s_or_b64 exec, exec, s[8:9]
	v_lshrrev_b32_e32 v4, 24, v4
	v_cvt_f32_fp8_sdwa v4, v4 src0_sel:BYTE_0
	s_nop 0
	v_mul_f32_e32 v55, s10, v4
	v_and_b32_e32 v4, 0x7f800000, v55
	v_cmp_ne_u32_e64 s[0:1], s14, v4
                                        ; implicit-def: $vgpr4
	s_and_saveexec_b64 s[8:9], s[0:1]
	s_xor_b64 s[0:1], exec, s[8:9]
; %bb.345:                              ;   in Loop: Header=BB341_168 Depth=1
	v_bfe_u32 v4, v55, 16, 1
	v_add3_u32 v4, v55, v4, s15
                                        ; implicit-def: $vgpr55
; %bb.346:                              ;   in Loop: Header=BB341_168 Depth=1
	s_andn2_saveexec_b64 s[8:9], s[0:1]
; %bb.347:                              ;   in Loop: Header=BB341_168 Depth=1
	v_or_b32_e32 v4, 0x10000, v55
	v_cmp_eq_u32_sdwa s[0:1], v55, v15 src0_sel:WORD_0 src1_sel:DWORD
	s_nop 1
	v_cndmask_b32_e64 v4, v4, v55, s[0:1]
; %bb.348:                              ;   in Loop: Header=BB341_168 Depth=1
	s_or_b64 exec, exec, s[8:9]
	v_and_b32_e32 v55, 0xff, v5
	v_cvt_f32_fp8_sdwa v55, v55 src0_sel:BYTE_0
	s_nop 0
	v_mul_f32_e32 v55, s10, v55
	v_and_b32_e32 v56, 0x7f800000, v55
	v_cmp_ne_u32_e64 s[0:1], s14, v56
                                        ; implicit-def: $vgpr56
	s_and_saveexec_b64 s[8:9], s[0:1]
	s_xor_b64 s[0:1], exec, s[8:9]
; %bb.349:                              ;   in Loop: Header=BB341_168 Depth=1
	v_bfe_u32 v56, v55, 16, 1
	v_add3_u32 v56, v55, v56, s15
                                        ; implicit-def: $vgpr55
; %bb.350:                              ;   in Loop: Header=BB341_168 Depth=1
	s_andn2_saveexec_b64 s[8:9], s[0:1]
; %bb.351:                              ;   in Loop: Header=BB341_168 Depth=1
	v_or_b32_e32 v56, 0x10000, v55
	v_cmp_eq_u32_sdwa s[0:1], v55, v15 src0_sel:WORD_0 src1_sel:DWORD
	s_nop 1
	v_cndmask_b32_e64 v56, v56, v55, s[0:1]
; %bb.352:                              ;   in Loop: Header=BB341_168 Depth=1
	s_or_b64 exec, exec, s[8:9]
	v_bfe_u32 v55, v5, 8, 8
	v_cvt_f32_fp8_sdwa v55, v55 src0_sel:BYTE_0
	s_nop 0
	v_mul_f32_e32 v57, s10, v55
	v_and_b32_e32 v55, 0x7f800000, v57
	v_cmp_ne_u32_e64 s[0:1], s14, v55
                                        ; implicit-def: $vgpr55
	s_and_saveexec_b64 s[8:9], s[0:1]
	s_xor_b64 s[0:1], exec, s[8:9]
; %bb.353:                              ;   in Loop: Header=BB341_168 Depth=1
	v_bfe_u32 v55, v57, 16, 1
	v_add3_u32 v55, v57, v55, s15
                                        ; implicit-def: $vgpr57
; %bb.354:                              ;   in Loop: Header=BB341_168 Depth=1
	s_andn2_saveexec_b64 s[8:9], s[0:1]
; %bb.355:                              ;   in Loop: Header=BB341_168 Depth=1
	v_or_b32_e32 v55, 0x10000, v57
	v_cmp_eq_u32_sdwa s[0:1], v57, v15 src0_sel:WORD_0 src1_sel:DWORD
	s_nop 1
	v_cndmask_b32_e64 v55, v55, v57, s[0:1]
; %bb.356:                              ;   in Loop: Header=BB341_168 Depth=1
	s_or_b64 exec, exec, s[8:9]
	v_bfe_u32 v57, v5, 16, 8
	v_cvt_f32_fp8_sdwa v57, v57 src0_sel:BYTE_0
	s_nop 0
	v_mul_f32_e32 v58, s10, v57
	v_and_b32_e32 v57, 0x7f800000, v58
	v_cmp_ne_u32_e64 s[0:1], s14, v57
                                        ; implicit-def: $vgpr57
	s_and_saveexec_b64 s[8:9], s[0:1]
	s_xor_b64 s[0:1], exec, s[8:9]
; %bb.357:                              ;   in Loop: Header=BB341_168 Depth=1
	v_bfe_u32 v57, v58, 16, 1
	v_add3_u32 v57, v58, v57, s15
                                        ; implicit-def: $vgpr58
; %bb.358:                              ;   in Loop: Header=BB341_168 Depth=1
	s_andn2_saveexec_b64 s[8:9], s[0:1]
; %bb.359:                              ;   in Loop: Header=BB341_168 Depth=1
	v_or_b32_e32 v57, 0x10000, v58
	v_cmp_eq_u32_sdwa s[0:1], v58, v15 src0_sel:WORD_0 src1_sel:DWORD
	s_nop 1
	v_cndmask_b32_e64 v57, v57, v58, s[0:1]
; %bb.360:                              ;   in Loop: Header=BB341_168 Depth=1
	s_or_b64 exec, exec, s[8:9]
	v_lshrrev_b32_e32 v5, 24, v5
	v_cvt_f32_fp8_sdwa v5, v5 src0_sel:BYTE_0
                                        ; implicit-def: $vgpr60
	s_nop 0
	v_mul_f32_e32 v5, s10, v5
	v_and_b32_e32 v58, 0x7f800000, v5
	v_cmp_ne_u32_e64 s[0:1], s14, v58
	s_and_saveexec_b64 s[8:9], s[0:1]
	s_xor_b64 s[0:1], exec, s[8:9]
; %bb.361:                              ;   in Loop: Header=BB341_168 Depth=1
	v_bfe_u32 v58, v5, 16, 1
	v_add3_u32 v60, v5, v58, s15
                                        ; implicit-def: $vgpr5
; %bb.362:                              ;   in Loop: Header=BB341_168 Depth=1
	s_andn2_saveexec_b64 s[8:9], s[0:1]
; %bb.363:                              ;   in Loop: Header=BB341_168 Depth=1
	v_or_b32_e32 v58, 0x10000, v5
	v_cmp_eq_u32_sdwa s[0:1], v5, v15 src0_sel:WORD_0 src1_sel:DWORD
	s_nop 1
	v_cndmask_b32_e64 v60, v58, v5, s[0:1]
; %bb.364:                              ;   in Loop: Header=BB341_168 Depth=1
	s_or_b64 exec, exec, s[8:9]
	v_lshrrev_b32_e32 v55, 16, v55
	v_lshrrev_b32_e32 v58, 16, v56
	v_lshrrev_b32_e32 v59, 16, v4
	v_lshrrev_b32_e32 v54, 16, v54
	v_lshrrev_b32_e32 v5, 16, v53
	v_lshrrev_b32_e32 v4, 16, v52
	v_lshrrev_b32_e32 v56, 16, v57
	v_lshrrev_b32_e32 v57, 16, v60
	s_and_saveexec_b64 s[8:9], vcc
	s_cbranch_execz .LBB341_366
; %bb.365:                              ;   in Loop: Header=BB341_168 Depth=1
	v_cmp_gt_i32_e64 s[0:1], s17, v28
	s_nop 1
	v_cndmask_b32_e64 v4, 0, v4, s[0:1]
	v_cmp_gt_i32_e64 s[0:1], s17, v34
	s_nop 1
	v_cndmask_b32_e64 v5, 0, v5, s[0:1]
	;; [unrolled: 3-line block ×8, first 2 shown]
.LBB341_366:                            ;   in Loop: Header=BB341_168 Depth=1
	s_or_b64 exec, exec, s[8:9]
	v_lshlrev_b32_e32 v4, 16, v4
	v_mul_f32_e32 v52, v36, v4
	v_and_b32_e32 v4, 0x7f800000, v52
	v_cmp_ne_u32_e64 s[0:1], s14, v4
                                        ; implicit-def: $vgpr4
	s_and_saveexec_b64 s[8:9], s[0:1]
	s_xor_b64 s[0:1], exec, s[8:9]
; %bb.367:                              ;   in Loop: Header=BB341_168 Depth=1
	v_bfe_u32 v4, v52, 16, 1
	v_add3_u32 v4, v52, v4, s15
                                        ; implicit-def: $vgpr52
; %bb.368:                              ;   in Loop: Header=BB341_168 Depth=1
	s_andn2_saveexec_b64 s[8:9], s[0:1]
; %bb.369:                              ;   in Loop: Header=BB341_168 Depth=1
	v_or_b32_e32 v4, 0x10000, v52
	v_cmp_eq_u32_sdwa s[0:1], v52, v15 src0_sel:WORD_0 src1_sel:DWORD
	s_nop 1
	v_cndmask_b32_e64 v4, v4, v52, s[0:1]
; %bb.370:                              ;   in Loop: Header=BB341_168 Depth=1
	s_or_b64 exec, exec, s[8:9]
	v_lshlrev_b32_e32 v5, 16, v5
	v_mul_f32_e32 v52, v37, v5
	v_and_b32_e32 v5, 0x7f800000, v52
	v_cmp_ne_u32_e64 s[0:1], s14, v5
                                        ; implicit-def: $vgpr5
	s_and_saveexec_b64 s[8:9], s[0:1]
	s_xor_b64 s[0:1], exec, s[8:9]
; %bb.371:                              ;   in Loop: Header=BB341_168 Depth=1
	v_bfe_u32 v5, v52, 16, 1
	v_add3_u32 v5, v52, v5, s15
                                        ; implicit-def: $vgpr52
; %bb.372:                              ;   in Loop: Header=BB341_168 Depth=1
	s_andn2_saveexec_b64 s[8:9], s[0:1]
; %bb.373:                              ;   in Loop: Header=BB341_168 Depth=1
	v_or_b32_e32 v5, 0x10000, v52
	v_cmp_eq_u32_sdwa s[0:1], v52, v15 src0_sel:WORD_0 src1_sel:DWORD
	s_nop 1
	v_cndmask_b32_e64 v5, v5, v52, s[0:1]
; %bb.374:                              ;   in Loop: Header=BB341_168 Depth=1
	s_or_b64 exec, exec, s[8:9]
	v_lshlrev_b32_e32 v52, 16, v54
	v_mul_f32_e32 v53, v38, v52
	v_and_b32_e32 v52, 0x7f800000, v53
	v_cmp_ne_u32_e64 s[0:1], s14, v52
                                        ; implicit-def: $vgpr52
	s_and_saveexec_b64 s[8:9], s[0:1]
	s_xor_b64 s[0:1], exec, s[8:9]
; %bb.375:                              ;   in Loop: Header=BB341_168 Depth=1
	v_bfe_u32 v52, v53, 16, 1
	v_add3_u32 v52, v53, v52, s15
                                        ; implicit-def: $vgpr53
; %bb.376:                              ;   in Loop: Header=BB341_168 Depth=1
	s_andn2_saveexec_b64 s[8:9], s[0:1]
; %bb.377:                              ;   in Loop: Header=BB341_168 Depth=1
	v_or_b32_e32 v52, 0x10000, v53
	v_cmp_eq_u32_sdwa s[0:1], v53, v15 src0_sel:WORD_0 src1_sel:DWORD
	s_nop 1
	v_cndmask_b32_e64 v52, v52, v53, s[0:1]
; %bb.378:                              ;   in Loop: Header=BB341_168 Depth=1
	s_or_b64 exec, exec, s[8:9]
	v_lshlrev_b32_e32 v53, 16, v59
	v_mul_f32_e32 v54, v39, v53
	v_and_b32_e32 v53, 0x7f800000, v54
	v_cmp_ne_u32_e64 s[0:1], s14, v53
                                        ; implicit-def: $vgpr53
	s_and_saveexec_b64 s[8:9], s[0:1]
	s_xor_b64 s[0:1], exec, s[8:9]
; %bb.379:                              ;   in Loop: Header=BB341_168 Depth=1
	v_bfe_u32 v53, v54, 16, 1
	v_add3_u32 v53, v54, v53, s15
                                        ; implicit-def: $vgpr54
; %bb.380:                              ;   in Loop: Header=BB341_168 Depth=1
	s_andn2_saveexec_b64 s[8:9], s[0:1]
; %bb.381:                              ;   in Loop: Header=BB341_168 Depth=1
	v_or_b32_e32 v53, 0x10000, v54
	v_cmp_eq_u32_sdwa s[0:1], v54, v15 src0_sel:WORD_0 src1_sel:DWORD
	s_nop 1
	v_cndmask_b32_e64 v53, v53, v54, s[0:1]
; %bb.382:                              ;   in Loop: Header=BB341_168 Depth=1
	s_or_b64 exec, exec, s[8:9]
	v_lshlrev_b32_e32 v54, 16, v58
	v_mul_f32_e32 v58, v40, v54
	v_and_b32_e32 v54, 0x7f800000, v58
	v_cmp_ne_u32_e64 s[0:1], s14, v54
                                        ; implicit-def: $vgpr54
	s_and_saveexec_b64 s[8:9], s[0:1]
	s_xor_b64 s[0:1], exec, s[8:9]
; %bb.383:                              ;   in Loop: Header=BB341_168 Depth=1
	v_bfe_u32 v54, v58, 16, 1
	v_add3_u32 v54, v58, v54, s15
                                        ; implicit-def: $vgpr58
; %bb.384:                              ;   in Loop: Header=BB341_168 Depth=1
	s_andn2_saveexec_b64 s[8:9], s[0:1]
; %bb.385:                              ;   in Loop: Header=BB341_168 Depth=1
	v_or_b32_e32 v54, 0x10000, v58
	v_cmp_eq_u32_sdwa s[0:1], v58, v15 src0_sel:WORD_0 src1_sel:DWORD
	s_nop 1
	v_cndmask_b32_e64 v54, v54, v58, s[0:1]
; %bb.386:                              ;   in Loop: Header=BB341_168 Depth=1
	s_or_b64 exec, exec, s[8:9]
	v_lshlrev_b32_e32 v55, 16, v55
	v_mul_f32_e32 v58, v41, v55
	v_and_b32_e32 v55, 0x7f800000, v58
	v_cmp_ne_u32_e64 s[0:1], s14, v55
                                        ; implicit-def: $vgpr55
	s_and_saveexec_b64 s[8:9], s[0:1]
	s_xor_b64 s[0:1], exec, s[8:9]
; %bb.387:                              ;   in Loop: Header=BB341_168 Depth=1
	v_bfe_u32 v55, v58, 16, 1
	v_add3_u32 v55, v58, v55, s15
                                        ; implicit-def: $vgpr58
; %bb.388:                              ;   in Loop: Header=BB341_168 Depth=1
	s_andn2_saveexec_b64 s[8:9], s[0:1]
; %bb.389:                              ;   in Loop: Header=BB341_168 Depth=1
	v_or_b32_e32 v55, 0x10000, v58
	v_cmp_eq_u32_sdwa s[0:1], v58, v15 src0_sel:WORD_0 src1_sel:DWORD
	s_nop 1
	v_cndmask_b32_e64 v55, v55, v58, s[0:1]
; %bb.390:                              ;   in Loop: Header=BB341_168 Depth=1
	s_or_b64 exec, exec, s[8:9]
	v_lshlrev_b32_e32 v56, 16, v56
	v_mul_f32_e32 v58, v42, v56
	v_and_b32_e32 v56, 0x7f800000, v58
	v_cmp_ne_u32_e64 s[0:1], s14, v56
                                        ; implicit-def: $vgpr56
	s_and_saveexec_b64 s[8:9], s[0:1]
	s_xor_b64 s[0:1], exec, s[8:9]
; %bb.391:                              ;   in Loop: Header=BB341_168 Depth=1
	v_bfe_u32 v56, v58, 16, 1
	v_add3_u32 v56, v58, v56, s15
                                        ; implicit-def: $vgpr58
; %bb.392:                              ;   in Loop: Header=BB341_168 Depth=1
	s_andn2_saveexec_b64 s[8:9], s[0:1]
; %bb.393:                              ;   in Loop: Header=BB341_168 Depth=1
	v_or_b32_e32 v56, 0x10000, v58
	v_cmp_eq_u32_sdwa s[0:1], v58, v15 src0_sel:WORD_0 src1_sel:DWORD
	s_nop 1
	v_cndmask_b32_e64 v56, v56, v58, s[0:1]
; %bb.394:                              ;   in Loop: Header=BB341_168 Depth=1
	s_or_b64 exec, exec, s[8:9]
	v_lshlrev_b32_e32 v57, 16, v57
	v_mul_f32_e32 v58, v43, v57
	v_and_b32_e32 v57, 0x7f800000, v58
	v_cmp_ne_u32_e64 s[0:1], s14, v57
                                        ; implicit-def: $vgpr57
	s_and_saveexec_b64 s[8:9], s[0:1]
	s_xor_b64 s[0:1], exec, s[8:9]
; %bb.395:                              ;   in Loop: Header=BB341_168 Depth=1
	v_bfe_u32 v57, v58, 16, 1
	v_add3_u32 v57, v58, v57, s15
                                        ; implicit-def: $vgpr58
; %bb.396:                              ;   in Loop: Header=BB341_168 Depth=1
	s_andn2_saveexec_b64 s[8:9], s[0:1]
; %bb.397:                              ;   in Loop: Header=BB341_168 Depth=1
	v_or_b32_e32 v57, 0x10000, v58
	v_cmp_eq_u32_sdwa s[0:1], v58, v15 src0_sel:WORD_0 src1_sel:DWORD
	s_nop 1
	v_cndmask_b32_e64 v57, v57, v58, s[0:1]
; %bb.398:                              ;   in Loop: Header=BB341_168 Depth=1
	s_or_b64 exec, exec, s[8:9]
	global_load_dwordx2 v[2:3], v[2:3], off offset:1536
	s_waitcnt vmcnt(0)
	v_and_b32_e32 v58, 0xff, v2
	v_cvt_f32_fp8_sdwa v58, v58 src0_sel:BYTE_0
	s_nop 0
	v_mul_f32_e32 v59, s10, v58
	v_and_b32_e32 v58, 0x7f800000, v59
	v_cmp_ne_u32_e64 s[0:1], s14, v58
                                        ; implicit-def: $vgpr58
	s_and_saveexec_b64 s[8:9], s[0:1]
	s_xor_b64 s[0:1], exec, s[8:9]
; %bb.399:                              ;   in Loop: Header=BB341_168 Depth=1
	v_bfe_u32 v58, v59, 16, 1
	v_add3_u32 v58, v59, v58, s15
                                        ; implicit-def: $vgpr59
; %bb.400:                              ;   in Loop: Header=BB341_168 Depth=1
	s_andn2_saveexec_b64 s[8:9], s[0:1]
; %bb.401:                              ;   in Loop: Header=BB341_168 Depth=1
	v_or_b32_e32 v58, 0x10000, v59
	v_cmp_eq_u32_sdwa s[0:1], v59, v15 src0_sel:WORD_0 src1_sel:DWORD
	s_nop 1
	v_cndmask_b32_e64 v58, v58, v59, s[0:1]
; %bb.402:                              ;   in Loop: Header=BB341_168 Depth=1
	s_or_b64 exec, exec, s[8:9]
	v_bfe_u32 v59, v2, 8, 8
	v_cvt_f32_fp8_sdwa v59, v59 src0_sel:BYTE_0
	s_nop 0
	v_mul_f32_e32 v60, s10, v59
	v_and_b32_e32 v59, 0x7f800000, v60
	v_cmp_ne_u32_e64 s[0:1], s14, v59
                                        ; implicit-def: $vgpr59
	s_and_saveexec_b64 s[8:9], s[0:1]
	s_xor_b64 s[0:1], exec, s[8:9]
; %bb.403:                              ;   in Loop: Header=BB341_168 Depth=1
	v_bfe_u32 v59, v60, 16, 1
	v_add3_u32 v59, v60, v59, s15
                                        ; implicit-def: $vgpr60
; %bb.404:                              ;   in Loop: Header=BB341_168 Depth=1
	s_andn2_saveexec_b64 s[8:9], s[0:1]
; %bb.405:                              ;   in Loop: Header=BB341_168 Depth=1
	v_or_b32_e32 v59, 0x10000, v60
	v_cmp_eq_u32_sdwa s[0:1], v60, v15 src0_sel:WORD_0 src1_sel:DWORD
	s_nop 1
	v_cndmask_b32_e64 v59, v59, v60, s[0:1]
; %bb.406:                              ;   in Loop: Header=BB341_168 Depth=1
	s_or_b64 exec, exec, s[8:9]
	v_bfe_u32 v60, v2, 16, 8
	v_cvt_f32_fp8_sdwa v60, v60 src0_sel:BYTE_0
	s_nop 0
	v_mul_f32_e32 v60, s10, v60
	v_and_b32_e32 v61, 0x7f800000, v60
	v_cmp_ne_u32_e64 s[0:1], s14, v61
                                        ; implicit-def: $vgpr61
	s_and_saveexec_b64 s[8:9], s[0:1]
	s_xor_b64 s[0:1], exec, s[8:9]
; %bb.407:                              ;   in Loop: Header=BB341_168 Depth=1
	v_bfe_u32 v61, v60, 16, 1
	v_add3_u32 v61, v60, v61, s15
                                        ; implicit-def: $vgpr60
; %bb.408:                              ;   in Loop: Header=BB341_168 Depth=1
	s_andn2_saveexec_b64 s[8:9], s[0:1]
; %bb.409:                              ;   in Loop: Header=BB341_168 Depth=1
	v_or_b32_e32 v61, 0x10000, v60
	v_cmp_eq_u32_sdwa s[0:1], v60, v15 src0_sel:WORD_0 src1_sel:DWORD
	s_nop 1
	v_cndmask_b32_e64 v61, v61, v60, s[0:1]
; %bb.410:                              ;   in Loop: Header=BB341_168 Depth=1
	s_or_b64 exec, exec, s[8:9]
	v_lshrrev_b32_e32 v2, 24, v2
	v_cvt_f32_fp8_sdwa v2, v2 src0_sel:BYTE_0
	s_nop 0
	v_mul_f32_e32 v60, s10, v2
	v_and_b32_e32 v2, 0x7f800000, v60
	v_cmp_ne_u32_e64 s[0:1], s14, v2
                                        ; implicit-def: $vgpr2
	s_and_saveexec_b64 s[8:9], s[0:1]
	s_xor_b64 s[0:1], exec, s[8:9]
; %bb.411:                              ;   in Loop: Header=BB341_168 Depth=1
	v_bfe_u32 v2, v60, 16, 1
	v_add3_u32 v2, v60, v2, s15
                                        ; implicit-def: $vgpr60
; %bb.412:                              ;   in Loop: Header=BB341_168 Depth=1
	s_andn2_saveexec_b64 s[8:9], s[0:1]
; %bb.413:                              ;   in Loop: Header=BB341_168 Depth=1
	v_or_b32_e32 v2, 0x10000, v60
	v_cmp_eq_u32_sdwa s[0:1], v60, v15 src0_sel:WORD_0 src1_sel:DWORD
	s_nop 1
	v_cndmask_b32_e64 v2, v2, v60, s[0:1]
; %bb.414:                              ;   in Loop: Header=BB341_168 Depth=1
	s_or_b64 exec, exec, s[8:9]
	v_and_b32_e32 v60, 0xff, v3
	v_cvt_f32_fp8_sdwa v60, v60 src0_sel:BYTE_0
	s_nop 0
	v_mul_f32_e32 v60, s10, v60
	v_and_b32_e32 v62, 0x7f800000, v60
	v_cmp_ne_u32_e64 s[0:1], s14, v62
                                        ; implicit-def: $vgpr62
	s_and_saveexec_b64 s[8:9], s[0:1]
	s_xor_b64 s[0:1], exec, s[8:9]
; %bb.415:                              ;   in Loop: Header=BB341_168 Depth=1
	v_bfe_u32 v62, v60, 16, 1
	v_add3_u32 v62, v60, v62, s15
                                        ; implicit-def: $vgpr60
; %bb.416:                              ;   in Loop: Header=BB341_168 Depth=1
	s_andn2_saveexec_b64 s[8:9], s[0:1]
; %bb.417:                              ;   in Loop: Header=BB341_168 Depth=1
	v_or_b32_e32 v62, 0x10000, v60
	v_cmp_eq_u32_sdwa s[0:1], v60, v15 src0_sel:WORD_0 src1_sel:DWORD
	s_nop 1
	v_cndmask_b32_e64 v62, v62, v60, s[0:1]
; %bb.418:                              ;   in Loop: Header=BB341_168 Depth=1
	s_or_b64 exec, exec, s[8:9]
	v_bfe_u32 v60, v3, 8, 8
	v_cvt_f32_fp8_sdwa v60, v60 src0_sel:BYTE_0
	s_nop 0
	v_mul_f32_e32 v63, s10, v60
	v_and_b32_e32 v60, 0x7f800000, v63
	v_cmp_ne_u32_e64 s[0:1], s14, v60
                                        ; implicit-def: $vgpr60
	s_and_saveexec_b64 s[8:9], s[0:1]
	s_xor_b64 s[0:1], exec, s[8:9]
; %bb.419:                              ;   in Loop: Header=BB341_168 Depth=1
	v_bfe_u32 v60, v63, 16, 1
	v_add3_u32 v60, v63, v60, s15
                                        ; implicit-def: $vgpr63
; %bb.420:                              ;   in Loop: Header=BB341_168 Depth=1
	s_andn2_saveexec_b64 s[8:9], s[0:1]
; %bb.421:                              ;   in Loop: Header=BB341_168 Depth=1
	v_or_b32_e32 v60, 0x10000, v63
	v_cmp_eq_u32_sdwa s[0:1], v63, v15 src0_sel:WORD_0 src1_sel:DWORD
	s_nop 1
	v_cndmask_b32_e64 v60, v60, v63, s[0:1]
; %bb.422:                              ;   in Loop: Header=BB341_168 Depth=1
	s_or_b64 exec, exec, s[8:9]
	v_bfe_u32 v63, v3, 16, 8
	v_cvt_f32_fp8_sdwa v63, v63 src0_sel:BYTE_0
	s_nop 0
	v_mul_f32_e32 v63, s10, v63
	v_and_b32_e32 v64, 0x7f800000, v63
	v_cmp_ne_u32_e64 s[0:1], s14, v64
                                        ; implicit-def: $vgpr64
	s_and_saveexec_b64 s[8:9], s[0:1]
	s_xor_b64 s[0:1], exec, s[8:9]
; %bb.423:                              ;   in Loop: Header=BB341_168 Depth=1
	v_bfe_u32 v64, v63, 16, 1
	v_add3_u32 v64, v63, v64, s15
                                        ; implicit-def: $vgpr63
; %bb.424:                              ;   in Loop: Header=BB341_168 Depth=1
	s_andn2_saveexec_b64 s[8:9], s[0:1]
; %bb.425:                              ;   in Loop: Header=BB341_168 Depth=1
	v_or_b32_e32 v64, 0x10000, v63
	v_cmp_eq_u32_sdwa s[0:1], v63, v15 src0_sel:WORD_0 src1_sel:DWORD
	s_nop 1
	v_cndmask_b32_e64 v64, v64, v63, s[0:1]
; %bb.426:                              ;   in Loop: Header=BB341_168 Depth=1
	s_or_b64 exec, exec, s[8:9]
	v_lshrrev_b32_e32 v3, 24, v3
	v_cvt_f32_fp8_sdwa v3, v3 src0_sel:BYTE_0
                                        ; implicit-def: $vgpr65
	s_nop 0
	v_mul_f32_e32 v3, s10, v3
	v_and_b32_e32 v63, 0x7f800000, v3
	v_cmp_ne_u32_e64 s[0:1], s14, v63
	s_and_saveexec_b64 s[8:9], s[0:1]
	s_xor_b64 s[0:1], exec, s[8:9]
; %bb.427:                              ;   in Loop: Header=BB341_168 Depth=1
	v_bfe_u32 v63, v3, 16, 1
	v_add3_u32 v65, v3, v63, s15
                                        ; implicit-def: $vgpr3
; %bb.428:                              ;   in Loop: Header=BB341_168 Depth=1
	s_andn2_saveexec_b64 s[8:9], s[0:1]
; %bb.429:                              ;   in Loop: Header=BB341_168 Depth=1
	v_or_b32_e32 v63, 0x10000, v3
	v_cmp_eq_u32_sdwa s[0:1], v3, v15 src0_sel:WORD_0 src1_sel:DWORD
	s_nop 1
	v_cndmask_b32_e64 v65, v63, v3, s[0:1]
; %bb.430:                              ;   in Loop: Header=BB341_168 Depth=1
	s_or_b64 exec, exec, s[8:9]
	v_lshrrev_b32_e32 v60, 16, v60
	v_lshrrev_b32_e32 v62, 16, v62
	;; [unrolled: 1-line block ×8, first 2 shown]
	s_and_saveexec_b64 s[0:1], vcc
	s_cbranch_execz .LBB341_432
; %bb.431:                              ;   in Loop: Header=BB341_168 Depth=1
	v_cmp_gt_i32_e32 vcc, s17, v28
	s_nop 1
	v_cndmask_b32_e32 v2, 0, v2, vcc
	v_cmp_gt_i32_e32 vcc, s17, v34
	s_nop 1
	v_cndmask_b32_e32 v3, 0, v3, vcc
	;; [unrolled: 3-line block ×8, first 2 shown]
.LBB341_432:                            ;   in Loop: Header=BB341_168 Depth=1
	s_or_b64 exec, exec, s[0:1]
	v_lshlrev_b32_e32 v2, 16, v2
	v_mul_f32_e32 v28, v36, v2
	v_and_b32_e32 v2, 0x7f800000, v28
	v_cmp_ne_u32_e32 vcc, s14, v2
                                        ; implicit-def: $vgpr2
	s_and_saveexec_b64 s[0:1], vcc
	s_xor_b64 s[0:1], exec, s[0:1]
; %bb.433:                              ;   in Loop: Header=BB341_168 Depth=1
	v_bfe_u32 v2, v28, 16, 1
	v_add3_u32 v2, v28, v2, s15
                                        ; implicit-def: $vgpr28
; %bb.434:                              ;   in Loop: Header=BB341_168 Depth=1
	s_andn2_saveexec_b64 s[0:1], s[0:1]
; %bb.435:                              ;   in Loop: Header=BB341_168 Depth=1
	v_or_b32_e32 v2, 0x10000, v28
	v_cmp_eq_u32_sdwa vcc, v28, v15 src0_sel:WORD_0 src1_sel:DWORD
	s_nop 1
	v_cndmask_b32_e32 v2, v2, v28, vcc
; %bb.436:                              ;   in Loop: Header=BB341_168 Depth=1
	s_or_b64 exec, exec, s[0:1]
	v_lshlrev_b32_e32 v3, 16, v3
	v_mul_f32_e32 v28, v37, v3
	v_and_b32_e32 v3, 0x7f800000, v28
	v_cmp_ne_u32_e32 vcc, s14, v3
                                        ; implicit-def: $vgpr3
	s_and_saveexec_b64 s[0:1], vcc
	s_xor_b64 s[0:1], exec, s[0:1]
; %bb.437:                              ;   in Loop: Header=BB341_168 Depth=1
	v_bfe_u32 v3, v28, 16, 1
	v_add3_u32 v3, v28, v3, s15
                                        ; implicit-def: $vgpr28
; %bb.438:                              ;   in Loop: Header=BB341_168 Depth=1
	s_andn2_saveexec_b64 s[0:1], s[0:1]
; %bb.439:                              ;   in Loop: Header=BB341_168 Depth=1
	v_or_b32_e32 v3, 0x10000, v28
	v_cmp_eq_u32_sdwa vcc, v28, v15 src0_sel:WORD_0 src1_sel:DWORD
	s_nop 1
	v_cndmask_b32_e32 v3, v3, v28, vcc
; %bb.440:                              ;   in Loop: Header=BB341_168 Depth=1
	s_or_b64 exec, exec, s[0:1]
	v_lshlrev_b32_e32 v28, 16, v61
	v_mul_f32_e32 v29, v38, v28
	v_and_b32_e32 v28, 0x7f800000, v29
	v_cmp_ne_u32_e32 vcc, s14, v28
                                        ; implicit-def: $vgpr28
	s_and_saveexec_b64 s[0:1], vcc
	s_xor_b64 s[0:1], exec, s[0:1]
; %bb.441:                              ;   in Loop: Header=BB341_168 Depth=1
	v_bfe_u32 v28, v29, 16, 1
	v_add3_u32 v28, v29, v28, s15
                                        ; implicit-def: $vgpr29
; %bb.442:                              ;   in Loop: Header=BB341_168 Depth=1
	s_andn2_saveexec_b64 s[0:1], s[0:1]
; %bb.443:                              ;   in Loop: Header=BB341_168 Depth=1
	v_or_b32_e32 v28, 0x10000, v29
	v_cmp_eq_u32_sdwa vcc, v29, v15 src0_sel:WORD_0 src1_sel:DWORD
	s_nop 1
	v_cndmask_b32_e32 v28, v28, v29, vcc
; %bb.444:                              ;   in Loop: Header=BB341_168 Depth=1
	s_or_b64 exec, exec, s[0:1]
	v_lshlrev_b32_e32 v29, 16, v63
	v_mul_f32_e32 v30, v39, v29
	v_and_b32_e32 v29, 0x7f800000, v30
	v_cmp_ne_u32_e32 vcc, s14, v29
                                        ; implicit-def: $vgpr29
	s_and_saveexec_b64 s[0:1], vcc
	s_xor_b64 s[0:1], exec, s[0:1]
; %bb.445:                              ;   in Loop: Header=BB341_168 Depth=1
	v_bfe_u32 v29, v30, 16, 1
	v_add3_u32 v29, v30, v29, s15
                                        ; implicit-def: $vgpr30
; %bb.446:                              ;   in Loop: Header=BB341_168 Depth=1
	s_andn2_saveexec_b64 s[0:1], s[0:1]
; %bb.447:                              ;   in Loop: Header=BB341_168 Depth=1
	v_or_b32_e32 v29, 0x10000, v30
	v_cmp_eq_u32_sdwa vcc, v30, v15 src0_sel:WORD_0 src1_sel:DWORD
	s_nop 1
	v_cndmask_b32_e32 v29, v29, v30, vcc
; %bb.448:                              ;   in Loop: Header=BB341_168 Depth=1
	s_or_b64 exec, exec, s[0:1]
	v_lshlrev_b32_e32 v30, 16, v62
	v_mul_f32_e32 v31, v40, v30
	v_and_b32_e32 v30, 0x7f800000, v31
	v_cmp_ne_u32_e32 vcc, s14, v30
                                        ; implicit-def: $vgpr30
	s_and_saveexec_b64 s[0:1], vcc
	s_xor_b64 s[0:1], exec, s[0:1]
; %bb.449:                              ;   in Loop: Header=BB341_168 Depth=1
	v_bfe_u32 v30, v31, 16, 1
	v_add3_u32 v30, v31, v30, s15
                                        ; implicit-def: $vgpr31
; %bb.450:                              ;   in Loop: Header=BB341_168 Depth=1
	s_andn2_saveexec_b64 s[0:1], s[0:1]
; %bb.451:                              ;   in Loop: Header=BB341_168 Depth=1
	v_or_b32_e32 v30, 0x10000, v31
	v_cmp_eq_u32_sdwa vcc, v31, v15 src0_sel:WORD_0 src1_sel:DWORD
	s_nop 1
	v_cndmask_b32_e32 v30, v30, v31, vcc
; %bb.452:                              ;   in Loop: Header=BB341_168 Depth=1
	s_or_b64 exec, exec, s[0:1]
	v_lshlrev_b32_e32 v31, 16, v60
	v_mul_f32_e32 v32, v41, v31
	v_and_b32_e32 v31, 0x7f800000, v32
	v_cmp_ne_u32_e32 vcc, s14, v31
                                        ; implicit-def: $vgpr31
	s_and_saveexec_b64 s[0:1], vcc
	s_xor_b64 s[0:1], exec, s[0:1]
; %bb.453:                              ;   in Loop: Header=BB341_168 Depth=1
	v_bfe_u32 v31, v32, 16, 1
	v_add3_u32 v31, v32, v31, s15
                                        ; implicit-def: $vgpr32
; %bb.454:                              ;   in Loop: Header=BB341_168 Depth=1
	s_andn2_saveexec_b64 s[0:1], s[0:1]
; %bb.455:                              ;   in Loop: Header=BB341_168 Depth=1
	v_or_b32_e32 v31, 0x10000, v32
	v_cmp_eq_u32_sdwa vcc, v32, v15 src0_sel:WORD_0 src1_sel:DWORD
	s_nop 1
	v_cndmask_b32_e32 v31, v31, v32, vcc
; %bb.456:                              ;   in Loop: Header=BB341_168 Depth=1
	s_or_b64 exec, exec, s[0:1]
	v_lshlrev_b32_e32 v32, 16, v59
	v_mul_f32_e32 v33, v42, v32
	v_and_b32_e32 v32, 0x7f800000, v33
	v_cmp_ne_u32_e32 vcc, s14, v32
                                        ; implicit-def: $vgpr32
	s_and_saveexec_b64 s[0:1], vcc
	s_xor_b64 s[0:1], exec, s[0:1]
; %bb.457:                              ;   in Loop: Header=BB341_168 Depth=1
	v_bfe_u32 v32, v33, 16, 1
	v_add3_u32 v32, v33, v32, s15
                                        ; implicit-def: $vgpr33
; %bb.458:                              ;   in Loop: Header=BB341_168 Depth=1
	s_andn2_saveexec_b64 s[0:1], s[0:1]
; %bb.459:                              ;   in Loop: Header=BB341_168 Depth=1
	v_or_b32_e32 v32, 0x10000, v33
	v_cmp_eq_u32_sdwa vcc, v33, v15 src0_sel:WORD_0 src1_sel:DWORD
	s_nop 1
	v_cndmask_b32_e32 v32, v32, v33, vcc
; %bb.460:                              ;   in Loop: Header=BB341_168 Depth=1
	s_or_b64 exec, exec, s[0:1]
	v_lshlrev_b32_e32 v33, 16, v58
	v_mul_f32_e32 v34, v43, v33
	v_and_b32_e32 v33, 0x7f800000, v34
	v_cmp_ne_u32_e32 vcc, s14, v33
                                        ; implicit-def: $vgpr33
	s_and_saveexec_b64 s[0:1], vcc
	s_xor_b64 s[0:1], exec, s[0:1]
; %bb.461:                              ;   in Loop: Header=BB341_168 Depth=1
	v_bfe_u32 v33, v34, 16, 1
	v_add3_u32 v33, v34, v33, s15
                                        ; implicit-def: $vgpr34
; %bb.462:                              ;   in Loop: Header=BB341_168 Depth=1
	s_andn2_saveexec_b64 s[0:1], s[0:1]
	s_cbranch_execz .LBB341_167
; %bb.463:                              ;   in Loop: Header=BB341_168 Depth=1
	v_or_b32_e32 v33, 0x10000, v34
	v_cmp_eq_u32_sdwa vcc, v34, v15 src0_sel:WORD_0 src1_sel:DWORD
	s_nop 1
	v_cndmask_b32_e32 v33, v33, v34, vcc
	s_branch .LBB341_167
.LBB341_464:
	s_or_b64 exec, exec, s[6:7]
.LBB341_465:
	s_or_b64 exec, exec, s[2:3]
	ds_bpermute_b32 v2, v21, v12
	ds_bpermute_b32 v3, v21, v13
	;; [unrolled: 1-line block ×4, first 2 shown]
	v_and_b32_e32 v1, 0x3c3, v0
	v_cmp_eq_u32_e32 vcc, 64, v1
	s_waitcnt lgkmcnt(2)
	v_pk_add_f32 v[2:3], v[12:13], v[2:3]
	ds_bpermute_b32 v6, v22, v2
	s_waitcnt lgkmcnt(1)
	v_pk_add_f32 v[8:9], v[10:11], v[4:5]
	ds_bpermute_b32 v7, v22, v3
	ds_bpermute_b32 v10, v22, v8
	;; [unrolled: 1-line block ×3, first 2 shown]
	s_waitcnt lgkmcnt(0)
	s_barrier
	v_pk_add_f32 v[4:5], v[2:3], v[6:7]
	v_pk_add_f32 v[2:3], v[8:9], v[10:11]
	s_and_saveexec_b64 s[0:1], vcc
	s_cbranch_execz .LBB341_467
; %bb.466:
	v_add_u32_e32 v1, 0x90, v20
	ds_write2_b32 v1, v4, v5 offset1:16
	ds_write2_b32 v1, v2, v3 offset0:32 offset1:48
.LBB341_467:
	s_or_b64 exec, exec, s[0:1]
	v_cmp_gt_u32_e32 vcc, 64, v0
	s_waitcnt lgkmcnt(0)
	s_barrier
	s_and_saveexec_b64 s[2:3], vcc
	s_cbranch_execz .LBB341_474
; %bb.468:
	v_cmp_eq_u32_e64 s[0:1], 0, v23
	v_lshrrev_b32_e32 v1, 2, v0
	s_and_saveexec_b64 s[6:7], s[0:1]
	s_cbranch_execnz .LBB341_494
; %bb.469:
	s_or_b64 exec, exec, s[6:7]
	s_and_saveexec_b64 s[6:7], s[0:1]
	s_cbranch_execnz .LBB341_495
.LBB341_470:
	s_or_b64 exec, exec, s[6:7]
	s_and_saveexec_b64 s[6:7], s[0:1]
	s_cbranch_execnz .LBB341_496
.LBB341_471:
	s_or_b64 exec, exec, s[6:7]
	s_and_saveexec_b64 s[6:7], s[0:1]
	s_cbranch_execz .LBB341_473
.LBB341_472:
	v_mov_b32_e32 v6, 0x90
	v_lshl_add_u32 v1, v1, 2, v6
	ds_read_b32 v1, v1 offset:192
	s_waitcnt lgkmcnt(0)
	v_add_f32_e32 v3, v3, v1
.LBB341_473:
	s_or_b64 exec, exec, s[6:7]
.LBB341_474:
	s_or_b64 exec, exec, s[2:3]
	s_barrier
	s_and_saveexec_b64 s[0:1], vcc
	s_cbranch_execz .LBB341_493
; %bb.475:
	v_cmp_eq_u32_e32 vcc, 0, v23
	s_and_b64 exec, exec, vcc
	s_cbranch_execz .LBB341_493
; %bb.476:
	s_mov_b32 s0, 0x7f800000
	v_and_b32_e32 v1, 0x7f800000, v4
	v_cmp_ne_u32_e32 vcc, s0, v1
                                        ; implicit-def: $vgpr6
	s_and_saveexec_b64 s[0:1], vcc
	s_xor_b64 s[0:1], exec, s[0:1]
; %bb.477:
	v_bfe_u32 v1, v4, 16, 1
	s_movk_i32 s2, 0x7fff
	v_add3_u32 v6, v4, v1, s2
; %bb.478:
	s_andn2_saveexec_b64 s[0:1], s[0:1]
; %bb.479:
	v_mov_b32_e32 v1, 0
	v_or_b32_e32 v6, 0x10000, v4
	v_cmp_eq_u32_sdwa vcc, v4, v1 src0_sel:WORD_0 src1_sel:DWORD
	s_nop 1
	v_cndmask_b32_e32 v6, v6, v4, vcc
; %bb.480:
	s_or_b64 exec, exec, s[0:1]
	s_mul_i32 s0, s16, s12
	s_mul_i32 s0, s0, s5
	s_lshl_b32 s0, s0, 6
	s_ashr_i32 s1, s0, 31
	s_lshl_b64 s[0:1], s[0:1], 1
	s_add_u32 s2, s20, s0
	s_mul_i32 s0, s12, s18
	s_addc_u32 s3, s21, s1
	s_ashr_i32 s1, s0, 31
	s_lshl_b64 s[0:1], s[0:1], 1
	s_add_u32 s2, s2, s0
	s_addc_u32 s3, s3, s1
	s_lshl_b32 s0, s4, 6
	s_ashr_i32 s1, s0, 31
	s_lshl_b64 s[0:1], s[0:1], 1
	s_add_u32 s0, s2, s0
	v_lshrrev_b32_e32 v0, 1, v0
	s_mov_b32 s2, 0x7f800000
	v_and_b32_e32 v4, 0x7f800000, v5
	s_addc_u32 s1, s3, s1
	v_and_b32_e32 v0, 0x1fe, v0
	v_mov_b32_e32 v1, 0
	v_cmp_ne_u32_e32 vcc, s2, v4
	global_store_short_d16_hi v0, v6, s[0:1]
                                        ; implicit-def: $vgpr4
	s_and_saveexec_b64 s[2:3], vcc
	s_xor_b64 s[2:3], exec, s[2:3]
; %bb.481:
	v_bfe_u32 v4, v5, 16, 1
	s_movk_i32 s4, 0x7fff
	v_add3_u32 v4, v5, v4, s4
; %bb.482:
	s_or_saveexec_b64 s[2:3], s[2:3]
	v_lshl_add_u64 v[6:7], s[0:1], 0, v[0:1]
	s_xor_b64 exec, exec, s[2:3]
; %bb.483:
	v_mov_b32_e32 v0, 0
	v_or_b32_e32 v1, 0x10000, v5
	v_cmp_eq_u32_sdwa vcc, v5, v0 src0_sel:WORD_0 src1_sel:DWORD
	s_nop 1
	v_cndmask_b32_e32 v4, v1, v5, vcc
; %bb.484:
	s_or_b64 exec, exec, s[2:3]
	s_mov_b32 s0, 0x7f800000
	v_and_b32_e32 v0, 0x7f800000, v2
	v_cmp_ne_u32_e32 vcc, s0, v0
	global_store_short_d16_hi v[6:7], v4, off offset:32
                                        ; implicit-def: $vgpr0
	s_and_saveexec_b64 s[0:1], vcc
	s_xor_b64 s[0:1], exec, s[0:1]
; %bb.485:
	v_bfe_u32 v0, v2, 16, 1
	s_movk_i32 s2, 0x7fff
	v_add3_u32 v0, v2, v0, s2
; %bb.486:
	s_andn2_saveexec_b64 s[0:1], s[0:1]
; %bb.487:
	v_mov_b32_e32 v0, 0
	v_or_b32_e32 v1, 0x10000, v2
	v_cmp_eq_u32_sdwa vcc, v2, v0 src0_sel:WORD_0 src1_sel:DWORD
	s_nop 1
	v_cndmask_b32_e32 v0, v1, v2, vcc
; %bb.488:
	s_or_b64 exec, exec, s[0:1]
	global_store_short_d16_hi v[6:7], v0, off offset:64
	s_mov_b32 s0, 0x7f800000
	v_and_b32_e32 v0, 0x7f800000, v3
	v_cmp_ne_u32_e32 vcc, s0, v0
                                        ; implicit-def: $vgpr4
	s_and_saveexec_b64 s[0:1], vcc
	s_xor_b64 s[0:1], exec, s[0:1]
; %bb.489:
	v_bfe_u32 v0, v3, 16, 1
	s_movk_i32 s2, 0x7fff
	v_add3_u32 v4, v3, v0, s2
                                        ; implicit-def: $vgpr0_vgpr1_vgpr2_vgpr3
; %bb.490:
	s_andn2_saveexec_b64 s[0:1], s[0:1]
; %bb.491:
	v_mov_b32_e32 v0, 0
	v_or_b32_e32 v1, 0x10000, v3
	v_cmp_eq_u32_sdwa vcc, v3, v0 src0_sel:WORD_0 src1_sel:DWORD
	s_nop 1
	v_cndmask_b32_e32 v4, v1, v3, vcc
; %bb.492:
	s_or_b64 exec, exec, s[0:1]
	global_store_short_d16_hi v[6:7], v4, off offset:96
.LBB341_493:
	s_endpgm
.LBB341_494:
	v_mov_b32_e32 v6, 0x90
	v_lshl_add_u32 v6, v1, 2, v6
	ds_read_b32 v6, v6
	s_waitcnt lgkmcnt(0)
	v_add_f32_e32 v4, v4, v6
	s_or_b64 exec, exec, s[6:7]
	s_and_saveexec_b64 s[6:7], s[0:1]
	s_cbranch_execz .LBB341_470
.LBB341_495:
	v_mov_b32_e32 v6, 0x90
	v_lshl_add_u32 v6, v1, 2, v6
	ds_read_b32 v6, v6 offset:64
	s_waitcnt lgkmcnt(0)
	v_add_f32_e32 v5, v5, v6
	s_or_b64 exec, exec, s[6:7]
	s_and_saveexec_b64 s[6:7], s[0:1]
	s_cbranch_execz .LBB341_471
.LBB341_496:
	v_mov_b32_e32 v6, 0x90
	v_lshl_add_u32 v6, v1, 2, v6
	ds_read_b32 v6, v6 offset:128
	s_waitcnt lgkmcnt(0)
	v_add_f32_e32 v2, v2, v6
	s_or_b64 exec, exec, s[6:7]
	s_and_saveexec_b64 s[6:7], s[0:1]
	s_cbranch_execnz .LBB341_472
	s_branch .LBB341_473
	.section	.rodata,"a",@progbits
	.p2align	6, 0x0
	.amdhsa_kernel _ZN4vllm25paged_attention_v1_kernelI14__hip_bfloat16hLi64ELi32ELi128ELNS_18Fp8KVCacheDataTypeE1ELb0EEEvPT_PKS3_PKT0_S9_ifPKiSB_iPKfiiiSD_SD_iiiii
		.amdhsa_group_segment_fixed_size 144
		.amdhsa_private_segment_fixed_size 0
		.amdhsa_kernarg_size 384
		.amdhsa_user_sgpr_count 2
		.amdhsa_user_sgpr_dispatch_ptr 0
		.amdhsa_user_sgpr_queue_ptr 0
		.amdhsa_user_sgpr_kernarg_segment_ptr 1
		.amdhsa_user_sgpr_dispatch_id 0
		.amdhsa_user_sgpr_kernarg_preload_length 0
		.amdhsa_user_sgpr_kernarg_preload_offset 0
		.amdhsa_user_sgpr_private_segment_size 0
		.amdhsa_uses_dynamic_stack 0
		.amdhsa_enable_private_segment 0
		.amdhsa_system_sgpr_workgroup_id_x 1
		.amdhsa_system_sgpr_workgroup_id_y 1
		.amdhsa_system_sgpr_workgroup_id_z 1
		.amdhsa_system_sgpr_workgroup_info 0
		.amdhsa_system_vgpr_workitem_id 0
		.amdhsa_next_free_vgpr 82
		.amdhsa_next_free_sgpr 39
		.amdhsa_accum_offset 84
		.amdhsa_reserve_vcc 1
		.amdhsa_float_round_mode_32 0
		.amdhsa_float_round_mode_16_64 0
		.amdhsa_float_denorm_mode_32 3
		.amdhsa_float_denorm_mode_16_64 3
		.amdhsa_dx10_clamp 1
		.amdhsa_ieee_mode 1
		.amdhsa_fp16_overflow 0
		.amdhsa_tg_split 0
		.amdhsa_exception_fp_ieee_invalid_op 0
		.amdhsa_exception_fp_denorm_src 0
		.amdhsa_exception_fp_ieee_div_zero 0
		.amdhsa_exception_fp_ieee_overflow 0
		.amdhsa_exception_fp_ieee_underflow 0
		.amdhsa_exception_fp_ieee_inexact 0
		.amdhsa_exception_int_div_zero 0
	.end_amdhsa_kernel
	.section	.text._ZN4vllm25paged_attention_v1_kernelI14__hip_bfloat16hLi64ELi32ELi128ELNS_18Fp8KVCacheDataTypeE1ELb0EEEvPT_PKS3_PKT0_S9_ifPKiSB_iPKfiiiSD_SD_iiiii,"axG",@progbits,_ZN4vllm25paged_attention_v1_kernelI14__hip_bfloat16hLi64ELi32ELi128ELNS_18Fp8KVCacheDataTypeE1ELb0EEEvPT_PKS3_PKT0_S9_ifPKiSB_iPKfiiiSD_SD_iiiii,comdat
.Lfunc_end341:
	.size	_ZN4vllm25paged_attention_v1_kernelI14__hip_bfloat16hLi64ELi32ELi128ELNS_18Fp8KVCacheDataTypeE1ELb0EEEvPT_PKS3_PKT0_S9_ifPKiSB_iPKfiiiSD_SD_iiiii, .Lfunc_end341-_ZN4vllm25paged_attention_v1_kernelI14__hip_bfloat16hLi64ELi32ELi128ELNS_18Fp8KVCacheDataTypeE1ELb0EEEvPT_PKS3_PKT0_S9_ifPKiSB_iPKfiiiSD_SD_iiiii
                                        ; -- End function
	.section	.AMDGPU.csdata,"",@progbits
; Kernel info:
; codeLenInByte = 14956
; NumSgprs: 45
; NumVgprs: 82
; NumAgprs: 0
; TotalNumVgprs: 82
; ScratchSize: 0
; MemoryBound: 0
; FloatMode: 240
; IeeeMode: 1
; LDSByteSize: 144 bytes/workgroup (compile time only)
; SGPRBlocks: 5
; VGPRBlocks: 10
; NumSGPRsForWavesPerEU: 45
; NumVGPRsForWavesPerEU: 82
; AccumOffset: 84
; Occupancy: 5
; WaveLimiterHint : 1
; COMPUTE_PGM_RSRC2:SCRATCH_EN: 0
; COMPUTE_PGM_RSRC2:USER_SGPR: 2
; COMPUTE_PGM_RSRC2:TRAP_HANDLER: 0
; COMPUTE_PGM_RSRC2:TGID_X_EN: 1
; COMPUTE_PGM_RSRC2:TGID_Y_EN: 1
; COMPUTE_PGM_RSRC2:TGID_Z_EN: 1
; COMPUTE_PGM_RSRC2:TIDIG_COMP_CNT: 0
; COMPUTE_PGM_RSRC3_GFX90A:ACCUM_OFFSET: 20
; COMPUTE_PGM_RSRC3_GFX90A:TG_SPLIT: 0
	.section	.text._ZN4vllm25paged_attention_v1_kernelI14__hip_bfloat16hLi80ELi32ELi128ELNS_18Fp8KVCacheDataTypeE1ELb0EEEvPT_PKS3_PKT0_S9_ifPKiSB_iPKfiiiSD_SD_iiiii,"axG",@progbits,_ZN4vllm25paged_attention_v1_kernelI14__hip_bfloat16hLi80ELi32ELi128ELNS_18Fp8KVCacheDataTypeE1ELb0EEEvPT_PKS3_PKT0_S9_ifPKiSB_iPKfiiiSD_SD_iiiii,comdat
	.protected	_ZN4vllm25paged_attention_v1_kernelI14__hip_bfloat16hLi80ELi32ELi128ELNS_18Fp8KVCacheDataTypeE1ELb0EEEvPT_PKS3_PKT0_S9_ifPKiSB_iPKfiiiSD_SD_iiiii ; -- Begin function _ZN4vllm25paged_attention_v1_kernelI14__hip_bfloat16hLi80ELi32ELi128ELNS_18Fp8KVCacheDataTypeE1ELb0EEEvPT_PKS3_PKT0_S9_ifPKiSB_iPKfiiiSD_SD_iiiii
	.globl	_ZN4vllm25paged_attention_v1_kernelI14__hip_bfloat16hLi80ELi32ELi128ELNS_18Fp8KVCacheDataTypeE1ELb0EEEvPT_PKS3_PKT0_S9_ifPKiSB_iPKfiiiSD_SD_iiiii
	.p2align	8
	.type	_ZN4vllm25paged_attention_v1_kernelI14__hip_bfloat16hLi80ELi32ELi128ELNS_18Fp8KVCacheDataTypeE1ELb0EEEvPT_PKS3_PKT0_S9_ifPKiSB_iPKfiiiSD_SD_iiiii,@function
_ZN4vllm25paged_attention_v1_kernelI14__hip_bfloat16hLi80ELi32ELi128ELNS_18Fp8KVCacheDataTypeE1ELb0EEEvPT_PKS3_PKT0_S9_ifPKiSB_iPKfiiiSD_SD_iiiii: ; @_ZN4vllm25paged_attention_v1_kernelI14__hip_bfloat16hLi80ELi32ELi128ELNS_18Fp8KVCacheDataTypeE1ELb0EEEvPT_PKS3_PKT0_S9_ifPKiSB_iPKfiiiSD_SD_iiiii
; %bb.0:
	s_load_dword s5, s[0:1], 0x80
	s_load_dwordx2 s[6:7], s[0:1], 0x30
	s_load_dwordx2 s[28:29], s[0:1], 0x20
	s_mov_b32 s16, s3
	s_ashr_i32 s17, s3, 31
	s_lshl_b64 s[8:9], s[16:17], 2
	s_waitcnt lgkmcnt(0)
	s_add_u32 s6, s6, s8
	s_addc_u32 s7, s7, s9
	s_abs_i32 s3, s28
	v_cvt_f32_u32_e32 v1, s3
	s_sub_i32 s10, 0, s3
	s_abs_i32 s9, s5
	s_xor_b32 s8, s5, s28
	v_rcp_iflag_f32_e32 v1, v1
	s_ashr_i32 s8, s8, 31
	s_mov_b32 s28, 0
	v_mul_f32_e32 v1, 0x4f7ffffe, v1
	v_cvt_u32_f32_e32 v1, v1
	s_nop 0
	v_readfirstlane_b32 s11, v1
	s_mul_i32 s10, s10, s11
	s_mul_hi_u32 s10, s11, s10
	s_add_i32 s11, s11, s10
	s_mul_hi_u32 s10, s9, s11
	s_mul_i32 s11, s10, s3
	s_sub_i32 s9, s9, s11
	s_add_i32 s11, s10, 1
	s_sub_i32 s12, s9, s3
	s_cmp_ge_u32 s9, s3
	s_cselect_b32 s10, s11, s10
	s_cselect_b32 s9, s12, s9
	s_add_i32 s11, s10, 1
	s_cmp_ge_u32 s9, s3
	s_cselect_b32 s3, s11, s10
	s_xor_b32 s3, s3, s8
	s_sub_i32 s12, s3, s8
	s_abs_i32 s10, s12
	v_cvt_f32_u32_e32 v1, s10
	s_load_dwordx2 s[8:9], s[0:1], 0x40
	s_sub_i32 s3, 0, s10
	s_abs_i32 s11, s2
	v_rcp_iflag_f32_e32 v1, v1
	s_nop 0
	v_mul_f32_e32 v1, 0x4f7ffffe, v1
	v_cvt_u32_f32_e32 v1, v1
	s_nop 0
	v_readfirstlane_b32 s13, v1
	s_mul_i32 s3, s3, s13
	s_mul_hi_u32 s3, s13, s3
	s_add_i32 s13, s13, s3
	s_waitcnt lgkmcnt(0)
	s_cmp_eq_u64 s[8:9], 0
	s_mul_hi_u32 s20, s11, s13
	s_cbranch_scc1 .LBB342_2
; %bb.1:
	s_ashr_i32 s3, s2, 31
	s_lshl_b64 s[14:15], s[2:3], 2
	s_add_u32 s8, s8, s14
	s_addc_u32 s9, s9, s15
	s_load_dword s28, s[8:9], 0x0
.LBB342_2:
	s_load_dword s17, s[6:7], 0x0
	s_ashr_i32 s7, s12, 31
	s_load_dwordx4 s[12:15], s[0:1], 0x48
	s_ashr_i32 s6, s2, 31
	v_and_b32_e32 v6, 1, v0
	s_movk_i32 s8, 0x50
	s_mul_i32 s18, s2, 0x50
	v_cmp_gt_u32_e32 vcc, 20, v0
	v_lshlrev_b32_e32 v15, 3, v0
	s_and_saveexec_b64 s[2:3], vcc
	s_cbranch_execz .LBB342_4
; %bb.3:
	s_load_dwordx2 s[22:23], s[0:1], 0x8
	s_waitcnt lgkmcnt(0)
	s_mul_i32 s24, s16, s12
	s_ashr_i32 s25, s24, 31
	s_lshl_b64 s[24:25], s[24:25], 1
	v_lshlrev_b32_e32 v1, 2, v0
	s_add_u32 s9, s22, s24
	s_addc_u32 s12, s23, s25
	s_ashr_i32 s19, s18, 31
	s_lshl_b64 s[22:23], s[18:19], 1
	s_add_u32 s22, s9, s22
	s_addc_u32 s23, s12, s23
	global_load_dwordx2 v[2:3], v15, s[22:23]
	v_and_b32_e32 v1, 0xff8, v1
	v_mad_u32_u24 v1, v6, s8, v1
	s_waitcnt vmcnt(0)
	ds_write_b64 v1, v[2:3]
.LBB342_4:
	s_or_b64 exec, exec, s[2:3]
	s_waitcnt lgkmcnt(0)
	s_add_i32 s3, s17, 31
	s_ashr_i32 s8, s3, 31
	s_lshr_b32 s8, s8, 27
	s_add_i32 s3, s3, s8
	s_ashr_i32 s19, s3, 5
	s_xor_b32 s3, s6, s7
	s_mul_i32 s6, s20, s10
	s_sub_i32 s6, s11, s6
	s_add_i32 s7, s20, 1
	s_sub_i32 s8, s6, s10
	s_load_dwordx2 s[22:23], s[0:1], 0x28
	s_load_dword s2, s[0:1], 0x38
	s_cmp_ge_u32 s6, s10
	s_cselect_b32 s7, s7, s20
	s_cselect_b32 s6, s8, s6
	s_add_i32 s8, s7, 1
	s_cmp_ge_u32 s6, s10
	s_cselect_b32 s6, s8, s7
	v_lshrrev_b32_e32 v1, 6, v0
	s_xor_b32 s6, s6, s3
	s_waitcnt lgkmcnt(0)
	s_mul_i32 s24, s16, s2
	s_sub_i32 s33, s6, s3
	s_ashr_i32 s25, s24, 31
	v_cmp_gt_i32_e64 s[6:7], s19, v1
	v_cmp_le_i32_e32 vcc, s19, v1
	v_mbcnt_lo_u32_b32 v7, -1, 0
	s_barrier
	s_waitcnt lgkmcnt(0)
                                        ; implicit-def: $sgpr15
                                        ; implicit-def: $vgpr10
                                        ; implicit-def: $vgpr11
	s_and_saveexec_b64 s[2:3], vcc
	s_xor_b64 s[2:3], exec, s[2:3]
; %bb.5:
	v_mbcnt_hi_u32_b32 v10, -1, v7
	v_and_b32_e32 v2, 64, v10
	v_add_u32_e32 v11, 64, v2
	s_mov_b32 s15, 0xff7fffff
                                        ; implicit-def: $vgpr6
                                        ; implicit-def: $vgpr7
; %bb.6:
	s_or_saveexec_b64 s[30:31], s[2:3]
	s_load_dwordx2 s[20:21], s[0:1], 0x0
	s_load_dwordx2 s[26:27], s[0:1], 0x18
	s_load_dword s12, s[0:1], 0x88
	s_load_dwordx4 s[8:11], s[0:1], 0x58
	v_mov_b32_e32 v50, s15
	s_mul_i32 s33, s33, s14
	v_lshrrev_b32_e32 v18, 4, v0
	s_xor_b64 exec, exec, s[30:31]
	s_cbranch_execz .LBB342_172
; %bb.7:
	v_mul_u32_u24_e32 v46, 0x50, v6
	ds_read_b128 v[8:11], v46
	ds_read_b128 v[26:29], v46 offset:16
	ds_read_b128 v[34:37], v46 offset:32
	;; [unrolled: 1-line block ×3, first 2 shown]
	s_load_dwordx2 s[0:1], s[0:1], 0x10
	s_ashr_i32 s2, s33, 31
	v_bfe_u32 v50, v0, 1, 5
	s_waitcnt lgkmcnt(0)
	v_lshlrev_b32_e32 v12, 16, v8
	v_and_b32_e32 v13, 0xffff0000, v8
	v_lshlrev_b32_e32 v14, 16, v9
	v_and_b32_e32 v16, 0xffff0000, v9
	;; [unrolled: 2-line block ×4, first 2 shown]
	ds_read_b128 v[8:11], v46 offset:64
	s_add_u32 s0, s0, s33
	v_lshlrev_b32_e32 v2, 4, v50
	s_addc_u32 s1, s1, s2
	v_mov_b32_e32 v3, 0
	s_waitcnt lgkmcnt(0)
	v_lshlrev_b32_e32 v51, 16, v10
	v_and_b32_e32 v52, 0xffff0000, v10
	v_mbcnt_hi_u32_b32 v10, -1, v7
	v_lshlrev_b32_e32 v46, 16, v8
	v_and_b32_e32 v47, 0xffff0000, v8
	v_and_b32_e32 v8, 64, v10
	v_lshlrev_b32_e32 v53, 16, v11
	v_and_b32_e32 v54, 0xffff0000, v11
	v_xor_b32_e32 v7, 1, v10
	v_add_u32_e32 v11, 64, v8
	v_cmp_lt_i32_e32 vcc, v7, v11
	s_load_dword s35, s[8:9], 0x0
	v_lshl_add_u64 v[4:5], s[0:1], 0, v[2:3]
	v_lshlrev_b32_e32 v2, 2, v6
	v_cndmask_b32_e32 v7, v10, v7, vcc
	v_cmp_eq_u32_e32 vcc, 0, v6
	s_sub_i32 s36, 1, s17
	v_lshlrev_b32_e32 v6, 2, v50
	s_lshl_b64 s[0:1], s[24:25], 2
	v_lshl_or_b32 v6, v1, 7, v6
	s_add_u32 s0, s22, s0
	v_lshlrev_b32_e32 v55, 2, v7
	v_add_u32_e32 v57, 0xb0, v6
	v_and_b32_e32 v6, 60, v18
	v_mov_b32_e32 v7, v3
	s_addc_u32 s1, s23, s1
	s_mov_b32 s34, s13
	v_lshlrev_b32_e32 v22, 16, v26
	v_and_b32_e32 v23, 0xffff0000, v26
	v_lshlrev_b32_e32 v24, 16, v27
	v_and_b32_e32 v25, 0xffff0000, v27
	;; [unrolled: 2-line block ×13, first 2 shown]
	v_cmp_neq_f32_e64 s[2:3], s28, 0
	v_lshl_or_b32 v56, v1, 5, v50
	v_lshl_add_u64 v[6:7], s[0:1], 0, v[6:7]
	s_mov_b64 s[8:9], 0
	v_mov_b32_e32 v50, 0xff7fffff
	s_mov_b32 s37, 0x7f800000
	s_movk_i32 s38, 0x7fff
	v_mov_b32_e32 v58, v1
	s_branch .LBB342_9
.LBB342_8:                              ;   in Loop: Header=BB342_9 Depth=1
	s_or_b64 exec, exec, s[14:15]
	v_add_u32_e32 v58, 2, v58
	v_cmp_le_i32_e64 s[0:1], s19, v58
	v_add_u32_e32 v56, 64, v56
	v_add_u32_e32 v57, 0x100, v57
	s_or_b64 s[8:9], s[0:1], s[8:9]
	v_lshl_add_u64 v[6:7], v[6:7], 0, 8
	s_andn2_b64 exec, exec, s[8:9]
	s_cbranch_execz .LBB342_171
.LBB342_9:                              ; =>This Inner Loop Header: Depth=1
	global_load_dword v8, v[6:7], off
	s_waitcnt vmcnt(0) lgkmcnt(0)
	v_mad_i64_i32 v[8:9], s[0:1], v8, s34, v[4:5]
	v_lshl_add_u64 v[8:9], v[8:9], 0, v[2:3]
	global_load_dword v62, v[8:9], off
	s_waitcnt vmcnt(0)
	v_and_b32_e32 v59, 0xff, v62
	v_cvt_f32_fp8_sdwa v59, v59 src0_sel:BYTE_0
	s_waitcnt lgkmcnt(0)
	v_mul_f32_e32 v60, s35, v59
	v_and_b32_e32 v59, 0x7f800000, v60
	v_cmp_ne_u32_e64 s[0:1], s37, v59
                                        ; implicit-def: $vgpr59
	s_and_saveexec_b64 s[14:15], s[0:1]
	s_xor_b64 s[0:1], exec, s[14:15]
; %bb.10:                               ;   in Loop: Header=BB342_9 Depth=1
	v_bfe_u32 v59, v60, 16, 1
	v_add3_u32 v59, v60, v59, s38
                                        ; implicit-def: $vgpr60
; %bb.11:                               ;   in Loop: Header=BB342_9 Depth=1
	s_andn2_saveexec_b64 s[14:15], s[0:1]
; %bb.12:                               ;   in Loop: Header=BB342_9 Depth=1
	v_or_b32_e32 v59, 0x10000, v60
	v_cmp_eq_u32_sdwa s[0:1], v60, v3 src0_sel:WORD_0 src1_sel:DWORD
	s_nop 1
	v_cndmask_b32_e64 v59, v59, v60, s[0:1]
; %bb.13:                               ;   in Loop: Header=BB342_9 Depth=1
	s_or_b64 exec, exec, s[14:15]
	v_bfe_u32 v60, v62, 8, 8
	v_cvt_f32_fp8_sdwa v60, v60 src0_sel:BYTE_0
	s_nop 0
	v_mul_f32_e32 v61, s35, v60
	v_and_b32_e32 v60, 0x7f800000, v61
	v_cmp_ne_u32_e64 s[0:1], s37, v60
                                        ; implicit-def: $vgpr60
	s_and_saveexec_b64 s[14:15], s[0:1]
	s_xor_b64 s[0:1], exec, s[14:15]
; %bb.14:                               ;   in Loop: Header=BB342_9 Depth=1
	v_bfe_u32 v60, v61, 16, 1
	v_add3_u32 v60, v61, v60, s38
                                        ; implicit-def: $vgpr61
; %bb.15:                               ;   in Loop: Header=BB342_9 Depth=1
	s_andn2_saveexec_b64 s[14:15], s[0:1]
; %bb.16:                               ;   in Loop: Header=BB342_9 Depth=1
	v_or_b32_e32 v60, 0x10000, v61
	v_cmp_eq_u32_sdwa s[0:1], v61, v3 src0_sel:WORD_0 src1_sel:DWORD
	s_nop 1
	v_cndmask_b32_e64 v60, v60, v61, s[0:1]
; %bb.17:                               ;   in Loop: Header=BB342_9 Depth=1
	s_or_b64 exec, exec, s[14:15]
	v_bfe_u32 v61, v62, 16, 8
	v_cvt_f32_fp8_sdwa v61, v61 src0_sel:BYTE_0
	s_nop 0
	v_mul_f32_e32 v63, s35, v61
	v_and_b32_e32 v61, 0x7f800000, v63
	v_cmp_ne_u32_e64 s[0:1], s37, v61
                                        ; implicit-def: $vgpr61
	s_and_saveexec_b64 s[14:15], s[0:1]
	s_xor_b64 s[0:1], exec, s[14:15]
; %bb.18:                               ;   in Loop: Header=BB342_9 Depth=1
	v_bfe_u32 v61, v63, 16, 1
	v_add3_u32 v61, v63, v61, s38
                                        ; implicit-def: $vgpr63
; %bb.19:                               ;   in Loop: Header=BB342_9 Depth=1
	s_andn2_saveexec_b64 s[14:15], s[0:1]
; %bb.20:                               ;   in Loop: Header=BB342_9 Depth=1
	v_or_b32_e32 v61, 0x10000, v63
	v_cmp_eq_u32_sdwa s[0:1], v63, v3 src0_sel:WORD_0 src1_sel:DWORD
	s_nop 1
	v_cndmask_b32_e64 v61, v61, v63, s[0:1]
; %bb.21:                               ;   in Loop: Header=BB342_9 Depth=1
	s_or_b64 exec, exec, s[14:15]
	v_lshrrev_b32_e32 v62, 24, v62
	v_cvt_f32_fp8_sdwa v62, v62 src0_sel:BYTE_0
	s_nop 0
	v_mul_f32_e32 v63, s35, v62
	v_and_b32_e32 v62, 0x7f800000, v63
	v_cmp_ne_u32_e64 s[0:1], s37, v62
                                        ; implicit-def: $vgpr62
	s_and_saveexec_b64 s[14:15], s[0:1]
	s_xor_b64 s[0:1], exec, s[14:15]
; %bb.22:                               ;   in Loop: Header=BB342_9 Depth=1
	v_bfe_u32 v62, v63, 16, 1
	v_add3_u32 v62, v63, v62, s38
                                        ; implicit-def: $vgpr63
; %bb.23:                               ;   in Loop: Header=BB342_9 Depth=1
	s_andn2_saveexec_b64 s[14:15], s[0:1]
; %bb.24:                               ;   in Loop: Header=BB342_9 Depth=1
	v_or_b32_e32 v62, 0x10000, v63
	v_cmp_eq_u32_sdwa s[0:1], v63, v3 src0_sel:WORD_0 src1_sel:DWORD
	s_nop 1
	v_cndmask_b32_e64 v62, v62, v63, s[0:1]
; %bb.25:                               ;   in Loop: Header=BB342_9 Depth=1
	s_or_b64 exec, exec, s[14:15]
	global_load_dword v66, v[8:9], off offset:8
	s_waitcnt vmcnt(0)
	v_and_b32_e32 v63, 0xff, v66
	v_cvt_f32_fp8_sdwa v63, v63 src0_sel:BYTE_0
	s_nop 0
	v_mul_f32_e32 v64, s35, v63
	v_and_b32_e32 v63, 0x7f800000, v64
	v_cmp_ne_u32_e64 s[0:1], s37, v63
                                        ; implicit-def: $vgpr63
	s_and_saveexec_b64 s[14:15], s[0:1]
	s_xor_b64 s[0:1], exec, s[14:15]
; %bb.26:                               ;   in Loop: Header=BB342_9 Depth=1
	v_bfe_u32 v63, v64, 16, 1
	v_add3_u32 v63, v64, v63, s38
                                        ; implicit-def: $vgpr64
; %bb.27:                               ;   in Loop: Header=BB342_9 Depth=1
	s_andn2_saveexec_b64 s[14:15], s[0:1]
; %bb.28:                               ;   in Loop: Header=BB342_9 Depth=1
	v_or_b32_e32 v63, 0x10000, v64
	v_cmp_eq_u32_sdwa s[0:1], v64, v3 src0_sel:WORD_0 src1_sel:DWORD
	s_nop 1
	v_cndmask_b32_e64 v63, v63, v64, s[0:1]
; %bb.29:                               ;   in Loop: Header=BB342_9 Depth=1
	s_or_b64 exec, exec, s[14:15]
	v_bfe_u32 v64, v66, 8, 8
	v_cvt_f32_fp8_sdwa v64, v64 src0_sel:BYTE_0
	s_nop 0
	v_mul_f32_e32 v65, s35, v64
	v_and_b32_e32 v64, 0x7f800000, v65
	v_cmp_ne_u32_e64 s[0:1], s37, v64
                                        ; implicit-def: $vgpr64
	s_and_saveexec_b64 s[14:15], s[0:1]
	s_xor_b64 s[0:1], exec, s[14:15]
; %bb.30:                               ;   in Loop: Header=BB342_9 Depth=1
	v_bfe_u32 v64, v65, 16, 1
	v_add3_u32 v64, v65, v64, s38
                                        ; implicit-def: $vgpr65
; %bb.31:                               ;   in Loop: Header=BB342_9 Depth=1
	s_andn2_saveexec_b64 s[14:15], s[0:1]
; %bb.32:                               ;   in Loop: Header=BB342_9 Depth=1
	v_or_b32_e32 v64, 0x10000, v65
	v_cmp_eq_u32_sdwa s[0:1], v65, v3 src0_sel:WORD_0 src1_sel:DWORD
	s_nop 1
	v_cndmask_b32_e64 v64, v64, v65, s[0:1]
; %bb.33:                               ;   in Loop: Header=BB342_9 Depth=1
	s_or_b64 exec, exec, s[14:15]
	v_bfe_u32 v65, v66, 16, 8
	v_cvt_f32_fp8_sdwa v65, v65 src0_sel:BYTE_0
	s_nop 0
	v_mul_f32_e32 v67, s35, v65
	v_and_b32_e32 v65, 0x7f800000, v67
	v_cmp_ne_u32_e64 s[0:1], s37, v65
                                        ; implicit-def: $vgpr65
	s_and_saveexec_b64 s[14:15], s[0:1]
	s_xor_b64 s[0:1], exec, s[14:15]
; %bb.34:                               ;   in Loop: Header=BB342_9 Depth=1
	v_bfe_u32 v65, v67, 16, 1
	v_add3_u32 v65, v67, v65, s38
                                        ; implicit-def: $vgpr67
; %bb.35:                               ;   in Loop: Header=BB342_9 Depth=1
	s_andn2_saveexec_b64 s[14:15], s[0:1]
; %bb.36:                               ;   in Loop: Header=BB342_9 Depth=1
	v_or_b32_e32 v65, 0x10000, v67
	v_cmp_eq_u32_sdwa s[0:1], v67, v3 src0_sel:WORD_0 src1_sel:DWORD
	s_nop 1
	v_cndmask_b32_e64 v65, v65, v67, s[0:1]
; %bb.37:                               ;   in Loop: Header=BB342_9 Depth=1
	s_or_b64 exec, exec, s[14:15]
	v_lshrrev_b32_e32 v66, 24, v66
	v_cvt_f32_fp8_sdwa v66, v66 src0_sel:BYTE_0
	s_nop 0
	v_mul_f32_e32 v67, s35, v66
	v_and_b32_e32 v66, 0x7f800000, v67
	v_cmp_ne_u32_e64 s[0:1], s37, v66
                                        ; implicit-def: $vgpr66
	s_and_saveexec_b64 s[14:15], s[0:1]
	s_xor_b64 s[0:1], exec, s[14:15]
; %bb.38:                               ;   in Loop: Header=BB342_9 Depth=1
	v_bfe_u32 v66, v67, 16, 1
	v_add3_u32 v66, v67, v66, s38
                                        ; implicit-def: $vgpr67
; %bb.39:                               ;   in Loop: Header=BB342_9 Depth=1
	s_andn2_saveexec_b64 s[14:15], s[0:1]
; %bb.40:                               ;   in Loop: Header=BB342_9 Depth=1
	v_or_b32_e32 v66, 0x10000, v67
	v_cmp_eq_u32_sdwa s[0:1], v67, v3 src0_sel:WORD_0 src1_sel:DWORD
	s_nop 1
	v_cndmask_b32_e64 v66, v66, v67, s[0:1]
; %bb.41:                               ;   in Loop: Header=BB342_9 Depth=1
	s_or_b64 exec, exec, s[14:15]
	global_load_dword v70, v[8:9], off offset:512
	s_waitcnt vmcnt(0)
	v_and_b32_e32 v67, 0xff, v70
	v_cvt_f32_fp8_sdwa v67, v67 src0_sel:BYTE_0
	s_nop 0
	v_mul_f32_e32 v68, s35, v67
	v_and_b32_e32 v67, 0x7f800000, v68
	v_cmp_ne_u32_e64 s[0:1], s37, v67
                                        ; implicit-def: $vgpr67
	s_and_saveexec_b64 s[14:15], s[0:1]
	s_xor_b64 s[0:1], exec, s[14:15]
; %bb.42:                               ;   in Loop: Header=BB342_9 Depth=1
	v_bfe_u32 v67, v68, 16, 1
	v_add3_u32 v67, v68, v67, s38
                                        ; implicit-def: $vgpr68
; %bb.43:                               ;   in Loop: Header=BB342_9 Depth=1
	s_andn2_saveexec_b64 s[14:15], s[0:1]
; %bb.44:                               ;   in Loop: Header=BB342_9 Depth=1
	v_or_b32_e32 v67, 0x10000, v68
	v_cmp_eq_u32_sdwa s[0:1], v68, v3 src0_sel:WORD_0 src1_sel:DWORD
	s_nop 1
	v_cndmask_b32_e64 v67, v67, v68, s[0:1]
; %bb.45:                               ;   in Loop: Header=BB342_9 Depth=1
	s_or_b64 exec, exec, s[14:15]
	v_bfe_u32 v68, v70, 8, 8
	v_cvt_f32_fp8_sdwa v68, v68 src0_sel:BYTE_0
	s_nop 0
	v_mul_f32_e32 v69, s35, v68
	v_and_b32_e32 v68, 0x7f800000, v69
	v_cmp_ne_u32_e64 s[0:1], s37, v68
                                        ; implicit-def: $vgpr68
	s_and_saveexec_b64 s[14:15], s[0:1]
	s_xor_b64 s[0:1], exec, s[14:15]
; %bb.46:                               ;   in Loop: Header=BB342_9 Depth=1
	v_bfe_u32 v68, v69, 16, 1
	v_add3_u32 v68, v69, v68, s38
                                        ; implicit-def: $vgpr69
; %bb.47:                               ;   in Loop: Header=BB342_9 Depth=1
	s_andn2_saveexec_b64 s[14:15], s[0:1]
; %bb.48:                               ;   in Loop: Header=BB342_9 Depth=1
	v_or_b32_e32 v68, 0x10000, v69
	v_cmp_eq_u32_sdwa s[0:1], v69, v3 src0_sel:WORD_0 src1_sel:DWORD
	s_nop 1
	v_cndmask_b32_e64 v68, v68, v69, s[0:1]
; %bb.49:                               ;   in Loop: Header=BB342_9 Depth=1
	s_or_b64 exec, exec, s[14:15]
	v_bfe_u32 v69, v70, 16, 8
	v_cvt_f32_fp8_sdwa v69, v69 src0_sel:BYTE_0
	s_nop 0
	v_mul_f32_e32 v71, s35, v69
	v_and_b32_e32 v69, 0x7f800000, v71
	v_cmp_ne_u32_e64 s[0:1], s37, v69
                                        ; implicit-def: $vgpr69
	s_and_saveexec_b64 s[14:15], s[0:1]
	s_xor_b64 s[0:1], exec, s[14:15]
; %bb.50:                               ;   in Loop: Header=BB342_9 Depth=1
	v_bfe_u32 v69, v71, 16, 1
	v_add3_u32 v69, v71, v69, s38
                                        ; implicit-def: $vgpr71
; %bb.51:                               ;   in Loop: Header=BB342_9 Depth=1
	s_andn2_saveexec_b64 s[14:15], s[0:1]
; %bb.52:                               ;   in Loop: Header=BB342_9 Depth=1
	v_or_b32_e32 v69, 0x10000, v71
	v_cmp_eq_u32_sdwa s[0:1], v71, v3 src0_sel:WORD_0 src1_sel:DWORD
	s_nop 1
	v_cndmask_b32_e64 v69, v69, v71, s[0:1]
; %bb.53:                               ;   in Loop: Header=BB342_9 Depth=1
	s_or_b64 exec, exec, s[14:15]
	v_lshrrev_b32_e32 v70, 24, v70
	v_cvt_f32_fp8_sdwa v70, v70 src0_sel:BYTE_0
	s_nop 0
	v_mul_f32_e32 v71, s35, v70
	v_and_b32_e32 v70, 0x7f800000, v71
	v_cmp_ne_u32_e64 s[0:1], s37, v70
                                        ; implicit-def: $vgpr70
	s_and_saveexec_b64 s[14:15], s[0:1]
	s_xor_b64 s[0:1], exec, s[14:15]
; %bb.54:                               ;   in Loop: Header=BB342_9 Depth=1
	v_bfe_u32 v70, v71, 16, 1
	v_add3_u32 v70, v71, v70, s38
                                        ; implicit-def: $vgpr71
; %bb.55:                               ;   in Loop: Header=BB342_9 Depth=1
	s_andn2_saveexec_b64 s[14:15], s[0:1]
; %bb.56:                               ;   in Loop: Header=BB342_9 Depth=1
	v_or_b32_e32 v70, 0x10000, v71
	v_cmp_eq_u32_sdwa s[0:1], v71, v3 src0_sel:WORD_0 src1_sel:DWORD
	s_nop 1
	v_cndmask_b32_e64 v70, v70, v71, s[0:1]
; %bb.57:                               ;   in Loop: Header=BB342_9 Depth=1
	s_or_b64 exec, exec, s[14:15]
	global_load_dword v74, v[8:9], off offset:520
	s_waitcnt vmcnt(0)
	v_and_b32_e32 v71, 0xff, v74
	v_cvt_f32_fp8_sdwa v71, v71 src0_sel:BYTE_0
	s_nop 0
	v_mul_f32_e32 v72, s35, v71
	v_and_b32_e32 v71, 0x7f800000, v72
	v_cmp_ne_u32_e64 s[0:1], s37, v71
                                        ; implicit-def: $vgpr71
	s_and_saveexec_b64 s[14:15], s[0:1]
	s_xor_b64 s[0:1], exec, s[14:15]
; %bb.58:                               ;   in Loop: Header=BB342_9 Depth=1
	v_bfe_u32 v71, v72, 16, 1
	v_add3_u32 v71, v72, v71, s38
                                        ; implicit-def: $vgpr72
; %bb.59:                               ;   in Loop: Header=BB342_9 Depth=1
	s_andn2_saveexec_b64 s[14:15], s[0:1]
; %bb.60:                               ;   in Loop: Header=BB342_9 Depth=1
	v_or_b32_e32 v71, 0x10000, v72
	v_cmp_eq_u32_sdwa s[0:1], v72, v3 src0_sel:WORD_0 src1_sel:DWORD
	s_nop 1
	v_cndmask_b32_e64 v71, v71, v72, s[0:1]
; %bb.61:                               ;   in Loop: Header=BB342_9 Depth=1
	s_or_b64 exec, exec, s[14:15]
	v_bfe_u32 v72, v74, 8, 8
	v_cvt_f32_fp8_sdwa v72, v72 src0_sel:BYTE_0
	s_nop 0
	v_mul_f32_e32 v73, s35, v72
	v_and_b32_e32 v72, 0x7f800000, v73
	v_cmp_ne_u32_e64 s[0:1], s37, v72
                                        ; implicit-def: $vgpr72
	s_and_saveexec_b64 s[14:15], s[0:1]
	s_xor_b64 s[0:1], exec, s[14:15]
; %bb.62:                               ;   in Loop: Header=BB342_9 Depth=1
	v_bfe_u32 v72, v73, 16, 1
	v_add3_u32 v72, v73, v72, s38
                                        ; implicit-def: $vgpr73
; %bb.63:                               ;   in Loop: Header=BB342_9 Depth=1
	s_andn2_saveexec_b64 s[14:15], s[0:1]
; %bb.64:                               ;   in Loop: Header=BB342_9 Depth=1
	v_or_b32_e32 v72, 0x10000, v73
	v_cmp_eq_u32_sdwa s[0:1], v73, v3 src0_sel:WORD_0 src1_sel:DWORD
	s_nop 1
	v_cndmask_b32_e64 v72, v72, v73, s[0:1]
; %bb.65:                               ;   in Loop: Header=BB342_9 Depth=1
	s_or_b64 exec, exec, s[14:15]
	v_bfe_u32 v73, v74, 16, 8
	v_cvt_f32_fp8_sdwa v73, v73 src0_sel:BYTE_0
	s_nop 0
	v_mul_f32_e32 v75, s35, v73
	v_and_b32_e32 v73, 0x7f800000, v75
	v_cmp_ne_u32_e64 s[0:1], s37, v73
                                        ; implicit-def: $vgpr73
	s_and_saveexec_b64 s[14:15], s[0:1]
	s_xor_b64 s[0:1], exec, s[14:15]
; %bb.66:                               ;   in Loop: Header=BB342_9 Depth=1
	v_bfe_u32 v73, v75, 16, 1
	v_add3_u32 v73, v75, v73, s38
                                        ; implicit-def: $vgpr75
; %bb.67:                               ;   in Loop: Header=BB342_9 Depth=1
	s_andn2_saveexec_b64 s[14:15], s[0:1]
; %bb.68:                               ;   in Loop: Header=BB342_9 Depth=1
	v_or_b32_e32 v73, 0x10000, v75
	v_cmp_eq_u32_sdwa s[0:1], v75, v3 src0_sel:WORD_0 src1_sel:DWORD
	s_nop 1
	v_cndmask_b32_e64 v73, v73, v75, s[0:1]
; %bb.69:                               ;   in Loop: Header=BB342_9 Depth=1
	s_or_b64 exec, exec, s[14:15]
	v_lshrrev_b32_e32 v74, 24, v74
	v_cvt_f32_fp8_sdwa v74, v74 src0_sel:BYTE_0
	s_nop 0
	v_mul_f32_e32 v75, s35, v74
	v_and_b32_e32 v74, 0x7f800000, v75
	v_cmp_ne_u32_e64 s[0:1], s37, v74
                                        ; implicit-def: $vgpr74
	s_and_saveexec_b64 s[14:15], s[0:1]
	s_xor_b64 s[0:1], exec, s[14:15]
; %bb.70:                               ;   in Loop: Header=BB342_9 Depth=1
	v_bfe_u32 v74, v75, 16, 1
	v_add3_u32 v74, v75, v74, s38
                                        ; implicit-def: $vgpr75
; %bb.71:                               ;   in Loop: Header=BB342_9 Depth=1
	s_andn2_saveexec_b64 s[14:15], s[0:1]
; %bb.72:                               ;   in Loop: Header=BB342_9 Depth=1
	v_or_b32_e32 v74, 0x10000, v75
	v_cmp_eq_u32_sdwa s[0:1], v75, v3 src0_sel:WORD_0 src1_sel:DWORD
	s_nop 1
	v_cndmask_b32_e64 v74, v74, v75, s[0:1]
; %bb.73:                               ;   in Loop: Header=BB342_9 Depth=1
	s_or_b64 exec, exec, s[14:15]
	global_load_dword v78, v[8:9], off offset:1024
	s_waitcnt vmcnt(0)
	v_and_b32_e32 v75, 0xff, v78
	v_cvt_f32_fp8_sdwa v75, v75 src0_sel:BYTE_0
	s_nop 0
	v_mul_f32_e32 v76, s35, v75
	v_and_b32_e32 v75, 0x7f800000, v76
	v_cmp_ne_u32_e64 s[0:1], s37, v75
                                        ; implicit-def: $vgpr75
	s_and_saveexec_b64 s[14:15], s[0:1]
	s_xor_b64 s[0:1], exec, s[14:15]
; %bb.74:                               ;   in Loop: Header=BB342_9 Depth=1
	v_bfe_u32 v75, v76, 16, 1
	v_add3_u32 v75, v76, v75, s38
                                        ; implicit-def: $vgpr76
; %bb.75:                               ;   in Loop: Header=BB342_9 Depth=1
	s_andn2_saveexec_b64 s[14:15], s[0:1]
; %bb.76:                               ;   in Loop: Header=BB342_9 Depth=1
	v_or_b32_e32 v75, 0x10000, v76
	v_cmp_eq_u32_sdwa s[0:1], v76, v3 src0_sel:WORD_0 src1_sel:DWORD
	s_nop 1
	v_cndmask_b32_e64 v75, v75, v76, s[0:1]
; %bb.77:                               ;   in Loop: Header=BB342_9 Depth=1
	s_or_b64 exec, exec, s[14:15]
	v_bfe_u32 v76, v78, 8, 8
	v_cvt_f32_fp8_sdwa v76, v76 src0_sel:BYTE_0
	s_nop 0
	v_mul_f32_e32 v77, s35, v76
	v_and_b32_e32 v76, 0x7f800000, v77
	v_cmp_ne_u32_e64 s[0:1], s37, v76
                                        ; implicit-def: $vgpr76
	s_and_saveexec_b64 s[14:15], s[0:1]
	s_xor_b64 s[0:1], exec, s[14:15]
; %bb.78:                               ;   in Loop: Header=BB342_9 Depth=1
	v_bfe_u32 v76, v77, 16, 1
	v_add3_u32 v76, v77, v76, s38
                                        ; implicit-def: $vgpr77
; %bb.79:                               ;   in Loop: Header=BB342_9 Depth=1
	s_andn2_saveexec_b64 s[14:15], s[0:1]
; %bb.80:                               ;   in Loop: Header=BB342_9 Depth=1
	v_or_b32_e32 v76, 0x10000, v77
	v_cmp_eq_u32_sdwa s[0:1], v77, v3 src0_sel:WORD_0 src1_sel:DWORD
	s_nop 1
	v_cndmask_b32_e64 v76, v76, v77, s[0:1]
; %bb.81:                               ;   in Loop: Header=BB342_9 Depth=1
	s_or_b64 exec, exec, s[14:15]
	v_bfe_u32 v77, v78, 16, 8
	v_cvt_f32_fp8_sdwa v77, v77 src0_sel:BYTE_0
	s_nop 0
	v_mul_f32_e32 v79, s35, v77
	v_and_b32_e32 v77, 0x7f800000, v79
	v_cmp_ne_u32_e64 s[0:1], s37, v77
                                        ; implicit-def: $vgpr77
	s_and_saveexec_b64 s[14:15], s[0:1]
	s_xor_b64 s[0:1], exec, s[14:15]
; %bb.82:                               ;   in Loop: Header=BB342_9 Depth=1
	v_bfe_u32 v77, v79, 16, 1
	v_add3_u32 v77, v79, v77, s38
                                        ; implicit-def: $vgpr79
; %bb.83:                               ;   in Loop: Header=BB342_9 Depth=1
	s_andn2_saveexec_b64 s[14:15], s[0:1]
; %bb.84:                               ;   in Loop: Header=BB342_9 Depth=1
	v_or_b32_e32 v77, 0x10000, v79
	v_cmp_eq_u32_sdwa s[0:1], v79, v3 src0_sel:WORD_0 src1_sel:DWORD
	s_nop 1
	v_cndmask_b32_e64 v77, v77, v79, s[0:1]
; %bb.85:                               ;   in Loop: Header=BB342_9 Depth=1
	s_or_b64 exec, exec, s[14:15]
	v_lshrrev_b32_e32 v78, 24, v78
	v_cvt_f32_fp8_sdwa v78, v78 src0_sel:BYTE_0
	s_nop 0
	v_mul_f32_e32 v79, s35, v78
	v_and_b32_e32 v78, 0x7f800000, v79
	v_cmp_ne_u32_e64 s[0:1], s37, v78
                                        ; implicit-def: $vgpr78
	s_and_saveexec_b64 s[14:15], s[0:1]
	s_xor_b64 s[0:1], exec, s[14:15]
; %bb.86:                               ;   in Loop: Header=BB342_9 Depth=1
	v_bfe_u32 v78, v79, 16, 1
	v_add3_u32 v78, v79, v78, s38
                                        ; implicit-def: $vgpr79
; %bb.87:                               ;   in Loop: Header=BB342_9 Depth=1
	s_andn2_saveexec_b64 s[14:15], s[0:1]
; %bb.88:                               ;   in Loop: Header=BB342_9 Depth=1
	v_or_b32_e32 v78, 0x10000, v79
	v_cmp_eq_u32_sdwa s[0:1], v79, v3 src0_sel:WORD_0 src1_sel:DWORD
	s_nop 1
	v_cndmask_b32_e64 v78, v78, v79, s[0:1]
; %bb.89:                               ;   in Loop: Header=BB342_9 Depth=1
	s_or_b64 exec, exec, s[14:15]
	global_load_dword v82, v[8:9], off offset:1032
	s_waitcnt vmcnt(0)
	v_and_b32_e32 v79, 0xff, v82
	v_cvt_f32_fp8_sdwa v79, v79 src0_sel:BYTE_0
	s_nop 0
	v_mul_f32_e32 v80, s35, v79
	v_and_b32_e32 v79, 0x7f800000, v80
	v_cmp_ne_u32_e64 s[0:1], s37, v79
                                        ; implicit-def: $vgpr79
	s_and_saveexec_b64 s[14:15], s[0:1]
	s_xor_b64 s[0:1], exec, s[14:15]
; %bb.90:                               ;   in Loop: Header=BB342_9 Depth=1
	v_bfe_u32 v79, v80, 16, 1
	v_add3_u32 v79, v80, v79, s38
                                        ; implicit-def: $vgpr80
; %bb.91:                               ;   in Loop: Header=BB342_9 Depth=1
	s_andn2_saveexec_b64 s[14:15], s[0:1]
; %bb.92:                               ;   in Loop: Header=BB342_9 Depth=1
	v_or_b32_e32 v79, 0x10000, v80
	v_cmp_eq_u32_sdwa s[0:1], v80, v3 src0_sel:WORD_0 src1_sel:DWORD
	s_nop 1
	v_cndmask_b32_e64 v79, v79, v80, s[0:1]
; %bb.93:                               ;   in Loop: Header=BB342_9 Depth=1
	s_or_b64 exec, exec, s[14:15]
	v_bfe_u32 v80, v82, 8, 8
	v_cvt_f32_fp8_sdwa v80, v80 src0_sel:BYTE_0
	s_nop 0
	v_mul_f32_e32 v81, s35, v80
	v_and_b32_e32 v80, 0x7f800000, v81
	v_cmp_ne_u32_e64 s[0:1], s37, v80
                                        ; implicit-def: $vgpr80
	s_and_saveexec_b64 s[14:15], s[0:1]
	s_xor_b64 s[0:1], exec, s[14:15]
; %bb.94:                               ;   in Loop: Header=BB342_9 Depth=1
	v_bfe_u32 v80, v81, 16, 1
	v_add3_u32 v80, v81, v80, s38
                                        ; implicit-def: $vgpr81
; %bb.95:                               ;   in Loop: Header=BB342_9 Depth=1
	s_andn2_saveexec_b64 s[14:15], s[0:1]
; %bb.96:                               ;   in Loop: Header=BB342_9 Depth=1
	v_or_b32_e32 v80, 0x10000, v81
	v_cmp_eq_u32_sdwa s[0:1], v81, v3 src0_sel:WORD_0 src1_sel:DWORD
	s_nop 1
	v_cndmask_b32_e64 v80, v80, v81, s[0:1]
; %bb.97:                               ;   in Loop: Header=BB342_9 Depth=1
	s_or_b64 exec, exec, s[14:15]
	v_bfe_u32 v81, v82, 16, 8
	v_cvt_f32_fp8_sdwa v81, v81 src0_sel:BYTE_0
	s_nop 0
	v_mul_f32_e32 v83, s35, v81
	v_and_b32_e32 v81, 0x7f800000, v83
	v_cmp_ne_u32_e64 s[0:1], s37, v81
                                        ; implicit-def: $vgpr81
	s_and_saveexec_b64 s[14:15], s[0:1]
	s_xor_b64 s[0:1], exec, s[14:15]
; %bb.98:                               ;   in Loop: Header=BB342_9 Depth=1
	v_bfe_u32 v81, v83, 16, 1
	v_add3_u32 v81, v83, v81, s38
                                        ; implicit-def: $vgpr83
; %bb.99:                               ;   in Loop: Header=BB342_9 Depth=1
	s_andn2_saveexec_b64 s[14:15], s[0:1]
; %bb.100:                              ;   in Loop: Header=BB342_9 Depth=1
	v_or_b32_e32 v81, 0x10000, v83
	v_cmp_eq_u32_sdwa s[0:1], v83, v3 src0_sel:WORD_0 src1_sel:DWORD
	s_nop 1
	v_cndmask_b32_e64 v81, v81, v83, s[0:1]
; %bb.101:                              ;   in Loop: Header=BB342_9 Depth=1
	s_or_b64 exec, exec, s[14:15]
	v_lshrrev_b32_e32 v82, 24, v82
	v_cvt_f32_fp8_sdwa v82, v82 src0_sel:BYTE_0
	s_nop 0
	v_mul_f32_e32 v83, s35, v82
	v_and_b32_e32 v82, 0x7f800000, v83
	v_cmp_ne_u32_e64 s[0:1], s37, v82
                                        ; implicit-def: $vgpr82
	s_and_saveexec_b64 s[14:15], s[0:1]
	s_xor_b64 s[0:1], exec, s[14:15]
; %bb.102:                              ;   in Loop: Header=BB342_9 Depth=1
	v_bfe_u32 v82, v83, 16, 1
	v_add3_u32 v82, v83, v82, s38
                                        ; implicit-def: $vgpr83
; %bb.103:                              ;   in Loop: Header=BB342_9 Depth=1
	s_andn2_saveexec_b64 s[14:15], s[0:1]
; %bb.104:                              ;   in Loop: Header=BB342_9 Depth=1
	v_or_b32_e32 v82, 0x10000, v83
	v_cmp_eq_u32_sdwa s[0:1], v83, v3 src0_sel:WORD_0 src1_sel:DWORD
	s_nop 1
	v_cndmask_b32_e64 v82, v82, v83, s[0:1]
; %bb.105:                              ;   in Loop: Header=BB342_9 Depth=1
	s_or_b64 exec, exec, s[14:15]
	global_load_dword v86, v[8:9], off offset:1536
	s_waitcnt vmcnt(0)
	v_and_b32_e32 v83, 0xff, v86
	v_cvt_f32_fp8_sdwa v83, v83 src0_sel:BYTE_0
	s_nop 0
	v_mul_f32_e32 v84, s35, v83
	v_and_b32_e32 v83, 0x7f800000, v84
	v_cmp_ne_u32_e64 s[0:1], s37, v83
                                        ; implicit-def: $vgpr83
	s_and_saveexec_b64 s[14:15], s[0:1]
	s_xor_b64 s[0:1], exec, s[14:15]
; %bb.106:                              ;   in Loop: Header=BB342_9 Depth=1
	v_bfe_u32 v83, v84, 16, 1
	v_add3_u32 v83, v84, v83, s38
                                        ; implicit-def: $vgpr84
; %bb.107:                              ;   in Loop: Header=BB342_9 Depth=1
	s_andn2_saveexec_b64 s[14:15], s[0:1]
; %bb.108:                              ;   in Loop: Header=BB342_9 Depth=1
	v_or_b32_e32 v83, 0x10000, v84
	v_cmp_eq_u32_sdwa s[0:1], v84, v3 src0_sel:WORD_0 src1_sel:DWORD
	s_nop 1
	v_cndmask_b32_e64 v83, v83, v84, s[0:1]
; %bb.109:                              ;   in Loop: Header=BB342_9 Depth=1
	s_or_b64 exec, exec, s[14:15]
	v_bfe_u32 v84, v86, 8, 8
	v_cvt_f32_fp8_sdwa v84, v84 src0_sel:BYTE_0
	s_nop 0
	v_mul_f32_e32 v85, s35, v84
	v_and_b32_e32 v84, 0x7f800000, v85
	v_cmp_ne_u32_e64 s[0:1], s37, v84
                                        ; implicit-def: $vgpr84
	s_and_saveexec_b64 s[14:15], s[0:1]
	s_xor_b64 s[0:1], exec, s[14:15]
; %bb.110:                              ;   in Loop: Header=BB342_9 Depth=1
	v_bfe_u32 v84, v85, 16, 1
	v_add3_u32 v84, v85, v84, s38
                                        ; implicit-def: $vgpr85
; %bb.111:                              ;   in Loop: Header=BB342_9 Depth=1
	s_andn2_saveexec_b64 s[14:15], s[0:1]
; %bb.112:                              ;   in Loop: Header=BB342_9 Depth=1
	v_or_b32_e32 v84, 0x10000, v85
	v_cmp_eq_u32_sdwa s[0:1], v85, v3 src0_sel:WORD_0 src1_sel:DWORD
	s_nop 1
	v_cndmask_b32_e64 v84, v84, v85, s[0:1]
; %bb.113:                              ;   in Loop: Header=BB342_9 Depth=1
	s_or_b64 exec, exec, s[14:15]
	v_bfe_u32 v85, v86, 16, 8
	v_cvt_f32_fp8_sdwa v85, v85 src0_sel:BYTE_0
	s_nop 0
	v_mul_f32_e32 v87, s35, v85
	v_and_b32_e32 v85, 0x7f800000, v87
	v_cmp_ne_u32_e64 s[0:1], s37, v85
                                        ; implicit-def: $vgpr85
	s_and_saveexec_b64 s[14:15], s[0:1]
	s_xor_b64 s[0:1], exec, s[14:15]
; %bb.114:                              ;   in Loop: Header=BB342_9 Depth=1
	v_bfe_u32 v85, v87, 16, 1
	v_add3_u32 v85, v87, v85, s38
                                        ; implicit-def: $vgpr87
; %bb.115:                              ;   in Loop: Header=BB342_9 Depth=1
	s_andn2_saveexec_b64 s[14:15], s[0:1]
; %bb.116:                              ;   in Loop: Header=BB342_9 Depth=1
	v_or_b32_e32 v85, 0x10000, v87
	v_cmp_eq_u32_sdwa s[0:1], v87, v3 src0_sel:WORD_0 src1_sel:DWORD
	s_nop 1
	v_cndmask_b32_e64 v85, v85, v87, s[0:1]
; %bb.117:                              ;   in Loop: Header=BB342_9 Depth=1
	s_or_b64 exec, exec, s[14:15]
	v_lshrrev_b32_e32 v86, 24, v86
	v_cvt_f32_fp8_sdwa v86, v86 src0_sel:BYTE_0
	s_nop 0
	v_mul_f32_e32 v87, s35, v86
	v_and_b32_e32 v86, 0x7f800000, v87
	v_cmp_ne_u32_e64 s[0:1], s37, v86
                                        ; implicit-def: $vgpr86
	s_and_saveexec_b64 s[14:15], s[0:1]
	s_xor_b64 s[0:1], exec, s[14:15]
; %bb.118:                              ;   in Loop: Header=BB342_9 Depth=1
	v_bfe_u32 v86, v87, 16, 1
	v_add3_u32 v86, v87, v86, s38
                                        ; implicit-def: $vgpr87
; %bb.119:                              ;   in Loop: Header=BB342_9 Depth=1
	s_andn2_saveexec_b64 s[14:15], s[0:1]
; %bb.120:                              ;   in Loop: Header=BB342_9 Depth=1
	v_or_b32_e32 v86, 0x10000, v87
	v_cmp_eq_u32_sdwa s[0:1], v87, v3 src0_sel:WORD_0 src1_sel:DWORD
	s_nop 1
	v_cndmask_b32_e64 v86, v86, v87, s[0:1]
; %bb.121:                              ;   in Loop: Header=BB342_9 Depth=1
	s_or_b64 exec, exec, s[14:15]
	global_load_dword v90, v[8:9], off offset:1544
	s_waitcnt vmcnt(0)
	v_and_b32_e32 v87, 0xff, v90
	v_cvt_f32_fp8_sdwa v87, v87 src0_sel:BYTE_0
	s_nop 0
	v_mul_f32_e32 v88, s35, v87
	v_and_b32_e32 v87, 0x7f800000, v88
	v_cmp_ne_u32_e64 s[0:1], s37, v87
                                        ; implicit-def: $vgpr87
	s_and_saveexec_b64 s[14:15], s[0:1]
	s_xor_b64 s[0:1], exec, s[14:15]
; %bb.122:                              ;   in Loop: Header=BB342_9 Depth=1
	v_bfe_u32 v87, v88, 16, 1
	v_add3_u32 v87, v88, v87, s38
                                        ; implicit-def: $vgpr88
; %bb.123:                              ;   in Loop: Header=BB342_9 Depth=1
	s_andn2_saveexec_b64 s[14:15], s[0:1]
; %bb.124:                              ;   in Loop: Header=BB342_9 Depth=1
	v_or_b32_e32 v87, 0x10000, v88
	v_cmp_eq_u32_sdwa s[0:1], v88, v3 src0_sel:WORD_0 src1_sel:DWORD
	s_nop 1
	v_cndmask_b32_e64 v87, v87, v88, s[0:1]
; %bb.125:                              ;   in Loop: Header=BB342_9 Depth=1
	s_or_b64 exec, exec, s[14:15]
	v_bfe_u32 v88, v90, 8, 8
	v_cvt_f32_fp8_sdwa v88, v88 src0_sel:BYTE_0
	s_nop 0
	v_mul_f32_e32 v89, s35, v88
	v_and_b32_e32 v88, 0x7f800000, v89
	v_cmp_ne_u32_e64 s[0:1], s37, v88
                                        ; implicit-def: $vgpr88
	s_and_saveexec_b64 s[14:15], s[0:1]
	s_xor_b64 s[0:1], exec, s[14:15]
; %bb.126:                              ;   in Loop: Header=BB342_9 Depth=1
	v_bfe_u32 v88, v89, 16, 1
	v_add3_u32 v88, v89, v88, s38
                                        ; implicit-def: $vgpr89
; %bb.127:                              ;   in Loop: Header=BB342_9 Depth=1
	s_andn2_saveexec_b64 s[14:15], s[0:1]
; %bb.128:                              ;   in Loop: Header=BB342_9 Depth=1
	v_or_b32_e32 v88, 0x10000, v89
	v_cmp_eq_u32_sdwa s[0:1], v89, v3 src0_sel:WORD_0 src1_sel:DWORD
	s_nop 1
	v_cndmask_b32_e64 v88, v88, v89, s[0:1]
; %bb.129:                              ;   in Loop: Header=BB342_9 Depth=1
	s_or_b64 exec, exec, s[14:15]
	v_bfe_u32 v89, v90, 16, 8
	v_cvt_f32_fp8_sdwa v89, v89 src0_sel:BYTE_0
	s_nop 0
	v_mul_f32_e32 v91, s35, v89
	v_and_b32_e32 v89, 0x7f800000, v91
	v_cmp_ne_u32_e64 s[0:1], s37, v89
                                        ; implicit-def: $vgpr89
	s_and_saveexec_b64 s[14:15], s[0:1]
	s_xor_b64 s[0:1], exec, s[14:15]
; %bb.130:                              ;   in Loop: Header=BB342_9 Depth=1
	v_bfe_u32 v89, v91, 16, 1
	v_add3_u32 v89, v91, v89, s38
                                        ; implicit-def: $vgpr91
; %bb.131:                              ;   in Loop: Header=BB342_9 Depth=1
	s_andn2_saveexec_b64 s[14:15], s[0:1]
; %bb.132:                              ;   in Loop: Header=BB342_9 Depth=1
	v_or_b32_e32 v89, 0x10000, v91
	v_cmp_eq_u32_sdwa s[0:1], v91, v3 src0_sel:WORD_0 src1_sel:DWORD
	s_nop 1
	v_cndmask_b32_e64 v89, v89, v91, s[0:1]
; %bb.133:                              ;   in Loop: Header=BB342_9 Depth=1
	s_or_b64 exec, exec, s[14:15]
	v_lshrrev_b32_e32 v90, 24, v90
	v_cvt_f32_fp8_sdwa v90, v90 src0_sel:BYTE_0
	s_nop 0
	v_mul_f32_e32 v91, s35, v90
	v_and_b32_e32 v90, 0x7f800000, v91
	v_cmp_ne_u32_e64 s[0:1], s37, v90
                                        ; implicit-def: $vgpr90
	s_and_saveexec_b64 s[14:15], s[0:1]
	s_xor_b64 s[0:1], exec, s[14:15]
; %bb.134:                              ;   in Loop: Header=BB342_9 Depth=1
	v_bfe_u32 v90, v91, 16, 1
	v_add3_u32 v90, v91, v90, s38
                                        ; implicit-def: $vgpr91
; %bb.135:                              ;   in Loop: Header=BB342_9 Depth=1
	s_andn2_saveexec_b64 s[14:15], s[0:1]
; %bb.136:                              ;   in Loop: Header=BB342_9 Depth=1
	v_or_b32_e32 v90, 0x10000, v91
	v_cmp_eq_u32_sdwa s[0:1], v91, v3 src0_sel:WORD_0 src1_sel:DWORD
	s_nop 1
	v_cndmask_b32_e64 v90, v90, v91, s[0:1]
; %bb.137:                              ;   in Loop: Header=BB342_9 Depth=1
	s_or_b64 exec, exec, s[14:15]
	global_load_dword v94, v[8:9], off offset:2048
	s_waitcnt vmcnt(0)
	v_and_b32_e32 v91, 0xff, v94
	v_cvt_f32_fp8_sdwa v91, v91 src0_sel:BYTE_0
	s_nop 0
	v_mul_f32_e32 v92, s35, v91
	v_and_b32_e32 v91, 0x7f800000, v92
	v_cmp_ne_u32_e64 s[0:1], s37, v91
                                        ; implicit-def: $vgpr91
	s_and_saveexec_b64 s[14:15], s[0:1]
	s_xor_b64 s[0:1], exec, s[14:15]
; %bb.138:                              ;   in Loop: Header=BB342_9 Depth=1
	v_bfe_u32 v91, v92, 16, 1
	v_add3_u32 v91, v92, v91, s38
                                        ; implicit-def: $vgpr92
; %bb.139:                              ;   in Loop: Header=BB342_9 Depth=1
	s_andn2_saveexec_b64 s[14:15], s[0:1]
; %bb.140:                              ;   in Loop: Header=BB342_9 Depth=1
	v_or_b32_e32 v91, 0x10000, v92
	v_cmp_eq_u32_sdwa s[0:1], v92, v3 src0_sel:WORD_0 src1_sel:DWORD
	s_nop 1
	v_cndmask_b32_e64 v91, v91, v92, s[0:1]
; %bb.141:                              ;   in Loop: Header=BB342_9 Depth=1
	s_or_b64 exec, exec, s[14:15]
	v_bfe_u32 v92, v94, 8, 8
	v_cvt_f32_fp8_sdwa v92, v92 src0_sel:BYTE_0
	s_nop 0
	v_mul_f32_e32 v93, s35, v92
	v_and_b32_e32 v92, 0x7f800000, v93
	v_cmp_ne_u32_e64 s[0:1], s37, v92
                                        ; implicit-def: $vgpr92
	s_and_saveexec_b64 s[14:15], s[0:1]
	s_xor_b64 s[0:1], exec, s[14:15]
; %bb.142:                              ;   in Loop: Header=BB342_9 Depth=1
	v_bfe_u32 v92, v93, 16, 1
	v_add3_u32 v92, v93, v92, s38
                                        ; implicit-def: $vgpr93
; %bb.143:                              ;   in Loop: Header=BB342_9 Depth=1
	s_andn2_saveexec_b64 s[14:15], s[0:1]
; %bb.144:                              ;   in Loop: Header=BB342_9 Depth=1
	v_or_b32_e32 v92, 0x10000, v93
	v_cmp_eq_u32_sdwa s[0:1], v93, v3 src0_sel:WORD_0 src1_sel:DWORD
	s_nop 1
	v_cndmask_b32_e64 v92, v92, v93, s[0:1]
; %bb.145:                              ;   in Loop: Header=BB342_9 Depth=1
	s_or_b64 exec, exec, s[14:15]
	v_bfe_u32 v93, v94, 16, 8
	v_cvt_f32_fp8_sdwa v93, v93 src0_sel:BYTE_0
	s_nop 0
	v_mul_f32_e32 v95, s35, v93
	v_and_b32_e32 v93, 0x7f800000, v95
	v_cmp_ne_u32_e64 s[0:1], s37, v93
                                        ; implicit-def: $vgpr93
	s_and_saveexec_b64 s[14:15], s[0:1]
	s_xor_b64 s[0:1], exec, s[14:15]
; %bb.146:                              ;   in Loop: Header=BB342_9 Depth=1
	v_bfe_u32 v93, v95, 16, 1
	v_add3_u32 v93, v95, v93, s38
                                        ; implicit-def: $vgpr95
; %bb.147:                              ;   in Loop: Header=BB342_9 Depth=1
	s_andn2_saveexec_b64 s[14:15], s[0:1]
; %bb.148:                              ;   in Loop: Header=BB342_9 Depth=1
	v_or_b32_e32 v93, 0x10000, v95
	v_cmp_eq_u32_sdwa s[0:1], v95, v3 src0_sel:WORD_0 src1_sel:DWORD
	s_nop 1
	v_cndmask_b32_e64 v93, v93, v95, s[0:1]
; %bb.149:                              ;   in Loop: Header=BB342_9 Depth=1
	s_or_b64 exec, exec, s[14:15]
	v_lshrrev_b32_e32 v94, 24, v94
	v_cvt_f32_fp8_sdwa v94, v94 src0_sel:BYTE_0
	s_nop 0
	v_mul_f32_e32 v95, s35, v94
	v_and_b32_e32 v94, 0x7f800000, v95
	v_cmp_ne_u32_e64 s[0:1], s37, v94
                                        ; implicit-def: $vgpr94
	s_and_saveexec_b64 s[14:15], s[0:1]
	s_xor_b64 s[0:1], exec, s[14:15]
; %bb.150:                              ;   in Loop: Header=BB342_9 Depth=1
	v_bfe_u32 v94, v95, 16, 1
	v_add3_u32 v94, v95, v94, s38
                                        ; implicit-def: $vgpr95
; %bb.151:                              ;   in Loop: Header=BB342_9 Depth=1
	s_andn2_saveexec_b64 s[14:15], s[0:1]
; %bb.152:                              ;   in Loop: Header=BB342_9 Depth=1
	v_or_b32_e32 v94, 0x10000, v95
	v_cmp_eq_u32_sdwa s[0:1], v95, v3 src0_sel:WORD_0 src1_sel:DWORD
	s_nop 1
	v_cndmask_b32_e64 v94, v94, v95, s[0:1]
; %bb.153:                              ;   in Loop: Header=BB342_9 Depth=1
	s_or_b64 exec, exec, s[14:15]
	global_load_dword v9, v[8:9], off offset:2056
	s_waitcnt vmcnt(0)
	v_and_b32_e32 v8, 0xff, v9
	v_cvt_f32_fp8_sdwa v8, v8 src0_sel:BYTE_0
	s_nop 0
	v_mul_f32_e32 v95, s35, v8
	v_and_b32_e32 v8, 0x7f800000, v95
	v_cmp_ne_u32_e64 s[0:1], s37, v8
                                        ; implicit-def: $vgpr8
	s_and_saveexec_b64 s[14:15], s[0:1]
	s_xor_b64 s[0:1], exec, s[14:15]
; %bb.154:                              ;   in Loop: Header=BB342_9 Depth=1
	v_bfe_u32 v8, v95, 16, 1
	v_add3_u32 v8, v95, v8, s38
                                        ; implicit-def: $vgpr95
; %bb.155:                              ;   in Loop: Header=BB342_9 Depth=1
	s_andn2_saveexec_b64 s[14:15], s[0:1]
; %bb.156:                              ;   in Loop: Header=BB342_9 Depth=1
	v_or_b32_e32 v8, 0x10000, v95
	v_cmp_eq_u32_sdwa s[0:1], v95, v3 src0_sel:WORD_0 src1_sel:DWORD
	s_nop 1
	v_cndmask_b32_e64 v8, v8, v95, s[0:1]
; %bb.157:                              ;   in Loop: Header=BB342_9 Depth=1
	s_or_b64 exec, exec, s[14:15]
	v_bfe_u32 v95, v9, 8, 8
	v_cvt_f32_fp8_sdwa v95, v95 src0_sel:BYTE_0
	s_nop 0
	v_mul_f32_e32 v95, s35, v95
	v_and_b32_e32 v96, 0x7f800000, v95
	v_cmp_ne_u32_e64 s[0:1], s37, v96
                                        ; implicit-def: $vgpr96
	s_and_saveexec_b64 s[14:15], s[0:1]
	s_xor_b64 s[0:1], exec, s[14:15]
; %bb.158:                              ;   in Loop: Header=BB342_9 Depth=1
	v_bfe_u32 v96, v95, 16, 1
	v_add3_u32 v96, v95, v96, s38
                                        ; implicit-def: $vgpr95
; %bb.159:                              ;   in Loop: Header=BB342_9 Depth=1
	s_andn2_saveexec_b64 s[14:15], s[0:1]
; %bb.160:                              ;   in Loop: Header=BB342_9 Depth=1
	v_or_b32_e32 v96, 0x10000, v95
	v_cmp_eq_u32_sdwa s[0:1], v95, v3 src0_sel:WORD_0 src1_sel:DWORD
	s_nop 1
	v_cndmask_b32_e64 v96, v96, v95, s[0:1]
; %bb.161:                              ;   in Loop: Header=BB342_9 Depth=1
	s_or_b64 exec, exec, s[14:15]
	v_bfe_u32 v95, v9, 16, 8
	v_cvt_f32_fp8_sdwa v95, v95 src0_sel:BYTE_0
	s_nop 0
	v_mul_f32_e32 v97, s35, v95
	v_and_b32_e32 v95, 0x7f800000, v97
	v_cmp_ne_u32_e64 s[0:1], s37, v95
                                        ; implicit-def: $vgpr95
	s_and_saveexec_b64 s[14:15], s[0:1]
	s_xor_b64 s[0:1], exec, s[14:15]
; %bb.162:                              ;   in Loop: Header=BB342_9 Depth=1
	v_bfe_u32 v95, v97, 16, 1
	v_add3_u32 v95, v97, v95, s38
                                        ; implicit-def: $vgpr97
; %bb.163:                              ;   in Loop: Header=BB342_9 Depth=1
	s_andn2_saveexec_b64 s[14:15], s[0:1]
; %bb.164:                              ;   in Loop: Header=BB342_9 Depth=1
	v_or_b32_e32 v95, 0x10000, v97
	v_cmp_eq_u32_sdwa s[0:1], v97, v3 src0_sel:WORD_0 src1_sel:DWORD
	s_nop 1
	v_cndmask_b32_e64 v95, v95, v97, s[0:1]
; %bb.165:                              ;   in Loop: Header=BB342_9 Depth=1
	s_or_b64 exec, exec, s[14:15]
	v_lshrrev_b32_e32 v9, 24, v9
	v_cvt_f32_fp8_sdwa v9, v9 src0_sel:BYTE_0
	s_nop 0
	v_mul_f32_e32 v97, s35, v9
	v_and_b32_e32 v9, 0x7f800000, v97
	v_cmp_ne_u32_e64 s[0:1], s37, v9
                                        ; implicit-def: $vgpr9
	s_and_saveexec_b64 s[14:15], s[0:1]
	s_xor_b64 s[0:1], exec, s[14:15]
; %bb.166:                              ;   in Loop: Header=BB342_9 Depth=1
	v_bfe_u32 v9, v97, 16, 1
	v_add3_u32 v9, v97, v9, s38
                                        ; implicit-def: $vgpr97
; %bb.167:                              ;   in Loop: Header=BB342_9 Depth=1
	s_andn2_saveexec_b64 s[14:15], s[0:1]
; %bb.168:                              ;   in Loop: Header=BB342_9 Depth=1
	v_or_b32_e32 v9, 0x10000, v97
	v_cmp_eq_u32_sdwa s[0:1], v97, v3 src0_sel:WORD_0 src1_sel:DWORD
	s_nop 1
	v_cndmask_b32_e64 v9, v9, v97, s[0:1]
; %bb.169:                              ;   in Loop: Header=BB342_9 Depth=1
	s_or_b64 exec, exec, s[14:15]
	v_and_b32_e32 v63, 0xffff0000, v63
	v_and_b32_e32 v64, 0xffff0000, v64
	;; [unrolled: 1-line block ×3, first 2 shown]
	v_mul_f32_e32 v63, v17, v63
	v_and_b32_e32 v65, 0xffff0000, v65
	v_and_b32_e32 v60, 0xffff0000, v60
	v_fmac_f32_e32 v63, v12, v59
	v_mul_f32_e32 v59, v19, v64
	v_and_b32_e32 v68, 0xffff0000, v68
	v_and_b32_e32 v67, 0xffff0000, v67
	;; [unrolled: 1-line block ×4, first 2 shown]
	v_fmac_f32_e32 v59, v13, v60
	v_mul_f32_e32 v60, v20, v65
	v_and_b32_e32 v72, 0xffff0000, v72
	v_and_b32_e32 v71, 0xffff0000, v71
	;; [unrolled: 1-line block ×4, first 2 shown]
	v_fmac_f32_e32 v60, v14, v61
	v_mul_f32_e32 v61, v21, v66
	v_fmac_f32_e32 v63, v22, v67
	v_fmac_f32_e32 v59, v23, v68
	v_and_b32_e32 v76, 0xffff0000, v76
	v_and_b32_e32 v75, 0xffff0000, v75
	v_and_b32_e32 v73, 0xffff0000, v73
	v_and_b32_e32 v70, 0xffff0000, v70
	v_fmac_f32_e32 v61, v16, v62
	v_fmac_f32_e32 v60, v24, v69
	v_fmac_f32_e32 v63, v26, v71
	v_fmac_f32_e32 v59, v27, v72
	v_and_b32_e32 v80, 0xffff0000, v80
	v_and_b32_e32 v79, 0xffff0000, v79
	v_and_b32_e32 v77, 0xffff0000, v77
	v_and_b32_e32 v74, 0xffff0000, v74
	v_fmac_f32_e32 v61, v25, v70
	v_fmac_f32_e32 v60, v28, v73
	;; [unrolled: 8-line block ×6, first 2 shown]
	v_fmac_f32_e32 v63, v46, v91
	v_fmac_f32_e32 v59, v47, v92
	v_and_b32_e32 v94, 0xffff0000, v94
	v_and_b32_e32 v95, 0xffff0000, v95
	v_fmac_f32_e32 v61, v45, v90
	v_fmac_f32_e32 v60, v48, v93
	;; [unrolled: 1-line block ×4, first 2 shown]
	v_and_b32_e32 v9, 0xffff0000, v9
	v_fmac_f32_e32 v61, v49, v94
	v_fmac_f32_e32 v60, v53, v95
	v_add_f32_e32 v8, v63, v59
	v_fmac_f32_e32 v61, v54, v9
	v_add_f32_e32 v8, v8, v60
	v_add_f32_e32 v8, v8, v61
	ds_bpermute_b32 v9, v55, v8
	s_and_saveexec_b64 s[14:15], vcc
	s_cbranch_execz .LBB342_8
; %bb.170:                              ;   in Loop: Header=BB342_9 Depth=1
	v_add_u32_e32 v59, s36, v56
	v_cvt_f32_i32_e32 v59, v59
	s_waitcnt lgkmcnt(0)
	v_add_f32_e32 v8, v8, v9
	v_cmp_gt_i32_e64 s[0:1], s17, v56
	v_max_f32_e32 v9, v50, v50
	v_mul_f32_e32 v59, s28, v59
	v_cndmask_b32_e64 v59, 0, v59, s[2:3]
	v_fmac_f32_e32 v59, s29, v8
	v_cndmask_b32_e64 v8, 0, v59, s[0:1]
	ds_write_b32 v57, v8
	v_max_f32_e32 v8, v9, v59
	v_cndmask_b32_e64 v50, v50, v8, s[0:1]
	s_branch .LBB342_8
.LBB342_171:
	s_or_b64 exec, exec, s[8:9]
.LBB342_172:
	s_or_b64 exec, exec, s[30:31]
	v_xor_b32_e32 v2, 32, v10
	v_cmp_lt_i32_e32 vcc, v2, v11
	v_xor_b32_e32 v5, 16, v10
	v_max_f32_e32 v4, v50, v50
	v_cndmask_b32_e32 v2, v10, v2, vcc
	v_lshlrev_b32_e32 v2, 2, v2
	ds_bpermute_b32 v3, v2, v50
	v_cmp_lt_i32_e32 vcc, v5, v11
	v_xor_b32_e32 v6, 8, v10
	v_xor_b32_e32 v7, 4, v10
	v_xor_b32_e32 v8, 2, v10
	s_waitcnt lgkmcnt(0)
	v_max_f32_e32 v3, v3, v3
	v_max_f32_e32 v4, v4, v3
	v_cndmask_b32_e32 v3, v10, v5, vcc
	v_lshlrev_b32_e32 v3, 2, v3
	ds_bpermute_b32 v5, v3, v4
	v_cmp_lt_i32_e32 vcc, v6, v11
	v_and_b32_e32 v20, 63, v0
	s_waitcnt lgkmcnt(0)
	v_max_f32_e32 v5, v5, v5
	v_max_f32_e32 v5, v4, v5
	v_cndmask_b32_e32 v4, v10, v6, vcc
	v_lshlrev_b32_e32 v4, 2, v4
	ds_bpermute_b32 v6, v4, v5
	v_cmp_lt_i32_e32 vcc, v7, v11
	s_waitcnt lgkmcnt(0)
	v_max_f32_e32 v6, v6, v6
	v_max_f32_e32 v6, v5, v6
	v_cndmask_b32_e32 v5, v10, v7, vcc
	v_lshlrev_b32_e32 v5, 2, v5
	ds_bpermute_b32 v7, v5, v6
	v_cmp_lt_i32_e32 vcc, v8, v11
	s_waitcnt lgkmcnt(0)
	v_max_f32_e32 v7, v7, v7
	v_max_f32_e32 v7, v6, v7
	v_cndmask_b32_e32 v6, v10, v8, vcc
	v_lshlrev_b32_e32 v21, 2, v6
	ds_bpermute_b32 v8, v21, v7
	v_cmp_eq_u32_e32 vcc, 0, v20
	v_lshlrev_b32_e32 v6, 2, v1
	s_and_saveexec_b64 s[0:1], vcc
	s_cbranch_execz .LBB342_174
; %bb.173:
	s_waitcnt lgkmcnt(0)
	v_max_f32_e32 v8, v8, v8
	v_max_f32_e32 v7, v7, v7
	;; [unrolled: 1-line block ×3, first 2 shown]
	ds_write_b32 v6, v7 offset:160
.LBB342_174:
	s_or_b64 exec, exec, s[0:1]
	v_cmp_gt_u32_e64 s[0:1], 2, v20
	s_waitcnt lgkmcnt(0)
	v_mov_b32_e32 v8, 0xff7fffff
	v_lshlrev_b32_e32 v7, 2, v20
	s_barrier
	s_and_saveexec_b64 s[2:3], s[0:1]
	s_cbranch_execz .LBB342_176
; %bb.175:
	ds_read_b32 v8, v7 offset:160
.LBB342_176:
	s_or_b64 exec, exec, s[2:3]
	v_xor_b32_e32 v9, 1, v10
	v_cmp_lt_i32_e64 s[2:3], v9, v11
	s_nop 1
	v_cndmask_b32_e64 v9, v10, v9, s[2:3]
	v_lshlrev_b32_e32 v22, 2, v9
	s_waitcnt lgkmcnt(0)
	ds_bpermute_b32 v9, v22, v8
	v_max_f32_e32 v8, v8, v8
	v_lshlrev_b32_e32 v10, 2, v10
	s_lshl_b32 s2, s19, 5
	s_min_i32 s30, s2, s17
	s_waitcnt lgkmcnt(0)
	v_max_f32_e32 v9, v9, v9
	v_max_f32_e32 v9, v8, v9
	v_and_b32_e32 v8, 0xffffff00, v10
	ds_bpermute_b32 v10, v8, v9
	v_cmp_gt_i32_e64 s[2:3], s30, v0
	v_mov_b32_e32 v9, 0
	s_and_saveexec_b64 s[14:15], s[2:3]
	s_cbranch_execz .LBB342_180
; %bb.177:
	v_mov_b32_e32 v9, 0xb0
	v_lshl_add_u32 v11, v0, 2, v9
	s_mov_b64 s[28:29], 0
	v_mov_b32_e32 v9, 0
	v_mov_b32_e32 v12, v0
.LBB342_178:                            ; =>This Inner Loop Header: Depth=1
	ds_read_b32 v13, v11
	v_add_u32_e32 v12, 0x80, v12
	v_cmp_le_i32_e64 s[8:9], s30, v12
	s_or_b64 s[28:29], s[8:9], s[28:29]
	s_waitcnt lgkmcnt(0)
	v_sub_f32_e32 v13, v13, v10
	v_mul_f32_e32 v13, 0x3fb8aa3b, v13
	v_exp_f32_e32 v13, v13
	ds_write_b32 v11, v13
	v_add_f32_e32 v9, v9, v13
	v_add_u32_e32 v11, 0x200, v11
	s_andn2_b64 exec, exec, s[28:29]
	s_cbranch_execnz .LBB342_178
; %bb.179:
	s_or_b64 exec, exec, s[28:29]
.LBB342_180:
	s_or_b64 exec, exec, s[14:15]
	ds_bpermute_b32 v2, v2, v9
	s_waitcnt lgkmcnt(0)
	v_add_f32_e32 v2, v9, v2
	ds_bpermute_b32 v3, v3, v2
	s_waitcnt lgkmcnt(0)
	v_add_f32_e32 v2, v2, v3
	;; [unrolled: 3-line block ×6, first 2 shown]
	s_and_saveexec_b64 s[8:9], vcc
	s_cbranch_execz .LBB342_182
; %bb.181:
	ds_write_b32 v6, v2 offset:168
.LBB342_182:
	s_or_b64 exec, exec, s[8:9]
	s_waitcnt lgkmcnt(0)
	s_barrier
	s_and_saveexec_b64 s[8:9], s[0:1]
	s_cbranch_execz .LBB342_184
; %bb.183:
	ds_read_b32 v2, v7 offset:168
.LBB342_184:
	s_or_b64 exec, exec, s[8:9]
	s_waitcnt lgkmcnt(0)
	ds_bpermute_b32 v3, v22, v2
	s_waitcnt lgkmcnt(0)
	v_add_f32_e32 v2, v2, v3
	ds_bpermute_b32 v2, v8, v2
	s_and_saveexec_b64 s[0:1], s[2:3]
	s_cbranch_execz .LBB342_197
; %bb.185:
	s_waitcnt lgkmcnt(0)
	v_add_f32_e32 v2, 0x358637bd, v2
	v_div_scale_f32 v3, s[2:3], v2, v2, 1.0
	v_rcp_f32_e32 v4, v3
	v_div_scale_f32 v5, vcc, 1.0, v2, 1.0
	s_movk_i32 s2, 0x7f
	v_fma_f32 v6, -v3, v4, 1.0
	v_fmac_f32_e32 v4, v6, v4
	v_mul_f32_e32 v6, v5, v4
	v_fma_f32 v7, -v3, v6, v5
	v_fmac_f32_e32 v6, v7, v4
	v_fma_f32 v3, -v3, v6, v5
	v_div_fmas_f32 v3, v3, v4, v6
	v_xad_u32 v4, v0, -1, s30
	v_div_fixup_f32 v2, v3, v2, 1.0
	v_cmp_lt_u32_e32 vcc, s2, v4
	s_mov_b64 s[8:9], -1
	v_mov_b32_e32 v3, v0
	s_and_saveexec_b64 s[2:3], vcc
	s_cbranch_execz .LBB342_194
; %bb.186:
	v_lshrrev_b32_e32 v4, 7, v4
	v_add_u32_e32 v6, -1, v4
	v_lshrrev_b32_e32 v5, 1, v6
	v_mov_b32_e32 v3, v2
	v_add_u32_e32 v5, 1, v5
	v_cmp_lt_u32_e32 vcc, 13, v6
	v_mov_b32_e32 v8, 0
	s_and_saveexec_b64 s[8:9], vcc
	s_cbranch_execz .LBB342_190
; %bb.187:
	v_mov_b32_e32 v7, 0xb0
	v_and_b32_e32 v6, -8, v5
	v_lshl_add_u32 v7, v0, 2, v7
	s_mov_b32 s28, 0
	s_mov_b64 s[14:15], 0
.LBB342_188:                            ; =>This Inner Loop Header: Depth=1
	ds_read2st64_b32 v[8:9], v7 offset1:2
	ds_read2st64_b32 v[10:11], v7 offset0:4 offset1:6
	ds_read2st64_b32 v[12:13], v7 offset0:8 offset1:10
	ds_read2st64_b32 v[16:17], v7 offset0:12 offset1:14
	v_add_u32_e32 v6, -8, v6
	s_waitcnt lgkmcnt(3)
	v_pk_mul_f32 v[8:9], v[2:3], v[8:9]
	s_waitcnt lgkmcnt(2)
	v_pk_mul_f32 v[10:11], v[2:3], v[10:11]
	ds_write2st64_b32 v7, v8, v9 offset1:2
	ds_write2st64_b32 v7, v10, v11 offset0:4 offset1:6
	ds_read2st64_b32 v[10:11], v7 offset0:16 offset1:18
	s_waitcnt lgkmcnt(4)
	v_pk_mul_f32 v[8:9], v[2:3], v[12:13]
	ds_write2st64_b32 v7, v8, v9 offset0:8 offset1:10
	s_waitcnt lgkmcnt(4)
	v_pk_mul_f32 v[8:9], v[2:3], v[16:17]
	ds_write2st64_b32 v7, v8, v9 offset0:12 offset1:14
	ds_read2st64_b32 v[8:9], v7 offset0:20 offset1:22
	s_waitcnt lgkmcnt(3)
	v_pk_mul_f32 v[10:11], v[2:3], v[10:11]
	ds_read2st64_b32 v[12:13], v7 offset0:24 offset1:26
	ds_write2st64_b32 v7, v10, v11 offset0:16 offset1:18
	ds_read2st64_b32 v[10:11], v7 offset0:28 offset1:30
	s_waitcnt lgkmcnt(3)
	v_pk_mul_f32 v[8:9], v[2:3], v[8:9]
	ds_write2st64_b32 v7, v8, v9 offset0:20 offset1:22
	s_waitcnt lgkmcnt(3)
	v_pk_mul_f32 v[8:9], v[2:3], v[12:13]
	ds_write2st64_b32 v7, v8, v9 offset0:24 offset1:26
	s_waitcnt lgkmcnt(2)
	v_pk_mul_f32 v[8:9], v[2:3], v[10:11]
	s_add_i32 s28, s28, 16
	v_cmp_eq_u32_e32 vcc, 0, v6
	ds_write2st64_b32 v7, v8, v9 offset0:28 offset1:30
	v_add_u32_e32 v7, 0x2000, v7
	s_or_b64 s[14:15], vcc, s[14:15]
	v_mov_b32_e32 v8, s28
	s_andn2_b64 exec, exec, s[14:15]
	s_cbranch_execnz .LBB342_188
; %bb.189:
	s_or_b64 exec, exec, s[14:15]
.LBB342_190:
	s_or_b64 exec, exec, s[8:9]
	v_and_b32_e32 v5, 7, v5
	v_cmp_ne_u32_e32 vcc, 0, v5
	s_and_saveexec_b64 s[8:9], vcc
	s_cbranch_execz .LBB342_193
; %bb.191:
	v_lshlrev_b32_e32 v6, 9, v8
	v_lshlrev_b32_e32 v7, 2, v0
	s_movk_i32 s14, 0xb0
	v_add3_u32 v6, v6, v7, s14
	s_mov_b64 s[14:15], 0
.LBB342_192:                            ; =>This Inner Loop Header: Depth=1
	ds_read2st64_b32 v[8:9], v6 offset1:2
	v_add_u32_e32 v5, -1, v5
	v_cmp_eq_u32_e32 vcc, 0, v5
	s_or_b64 s[14:15], vcc, s[14:15]
	s_waitcnt lgkmcnt(0)
	v_pk_mul_f32 v[8:9], v[2:3], v[8:9]
	ds_write2st64_b32 v6, v8, v9 offset1:2
	v_add_u32_e32 v6, 0x400, v6
	s_andn2_b64 exec, exec, s[14:15]
	s_cbranch_execnz .LBB342_192
.LBB342_193:
	s_or_b64 exec, exec, s[8:9]
	v_add_u32_e32 v4, 1, v4
	v_and_b32_e32 v5, 0x3fffffe, v4
	v_cmp_ne_u32_e32 vcc, v4, v5
	v_lshl_add_u32 v3, v5, 7, v0
	s_orn2_b64 s[8:9], vcc, exec
.LBB342_194:
	s_or_b64 exec, exec, s[2:3]
	s_and_b64 exec, exec, s[8:9]
	s_cbranch_execz .LBB342_197
; %bb.195:
	v_mov_b32_e32 v4, 0xb0
	v_lshl_add_u32 v4, v3, 2, v4
	s_mov_b64 s[2:3], 0
.LBB342_196:                            ; =>This Inner Loop Header: Depth=1
	ds_read_b32 v5, v4
	v_add_u32_e32 v3, 0x80, v3
	v_cmp_le_i32_e32 vcc, s30, v3
	s_or_b64 s[2:3], vcc, s[2:3]
	s_waitcnt lgkmcnt(0)
	v_mul_f32_e32 v5, v2, v5
	ds_write_b32 v4, v5
	v_add_u32_e32 v4, 0x200, v4
	s_andn2_b64 exec, exec, s[2:3]
	s_cbranch_execnz .LBB342_196
.LBB342_197:
	s_or_b64 exec, exec, s[0:1]
	v_mov_b32_e32 v14, 0
	v_and_b32_e32 v23, 3, v0
	v_mov_b32_e32 v11, 0
	v_mov_b32_e32 v10, 0
	;; [unrolled: 1-line block ×4, first 2 shown]
	s_waitcnt lgkmcnt(0)
	s_barrier
	s_and_saveexec_b64 s[2:3], s[6:7]
	s_cbranch_execz .LBB342_563
; %bb.198:
	s_ashr_i32 s1, s33, 31
	s_add_u32 s0, s26, s33
	v_and_b32_e32 v2, 24, v15
	s_addc_u32 s1, s27, s1
	s_load_dword s10, s[10:11], 0x0
	v_and_b32_e32 v14, 0x1f8, v15
	v_mov_b32_e32 v15, 0
	s_add_i32 s11, s19, -1
	v_lshl_add_u64 v[16:17], s[0:1], 0, v[14:15]
	v_lshlrev_b32_e32 v3, 5, v1
	s_lshl_b64 s[0:1], s[24:25], 2
	v_or3_b32 v24, v3, v2, 7
	v_lshlrev_b32_e32 v2, 5, v23
	s_add_u32 s0, s22, s0
	v_lshl_or_b32 v2, v1, 7, v2
	v_and_b32_e32 v14, 60, v18
	s_addc_u32 s1, s23, s1
	v_add_u32_e32 v25, 0xb0, v2
	v_lshl_add_u64 v[18:19], s[0:1], 0, v[14:15]
	s_mov_b64 s[6:7], 0
	s_mov_b32 s14, 0x7f800000
	s_movk_i32 s15, 0x7fff
	v_mov_b32_e32 v12, 0
	v_mov_b32_e32 v13, 0
	v_mov_b32_e32 v10, 0
	v_mov_b32_e32 v11, 0
	v_mov_b32_e32 v14, 0
	s_branch .LBB342_200
.LBB342_199:                            ;   in Loop: Header=BB342_200 Depth=1
	s_or_b64 exec, exec, s[0:1]
	v_and_b32_e32 v39, 0xffff0000, v9
	v_and_b32_e32 v38, 0xffff0000, v7
	;; [unrolled: 1-line block ×8, first 2 shown]
	v_pk_add_f32 v[6:7], v[6:7], v[38:39]
	v_pk_add_f32 v[8:9], v[26:27], v[36:37]
	v_add_f32_e32 v6, v6, v7
	v_add_f32_e32 v6, v6, v8
	v_add_f32_e32 v6, v6, v9
	v_and_b32_e32 v27, 0xffff0000, v48
	v_and_b32_e32 v26, 0xffff0000, v46
	v_and_b32_e32 v37, 0xffff0000, v47
	v_and_b32_e32 v36, 0xffff0000, v45
	v_add_f32_e32 v12, v12, v6
	v_and_b32_e32 v7, 0xffff0000, v52
	v_and_b32_e32 v6, 0xffff0000, v50
	v_and_b32_e32 v9, 0xffff0000, v51
	v_and_b32_e32 v8, 0xffff0000, v49
	v_pk_add_f32 v[26:27], v[36:37], v[26:27]
	v_pk_add_f32 v[6:7], v[8:9], v[6:7]
	v_add_f32_e32 v8, v26, v27
	v_add_f32_e32 v6, v8, v6
	v_add_f32_e32 v6, v6, v7
	v_and_b32_e32 v27, 0xffff0000, v56
	v_and_b32_e32 v26, 0xffff0000, v54
	v_and_b32_e32 v37, 0xffff0000, v55
	v_and_b32_e32 v36, 0xffff0000, v53
	v_add_f32_e32 v13, v13, v6
	v_and_b32_e32 v7, 0xffff0000, v60
	v_and_b32_e32 v6, 0xffff0000, v58
	v_and_b32_e32 v9, 0xffff0000, v59
	v_and_b32_e32 v8, 0xffff0000, v57
	v_pk_add_f32 v[26:27], v[36:37], v[26:27]
	v_pk_add_f32 v[6:7], v[8:9], v[6:7]
	v_add_f32_e32 v8, v26, v27
	v_add_f32_e32 v6, v8, v6
	v_add_f32_e32 v6, v6, v7
	v_and_b32_e32 v27, 0xffff0000, v62
	v_and_b32_e32 v26, 0xffff0000, v5
	v_and_b32_e32 v5, 0xffff0000, v61
	v_and_b32_e32 v4, 0xffff0000, v4
	v_add_f32_e32 v10, v10, v6
	v_and_b32_e32 v7, 0xffff0000, v66
	v_and_b32_e32 v6, 0xffff0000, v64
	v_and_b32_e32 v9, 0xffff0000, v65
	v_and_b32_e32 v8, 0xffff0000, v63
	v_pk_add_f32 v[4:5], v[4:5], v[26:27]
	v_pk_add_f32 v[6:7], v[8:9], v[6:7]
	v_add_f32_e32 v4, v4, v5
	v_add_f32_e32 v4, v4, v6
	v_add_f32_e32 v4, v4, v7
	v_and_b32_e32 v9, 0xffff0000, v30
	v_and_b32_e32 v8, 0xffff0000, v3
	v_and_b32_e32 v3, 0xffff0000, v29
	v_and_b32_e32 v2, 0xffff0000, v2
	v_add_f32_e32 v11, v11, v4
	v_and_b32_e32 v5, 0xffff0000, v34
	v_and_b32_e32 v4, 0xffff0000, v32
	v_and_b32_e32 v7, 0xffff0000, v33
	v_and_b32_e32 v6, 0xffff0000, v31
	v_pk_add_f32 v[2:3], v[2:3], v[8:9]
	v_pk_add_f32 v[4:5], v[6:7], v[4:5]
	v_add_f32_e32 v2, v2, v3
	v_add_f32_e32 v2, v2, v4
	v_add_u32_e32 v1, 2, v1
	v_add_f32_e32 v2, v2, v5
	v_cmp_le_i32_e32 vcc, s19, v1
	v_add_f32_e32 v14, v14, v2
	v_add_u32_e32 v24, 64, v24
	v_add_u32_e32 v25, 0x100, v25
	s_or_b64 s[6:7], vcc, s[6:7]
	v_lshl_add_u64 v[18:19], v[18:19], 0, 8
	s_andn2_b64 exec, exec, s[6:7]
	s_cbranch_execz .LBB342_562
.LBB342_200:                            ; =>This Inner Loop Header: Depth=1
	global_load_dword v29, v[18:19], off
	ds_read2_b64 v[6:9], v25 offset1:1
	ds_read2_b64 v[2:5], v25 offset0:2 offset1:3
                                        ; implicit-def: $vgpr37
	s_waitcnt lgkmcnt(0)
	v_and_b32_e32 v26, 0x7f800000, v6
	v_cmp_ne_u32_e32 vcc, s14, v26
	s_and_saveexec_b64 s[0:1], vcc
	s_xor_b64 s[0:1], exec, s[0:1]
; %bb.201:                              ;   in Loop: Header=BB342_200 Depth=1
	v_bfe_u32 v26, v6, 16, 1
	v_add3_u32 v37, v6, v26, s15
; %bb.202:                              ;   in Loop: Header=BB342_200 Depth=1
	s_andn2_saveexec_b64 s[0:1], s[0:1]
; %bb.203:                              ;   in Loop: Header=BB342_200 Depth=1
	v_or_b32_e32 v26, 0x10000, v6
	v_cmp_eq_u32_sdwa vcc, v6, v15 src0_sel:WORD_0 src1_sel:DWORD
	s_nop 1
	v_cndmask_b32_e32 v37, v26, v6, vcc
; %bb.204:                              ;   in Loop: Header=BB342_200 Depth=1
	s_or_b64 exec, exec, s[0:1]
	v_and_b32_e32 v6, 0x7f800000, v7
	v_cmp_ne_u32_e32 vcc, s14, v6
                                        ; implicit-def: $vgpr38
	s_and_saveexec_b64 s[0:1], vcc
	s_xor_b64 s[0:1], exec, s[0:1]
; %bb.205:                              ;   in Loop: Header=BB342_200 Depth=1
	v_bfe_u32 v6, v7, 16, 1
	v_add3_u32 v38, v7, v6, s15
; %bb.206:                              ;   in Loop: Header=BB342_200 Depth=1
	s_andn2_saveexec_b64 s[0:1], s[0:1]
; %bb.207:                              ;   in Loop: Header=BB342_200 Depth=1
	v_or_b32_e32 v6, 0x10000, v7
	v_cmp_eq_u32_sdwa vcc, v7, v15 src0_sel:WORD_0 src1_sel:DWORD
	s_nop 1
	v_cndmask_b32_e32 v38, v6, v7, vcc
; %bb.208:                              ;   in Loop: Header=BB342_200 Depth=1
	s_or_b64 exec, exec, s[0:1]
	v_and_b32_e32 v6, 0x7f800000, v8
	v_cmp_ne_u32_e32 vcc, s14, v6
                                        ; implicit-def: $vgpr39
	s_and_saveexec_b64 s[0:1], vcc
	s_xor_b64 s[0:1], exec, s[0:1]
; %bb.209:                              ;   in Loop: Header=BB342_200 Depth=1
	v_bfe_u32 v6, v8, 16, 1
	v_add3_u32 v39, v8, v6, s15
; %bb.210:                              ;   in Loop: Header=BB342_200 Depth=1
	s_andn2_saveexec_b64 s[0:1], s[0:1]
; %bb.211:                              ;   in Loop: Header=BB342_200 Depth=1
	v_or_b32_e32 v6, 0x10000, v8
	v_cmp_eq_u32_sdwa vcc, v8, v15 src0_sel:WORD_0 src1_sel:DWORD
	s_nop 1
	v_cndmask_b32_e32 v39, v6, v8, vcc
; %bb.212:                              ;   in Loop: Header=BB342_200 Depth=1
	s_or_b64 exec, exec, s[0:1]
	v_and_b32_e32 v6, 0x7f800000, v9
	v_cmp_ne_u32_e32 vcc, s14, v6
                                        ; implicit-def: $vgpr40
	s_and_saveexec_b64 s[0:1], vcc
	s_xor_b64 s[0:1], exec, s[0:1]
; %bb.213:                              ;   in Loop: Header=BB342_200 Depth=1
	v_bfe_u32 v6, v9, 16, 1
	v_add3_u32 v40, v9, v6, s15
                                        ; implicit-def: $vgpr6_vgpr7_vgpr8_vgpr9
; %bb.214:                              ;   in Loop: Header=BB342_200 Depth=1
	s_andn2_saveexec_b64 s[0:1], s[0:1]
; %bb.215:                              ;   in Loop: Header=BB342_200 Depth=1
	v_or_b32_e32 v6, 0x10000, v9
	v_cmp_eq_u32_sdwa vcc, v9, v15 src0_sel:WORD_0 src1_sel:DWORD
	s_nop 1
	v_cndmask_b32_e32 v40, v6, v9, vcc
; %bb.216:                              ;   in Loop: Header=BB342_200 Depth=1
	s_or_b64 exec, exec, s[0:1]
	v_and_b32_e32 v6, 0x7f800000, v2
	v_cmp_ne_u32_e32 vcc, s14, v6
                                        ; implicit-def: $vgpr26
	s_and_saveexec_b64 s[0:1], vcc
	s_xor_b64 s[0:1], exec, s[0:1]
; %bb.217:                              ;   in Loop: Header=BB342_200 Depth=1
	v_bfe_u32 v6, v2, 16, 1
	v_add3_u32 v26, v2, v6, s15
; %bb.218:                              ;   in Loop: Header=BB342_200 Depth=1
	s_andn2_saveexec_b64 s[0:1], s[0:1]
; %bb.219:                              ;   in Loop: Header=BB342_200 Depth=1
	v_or_b32_e32 v6, 0x10000, v2
	v_cmp_eq_u32_sdwa vcc, v2, v15 src0_sel:WORD_0 src1_sel:DWORD
	s_nop 1
	v_cndmask_b32_e32 v26, v6, v2, vcc
; %bb.220:                              ;   in Loop: Header=BB342_200 Depth=1
	s_or_b64 exec, exec, s[0:1]
	v_and_b32_e32 v2, 0x7f800000, v3
	v_cmp_ne_u32_e32 vcc, s14, v2
                                        ; implicit-def: $vgpr27
	s_and_saveexec_b64 s[0:1], vcc
	s_xor_b64 s[0:1], exec, s[0:1]
; %bb.221:                              ;   in Loop: Header=BB342_200 Depth=1
	v_bfe_u32 v2, v3, 16, 1
	v_add3_u32 v27, v3, v2, s15
; %bb.222:                              ;   in Loop: Header=BB342_200 Depth=1
	s_andn2_saveexec_b64 s[0:1], s[0:1]
; %bb.223:                              ;   in Loop: Header=BB342_200 Depth=1
	v_or_b32_e32 v2, 0x10000, v3
	v_cmp_eq_u32_sdwa vcc, v3, v15 src0_sel:WORD_0 src1_sel:DWORD
	s_nop 1
	v_cndmask_b32_e32 v27, v2, v3, vcc
; %bb.224:                              ;   in Loop: Header=BB342_200 Depth=1
	s_or_b64 exec, exec, s[0:1]
	v_and_b32_e32 v2, 0x7f800000, v4
	v_cmp_ne_u32_e32 vcc, s14, v2
                                        ; implicit-def: $vgpr28
	s_and_saveexec_b64 s[0:1], vcc
	s_xor_b64 s[0:1], exec, s[0:1]
; %bb.225:                              ;   in Loop: Header=BB342_200 Depth=1
	v_bfe_u32 v2, v4, 16, 1
	v_add3_u32 v28, v4, v2, s15
; %bb.226:                              ;   in Loop: Header=BB342_200 Depth=1
	s_andn2_saveexec_b64 s[0:1], s[0:1]
; %bb.227:                              ;   in Loop: Header=BB342_200 Depth=1
	v_or_b32_e32 v2, 0x10000, v4
	v_cmp_eq_u32_sdwa vcc, v4, v15 src0_sel:WORD_0 src1_sel:DWORD
	s_nop 1
	v_cndmask_b32_e32 v28, v2, v4, vcc
; %bb.228:                              ;   in Loop: Header=BB342_200 Depth=1
	s_or_b64 exec, exec, s[0:1]
	v_and_b32_e32 v2, 0x7f800000, v5
	v_cmp_ne_u32_e32 vcc, s14, v2
                                        ; implicit-def: $vgpr36
	s_and_saveexec_b64 s[0:1], vcc
	s_xor_b64 s[0:1], exec, s[0:1]
; %bb.229:                              ;   in Loop: Header=BB342_200 Depth=1
	v_bfe_u32 v2, v5, 16, 1
	v_add3_u32 v36, v5, v2, s15
                                        ; implicit-def: $vgpr2_vgpr3_vgpr4_vgpr5
; %bb.230:                              ;   in Loop: Header=BB342_200 Depth=1
	s_andn2_saveexec_b64 s[0:1], s[0:1]
; %bb.231:                              ;   in Loop: Header=BB342_200 Depth=1
	v_or_b32_e32 v2, 0x10000, v5
	v_cmp_eq_u32_sdwa vcc, v5, v15 src0_sel:WORD_0 src1_sel:DWORD
	s_nop 1
	v_cndmask_b32_e32 v36, v2, v5, vcc
; %bb.232:                              ;   in Loop: Header=BB342_200 Depth=1
	s_or_b64 exec, exec, s[0:1]
	s_waitcnt vmcnt(0)
	v_mad_i64_i32 v[2:3], s[0:1], v29, s13, v[16:17]
	global_load_dwordx2 v[4:5], v[2:3], off
	s_waitcnt vmcnt(0)
	v_and_b32_e32 v6, 0xff, v4
	v_cvt_f32_fp8_sdwa v6, v6 src0_sel:BYTE_0
	s_nop 0
	v_mul_f32_e32 v7, s10, v6
	v_and_b32_e32 v6, 0x7f800000, v7
	v_cmp_ne_u32_e32 vcc, s14, v6
                                        ; implicit-def: $vgpr6
	s_and_saveexec_b64 s[0:1], vcc
	s_xor_b64 s[0:1], exec, s[0:1]
; %bb.233:                              ;   in Loop: Header=BB342_200 Depth=1
	v_bfe_u32 v6, v7, 16, 1
	v_add3_u32 v6, v7, v6, s15
                                        ; implicit-def: $vgpr7
; %bb.234:                              ;   in Loop: Header=BB342_200 Depth=1
	s_andn2_saveexec_b64 s[0:1], s[0:1]
; %bb.235:                              ;   in Loop: Header=BB342_200 Depth=1
	v_or_b32_e32 v6, 0x10000, v7
	v_cmp_eq_u32_sdwa vcc, v7, v15 src0_sel:WORD_0 src1_sel:DWORD
	s_nop 1
	v_cndmask_b32_e32 v6, v6, v7, vcc
; %bb.236:                              ;   in Loop: Header=BB342_200 Depth=1
	s_or_b64 exec, exec, s[0:1]
	v_bfe_u32 v7, v4, 8, 8
	v_cvt_f32_fp8_sdwa v7, v7 src0_sel:BYTE_0
	s_nop 0
	v_mul_f32_e32 v8, s10, v7
	v_and_b32_e32 v7, 0x7f800000, v8
	v_cmp_ne_u32_e32 vcc, s14, v7
                                        ; implicit-def: $vgpr7
	s_and_saveexec_b64 s[0:1], vcc
	s_xor_b64 s[0:1], exec, s[0:1]
; %bb.237:                              ;   in Loop: Header=BB342_200 Depth=1
	v_bfe_u32 v7, v8, 16, 1
	v_add3_u32 v7, v8, v7, s15
                                        ; implicit-def: $vgpr8
; %bb.238:                              ;   in Loop: Header=BB342_200 Depth=1
	s_andn2_saveexec_b64 s[0:1], s[0:1]
; %bb.239:                              ;   in Loop: Header=BB342_200 Depth=1
	v_or_b32_e32 v7, 0x10000, v8
	v_cmp_eq_u32_sdwa vcc, v8, v15 src0_sel:WORD_0 src1_sel:DWORD
	s_nop 1
	v_cndmask_b32_e32 v7, v7, v8, vcc
; %bb.240:                              ;   in Loop: Header=BB342_200 Depth=1
	s_or_b64 exec, exec, s[0:1]
	v_bfe_u32 v8, v4, 16, 8
	v_cvt_f32_fp8_sdwa v8, v8 src0_sel:BYTE_0
	s_nop 0
	v_mul_f32_e32 v9, s10, v8
	v_and_b32_e32 v8, 0x7f800000, v9
	v_cmp_ne_u32_e32 vcc, s14, v8
                                        ; implicit-def: $vgpr8
	s_and_saveexec_b64 s[0:1], vcc
	s_xor_b64 s[0:1], exec, s[0:1]
; %bb.241:                              ;   in Loop: Header=BB342_200 Depth=1
	v_bfe_u32 v8, v9, 16, 1
	v_add3_u32 v8, v9, v8, s15
                                        ; implicit-def: $vgpr9
; %bb.242:                              ;   in Loop: Header=BB342_200 Depth=1
	s_andn2_saveexec_b64 s[0:1], s[0:1]
; %bb.243:                              ;   in Loop: Header=BB342_200 Depth=1
	v_or_b32_e32 v8, 0x10000, v9
	v_cmp_eq_u32_sdwa vcc, v9, v15 src0_sel:WORD_0 src1_sel:DWORD
	s_nop 1
	v_cndmask_b32_e32 v8, v8, v9, vcc
; %bb.244:                              ;   in Loop: Header=BB342_200 Depth=1
	s_or_b64 exec, exec, s[0:1]
	v_lshrrev_b32_e32 v4, 24, v4
	v_cvt_f32_fp8_sdwa v4, v4 src0_sel:BYTE_0
	s_nop 0
	v_mul_f32_e32 v9, s10, v4
	v_and_b32_e32 v4, 0x7f800000, v9
	v_cmp_ne_u32_e32 vcc, s14, v4
                                        ; implicit-def: $vgpr4
	s_and_saveexec_b64 s[0:1], vcc
	s_xor_b64 s[0:1], exec, s[0:1]
; %bb.245:                              ;   in Loop: Header=BB342_200 Depth=1
	v_bfe_u32 v4, v9, 16, 1
	v_add3_u32 v4, v9, v4, s15
                                        ; implicit-def: $vgpr9
; %bb.246:                              ;   in Loop: Header=BB342_200 Depth=1
	s_andn2_saveexec_b64 s[0:1], s[0:1]
; %bb.247:                              ;   in Loop: Header=BB342_200 Depth=1
	v_or_b32_e32 v4, 0x10000, v9
	v_cmp_eq_u32_sdwa vcc, v9, v15 src0_sel:WORD_0 src1_sel:DWORD
	s_nop 1
	v_cndmask_b32_e32 v4, v4, v9, vcc
; %bb.248:                              ;   in Loop: Header=BB342_200 Depth=1
	s_or_b64 exec, exec, s[0:1]
	v_and_b32_e32 v9, 0xff, v5
	v_cvt_f32_fp8_sdwa v9, v9 src0_sel:BYTE_0
	s_nop 0
	v_mul_f32_e32 v29, s10, v9
	v_and_b32_e32 v9, 0x7f800000, v29
	v_cmp_ne_u32_e32 vcc, s14, v9
                                        ; implicit-def: $vgpr9
	s_and_saveexec_b64 s[0:1], vcc
	s_xor_b64 s[0:1], exec, s[0:1]
; %bb.249:                              ;   in Loop: Header=BB342_200 Depth=1
	v_bfe_u32 v9, v29, 16, 1
	v_add3_u32 v9, v29, v9, s15
                                        ; implicit-def: $vgpr29
; %bb.250:                              ;   in Loop: Header=BB342_200 Depth=1
	s_andn2_saveexec_b64 s[0:1], s[0:1]
; %bb.251:                              ;   in Loop: Header=BB342_200 Depth=1
	v_or_b32_e32 v9, 0x10000, v29
	v_cmp_eq_u32_sdwa vcc, v29, v15 src0_sel:WORD_0 src1_sel:DWORD
	s_nop 1
	v_cndmask_b32_e32 v9, v9, v29, vcc
; %bb.252:                              ;   in Loop: Header=BB342_200 Depth=1
	s_or_b64 exec, exec, s[0:1]
	v_bfe_u32 v29, v5, 8, 8
	v_cvt_f32_fp8_sdwa v29, v29 src0_sel:BYTE_0
	s_nop 0
	v_mul_f32_e32 v29, s10, v29
	v_and_b32_e32 v30, 0x7f800000, v29
	v_cmp_ne_u32_e32 vcc, s14, v30
                                        ; implicit-def: $vgpr30
	s_and_saveexec_b64 s[0:1], vcc
	s_xor_b64 s[0:1], exec, s[0:1]
; %bb.253:                              ;   in Loop: Header=BB342_200 Depth=1
	v_bfe_u32 v30, v29, 16, 1
	v_add3_u32 v30, v29, v30, s15
                                        ; implicit-def: $vgpr29
; %bb.254:                              ;   in Loop: Header=BB342_200 Depth=1
	s_andn2_saveexec_b64 s[0:1], s[0:1]
; %bb.255:                              ;   in Loop: Header=BB342_200 Depth=1
	v_or_b32_e32 v30, 0x10000, v29
	v_cmp_eq_u32_sdwa vcc, v29, v15 src0_sel:WORD_0 src1_sel:DWORD
	s_nop 1
	v_cndmask_b32_e32 v30, v30, v29, vcc
; %bb.256:                              ;   in Loop: Header=BB342_200 Depth=1
	s_or_b64 exec, exec, s[0:1]
	v_bfe_u32 v29, v5, 16, 8
	v_cvt_f32_fp8_sdwa v29, v29 src0_sel:BYTE_0
	s_nop 0
	v_mul_f32_e32 v29, s10, v29
	v_and_b32_e32 v31, 0x7f800000, v29
	v_cmp_ne_u32_e32 vcc, s14, v31
                                        ; implicit-def: $vgpr31
	s_and_saveexec_b64 s[0:1], vcc
	s_xor_b64 s[0:1], exec, s[0:1]
; %bb.257:                              ;   in Loop: Header=BB342_200 Depth=1
	v_bfe_u32 v31, v29, 16, 1
	v_add3_u32 v31, v29, v31, s15
                                        ; implicit-def: $vgpr29
; %bb.258:                              ;   in Loop: Header=BB342_200 Depth=1
	s_andn2_saveexec_b64 s[0:1], s[0:1]
; %bb.259:                              ;   in Loop: Header=BB342_200 Depth=1
	v_or_b32_e32 v31, 0x10000, v29
	v_cmp_eq_u32_sdwa vcc, v29, v15 src0_sel:WORD_0 src1_sel:DWORD
	s_nop 1
	v_cndmask_b32_e32 v31, v31, v29, vcc
; %bb.260:                              ;   in Loop: Header=BB342_200 Depth=1
	s_or_b64 exec, exec, s[0:1]
	v_lshrrev_b32_e32 v5, 24, v5
	v_cvt_f32_fp8_sdwa v5, v5 src0_sel:BYTE_0
                                        ; implicit-def: $vgpr32
	s_nop 0
	v_mul_f32_e32 v5, s10, v5
	v_and_b32_e32 v29, 0x7f800000, v5
	v_cmp_ne_u32_e32 vcc, s14, v29
	s_and_saveexec_b64 s[0:1], vcc
	s_xor_b64 s[0:1], exec, s[0:1]
; %bb.261:                              ;   in Loop: Header=BB342_200 Depth=1
	v_bfe_u32 v29, v5, 16, 1
	v_add3_u32 v32, v5, v29, s15
                                        ; implicit-def: $vgpr5
; %bb.262:                              ;   in Loop: Header=BB342_200 Depth=1
	s_andn2_saveexec_b64 s[0:1], s[0:1]
; %bb.263:                              ;   in Loop: Header=BB342_200 Depth=1
	v_or_b32_e32 v29, 0x10000, v5
	v_cmp_eq_u32_sdwa vcc, v5, v15 src0_sel:WORD_0 src1_sel:DWORD
	s_nop 1
	v_cndmask_b32_e32 v32, v29, v5, vcc
; %bb.264:                              ;   in Loop: Header=BB342_200 Depth=1
	s_or_b64 exec, exec, s[0:1]
	v_cmp_eq_u32_e32 vcc, s11, v1
	v_add_u32_e32 v29, -7, v24
	v_lshrrev_b32_e32 v43, 16, v30
	v_lshrrev_b32_e32 v42, 16, v9
	;; [unrolled: 1-line block ×8, first 2 shown]
	v_add_u32_e32 v35, -6, v24
	v_add_u32_e32 v34, -5, v24
	;; [unrolled: 1-line block ×6, first 2 shown]
	s_and_saveexec_b64 s[8:9], vcc
	s_cbranch_execz .LBB342_266
; %bb.265:                              ;   in Loop: Header=BB342_200 Depth=1
	v_cmp_gt_i32_e64 s[0:1], s17, v29
	s_nop 1
	v_cndmask_b32_e64 v6, 0, v6, s[0:1]
	v_cmp_gt_i32_e64 s[0:1], s17, v35
	s_nop 1
	v_cndmask_b32_e64 v7, 0, v7, s[0:1]
	v_cmp_gt_i32_e64 s[0:1], s17, v34
	s_nop 1
	v_cndmask_b32_e64 v8, 0, v8, s[0:1]
	v_cmp_gt_i32_e64 s[0:1], s17, v33
	s_nop 1
	v_cndmask_b32_e64 v9, 0, v9, s[0:1]
	v_cmp_gt_i32_e64 s[0:1], s17, v32
	s_nop 1
	v_cndmask_b32_e64 v42, 0, v42, s[0:1]
	v_cmp_gt_i32_e64 s[0:1], s17, v31
	s_nop 1
	v_cndmask_b32_e64 v43, 0, v43, s[0:1]
	v_cmp_gt_i32_e64 s[0:1], s17, v30
	s_nop 1
	v_cndmask_b32_e64 v5, 0, v5, s[0:1]
	v_cmp_gt_i32_e64 s[0:1], s17, v24
	s_nop 1
	v_cndmask_b32_e64 v4, 0, v4, s[0:1]
.LBB342_266:                            ;   in Loop: Header=BB342_200 Depth=1
	s_or_b64 exec, exec, s[8:9]
	v_and_b32_e32 v37, 0xffff0000, v37
	v_lshlrev_b32_e32 v6, 16, v6
	v_mul_f32_e32 v41, v37, v6
	v_and_b32_e32 v6, 0x7f800000, v41
	v_cmp_ne_u32_e64 s[0:1], s14, v6
                                        ; implicit-def: $vgpr6
	s_and_saveexec_b64 s[8:9], s[0:1]
	s_xor_b64 s[0:1], exec, s[8:9]
; %bb.267:                              ;   in Loop: Header=BB342_200 Depth=1
	v_bfe_u32 v6, v41, 16, 1
	v_add3_u32 v6, v41, v6, s15
                                        ; implicit-def: $vgpr41
; %bb.268:                              ;   in Loop: Header=BB342_200 Depth=1
	s_andn2_saveexec_b64 s[8:9], s[0:1]
; %bb.269:                              ;   in Loop: Header=BB342_200 Depth=1
	v_or_b32_e32 v6, 0x10000, v41
	v_cmp_eq_u32_sdwa s[0:1], v41, v15 src0_sel:WORD_0 src1_sel:DWORD
	s_nop 1
	v_cndmask_b32_e64 v6, v6, v41, s[0:1]
; %bb.270:                              ;   in Loop: Header=BB342_200 Depth=1
	s_or_b64 exec, exec, s[8:9]
	v_and_b32_e32 v38, 0xffff0000, v38
	v_lshlrev_b32_e32 v7, 16, v7
	v_mul_f32_e32 v41, v38, v7
	v_and_b32_e32 v7, 0x7f800000, v41
	v_cmp_ne_u32_e64 s[0:1], s14, v7
                                        ; implicit-def: $vgpr7
	s_and_saveexec_b64 s[8:9], s[0:1]
	s_xor_b64 s[0:1], exec, s[8:9]
; %bb.271:                              ;   in Loop: Header=BB342_200 Depth=1
	v_bfe_u32 v7, v41, 16, 1
	v_add3_u32 v7, v41, v7, s15
                                        ; implicit-def: $vgpr41
; %bb.272:                              ;   in Loop: Header=BB342_200 Depth=1
	s_andn2_saveexec_b64 s[8:9], s[0:1]
; %bb.273:                              ;   in Loop: Header=BB342_200 Depth=1
	v_or_b32_e32 v7, 0x10000, v41
	v_cmp_eq_u32_sdwa s[0:1], v41, v15 src0_sel:WORD_0 src1_sel:DWORD
	s_nop 1
	v_cndmask_b32_e64 v7, v7, v41, s[0:1]
; %bb.274:                              ;   in Loop: Header=BB342_200 Depth=1
	s_or_b64 exec, exec, s[8:9]
	v_and_b32_e32 v39, 0xffff0000, v39
	v_lshlrev_b32_e32 v8, 16, v8
	v_mul_f32_e32 v41, v39, v8
	v_and_b32_e32 v8, 0x7f800000, v41
	v_cmp_ne_u32_e64 s[0:1], s14, v8
                                        ; implicit-def: $vgpr8
	s_and_saveexec_b64 s[8:9], s[0:1]
	s_xor_b64 s[0:1], exec, s[8:9]
; %bb.275:                              ;   in Loop: Header=BB342_200 Depth=1
	v_bfe_u32 v8, v41, 16, 1
	v_add3_u32 v8, v41, v8, s15
                                        ; implicit-def: $vgpr41
; %bb.276:                              ;   in Loop: Header=BB342_200 Depth=1
	s_andn2_saveexec_b64 s[8:9], s[0:1]
; %bb.277:                              ;   in Loop: Header=BB342_200 Depth=1
	v_or_b32_e32 v8, 0x10000, v41
	v_cmp_eq_u32_sdwa s[0:1], v41, v15 src0_sel:WORD_0 src1_sel:DWORD
	s_nop 1
	v_cndmask_b32_e64 v8, v8, v41, s[0:1]
; %bb.278:                              ;   in Loop: Header=BB342_200 Depth=1
	s_or_b64 exec, exec, s[8:9]
	v_and_b32_e32 v40, 0xffff0000, v40
	v_lshlrev_b32_e32 v9, 16, v9
	v_mul_f32_e32 v41, v40, v9
	v_and_b32_e32 v9, 0x7f800000, v41
	v_cmp_ne_u32_e64 s[0:1], s14, v9
                                        ; implicit-def: $vgpr9
	s_and_saveexec_b64 s[8:9], s[0:1]
	s_xor_b64 s[0:1], exec, s[8:9]
; %bb.279:                              ;   in Loop: Header=BB342_200 Depth=1
	v_bfe_u32 v9, v41, 16, 1
	v_add3_u32 v9, v41, v9, s15
                                        ; implicit-def: $vgpr41
; %bb.280:                              ;   in Loop: Header=BB342_200 Depth=1
	s_andn2_saveexec_b64 s[8:9], s[0:1]
; %bb.281:                              ;   in Loop: Header=BB342_200 Depth=1
	v_or_b32_e32 v9, 0x10000, v41
	v_cmp_eq_u32_sdwa s[0:1], v41, v15 src0_sel:WORD_0 src1_sel:DWORD
	s_nop 1
	v_cndmask_b32_e64 v9, v9, v41, s[0:1]
; %bb.282:                              ;   in Loop: Header=BB342_200 Depth=1
	s_or_b64 exec, exec, s[8:9]
	v_and_b32_e32 v41, 0xffff0000, v26
	v_lshlrev_b32_e32 v26, 16, v42
	v_mul_f32_e32 v42, v41, v26
	v_and_b32_e32 v26, 0x7f800000, v42
	v_cmp_ne_u32_e64 s[0:1], s14, v26
                                        ; implicit-def: $vgpr26
	s_and_saveexec_b64 s[8:9], s[0:1]
	s_xor_b64 s[0:1], exec, s[8:9]
; %bb.283:                              ;   in Loop: Header=BB342_200 Depth=1
	v_bfe_u32 v26, v42, 16, 1
	v_add3_u32 v26, v42, v26, s15
                                        ; implicit-def: $vgpr42
; %bb.284:                              ;   in Loop: Header=BB342_200 Depth=1
	s_andn2_saveexec_b64 s[8:9], s[0:1]
; %bb.285:                              ;   in Loop: Header=BB342_200 Depth=1
	v_or_b32_e32 v26, 0x10000, v42
	v_cmp_eq_u32_sdwa s[0:1], v42, v15 src0_sel:WORD_0 src1_sel:DWORD
	s_nop 1
	v_cndmask_b32_e64 v26, v26, v42, s[0:1]
; %bb.286:                              ;   in Loop: Header=BB342_200 Depth=1
	s_or_b64 exec, exec, s[8:9]
	v_and_b32_e32 v42, 0xffff0000, v27
	v_lshlrev_b32_e32 v27, 16, v43
	v_mul_f32_e32 v43, v42, v27
	v_and_b32_e32 v27, 0x7f800000, v43
	v_cmp_ne_u32_e64 s[0:1], s14, v27
                                        ; implicit-def: $vgpr27
	s_and_saveexec_b64 s[8:9], s[0:1]
	s_xor_b64 s[0:1], exec, s[8:9]
; %bb.287:                              ;   in Loop: Header=BB342_200 Depth=1
	v_bfe_u32 v27, v43, 16, 1
	v_add3_u32 v27, v43, v27, s15
                                        ; implicit-def: $vgpr43
; %bb.288:                              ;   in Loop: Header=BB342_200 Depth=1
	s_andn2_saveexec_b64 s[8:9], s[0:1]
; %bb.289:                              ;   in Loop: Header=BB342_200 Depth=1
	v_or_b32_e32 v27, 0x10000, v43
	v_cmp_eq_u32_sdwa s[0:1], v43, v15 src0_sel:WORD_0 src1_sel:DWORD
	s_nop 1
	v_cndmask_b32_e64 v27, v27, v43, s[0:1]
; %bb.290:                              ;   in Loop: Header=BB342_200 Depth=1
	s_or_b64 exec, exec, s[8:9]
	v_and_b32_e32 v43, 0xffff0000, v28
	v_lshlrev_b32_e32 v5, 16, v5
	v_mul_f32_e32 v5, v43, v5
	v_and_b32_e32 v28, 0x7f800000, v5
	v_cmp_ne_u32_e64 s[0:1], s14, v28
                                        ; implicit-def: $vgpr28
	s_and_saveexec_b64 s[8:9], s[0:1]
	s_xor_b64 s[0:1], exec, s[8:9]
; %bb.291:                              ;   in Loop: Header=BB342_200 Depth=1
	v_bfe_u32 v28, v5, 16, 1
	v_add3_u32 v28, v5, v28, s15
                                        ; implicit-def: $vgpr5
; %bb.292:                              ;   in Loop: Header=BB342_200 Depth=1
	s_andn2_saveexec_b64 s[8:9], s[0:1]
; %bb.293:                              ;   in Loop: Header=BB342_200 Depth=1
	v_or_b32_e32 v28, 0x10000, v5
	v_cmp_eq_u32_sdwa s[0:1], v5, v15 src0_sel:WORD_0 src1_sel:DWORD
	s_nop 1
	v_cndmask_b32_e64 v28, v28, v5, s[0:1]
; %bb.294:                              ;   in Loop: Header=BB342_200 Depth=1
	s_or_b64 exec, exec, s[8:9]
	v_and_b32_e32 v44, 0xffff0000, v36
	v_lshlrev_b32_e32 v4, 16, v4
	v_mul_f32_e32 v4, v44, v4
	v_and_b32_e32 v5, 0x7f800000, v4
	v_cmp_ne_u32_e64 s[0:1], s14, v5
                                        ; implicit-def: $vgpr36
	s_and_saveexec_b64 s[8:9], s[0:1]
	s_xor_b64 s[0:1], exec, s[8:9]
; %bb.295:                              ;   in Loop: Header=BB342_200 Depth=1
	v_bfe_u32 v5, v4, 16, 1
	v_add3_u32 v36, v4, v5, s15
                                        ; implicit-def: $vgpr4
; %bb.296:                              ;   in Loop: Header=BB342_200 Depth=1
	s_andn2_saveexec_b64 s[8:9], s[0:1]
; %bb.297:                              ;   in Loop: Header=BB342_200 Depth=1
	v_or_b32_e32 v5, 0x10000, v4
	v_cmp_eq_u32_sdwa s[0:1], v4, v15 src0_sel:WORD_0 src1_sel:DWORD
	s_nop 1
	v_cndmask_b32_e64 v36, v5, v4, s[0:1]
; %bb.298:                              ;   in Loop: Header=BB342_200 Depth=1
	s_or_b64 exec, exec, s[8:9]
	global_load_dwordx2 v[4:5], v[2:3], off offset:512
	s_waitcnt vmcnt(0)
	v_and_b32_e32 v45, 0xff, v4
	v_cvt_f32_fp8_sdwa v45, v45 src0_sel:BYTE_0
	s_nop 0
	v_mul_f32_e32 v46, s10, v45
	v_and_b32_e32 v45, 0x7f800000, v46
	v_cmp_ne_u32_e64 s[0:1], s14, v45
                                        ; implicit-def: $vgpr45
	s_and_saveexec_b64 s[8:9], s[0:1]
	s_xor_b64 s[0:1], exec, s[8:9]
; %bb.299:                              ;   in Loop: Header=BB342_200 Depth=1
	v_bfe_u32 v45, v46, 16, 1
	v_add3_u32 v45, v46, v45, s15
                                        ; implicit-def: $vgpr46
; %bb.300:                              ;   in Loop: Header=BB342_200 Depth=1
	s_andn2_saveexec_b64 s[8:9], s[0:1]
; %bb.301:                              ;   in Loop: Header=BB342_200 Depth=1
	v_or_b32_e32 v45, 0x10000, v46
	v_cmp_eq_u32_sdwa s[0:1], v46, v15 src0_sel:WORD_0 src1_sel:DWORD
	s_nop 1
	v_cndmask_b32_e64 v45, v45, v46, s[0:1]
; %bb.302:                              ;   in Loop: Header=BB342_200 Depth=1
	s_or_b64 exec, exec, s[8:9]
	v_bfe_u32 v46, v4, 8, 8
	v_cvt_f32_fp8_sdwa v46, v46 src0_sel:BYTE_0
	s_nop 0
	v_mul_f32_e32 v47, s10, v46
	v_and_b32_e32 v46, 0x7f800000, v47
	v_cmp_ne_u32_e64 s[0:1], s14, v46
                                        ; implicit-def: $vgpr46
	s_and_saveexec_b64 s[8:9], s[0:1]
	s_xor_b64 s[0:1], exec, s[8:9]
; %bb.303:                              ;   in Loop: Header=BB342_200 Depth=1
	v_bfe_u32 v46, v47, 16, 1
	v_add3_u32 v46, v47, v46, s15
                                        ; implicit-def: $vgpr47
; %bb.304:                              ;   in Loop: Header=BB342_200 Depth=1
	s_andn2_saveexec_b64 s[8:9], s[0:1]
; %bb.305:                              ;   in Loop: Header=BB342_200 Depth=1
	v_or_b32_e32 v46, 0x10000, v47
	v_cmp_eq_u32_sdwa s[0:1], v47, v15 src0_sel:WORD_0 src1_sel:DWORD
	s_nop 1
	v_cndmask_b32_e64 v46, v46, v47, s[0:1]
; %bb.306:                              ;   in Loop: Header=BB342_200 Depth=1
	s_or_b64 exec, exec, s[8:9]
	v_bfe_u32 v47, v4, 16, 8
	v_cvt_f32_fp8_sdwa v47, v47 src0_sel:BYTE_0
	s_nop 0
	v_mul_f32_e32 v48, s10, v47
	v_and_b32_e32 v47, 0x7f800000, v48
	v_cmp_ne_u32_e64 s[0:1], s14, v47
                                        ; implicit-def: $vgpr47
	s_and_saveexec_b64 s[8:9], s[0:1]
	s_xor_b64 s[0:1], exec, s[8:9]
; %bb.307:                              ;   in Loop: Header=BB342_200 Depth=1
	v_bfe_u32 v47, v48, 16, 1
	v_add3_u32 v47, v48, v47, s15
                                        ; implicit-def: $vgpr48
; %bb.308:                              ;   in Loop: Header=BB342_200 Depth=1
	s_andn2_saveexec_b64 s[8:9], s[0:1]
; %bb.309:                              ;   in Loop: Header=BB342_200 Depth=1
	v_or_b32_e32 v47, 0x10000, v48
	v_cmp_eq_u32_sdwa s[0:1], v48, v15 src0_sel:WORD_0 src1_sel:DWORD
	s_nop 1
	v_cndmask_b32_e64 v47, v47, v48, s[0:1]
; %bb.310:                              ;   in Loop: Header=BB342_200 Depth=1
	s_or_b64 exec, exec, s[8:9]
	v_lshrrev_b32_e32 v4, 24, v4
	v_cvt_f32_fp8_sdwa v4, v4 src0_sel:BYTE_0
	s_nop 0
	v_mul_f32_e32 v48, s10, v4
	v_and_b32_e32 v4, 0x7f800000, v48
	v_cmp_ne_u32_e64 s[0:1], s14, v4
                                        ; implicit-def: $vgpr4
	s_and_saveexec_b64 s[8:9], s[0:1]
	s_xor_b64 s[0:1], exec, s[8:9]
; %bb.311:                              ;   in Loop: Header=BB342_200 Depth=1
	v_bfe_u32 v4, v48, 16, 1
	v_add3_u32 v4, v48, v4, s15
                                        ; implicit-def: $vgpr48
; %bb.312:                              ;   in Loop: Header=BB342_200 Depth=1
	s_andn2_saveexec_b64 s[8:9], s[0:1]
; %bb.313:                              ;   in Loop: Header=BB342_200 Depth=1
	v_or_b32_e32 v4, 0x10000, v48
	v_cmp_eq_u32_sdwa s[0:1], v48, v15 src0_sel:WORD_0 src1_sel:DWORD
	s_nop 1
	v_cndmask_b32_e64 v4, v4, v48, s[0:1]
; %bb.314:                              ;   in Loop: Header=BB342_200 Depth=1
	s_or_b64 exec, exec, s[8:9]
	v_and_b32_e32 v48, 0xff, v5
	v_cvt_f32_fp8_sdwa v48, v48 src0_sel:BYTE_0
	s_nop 0
	v_mul_f32_e32 v49, s10, v48
	v_and_b32_e32 v48, 0x7f800000, v49
	v_cmp_ne_u32_e64 s[0:1], s14, v48
                                        ; implicit-def: $vgpr48
	s_and_saveexec_b64 s[8:9], s[0:1]
	s_xor_b64 s[0:1], exec, s[8:9]
; %bb.315:                              ;   in Loop: Header=BB342_200 Depth=1
	v_bfe_u32 v48, v49, 16, 1
	v_add3_u32 v48, v49, v48, s15
                                        ; implicit-def: $vgpr49
; %bb.316:                              ;   in Loop: Header=BB342_200 Depth=1
	s_andn2_saveexec_b64 s[8:9], s[0:1]
; %bb.317:                              ;   in Loop: Header=BB342_200 Depth=1
	v_or_b32_e32 v48, 0x10000, v49
	v_cmp_eq_u32_sdwa s[0:1], v49, v15 src0_sel:WORD_0 src1_sel:DWORD
	s_nop 1
	v_cndmask_b32_e64 v48, v48, v49, s[0:1]
; %bb.318:                              ;   in Loop: Header=BB342_200 Depth=1
	s_or_b64 exec, exec, s[8:9]
	v_bfe_u32 v49, v5, 8, 8
	v_cvt_f32_fp8_sdwa v49, v49 src0_sel:BYTE_0
	s_nop 0
	v_mul_f32_e32 v50, s10, v49
	v_and_b32_e32 v49, 0x7f800000, v50
	v_cmp_ne_u32_e64 s[0:1], s14, v49
                                        ; implicit-def: $vgpr49
	s_and_saveexec_b64 s[8:9], s[0:1]
	s_xor_b64 s[0:1], exec, s[8:9]
; %bb.319:                              ;   in Loop: Header=BB342_200 Depth=1
	v_bfe_u32 v49, v50, 16, 1
	v_add3_u32 v49, v50, v49, s15
                                        ; implicit-def: $vgpr50
; %bb.320:                              ;   in Loop: Header=BB342_200 Depth=1
	s_andn2_saveexec_b64 s[8:9], s[0:1]
; %bb.321:                              ;   in Loop: Header=BB342_200 Depth=1
	v_or_b32_e32 v49, 0x10000, v50
	v_cmp_eq_u32_sdwa s[0:1], v50, v15 src0_sel:WORD_0 src1_sel:DWORD
	s_nop 1
	v_cndmask_b32_e64 v49, v49, v50, s[0:1]
; %bb.322:                              ;   in Loop: Header=BB342_200 Depth=1
	s_or_b64 exec, exec, s[8:9]
	v_bfe_u32 v50, v5, 16, 8
	v_cvt_f32_fp8_sdwa v50, v50 src0_sel:BYTE_0
	s_nop 0
	v_mul_f32_e32 v50, s10, v50
	v_and_b32_e32 v51, 0x7f800000, v50
	v_cmp_ne_u32_e64 s[0:1], s14, v51
                                        ; implicit-def: $vgpr51
	s_and_saveexec_b64 s[8:9], s[0:1]
	s_xor_b64 s[0:1], exec, s[8:9]
; %bb.323:                              ;   in Loop: Header=BB342_200 Depth=1
	v_bfe_u32 v51, v50, 16, 1
	v_add3_u32 v51, v50, v51, s15
                                        ; implicit-def: $vgpr50
; %bb.324:                              ;   in Loop: Header=BB342_200 Depth=1
	s_andn2_saveexec_b64 s[8:9], s[0:1]
; %bb.325:                              ;   in Loop: Header=BB342_200 Depth=1
	v_or_b32_e32 v51, 0x10000, v50
	v_cmp_eq_u32_sdwa s[0:1], v50, v15 src0_sel:WORD_0 src1_sel:DWORD
	s_nop 1
	v_cndmask_b32_e64 v51, v51, v50, s[0:1]
; %bb.326:                              ;   in Loop: Header=BB342_200 Depth=1
	s_or_b64 exec, exec, s[8:9]
	v_lshrrev_b32_e32 v5, 24, v5
	v_cvt_f32_fp8_sdwa v5, v5 src0_sel:BYTE_0
                                        ; implicit-def: $vgpr52
	s_nop 0
	v_mul_f32_e32 v5, s10, v5
	v_and_b32_e32 v50, 0x7f800000, v5
	v_cmp_ne_u32_e64 s[0:1], s14, v50
	s_and_saveexec_b64 s[8:9], s[0:1]
	s_xor_b64 s[0:1], exec, s[8:9]
; %bb.327:                              ;   in Loop: Header=BB342_200 Depth=1
	v_bfe_u32 v50, v5, 16, 1
	v_add3_u32 v52, v5, v50, s15
                                        ; implicit-def: $vgpr5
; %bb.328:                              ;   in Loop: Header=BB342_200 Depth=1
	s_andn2_saveexec_b64 s[8:9], s[0:1]
; %bb.329:                              ;   in Loop: Header=BB342_200 Depth=1
	v_or_b32_e32 v50, 0x10000, v5
	v_cmp_eq_u32_sdwa s[0:1], v5, v15 src0_sel:WORD_0 src1_sel:DWORD
	s_nop 1
	v_cndmask_b32_e64 v52, v50, v5, s[0:1]
; %bb.330:                              ;   in Loop: Header=BB342_200 Depth=1
	s_or_b64 exec, exec, s[8:9]
	v_lshrrev_b32_e32 v50, 16, v49
	v_lshrrev_b32_e32 v49, 16, v48
	;; [unrolled: 1-line block ×8, first 2 shown]
	s_and_saveexec_b64 s[8:9], vcc
	s_cbranch_execz .LBB342_332
; %bb.331:                              ;   in Loop: Header=BB342_200 Depth=1
	v_cmp_gt_i32_e64 s[0:1], s17, v29
	s_nop 1
	v_cndmask_b32_e64 v45, 0, v45, s[0:1]
	v_cmp_gt_i32_e64 s[0:1], s17, v35
	s_nop 1
	v_cndmask_b32_e64 v46, 0, v46, s[0:1]
	;; [unrolled: 3-line block ×8, first 2 shown]
.LBB342_332:                            ;   in Loop: Header=BB342_200 Depth=1
	s_or_b64 exec, exec, s[8:9]
	v_lshlrev_b32_e32 v45, 16, v45
	v_mul_f32_e32 v51, v37, v45
	v_and_b32_e32 v45, 0x7f800000, v51
	v_cmp_ne_u32_e64 s[0:1], s14, v45
                                        ; implicit-def: $vgpr45
	s_and_saveexec_b64 s[8:9], s[0:1]
	s_xor_b64 s[0:1], exec, s[8:9]
; %bb.333:                              ;   in Loop: Header=BB342_200 Depth=1
	v_bfe_u32 v45, v51, 16, 1
	v_add3_u32 v45, v51, v45, s15
                                        ; implicit-def: $vgpr51
; %bb.334:                              ;   in Loop: Header=BB342_200 Depth=1
	s_andn2_saveexec_b64 s[8:9], s[0:1]
; %bb.335:                              ;   in Loop: Header=BB342_200 Depth=1
	v_or_b32_e32 v45, 0x10000, v51
	v_cmp_eq_u32_sdwa s[0:1], v51, v15 src0_sel:WORD_0 src1_sel:DWORD
	s_nop 1
	v_cndmask_b32_e64 v45, v45, v51, s[0:1]
; %bb.336:                              ;   in Loop: Header=BB342_200 Depth=1
	s_or_b64 exec, exec, s[8:9]
	v_lshlrev_b32_e32 v46, 16, v46
	v_mul_f32_e32 v51, v38, v46
	v_and_b32_e32 v46, 0x7f800000, v51
	v_cmp_ne_u32_e64 s[0:1], s14, v46
                                        ; implicit-def: $vgpr46
	s_and_saveexec_b64 s[8:9], s[0:1]
	s_xor_b64 s[0:1], exec, s[8:9]
; %bb.337:                              ;   in Loop: Header=BB342_200 Depth=1
	v_bfe_u32 v46, v51, 16, 1
	v_add3_u32 v46, v51, v46, s15
                                        ; implicit-def: $vgpr51
; %bb.338:                              ;   in Loop: Header=BB342_200 Depth=1
	s_andn2_saveexec_b64 s[8:9], s[0:1]
; %bb.339:                              ;   in Loop: Header=BB342_200 Depth=1
	v_or_b32_e32 v46, 0x10000, v51
	v_cmp_eq_u32_sdwa s[0:1], v51, v15 src0_sel:WORD_0 src1_sel:DWORD
	s_nop 1
	v_cndmask_b32_e64 v46, v46, v51, s[0:1]
; %bb.340:                              ;   in Loop: Header=BB342_200 Depth=1
	s_or_b64 exec, exec, s[8:9]
	v_lshlrev_b32_e32 v47, 16, v47
	v_mul_f32_e32 v51, v39, v47
	v_and_b32_e32 v47, 0x7f800000, v51
	v_cmp_ne_u32_e64 s[0:1], s14, v47
                                        ; implicit-def: $vgpr47
	s_and_saveexec_b64 s[8:9], s[0:1]
	s_xor_b64 s[0:1], exec, s[8:9]
; %bb.341:                              ;   in Loop: Header=BB342_200 Depth=1
	v_bfe_u32 v47, v51, 16, 1
	v_add3_u32 v47, v51, v47, s15
                                        ; implicit-def: $vgpr51
; %bb.342:                              ;   in Loop: Header=BB342_200 Depth=1
	s_andn2_saveexec_b64 s[8:9], s[0:1]
; %bb.343:                              ;   in Loop: Header=BB342_200 Depth=1
	v_or_b32_e32 v47, 0x10000, v51
	v_cmp_eq_u32_sdwa s[0:1], v51, v15 src0_sel:WORD_0 src1_sel:DWORD
	s_nop 1
	v_cndmask_b32_e64 v47, v47, v51, s[0:1]
; %bb.344:                              ;   in Loop: Header=BB342_200 Depth=1
	s_or_b64 exec, exec, s[8:9]
	v_lshlrev_b32_e32 v48, 16, v48
	v_mul_f32_e32 v51, v40, v48
	v_and_b32_e32 v48, 0x7f800000, v51
	v_cmp_ne_u32_e64 s[0:1], s14, v48
                                        ; implicit-def: $vgpr48
	s_and_saveexec_b64 s[8:9], s[0:1]
	s_xor_b64 s[0:1], exec, s[8:9]
; %bb.345:                              ;   in Loop: Header=BB342_200 Depth=1
	v_bfe_u32 v48, v51, 16, 1
	v_add3_u32 v48, v51, v48, s15
                                        ; implicit-def: $vgpr51
; %bb.346:                              ;   in Loop: Header=BB342_200 Depth=1
	s_andn2_saveexec_b64 s[8:9], s[0:1]
; %bb.347:                              ;   in Loop: Header=BB342_200 Depth=1
	v_or_b32_e32 v48, 0x10000, v51
	v_cmp_eq_u32_sdwa s[0:1], v51, v15 src0_sel:WORD_0 src1_sel:DWORD
	s_nop 1
	v_cndmask_b32_e64 v48, v48, v51, s[0:1]
; %bb.348:                              ;   in Loop: Header=BB342_200 Depth=1
	s_or_b64 exec, exec, s[8:9]
	v_lshlrev_b32_e32 v49, 16, v49
	v_mul_f32_e32 v51, v41, v49
	v_and_b32_e32 v49, 0x7f800000, v51
	v_cmp_ne_u32_e64 s[0:1], s14, v49
                                        ; implicit-def: $vgpr49
	s_and_saveexec_b64 s[8:9], s[0:1]
	s_xor_b64 s[0:1], exec, s[8:9]
; %bb.349:                              ;   in Loop: Header=BB342_200 Depth=1
	v_bfe_u32 v49, v51, 16, 1
	v_add3_u32 v49, v51, v49, s15
                                        ; implicit-def: $vgpr51
; %bb.350:                              ;   in Loop: Header=BB342_200 Depth=1
	s_andn2_saveexec_b64 s[8:9], s[0:1]
; %bb.351:                              ;   in Loop: Header=BB342_200 Depth=1
	v_or_b32_e32 v49, 0x10000, v51
	v_cmp_eq_u32_sdwa s[0:1], v51, v15 src0_sel:WORD_0 src1_sel:DWORD
	s_nop 1
	v_cndmask_b32_e64 v49, v49, v51, s[0:1]
; %bb.352:                              ;   in Loop: Header=BB342_200 Depth=1
	s_or_b64 exec, exec, s[8:9]
	v_lshlrev_b32_e32 v50, 16, v50
	v_mul_f32_e32 v51, v42, v50
	v_and_b32_e32 v50, 0x7f800000, v51
	v_cmp_ne_u32_e64 s[0:1], s14, v50
                                        ; implicit-def: $vgpr50
	s_and_saveexec_b64 s[8:9], s[0:1]
	s_xor_b64 s[0:1], exec, s[8:9]
; %bb.353:                              ;   in Loop: Header=BB342_200 Depth=1
	v_bfe_u32 v50, v51, 16, 1
	v_add3_u32 v50, v51, v50, s15
                                        ; implicit-def: $vgpr51
; %bb.354:                              ;   in Loop: Header=BB342_200 Depth=1
	s_andn2_saveexec_b64 s[8:9], s[0:1]
; %bb.355:                              ;   in Loop: Header=BB342_200 Depth=1
	v_or_b32_e32 v50, 0x10000, v51
	v_cmp_eq_u32_sdwa s[0:1], v51, v15 src0_sel:WORD_0 src1_sel:DWORD
	s_nop 1
	v_cndmask_b32_e64 v50, v50, v51, s[0:1]
; %bb.356:                              ;   in Loop: Header=BB342_200 Depth=1
	s_or_b64 exec, exec, s[8:9]
	v_lshlrev_b32_e32 v5, 16, v5
	v_mul_f32_e32 v5, v43, v5
	v_and_b32_e32 v51, 0x7f800000, v5
	v_cmp_ne_u32_e64 s[0:1], s14, v51
                                        ; implicit-def: $vgpr51
	s_and_saveexec_b64 s[8:9], s[0:1]
	s_xor_b64 s[0:1], exec, s[8:9]
; %bb.357:                              ;   in Loop: Header=BB342_200 Depth=1
	v_bfe_u32 v51, v5, 16, 1
	v_add3_u32 v51, v5, v51, s15
                                        ; implicit-def: $vgpr5
; %bb.358:                              ;   in Loop: Header=BB342_200 Depth=1
	s_andn2_saveexec_b64 s[8:9], s[0:1]
; %bb.359:                              ;   in Loop: Header=BB342_200 Depth=1
	v_or_b32_e32 v51, 0x10000, v5
	v_cmp_eq_u32_sdwa s[0:1], v5, v15 src0_sel:WORD_0 src1_sel:DWORD
	s_nop 1
	v_cndmask_b32_e64 v51, v51, v5, s[0:1]
; %bb.360:                              ;   in Loop: Header=BB342_200 Depth=1
	s_or_b64 exec, exec, s[8:9]
	v_lshlrev_b32_e32 v4, 16, v4
	v_mul_f32_e32 v4, v44, v4
	v_and_b32_e32 v5, 0x7f800000, v4
	v_cmp_ne_u32_e64 s[0:1], s14, v5
                                        ; implicit-def: $vgpr52
	s_and_saveexec_b64 s[8:9], s[0:1]
	s_xor_b64 s[0:1], exec, s[8:9]
; %bb.361:                              ;   in Loop: Header=BB342_200 Depth=1
	v_bfe_u32 v5, v4, 16, 1
	v_add3_u32 v52, v4, v5, s15
                                        ; implicit-def: $vgpr4
; %bb.362:                              ;   in Loop: Header=BB342_200 Depth=1
	s_andn2_saveexec_b64 s[8:9], s[0:1]
; %bb.363:                              ;   in Loop: Header=BB342_200 Depth=1
	v_or_b32_e32 v5, 0x10000, v4
	v_cmp_eq_u32_sdwa s[0:1], v4, v15 src0_sel:WORD_0 src1_sel:DWORD
	s_nop 1
	v_cndmask_b32_e64 v52, v5, v4, s[0:1]
; %bb.364:                              ;   in Loop: Header=BB342_200 Depth=1
	s_or_b64 exec, exec, s[8:9]
	global_load_dwordx2 v[4:5], v[2:3], off offset:1024
	s_waitcnt vmcnt(0)
	v_and_b32_e32 v53, 0xff, v4
	v_cvt_f32_fp8_sdwa v53, v53 src0_sel:BYTE_0
	s_nop 0
	v_mul_f32_e32 v54, s10, v53
	v_and_b32_e32 v53, 0x7f800000, v54
	v_cmp_ne_u32_e64 s[0:1], s14, v53
                                        ; implicit-def: $vgpr53
	s_and_saveexec_b64 s[8:9], s[0:1]
	s_xor_b64 s[0:1], exec, s[8:9]
; %bb.365:                              ;   in Loop: Header=BB342_200 Depth=1
	v_bfe_u32 v53, v54, 16, 1
	v_add3_u32 v53, v54, v53, s15
                                        ; implicit-def: $vgpr54
; %bb.366:                              ;   in Loop: Header=BB342_200 Depth=1
	s_andn2_saveexec_b64 s[8:9], s[0:1]
; %bb.367:                              ;   in Loop: Header=BB342_200 Depth=1
	v_or_b32_e32 v53, 0x10000, v54
	v_cmp_eq_u32_sdwa s[0:1], v54, v15 src0_sel:WORD_0 src1_sel:DWORD
	s_nop 1
	v_cndmask_b32_e64 v53, v53, v54, s[0:1]
; %bb.368:                              ;   in Loop: Header=BB342_200 Depth=1
	s_or_b64 exec, exec, s[8:9]
	v_bfe_u32 v54, v4, 8, 8
	v_cvt_f32_fp8_sdwa v54, v54 src0_sel:BYTE_0
	s_nop 0
	v_mul_f32_e32 v55, s10, v54
	v_and_b32_e32 v54, 0x7f800000, v55
	v_cmp_ne_u32_e64 s[0:1], s14, v54
                                        ; implicit-def: $vgpr54
	s_and_saveexec_b64 s[8:9], s[0:1]
	s_xor_b64 s[0:1], exec, s[8:9]
; %bb.369:                              ;   in Loop: Header=BB342_200 Depth=1
	v_bfe_u32 v54, v55, 16, 1
	v_add3_u32 v54, v55, v54, s15
                                        ; implicit-def: $vgpr55
; %bb.370:                              ;   in Loop: Header=BB342_200 Depth=1
	s_andn2_saveexec_b64 s[8:9], s[0:1]
; %bb.371:                              ;   in Loop: Header=BB342_200 Depth=1
	v_or_b32_e32 v54, 0x10000, v55
	v_cmp_eq_u32_sdwa s[0:1], v55, v15 src0_sel:WORD_0 src1_sel:DWORD
	s_nop 1
	v_cndmask_b32_e64 v54, v54, v55, s[0:1]
; %bb.372:                              ;   in Loop: Header=BB342_200 Depth=1
	s_or_b64 exec, exec, s[8:9]
	v_bfe_u32 v55, v4, 16, 8
	v_cvt_f32_fp8_sdwa v55, v55 src0_sel:BYTE_0
	s_nop 0
	v_mul_f32_e32 v56, s10, v55
	v_and_b32_e32 v55, 0x7f800000, v56
	v_cmp_ne_u32_e64 s[0:1], s14, v55
                                        ; implicit-def: $vgpr55
	s_and_saveexec_b64 s[8:9], s[0:1]
	s_xor_b64 s[0:1], exec, s[8:9]
; %bb.373:                              ;   in Loop: Header=BB342_200 Depth=1
	v_bfe_u32 v55, v56, 16, 1
	v_add3_u32 v55, v56, v55, s15
                                        ; implicit-def: $vgpr56
; %bb.374:                              ;   in Loop: Header=BB342_200 Depth=1
	s_andn2_saveexec_b64 s[8:9], s[0:1]
; %bb.375:                              ;   in Loop: Header=BB342_200 Depth=1
	v_or_b32_e32 v55, 0x10000, v56
	v_cmp_eq_u32_sdwa s[0:1], v56, v15 src0_sel:WORD_0 src1_sel:DWORD
	s_nop 1
	v_cndmask_b32_e64 v55, v55, v56, s[0:1]
; %bb.376:                              ;   in Loop: Header=BB342_200 Depth=1
	s_or_b64 exec, exec, s[8:9]
	v_lshrrev_b32_e32 v4, 24, v4
	v_cvt_f32_fp8_sdwa v4, v4 src0_sel:BYTE_0
	s_nop 0
	v_mul_f32_e32 v56, s10, v4
	v_and_b32_e32 v4, 0x7f800000, v56
	v_cmp_ne_u32_e64 s[0:1], s14, v4
                                        ; implicit-def: $vgpr4
	s_and_saveexec_b64 s[8:9], s[0:1]
	s_xor_b64 s[0:1], exec, s[8:9]
; %bb.377:                              ;   in Loop: Header=BB342_200 Depth=1
	v_bfe_u32 v4, v56, 16, 1
	v_add3_u32 v4, v56, v4, s15
                                        ; implicit-def: $vgpr56
; %bb.378:                              ;   in Loop: Header=BB342_200 Depth=1
	s_andn2_saveexec_b64 s[8:9], s[0:1]
; %bb.379:                              ;   in Loop: Header=BB342_200 Depth=1
	v_or_b32_e32 v4, 0x10000, v56
	v_cmp_eq_u32_sdwa s[0:1], v56, v15 src0_sel:WORD_0 src1_sel:DWORD
	s_nop 1
	v_cndmask_b32_e64 v4, v4, v56, s[0:1]
; %bb.380:                              ;   in Loop: Header=BB342_200 Depth=1
	s_or_b64 exec, exec, s[8:9]
	v_and_b32_e32 v56, 0xff, v5
	v_cvt_f32_fp8_sdwa v56, v56 src0_sel:BYTE_0
	s_nop 0
	v_mul_f32_e32 v57, s10, v56
	v_and_b32_e32 v56, 0x7f800000, v57
	v_cmp_ne_u32_e64 s[0:1], s14, v56
                                        ; implicit-def: $vgpr56
	s_and_saveexec_b64 s[8:9], s[0:1]
	s_xor_b64 s[0:1], exec, s[8:9]
; %bb.381:                              ;   in Loop: Header=BB342_200 Depth=1
	v_bfe_u32 v56, v57, 16, 1
	v_add3_u32 v56, v57, v56, s15
                                        ; implicit-def: $vgpr57
; %bb.382:                              ;   in Loop: Header=BB342_200 Depth=1
	s_andn2_saveexec_b64 s[8:9], s[0:1]
; %bb.383:                              ;   in Loop: Header=BB342_200 Depth=1
	v_or_b32_e32 v56, 0x10000, v57
	v_cmp_eq_u32_sdwa s[0:1], v57, v15 src0_sel:WORD_0 src1_sel:DWORD
	s_nop 1
	v_cndmask_b32_e64 v56, v56, v57, s[0:1]
; %bb.384:                              ;   in Loop: Header=BB342_200 Depth=1
	s_or_b64 exec, exec, s[8:9]
	v_bfe_u32 v57, v5, 8, 8
	v_cvt_f32_fp8_sdwa v57, v57 src0_sel:BYTE_0
	s_nop 0
	v_mul_f32_e32 v58, s10, v57
	v_and_b32_e32 v57, 0x7f800000, v58
	v_cmp_ne_u32_e64 s[0:1], s14, v57
                                        ; implicit-def: $vgpr57
	s_and_saveexec_b64 s[8:9], s[0:1]
	s_xor_b64 s[0:1], exec, s[8:9]
; %bb.385:                              ;   in Loop: Header=BB342_200 Depth=1
	v_bfe_u32 v57, v58, 16, 1
	v_add3_u32 v57, v58, v57, s15
                                        ; implicit-def: $vgpr58
; %bb.386:                              ;   in Loop: Header=BB342_200 Depth=1
	s_andn2_saveexec_b64 s[8:9], s[0:1]
; %bb.387:                              ;   in Loop: Header=BB342_200 Depth=1
	v_or_b32_e32 v57, 0x10000, v58
	v_cmp_eq_u32_sdwa s[0:1], v58, v15 src0_sel:WORD_0 src1_sel:DWORD
	s_nop 1
	v_cndmask_b32_e64 v57, v57, v58, s[0:1]
; %bb.388:                              ;   in Loop: Header=BB342_200 Depth=1
	s_or_b64 exec, exec, s[8:9]
	v_bfe_u32 v58, v5, 16, 8
	v_cvt_f32_fp8_sdwa v58, v58 src0_sel:BYTE_0
	s_nop 0
	v_mul_f32_e32 v58, s10, v58
	v_and_b32_e32 v59, 0x7f800000, v58
	v_cmp_ne_u32_e64 s[0:1], s14, v59
                                        ; implicit-def: $vgpr59
	s_and_saveexec_b64 s[8:9], s[0:1]
	s_xor_b64 s[0:1], exec, s[8:9]
; %bb.389:                              ;   in Loop: Header=BB342_200 Depth=1
	v_bfe_u32 v59, v58, 16, 1
	v_add3_u32 v59, v58, v59, s15
                                        ; implicit-def: $vgpr58
; %bb.390:                              ;   in Loop: Header=BB342_200 Depth=1
	s_andn2_saveexec_b64 s[8:9], s[0:1]
; %bb.391:                              ;   in Loop: Header=BB342_200 Depth=1
	v_or_b32_e32 v59, 0x10000, v58
	v_cmp_eq_u32_sdwa s[0:1], v58, v15 src0_sel:WORD_0 src1_sel:DWORD
	s_nop 1
	v_cndmask_b32_e64 v59, v59, v58, s[0:1]
; %bb.392:                              ;   in Loop: Header=BB342_200 Depth=1
	s_or_b64 exec, exec, s[8:9]
	v_lshrrev_b32_e32 v5, 24, v5
	v_cvt_f32_fp8_sdwa v5, v5 src0_sel:BYTE_0
                                        ; implicit-def: $vgpr60
	s_nop 0
	v_mul_f32_e32 v5, s10, v5
	v_and_b32_e32 v58, 0x7f800000, v5
	v_cmp_ne_u32_e64 s[0:1], s14, v58
	s_and_saveexec_b64 s[8:9], s[0:1]
	s_xor_b64 s[0:1], exec, s[8:9]
; %bb.393:                              ;   in Loop: Header=BB342_200 Depth=1
	v_bfe_u32 v58, v5, 16, 1
	v_add3_u32 v60, v5, v58, s15
                                        ; implicit-def: $vgpr5
; %bb.394:                              ;   in Loop: Header=BB342_200 Depth=1
	s_andn2_saveexec_b64 s[8:9], s[0:1]
; %bb.395:                              ;   in Loop: Header=BB342_200 Depth=1
	v_or_b32_e32 v58, 0x10000, v5
	v_cmp_eq_u32_sdwa s[0:1], v5, v15 src0_sel:WORD_0 src1_sel:DWORD
	s_nop 1
	v_cndmask_b32_e64 v60, v58, v5, s[0:1]
; %bb.396:                              ;   in Loop: Header=BB342_200 Depth=1
	s_or_b64 exec, exec, s[8:9]
	v_lshrrev_b32_e32 v58, 16, v57
	v_lshrrev_b32_e32 v57, 16, v56
	;; [unrolled: 1-line block ×8, first 2 shown]
	s_and_saveexec_b64 s[8:9], vcc
	s_cbranch_execz .LBB342_398
; %bb.397:                              ;   in Loop: Header=BB342_200 Depth=1
	v_cmp_gt_i32_e64 s[0:1], s17, v29
	s_nop 1
	v_cndmask_b32_e64 v53, 0, v53, s[0:1]
	v_cmp_gt_i32_e64 s[0:1], s17, v35
	s_nop 1
	v_cndmask_b32_e64 v54, 0, v54, s[0:1]
	;; [unrolled: 3-line block ×8, first 2 shown]
.LBB342_398:                            ;   in Loop: Header=BB342_200 Depth=1
	s_or_b64 exec, exec, s[8:9]
	v_lshlrev_b32_e32 v53, 16, v53
	v_mul_f32_e32 v59, v37, v53
	v_and_b32_e32 v53, 0x7f800000, v59
	v_cmp_ne_u32_e64 s[0:1], s14, v53
                                        ; implicit-def: $vgpr53
	s_and_saveexec_b64 s[8:9], s[0:1]
	s_xor_b64 s[0:1], exec, s[8:9]
; %bb.399:                              ;   in Loop: Header=BB342_200 Depth=1
	v_bfe_u32 v53, v59, 16, 1
	v_add3_u32 v53, v59, v53, s15
                                        ; implicit-def: $vgpr59
; %bb.400:                              ;   in Loop: Header=BB342_200 Depth=1
	s_andn2_saveexec_b64 s[8:9], s[0:1]
; %bb.401:                              ;   in Loop: Header=BB342_200 Depth=1
	v_or_b32_e32 v53, 0x10000, v59
	v_cmp_eq_u32_sdwa s[0:1], v59, v15 src0_sel:WORD_0 src1_sel:DWORD
	s_nop 1
	v_cndmask_b32_e64 v53, v53, v59, s[0:1]
; %bb.402:                              ;   in Loop: Header=BB342_200 Depth=1
	s_or_b64 exec, exec, s[8:9]
	v_lshlrev_b32_e32 v54, 16, v54
	v_mul_f32_e32 v59, v38, v54
	v_and_b32_e32 v54, 0x7f800000, v59
	v_cmp_ne_u32_e64 s[0:1], s14, v54
                                        ; implicit-def: $vgpr54
	s_and_saveexec_b64 s[8:9], s[0:1]
	s_xor_b64 s[0:1], exec, s[8:9]
; %bb.403:                              ;   in Loop: Header=BB342_200 Depth=1
	v_bfe_u32 v54, v59, 16, 1
	v_add3_u32 v54, v59, v54, s15
                                        ; implicit-def: $vgpr59
; %bb.404:                              ;   in Loop: Header=BB342_200 Depth=1
	s_andn2_saveexec_b64 s[8:9], s[0:1]
; %bb.405:                              ;   in Loop: Header=BB342_200 Depth=1
	v_or_b32_e32 v54, 0x10000, v59
	v_cmp_eq_u32_sdwa s[0:1], v59, v15 src0_sel:WORD_0 src1_sel:DWORD
	s_nop 1
	v_cndmask_b32_e64 v54, v54, v59, s[0:1]
; %bb.406:                              ;   in Loop: Header=BB342_200 Depth=1
	s_or_b64 exec, exec, s[8:9]
	v_lshlrev_b32_e32 v55, 16, v55
	v_mul_f32_e32 v59, v39, v55
	v_and_b32_e32 v55, 0x7f800000, v59
	v_cmp_ne_u32_e64 s[0:1], s14, v55
                                        ; implicit-def: $vgpr55
	s_and_saveexec_b64 s[8:9], s[0:1]
	s_xor_b64 s[0:1], exec, s[8:9]
; %bb.407:                              ;   in Loop: Header=BB342_200 Depth=1
	v_bfe_u32 v55, v59, 16, 1
	v_add3_u32 v55, v59, v55, s15
                                        ; implicit-def: $vgpr59
; %bb.408:                              ;   in Loop: Header=BB342_200 Depth=1
	s_andn2_saveexec_b64 s[8:9], s[0:1]
; %bb.409:                              ;   in Loop: Header=BB342_200 Depth=1
	v_or_b32_e32 v55, 0x10000, v59
	v_cmp_eq_u32_sdwa s[0:1], v59, v15 src0_sel:WORD_0 src1_sel:DWORD
	s_nop 1
	v_cndmask_b32_e64 v55, v55, v59, s[0:1]
; %bb.410:                              ;   in Loop: Header=BB342_200 Depth=1
	s_or_b64 exec, exec, s[8:9]
	v_lshlrev_b32_e32 v56, 16, v56
	v_mul_f32_e32 v59, v40, v56
	v_and_b32_e32 v56, 0x7f800000, v59
	v_cmp_ne_u32_e64 s[0:1], s14, v56
                                        ; implicit-def: $vgpr56
	s_and_saveexec_b64 s[8:9], s[0:1]
	s_xor_b64 s[0:1], exec, s[8:9]
; %bb.411:                              ;   in Loop: Header=BB342_200 Depth=1
	v_bfe_u32 v56, v59, 16, 1
	v_add3_u32 v56, v59, v56, s15
                                        ; implicit-def: $vgpr59
; %bb.412:                              ;   in Loop: Header=BB342_200 Depth=1
	s_andn2_saveexec_b64 s[8:9], s[0:1]
; %bb.413:                              ;   in Loop: Header=BB342_200 Depth=1
	v_or_b32_e32 v56, 0x10000, v59
	v_cmp_eq_u32_sdwa s[0:1], v59, v15 src0_sel:WORD_0 src1_sel:DWORD
	s_nop 1
	v_cndmask_b32_e64 v56, v56, v59, s[0:1]
; %bb.414:                              ;   in Loop: Header=BB342_200 Depth=1
	s_or_b64 exec, exec, s[8:9]
	v_lshlrev_b32_e32 v57, 16, v57
	v_mul_f32_e32 v59, v41, v57
	v_and_b32_e32 v57, 0x7f800000, v59
	v_cmp_ne_u32_e64 s[0:1], s14, v57
                                        ; implicit-def: $vgpr57
	s_and_saveexec_b64 s[8:9], s[0:1]
	s_xor_b64 s[0:1], exec, s[8:9]
; %bb.415:                              ;   in Loop: Header=BB342_200 Depth=1
	v_bfe_u32 v57, v59, 16, 1
	v_add3_u32 v57, v59, v57, s15
                                        ; implicit-def: $vgpr59
; %bb.416:                              ;   in Loop: Header=BB342_200 Depth=1
	s_andn2_saveexec_b64 s[8:9], s[0:1]
; %bb.417:                              ;   in Loop: Header=BB342_200 Depth=1
	v_or_b32_e32 v57, 0x10000, v59
	v_cmp_eq_u32_sdwa s[0:1], v59, v15 src0_sel:WORD_0 src1_sel:DWORD
	s_nop 1
	v_cndmask_b32_e64 v57, v57, v59, s[0:1]
; %bb.418:                              ;   in Loop: Header=BB342_200 Depth=1
	s_or_b64 exec, exec, s[8:9]
	v_lshlrev_b32_e32 v58, 16, v58
	v_mul_f32_e32 v59, v42, v58
	v_and_b32_e32 v58, 0x7f800000, v59
	v_cmp_ne_u32_e64 s[0:1], s14, v58
                                        ; implicit-def: $vgpr58
	s_and_saveexec_b64 s[8:9], s[0:1]
	s_xor_b64 s[0:1], exec, s[8:9]
; %bb.419:                              ;   in Loop: Header=BB342_200 Depth=1
	v_bfe_u32 v58, v59, 16, 1
	v_add3_u32 v58, v59, v58, s15
                                        ; implicit-def: $vgpr59
; %bb.420:                              ;   in Loop: Header=BB342_200 Depth=1
	s_andn2_saveexec_b64 s[8:9], s[0:1]
; %bb.421:                              ;   in Loop: Header=BB342_200 Depth=1
	v_or_b32_e32 v58, 0x10000, v59
	v_cmp_eq_u32_sdwa s[0:1], v59, v15 src0_sel:WORD_0 src1_sel:DWORD
	s_nop 1
	v_cndmask_b32_e64 v58, v58, v59, s[0:1]
; %bb.422:                              ;   in Loop: Header=BB342_200 Depth=1
	s_or_b64 exec, exec, s[8:9]
	v_lshlrev_b32_e32 v5, 16, v5
	v_mul_f32_e32 v5, v43, v5
	v_and_b32_e32 v59, 0x7f800000, v5
	v_cmp_ne_u32_e64 s[0:1], s14, v59
                                        ; implicit-def: $vgpr59
	s_and_saveexec_b64 s[8:9], s[0:1]
	s_xor_b64 s[0:1], exec, s[8:9]
; %bb.423:                              ;   in Loop: Header=BB342_200 Depth=1
	v_bfe_u32 v59, v5, 16, 1
	v_add3_u32 v59, v5, v59, s15
                                        ; implicit-def: $vgpr5
; %bb.424:                              ;   in Loop: Header=BB342_200 Depth=1
	s_andn2_saveexec_b64 s[8:9], s[0:1]
; %bb.425:                              ;   in Loop: Header=BB342_200 Depth=1
	v_or_b32_e32 v59, 0x10000, v5
	v_cmp_eq_u32_sdwa s[0:1], v5, v15 src0_sel:WORD_0 src1_sel:DWORD
	s_nop 1
	v_cndmask_b32_e64 v59, v59, v5, s[0:1]
; %bb.426:                              ;   in Loop: Header=BB342_200 Depth=1
	s_or_b64 exec, exec, s[8:9]
	v_lshlrev_b32_e32 v4, 16, v4
	v_mul_f32_e32 v4, v44, v4
	v_and_b32_e32 v5, 0x7f800000, v4
	v_cmp_ne_u32_e64 s[0:1], s14, v5
                                        ; implicit-def: $vgpr60
	s_and_saveexec_b64 s[8:9], s[0:1]
	s_xor_b64 s[0:1], exec, s[8:9]
; %bb.427:                              ;   in Loop: Header=BB342_200 Depth=1
	v_bfe_u32 v5, v4, 16, 1
	v_add3_u32 v60, v4, v5, s15
                                        ; implicit-def: $vgpr4
; %bb.428:                              ;   in Loop: Header=BB342_200 Depth=1
	s_andn2_saveexec_b64 s[8:9], s[0:1]
; %bb.429:                              ;   in Loop: Header=BB342_200 Depth=1
	v_or_b32_e32 v5, 0x10000, v4
	v_cmp_eq_u32_sdwa s[0:1], v4, v15 src0_sel:WORD_0 src1_sel:DWORD
	s_nop 1
	v_cndmask_b32_e64 v60, v5, v4, s[0:1]
; %bb.430:                              ;   in Loop: Header=BB342_200 Depth=1
	s_or_b64 exec, exec, s[8:9]
	global_load_dwordx2 v[4:5], v[2:3], off offset:1536
	s_waitcnt vmcnt(0)
	v_and_b32_e32 v61, 0xff, v4
	v_cvt_f32_fp8_sdwa v61, v61 src0_sel:BYTE_0
	s_nop 0
	v_mul_f32_e32 v62, s10, v61
	v_and_b32_e32 v61, 0x7f800000, v62
	v_cmp_ne_u32_e64 s[0:1], s14, v61
                                        ; implicit-def: $vgpr61
	s_and_saveexec_b64 s[8:9], s[0:1]
	s_xor_b64 s[0:1], exec, s[8:9]
; %bb.431:                              ;   in Loop: Header=BB342_200 Depth=1
	v_bfe_u32 v61, v62, 16, 1
	v_add3_u32 v61, v62, v61, s15
                                        ; implicit-def: $vgpr62
; %bb.432:                              ;   in Loop: Header=BB342_200 Depth=1
	s_andn2_saveexec_b64 s[8:9], s[0:1]
; %bb.433:                              ;   in Loop: Header=BB342_200 Depth=1
	v_or_b32_e32 v61, 0x10000, v62
	v_cmp_eq_u32_sdwa s[0:1], v62, v15 src0_sel:WORD_0 src1_sel:DWORD
	s_nop 1
	v_cndmask_b32_e64 v61, v61, v62, s[0:1]
; %bb.434:                              ;   in Loop: Header=BB342_200 Depth=1
	s_or_b64 exec, exec, s[8:9]
	v_bfe_u32 v62, v4, 8, 8
	v_cvt_f32_fp8_sdwa v62, v62 src0_sel:BYTE_0
	s_nop 0
	v_mul_f32_e32 v63, s10, v62
	v_and_b32_e32 v62, 0x7f800000, v63
	v_cmp_ne_u32_e64 s[0:1], s14, v62
                                        ; implicit-def: $vgpr62
	s_and_saveexec_b64 s[8:9], s[0:1]
	s_xor_b64 s[0:1], exec, s[8:9]
; %bb.435:                              ;   in Loop: Header=BB342_200 Depth=1
	v_bfe_u32 v62, v63, 16, 1
	v_add3_u32 v62, v63, v62, s15
                                        ; implicit-def: $vgpr63
; %bb.436:                              ;   in Loop: Header=BB342_200 Depth=1
	s_andn2_saveexec_b64 s[8:9], s[0:1]
; %bb.437:                              ;   in Loop: Header=BB342_200 Depth=1
	v_or_b32_e32 v62, 0x10000, v63
	v_cmp_eq_u32_sdwa s[0:1], v63, v15 src0_sel:WORD_0 src1_sel:DWORD
	s_nop 1
	v_cndmask_b32_e64 v62, v62, v63, s[0:1]
; %bb.438:                              ;   in Loop: Header=BB342_200 Depth=1
	s_or_b64 exec, exec, s[8:9]
	v_bfe_u32 v63, v4, 16, 8
	v_cvt_f32_fp8_sdwa v63, v63 src0_sel:BYTE_0
	s_nop 0
	v_mul_f32_e32 v64, s10, v63
	v_and_b32_e32 v63, 0x7f800000, v64
	v_cmp_ne_u32_e64 s[0:1], s14, v63
                                        ; implicit-def: $vgpr63
	s_and_saveexec_b64 s[8:9], s[0:1]
	s_xor_b64 s[0:1], exec, s[8:9]
; %bb.439:                              ;   in Loop: Header=BB342_200 Depth=1
	v_bfe_u32 v63, v64, 16, 1
	v_add3_u32 v63, v64, v63, s15
                                        ; implicit-def: $vgpr64
; %bb.440:                              ;   in Loop: Header=BB342_200 Depth=1
	s_andn2_saveexec_b64 s[8:9], s[0:1]
; %bb.441:                              ;   in Loop: Header=BB342_200 Depth=1
	v_or_b32_e32 v63, 0x10000, v64
	v_cmp_eq_u32_sdwa s[0:1], v64, v15 src0_sel:WORD_0 src1_sel:DWORD
	s_nop 1
	v_cndmask_b32_e64 v63, v63, v64, s[0:1]
; %bb.442:                              ;   in Loop: Header=BB342_200 Depth=1
	s_or_b64 exec, exec, s[8:9]
	v_lshrrev_b32_e32 v4, 24, v4
	v_cvt_f32_fp8_sdwa v4, v4 src0_sel:BYTE_0
	s_nop 0
	v_mul_f32_e32 v64, s10, v4
	v_and_b32_e32 v4, 0x7f800000, v64
	v_cmp_ne_u32_e64 s[0:1], s14, v4
                                        ; implicit-def: $vgpr4
	s_and_saveexec_b64 s[8:9], s[0:1]
	s_xor_b64 s[0:1], exec, s[8:9]
; %bb.443:                              ;   in Loop: Header=BB342_200 Depth=1
	v_bfe_u32 v4, v64, 16, 1
	v_add3_u32 v4, v64, v4, s15
                                        ; implicit-def: $vgpr64
; %bb.444:                              ;   in Loop: Header=BB342_200 Depth=1
	s_andn2_saveexec_b64 s[8:9], s[0:1]
; %bb.445:                              ;   in Loop: Header=BB342_200 Depth=1
	v_or_b32_e32 v4, 0x10000, v64
	v_cmp_eq_u32_sdwa s[0:1], v64, v15 src0_sel:WORD_0 src1_sel:DWORD
	s_nop 1
	v_cndmask_b32_e64 v4, v4, v64, s[0:1]
; %bb.446:                              ;   in Loop: Header=BB342_200 Depth=1
	s_or_b64 exec, exec, s[8:9]
	v_and_b32_e32 v64, 0xff, v5
	v_cvt_f32_fp8_sdwa v64, v64 src0_sel:BYTE_0
	s_nop 0
	v_mul_f32_e32 v64, s10, v64
	v_and_b32_e32 v65, 0x7f800000, v64
	v_cmp_ne_u32_e64 s[0:1], s14, v65
                                        ; implicit-def: $vgpr65
	s_and_saveexec_b64 s[8:9], s[0:1]
	s_xor_b64 s[0:1], exec, s[8:9]
; %bb.447:                              ;   in Loop: Header=BB342_200 Depth=1
	v_bfe_u32 v65, v64, 16, 1
	v_add3_u32 v65, v64, v65, s15
                                        ; implicit-def: $vgpr64
; %bb.448:                              ;   in Loop: Header=BB342_200 Depth=1
	s_andn2_saveexec_b64 s[8:9], s[0:1]
; %bb.449:                              ;   in Loop: Header=BB342_200 Depth=1
	v_or_b32_e32 v65, 0x10000, v64
	v_cmp_eq_u32_sdwa s[0:1], v64, v15 src0_sel:WORD_0 src1_sel:DWORD
	s_nop 1
	v_cndmask_b32_e64 v65, v65, v64, s[0:1]
; %bb.450:                              ;   in Loop: Header=BB342_200 Depth=1
	s_or_b64 exec, exec, s[8:9]
	v_bfe_u32 v64, v5, 8, 8
	v_cvt_f32_fp8_sdwa v64, v64 src0_sel:BYTE_0
	s_nop 0
	v_mul_f32_e32 v66, s10, v64
	v_and_b32_e32 v64, 0x7f800000, v66
	v_cmp_ne_u32_e64 s[0:1], s14, v64
                                        ; implicit-def: $vgpr64
	s_and_saveexec_b64 s[8:9], s[0:1]
	s_xor_b64 s[0:1], exec, s[8:9]
; %bb.451:                              ;   in Loop: Header=BB342_200 Depth=1
	v_bfe_u32 v64, v66, 16, 1
	v_add3_u32 v64, v66, v64, s15
                                        ; implicit-def: $vgpr66
; %bb.452:                              ;   in Loop: Header=BB342_200 Depth=1
	s_andn2_saveexec_b64 s[8:9], s[0:1]
; %bb.453:                              ;   in Loop: Header=BB342_200 Depth=1
	v_or_b32_e32 v64, 0x10000, v66
	v_cmp_eq_u32_sdwa s[0:1], v66, v15 src0_sel:WORD_0 src1_sel:DWORD
	s_nop 1
	v_cndmask_b32_e64 v64, v64, v66, s[0:1]
; %bb.454:                              ;   in Loop: Header=BB342_200 Depth=1
	s_or_b64 exec, exec, s[8:9]
	v_bfe_u32 v66, v5, 16, 8
	v_cvt_f32_fp8_sdwa v66, v66 src0_sel:BYTE_0
	s_nop 0
	v_mul_f32_e32 v67, s10, v66
	v_and_b32_e32 v66, 0x7f800000, v67
	v_cmp_ne_u32_e64 s[0:1], s14, v66
                                        ; implicit-def: $vgpr66
	s_and_saveexec_b64 s[8:9], s[0:1]
	s_xor_b64 s[0:1], exec, s[8:9]
; %bb.455:                              ;   in Loop: Header=BB342_200 Depth=1
	v_bfe_u32 v66, v67, 16, 1
	v_add3_u32 v66, v67, v66, s15
                                        ; implicit-def: $vgpr67
; %bb.456:                              ;   in Loop: Header=BB342_200 Depth=1
	s_andn2_saveexec_b64 s[8:9], s[0:1]
; %bb.457:                              ;   in Loop: Header=BB342_200 Depth=1
	v_or_b32_e32 v66, 0x10000, v67
	v_cmp_eq_u32_sdwa s[0:1], v67, v15 src0_sel:WORD_0 src1_sel:DWORD
	s_nop 1
	v_cndmask_b32_e64 v66, v66, v67, s[0:1]
; %bb.458:                              ;   in Loop: Header=BB342_200 Depth=1
	s_or_b64 exec, exec, s[8:9]
	v_lshrrev_b32_e32 v5, 24, v5
	v_cvt_f32_fp8_sdwa v5, v5 src0_sel:BYTE_0
                                        ; implicit-def: $vgpr69
	s_nop 0
	v_mul_f32_e32 v5, s10, v5
	v_and_b32_e32 v67, 0x7f800000, v5
	v_cmp_ne_u32_e64 s[0:1], s14, v67
	s_and_saveexec_b64 s[8:9], s[0:1]
	s_xor_b64 s[0:1], exec, s[8:9]
; %bb.459:                              ;   in Loop: Header=BB342_200 Depth=1
	v_bfe_u32 v67, v5, 16, 1
	v_add3_u32 v69, v5, v67, s15
                                        ; implicit-def: $vgpr5
; %bb.460:                              ;   in Loop: Header=BB342_200 Depth=1
	s_andn2_saveexec_b64 s[8:9], s[0:1]
; %bb.461:                              ;   in Loop: Header=BB342_200 Depth=1
	v_or_b32_e32 v67, 0x10000, v5
	v_cmp_eq_u32_sdwa s[0:1], v5, v15 src0_sel:WORD_0 src1_sel:DWORD
	s_nop 1
	v_cndmask_b32_e64 v69, v67, v5, s[0:1]
; %bb.462:                              ;   in Loop: Header=BB342_200 Depth=1
	s_or_b64 exec, exec, s[8:9]
	v_lshrrev_b32_e32 v64, 16, v64
	v_lshrrev_b32_e32 v67, 16, v65
	;; [unrolled: 1-line block ×8, first 2 shown]
	s_and_saveexec_b64 s[8:9], vcc
	s_cbranch_execz .LBB342_464
; %bb.463:                              ;   in Loop: Header=BB342_200 Depth=1
	v_cmp_gt_i32_e64 s[0:1], s17, v29
	s_nop 1
	v_cndmask_b32_e64 v4, 0, v4, s[0:1]
	v_cmp_gt_i32_e64 s[0:1], s17, v35
	s_nop 1
	v_cndmask_b32_e64 v5, 0, v5, s[0:1]
	;; [unrolled: 3-line block ×8, first 2 shown]
.LBB342_464:                            ;   in Loop: Header=BB342_200 Depth=1
	s_or_b64 exec, exec, s[8:9]
	v_lshlrev_b32_e32 v4, 16, v4
	v_mul_f32_e32 v61, v37, v4
	v_and_b32_e32 v4, 0x7f800000, v61
	v_cmp_ne_u32_e64 s[0:1], s14, v4
                                        ; implicit-def: $vgpr4
	s_and_saveexec_b64 s[8:9], s[0:1]
	s_xor_b64 s[0:1], exec, s[8:9]
; %bb.465:                              ;   in Loop: Header=BB342_200 Depth=1
	v_bfe_u32 v4, v61, 16, 1
	v_add3_u32 v4, v61, v4, s15
                                        ; implicit-def: $vgpr61
; %bb.466:                              ;   in Loop: Header=BB342_200 Depth=1
	s_andn2_saveexec_b64 s[8:9], s[0:1]
; %bb.467:                              ;   in Loop: Header=BB342_200 Depth=1
	v_or_b32_e32 v4, 0x10000, v61
	v_cmp_eq_u32_sdwa s[0:1], v61, v15 src0_sel:WORD_0 src1_sel:DWORD
	s_nop 1
	v_cndmask_b32_e64 v4, v4, v61, s[0:1]
; %bb.468:                              ;   in Loop: Header=BB342_200 Depth=1
	s_or_b64 exec, exec, s[8:9]
	v_lshlrev_b32_e32 v5, 16, v5
	v_mul_f32_e32 v61, v38, v5
	v_and_b32_e32 v5, 0x7f800000, v61
	v_cmp_ne_u32_e64 s[0:1], s14, v5
                                        ; implicit-def: $vgpr5
	s_and_saveexec_b64 s[8:9], s[0:1]
	s_xor_b64 s[0:1], exec, s[8:9]
; %bb.469:                              ;   in Loop: Header=BB342_200 Depth=1
	v_bfe_u32 v5, v61, 16, 1
	v_add3_u32 v5, v61, v5, s15
                                        ; implicit-def: $vgpr61
; %bb.470:                              ;   in Loop: Header=BB342_200 Depth=1
	s_andn2_saveexec_b64 s[8:9], s[0:1]
; %bb.471:                              ;   in Loop: Header=BB342_200 Depth=1
	v_or_b32_e32 v5, 0x10000, v61
	v_cmp_eq_u32_sdwa s[0:1], v61, v15 src0_sel:WORD_0 src1_sel:DWORD
	s_nop 1
	v_cndmask_b32_e64 v5, v5, v61, s[0:1]
; %bb.472:                              ;   in Loop: Header=BB342_200 Depth=1
	s_or_b64 exec, exec, s[8:9]
	v_lshlrev_b32_e32 v61, 16, v63
	v_mul_f32_e32 v62, v39, v61
	v_and_b32_e32 v61, 0x7f800000, v62
	v_cmp_ne_u32_e64 s[0:1], s14, v61
                                        ; implicit-def: $vgpr61
	s_and_saveexec_b64 s[8:9], s[0:1]
	s_xor_b64 s[0:1], exec, s[8:9]
; %bb.473:                              ;   in Loop: Header=BB342_200 Depth=1
	v_bfe_u32 v61, v62, 16, 1
	v_add3_u32 v61, v62, v61, s15
                                        ; implicit-def: $vgpr62
; %bb.474:                              ;   in Loop: Header=BB342_200 Depth=1
	s_andn2_saveexec_b64 s[8:9], s[0:1]
; %bb.475:                              ;   in Loop: Header=BB342_200 Depth=1
	v_or_b32_e32 v61, 0x10000, v62
	v_cmp_eq_u32_sdwa s[0:1], v62, v15 src0_sel:WORD_0 src1_sel:DWORD
	s_nop 1
	v_cndmask_b32_e64 v61, v61, v62, s[0:1]
; %bb.476:                              ;   in Loop: Header=BB342_200 Depth=1
	s_or_b64 exec, exec, s[8:9]
	v_lshlrev_b32_e32 v62, 16, v68
	v_mul_f32_e32 v63, v40, v62
	v_and_b32_e32 v62, 0x7f800000, v63
	v_cmp_ne_u32_e64 s[0:1], s14, v62
                                        ; implicit-def: $vgpr62
	s_and_saveexec_b64 s[8:9], s[0:1]
	s_xor_b64 s[0:1], exec, s[8:9]
; %bb.477:                              ;   in Loop: Header=BB342_200 Depth=1
	v_bfe_u32 v62, v63, 16, 1
	v_add3_u32 v62, v63, v62, s15
                                        ; implicit-def: $vgpr63
; %bb.478:                              ;   in Loop: Header=BB342_200 Depth=1
	s_andn2_saveexec_b64 s[8:9], s[0:1]
; %bb.479:                              ;   in Loop: Header=BB342_200 Depth=1
	v_or_b32_e32 v62, 0x10000, v63
	v_cmp_eq_u32_sdwa s[0:1], v63, v15 src0_sel:WORD_0 src1_sel:DWORD
	s_nop 1
	v_cndmask_b32_e64 v62, v62, v63, s[0:1]
; %bb.480:                              ;   in Loop: Header=BB342_200 Depth=1
	s_or_b64 exec, exec, s[8:9]
	v_lshlrev_b32_e32 v63, 16, v67
	v_mul_f32_e32 v67, v41, v63
	v_and_b32_e32 v63, 0x7f800000, v67
	v_cmp_ne_u32_e64 s[0:1], s14, v63
                                        ; implicit-def: $vgpr63
	s_and_saveexec_b64 s[8:9], s[0:1]
	s_xor_b64 s[0:1], exec, s[8:9]
; %bb.481:                              ;   in Loop: Header=BB342_200 Depth=1
	v_bfe_u32 v63, v67, 16, 1
	v_add3_u32 v63, v67, v63, s15
                                        ; implicit-def: $vgpr67
; %bb.482:                              ;   in Loop: Header=BB342_200 Depth=1
	s_andn2_saveexec_b64 s[8:9], s[0:1]
; %bb.483:                              ;   in Loop: Header=BB342_200 Depth=1
	v_or_b32_e32 v63, 0x10000, v67
	v_cmp_eq_u32_sdwa s[0:1], v67, v15 src0_sel:WORD_0 src1_sel:DWORD
	s_nop 1
	v_cndmask_b32_e64 v63, v63, v67, s[0:1]
; %bb.484:                              ;   in Loop: Header=BB342_200 Depth=1
	s_or_b64 exec, exec, s[8:9]
	v_lshlrev_b32_e32 v64, 16, v64
	v_mul_f32_e32 v67, v42, v64
	v_and_b32_e32 v64, 0x7f800000, v67
	v_cmp_ne_u32_e64 s[0:1], s14, v64
                                        ; implicit-def: $vgpr64
	s_and_saveexec_b64 s[8:9], s[0:1]
	s_xor_b64 s[0:1], exec, s[8:9]
; %bb.485:                              ;   in Loop: Header=BB342_200 Depth=1
	v_bfe_u32 v64, v67, 16, 1
	v_add3_u32 v64, v67, v64, s15
                                        ; implicit-def: $vgpr67
; %bb.486:                              ;   in Loop: Header=BB342_200 Depth=1
	s_andn2_saveexec_b64 s[8:9], s[0:1]
; %bb.487:                              ;   in Loop: Header=BB342_200 Depth=1
	v_or_b32_e32 v64, 0x10000, v67
	v_cmp_eq_u32_sdwa s[0:1], v67, v15 src0_sel:WORD_0 src1_sel:DWORD
	s_nop 1
	v_cndmask_b32_e64 v64, v64, v67, s[0:1]
; %bb.488:                              ;   in Loop: Header=BB342_200 Depth=1
	s_or_b64 exec, exec, s[8:9]
	v_lshlrev_b32_e32 v65, 16, v65
	v_mul_f32_e32 v67, v43, v65
	v_and_b32_e32 v65, 0x7f800000, v67
	v_cmp_ne_u32_e64 s[0:1], s14, v65
                                        ; implicit-def: $vgpr65
	s_and_saveexec_b64 s[8:9], s[0:1]
	s_xor_b64 s[0:1], exec, s[8:9]
; %bb.489:                              ;   in Loop: Header=BB342_200 Depth=1
	v_bfe_u32 v65, v67, 16, 1
	v_add3_u32 v65, v67, v65, s15
                                        ; implicit-def: $vgpr67
; %bb.490:                              ;   in Loop: Header=BB342_200 Depth=1
	s_andn2_saveexec_b64 s[8:9], s[0:1]
; %bb.491:                              ;   in Loop: Header=BB342_200 Depth=1
	v_or_b32_e32 v65, 0x10000, v67
	v_cmp_eq_u32_sdwa s[0:1], v67, v15 src0_sel:WORD_0 src1_sel:DWORD
	s_nop 1
	v_cndmask_b32_e64 v65, v65, v67, s[0:1]
; %bb.492:                              ;   in Loop: Header=BB342_200 Depth=1
	s_or_b64 exec, exec, s[8:9]
	v_lshlrev_b32_e32 v66, 16, v66
	v_mul_f32_e32 v67, v44, v66
	v_and_b32_e32 v66, 0x7f800000, v67
	v_cmp_ne_u32_e64 s[0:1], s14, v66
                                        ; implicit-def: $vgpr66
	s_and_saveexec_b64 s[8:9], s[0:1]
	s_xor_b64 s[0:1], exec, s[8:9]
; %bb.493:                              ;   in Loop: Header=BB342_200 Depth=1
	v_bfe_u32 v66, v67, 16, 1
	v_add3_u32 v66, v67, v66, s15
                                        ; implicit-def: $vgpr67
; %bb.494:                              ;   in Loop: Header=BB342_200 Depth=1
	s_andn2_saveexec_b64 s[8:9], s[0:1]
; %bb.495:                              ;   in Loop: Header=BB342_200 Depth=1
	v_or_b32_e32 v66, 0x10000, v67
	v_cmp_eq_u32_sdwa s[0:1], v67, v15 src0_sel:WORD_0 src1_sel:DWORD
	s_nop 1
	v_cndmask_b32_e64 v66, v66, v67, s[0:1]
; %bb.496:                              ;   in Loop: Header=BB342_200 Depth=1
	s_or_b64 exec, exec, s[8:9]
	global_load_dwordx2 v[2:3], v[2:3], off offset:2048
	s_waitcnt vmcnt(0)
	v_and_b32_e32 v67, 0xff, v2
	v_cvt_f32_fp8_sdwa v67, v67 src0_sel:BYTE_0
	s_nop 0
	v_mul_f32_e32 v68, s10, v67
	v_and_b32_e32 v67, 0x7f800000, v68
	v_cmp_ne_u32_e64 s[0:1], s14, v67
                                        ; implicit-def: $vgpr67
	s_and_saveexec_b64 s[8:9], s[0:1]
	s_xor_b64 s[0:1], exec, s[8:9]
; %bb.497:                              ;   in Loop: Header=BB342_200 Depth=1
	v_bfe_u32 v67, v68, 16, 1
	v_add3_u32 v67, v68, v67, s15
                                        ; implicit-def: $vgpr68
; %bb.498:                              ;   in Loop: Header=BB342_200 Depth=1
	s_andn2_saveexec_b64 s[8:9], s[0:1]
; %bb.499:                              ;   in Loop: Header=BB342_200 Depth=1
	v_or_b32_e32 v67, 0x10000, v68
	v_cmp_eq_u32_sdwa s[0:1], v68, v15 src0_sel:WORD_0 src1_sel:DWORD
	s_nop 1
	v_cndmask_b32_e64 v67, v67, v68, s[0:1]
; %bb.500:                              ;   in Loop: Header=BB342_200 Depth=1
	s_or_b64 exec, exec, s[8:9]
	v_bfe_u32 v68, v2, 8, 8
	v_cvt_f32_fp8_sdwa v68, v68 src0_sel:BYTE_0
	s_nop 0
	v_mul_f32_e32 v69, s10, v68
	v_and_b32_e32 v68, 0x7f800000, v69
	v_cmp_ne_u32_e64 s[0:1], s14, v68
                                        ; implicit-def: $vgpr68
	s_and_saveexec_b64 s[8:9], s[0:1]
	s_xor_b64 s[0:1], exec, s[8:9]
; %bb.501:                              ;   in Loop: Header=BB342_200 Depth=1
	v_bfe_u32 v68, v69, 16, 1
	v_add3_u32 v68, v69, v68, s15
                                        ; implicit-def: $vgpr69
; %bb.502:                              ;   in Loop: Header=BB342_200 Depth=1
	s_andn2_saveexec_b64 s[8:9], s[0:1]
; %bb.503:                              ;   in Loop: Header=BB342_200 Depth=1
	v_or_b32_e32 v68, 0x10000, v69
	v_cmp_eq_u32_sdwa s[0:1], v69, v15 src0_sel:WORD_0 src1_sel:DWORD
	s_nop 1
	v_cndmask_b32_e64 v68, v68, v69, s[0:1]
; %bb.504:                              ;   in Loop: Header=BB342_200 Depth=1
	s_or_b64 exec, exec, s[8:9]
	v_bfe_u32 v69, v2, 16, 8
	v_cvt_f32_fp8_sdwa v69, v69 src0_sel:BYTE_0
	s_nop 0
	v_mul_f32_e32 v69, s10, v69
	v_and_b32_e32 v70, 0x7f800000, v69
	v_cmp_ne_u32_e64 s[0:1], s14, v70
                                        ; implicit-def: $vgpr70
	s_and_saveexec_b64 s[8:9], s[0:1]
	s_xor_b64 s[0:1], exec, s[8:9]
; %bb.505:                              ;   in Loop: Header=BB342_200 Depth=1
	v_bfe_u32 v70, v69, 16, 1
	v_add3_u32 v70, v69, v70, s15
                                        ; implicit-def: $vgpr69
; %bb.506:                              ;   in Loop: Header=BB342_200 Depth=1
	s_andn2_saveexec_b64 s[8:9], s[0:1]
; %bb.507:                              ;   in Loop: Header=BB342_200 Depth=1
	v_or_b32_e32 v70, 0x10000, v69
	v_cmp_eq_u32_sdwa s[0:1], v69, v15 src0_sel:WORD_0 src1_sel:DWORD
	s_nop 1
	v_cndmask_b32_e64 v70, v70, v69, s[0:1]
; %bb.508:                              ;   in Loop: Header=BB342_200 Depth=1
	s_or_b64 exec, exec, s[8:9]
	v_lshrrev_b32_e32 v2, 24, v2
	v_cvt_f32_fp8_sdwa v2, v2 src0_sel:BYTE_0
	s_nop 0
	v_mul_f32_e32 v69, s10, v2
	v_and_b32_e32 v2, 0x7f800000, v69
	v_cmp_ne_u32_e64 s[0:1], s14, v2
                                        ; implicit-def: $vgpr2
	s_and_saveexec_b64 s[8:9], s[0:1]
	s_xor_b64 s[0:1], exec, s[8:9]
; %bb.509:                              ;   in Loop: Header=BB342_200 Depth=1
	v_bfe_u32 v2, v69, 16, 1
	v_add3_u32 v2, v69, v2, s15
                                        ; implicit-def: $vgpr69
; %bb.510:                              ;   in Loop: Header=BB342_200 Depth=1
	s_andn2_saveexec_b64 s[8:9], s[0:1]
; %bb.511:                              ;   in Loop: Header=BB342_200 Depth=1
	v_or_b32_e32 v2, 0x10000, v69
	v_cmp_eq_u32_sdwa s[0:1], v69, v15 src0_sel:WORD_0 src1_sel:DWORD
	s_nop 1
	v_cndmask_b32_e64 v2, v2, v69, s[0:1]
; %bb.512:                              ;   in Loop: Header=BB342_200 Depth=1
	s_or_b64 exec, exec, s[8:9]
	v_and_b32_e32 v69, 0xff, v3
	v_cvt_f32_fp8_sdwa v69, v69 src0_sel:BYTE_0
	s_nop 0
	v_mul_f32_e32 v69, s10, v69
	v_and_b32_e32 v71, 0x7f800000, v69
	v_cmp_ne_u32_e64 s[0:1], s14, v71
                                        ; implicit-def: $vgpr71
	s_and_saveexec_b64 s[8:9], s[0:1]
	s_xor_b64 s[0:1], exec, s[8:9]
; %bb.513:                              ;   in Loop: Header=BB342_200 Depth=1
	v_bfe_u32 v71, v69, 16, 1
	v_add3_u32 v71, v69, v71, s15
                                        ; implicit-def: $vgpr69
; %bb.514:                              ;   in Loop: Header=BB342_200 Depth=1
	s_andn2_saveexec_b64 s[8:9], s[0:1]
; %bb.515:                              ;   in Loop: Header=BB342_200 Depth=1
	v_or_b32_e32 v71, 0x10000, v69
	v_cmp_eq_u32_sdwa s[0:1], v69, v15 src0_sel:WORD_0 src1_sel:DWORD
	s_nop 1
	v_cndmask_b32_e64 v71, v71, v69, s[0:1]
; %bb.516:                              ;   in Loop: Header=BB342_200 Depth=1
	s_or_b64 exec, exec, s[8:9]
	v_bfe_u32 v69, v3, 8, 8
	v_cvt_f32_fp8_sdwa v69, v69 src0_sel:BYTE_0
	s_nop 0
	v_mul_f32_e32 v72, s10, v69
	v_and_b32_e32 v69, 0x7f800000, v72
	v_cmp_ne_u32_e64 s[0:1], s14, v69
                                        ; implicit-def: $vgpr69
	s_and_saveexec_b64 s[8:9], s[0:1]
	s_xor_b64 s[0:1], exec, s[8:9]
; %bb.517:                              ;   in Loop: Header=BB342_200 Depth=1
	v_bfe_u32 v69, v72, 16, 1
	v_add3_u32 v69, v72, v69, s15
                                        ; implicit-def: $vgpr72
; %bb.518:                              ;   in Loop: Header=BB342_200 Depth=1
	s_andn2_saveexec_b64 s[8:9], s[0:1]
; %bb.519:                              ;   in Loop: Header=BB342_200 Depth=1
	v_or_b32_e32 v69, 0x10000, v72
	v_cmp_eq_u32_sdwa s[0:1], v72, v15 src0_sel:WORD_0 src1_sel:DWORD
	s_nop 1
	v_cndmask_b32_e64 v69, v69, v72, s[0:1]
; %bb.520:                              ;   in Loop: Header=BB342_200 Depth=1
	s_or_b64 exec, exec, s[8:9]
	v_bfe_u32 v72, v3, 16, 8
	v_cvt_f32_fp8_sdwa v72, v72 src0_sel:BYTE_0
	s_nop 0
	v_mul_f32_e32 v72, s10, v72
	v_and_b32_e32 v73, 0x7f800000, v72
	v_cmp_ne_u32_e64 s[0:1], s14, v73
                                        ; implicit-def: $vgpr73
	s_and_saveexec_b64 s[8:9], s[0:1]
	s_xor_b64 s[0:1], exec, s[8:9]
; %bb.521:                              ;   in Loop: Header=BB342_200 Depth=1
	v_bfe_u32 v73, v72, 16, 1
	v_add3_u32 v73, v72, v73, s15
                                        ; implicit-def: $vgpr72
; %bb.522:                              ;   in Loop: Header=BB342_200 Depth=1
	s_andn2_saveexec_b64 s[8:9], s[0:1]
; %bb.523:                              ;   in Loop: Header=BB342_200 Depth=1
	v_or_b32_e32 v73, 0x10000, v72
	v_cmp_eq_u32_sdwa s[0:1], v72, v15 src0_sel:WORD_0 src1_sel:DWORD
	s_nop 1
	v_cndmask_b32_e64 v73, v73, v72, s[0:1]
; %bb.524:                              ;   in Loop: Header=BB342_200 Depth=1
	s_or_b64 exec, exec, s[8:9]
	v_lshrrev_b32_e32 v3, 24, v3
	v_cvt_f32_fp8_sdwa v3, v3 src0_sel:BYTE_0
                                        ; implicit-def: $vgpr74
	s_nop 0
	v_mul_f32_e32 v3, s10, v3
	v_and_b32_e32 v72, 0x7f800000, v3
	v_cmp_ne_u32_e64 s[0:1], s14, v72
	s_and_saveexec_b64 s[8:9], s[0:1]
	s_xor_b64 s[0:1], exec, s[8:9]
; %bb.525:                              ;   in Loop: Header=BB342_200 Depth=1
	v_bfe_u32 v72, v3, 16, 1
	v_add3_u32 v74, v3, v72, s15
                                        ; implicit-def: $vgpr3
; %bb.526:                              ;   in Loop: Header=BB342_200 Depth=1
	s_andn2_saveexec_b64 s[8:9], s[0:1]
; %bb.527:                              ;   in Loop: Header=BB342_200 Depth=1
	v_or_b32_e32 v72, 0x10000, v3
	v_cmp_eq_u32_sdwa s[0:1], v3, v15 src0_sel:WORD_0 src1_sel:DWORD
	s_nop 1
	v_cndmask_b32_e64 v74, v72, v3, s[0:1]
; %bb.528:                              ;   in Loop: Header=BB342_200 Depth=1
	s_or_b64 exec, exec, s[8:9]
	v_lshrrev_b32_e32 v69, 16, v69
	v_lshrrev_b32_e32 v71, 16, v71
	v_lshrrev_b32_e32 v72, 16, v2
	v_lshrrev_b32_e32 v70, 16, v70
	v_lshrrev_b32_e32 v3, 16, v68
	v_lshrrev_b32_e32 v2, 16, v67
	v_lshrrev_b32_e32 v68, 16, v73
	v_lshrrev_b32_e32 v67, 16, v74
	s_and_saveexec_b64 s[0:1], vcc
	s_cbranch_execz .LBB342_530
; %bb.529:                              ;   in Loop: Header=BB342_200 Depth=1
	v_cmp_gt_i32_e32 vcc, s17, v29
	s_nop 1
	v_cndmask_b32_e32 v2, 0, v2, vcc
	v_cmp_gt_i32_e32 vcc, s17, v35
	s_nop 1
	v_cndmask_b32_e32 v3, 0, v3, vcc
	;; [unrolled: 3-line block ×8, first 2 shown]
.LBB342_530:                            ;   in Loop: Header=BB342_200 Depth=1
	s_or_b64 exec, exec, s[0:1]
	v_lshlrev_b32_e32 v2, 16, v2
	v_mul_f32_e32 v29, v37, v2
	v_and_b32_e32 v2, 0x7f800000, v29
	v_cmp_ne_u32_e32 vcc, s14, v2
                                        ; implicit-def: $vgpr2
	s_and_saveexec_b64 s[0:1], vcc
	s_xor_b64 s[0:1], exec, s[0:1]
; %bb.531:                              ;   in Loop: Header=BB342_200 Depth=1
	v_bfe_u32 v2, v29, 16, 1
	v_add3_u32 v2, v29, v2, s15
                                        ; implicit-def: $vgpr29
; %bb.532:                              ;   in Loop: Header=BB342_200 Depth=1
	s_andn2_saveexec_b64 s[0:1], s[0:1]
; %bb.533:                              ;   in Loop: Header=BB342_200 Depth=1
	v_or_b32_e32 v2, 0x10000, v29
	v_cmp_eq_u32_sdwa vcc, v29, v15 src0_sel:WORD_0 src1_sel:DWORD
	s_nop 1
	v_cndmask_b32_e32 v2, v2, v29, vcc
; %bb.534:                              ;   in Loop: Header=BB342_200 Depth=1
	s_or_b64 exec, exec, s[0:1]
	v_lshlrev_b32_e32 v3, 16, v3
	v_mul_f32_e32 v29, v38, v3
	v_and_b32_e32 v3, 0x7f800000, v29
	v_cmp_ne_u32_e32 vcc, s14, v3
                                        ; implicit-def: $vgpr3
	s_and_saveexec_b64 s[0:1], vcc
	s_xor_b64 s[0:1], exec, s[0:1]
; %bb.535:                              ;   in Loop: Header=BB342_200 Depth=1
	v_bfe_u32 v3, v29, 16, 1
	v_add3_u32 v3, v29, v3, s15
                                        ; implicit-def: $vgpr29
; %bb.536:                              ;   in Loop: Header=BB342_200 Depth=1
	s_andn2_saveexec_b64 s[0:1], s[0:1]
; %bb.537:                              ;   in Loop: Header=BB342_200 Depth=1
	v_or_b32_e32 v3, 0x10000, v29
	v_cmp_eq_u32_sdwa vcc, v29, v15 src0_sel:WORD_0 src1_sel:DWORD
	s_nop 1
	v_cndmask_b32_e32 v3, v3, v29, vcc
; %bb.538:                              ;   in Loop: Header=BB342_200 Depth=1
	s_or_b64 exec, exec, s[0:1]
	v_lshlrev_b32_e32 v29, 16, v70
	v_mul_f32_e32 v30, v39, v29
	v_and_b32_e32 v29, 0x7f800000, v30
	v_cmp_ne_u32_e32 vcc, s14, v29
                                        ; implicit-def: $vgpr29
	s_and_saveexec_b64 s[0:1], vcc
	s_xor_b64 s[0:1], exec, s[0:1]
; %bb.539:                              ;   in Loop: Header=BB342_200 Depth=1
	v_bfe_u32 v29, v30, 16, 1
	v_add3_u32 v29, v30, v29, s15
                                        ; implicit-def: $vgpr30
; %bb.540:                              ;   in Loop: Header=BB342_200 Depth=1
	s_andn2_saveexec_b64 s[0:1], s[0:1]
; %bb.541:                              ;   in Loop: Header=BB342_200 Depth=1
	v_or_b32_e32 v29, 0x10000, v30
	v_cmp_eq_u32_sdwa vcc, v30, v15 src0_sel:WORD_0 src1_sel:DWORD
	s_nop 1
	v_cndmask_b32_e32 v29, v29, v30, vcc
; %bb.542:                              ;   in Loop: Header=BB342_200 Depth=1
	s_or_b64 exec, exec, s[0:1]
	v_lshlrev_b32_e32 v30, 16, v72
	v_mul_f32_e32 v31, v40, v30
	v_and_b32_e32 v30, 0x7f800000, v31
	v_cmp_ne_u32_e32 vcc, s14, v30
                                        ; implicit-def: $vgpr30
	s_and_saveexec_b64 s[0:1], vcc
	s_xor_b64 s[0:1], exec, s[0:1]
; %bb.543:                              ;   in Loop: Header=BB342_200 Depth=1
	v_bfe_u32 v30, v31, 16, 1
	v_add3_u32 v30, v31, v30, s15
                                        ; implicit-def: $vgpr31
; %bb.544:                              ;   in Loop: Header=BB342_200 Depth=1
	s_andn2_saveexec_b64 s[0:1], s[0:1]
; %bb.545:                              ;   in Loop: Header=BB342_200 Depth=1
	v_or_b32_e32 v30, 0x10000, v31
	v_cmp_eq_u32_sdwa vcc, v31, v15 src0_sel:WORD_0 src1_sel:DWORD
	s_nop 1
	v_cndmask_b32_e32 v30, v30, v31, vcc
; %bb.546:                              ;   in Loop: Header=BB342_200 Depth=1
	s_or_b64 exec, exec, s[0:1]
	v_lshlrev_b32_e32 v31, 16, v71
	v_mul_f32_e32 v32, v41, v31
	v_and_b32_e32 v31, 0x7f800000, v32
	v_cmp_ne_u32_e32 vcc, s14, v31
                                        ; implicit-def: $vgpr31
	s_and_saveexec_b64 s[0:1], vcc
	s_xor_b64 s[0:1], exec, s[0:1]
; %bb.547:                              ;   in Loop: Header=BB342_200 Depth=1
	v_bfe_u32 v31, v32, 16, 1
	v_add3_u32 v31, v32, v31, s15
                                        ; implicit-def: $vgpr32
; %bb.548:                              ;   in Loop: Header=BB342_200 Depth=1
	s_andn2_saveexec_b64 s[0:1], s[0:1]
; %bb.549:                              ;   in Loop: Header=BB342_200 Depth=1
	v_or_b32_e32 v31, 0x10000, v32
	v_cmp_eq_u32_sdwa vcc, v32, v15 src0_sel:WORD_0 src1_sel:DWORD
	s_nop 1
	v_cndmask_b32_e32 v31, v31, v32, vcc
; %bb.550:                              ;   in Loop: Header=BB342_200 Depth=1
	s_or_b64 exec, exec, s[0:1]
	v_lshlrev_b32_e32 v32, 16, v69
	v_mul_f32_e32 v33, v42, v32
	v_and_b32_e32 v32, 0x7f800000, v33
	v_cmp_ne_u32_e32 vcc, s14, v32
                                        ; implicit-def: $vgpr32
	s_and_saveexec_b64 s[0:1], vcc
	s_xor_b64 s[0:1], exec, s[0:1]
; %bb.551:                              ;   in Loop: Header=BB342_200 Depth=1
	v_bfe_u32 v32, v33, 16, 1
	v_add3_u32 v32, v33, v32, s15
                                        ; implicit-def: $vgpr33
; %bb.552:                              ;   in Loop: Header=BB342_200 Depth=1
	s_andn2_saveexec_b64 s[0:1], s[0:1]
; %bb.553:                              ;   in Loop: Header=BB342_200 Depth=1
	v_or_b32_e32 v32, 0x10000, v33
	v_cmp_eq_u32_sdwa vcc, v33, v15 src0_sel:WORD_0 src1_sel:DWORD
	s_nop 1
	v_cndmask_b32_e32 v32, v32, v33, vcc
; %bb.554:                              ;   in Loop: Header=BB342_200 Depth=1
	s_or_b64 exec, exec, s[0:1]
	v_lshlrev_b32_e32 v33, 16, v68
	v_mul_f32_e32 v34, v43, v33
	v_and_b32_e32 v33, 0x7f800000, v34
	v_cmp_ne_u32_e32 vcc, s14, v33
                                        ; implicit-def: $vgpr33
	s_and_saveexec_b64 s[0:1], vcc
	s_xor_b64 s[0:1], exec, s[0:1]
; %bb.555:                              ;   in Loop: Header=BB342_200 Depth=1
	v_bfe_u32 v33, v34, 16, 1
	v_add3_u32 v33, v34, v33, s15
                                        ; implicit-def: $vgpr34
; %bb.556:                              ;   in Loop: Header=BB342_200 Depth=1
	s_andn2_saveexec_b64 s[0:1], s[0:1]
; %bb.557:                              ;   in Loop: Header=BB342_200 Depth=1
	v_or_b32_e32 v33, 0x10000, v34
	v_cmp_eq_u32_sdwa vcc, v34, v15 src0_sel:WORD_0 src1_sel:DWORD
	s_nop 1
	v_cndmask_b32_e32 v33, v33, v34, vcc
; %bb.558:                              ;   in Loop: Header=BB342_200 Depth=1
	s_or_b64 exec, exec, s[0:1]
	v_lshlrev_b32_e32 v34, 16, v67
	v_mul_f32_e32 v35, v44, v34
	v_and_b32_e32 v34, 0x7f800000, v35
	v_cmp_ne_u32_e32 vcc, s14, v34
                                        ; implicit-def: $vgpr34
	s_and_saveexec_b64 s[0:1], vcc
	s_xor_b64 s[0:1], exec, s[0:1]
; %bb.559:                              ;   in Loop: Header=BB342_200 Depth=1
	v_bfe_u32 v34, v35, 16, 1
	v_add3_u32 v34, v35, v34, s15
                                        ; implicit-def: $vgpr35
; %bb.560:                              ;   in Loop: Header=BB342_200 Depth=1
	s_andn2_saveexec_b64 s[0:1], s[0:1]
	s_cbranch_execz .LBB342_199
; %bb.561:                              ;   in Loop: Header=BB342_200 Depth=1
	v_or_b32_e32 v34, 0x10000, v35
	v_cmp_eq_u32_sdwa vcc, v35, v15 src0_sel:WORD_0 src1_sel:DWORD
	s_nop 1
	v_cndmask_b32_e32 v34, v34, v35, vcc
	s_branch .LBB342_199
.LBB342_562:
	s_or_b64 exec, exec, s[6:7]
.LBB342_563:
	s_or_b64 exec, exec, s[2:3]
	ds_bpermute_b32 v2, v21, v12
	ds_bpermute_b32 v3, v21, v13
	;; [unrolled: 1-line block ×5, first 2 shown]
	s_waitcnt lgkmcnt(0)
	v_pk_add_f32 v[2:3], v[12:13], v[2:3]
	ds_bpermute_b32 v6, v22, v2
	v_pk_add_f32 v[4:5], v[10:11], v[4:5]
	v_add_f32_e32 v1, v14, v1
	ds_bpermute_b32 v7, v22, v3
	ds_bpermute_b32 v8, v22, v4
	ds_bpermute_b32 v9, v22, v5
	ds_bpermute_b32 v10, v22, v1
	s_barrier
	s_waitcnt lgkmcnt(3)
	v_pk_add_f32 v[6:7], v[2:3], v[6:7]
	s_waitcnt lgkmcnt(0)
	v_pk_add_f32 v[2:3], v[4:5], v[8:9]
	v_add_f32_e32 v4, v1, v10
	v_and_b32_e32 v1, 0x3c3, v0
	v_cmp_eq_u32_e32 vcc, 64, v1
	s_and_saveexec_b64 s[0:1], vcc
	s_cbranch_execz .LBB342_565
; %bb.564:
	v_add_u32_e32 v1, 0xb0, v20
	ds_write2_b32 v1, v6, v7 offset1:16
	ds_write2_b32 v1, v2, v3 offset0:32 offset1:48
	ds_write_b32 v1, v4 offset:256
.LBB342_565:
	s_or_b64 exec, exec, s[0:1]
	v_cmp_gt_u32_e32 vcc, 64, v0
	s_waitcnt lgkmcnt(0)
	s_barrier
	s_and_saveexec_b64 s[2:3], vcc
	s_cbranch_execz .LBB342_573
; %bb.566:
	v_cmp_eq_u32_e64 s[0:1], 0, v23
	v_lshrrev_b32_e32 v1, 2, v0
	s_and_saveexec_b64 s[6:7], s[0:1]
	s_cbranch_execnz .LBB342_597
; %bb.567:
	s_or_b64 exec, exec, s[6:7]
	s_and_saveexec_b64 s[6:7], s[0:1]
	s_cbranch_execnz .LBB342_598
.LBB342_568:
	s_or_b64 exec, exec, s[6:7]
	s_and_saveexec_b64 s[6:7], s[0:1]
	s_cbranch_execnz .LBB342_599
.LBB342_569:
	s_or_b64 exec, exec, s[6:7]
	s_and_saveexec_b64 s[6:7], s[0:1]
	s_cbranch_execnz .LBB342_600
.LBB342_570:
	s_or_b64 exec, exec, s[6:7]
	s_and_saveexec_b64 s[6:7], s[0:1]
	s_cbranch_execz .LBB342_572
.LBB342_571:
	v_mov_b32_e32 v5, 0xb0
	v_lshl_add_u32 v1, v1, 2, v5
	ds_read_b32 v1, v1 offset:256
	s_waitcnt lgkmcnt(0)
	v_add_f32_e32 v4, v4, v1
.LBB342_572:
	s_or_b64 exec, exec, s[6:7]
.LBB342_573:
	s_or_b64 exec, exec, s[2:3]
	s_barrier
	s_and_saveexec_b64 s[0:1], vcc
	s_cbranch_execz .LBB342_596
; %bb.574:
	v_cmp_eq_u32_e32 vcc, 0, v23
	s_and_b64 exec, exec, vcc
	s_cbranch_execz .LBB342_596
; %bb.575:
	s_mov_b32 s0, 0x7f800000
	v_and_b32_e32 v1, 0x7f800000, v6
	v_cmp_ne_u32_e32 vcc, s0, v1
                                        ; implicit-def: $vgpr5
	s_and_saveexec_b64 s[0:1], vcc
	s_xor_b64 s[0:1], exec, s[0:1]
; %bb.576:
	v_bfe_u32 v1, v6, 16, 1
	s_movk_i32 s2, 0x7fff
	v_add3_u32 v5, v6, v1, s2
; %bb.577:
	s_andn2_saveexec_b64 s[0:1], s[0:1]
; %bb.578:
	v_mov_b32_e32 v1, 0
	v_or_b32_e32 v5, 0x10000, v6
	v_cmp_eq_u32_sdwa vcc, v6, v1 src0_sel:WORD_0 src1_sel:DWORD
	s_nop 1
	v_cndmask_b32_e32 v5, v5, v6, vcc
; %bb.579:
	s_or_b64 exec, exec, s[0:1]
	s_mul_i32 s0, s16, s12
	s_mul_i32 s0, s0, s5
	s_mulk_i32 s0, 0x50
	s_ashr_i32 s1, s0, 31
	s_lshl_b64 s[0:1], s[0:1], 1
	s_add_u32 s2, s20, s0
	s_mul_i32 s0, s12, s18
	s_addc_u32 s3, s21, s1
	s_ashr_i32 s1, s0, 31
	s_lshl_b64 s[0:1], s[0:1], 1
	s_add_u32 s2, s2, s0
	s_mul_i32 s0, s4, 0x50
	s_addc_u32 s3, s3, s1
	s_ashr_i32 s1, s0, 31
	s_lshl_b64 s[0:1], s[0:1], 1
	s_add_u32 s0, s2, s0
	v_lshrrev_b32_e32 v0, 1, v0
	s_addc_u32 s1, s3, s1
	v_and_b32_e32 v0, 0x1fe, v0
	global_store_short_d16_hi v0, v5, s[0:1]
	s_mov_b32 s2, 0x7f800000
	v_and_b32_e32 v5, 0x7f800000, v7
	v_mov_b32_e32 v1, 0
	v_cmp_ne_u32_e32 vcc, s2, v5
                                        ; implicit-def: $vgpr5
	s_and_saveexec_b64 s[2:3], vcc
	s_xor_b64 s[2:3], exec, s[2:3]
; %bb.580:
	v_bfe_u32 v5, v7, 16, 1
	s_movk_i32 s4, 0x7fff
	v_add3_u32 v5, v7, v5, s4
; %bb.581:
	s_or_saveexec_b64 s[2:3], s[2:3]
	v_lshl_add_u64 v[8:9], s[0:1], 0, v[0:1]
	s_xor_b64 exec, exec, s[2:3]
; %bb.582:
	v_mov_b32_e32 v0, 0
	v_or_b32_e32 v1, 0x10000, v7
	v_cmp_eq_u32_sdwa vcc, v7, v0 src0_sel:WORD_0 src1_sel:DWORD
	s_nop 1
	v_cndmask_b32_e32 v5, v1, v7, vcc
; %bb.583:
	s_or_b64 exec, exec, s[2:3]
	s_mov_b32 s0, 0x7f800000
	v_and_b32_e32 v0, 0x7f800000, v2
	v_cmp_ne_u32_e32 vcc, s0, v0
	global_store_short_d16_hi v[8:9], v5, off offset:32
                                        ; implicit-def: $vgpr0
	s_and_saveexec_b64 s[0:1], vcc
	s_xor_b64 s[0:1], exec, s[0:1]
; %bb.584:
	v_bfe_u32 v0, v2, 16, 1
	s_movk_i32 s2, 0x7fff
	v_add3_u32 v0, v2, v0, s2
; %bb.585:
	s_andn2_saveexec_b64 s[0:1], s[0:1]
; %bb.586:
	v_mov_b32_e32 v0, 0
	v_or_b32_e32 v1, 0x10000, v2
	v_cmp_eq_u32_sdwa vcc, v2, v0 src0_sel:WORD_0 src1_sel:DWORD
	s_nop 1
	v_cndmask_b32_e32 v0, v1, v2, vcc
; %bb.587:
	s_or_b64 exec, exec, s[0:1]
	global_store_short_d16_hi v[8:9], v0, off offset:64
	s_mov_b32 s0, 0x7f800000
	v_and_b32_e32 v0, 0x7f800000, v3
	v_cmp_ne_u32_e32 vcc, s0, v0
                                        ; implicit-def: $vgpr0
	s_and_saveexec_b64 s[0:1], vcc
	s_xor_b64 s[0:1], exec, s[0:1]
; %bb.588:
	v_bfe_u32 v0, v3, 16, 1
	s_movk_i32 s2, 0x7fff
	v_add3_u32 v0, v3, v0, s2
; %bb.589:
	s_andn2_saveexec_b64 s[0:1], s[0:1]
; %bb.590:
	v_mov_b32_e32 v0, 0
	v_or_b32_e32 v1, 0x10000, v3
	v_cmp_eq_u32_sdwa vcc, v3, v0 src0_sel:WORD_0 src1_sel:DWORD
	s_nop 1
	v_cndmask_b32_e32 v0, v1, v3, vcc
; %bb.591:
	s_or_b64 exec, exec, s[0:1]
	global_store_short_d16_hi v[8:9], v0, off offset:96
	s_mov_b32 s0, 0x7f800000
	v_and_b32_e32 v0, 0x7f800000, v4
	v_cmp_ne_u32_e32 vcc, s0, v0
                                        ; implicit-def: $vgpr5
	s_and_saveexec_b64 s[0:1], vcc
	s_xor_b64 s[0:1], exec, s[0:1]
; %bb.592:
	v_bfe_u32 v0, v4, 16, 1
	s_movk_i32 s2, 0x7fff
	v_add3_u32 v5, v4, v0, s2
                                        ; implicit-def: $vgpr0_vgpr1_vgpr2_vgpr3_vgpr4
; %bb.593:
	s_andn2_saveexec_b64 s[0:1], s[0:1]
; %bb.594:
	v_mov_b32_e32 v0, 0
	v_or_b32_e32 v1, 0x10000, v4
	v_cmp_eq_u32_sdwa vcc, v4, v0 src0_sel:WORD_0 src1_sel:DWORD
	s_nop 1
	v_cndmask_b32_e32 v5, v1, v4, vcc
; %bb.595:
	s_or_b64 exec, exec, s[0:1]
	global_store_short_d16_hi v[8:9], v5, off offset:128
.LBB342_596:
	s_endpgm
.LBB342_597:
	v_mov_b32_e32 v5, 0xb0
	v_lshl_add_u32 v5, v1, 2, v5
	ds_read_b32 v5, v5
	s_waitcnt lgkmcnt(0)
	v_add_f32_e32 v6, v6, v5
	s_or_b64 exec, exec, s[6:7]
	s_and_saveexec_b64 s[6:7], s[0:1]
	s_cbranch_execz .LBB342_568
.LBB342_598:
	v_mov_b32_e32 v5, 0xb0
	v_lshl_add_u32 v5, v1, 2, v5
	ds_read_b32 v5, v5 offset:64
	s_waitcnt lgkmcnt(0)
	v_add_f32_e32 v7, v7, v5
	s_or_b64 exec, exec, s[6:7]
	s_and_saveexec_b64 s[6:7], s[0:1]
	s_cbranch_execz .LBB342_569
.LBB342_599:
	v_mov_b32_e32 v5, 0xb0
	v_lshl_add_u32 v5, v1, 2, v5
	ds_read_b32 v5, v5 offset:128
	s_waitcnt lgkmcnt(0)
	v_add_f32_e32 v2, v2, v5
	s_or_b64 exec, exec, s[6:7]
	s_and_saveexec_b64 s[6:7], s[0:1]
	s_cbranch_execz .LBB342_570
.LBB342_600:
	v_mov_b32_e32 v5, 0xb0
	v_lshl_add_u32 v5, v1, 2, v5
	ds_read_b32 v5, v5 offset:192
	s_waitcnt lgkmcnt(0)
	v_add_f32_e32 v3, v3, v5
	s_or_b64 exec, exec, s[6:7]
	s_and_saveexec_b64 s[6:7], s[0:1]
	s_cbranch_execnz .LBB342_571
	s_branch .LBB342_572
	.section	.rodata,"a",@progbits
	.p2align	6, 0x0
	.amdhsa_kernel _ZN4vllm25paged_attention_v1_kernelI14__hip_bfloat16hLi80ELi32ELi128ELNS_18Fp8KVCacheDataTypeE1ELb0EEEvPT_PKS3_PKT0_S9_ifPKiSB_iPKfiiiSD_SD_iiiii
		.amdhsa_group_segment_fixed_size 176
		.amdhsa_private_segment_fixed_size 0
		.amdhsa_kernarg_size 384
		.amdhsa_user_sgpr_count 2
		.amdhsa_user_sgpr_dispatch_ptr 0
		.amdhsa_user_sgpr_queue_ptr 0
		.amdhsa_user_sgpr_kernarg_segment_ptr 1
		.amdhsa_user_sgpr_dispatch_id 0
		.amdhsa_user_sgpr_kernarg_preload_length 0
		.amdhsa_user_sgpr_kernarg_preload_offset 0
		.amdhsa_user_sgpr_private_segment_size 0
		.amdhsa_uses_dynamic_stack 0
		.amdhsa_enable_private_segment 0
		.amdhsa_system_sgpr_workgroup_id_x 1
		.amdhsa_system_sgpr_workgroup_id_y 1
		.amdhsa_system_sgpr_workgroup_id_z 1
		.amdhsa_system_sgpr_workgroup_info 0
		.amdhsa_system_vgpr_workitem_id 0
		.amdhsa_next_free_vgpr 98
		.amdhsa_next_free_sgpr 39
		.amdhsa_accum_offset 100
		.amdhsa_reserve_vcc 1
		.amdhsa_float_round_mode_32 0
		.amdhsa_float_round_mode_16_64 0
		.amdhsa_float_denorm_mode_32 3
		.amdhsa_float_denorm_mode_16_64 3
		.amdhsa_dx10_clamp 1
		.amdhsa_ieee_mode 1
		.amdhsa_fp16_overflow 0
		.amdhsa_tg_split 0
		.amdhsa_exception_fp_ieee_invalid_op 0
		.amdhsa_exception_fp_denorm_src 0
		.amdhsa_exception_fp_ieee_div_zero 0
		.amdhsa_exception_fp_ieee_overflow 0
		.amdhsa_exception_fp_ieee_underflow 0
		.amdhsa_exception_fp_ieee_inexact 0
		.amdhsa_exception_int_div_zero 0
	.end_amdhsa_kernel
	.section	.text._ZN4vllm25paged_attention_v1_kernelI14__hip_bfloat16hLi80ELi32ELi128ELNS_18Fp8KVCacheDataTypeE1ELb0EEEvPT_PKS3_PKT0_S9_ifPKiSB_iPKfiiiSD_SD_iiiii,"axG",@progbits,_ZN4vllm25paged_attention_v1_kernelI14__hip_bfloat16hLi80ELi32ELi128ELNS_18Fp8KVCacheDataTypeE1ELb0EEEvPT_PKS3_PKT0_S9_ifPKiSB_iPKfiiiSD_SD_iiiii,comdat
.Lfunc_end342:
	.size	_ZN4vllm25paged_attention_v1_kernelI14__hip_bfloat16hLi80ELi32ELi128ELNS_18Fp8KVCacheDataTypeE1ELb0EEEvPT_PKS3_PKT0_S9_ifPKiSB_iPKfiiiSD_SD_iiiii, .Lfunc_end342-_ZN4vllm25paged_attention_v1_kernelI14__hip_bfloat16hLi80ELi32ELi128ELNS_18Fp8KVCacheDataTypeE1ELb0EEEvPT_PKS3_PKT0_S9_ifPKiSB_iPKfiiiSD_SD_iiiii
                                        ; -- End function
	.section	.AMDGPU.csdata,"",@progbits
; Kernel info:
; codeLenInByte = 17908
; NumSgprs: 45
; NumVgprs: 98
; NumAgprs: 0
; TotalNumVgprs: 98
; ScratchSize: 0
; MemoryBound: 0
; FloatMode: 240
; IeeeMode: 1
; LDSByteSize: 176 bytes/workgroup (compile time only)
; SGPRBlocks: 5
; VGPRBlocks: 12
; NumSGPRsForWavesPerEU: 45
; NumVGPRsForWavesPerEU: 98
; AccumOffset: 100
; Occupancy: 4
; WaveLimiterHint : 1
; COMPUTE_PGM_RSRC2:SCRATCH_EN: 0
; COMPUTE_PGM_RSRC2:USER_SGPR: 2
; COMPUTE_PGM_RSRC2:TRAP_HANDLER: 0
; COMPUTE_PGM_RSRC2:TGID_X_EN: 1
; COMPUTE_PGM_RSRC2:TGID_Y_EN: 1
; COMPUTE_PGM_RSRC2:TGID_Z_EN: 1
; COMPUTE_PGM_RSRC2:TIDIG_COMP_CNT: 0
; COMPUTE_PGM_RSRC3_GFX90A:ACCUM_OFFSET: 24
; COMPUTE_PGM_RSRC3_GFX90A:TG_SPLIT: 0
	.section	.text._ZN4vllm25paged_attention_v1_kernelI14__hip_bfloat16hLi96ELi32ELi128ELNS_18Fp8KVCacheDataTypeE1ELb0EEEvPT_PKS3_PKT0_S9_ifPKiSB_iPKfiiiSD_SD_iiiii,"axG",@progbits,_ZN4vllm25paged_attention_v1_kernelI14__hip_bfloat16hLi96ELi32ELi128ELNS_18Fp8KVCacheDataTypeE1ELb0EEEvPT_PKS3_PKT0_S9_ifPKiSB_iPKfiiiSD_SD_iiiii,comdat
	.protected	_ZN4vllm25paged_attention_v1_kernelI14__hip_bfloat16hLi96ELi32ELi128ELNS_18Fp8KVCacheDataTypeE1ELb0EEEvPT_PKS3_PKT0_S9_ifPKiSB_iPKfiiiSD_SD_iiiii ; -- Begin function _ZN4vllm25paged_attention_v1_kernelI14__hip_bfloat16hLi96ELi32ELi128ELNS_18Fp8KVCacheDataTypeE1ELb0EEEvPT_PKS3_PKT0_S9_ifPKiSB_iPKfiiiSD_SD_iiiii
	.globl	_ZN4vllm25paged_attention_v1_kernelI14__hip_bfloat16hLi96ELi32ELi128ELNS_18Fp8KVCacheDataTypeE1ELb0EEEvPT_PKS3_PKT0_S9_ifPKiSB_iPKfiiiSD_SD_iiiii
	.p2align	8
	.type	_ZN4vllm25paged_attention_v1_kernelI14__hip_bfloat16hLi96ELi32ELi128ELNS_18Fp8KVCacheDataTypeE1ELb0EEEvPT_PKS3_PKT0_S9_ifPKiSB_iPKfiiiSD_SD_iiiii,@function
_ZN4vllm25paged_attention_v1_kernelI14__hip_bfloat16hLi96ELi32ELi128ELNS_18Fp8KVCacheDataTypeE1ELb0EEEvPT_PKS3_PKT0_S9_ifPKiSB_iPKfiiiSD_SD_iiiii: ; @_ZN4vllm25paged_attention_v1_kernelI14__hip_bfloat16hLi96ELi32ELi128ELNS_18Fp8KVCacheDataTypeE1ELb0EEEvPT_PKS3_PKT0_S9_ifPKiSB_iPKfiiiSD_SD_iiiii
; %bb.0:
	s_load_dword s5, s[0:1], 0x80
	s_load_dwordx2 s[6:7], s[0:1], 0x30
	s_load_dwordx2 s[28:29], s[0:1], 0x20
	s_mov_b32 s16, s3
	s_ashr_i32 s17, s3, 31
	s_lshl_b64 s[8:9], s[16:17], 2
	s_waitcnt lgkmcnt(0)
	s_add_u32 s6, s6, s8
	s_addc_u32 s7, s7, s9
	s_abs_i32 s3, s28
	v_cvt_f32_u32_e32 v1, s3
	s_sub_i32 s10, 0, s3
	s_abs_i32 s9, s5
	s_xor_b32 s8, s5, s28
	v_rcp_iflag_f32_e32 v1, v1
	s_ashr_i32 s8, s8, 31
	s_mov_b32 s28, 0
	v_mul_f32_e32 v1, 0x4f7ffffe, v1
	v_cvt_u32_f32_e32 v1, v1
	s_nop 0
	v_readfirstlane_b32 s11, v1
	s_mul_i32 s10, s10, s11
	s_mul_hi_u32 s10, s11, s10
	s_add_i32 s11, s11, s10
	s_mul_hi_u32 s10, s9, s11
	s_mul_i32 s11, s10, s3
	s_sub_i32 s9, s9, s11
	s_add_i32 s11, s10, 1
	s_sub_i32 s12, s9, s3
	s_cmp_ge_u32 s9, s3
	s_cselect_b32 s10, s11, s10
	s_cselect_b32 s9, s12, s9
	s_add_i32 s11, s10, 1
	s_cmp_ge_u32 s9, s3
	s_cselect_b32 s3, s11, s10
	s_xor_b32 s3, s3, s8
	s_sub_i32 s12, s3, s8
	s_abs_i32 s10, s12
	v_cvt_f32_u32_e32 v1, s10
	s_load_dwordx2 s[8:9], s[0:1], 0x40
	s_sub_i32 s3, 0, s10
	s_abs_i32 s11, s2
	v_rcp_iflag_f32_e32 v1, v1
	s_nop 0
	v_mul_f32_e32 v1, 0x4f7ffffe, v1
	v_cvt_u32_f32_e32 v1, v1
	s_nop 0
	v_readfirstlane_b32 s13, v1
	s_mul_i32 s3, s3, s13
	s_mul_hi_u32 s3, s13, s3
	s_add_i32 s13, s13, s3
	s_waitcnt lgkmcnt(0)
	s_cmp_eq_u64 s[8:9], 0
	s_mul_hi_u32 s20, s11, s13
	s_cbranch_scc1 .LBB343_2
; %bb.1:
	s_ashr_i32 s3, s2, 31
	s_lshl_b64 s[14:15], s[2:3], 2
	s_add_u32 s8, s8, s14
	s_addc_u32 s9, s9, s15
	s_load_dword s28, s[8:9], 0x0
.LBB343_2:
	s_load_dword s17, s[6:7], 0x0
	s_ashr_i32 s7, s12, 31
	s_load_dwordx4 s[12:15], s[0:1], 0x48
	s_ashr_i32 s6, s2, 31
	v_and_b32_e32 v6, 1, v0
	s_movk_i32 s8, 0x60
	s_mul_i32 s18, s2, 0x60
	v_cmp_gt_u32_e32 vcc, 24, v0
	v_lshlrev_b32_e32 v16, 3, v0
	s_and_saveexec_b64 s[2:3], vcc
	s_cbranch_execz .LBB343_4
; %bb.3:
	s_load_dwordx2 s[22:23], s[0:1], 0x8
	s_waitcnt lgkmcnt(0)
	s_mul_i32 s24, s16, s12
	s_ashr_i32 s25, s24, 31
	s_lshl_b64 s[24:25], s[24:25], 1
	v_lshlrev_b32_e32 v1, 2, v0
	s_add_u32 s9, s22, s24
	s_addc_u32 s12, s23, s25
	s_ashr_i32 s19, s18, 31
	s_lshl_b64 s[22:23], s[18:19], 1
	s_add_u32 s22, s9, s22
	s_addc_u32 s23, s12, s23
	global_load_dwordx2 v[2:3], v16, s[22:23]
	v_and_b32_e32 v1, 0xff8, v1
	v_mad_u32_u24 v1, v6, s8, v1
	s_waitcnt vmcnt(0)
	ds_write_b64 v1, v[2:3]
.LBB343_4:
	s_or_b64 exec, exec, s[2:3]
	s_waitcnt lgkmcnt(0)
	s_add_i32 s3, s17, 31
	s_ashr_i32 s8, s3, 31
	s_lshr_b32 s8, s8, 27
	s_add_i32 s3, s3, s8
	s_ashr_i32 s19, s3, 5
	s_xor_b32 s3, s6, s7
	s_mul_i32 s6, s20, s10
	s_sub_i32 s6, s11, s6
	s_add_i32 s7, s20, 1
	s_sub_i32 s8, s6, s10
	s_load_dwordx2 s[22:23], s[0:1], 0x28
	s_load_dword s2, s[0:1], 0x38
	s_cmp_ge_u32 s6, s10
	s_cselect_b32 s7, s7, s20
	s_cselect_b32 s6, s8, s6
	s_add_i32 s8, s7, 1
	s_cmp_ge_u32 s6, s10
	s_cselect_b32 s6, s8, s7
	v_lshrrev_b32_e32 v1, 6, v0
	s_xor_b32 s6, s6, s3
	s_waitcnt lgkmcnt(0)
	s_mul_i32 s24, s16, s2
	s_sub_i32 s33, s6, s3
	s_ashr_i32 s25, s24, 31
	v_cmp_gt_i32_e64 s[6:7], s19, v1
	v_cmp_le_i32_e32 vcc, s19, v1
	v_mbcnt_lo_u32_b32 v7, -1, 0
	s_barrier
	s_waitcnt lgkmcnt(0)
                                        ; implicit-def: $sgpr15
                                        ; implicit-def: $vgpr10
                                        ; implicit-def: $vgpr11
	s_and_saveexec_b64 s[2:3], vcc
	s_xor_b64 s[2:3], exec, s[2:3]
; %bb.5:
	v_mbcnt_hi_u32_b32 v10, -1, v7
	v_and_b32_e32 v2, 64, v10
	v_add_u32_e32 v11, 64, v2
	s_mov_b32 s15, 0xff7fffff
                                        ; implicit-def: $vgpr6
                                        ; implicit-def: $vgpr7
; %bb.6:
	s_or_saveexec_b64 s[30:31], s[2:3]
	s_load_dwordx2 s[20:21], s[0:1], 0x0
	s_load_dwordx2 s[26:27], s[0:1], 0x18
	s_load_dword s12, s[0:1], 0x88
	s_load_dwordx4 s[8:11], s[0:1], 0x58
	v_mov_b32_e32 v62, s15
	s_mul_i32 s33, s33, s14
	v_lshrrev_b32_e32 v20, 4, v0
	s_xor_b64 exec, exec, s[30:31]
	s_cbranch_execz .LBB343_204
; %bb.7:
	v_mul_u32_u24_e32 v4, 0x60, v6
	ds_read_b128 v[8:11], v4
	ds_read_b128 v[26:29], v4 offset:16
	ds_read_b128 v[34:37], v4 offset:32
	ds_read_b128 v[42:45], v4 offset:48
	s_load_dwordx2 s[0:1], s[0:1], 0x10
	s_ashr_i32 s2, s33, 31
	v_bfe_u32 v62, v0, 1, 5
	s_waitcnt lgkmcnt(0)
	v_lshlrev_b32_e32 v12, 16, v8
	v_and_b32_e32 v13, 0xffff0000, v8
	v_lshlrev_b32_e32 v14, 16, v9
	v_and_b32_e32 v15, 0xffff0000, v9
	;; [unrolled: 2-line block ×4, first 2 shown]
	ds_read_b128 v[8:11], v4 offset:64
	ds_read_b128 v[58:61], v4 offset:80
	s_add_u32 s0, s0, s33
	v_lshlrev_b32_e32 v2, 4, v62
	s_addc_u32 s1, s1, s2
	s_waitcnt lgkmcnt(1)
	v_lshlrev_b32_e32 v50, 16, v10
	v_and_b32_e32 v51, 0xffff0000, v10
	v_mbcnt_hi_u32_b32 v10, -1, v7
	v_lshlrev_b32_e32 v46, 16, v8
	v_and_b32_e32 v47, 0xffff0000, v8
	v_and_b32_e32 v8, 64, v10
	v_lshlrev_b32_e32 v52, 16, v11
	v_and_b32_e32 v53, 0xffff0000, v11
	v_xor_b32_e32 v7, 1, v10
	v_add_u32_e32 v11, 64, v8
	v_mov_b32_e32 v3, 0
	v_cmp_lt_i32_e32 vcc, v7, v11
	s_load_dword s35, s[8:9], 0x0
	v_lshl_add_u64 v[4:5], s[0:1], 0, v[2:3]
	v_lshlrev_b32_e32 v2, 2, v6
	v_cndmask_b32_e32 v7, v10, v7, vcc
	v_cmp_eq_u32_e32 vcc, 0, v6
	s_sub_i32 s36, 1, s17
	v_lshlrev_b32_e32 v6, 2, v62
	s_lshl_b64 s[0:1], s[24:25], 2
	v_lshl_or_b32 v6, v1, 7, v6
	s_add_u32 s0, s22, s0
	v_lshlrev_b32_e32 v63, 2, v7
	v_add_u32_e32 v65, 0xd0, v6
	v_and_b32_e32 v6, 60, v20
	v_mov_b32_e32 v7, v3
	s_addc_u32 s1, s23, s1
	s_mov_b32 s34, s13
	v_lshlrev_b32_e32 v22, 16, v26
	v_and_b32_e32 v23, 0xffff0000, v26
	v_lshlrev_b32_e32 v24, 16, v27
	v_and_b32_e32 v25, 0xffff0000, v27
	;; [unrolled: 2-line block ×13, first 2 shown]
	s_waitcnt lgkmcnt(0)
	v_lshlrev_b32_e32 v54, 16, v58
	v_and_b32_e32 v55, 0xffff0000, v58
	v_lshlrev_b32_e32 v56, 16, v59
	v_and_b32_e32 v57, 0xffff0000, v59
	;; [unrolled: 2-line block ×4, first 2 shown]
	v_cmp_neq_f32_e64 s[2:3], s28, 0
	v_lshl_or_b32 v64, v1, 5, v62
	v_lshl_add_u64 v[6:7], s[0:1], 0, v[6:7]
	s_mov_b64 s[8:9], 0
	s_mov_b32 s37, 0x7f800000
	s_movk_i32 s38, 0x7fff
	v_mov_b32_e32 v62, 0xff7fffff
	v_mov_b32_e32 v66, v1
	s_branch .LBB343_9
.LBB343_8:                              ;   in Loop: Header=BB343_9 Depth=1
	s_or_b64 exec, exec, s[14:15]
	v_add_u32_e32 v66, 2, v66
	v_cmp_le_i32_e64 s[0:1], s19, v66
	v_add_u32_e32 v64, 64, v64
	v_add_u32_e32 v65, 0x100, v65
	s_or_b64 s[8:9], s[0:1], s[8:9]
	v_lshl_add_u64 v[6:7], v[6:7], 0, 8
	s_andn2_b64 exec, exec, s[8:9]
	s_cbranch_execz .LBB343_203
.LBB343_9:                              ; =>This Inner Loop Header: Depth=1
	global_load_dword v8, v[6:7], off
	s_waitcnt vmcnt(0) lgkmcnt(0)
	v_mad_i64_i32 v[8:9], s[0:1], v8, s34, v[4:5]
	v_lshl_add_u64 v[8:9], v[8:9], 0, v[2:3]
	global_load_dword v70, v[8:9], off
	s_waitcnt vmcnt(0)
	v_and_b32_e32 v67, 0xff, v70
	v_cvt_f32_fp8_sdwa v67, v67 src0_sel:BYTE_0
	s_nop 0
	v_mul_f32_e32 v68, s35, v67
	v_and_b32_e32 v67, 0x7f800000, v68
	v_cmp_ne_u32_e64 s[0:1], s37, v67
                                        ; implicit-def: $vgpr67
	s_and_saveexec_b64 s[14:15], s[0:1]
	s_xor_b64 s[0:1], exec, s[14:15]
; %bb.10:                               ;   in Loop: Header=BB343_9 Depth=1
	v_bfe_u32 v67, v68, 16, 1
	v_add3_u32 v67, v68, v67, s38
                                        ; implicit-def: $vgpr68
; %bb.11:                               ;   in Loop: Header=BB343_9 Depth=1
	s_andn2_saveexec_b64 s[14:15], s[0:1]
; %bb.12:                               ;   in Loop: Header=BB343_9 Depth=1
	v_or_b32_e32 v67, 0x10000, v68
	v_cmp_eq_u32_sdwa s[0:1], v68, v3 src0_sel:WORD_0 src1_sel:DWORD
	s_nop 1
	v_cndmask_b32_e64 v67, v67, v68, s[0:1]
; %bb.13:                               ;   in Loop: Header=BB343_9 Depth=1
	s_or_b64 exec, exec, s[14:15]
	v_bfe_u32 v68, v70, 8, 8
	v_cvt_f32_fp8_sdwa v68, v68 src0_sel:BYTE_0
	s_nop 0
	v_mul_f32_e32 v69, s35, v68
	v_and_b32_e32 v68, 0x7f800000, v69
	v_cmp_ne_u32_e64 s[0:1], s37, v68
                                        ; implicit-def: $vgpr68
	s_and_saveexec_b64 s[14:15], s[0:1]
	s_xor_b64 s[0:1], exec, s[14:15]
; %bb.14:                               ;   in Loop: Header=BB343_9 Depth=1
	v_bfe_u32 v68, v69, 16, 1
	v_add3_u32 v68, v69, v68, s38
                                        ; implicit-def: $vgpr69
; %bb.15:                               ;   in Loop: Header=BB343_9 Depth=1
	s_andn2_saveexec_b64 s[14:15], s[0:1]
; %bb.16:                               ;   in Loop: Header=BB343_9 Depth=1
	v_or_b32_e32 v68, 0x10000, v69
	v_cmp_eq_u32_sdwa s[0:1], v69, v3 src0_sel:WORD_0 src1_sel:DWORD
	s_nop 1
	v_cndmask_b32_e64 v68, v68, v69, s[0:1]
; %bb.17:                               ;   in Loop: Header=BB343_9 Depth=1
	s_or_b64 exec, exec, s[14:15]
	v_bfe_u32 v69, v70, 16, 8
	v_cvt_f32_fp8_sdwa v69, v69 src0_sel:BYTE_0
	s_nop 0
	v_mul_f32_e32 v71, s35, v69
	v_and_b32_e32 v69, 0x7f800000, v71
	v_cmp_ne_u32_e64 s[0:1], s37, v69
                                        ; implicit-def: $vgpr69
	s_and_saveexec_b64 s[14:15], s[0:1]
	s_xor_b64 s[0:1], exec, s[14:15]
; %bb.18:                               ;   in Loop: Header=BB343_9 Depth=1
	v_bfe_u32 v69, v71, 16, 1
	v_add3_u32 v69, v71, v69, s38
                                        ; implicit-def: $vgpr71
; %bb.19:                               ;   in Loop: Header=BB343_9 Depth=1
	s_andn2_saveexec_b64 s[14:15], s[0:1]
; %bb.20:                               ;   in Loop: Header=BB343_9 Depth=1
	v_or_b32_e32 v69, 0x10000, v71
	v_cmp_eq_u32_sdwa s[0:1], v71, v3 src0_sel:WORD_0 src1_sel:DWORD
	s_nop 1
	v_cndmask_b32_e64 v69, v69, v71, s[0:1]
; %bb.21:                               ;   in Loop: Header=BB343_9 Depth=1
	s_or_b64 exec, exec, s[14:15]
	v_lshrrev_b32_e32 v70, 24, v70
	v_cvt_f32_fp8_sdwa v70, v70 src0_sel:BYTE_0
	s_nop 0
	v_mul_f32_e32 v71, s35, v70
	v_and_b32_e32 v70, 0x7f800000, v71
	v_cmp_ne_u32_e64 s[0:1], s37, v70
                                        ; implicit-def: $vgpr70
	s_and_saveexec_b64 s[14:15], s[0:1]
	s_xor_b64 s[0:1], exec, s[14:15]
; %bb.22:                               ;   in Loop: Header=BB343_9 Depth=1
	v_bfe_u32 v70, v71, 16, 1
	v_add3_u32 v70, v71, v70, s38
                                        ; implicit-def: $vgpr71
; %bb.23:                               ;   in Loop: Header=BB343_9 Depth=1
	s_andn2_saveexec_b64 s[14:15], s[0:1]
; %bb.24:                               ;   in Loop: Header=BB343_9 Depth=1
	v_or_b32_e32 v70, 0x10000, v71
	v_cmp_eq_u32_sdwa s[0:1], v71, v3 src0_sel:WORD_0 src1_sel:DWORD
	s_nop 1
	v_cndmask_b32_e64 v70, v70, v71, s[0:1]
; %bb.25:                               ;   in Loop: Header=BB343_9 Depth=1
	s_or_b64 exec, exec, s[14:15]
	global_load_dword v74, v[8:9], off offset:8
	s_waitcnt vmcnt(0)
	v_and_b32_e32 v71, 0xff, v74
	v_cvt_f32_fp8_sdwa v71, v71 src0_sel:BYTE_0
	s_nop 0
	v_mul_f32_e32 v72, s35, v71
	v_and_b32_e32 v71, 0x7f800000, v72
	v_cmp_ne_u32_e64 s[0:1], s37, v71
                                        ; implicit-def: $vgpr71
	s_and_saveexec_b64 s[14:15], s[0:1]
	s_xor_b64 s[0:1], exec, s[14:15]
; %bb.26:                               ;   in Loop: Header=BB343_9 Depth=1
	v_bfe_u32 v71, v72, 16, 1
	v_add3_u32 v71, v72, v71, s38
                                        ; implicit-def: $vgpr72
; %bb.27:                               ;   in Loop: Header=BB343_9 Depth=1
	s_andn2_saveexec_b64 s[14:15], s[0:1]
; %bb.28:                               ;   in Loop: Header=BB343_9 Depth=1
	v_or_b32_e32 v71, 0x10000, v72
	v_cmp_eq_u32_sdwa s[0:1], v72, v3 src0_sel:WORD_0 src1_sel:DWORD
	s_nop 1
	v_cndmask_b32_e64 v71, v71, v72, s[0:1]
; %bb.29:                               ;   in Loop: Header=BB343_9 Depth=1
	s_or_b64 exec, exec, s[14:15]
	v_bfe_u32 v72, v74, 8, 8
	v_cvt_f32_fp8_sdwa v72, v72 src0_sel:BYTE_0
	s_nop 0
	v_mul_f32_e32 v73, s35, v72
	v_and_b32_e32 v72, 0x7f800000, v73
	v_cmp_ne_u32_e64 s[0:1], s37, v72
                                        ; implicit-def: $vgpr72
	s_and_saveexec_b64 s[14:15], s[0:1]
	s_xor_b64 s[0:1], exec, s[14:15]
; %bb.30:                               ;   in Loop: Header=BB343_9 Depth=1
	v_bfe_u32 v72, v73, 16, 1
	v_add3_u32 v72, v73, v72, s38
                                        ; implicit-def: $vgpr73
; %bb.31:                               ;   in Loop: Header=BB343_9 Depth=1
	s_andn2_saveexec_b64 s[14:15], s[0:1]
; %bb.32:                               ;   in Loop: Header=BB343_9 Depth=1
	v_or_b32_e32 v72, 0x10000, v73
	v_cmp_eq_u32_sdwa s[0:1], v73, v3 src0_sel:WORD_0 src1_sel:DWORD
	s_nop 1
	v_cndmask_b32_e64 v72, v72, v73, s[0:1]
; %bb.33:                               ;   in Loop: Header=BB343_9 Depth=1
	s_or_b64 exec, exec, s[14:15]
	v_bfe_u32 v73, v74, 16, 8
	v_cvt_f32_fp8_sdwa v73, v73 src0_sel:BYTE_0
	s_nop 0
	v_mul_f32_e32 v75, s35, v73
	v_and_b32_e32 v73, 0x7f800000, v75
	v_cmp_ne_u32_e64 s[0:1], s37, v73
                                        ; implicit-def: $vgpr73
	s_and_saveexec_b64 s[14:15], s[0:1]
	s_xor_b64 s[0:1], exec, s[14:15]
; %bb.34:                               ;   in Loop: Header=BB343_9 Depth=1
	v_bfe_u32 v73, v75, 16, 1
	v_add3_u32 v73, v75, v73, s38
                                        ; implicit-def: $vgpr75
; %bb.35:                               ;   in Loop: Header=BB343_9 Depth=1
	s_andn2_saveexec_b64 s[14:15], s[0:1]
; %bb.36:                               ;   in Loop: Header=BB343_9 Depth=1
	v_or_b32_e32 v73, 0x10000, v75
	v_cmp_eq_u32_sdwa s[0:1], v75, v3 src0_sel:WORD_0 src1_sel:DWORD
	s_nop 1
	v_cndmask_b32_e64 v73, v73, v75, s[0:1]
; %bb.37:                               ;   in Loop: Header=BB343_9 Depth=1
	s_or_b64 exec, exec, s[14:15]
	v_lshrrev_b32_e32 v74, 24, v74
	v_cvt_f32_fp8_sdwa v74, v74 src0_sel:BYTE_0
	s_nop 0
	v_mul_f32_e32 v75, s35, v74
	v_and_b32_e32 v74, 0x7f800000, v75
	v_cmp_ne_u32_e64 s[0:1], s37, v74
                                        ; implicit-def: $vgpr74
	s_and_saveexec_b64 s[14:15], s[0:1]
	s_xor_b64 s[0:1], exec, s[14:15]
; %bb.38:                               ;   in Loop: Header=BB343_9 Depth=1
	v_bfe_u32 v74, v75, 16, 1
	v_add3_u32 v74, v75, v74, s38
                                        ; implicit-def: $vgpr75
; %bb.39:                               ;   in Loop: Header=BB343_9 Depth=1
	s_andn2_saveexec_b64 s[14:15], s[0:1]
; %bb.40:                               ;   in Loop: Header=BB343_9 Depth=1
	v_or_b32_e32 v74, 0x10000, v75
	v_cmp_eq_u32_sdwa s[0:1], v75, v3 src0_sel:WORD_0 src1_sel:DWORD
	s_nop 1
	v_cndmask_b32_e64 v74, v74, v75, s[0:1]
; %bb.41:                               ;   in Loop: Header=BB343_9 Depth=1
	s_or_b64 exec, exec, s[14:15]
	global_load_dword v78, v[8:9], off offset:512
	s_waitcnt vmcnt(0)
	v_and_b32_e32 v75, 0xff, v78
	v_cvt_f32_fp8_sdwa v75, v75 src0_sel:BYTE_0
	s_nop 0
	v_mul_f32_e32 v76, s35, v75
	v_and_b32_e32 v75, 0x7f800000, v76
	v_cmp_ne_u32_e64 s[0:1], s37, v75
                                        ; implicit-def: $vgpr75
	s_and_saveexec_b64 s[14:15], s[0:1]
	s_xor_b64 s[0:1], exec, s[14:15]
; %bb.42:                               ;   in Loop: Header=BB343_9 Depth=1
	v_bfe_u32 v75, v76, 16, 1
	v_add3_u32 v75, v76, v75, s38
                                        ; implicit-def: $vgpr76
; %bb.43:                               ;   in Loop: Header=BB343_9 Depth=1
	s_andn2_saveexec_b64 s[14:15], s[0:1]
; %bb.44:                               ;   in Loop: Header=BB343_9 Depth=1
	v_or_b32_e32 v75, 0x10000, v76
	v_cmp_eq_u32_sdwa s[0:1], v76, v3 src0_sel:WORD_0 src1_sel:DWORD
	s_nop 1
	v_cndmask_b32_e64 v75, v75, v76, s[0:1]
; %bb.45:                               ;   in Loop: Header=BB343_9 Depth=1
	s_or_b64 exec, exec, s[14:15]
	v_bfe_u32 v76, v78, 8, 8
	v_cvt_f32_fp8_sdwa v76, v76 src0_sel:BYTE_0
	s_nop 0
	v_mul_f32_e32 v77, s35, v76
	v_and_b32_e32 v76, 0x7f800000, v77
	v_cmp_ne_u32_e64 s[0:1], s37, v76
                                        ; implicit-def: $vgpr76
	s_and_saveexec_b64 s[14:15], s[0:1]
	s_xor_b64 s[0:1], exec, s[14:15]
; %bb.46:                               ;   in Loop: Header=BB343_9 Depth=1
	v_bfe_u32 v76, v77, 16, 1
	v_add3_u32 v76, v77, v76, s38
                                        ; implicit-def: $vgpr77
; %bb.47:                               ;   in Loop: Header=BB343_9 Depth=1
	s_andn2_saveexec_b64 s[14:15], s[0:1]
; %bb.48:                               ;   in Loop: Header=BB343_9 Depth=1
	v_or_b32_e32 v76, 0x10000, v77
	v_cmp_eq_u32_sdwa s[0:1], v77, v3 src0_sel:WORD_0 src1_sel:DWORD
	s_nop 1
	v_cndmask_b32_e64 v76, v76, v77, s[0:1]
; %bb.49:                               ;   in Loop: Header=BB343_9 Depth=1
	s_or_b64 exec, exec, s[14:15]
	v_bfe_u32 v77, v78, 16, 8
	v_cvt_f32_fp8_sdwa v77, v77 src0_sel:BYTE_0
	s_nop 0
	v_mul_f32_e32 v79, s35, v77
	v_and_b32_e32 v77, 0x7f800000, v79
	v_cmp_ne_u32_e64 s[0:1], s37, v77
                                        ; implicit-def: $vgpr77
	s_and_saveexec_b64 s[14:15], s[0:1]
	s_xor_b64 s[0:1], exec, s[14:15]
; %bb.50:                               ;   in Loop: Header=BB343_9 Depth=1
	v_bfe_u32 v77, v79, 16, 1
	v_add3_u32 v77, v79, v77, s38
                                        ; implicit-def: $vgpr79
; %bb.51:                               ;   in Loop: Header=BB343_9 Depth=1
	s_andn2_saveexec_b64 s[14:15], s[0:1]
; %bb.52:                               ;   in Loop: Header=BB343_9 Depth=1
	v_or_b32_e32 v77, 0x10000, v79
	v_cmp_eq_u32_sdwa s[0:1], v79, v3 src0_sel:WORD_0 src1_sel:DWORD
	s_nop 1
	v_cndmask_b32_e64 v77, v77, v79, s[0:1]
; %bb.53:                               ;   in Loop: Header=BB343_9 Depth=1
	s_or_b64 exec, exec, s[14:15]
	v_lshrrev_b32_e32 v78, 24, v78
	v_cvt_f32_fp8_sdwa v78, v78 src0_sel:BYTE_0
	s_nop 0
	v_mul_f32_e32 v79, s35, v78
	v_and_b32_e32 v78, 0x7f800000, v79
	v_cmp_ne_u32_e64 s[0:1], s37, v78
                                        ; implicit-def: $vgpr78
	s_and_saveexec_b64 s[14:15], s[0:1]
	s_xor_b64 s[0:1], exec, s[14:15]
; %bb.54:                               ;   in Loop: Header=BB343_9 Depth=1
	v_bfe_u32 v78, v79, 16, 1
	v_add3_u32 v78, v79, v78, s38
                                        ; implicit-def: $vgpr79
; %bb.55:                               ;   in Loop: Header=BB343_9 Depth=1
	s_andn2_saveexec_b64 s[14:15], s[0:1]
; %bb.56:                               ;   in Loop: Header=BB343_9 Depth=1
	v_or_b32_e32 v78, 0x10000, v79
	v_cmp_eq_u32_sdwa s[0:1], v79, v3 src0_sel:WORD_0 src1_sel:DWORD
	s_nop 1
	v_cndmask_b32_e64 v78, v78, v79, s[0:1]
; %bb.57:                               ;   in Loop: Header=BB343_9 Depth=1
	s_or_b64 exec, exec, s[14:15]
	global_load_dword v82, v[8:9], off offset:520
	s_waitcnt vmcnt(0)
	v_and_b32_e32 v79, 0xff, v82
	v_cvt_f32_fp8_sdwa v79, v79 src0_sel:BYTE_0
	s_nop 0
	v_mul_f32_e32 v80, s35, v79
	v_and_b32_e32 v79, 0x7f800000, v80
	v_cmp_ne_u32_e64 s[0:1], s37, v79
                                        ; implicit-def: $vgpr79
	s_and_saveexec_b64 s[14:15], s[0:1]
	s_xor_b64 s[0:1], exec, s[14:15]
; %bb.58:                               ;   in Loop: Header=BB343_9 Depth=1
	v_bfe_u32 v79, v80, 16, 1
	v_add3_u32 v79, v80, v79, s38
                                        ; implicit-def: $vgpr80
; %bb.59:                               ;   in Loop: Header=BB343_9 Depth=1
	s_andn2_saveexec_b64 s[14:15], s[0:1]
; %bb.60:                               ;   in Loop: Header=BB343_9 Depth=1
	v_or_b32_e32 v79, 0x10000, v80
	v_cmp_eq_u32_sdwa s[0:1], v80, v3 src0_sel:WORD_0 src1_sel:DWORD
	s_nop 1
	v_cndmask_b32_e64 v79, v79, v80, s[0:1]
; %bb.61:                               ;   in Loop: Header=BB343_9 Depth=1
	s_or_b64 exec, exec, s[14:15]
	v_bfe_u32 v80, v82, 8, 8
	v_cvt_f32_fp8_sdwa v80, v80 src0_sel:BYTE_0
	s_nop 0
	v_mul_f32_e32 v81, s35, v80
	v_and_b32_e32 v80, 0x7f800000, v81
	v_cmp_ne_u32_e64 s[0:1], s37, v80
                                        ; implicit-def: $vgpr80
	s_and_saveexec_b64 s[14:15], s[0:1]
	s_xor_b64 s[0:1], exec, s[14:15]
; %bb.62:                               ;   in Loop: Header=BB343_9 Depth=1
	v_bfe_u32 v80, v81, 16, 1
	v_add3_u32 v80, v81, v80, s38
                                        ; implicit-def: $vgpr81
; %bb.63:                               ;   in Loop: Header=BB343_9 Depth=1
	s_andn2_saveexec_b64 s[14:15], s[0:1]
; %bb.64:                               ;   in Loop: Header=BB343_9 Depth=1
	v_or_b32_e32 v80, 0x10000, v81
	v_cmp_eq_u32_sdwa s[0:1], v81, v3 src0_sel:WORD_0 src1_sel:DWORD
	s_nop 1
	v_cndmask_b32_e64 v80, v80, v81, s[0:1]
; %bb.65:                               ;   in Loop: Header=BB343_9 Depth=1
	s_or_b64 exec, exec, s[14:15]
	v_bfe_u32 v81, v82, 16, 8
	v_cvt_f32_fp8_sdwa v81, v81 src0_sel:BYTE_0
	s_nop 0
	v_mul_f32_e32 v83, s35, v81
	v_and_b32_e32 v81, 0x7f800000, v83
	v_cmp_ne_u32_e64 s[0:1], s37, v81
                                        ; implicit-def: $vgpr81
	s_and_saveexec_b64 s[14:15], s[0:1]
	s_xor_b64 s[0:1], exec, s[14:15]
; %bb.66:                               ;   in Loop: Header=BB343_9 Depth=1
	v_bfe_u32 v81, v83, 16, 1
	v_add3_u32 v81, v83, v81, s38
                                        ; implicit-def: $vgpr83
; %bb.67:                               ;   in Loop: Header=BB343_9 Depth=1
	s_andn2_saveexec_b64 s[14:15], s[0:1]
; %bb.68:                               ;   in Loop: Header=BB343_9 Depth=1
	v_or_b32_e32 v81, 0x10000, v83
	v_cmp_eq_u32_sdwa s[0:1], v83, v3 src0_sel:WORD_0 src1_sel:DWORD
	s_nop 1
	v_cndmask_b32_e64 v81, v81, v83, s[0:1]
; %bb.69:                               ;   in Loop: Header=BB343_9 Depth=1
	s_or_b64 exec, exec, s[14:15]
	v_lshrrev_b32_e32 v82, 24, v82
	v_cvt_f32_fp8_sdwa v82, v82 src0_sel:BYTE_0
	s_nop 0
	v_mul_f32_e32 v83, s35, v82
	v_and_b32_e32 v82, 0x7f800000, v83
	v_cmp_ne_u32_e64 s[0:1], s37, v82
                                        ; implicit-def: $vgpr82
	s_and_saveexec_b64 s[14:15], s[0:1]
	s_xor_b64 s[0:1], exec, s[14:15]
; %bb.70:                               ;   in Loop: Header=BB343_9 Depth=1
	v_bfe_u32 v82, v83, 16, 1
	v_add3_u32 v82, v83, v82, s38
                                        ; implicit-def: $vgpr83
; %bb.71:                               ;   in Loop: Header=BB343_9 Depth=1
	s_andn2_saveexec_b64 s[14:15], s[0:1]
; %bb.72:                               ;   in Loop: Header=BB343_9 Depth=1
	v_or_b32_e32 v82, 0x10000, v83
	v_cmp_eq_u32_sdwa s[0:1], v83, v3 src0_sel:WORD_0 src1_sel:DWORD
	s_nop 1
	v_cndmask_b32_e64 v82, v82, v83, s[0:1]
; %bb.73:                               ;   in Loop: Header=BB343_9 Depth=1
	s_or_b64 exec, exec, s[14:15]
	global_load_dword v86, v[8:9], off offset:1024
	s_waitcnt vmcnt(0)
	v_and_b32_e32 v83, 0xff, v86
	v_cvt_f32_fp8_sdwa v83, v83 src0_sel:BYTE_0
	s_nop 0
	v_mul_f32_e32 v84, s35, v83
	v_and_b32_e32 v83, 0x7f800000, v84
	v_cmp_ne_u32_e64 s[0:1], s37, v83
                                        ; implicit-def: $vgpr83
	s_and_saveexec_b64 s[14:15], s[0:1]
	s_xor_b64 s[0:1], exec, s[14:15]
; %bb.74:                               ;   in Loop: Header=BB343_9 Depth=1
	v_bfe_u32 v83, v84, 16, 1
	v_add3_u32 v83, v84, v83, s38
                                        ; implicit-def: $vgpr84
; %bb.75:                               ;   in Loop: Header=BB343_9 Depth=1
	s_andn2_saveexec_b64 s[14:15], s[0:1]
; %bb.76:                               ;   in Loop: Header=BB343_9 Depth=1
	v_or_b32_e32 v83, 0x10000, v84
	v_cmp_eq_u32_sdwa s[0:1], v84, v3 src0_sel:WORD_0 src1_sel:DWORD
	s_nop 1
	v_cndmask_b32_e64 v83, v83, v84, s[0:1]
; %bb.77:                               ;   in Loop: Header=BB343_9 Depth=1
	s_or_b64 exec, exec, s[14:15]
	v_bfe_u32 v84, v86, 8, 8
	v_cvt_f32_fp8_sdwa v84, v84 src0_sel:BYTE_0
	s_nop 0
	v_mul_f32_e32 v85, s35, v84
	v_and_b32_e32 v84, 0x7f800000, v85
	v_cmp_ne_u32_e64 s[0:1], s37, v84
                                        ; implicit-def: $vgpr84
	s_and_saveexec_b64 s[14:15], s[0:1]
	s_xor_b64 s[0:1], exec, s[14:15]
; %bb.78:                               ;   in Loop: Header=BB343_9 Depth=1
	v_bfe_u32 v84, v85, 16, 1
	v_add3_u32 v84, v85, v84, s38
                                        ; implicit-def: $vgpr85
; %bb.79:                               ;   in Loop: Header=BB343_9 Depth=1
	s_andn2_saveexec_b64 s[14:15], s[0:1]
; %bb.80:                               ;   in Loop: Header=BB343_9 Depth=1
	v_or_b32_e32 v84, 0x10000, v85
	v_cmp_eq_u32_sdwa s[0:1], v85, v3 src0_sel:WORD_0 src1_sel:DWORD
	s_nop 1
	v_cndmask_b32_e64 v84, v84, v85, s[0:1]
; %bb.81:                               ;   in Loop: Header=BB343_9 Depth=1
	s_or_b64 exec, exec, s[14:15]
	v_bfe_u32 v85, v86, 16, 8
	v_cvt_f32_fp8_sdwa v85, v85 src0_sel:BYTE_0
	s_nop 0
	v_mul_f32_e32 v87, s35, v85
	v_and_b32_e32 v85, 0x7f800000, v87
	v_cmp_ne_u32_e64 s[0:1], s37, v85
                                        ; implicit-def: $vgpr85
	s_and_saveexec_b64 s[14:15], s[0:1]
	s_xor_b64 s[0:1], exec, s[14:15]
; %bb.82:                               ;   in Loop: Header=BB343_9 Depth=1
	v_bfe_u32 v85, v87, 16, 1
	v_add3_u32 v85, v87, v85, s38
                                        ; implicit-def: $vgpr87
; %bb.83:                               ;   in Loop: Header=BB343_9 Depth=1
	s_andn2_saveexec_b64 s[14:15], s[0:1]
; %bb.84:                               ;   in Loop: Header=BB343_9 Depth=1
	v_or_b32_e32 v85, 0x10000, v87
	v_cmp_eq_u32_sdwa s[0:1], v87, v3 src0_sel:WORD_0 src1_sel:DWORD
	s_nop 1
	v_cndmask_b32_e64 v85, v85, v87, s[0:1]
; %bb.85:                               ;   in Loop: Header=BB343_9 Depth=1
	s_or_b64 exec, exec, s[14:15]
	v_lshrrev_b32_e32 v86, 24, v86
	v_cvt_f32_fp8_sdwa v86, v86 src0_sel:BYTE_0
	s_nop 0
	v_mul_f32_e32 v87, s35, v86
	v_and_b32_e32 v86, 0x7f800000, v87
	v_cmp_ne_u32_e64 s[0:1], s37, v86
                                        ; implicit-def: $vgpr86
	s_and_saveexec_b64 s[14:15], s[0:1]
	s_xor_b64 s[0:1], exec, s[14:15]
; %bb.86:                               ;   in Loop: Header=BB343_9 Depth=1
	v_bfe_u32 v86, v87, 16, 1
	v_add3_u32 v86, v87, v86, s38
                                        ; implicit-def: $vgpr87
; %bb.87:                               ;   in Loop: Header=BB343_9 Depth=1
	s_andn2_saveexec_b64 s[14:15], s[0:1]
; %bb.88:                               ;   in Loop: Header=BB343_9 Depth=1
	v_or_b32_e32 v86, 0x10000, v87
	v_cmp_eq_u32_sdwa s[0:1], v87, v3 src0_sel:WORD_0 src1_sel:DWORD
	s_nop 1
	v_cndmask_b32_e64 v86, v86, v87, s[0:1]
; %bb.89:                               ;   in Loop: Header=BB343_9 Depth=1
	s_or_b64 exec, exec, s[14:15]
	global_load_dword v90, v[8:9], off offset:1032
	s_waitcnt vmcnt(0)
	v_and_b32_e32 v87, 0xff, v90
	v_cvt_f32_fp8_sdwa v87, v87 src0_sel:BYTE_0
	s_nop 0
	v_mul_f32_e32 v88, s35, v87
	v_and_b32_e32 v87, 0x7f800000, v88
	v_cmp_ne_u32_e64 s[0:1], s37, v87
                                        ; implicit-def: $vgpr87
	s_and_saveexec_b64 s[14:15], s[0:1]
	s_xor_b64 s[0:1], exec, s[14:15]
; %bb.90:                               ;   in Loop: Header=BB343_9 Depth=1
	v_bfe_u32 v87, v88, 16, 1
	v_add3_u32 v87, v88, v87, s38
                                        ; implicit-def: $vgpr88
; %bb.91:                               ;   in Loop: Header=BB343_9 Depth=1
	s_andn2_saveexec_b64 s[14:15], s[0:1]
; %bb.92:                               ;   in Loop: Header=BB343_9 Depth=1
	v_or_b32_e32 v87, 0x10000, v88
	v_cmp_eq_u32_sdwa s[0:1], v88, v3 src0_sel:WORD_0 src1_sel:DWORD
	s_nop 1
	v_cndmask_b32_e64 v87, v87, v88, s[0:1]
; %bb.93:                               ;   in Loop: Header=BB343_9 Depth=1
	s_or_b64 exec, exec, s[14:15]
	v_bfe_u32 v88, v90, 8, 8
	v_cvt_f32_fp8_sdwa v88, v88 src0_sel:BYTE_0
	s_nop 0
	v_mul_f32_e32 v89, s35, v88
	v_and_b32_e32 v88, 0x7f800000, v89
	v_cmp_ne_u32_e64 s[0:1], s37, v88
                                        ; implicit-def: $vgpr88
	s_and_saveexec_b64 s[14:15], s[0:1]
	s_xor_b64 s[0:1], exec, s[14:15]
; %bb.94:                               ;   in Loop: Header=BB343_9 Depth=1
	v_bfe_u32 v88, v89, 16, 1
	v_add3_u32 v88, v89, v88, s38
                                        ; implicit-def: $vgpr89
; %bb.95:                               ;   in Loop: Header=BB343_9 Depth=1
	s_andn2_saveexec_b64 s[14:15], s[0:1]
; %bb.96:                               ;   in Loop: Header=BB343_9 Depth=1
	v_or_b32_e32 v88, 0x10000, v89
	v_cmp_eq_u32_sdwa s[0:1], v89, v3 src0_sel:WORD_0 src1_sel:DWORD
	s_nop 1
	v_cndmask_b32_e64 v88, v88, v89, s[0:1]
; %bb.97:                               ;   in Loop: Header=BB343_9 Depth=1
	s_or_b64 exec, exec, s[14:15]
	v_bfe_u32 v89, v90, 16, 8
	v_cvt_f32_fp8_sdwa v89, v89 src0_sel:BYTE_0
	s_nop 0
	v_mul_f32_e32 v91, s35, v89
	v_and_b32_e32 v89, 0x7f800000, v91
	v_cmp_ne_u32_e64 s[0:1], s37, v89
                                        ; implicit-def: $vgpr89
	s_and_saveexec_b64 s[14:15], s[0:1]
	s_xor_b64 s[0:1], exec, s[14:15]
; %bb.98:                               ;   in Loop: Header=BB343_9 Depth=1
	v_bfe_u32 v89, v91, 16, 1
	v_add3_u32 v89, v91, v89, s38
                                        ; implicit-def: $vgpr91
; %bb.99:                               ;   in Loop: Header=BB343_9 Depth=1
	s_andn2_saveexec_b64 s[14:15], s[0:1]
; %bb.100:                              ;   in Loop: Header=BB343_9 Depth=1
	v_or_b32_e32 v89, 0x10000, v91
	v_cmp_eq_u32_sdwa s[0:1], v91, v3 src0_sel:WORD_0 src1_sel:DWORD
	s_nop 1
	v_cndmask_b32_e64 v89, v89, v91, s[0:1]
; %bb.101:                              ;   in Loop: Header=BB343_9 Depth=1
	s_or_b64 exec, exec, s[14:15]
	v_lshrrev_b32_e32 v90, 24, v90
	v_cvt_f32_fp8_sdwa v90, v90 src0_sel:BYTE_0
	s_nop 0
	v_mul_f32_e32 v91, s35, v90
	v_and_b32_e32 v90, 0x7f800000, v91
	v_cmp_ne_u32_e64 s[0:1], s37, v90
                                        ; implicit-def: $vgpr90
	s_and_saveexec_b64 s[14:15], s[0:1]
	s_xor_b64 s[0:1], exec, s[14:15]
; %bb.102:                              ;   in Loop: Header=BB343_9 Depth=1
	v_bfe_u32 v90, v91, 16, 1
	v_add3_u32 v90, v91, v90, s38
                                        ; implicit-def: $vgpr91
; %bb.103:                              ;   in Loop: Header=BB343_9 Depth=1
	s_andn2_saveexec_b64 s[14:15], s[0:1]
; %bb.104:                              ;   in Loop: Header=BB343_9 Depth=1
	v_or_b32_e32 v90, 0x10000, v91
	v_cmp_eq_u32_sdwa s[0:1], v91, v3 src0_sel:WORD_0 src1_sel:DWORD
	s_nop 1
	v_cndmask_b32_e64 v90, v90, v91, s[0:1]
; %bb.105:                              ;   in Loop: Header=BB343_9 Depth=1
	s_or_b64 exec, exec, s[14:15]
	global_load_dword v94, v[8:9], off offset:1536
	s_waitcnt vmcnt(0)
	v_and_b32_e32 v91, 0xff, v94
	v_cvt_f32_fp8_sdwa v91, v91 src0_sel:BYTE_0
	s_nop 0
	v_mul_f32_e32 v92, s35, v91
	v_and_b32_e32 v91, 0x7f800000, v92
	v_cmp_ne_u32_e64 s[0:1], s37, v91
                                        ; implicit-def: $vgpr91
	s_and_saveexec_b64 s[14:15], s[0:1]
	s_xor_b64 s[0:1], exec, s[14:15]
; %bb.106:                              ;   in Loop: Header=BB343_9 Depth=1
	v_bfe_u32 v91, v92, 16, 1
	v_add3_u32 v91, v92, v91, s38
                                        ; implicit-def: $vgpr92
; %bb.107:                              ;   in Loop: Header=BB343_9 Depth=1
	s_andn2_saveexec_b64 s[14:15], s[0:1]
; %bb.108:                              ;   in Loop: Header=BB343_9 Depth=1
	v_or_b32_e32 v91, 0x10000, v92
	v_cmp_eq_u32_sdwa s[0:1], v92, v3 src0_sel:WORD_0 src1_sel:DWORD
	s_nop 1
	v_cndmask_b32_e64 v91, v91, v92, s[0:1]
; %bb.109:                              ;   in Loop: Header=BB343_9 Depth=1
	s_or_b64 exec, exec, s[14:15]
	v_bfe_u32 v92, v94, 8, 8
	v_cvt_f32_fp8_sdwa v92, v92 src0_sel:BYTE_0
	s_nop 0
	v_mul_f32_e32 v93, s35, v92
	v_and_b32_e32 v92, 0x7f800000, v93
	v_cmp_ne_u32_e64 s[0:1], s37, v92
                                        ; implicit-def: $vgpr92
	s_and_saveexec_b64 s[14:15], s[0:1]
	s_xor_b64 s[0:1], exec, s[14:15]
; %bb.110:                              ;   in Loop: Header=BB343_9 Depth=1
	v_bfe_u32 v92, v93, 16, 1
	v_add3_u32 v92, v93, v92, s38
                                        ; implicit-def: $vgpr93
; %bb.111:                              ;   in Loop: Header=BB343_9 Depth=1
	s_andn2_saveexec_b64 s[14:15], s[0:1]
; %bb.112:                              ;   in Loop: Header=BB343_9 Depth=1
	v_or_b32_e32 v92, 0x10000, v93
	v_cmp_eq_u32_sdwa s[0:1], v93, v3 src0_sel:WORD_0 src1_sel:DWORD
	s_nop 1
	v_cndmask_b32_e64 v92, v92, v93, s[0:1]
; %bb.113:                              ;   in Loop: Header=BB343_9 Depth=1
	s_or_b64 exec, exec, s[14:15]
	v_bfe_u32 v93, v94, 16, 8
	v_cvt_f32_fp8_sdwa v93, v93 src0_sel:BYTE_0
	s_nop 0
	v_mul_f32_e32 v95, s35, v93
	v_and_b32_e32 v93, 0x7f800000, v95
	v_cmp_ne_u32_e64 s[0:1], s37, v93
                                        ; implicit-def: $vgpr93
	s_and_saveexec_b64 s[14:15], s[0:1]
	s_xor_b64 s[0:1], exec, s[14:15]
; %bb.114:                              ;   in Loop: Header=BB343_9 Depth=1
	v_bfe_u32 v93, v95, 16, 1
	v_add3_u32 v93, v95, v93, s38
                                        ; implicit-def: $vgpr95
; %bb.115:                              ;   in Loop: Header=BB343_9 Depth=1
	s_andn2_saveexec_b64 s[14:15], s[0:1]
; %bb.116:                              ;   in Loop: Header=BB343_9 Depth=1
	v_or_b32_e32 v93, 0x10000, v95
	v_cmp_eq_u32_sdwa s[0:1], v95, v3 src0_sel:WORD_0 src1_sel:DWORD
	s_nop 1
	v_cndmask_b32_e64 v93, v93, v95, s[0:1]
; %bb.117:                              ;   in Loop: Header=BB343_9 Depth=1
	s_or_b64 exec, exec, s[14:15]
	v_lshrrev_b32_e32 v94, 24, v94
	v_cvt_f32_fp8_sdwa v94, v94 src0_sel:BYTE_0
	s_nop 0
	v_mul_f32_e32 v95, s35, v94
	v_and_b32_e32 v94, 0x7f800000, v95
	v_cmp_ne_u32_e64 s[0:1], s37, v94
                                        ; implicit-def: $vgpr94
	s_and_saveexec_b64 s[14:15], s[0:1]
	s_xor_b64 s[0:1], exec, s[14:15]
; %bb.118:                              ;   in Loop: Header=BB343_9 Depth=1
	v_bfe_u32 v94, v95, 16, 1
	v_add3_u32 v94, v95, v94, s38
                                        ; implicit-def: $vgpr95
; %bb.119:                              ;   in Loop: Header=BB343_9 Depth=1
	s_andn2_saveexec_b64 s[14:15], s[0:1]
; %bb.120:                              ;   in Loop: Header=BB343_9 Depth=1
	v_or_b32_e32 v94, 0x10000, v95
	v_cmp_eq_u32_sdwa s[0:1], v95, v3 src0_sel:WORD_0 src1_sel:DWORD
	s_nop 1
	v_cndmask_b32_e64 v94, v94, v95, s[0:1]
; %bb.121:                              ;   in Loop: Header=BB343_9 Depth=1
	s_or_b64 exec, exec, s[14:15]
	global_load_dword v98, v[8:9], off offset:1544
	s_waitcnt vmcnt(0)
	v_and_b32_e32 v95, 0xff, v98
	v_cvt_f32_fp8_sdwa v95, v95 src0_sel:BYTE_0
	s_nop 0
	v_mul_f32_e32 v96, s35, v95
	v_and_b32_e32 v95, 0x7f800000, v96
	v_cmp_ne_u32_e64 s[0:1], s37, v95
                                        ; implicit-def: $vgpr95
	s_and_saveexec_b64 s[14:15], s[0:1]
	s_xor_b64 s[0:1], exec, s[14:15]
; %bb.122:                              ;   in Loop: Header=BB343_9 Depth=1
	v_bfe_u32 v95, v96, 16, 1
	v_add3_u32 v95, v96, v95, s38
                                        ; implicit-def: $vgpr96
; %bb.123:                              ;   in Loop: Header=BB343_9 Depth=1
	s_andn2_saveexec_b64 s[14:15], s[0:1]
; %bb.124:                              ;   in Loop: Header=BB343_9 Depth=1
	v_or_b32_e32 v95, 0x10000, v96
	v_cmp_eq_u32_sdwa s[0:1], v96, v3 src0_sel:WORD_0 src1_sel:DWORD
	s_nop 1
	v_cndmask_b32_e64 v95, v95, v96, s[0:1]
; %bb.125:                              ;   in Loop: Header=BB343_9 Depth=1
	s_or_b64 exec, exec, s[14:15]
	v_bfe_u32 v96, v98, 8, 8
	v_cvt_f32_fp8_sdwa v96, v96 src0_sel:BYTE_0
	s_nop 0
	v_mul_f32_e32 v97, s35, v96
	v_and_b32_e32 v96, 0x7f800000, v97
	v_cmp_ne_u32_e64 s[0:1], s37, v96
                                        ; implicit-def: $vgpr96
	s_and_saveexec_b64 s[14:15], s[0:1]
	s_xor_b64 s[0:1], exec, s[14:15]
; %bb.126:                              ;   in Loop: Header=BB343_9 Depth=1
	v_bfe_u32 v96, v97, 16, 1
	v_add3_u32 v96, v97, v96, s38
                                        ; implicit-def: $vgpr97
; %bb.127:                              ;   in Loop: Header=BB343_9 Depth=1
	s_andn2_saveexec_b64 s[14:15], s[0:1]
; %bb.128:                              ;   in Loop: Header=BB343_9 Depth=1
	v_or_b32_e32 v96, 0x10000, v97
	v_cmp_eq_u32_sdwa s[0:1], v97, v3 src0_sel:WORD_0 src1_sel:DWORD
	s_nop 1
	v_cndmask_b32_e64 v96, v96, v97, s[0:1]
; %bb.129:                              ;   in Loop: Header=BB343_9 Depth=1
	s_or_b64 exec, exec, s[14:15]
	v_bfe_u32 v97, v98, 16, 8
	v_cvt_f32_fp8_sdwa v97, v97 src0_sel:BYTE_0
	s_nop 0
	v_mul_f32_e32 v99, s35, v97
	v_and_b32_e32 v97, 0x7f800000, v99
	v_cmp_ne_u32_e64 s[0:1], s37, v97
                                        ; implicit-def: $vgpr97
	s_and_saveexec_b64 s[14:15], s[0:1]
	s_xor_b64 s[0:1], exec, s[14:15]
; %bb.130:                              ;   in Loop: Header=BB343_9 Depth=1
	v_bfe_u32 v97, v99, 16, 1
	v_add3_u32 v97, v99, v97, s38
                                        ; implicit-def: $vgpr99
; %bb.131:                              ;   in Loop: Header=BB343_9 Depth=1
	s_andn2_saveexec_b64 s[14:15], s[0:1]
; %bb.132:                              ;   in Loop: Header=BB343_9 Depth=1
	v_or_b32_e32 v97, 0x10000, v99
	v_cmp_eq_u32_sdwa s[0:1], v99, v3 src0_sel:WORD_0 src1_sel:DWORD
	s_nop 1
	v_cndmask_b32_e64 v97, v97, v99, s[0:1]
; %bb.133:                              ;   in Loop: Header=BB343_9 Depth=1
	s_or_b64 exec, exec, s[14:15]
	v_lshrrev_b32_e32 v98, 24, v98
	v_cvt_f32_fp8_sdwa v98, v98 src0_sel:BYTE_0
	s_nop 0
	v_mul_f32_e32 v99, s35, v98
	v_and_b32_e32 v98, 0x7f800000, v99
	v_cmp_ne_u32_e64 s[0:1], s37, v98
                                        ; implicit-def: $vgpr98
	s_and_saveexec_b64 s[14:15], s[0:1]
	s_xor_b64 s[0:1], exec, s[14:15]
; %bb.134:                              ;   in Loop: Header=BB343_9 Depth=1
	v_bfe_u32 v98, v99, 16, 1
	v_add3_u32 v98, v99, v98, s38
                                        ; implicit-def: $vgpr99
; %bb.135:                              ;   in Loop: Header=BB343_9 Depth=1
	s_andn2_saveexec_b64 s[14:15], s[0:1]
; %bb.136:                              ;   in Loop: Header=BB343_9 Depth=1
	v_or_b32_e32 v98, 0x10000, v99
	v_cmp_eq_u32_sdwa s[0:1], v99, v3 src0_sel:WORD_0 src1_sel:DWORD
	s_nop 1
	v_cndmask_b32_e64 v98, v98, v99, s[0:1]
; %bb.137:                              ;   in Loop: Header=BB343_9 Depth=1
	s_or_b64 exec, exec, s[14:15]
	global_load_dword v102, v[8:9], off offset:2048
	s_waitcnt vmcnt(0)
	v_and_b32_e32 v99, 0xff, v102
	v_cvt_f32_fp8_sdwa v99, v99 src0_sel:BYTE_0
	s_nop 0
	v_mul_f32_e32 v100, s35, v99
	v_and_b32_e32 v99, 0x7f800000, v100
	v_cmp_ne_u32_e64 s[0:1], s37, v99
                                        ; implicit-def: $vgpr99
	s_and_saveexec_b64 s[14:15], s[0:1]
	s_xor_b64 s[0:1], exec, s[14:15]
; %bb.138:                              ;   in Loop: Header=BB343_9 Depth=1
	v_bfe_u32 v99, v100, 16, 1
	v_add3_u32 v99, v100, v99, s38
                                        ; implicit-def: $vgpr100
; %bb.139:                              ;   in Loop: Header=BB343_9 Depth=1
	s_andn2_saveexec_b64 s[14:15], s[0:1]
; %bb.140:                              ;   in Loop: Header=BB343_9 Depth=1
	v_or_b32_e32 v99, 0x10000, v100
	v_cmp_eq_u32_sdwa s[0:1], v100, v3 src0_sel:WORD_0 src1_sel:DWORD
	s_nop 1
	v_cndmask_b32_e64 v99, v99, v100, s[0:1]
; %bb.141:                              ;   in Loop: Header=BB343_9 Depth=1
	s_or_b64 exec, exec, s[14:15]
	v_bfe_u32 v100, v102, 8, 8
	v_cvt_f32_fp8_sdwa v100, v100 src0_sel:BYTE_0
	s_nop 0
	v_mul_f32_e32 v101, s35, v100
	v_and_b32_e32 v100, 0x7f800000, v101
	v_cmp_ne_u32_e64 s[0:1], s37, v100
                                        ; implicit-def: $vgpr100
	s_and_saveexec_b64 s[14:15], s[0:1]
	s_xor_b64 s[0:1], exec, s[14:15]
; %bb.142:                              ;   in Loop: Header=BB343_9 Depth=1
	v_bfe_u32 v100, v101, 16, 1
	v_add3_u32 v100, v101, v100, s38
                                        ; implicit-def: $vgpr101
; %bb.143:                              ;   in Loop: Header=BB343_9 Depth=1
	s_andn2_saveexec_b64 s[14:15], s[0:1]
; %bb.144:                              ;   in Loop: Header=BB343_9 Depth=1
	v_or_b32_e32 v100, 0x10000, v101
	v_cmp_eq_u32_sdwa s[0:1], v101, v3 src0_sel:WORD_0 src1_sel:DWORD
	s_nop 1
	v_cndmask_b32_e64 v100, v100, v101, s[0:1]
; %bb.145:                              ;   in Loop: Header=BB343_9 Depth=1
	s_or_b64 exec, exec, s[14:15]
	v_bfe_u32 v101, v102, 16, 8
	v_cvt_f32_fp8_sdwa v101, v101 src0_sel:BYTE_0
	s_nop 0
	v_mul_f32_e32 v103, s35, v101
	v_and_b32_e32 v101, 0x7f800000, v103
	v_cmp_ne_u32_e64 s[0:1], s37, v101
                                        ; implicit-def: $vgpr101
	s_and_saveexec_b64 s[14:15], s[0:1]
	s_xor_b64 s[0:1], exec, s[14:15]
; %bb.146:                              ;   in Loop: Header=BB343_9 Depth=1
	v_bfe_u32 v101, v103, 16, 1
	v_add3_u32 v101, v103, v101, s38
                                        ; implicit-def: $vgpr103
; %bb.147:                              ;   in Loop: Header=BB343_9 Depth=1
	s_andn2_saveexec_b64 s[14:15], s[0:1]
; %bb.148:                              ;   in Loop: Header=BB343_9 Depth=1
	v_or_b32_e32 v101, 0x10000, v103
	v_cmp_eq_u32_sdwa s[0:1], v103, v3 src0_sel:WORD_0 src1_sel:DWORD
	s_nop 1
	v_cndmask_b32_e64 v101, v101, v103, s[0:1]
; %bb.149:                              ;   in Loop: Header=BB343_9 Depth=1
	s_or_b64 exec, exec, s[14:15]
	v_lshrrev_b32_e32 v102, 24, v102
	v_cvt_f32_fp8_sdwa v102, v102 src0_sel:BYTE_0
	s_nop 0
	v_mul_f32_e32 v103, s35, v102
	v_and_b32_e32 v102, 0x7f800000, v103
	v_cmp_ne_u32_e64 s[0:1], s37, v102
                                        ; implicit-def: $vgpr102
	s_and_saveexec_b64 s[14:15], s[0:1]
	s_xor_b64 s[0:1], exec, s[14:15]
; %bb.150:                              ;   in Loop: Header=BB343_9 Depth=1
	v_bfe_u32 v102, v103, 16, 1
	v_add3_u32 v102, v103, v102, s38
                                        ; implicit-def: $vgpr103
; %bb.151:                              ;   in Loop: Header=BB343_9 Depth=1
	s_andn2_saveexec_b64 s[14:15], s[0:1]
; %bb.152:                              ;   in Loop: Header=BB343_9 Depth=1
	v_or_b32_e32 v102, 0x10000, v103
	v_cmp_eq_u32_sdwa s[0:1], v103, v3 src0_sel:WORD_0 src1_sel:DWORD
	s_nop 1
	v_cndmask_b32_e64 v102, v102, v103, s[0:1]
; %bb.153:                              ;   in Loop: Header=BB343_9 Depth=1
	s_or_b64 exec, exec, s[14:15]
	global_load_dword v106, v[8:9], off offset:2056
	s_waitcnt vmcnt(0)
	v_and_b32_e32 v103, 0xff, v106
	v_cvt_f32_fp8_sdwa v103, v103 src0_sel:BYTE_0
	s_nop 0
	v_mul_f32_e32 v104, s35, v103
	v_and_b32_e32 v103, 0x7f800000, v104
	v_cmp_ne_u32_e64 s[0:1], s37, v103
                                        ; implicit-def: $vgpr103
	s_and_saveexec_b64 s[14:15], s[0:1]
	s_xor_b64 s[0:1], exec, s[14:15]
; %bb.154:                              ;   in Loop: Header=BB343_9 Depth=1
	v_bfe_u32 v103, v104, 16, 1
	v_add3_u32 v103, v104, v103, s38
                                        ; implicit-def: $vgpr104
; %bb.155:                              ;   in Loop: Header=BB343_9 Depth=1
	s_andn2_saveexec_b64 s[14:15], s[0:1]
; %bb.156:                              ;   in Loop: Header=BB343_9 Depth=1
	v_or_b32_e32 v103, 0x10000, v104
	v_cmp_eq_u32_sdwa s[0:1], v104, v3 src0_sel:WORD_0 src1_sel:DWORD
	s_nop 1
	v_cndmask_b32_e64 v103, v103, v104, s[0:1]
; %bb.157:                              ;   in Loop: Header=BB343_9 Depth=1
	s_or_b64 exec, exec, s[14:15]
	v_bfe_u32 v104, v106, 8, 8
	v_cvt_f32_fp8_sdwa v104, v104 src0_sel:BYTE_0
	s_nop 0
	v_mul_f32_e32 v105, s35, v104
	v_and_b32_e32 v104, 0x7f800000, v105
	v_cmp_ne_u32_e64 s[0:1], s37, v104
                                        ; implicit-def: $vgpr104
	s_and_saveexec_b64 s[14:15], s[0:1]
	s_xor_b64 s[0:1], exec, s[14:15]
; %bb.158:                              ;   in Loop: Header=BB343_9 Depth=1
	v_bfe_u32 v104, v105, 16, 1
	v_add3_u32 v104, v105, v104, s38
                                        ; implicit-def: $vgpr105
; %bb.159:                              ;   in Loop: Header=BB343_9 Depth=1
	s_andn2_saveexec_b64 s[14:15], s[0:1]
; %bb.160:                              ;   in Loop: Header=BB343_9 Depth=1
	v_or_b32_e32 v104, 0x10000, v105
	v_cmp_eq_u32_sdwa s[0:1], v105, v3 src0_sel:WORD_0 src1_sel:DWORD
	s_nop 1
	v_cndmask_b32_e64 v104, v104, v105, s[0:1]
; %bb.161:                              ;   in Loop: Header=BB343_9 Depth=1
	s_or_b64 exec, exec, s[14:15]
	v_bfe_u32 v105, v106, 16, 8
	v_cvt_f32_fp8_sdwa v105, v105 src0_sel:BYTE_0
	s_nop 0
	v_mul_f32_e32 v107, s35, v105
	v_and_b32_e32 v105, 0x7f800000, v107
	v_cmp_ne_u32_e64 s[0:1], s37, v105
                                        ; implicit-def: $vgpr105
	s_and_saveexec_b64 s[14:15], s[0:1]
	s_xor_b64 s[0:1], exec, s[14:15]
; %bb.162:                              ;   in Loop: Header=BB343_9 Depth=1
	v_bfe_u32 v105, v107, 16, 1
	v_add3_u32 v105, v107, v105, s38
                                        ; implicit-def: $vgpr107
; %bb.163:                              ;   in Loop: Header=BB343_9 Depth=1
	s_andn2_saveexec_b64 s[14:15], s[0:1]
; %bb.164:                              ;   in Loop: Header=BB343_9 Depth=1
	v_or_b32_e32 v105, 0x10000, v107
	v_cmp_eq_u32_sdwa s[0:1], v107, v3 src0_sel:WORD_0 src1_sel:DWORD
	s_nop 1
	v_cndmask_b32_e64 v105, v105, v107, s[0:1]
; %bb.165:                              ;   in Loop: Header=BB343_9 Depth=1
	s_or_b64 exec, exec, s[14:15]
	v_lshrrev_b32_e32 v106, 24, v106
	v_cvt_f32_fp8_sdwa v106, v106 src0_sel:BYTE_0
	s_nop 0
	v_mul_f32_e32 v107, s35, v106
	v_and_b32_e32 v106, 0x7f800000, v107
	v_cmp_ne_u32_e64 s[0:1], s37, v106
                                        ; implicit-def: $vgpr106
	s_and_saveexec_b64 s[14:15], s[0:1]
	s_xor_b64 s[0:1], exec, s[14:15]
; %bb.166:                              ;   in Loop: Header=BB343_9 Depth=1
	v_bfe_u32 v106, v107, 16, 1
	v_add3_u32 v106, v107, v106, s38
                                        ; implicit-def: $vgpr107
; %bb.167:                              ;   in Loop: Header=BB343_9 Depth=1
	s_andn2_saveexec_b64 s[14:15], s[0:1]
; %bb.168:                              ;   in Loop: Header=BB343_9 Depth=1
	v_or_b32_e32 v106, 0x10000, v107
	v_cmp_eq_u32_sdwa s[0:1], v107, v3 src0_sel:WORD_0 src1_sel:DWORD
	s_nop 1
	v_cndmask_b32_e64 v106, v106, v107, s[0:1]
; %bb.169:                              ;   in Loop: Header=BB343_9 Depth=1
	s_or_b64 exec, exec, s[14:15]
	global_load_dword v110, v[8:9], off offset:2560
	s_waitcnt vmcnt(0)
	v_and_b32_e32 v107, 0xff, v110
	v_cvt_f32_fp8_sdwa v107, v107 src0_sel:BYTE_0
	s_nop 0
	v_mul_f32_e32 v108, s35, v107
	v_and_b32_e32 v107, 0x7f800000, v108
	v_cmp_ne_u32_e64 s[0:1], s37, v107
                                        ; implicit-def: $vgpr107
	s_and_saveexec_b64 s[14:15], s[0:1]
	s_xor_b64 s[0:1], exec, s[14:15]
; %bb.170:                              ;   in Loop: Header=BB343_9 Depth=1
	v_bfe_u32 v107, v108, 16, 1
	v_add3_u32 v107, v108, v107, s38
                                        ; implicit-def: $vgpr108
; %bb.171:                              ;   in Loop: Header=BB343_9 Depth=1
	s_andn2_saveexec_b64 s[14:15], s[0:1]
; %bb.172:                              ;   in Loop: Header=BB343_9 Depth=1
	v_or_b32_e32 v107, 0x10000, v108
	v_cmp_eq_u32_sdwa s[0:1], v108, v3 src0_sel:WORD_0 src1_sel:DWORD
	s_nop 1
	v_cndmask_b32_e64 v107, v107, v108, s[0:1]
; %bb.173:                              ;   in Loop: Header=BB343_9 Depth=1
	s_or_b64 exec, exec, s[14:15]
	v_bfe_u32 v108, v110, 8, 8
	v_cvt_f32_fp8_sdwa v108, v108 src0_sel:BYTE_0
	s_nop 0
	v_mul_f32_e32 v109, s35, v108
	v_and_b32_e32 v108, 0x7f800000, v109
	v_cmp_ne_u32_e64 s[0:1], s37, v108
                                        ; implicit-def: $vgpr108
	s_and_saveexec_b64 s[14:15], s[0:1]
	s_xor_b64 s[0:1], exec, s[14:15]
; %bb.174:                              ;   in Loop: Header=BB343_9 Depth=1
	v_bfe_u32 v108, v109, 16, 1
	v_add3_u32 v108, v109, v108, s38
                                        ; implicit-def: $vgpr109
; %bb.175:                              ;   in Loop: Header=BB343_9 Depth=1
	s_andn2_saveexec_b64 s[14:15], s[0:1]
; %bb.176:                              ;   in Loop: Header=BB343_9 Depth=1
	v_or_b32_e32 v108, 0x10000, v109
	v_cmp_eq_u32_sdwa s[0:1], v109, v3 src0_sel:WORD_0 src1_sel:DWORD
	s_nop 1
	v_cndmask_b32_e64 v108, v108, v109, s[0:1]
; %bb.177:                              ;   in Loop: Header=BB343_9 Depth=1
	s_or_b64 exec, exec, s[14:15]
	v_bfe_u32 v109, v110, 16, 8
	v_cvt_f32_fp8_sdwa v109, v109 src0_sel:BYTE_0
	s_nop 0
	v_mul_f32_e32 v111, s35, v109
	v_and_b32_e32 v109, 0x7f800000, v111
	v_cmp_ne_u32_e64 s[0:1], s37, v109
                                        ; implicit-def: $vgpr109
	s_and_saveexec_b64 s[14:15], s[0:1]
	s_xor_b64 s[0:1], exec, s[14:15]
; %bb.178:                              ;   in Loop: Header=BB343_9 Depth=1
	v_bfe_u32 v109, v111, 16, 1
	v_add3_u32 v109, v111, v109, s38
                                        ; implicit-def: $vgpr111
; %bb.179:                              ;   in Loop: Header=BB343_9 Depth=1
	s_andn2_saveexec_b64 s[14:15], s[0:1]
; %bb.180:                              ;   in Loop: Header=BB343_9 Depth=1
	v_or_b32_e32 v109, 0x10000, v111
	v_cmp_eq_u32_sdwa s[0:1], v111, v3 src0_sel:WORD_0 src1_sel:DWORD
	s_nop 1
	v_cndmask_b32_e64 v109, v109, v111, s[0:1]
; %bb.181:                              ;   in Loop: Header=BB343_9 Depth=1
	s_or_b64 exec, exec, s[14:15]
	v_lshrrev_b32_e32 v110, 24, v110
	v_cvt_f32_fp8_sdwa v110, v110 src0_sel:BYTE_0
	s_nop 0
	v_mul_f32_e32 v111, s35, v110
	v_and_b32_e32 v110, 0x7f800000, v111
	v_cmp_ne_u32_e64 s[0:1], s37, v110
                                        ; implicit-def: $vgpr110
	s_and_saveexec_b64 s[14:15], s[0:1]
	s_xor_b64 s[0:1], exec, s[14:15]
; %bb.182:                              ;   in Loop: Header=BB343_9 Depth=1
	v_bfe_u32 v110, v111, 16, 1
	v_add3_u32 v110, v111, v110, s38
                                        ; implicit-def: $vgpr111
; %bb.183:                              ;   in Loop: Header=BB343_9 Depth=1
	s_andn2_saveexec_b64 s[14:15], s[0:1]
; %bb.184:                              ;   in Loop: Header=BB343_9 Depth=1
	v_or_b32_e32 v110, 0x10000, v111
	v_cmp_eq_u32_sdwa s[0:1], v111, v3 src0_sel:WORD_0 src1_sel:DWORD
	s_nop 1
	v_cndmask_b32_e64 v110, v110, v111, s[0:1]
; %bb.185:                              ;   in Loop: Header=BB343_9 Depth=1
	s_or_b64 exec, exec, s[14:15]
	global_load_dword v9, v[8:9], off offset:2568
	s_waitcnt vmcnt(0)
	v_and_b32_e32 v8, 0xff, v9
	v_cvt_f32_fp8_sdwa v8, v8 src0_sel:BYTE_0
	s_nop 0
	v_mul_f32_e32 v111, s35, v8
	v_and_b32_e32 v8, 0x7f800000, v111
	v_cmp_ne_u32_e64 s[0:1], s37, v8
                                        ; implicit-def: $vgpr8
	s_and_saveexec_b64 s[14:15], s[0:1]
	s_xor_b64 s[0:1], exec, s[14:15]
; %bb.186:                              ;   in Loop: Header=BB343_9 Depth=1
	v_bfe_u32 v8, v111, 16, 1
	v_add3_u32 v8, v111, v8, s38
                                        ; implicit-def: $vgpr111
; %bb.187:                              ;   in Loop: Header=BB343_9 Depth=1
	s_andn2_saveexec_b64 s[14:15], s[0:1]
; %bb.188:                              ;   in Loop: Header=BB343_9 Depth=1
	v_or_b32_e32 v8, 0x10000, v111
	v_cmp_eq_u32_sdwa s[0:1], v111, v3 src0_sel:WORD_0 src1_sel:DWORD
	s_nop 1
	v_cndmask_b32_e64 v8, v8, v111, s[0:1]
; %bb.189:                              ;   in Loop: Header=BB343_9 Depth=1
	s_or_b64 exec, exec, s[14:15]
	v_bfe_u32 v111, v9, 8, 8
	v_cvt_f32_fp8_sdwa v111, v111 src0_sel:BYTE_0
	s_nop 0
	v_mul_f32_e32 v111, s35, v111
	v_and_b32_e32 v112, 0x7f800000, v111
	v_cmp_ne_u32_e64 s[0:1], s37, v112
                                        ; implicit-def: $vgpr112
	s_and_saveexec_b64 s[14:15], s[0:1]
	s_xor_b64 s[0:1], exec, s[14:15]
; %bb.190:                              ;   in Loop: Header=BB343_9 Depth=1
	v_bfe_u32 v112, v111, 16, 1
	v_add3_u32 v112, v111, v112, s38
                                        ; implicit-def: $vgpr111
; %bb.191:                              ;   in Loop: Header=BB343_9 Depth=1
	s_andn2_saveexec_b64 s[14:15], s[0:1]
; %bb.192:                              ;   in Loop: Header=BB343_9 Depth=1
	v_or_b32_e32 v112, 0x10000, v111
	v_cmp_eq_u32_sdwa s[0:1], v111, v3 src0_sel:WORD_0 src1_sel:DWORD
	s_nop 1
	v_cndmask_b32_e64 v112, v112, v111, s[0:1]
; %bb.193:                              ;   in Loop: Header=BB343_9 Depth=1
	s_or_b64 exec, exec, s[14:15]
	v_bfe_u32 v111, v9, 16, 8
	v_cvt_f32_fp8_sdwa v111, v111 src0_sel:BYTE_0
	s_nop 0
	v_mul_f32_e32 v113, s35, v111
	v_and_b32_e32 v111, 0x7f800000, v113
	v_cmp_ne_u32_e64 s[0:1], s37, v111
                                        ; implicit-def: $vgpr111
	s_and_saveexec_b64 s[14:15], s[0:1]
	s_xor_b64 s[0:1], exec, s[14:15]
; %bb.194:                              ;   in Loop: Header=BB343_9 Depth=1
	v_bfe_u32 v111, v113, 16, 1
	v_add3_u32 v111, v113, v111, s38
                                        ; implicit-def: $vgpr113
; %bb.195:                              ;   in Loop: Header=BB343_9 Depth=1
	s_andn2_saveexec_b64 s[14:15], s[0:1]
; %bb.196:                              ;   in Loop: Header=BB343_9 Depth=1
	v_or_b32_e32 v111, 0x10000, v113
	v_cmp_eq_u32_sdwa s[0:1], v113, v3 src0_sel:WORD_0 src1_sel:DWORD
	s_nop 1
	v_cndmask_b32_e64 v111, v111, v113, s[0:1]
; %bb.197:                              ;   in Loop: Header=BB343_9 Depth=1
	s_or_b64 exec, exec, s[14:15]
	v_lshrrev_b32_e32 v9, 24, v9
	v_cvt_f32_fp8_sdwa v9, v9 src0_sel:BYTE_0
	s_nop 0
	v_mul_f32_e32 v113, s35, v9
	v_and_b32_e32 v9, 0x7f800000, v113
	v_cmp_ne_u32_e64 s[0:1], s37, v9
                                        ; implicit-def: $vgpr9
	s_and_saveexec_b64 s[14:15], s[0:1]
	s_xor_b64 s[0:1], exec, s[14:15]
; %bb.198:                              ;   in Loop: Header=BB343_9 Depth=1
	v_bfe_u32 v9, v113, 16, 1
	v_add3_u32 v9, v113, v9, s38
                                        ; implicit-def: $vgpr113
; %bb.199:                              ;   in Loop: Header=BB343_9 Depth=1
	s_andn2_saveexec_b64 s[14:15], s[0:1]
; %bb.200:                              ;   in Loop: Header=BB343_9 Depth=1
	v_or_b32_e32 v9, 0x10000, v113
	v_cmp_eq_u32_sdwa s[0:1], v113, v3 src0_sel:WORD_0 src1_sel:DWORD
	s_nop 1
	v_cndmask_b32_e64 v9, v9, v113, s[0:1]
; %bb.201:                              ;   in Loop: Header=BB343_9 Depth=1
	s_or_b64 exec, exec, s[14:15]
	v_and_b32_e32 v71, 0xffff0000, v71
	v_and_b32_e32 v72, 0xffff0000, v72
	;; [unrolled: 1-line block ×3, first 2 shown]
	v_mul_f32_e32 v71, v17, v71
	v_and_b32_e32 v73, 0xffff0000, v73
	v_and_b32_e32 v68, 0xffff0000, v68
	v_fmac_f32_e32 v71, v12, v67
	v_mul_f32_e32 v67, v18, v72
	v_and_b32_e32 v76, 0xffff0000, v76
	v_and_b32_e32 v75, 0xffff0000, v75
	;; [unrolled: 1-line block ×4, first 2 shown]
	v_fmac_f32_e32 v67, v13, v68
	v_mul_f32_e32 v68, v19, v73
	v_and_b32_e32 v80, 0xffff0000, v80
	v_and_b32_e32 v79, 0xffff0000, v79
	;; [unrolled: 1-line block ×4, first 2 shown]
	v_fmac_f32_e32 v68, v14, v69
	v_mul_f32_e32 v69, v21, v74
	v_fmac_f32_e32 v71, v22, v75
	v_fmac_f32_e32 v67, v23, v76
	v_and_b32_e32 v84, 0xffff0000, v84
	v_and_b32_e32 v83, 0xffff0000, v83
	v_and_b32_e32 v81, 0xffff0000, v81
	v_and_b32_e32 v78, 0xffff0000, v78
	v_fmac_f32_e32 v69, v15, v70
	v_fmac_f32_e32 v68, v24, v77
	v_fmac_f32_e32 v71, v26, v79
	v_fmac_f32_e32 v67, v27, v80
	v_and_b32_e32 v88, 0xffff0000, v88
	v_and_b32_e32 v87, 0xffff0000, v87
	v_and_b32_e32 v85, 0xffff0000, v85
	v_and_b32_e32 v82, 0xffff0000, v82
	v_fmac_f32_e32 v69, v25, v78
	v_fmac_f32_e32 v68, v28, v81
	;; [unrolled: 8-line block ×8, first 2 shown]
	v_fmac_f32_e32 v71, v54, v107
	v_fmac_f32_e32 v67, v55, v108
	v_and_b32_e32 v110, 0xffff0000, v110
	v_and_b32_e32 v111, 0xffff0000, v111
	v_fmac_f32_e32 v69, v53, v106
	v_fmac_f32_e32 v68, v56, v109
	;; [unrolled: 1-line block ×4, first 2 shown]
	v_and_b32_e32 v9, 0xffff0000, v9
	v_fmac_f32_e32 v69, v57, v110
	v_fmac_f32_e32 v68, v60, v111
	v_add_f32_e32 v8, v71, v67
	v_fmac_f32_e32 v69, v61, v9
	v_add_f32_e32 v8, v8, v68
	v_add_f32_e32 v8, v8, v69
	ds_bpermute_b32 v9, v63, v8
	s_and_saveexec_b64 s[14:15], vcc
	s_cbranch_execz .LBB343_8
; %bb.202:                              ;   in Loop: Header=BB343_9 Depth=1
	v_add_u32_e32 v67, s36, v64
	v_cvt_f32_i32_e32 v67, v67
	s_waitcnt lgkmcnt(0)
	v_add_f32_e32 v8, v8, v9
	v_cmp_gt_i32_e64 s[0:1], s17, v64
	v_max_f32_e32 v9, v62, v62
	v_mul_f32_e32 v67, s28, v67
	v_cndmask_b32_e64 v67, 0, v67, s[2:3]
	v_fmac_f32_e32 v67, s29, v8
	v_cndmask_b32_e64 v8, 0, v67, s[0:1]
	ds_write_b32 v65, v8
	v_max_f32_e32 v8, v9, v67
	v_cndmask_b32_e64 v62, v62, v8, s[0:1]
	s_branch .LBB343_8
.LBB343_203:
	s_or_b64 exec, exec, s[8:9]
.LBB343_204:
	s_or_b64 exec, exec, s[30:31]
	v_xor_b32_e32 v2, 32, v10
	v_cmp_lt_i32_e32 vcc, v2, v11
	v_xor_b32_e32 v5, 16, v10
	v_max_f32_e32 v4, v62, v62
	v_cndmask_b32_e32 v2, v10, v2, vcc
	v_lshlrev_b32_e32 v2, 2, v2
	ds_bpermute_b32 v3, v2, v62
	v_cmp_lt_i32_e32 vcc, v5, v11
	v_xor_b32_e32 v6, 8, v10
	v_xor_b32_e32 v7, 4, v10
	;; [unrolled: 1-line block ×3, first 2 shown]
	s_waitcnt lgkmcnt(0)
	v_max_f32_e32 v3, v3, v3
	v_max_f32_e32 v4, v4, v3
	v_cndmask_b32_e32 v3, v10, v5, vcc
	v_lshlrev_b32_e32 v3, 2, v3
	ds_bpermute_b32 v5, v3, v4
	v_cmp_lt_i32_e32 vcc, v6, v11
	v_and_b32_e32 v22, 63, v0
	s_waitcnt lgkmcnt(0)
	v_max_f32_e32 v5, v5, v5
	v_max_f32_e32 v5, v4, v5
	v_cndmask_b32_e32 v4, v10, v6, vcc
	v_lshlrev_b32_e32 v4, 2, v4
	ds_bpermute_b32 v6, v4, v5
	v_cmp_lt_i32_e32 vcc, v7, v11
	s_waitcnt lgkmcnt(0)
	v_max_f32_e32 v6, v6, v6
	v_max_f32_e32 v6, v5, v6
	v_cndmask_b32_e32 v5, v10, v7, vcc
	v_lshlrev_b32_e32 v5, 2, v5
	ds_bpermute_b32 v7, v5, v6
	v_cmp_lt_i32_e32 vcc, v8, v11
	s_waitcnt lgkmcnt(0)
	v_max_f32_e32 v7, v7, v7
	v_max_f32_e32 v7, v6, v7
	v_cndmask_b32_e32 v6, v10, v8, vcc
	v_lshlrev_b32_e32 v23, 2, v6
	ds_bpermute_b32 v8, v23, v7
	v_cmp_eq_u32_e32 vcc, 0, v22
	v_lshlrev_b32_e32 v6, 2, v1
	s_and_saveexec_b64 s[0:1], vcc
	s_cbranch_execz .LBB343_206
; %bb.205:
	s_waitcnt lgkmcnt(0)
	v_max_f32_e32 v8, v8, v8
	v_max_f32_e32 v7, v7, v7
	;; [unrolled: 1-line block ×3, first 2 shown]
	ds_write_b32 v6, v7 offset:192
.LBB343_206:
	s_or_b64 exec, exec, s[0:1]
	v_cmp_gt_u32_e64 s[0:1], 2, v22
	s_waitcnt lgkmcnt(0)
	v_mov_b32_e32 v8, 0xff7fffff
	v_lshlrev_b32_e32 v7, 2, v22
	s_barrier
	s_and_saveexec_b64 s[2:3], s[0:1]
	s_cbranch_execz .LBB343_208
; %bb.207:
	ds_read_b32 v8, v7 offset:192
.LBB343_208:
	s_or_b64 exec, exec, s[2:3]
	v_xor_b32_e32 v9, 1, v10
	v_cmp_lt_i32_e64 s[2:3], v9, v11
	s_nop 1
	v_cndmask_b32_e64 v9, v10, v9, s[2:3]
	v_lshlrev_b32_e32 v24, 2, v9
	s_waitcnt lgkmcnt(0)
	ds_bpermute_b32 v9, v24, v8
	v_max_f32_e32 v8, v8, v8
	v_lshlrev_b32_e32 v10, 2, v10
	s_lshl_b32 s2, s19, 5
	s_min_i32 s30, s2, s17
	s_waitcnt lgkmcnt(0)
	v_max_f32_e32 v9, v9, v9
	v_max_f32_e32 v9, v8, v9
	v_and_b32_e32 v8, 0xffffff00, v10
	ds_bpermute_b32 v10, v8, v9
	v_cmp_gt_i32_e64 s[2:3], s30, v0
	v_mov_b32_e32 v9, 0
	s_and_saveexec_b64 s[14:15], s[2:3]
	s_cbranch_execz .LBB343_212
; %bb.209:
	v_mov_b32_e32 v9, 0xd0
	v_lshl_add_u32 v11, v0, 2, v9
	s_mov_b64 s[28:29], 0
	v_mov_b32_e32 v9, 0
	v_mov_b32_e32 v12, v0
.LBB343_210:                            ; =>This Inner Loop Header: Depth=1
	ds_read_b32 v13, v11
	v_add_u32_e32 v12, 0x80, v12
	v_cmp_le_i32_e64 s[8:9], s30, v12
	s_or_b64 s[28:29], s[8:9], s[28:29]
	s_waitcnt lgkmcnt(0)
	v_sub_f32_e32 v13, v13, v10
	v_mul_f32_e32 v13, 0x3fb8aa3b, v13
	v_exp_f32_e32 v13, v13
	ds_write_b32 v11, v13
	v_add_f32_e32 v9, v9, v13
	v_add_u32_e32 v11, 0x200, v11
	s_andn2_b64 exec, exec, s[28:29]
	s_cbranch_execnz .LBB343_210
; %bb.211:
	s_or_b64 exec, exec, s[28:29]
.LBB343_212:
	s_or_b64 exec, exec, s[14:15]
	ds_bpermute_b32 v2, v2, v9
	s_waitcnt lgkmcnt(0)
	v_add_f32_e32 v2, v9, v2
	ds_bpermute_b32 v3, v3, v2
	s_waitcnt lgkmcnt(0)
	v_add_f32_e32 v2, v2, v3
	ds_bpermute_b32 v3, v4, v2
	s_waitcnt lgkmcnt(0)
	v_add_f32_e32 v2, v2, v3
	ds_bpermute_b32 v3, v5, v2
	s_waitcnt lgkmcnt(0)
	v_add_f32_e32 v2, v2, v3
	ds_bpermute_b32 v3, v23, v2
	s_waitcnt lgkmcnt(0)
	v_add_f32_e32 v2, v2, v3
	ds_bpermute_b32 v3, v24, v2
	s_waitcnt lgkmcnt(0)
	v_add_f32_e32 v2, v2, v3
	s_and_saveexec_b64 s[8:9], vcc
	s_cbranch_execz .LBB343_214
; %bb.213:
	ds_write_b32 v6, v2 offset:200
.LBB343_214:
	s_or_b64 exec, exec, s[8:9]
	s_waitcnt lgkmcnt(0)
	s_barrier
	s_and_saveexec_b64 s[8:9], s[0:1]
	s_cbranch_execz .LBB343_216
; %bb.215:
	ds_read_b32 v2, v7 offset:200
.LBB343_216:
	s_or_b64 exec, exec, s[8:9]
	s_waitcnt lgkmcnt(0)
	ds_bpermute_b32 v3, v24, v2
	s_waitcnt lgkmcnt(0)
	v_add_f32_e32 v2, v2, v3
	ds_bpermute_b32 v2, v8, v2
	s_and_saveexec_b64 s[0:1], s[2:3]
	s_cbranch_execz .LBB343_229
; %bb.217:
	s_waitcnt lgkmcnt(0)
	v_add_f32_e32 v2, 0x358637bd, v2
	v_div_scale_f32 v3, s[2:3], v2, v2, 1.0
	v_rcp_f32_e32 v4, v3
	v_div_scale_f32 v5, vcc, 1.0, v2, 1.0
	s_movk_i32 s2, 0x7f
	v_fma_f32 v6, -v3, v4, 1.0
	v_fmac_f32_e32 v4, v6, v4
	v_mul_f32_e32 v6, v5, v4
	v_fma_f32 v7, -v3, v6, v5
	v_fmac_f32_e32 v6, v7, v4
	v_fma_f32 v3, -v3, v6, v5
	v_div_fmas_f32 v3, v3, v4, v6
	v_xad_u32 v4, v0, -1, s30
	v_div_fixup_f32 v2, v3, v2, 1.0
	v_cmp_lt_u32_e32 vcc, s2, v4
	s_mov_b64 s[8:9], -1
	v_mov_b32_e32 v3, v0
	s_and_saveexec_b64 s[2:3], vcc
	s_cbranch_execz .LBB343_226
; %bb.218:
	v_lshrrev_b32_e32 v4, 7, v4
	v_add_u32_e32 v6, -1, v4
	v_lshrrev_b32_e32 v5, 1, v6
	v_mov_b32_e32 v3, v2
	v_add_u32_e32 v5, 1, v5
	v_cmp_lt_u32_e32 vcc, 13, v6
	v_mov_b32_e32 v8, 0
	s_and_saveexec_b64 s[8:9], vcc
	s_cbranch_execz .LBB343_222
; %bb.219:
	v_mov_b32_e32 v7, 0xd0
	v_and_b32_e32 v6, -8, v5
	v_lshl_add_u32 v7, v0, 2, v7
	s_mov_b32 s28, 0
	s_mov_b64 s[14:15], 0
.LBB343_220:                            ; =>This Inner Loop Header: Depth=1
	ds_read2st64_b32 v[8:9], v7 offset1:2
	ds_read2st64_b32 v[10:11], v7 offset0:4 offset1:6
	ds_read2st64_b32 v[12:13], v7 offset0:8 offset1:10
	;; [unrolled: 1-line block ×3, first 2 shown]
	v_add_u32_e32 v6, -8, v6
	s_waitcnt lgkmcnt(3)
	v_pk_mul_f32 v[8:9], v[2:3], v[8:9]
	s_waitcnt lgkmcnt(2)
	v_pk_mul_f32 v[10:11], v[2:3], v[10:11]
	ds_write2st64_b32 v7, v8, v9 offset1:2
	ds_write2st64_b32 v7, v10, v11 offset0:4 offset1:6
	ds_read2st64_b32 v[10:11], v7 offset0:16 offset1:18
	s_waitcnt lgkmcnt(4)
	v_pk_mul_f32 v[8:9], v[2:3], v[12:13]
	ds_write2st64_b32 v7, v8, v9 offset0:8 offset1:10
	s_waitcnt lgkmcnt(4)
	v_pk_mul_f32 v[8:9], v[2:3], v[14:15]
	ds_write2st64_b32 v7, v8, v9 offset0:12 offset1:14
	ds_read2st64_b32 v[8:9], v7 offset0:20 offset1:22
	s_waitcnt lgkmcnt(3)
	v_pk_mul_f32 v[10:11], v[2:3], v[10:11]
	ds_read2st64_b32 v[12:13], v7 offset0:24 offset1:26
	ds_write2st64_b32 v7, v10, v11 offset0:16 offset1:18
	ds_read2st64_b32 v[10:11], v7 offset0:28 offset1:30
	s_waitcnt lgkmcnt(3)
	v_pk_mul_f32 v[8:9], v[2:3], v[8:9]
	ds_write2st64_b32 v7, v8, v9 offset0:20 offset1:22
	s_waitcnt lgkmcnt(3)
	v_pk_mul_f32 v[8:9], v[2:3], v[12:13]
	ds_write2st64_b32 v7, v8, v9 offset0:24 offset1:26
	s_waitcnt lgkmcnt(2)
	v_pk_mul_f32 v[8:9], v[2:3], v[10:11]
	s_add_i32 s28, s28, 16
	v_cmp_eq_u32_e32 vcc, 0, v6
	ds_write2st64_b32 v7, v8, v9 offset0:28 offset1:30
	v_add_u32_e32 v7, 0x2000, v7
	s_or_b64 s[14:15], vcc, s[14:15]
	v_mov_b32_e32 v8, s28
	s_andn2_b64 exec, exec, s[14:15]
	s_cbranch_execnz .LBB343_220
; %bb.221:
	s_or_b64 exec, exec, s[14:15]
.LBB343_222:
	s_or_b64 exec, exec, s[8:9]
	v_and_b32_e32 v5, 7, v5
	v_cmp_ne_u32_e32 vcc, 0, v5
	s_and_saveexec_b64 s[8:9], vcc
	s_cbranch_execz .LBB343_225
; %bb.223:
	v_lshlrev_b32_e32 v6, 9, v8
	v_lshlrev_b32_e32 v7, 2, v0
	s_movk_i32 s14, 0xd0
	v_add3_u32 v6, v6, v7, s14
	s_mov_b64 s[14:15], 0
.LBB343_224:                            ; =>This Inner Loop Header: Depth=1
	ds_read2st64_b32 v[8:9], v6 offset1:2
	v_add_u32_e32 v5, -1, v5
	v_cmp_eq_u32_e32 vcc, 0, v5
	s_or_b64 s[14:15], vcc, s[14:15]
	s_waitcnt lgkmcnt(0)
	v_pk_mul_f32 v[8:9], v[2:3], v[8:9]
	ds_write2st64_b32 v6, v8, v9 offset1:2
	v_add_u32_e32 v6, 0x400, v6
	s_andn2_b64 exec, exec, s[14:15]
	s_cbranch_execnz .LBB343_224
.LBB343_225:
	s_or_b64 exec, exec, s[8:9]
	v_add_u32_e32 v4, 1, v4
	v_and_b32_e32 v5, 0x3fffffe, v4
	v_cmp_ne_u32_e32 vcc, v4, v5
	v_lshl_add_u32 v3, v5, 7, v0
	s_orn2_b64 s[8:9], vcc, exec
.LBB343_226:
	s_or_b64 exec, exec, s[2:3]
	s_and_b64 exec, exec, s[8:9]
	s_cbranch_execz .LBB343_229
; %bb.227:
	v_mov_b32_e32 v4, 0xd0
	v_lshl_add_u32 v4, v3, 2, v4
	s_mov_b64 s[2:3], 0
.LBB343_228:                            ; =>This Inner Loop Header: Depth=1
	ds_read_b32 v5, v4
	v_add_u32_e32 v3, 0x80, v3
	v_cmp_le_i32_e32 vcc, s30, v3
	s_or_b64 s[2:3], vcc, s[2:3]
	s_waitcnt lgkmcnt(0)
	v_mul_f32_e32 v5, v2, v5
	ds_write_b32 v4, v5
	v_add_u32_e32 v4, 0x200, v4
	s_andn2_b64 exec, exec, s[2:3]
	s_cbranch_execnz .LBB343_228
.LBB343_229:
	s_or_b64 exec, exec, s[0:1]
	v_mov_b32_e32 v11, 0
	v_and_b32_e32 v25, 3, v0
	v_mov_b32_e32 v10, 0
	v_mov_b32_e32 v13, 0
	;; [unrolled: 1-line block ×5, first 2 shown]
	s_waitcnt lgkmcnt(0)
	s_barrier
	s_and_saveexec_b64 s[2:3], s[6:7]
	s_cbranch_execz .LBB343_661
; %bb.230:
	s_ashr_i32 s1, s33, 31
	s_add_u32 s0, s26, s33
	v_and_b32_e32 v2, 24, v16
	s_addc_u32 s1, s27, s1
	s_load_dword s10, s[10:11], 0x0
	v_and_b32_e32 v16, 0x1f8, v16
	v_mov_b32_e32 v17, 0
	s_add_i32 s11, s19, -1
	v_lshl_add_u64 v[18:19], s[0:1], 0, v[16:17]
	v_lshlrev_b32_e32 v3, 5, v1
	s_lshl_b64 s[0:1], s[24:25], 2
	v_or3_b32 v26, v3, v2, 7
	v_lshlrev_b32_e32 v2, 5, v25
	s_add_u32 s0, s22, s0
	v_lshl_or_b32 v2, v1, 7, v2
	v_and_b32_e32 v16, 60, v20
	s_addc_u32 s1, s23, s1
	v_add_u32_e32 v27, 0xd0, v2
	v_lshl_add_u64 v[20:21], s[0:1], 0, v[16:17]
	s_mov_b64 s[6:7], 0
	s_mov_b32 s14, 0x7f800000
	s_movk_i32 s15, 0x7fff
	v_mov_b32_e32 v14, 0
	v_mov_b32_e32 v15, 0
	;; [unrolled: 1-line block ×6, first 2 shown]
	s_branch .LBB343_232
.LBB343_231:                            ;   in Loop: Header=BB343_232 Depth=1
	s_or_b64 exec, exec, s[0:1]
	v_and_b32_e32 v39, 0xffff0000, v9
	v_and_b32_e32 v38, 0xffff0000, v7
	;; [unrolled: 1-line block ×8, first 2 shown]
	v_pk_add_f32 v[6:7], v[6:7], v[38:39]
	v_pk_add_f32 v[8:9], v[28:29], v[36:37]
	v_add_f32_e32 v6, v6, v7
	v_add_f32_e32 v6, v6, v8
	v_add_f32_e32 v6, v6, v9
	v_and_b32_e32 v29, 0xffff0000, v49
	v_and_b32_e32 v28, 0xffff0000, v47
	v_and_b32_e32 v37, 0xffff0000, v48
	v_and_b32_e32 v36, 0xffff0000, v46
	v_add_f32_e32 v14, v14, v6
	v_and_b32_e32 v7, 0xffff0000, v53
	v_and_b32_e32 v6, 0xffff0000, v51
	v_and_b32_e32 v9, 0xffff0000, v52
	v_and_b32_e32 v8, 0xffff0000, v50
	v_pk_add_f32 v[28:29], v[36:37], v[28:29]
	v_pk_add_f32 v[6:7], v[8:9], v[6:7]
	v_add_f32_e32 v8, v28, v29
	v_add_f32_e32 v6, v8, v6
	v_add_f32_e32 v6, v6, v7
	v_and_b32_e32 v29, 0xffff0000, v57
	v_and_b32_e32 v28, 0xffff0000, v55
	v_and_b32_e32 v37, 0xffff0000, v56
	v_and_b32_e32 v36, 0xffff0000, v54
	v_add_f32_e32 v15, v15, v6
	v_and_b32_e32 v7, 0xffff0000, v61
	v_and_b32_e32 v6, 0xffff0000, v59
	v_and_b32_e32 v9, 0xffff0000, v60
	v_and_b32_e32 v8, 0xffff0000, v58
	;; [unrolled: 14-line block ×5, first 2 shown]
	v_pk_add_f32 v[2:3], v[2:3], v[8:9]
	v_pk_add_f32 v[4:5], v[6:7], v[4:5]
	v_add_f32_e32 v2, v2, v3
	v_add_f32_e32 v2, v2, v4
	v_add_u32_e32 v1, 2, v1
	v_add_f32_e32 v2, v2, v5
	v_cmp_le_i32_e32 vcc, s19, v1
	v_add_f32_e32 v11, v11, v2
	v_add_u32_e32 v26, 64, v26
	v_add_u32_e32 v27, 0x100, v27
	s_or_b64 s[6:7], vcc, s[6:7]
	v_lshl_add_u64 v[20:21], v[20:21], 0, 8
	s_andn2_b64 exec, exec, s[6:7]
	s_cbranch_execz .LBB343_660
.LBB343_232:                            ; =>This Inner Loop Header: Depth=1
	global_load_dword v30, v[20:21], off
	ds_read2_b64 v[6:9], v27 offset1:1
	ds_read2_b64 v[2:5], v27 offset0:2 offset1:3
                                        ; implicit-def: $vgpr38
	s_waitcnt lgkmcnt(0)
	v_and_b32_e32 v16, 0x7f800000, v6
	v_cmp_ne_u32_e32 vcc, s14, v16
	s_and_saveexec_b64 s[0:1], vcc
	s_xor_b64 s[0:1], exec, s[0:1]
; %bb.233:                              ;   in Loop: Header=BB343_232 Depth=1
	v_bfe_u32 v16, v6, 16, 1
	v_add3_u32 v38, v6, v16, s15
; %bb.234:                              ;   in Loop: Header=BB343_232 Depth=1
	s_andn2_saveexec_b64 s[0:1], s[0:1]
; %bb.235:                              ;   in Loop: Header=BB343_232 Depth=1
	v_or_b32_e32 v16, 0x10000, v6
	v_cmp_eq_u32_sdwa vcc, v6, v17 src0_sel:WORD_0 src1_sel:DWORD
	s_nop 1
	v_cndmask_b32_e32 v38, v16, v6, vcc
; %bb.236:                              ;   in Loop: Header=BB343_232 Depth=1
	s_or_b64 exec, exec, s[0:1]
	v_and_b32_e32 v6, 0x7f800000, v7
	v_cmp_ne_u32_e32 vcc, s14, v6
                                        ; implicit-def: $vgpr39
	s_and_saveexec_b64 s[0:1], vcc
	s_xor_b64 s[0:1], exec, s[0:1]
; %bb.237:                              ;   in Loop: Header=BB343_232 Depth=1
	v_bfe_u32 v6, v7, 16, 1
	v_add3_u32 v39, v7, v6, s15
; %bb.238:                              ;   in Loop: Header=BB343_232 Depth=1
	s_andn2_saveexec_b64 s[0:1], s[0:1]
; %bb.239:                              ;   in Loop: Header=BB343_232 Depth=1
	v_or_b32_e32 v6, 0x10000, v7
	v_cmp_eq_u32_sdwa vcc, v7, v17 src0_sel:WORD_0 src1_sel:DWORD
	s_nop 1
	v_cndmask_b32_e32 v39, v6, v7, vcc
; %bb.240:                              ;   in Loop: Header=BB343_232 Depth=1
	s_or_b64 exec, exec, s[0:1]
	v_and_b32_e32 v6, 0x7f800000, v8
	v_cmp_ne_u32_e32 vcc, s14, v6
                                        ; implicit-def: $vgpr40
	s_and_saveexec_b64 s[0:1], vcc
	s_xor_b64 s[0:1], exec, s[0:1]
; %bb.241:                              ;   in Loop: Header=BB343_232 Depth=1
	v_bfe_u32 v6, v8, 16, 1
	v_add3_u32 v40, v8, v6, s15
; %bb.242:                              ;   in Loop: Header=BB343_232 Depth=1
	s_andn2_saveexec_b64 s[0:1], s[0:1]
; %bb.243:                              ;   in Loop: Header=BB343_232 Depth=1
	v_or_b32_e32 v6, 0x10000, v8
	v_cmp_eq_u32_sdwa vcc, v8, v17 src0_sel:WORD_0 src1_sel:DWORD
	s_nop 1
	v_cndmask_b32_e32 v40, v6, v8, vcc
; %bb.244:                              ;   in Loop: Header=BB343_232 Depth=1
	s_or_b64 exec, exec, s[0:1]
	v_and_b32_e32 v6, 0x7f800000, v9
	v_cmp_ne_u32_e32 vcc, s14, v6
                                        ; implicit-def: $vgpr41
	s_and_saveexec_b64 s[0:1], vcc
	s_xor_b64 s[0:1], exec, s[0:1]
; %bb.245:                              ;   in Loop: Header=BB343_232 Depth=1
	v_bfe_u32 v6, v9, 16, 1
	v_add3_u32 v41, v9, v6, s15
                                        ; implicit-def: $vgpr6_vgpr7_vgpr8_vgpr9
; %bb.246:                              ;   in Loop: Header=BB343_232 Depth=1
	s_andn2_saveexec_b64 s[0:1], s[0:1]
; %bb.247:                              ;   in Loop: Header=BB343_232 Depth=1
	v_or_b32_e32 v6, 0x10000, v9
	v_cmp_eq_u32_sdwa vcc, v9, v17 src0_sel:WORD_0 src1_sel:DWORD
	s_nop 1
	v_cndmask_b32_e32 v41, v6, v9, vcc
; %bb.248:                              ;   in Loop: Header=BB343_232 Depth=1
	s_or_b64 exec, exec, s[0:1]
	v_and_b32_e32 v6, 0x7f800000, v2
	v_cmp_ne_u32_e32 vcc, s14, v6
                                        ; implicit-def: $vgpr16
	s_and_saveexec_b64 s[0:1], vcc
	s_xor_b64 s[0:1], exec, s[0:1]
; %bb.249:                              ;   in Loop: Header=BB343_232 Depth=1
	v_bfe_u32 v6, v2, 16, 1
	v_add3_u32 v16, v2, v6, s15
; %bb.250:                              ;   in Loop: Header=BB343_232 Depth=1
	s_andn2_saveexec_b64 s[0:1], s[0:1]
; %bb.251:                              ;   in Loop: Header=BB343_232 Depth=1
	v_or_b32_e32 v6, 0x10000, v2
	v_cmp_eq_u32_sdwa vcc, v2, v17 src0_sel:WORD_0 src1_sel:DWORD
	s_nop 1
	v_cndmask_b32_e32 v16, v6, v2, vcc
; %bb.252:                              ;   in Loop: Header=BB343_232 Depth=1
	s_or_b64 exec, exec, s[0:1]
	v_and_b32_e32 v2, 0x7f800000, v3
	v_cmp_ne_u32_e32 vcc, s14, v2
                                        ; implicit-def: $vgpr28
	s_and_saveexec_b64 s[0:1], vcc
	s_xor_b64 s[0:1], exec, s[0:1]
; %bb.253:                              ;   in Loop: Header=BB343_232 Depth=1
	v_bfe_u32 v2, v3, 16, 1
	v_add3_u32 v28, v3, v2, s15
; %bb.254:                              ;   in Loop: Header=BB343_232 Depth=1
	s_andn2_saveexec_b64 s[0:1], s[0:1]
; %bb.255:                              ;   in Loop: Header=BB343_232 Depth=1
	v_or_b32_e32 v2, 0x10000, v3
	v_cmp_eq_u32_sdwa vcc, v3, v17 src0_sel:WORD_0 src1_sel:DWORD
	s_nop 1
	v_cndmask_b32_e32 v28, v2, v3, vcc
; %bb.256:                              ;   in Loop: Header=BB343_232 Depth=1
	s_or_b64 exec, exec, s[0:1]
	v_and_b32_e32 v2, 0x7f800000, v4
	v_cmp_ne_u32_e32 vcc, s14, v2
                                        ; implicit-def: $vgpr29
	s_and_saveexec_b64 s[0:1], vcc
	s_xor_b64 s[0:1], exec, s[0:1]
; %bb.257:                              ;   in Loop: Header=BB343_232 Depth=1
	v_bfe_u32 v2, v4, 16, 1
	v_add3_u32 v29, v4, v2, s15
; %bb.258:                              ;   in Loop: Header=BB343_232 Depth=1
	s_andn2_saveexec_b64 s[0:1], s[0:1]
; %bb.259:                              ;   in Loop: Header=BB343_232 Depth=1
	v_or_b32_e32 v2, 0x10000, v4
	v_cmp_eq_u32_sdwa vcc, v4, v17 src0_sel:WORD_0 src1_sel:DWORD
	s_nop 1
	v_cndmask_b32_e32 v29, v2, v4, vcc
; %bb.260:                              ;   in Loop: Header=BB343_232 Depth=1
	s_or_b64 exec, exec, s[0:1]
	v_and_b32_e32 v2, 0x7f800000, v5
	v_cmp_ne_u32_e32 vcc, s14, v2
                                        ; implicit-def: $vgpr37
	s_and_saveexec_b64 s[0:1], vcc
	s_xor_b64 s[0:1], exec, s[0:1]
; %bb.261:                              ;   in Loop: Header=BB343_232 Depth=1
	v_bfe_u32 v2, v5, 16, 1
	v_add3_u32 v37, v5, v2, s15
                                        ; implicit-def: $vgpr2_vgpr3_vgpr4_vgpr5
; %bb.262:                              ;   in Loop: Header=BB343_232 Depth=1
	s_andn2_saveexec_b64 s[0:1], s[0:1]
; %bb.263:                              ;   in Loop: Header=BB343_232 Depth=1
	v_or_b32_e32 v2, 0x10000, v5
	v_cmp_eq_u32_sdwa vcc, v5, v17 src0_sel:WORD_0 src1_sel:DWORD
	s_nop 1
	v_cndmask_b32_e32 v37, v2, v5, vcc
; %bb.264:                              ;   in Loop: Header=BB343_232 Depth=1
	s_or_b64 exec, exec, s[0:1]
	s_waitcnt vmcnt(0)
	v_mad_i64_i32 v[2:3], s[0:1], v30, s13, v[18:19]
	global_load_dwordx2 v[4:5], v[2:3], off
	s_waitcnt vmcnt(0)
	v_and_b32_e32 v6, 0xff, v4
	v_cvt_f32_fp8_sdwa v6, v6 src0_sel:BYTE_0
	s_nop 0
	v_mul_f32_e32 v7, s10, v6
	v_and_b32_e32 v6, 0x7f800000, v7
	v_cmp_ne_u32_e32 vcc, s14, v6
                                        ; implicit-def: $vgpr6
	s_and_saveexec_b64 s[0:1], vcc
	s_xor_b64 s[0:1], exec, s[0:1]
; %bb.265:                              ;   in Loop: Header=BB343_232 Depth=1
	v_bfe_u32 v6, v7, 16, 1
	v_add3_u32 v6, v7, v6, s15
                                        ; implicit-def: $vgpr7
; %bb.266:                              ;   in Loop: Header=BB343_232 Depth=1
	s_andn2_saveexec_b64 s[0:1], s[0:1]
; %bb.267:                              ;   in Loop: Header=BB343_232 Depth=1
	v_or_b32_e32 v6, 0x10000, v7
	v_cmp_eq_u32_sdwa vcc, v7, v17 src0_sel:WORD_0 src1_sel:DWORD
	s_nop 1
	v_cndmask_b32_e32 v6, v6, v7, vcc
; %bb.268:                              ;   in Loop: Header=BB343_232 Depth=1
	s_or_b64 exec, exec, s[0:1]
	v_bfe_u32 v7, v4, 8, 8
	v_cvt_f32_fp8_sdwa v7, v7 src0_sel:BYTE_0
	s_nop 0
	v_mul_f32_e32 v8, s10, v7
	v_and_b32_e32 v7, 0x7f800000, v8
	v_cmp_ne_u32_e32 vcc, s14, v7
                                        ; implicit-def: $vgpr7
	s_and_saveexec_b64 s[0:1], vcc
	s_xor_b64 s[0:1], exec, s[0:1]
; %bb.269:                              ;   in Loop: Header=BB343_232 Depth=1
	v_bfe_u32 v7, v8, 16, 1
	v_add3_u32 v7, v8, v7, s15
                                        ; implicit-def: $vgpr8
; %bb.270:                              ;   in Loop: Header=BB343_232 Depth=1
	s_andn2_saveexec_b64 s[0:1], s[0:1]
; %bb.271:                              ;   in Loop: Header=BB343_232 Depth=1
	v_or_b32_e32 v7, 0x10000, v8
	v_cmp_eq_u32_sdwa vcc, v8, v17 src0_sel:WORD_0 src1_sel:DWORD
	s_nop 1
	v_cndmask_b32_e32 v7, v7, v8, vcc
; %bb.272:                              ;   in Loop: Header=BB343_232 Depth=1
	s_or_b64 exec, exec, s[0:1]
	v_bfe_u32 v8, v4, 16, 8
	v_cvt_f32_fp8_sdwa v8, v8 src0_sel:BYTE_0
	s_nop 0
	v_mul_f32_e32 v9, s10, v8
	v_and_b32_e32 v8, 0x7f800000, v9
	v_cmp_ne_u32_e32 vcc, s14, v8
                                        ; implicit-def: $vgpr8
	s_and_saveexec_b64 s[0:1], vcc
	s_xor_b64 s[0:1], exec, s[0:1]
; %bb.273:                              ;   in Loop: Header=BB343_232 Depth=1
	v_bfe_u32 v8, v9, 16, 1
	v_add3_u32 v8, v9, v8, s15
                                        ; implicit-def: $vgpr9
; %bb.274:                              ;   in Loop: Header=BB343_232 Depth=1
	s_andn2_saveexec_b64 s[0:1], s[0:1]
; %bb.275:                              ;   in Loop: Header=BB343_232 Depth=1
	v_or_b32_e32 v8, 0x10000, v9
	v_cmp_eq_u32_sdwa vcc, v9, v17 src0_sel:WORD_0 src1_sel:DWORD
	s_nop 1
	v_cndmask_b32_e32 v8, v8, v9, vcc
; %bb.276:                              ;   in Loop: Header=BB343_232 Depth=1
	s_or_b64 exec, exec, s[0:1]
	v_lshrrev_b32_e32 v4, 24, v4
	v_cvt_f32_fp8_sdwa v4, v4 src0_sel:BYTE_0
	s_nop 0
	v_mul_f32_e32 v9, s10, v4
	v_and_b32_e32 v4, 0x7f800000, v9
	v_cmp_ne_u32_e32 vcc, s14, v4
                                        ; implicit-def: $vgpr4
	s_and_saveexec_b64 s[0:1], vcc
	s_xor_b64 s[0:1], exec, s[0:1]
; %bb.277:                              ;   in Loop: Header=BB343_232 Depth=1
	v_bfe_u32 v4, v9, 16, 1
	v_add3_u32 v4, v9, v4, s15
                                        ; implicit-def: $vgpr9
; %bb.278:                              ;   in Loop: Header=BB343_232 Depth=1
	s_andn2_saveexec_b64 s[0:1], s[0:1]
; %bb.279:                              ;   in Loop: Header=BB343_232 Depth=1
	v_or_b32_e32 v4, 0x10000, v9
	v_cmp_eq_u32_sdwa vcc, v9, v17 src0_sel:WORD_0 src1_sel:DWORD
	s_nop 1
	v_cndmask_b32_e32 v4, v4, v9, vcc
; %bb.280:                              ;   in Loop: Header=BB343_232 Depth=1
	s_or_b64 exec, exec, s[0:1]
	v_and_b32_e32 v9, 0xff, v5
	v_cvt_f32_fp8_sdwa v9, v9 src0_sel:BYTE_0
	s_nop 0
	v_mul_f32_e32 v30, s10, v9
	v_and_b32_e32 v9, 0x7f800000, v30
	v_cmp_ne_u32_e32 vcc, s14, v9
                                        ; implicit-def: $vgpr9
	s_and_saveexec_b64 s[0:1], vcc
	s_xor_b64 s[0:1], exec, s[0:1]
; %bb.281:                              ;   in Loop: Header=BB343_232 Depth=1
	v_bfe_u32 v9, v30, 16, 1
	v_add3_u32 v9, v30, v9, s15
                                        ; implicit-def: $vgpr30
; %bb.282:                              ;   in Loop: Header=BB343_232 Depth=1
	s_andn2_saveexec_b64 s[0:1], s[0:1]
; %bb.283:                              ;   in Loop: Header=BB343_232 Depth=1
	v_or_b32_e32 v9, 0x10000, v30
	v_cmp_eq_u32_sdwa vcc, v30, v17 src0_sel:WORD_0 src1_sel:DWORD
	s_nop 1
	v_cndmask_b32_e32 v9, v9, v30, vcc
; %bb.284:                              ;   in Loop: Header=BB343_232 Depth=1
	s_or_b64 exec, exec, s[0:1]
	v_bfe_u32 v30, v5, 8, 8
	v_cvt_f32_fp8_sdwa v30, v30 src0_sel:BYTE_0
	s_nop 0
	v_mul_f32_e32 v30, s10, v30
	v_and_b32_e32 v31, 0x7f800000, v30
	v_cmp_ne_u32_e32 vcc, s14, v31
                                        ; implicit-def: $vgpr31
	s_and_saveexec_b64 s[0:1], vcc
	s_xor_b64 s[0:1], exec, s[0:1]
; %bb.285:                              ;   in Loop: Header=BB343_232 Depth=1
	v_bfe_u32 v31, v30, 16, 1
	v_add3_u32 v31, v30, v31, s15
                                        ; implicit-def: $vgpr30
; %bb.286:                              ;   in Loop: Header=BB343_232 Depth=1
	s_andn2_saveexec_b64 s[0:1], s[0:1]
; %bb.287:                              ;   in Loop: Header=BB343_232 Depth=1
	v_or_b32_e32 v31, 0x10000, v30
	v_cmp_eq_u32_sdwa vcc, v30, v17 src0_sel:WORD_0 src1_sel:DWORD
	s_nop 1
	v_cndmask_b32_e32 v31, v31, v30, vcc
; %bb.288:                              ;   in Loop: Header=BB343_232 Depth=1
	s_or_b64 exec, exec, s[0:1]
	v_bfe_u32 v30, v5, 16, 8
	v_cvt_f32_fp8_sdwa v30, v30 src0_sel:BYTE_0
	s_nop 0
	v_mul_f32_e32 v30, s10, v30
	v_and_b32_e32 v32, 0x7f800000, v30
	v_cmp_ne_u32_e32 vcc, s14, v32
                                        ; implicit-def: $vgpr32
	s_and_saveexec_b64 s[0:1], vcc
	s_xor_b64 s[0:1], exec, s[0:1]
; %bb.289:                              ;   in Loop: Header=BB343_232 Depth=1
	v_bfe_u32 v32, v30, 16, 1
	v_add3_u32 v32, v30, v32, s15
                                        ; implicit-def: $vgpr30
; %bb.290:                              ;   in Loop: Header=BB343_232 Depth=1
	s_andn2_saveexec_b64 s[0:1], s[0:1]
; %bb.291:                              ;   in Loop: Header=BB343_232 Depth=1
	v_or_b32_e32 v32, 0x10000, v30
	v_cmp_eq_u32_sdwa vcc, v30, v17 src0_sel:WORD_0 src1_sel:DWORD
	s_nop 1
	v_cndmask_b32_e32 v32, v32, v30, vcc
; %bb.292:                              ;   in Loop: Header=BB343_232 Depth=1
	s_or_b64 exec, exec, s[0:1]
	v_lshrrev_b32_e32 v5, 24, v5
	v_cvt_f32_fp8_sdwa v5, v5 src0_sel:BYTE_0
                                        ; implicit-def: $vgpr33
	s_nop 0
	v_mul_f32_e32 v5, s10, v5
	v_and_b32_e32 v30, 0x7f800000, v5
	v_cmp_ne_u32_e32 vcc, s14, v30
	s_and_saveexec_b64 s[0:1], vcc
	s_xor_b64 s[0:1], exec, s[0:1]
; %bb.293:                              ;   in Loop: Header=BB343_232 Depth=1
	v_bfe_u32 v30, v5, 16, 1
	v_add3_u32 v33, v5, v30, s15
                                        ; implicit-def: $vgpr5
; %bb.294:                              ;   in Loop: Header=BB343_232 Depth=1
	s_andn2_saveexec_b64 s[0:1], s[0:1]
; %bb.295:                              ;   in Loop: Header=BB343_232 Depth=1
	v_or_b32_e32 v30, 0x10000, v5
	v_cmp_eq_u32_sdwa vcc, v5, v17 src0_sel:WORD_0 src1_sel:DWORD
	s_nop 1
	v_cndmask_b32_e32 v33, v30, v5, vcc
; %bb.296:                              ;   in Loop: Header=BB343_232 Depth=1
	s_or_b64 exec, exec, s[0:1]
	v_cmp_eq_u32_e32 vcc, s11, v1
	v_add_u32_e32 v30, -7, v26
	v_lshrrev_b32_e32 v44, 16, v31
	v_lshrrev_b32_e32 v43, 16, v9
	;; [unrolled: 1-line block ×8, first 2 shown]
	v_add_u32_e32 v36, -6, v26
	v_add_u32_e32 v35, -5, v26
	;; [unrolled: 1-line block ×6, first 2 shown]
	s_and_saveexec_b64 s[8:9], vcc
	s_cbranch_execz .LBB343_298
; %bb.297:                              ;   in Loop: Header=BB343_232 Depth=1
	v_cmp_gt_i32_e64 s[0:1], s17, v30
	s_nop 1
	v_cndmask_b32_e64 v6, 0, v6, s[0:1]
	v_cmp_gt_i32_e64 s[0:1], s17, v36
	s_nop 1
	v_cndmask_b32_e64 v7, 0, v7, s[0:1]
	;; [unrolled: 3-line block ×8, first 2 shown]
.LBB343_298:                            ;   in Loop: Header=BB343_232 Depth=1
	s_or_b64 exec, exec, s[8:9]
	v_and_b32_e32 v38, 0xffff0000, v38
	v_lshlrev_b32_e32 v6, 16, v6
	v_mul_f32_e32 v42, v38, v6
	v_and_b32_e32 v6, 0x7f800000, v42
	v_cmp_ne_u32_e64 s[0:1], s14, v6
                                        ; implicit-def: $vgpr6
	s_and_saveexec_b64 s[8:9], s[0:1]
	s_xor_b64 s[0:1], exec, s[8:9]
; %bb.299:                              ;   in Loop: Header=BB343_232 Depth=1
	v_bfe_u32 v6, v42, 16, 1
	v_add3_u32 v6, v42, v6, s15
                                        ; implicit-def: $vgpr42
; %bb.300:                              ;   in Loop: Header=BB343_232 Depth=1
	s_andn2_saveexec_b64 s[8:9], s[0:1]
; %bb.301:                              ;   in Loop: Header=BB343_232 Depth=1
	v_or_b32_e32 v6, 0x10000, v42
	v_cmp_eq_u32_sdwa s[0:1], v42, v17 src0_sel:WORD_0 src1_sel:DWORD
	s_nop 1
	v_cndmask_b32_e64 v6, v6, v42, s[0:1]
; %bb.302:                              ;   in Loop: Header=BB343_232 Depth=1
	s_or_b64 exec, exec, s[8:9]
	v_and_b32_e32 v39, 0xffff0000, v39
	v_lshlrev_b32_e32 v7, 16, v7
	v_mul_f32_e32 v42, v39, v7
	v_and_b32_e32 v7, 0x7f800000, v42
	v_cmp_ne_u32_e64 s[0:1], s14, v7
                                        ; implicit-def: $vgpr7
	s_and_saveexec_b64 s[8:9], s[0:1]
	s_xor_b64 s[0:1], exec, s[8:9]
; %bb.303:                              ;   in Loop: Header=BB343_232 Depth=1
	v_bfe_u32 v7, v42, 16, 1
	v_add3_u32 v7, v42, v7, s15
                                        ; implicit-def: $vgpr42
; %bb.304:                              ;   in Loop: Header=BB343_232 Depth=1
	s_andn2_saveexec_b64 s[8:9], s[0:1]
; %bb.305:                              ;   in Loop: Header=BB343_232 Depth=1
	v_or_b32_e32 v7, 0x10000, v42
	v_cmp_eq_u32_sdwa s[0:1], v42, v17 src0_sel:WORD_0 src1_sel:DWORD
	s_nop 1
	v_cndmask_b32_e64 v7, v7, v42, s[0:1]
; %bb.306:                              ;   in Loop: Header=BB343_232 Depth=1
	s_or_b64 exec, exec, s[8:9]
	v_and_b32_e32 v40, 0xffff0000, v40
	v_lshlrev_b32_e32 v8, 16, v8
	v_mul_f32_e32 v42, v40, v8
	v_and_b32_e32 v8, 0x7f800000, v42
	v_cmp_ne_u32_e64 s[0:1], s14, v8
                                        ; implicit-def: $vgpr8
	s_and_saveexec_b64 s[8:9], s[0:1]
	s_xor_b64 s[0:1], exec, s[8:9]
; %bb.307:                              ;   in Loop: Header=BB343_232 Depth=1
	v_bfe_u32 v8, v42, 16, 1
	v_add3_u32 v8, v42, v8, s15
                                        ; implicit-def: $vgpr42
; %bb.308:                              ;   in Loop: Header=BB343_232 Depth=1
	s_andn2_saveexec_b64 s[8:9], s[0:1]
; %bb.309:                              ;   in Loop: Header=BB343_232 Depth=1
	v_or_b32_e32 v8, 0x10000, v42
	v_cmp_eq_u32_sdwa s[0:1], v42, v17 src0_sel:WORD_0 src1_sel:DWORD
	s_nop 1
	v_cndmask_b32_e64 v8, v8, v42, s[0:1]
; %bb.310:                              ;   in Loop: Header=BB343_232 Depth=1
	s_or_b64 exec, exec, s[8:9]
	v_and_b32_e32 v41, 0xffff0000, v41
	v_lshlrev_b32_e32 v9, 16, v9
	v_mul_f32_e32 v42, v41, v9
	v_and_b32_e32 v9, 0x7f800000, v42
	v_cmp_ne_u32_e64 s[0:1], s14, v9
                                        ; implicit-def: $vgpr9
	s_and_saveexec_b64 s[8:9], s[0:1]
	s_xor_b64 s[0:1], exec, s[8:9]
; %bb.311:                              ;   in Loop: Header=BB343_232 Depth=1
	v_bfe_u32 v9, v42, 16, 1
	v_add3_u32 v9, v42, v9, s15
                                        ; implicit-def: $vgpr42
; %bb.312:                              ;   in Loop: Header=BB343_232 Depth=1
	s_andn2_saveexec_b64 s[8:9], s[0:1]
; %bb.313:                              ;   in Loop: Header=BB343_232 Depth=1
	v_or_b32_e32 v9, 0x10000, v42
	v_cmp_eq_u32_sdwa s[0:1], v42, v17 src0_sel:WORD_0 src1_sel:DWORD
	s_nop 1
	v_cndmask_b32_e64 v9, v9, v42, s[0:1]
; %bb.314:                              ;   in Loop: Header=BB343_232 Depth=1
	s_or_b64 exec, exec, s[8:9]
	v_and_b32_e32 v42, 0xffff0000, v16
	v_lshlrev_b32_e32 v16, 16, v43
	v_mul_f32_e32 v43, v42, v16
	v_and_b32_e32 v16, 0x7f800000, v43
	v_cmp_ne_u32_e64 s[0:1], s14, v16
                                        ; implicit-def: $vgpr16
	s_and_saveexec_b64 s[8:9], s[0:1]
	s_xor_b64 s[0:1], exec, s[8:9]
; %bb.315:                              ;   in Loop: Header=BB343_232 Depth=1
	v_bfe_u32 v16, v43, 16, 1
	v_add3_u32 v16, v43, v16, s15
                                        ; implicit-def: $vgpr43
; %bb.316:                              ;   in Loop: Header=BB343_232 Depth=1
	s_andn2_saveexec_b64 s[8:9], s[0:1]
; %bb.317:                              ;   in Loop: Header=BB343_232 Depth=1
	v_or_b32_e32 v16, 0x10000, v43
	v_cmp_eq_u32_sdwa s[0:1], v43, v17 src0_sel:WORD_0 src1_sel:DWORD
	s_nop 1
	v_cndmask_b32_e64 v16, v16, v43, s[0:1]
; %bb.318:                              ;   in Loop: Header=BB343_232 Depth=1
	s_or_b64 exec, exec, s[8:9]
	v_and_b32_e32 v43, 0xffff0000, v28
	v_lshlrev_b32_e32 v28, 16, v44
	v_mul_f32_e32 v44, v43, v28
	v_and_b32_e32 v28, 0x7f800000, v44
	v_cmp_ne_u32_e64 s[0:1], s14, v28
                                        ; implicit-def: $vgpr28
	s_and_saveexec_b64 s[8:9], s[0:1]
	s_xor_b64 s[0:1], exec, s[8:9]
; %bb.319:                              ;   in Loop: Header=BB343_232 Depth=1
	v_bfe_u32 v28, v44, 16, 1
	v_add3_u32 v28, v44, v28, s15
                                        ; implicit-def: $vgpr44
; %bb.320:                              ;   in Loop: Header=BB343_232 Depth=1
	s_andn2_saveexec_b64 s[8:9], s[0:1]
; %bb.321:                              ;   in Loop: Header=BB343_232 Depth=1
	v_or_b32_e32 v28, 0x10000, v44
	v_cmp_eq_u32_sdwa s[0:1], v44, v17 src0_sel:WORD_0 src1_sel:DWORD
	s_nop 1
	v_cndmask_b32_e64 v28, v28, v44, s[0:1]
; %bb.322:                              ;   in Loop: Header=BB343_232 Depth=1
	s_or_b64 exec, exec, s[8:9]
	v_and_b32_e32 v44, 0xffff0000, v29
	v_lshlrev_b32_e32 v5, 16, v5
	v_mul_f32_e32 v5, v44, v5
	v_and_b32_e32 v29, 0x7f800000, v5
	v_cmp_ne_u32_e64 s[0:1], s14, v29
                                        ; implicit-def: $vgpr29
	s_and_saveexec_b64 s[8:9], s[0:1]
	s_xor_b64 s[0:1], exec, s[8:9]
; %bb.323:                              ;   in Loop: Header=BB343_232 Depth=1
	v_bfe_u32 v29, v5, 16, 1
	v_add3_u32 v29, v5, v29, s15
                                        ; implicit-def: $vgpr5
; %bb.324:                              ;   in Loop: Header=BB343_232 Depth=1
	s_andn2_saveexec_b64 s[8:9], s[0:1]
; %bb.325:                              ;   in Loop: Header=BB343_232 Depth=1
	v_or_b32_e32 v29, 0x10000, v5
	v_cmp_eq_u32_sdwa s[0:1], v5, v17 src0_sel:WORD_0 src1_sel:DWORD
	s_nop 1
	v_cndmask_b32_e64 v29, v29, v5, s[0:1]
; %bb.326:                              ;   in Loop: Header=BB343_232 Depth=1
	s_or_b64 exec, exec, s[8:9]
	v_and_b32_e32 v45, 0xffff0000, v37
	v_lshlrev_b32_e32 v4, 16, v4
	v_mul_f32_e32 v4, v45, v4
	v_and_b32_e32 v5, 0x7f800000, v4
	v_cmp_ne_u32_e64 s[0:1], s14, v5
                                        ; implicit-def: $vgpr37
	s_and_saveexec_b64 s[8:9], s[0:1]
	s_xor_b64 s[0:1], exec, s[8:9]
; %bb.327:                              ;   in Loop: Header=BB343_232 Depth=1
	v_bfe_u32 v5, v4, 16, 1
	v_add3_u32 v37, v4, v5, s15
                                        ; implicit-def: $vgpr4
; %bb.328:                              ;   in Loop: Header=BB343_232 Depth=1
	s_andn2_saveexec_b64 s[8:9], s[0:1]
; %bb.329:                              ;   in Loop: Header=BB343_232 Depth=1
	v_or_b32_e32 v5, 0x10000, v4
	v_cmp_eq_u32_sdwa s[0:1], v4, v17 src0_sel:WORD_0 src1_sel:DWORD
	s_nop 1
	v_cndmask_b32_e64 v37, v5, v4, s[0:1]
; %bb.330:                              ;   in Loop: Header=BB343_232 Depth=1
	s_or_b64 exec, exec, s[8:9]
	global_load_dwordx2 v[4:5], v[2:3], off offset:512
	s_waitcnt vmcnt(0)
	v_and_b32_e32 v46, 0xff, v4
	v_cvt_f32_fp8_sdwa v46, v46 src0_sel:BYTE_0
	s_nop 0
	v_mul_f32_e32 v47, s10, v46
	v_and_b32_e32 v46, 0x7f800000, v47
	v_cmp_ne_u32_e64 s[0:1], s14, v46
                                        ; implicit-def: $vgpr46
	s_and_saveexec_b64 s[8:9], s[0:1]
	s_xor_b64 s[0:1], exec, s[8:9]
; %bb.331:                              ;   in Loop: Header=BB343_232 Depth=1
	v_bfe_u32 v46, v47, 16, 1
	v_add3_u32 v46, v47, v46, s15
                                        ; implicit-def: $vgpr47
; %bb.332:                              ;   in Loop: Header=BB343_232 Depth=1
	s_andn2_saveexec_b64 s[8:9], s[0:1]
; %bb.333:                              ;   in Loop: Header=BB343_232 Depth=1
	v_or_b32_e32 v46, 0x10000, v47
	v_cmp_eq_u32_sdwa s[0:1], v47, v17 src0_sel:WORD_0 src1_sel:DWORD
	s_nop 1
	v_cndmask_b32_e64 v46, v46, v47, s[0:1]
; %bb.334:                              ;   in Loop: Header=BB343_232 Depth=1
	s_or_b64 exec, exec, s[8:9]
	v_bfe_u32 v47, v4, 8, 8
	v_cvt_f32_fp8_sdwa v47, v47 src0_sel:BYTE_0
	s_nop 0
	v_mul_f32_e32 v48, s10, v47
	v_and_b32_e32 v47, 0x7f800000, v48
	v_cmp_ne_u32_e64 s[0:1], s14, v47
                                        ; implicit-def: $vgpr47
	s_and_saveexec_b64 s[8:9], s[0:1]
	s_xor_b64 s[0:1], exec, s[8:9]
; %bb.335:                              ;   in Loop: Header=BB343_232 Depth=1
	v_bfe_u32 v47, v48, 16, 1
	v_add3_u32 v47, v48, v47, s15
                                        ; implicit-def: $vgpr48
; %bb.336:                              ;   in Loop: Header=BB343_232 Depth=1
	s_andn2_saveexec_b64 s[8:9], s[0:1]
; %bb.337:                              ;   in Loop: Header=BB343_232 Depth=1
	v_or_b32_e32 v47, 0x10000, v48
	v_cmp_eq_u32_sdwa s[0:1], v48, v17 src0_sel:WORD_0 src1_sel:DWORD
	s_nop 1
	v_cndmask_b32_e64 v47, v47, v48, s[0:1]
; %bb.338:                              ;   in Loop: Header=BB343_232 Depth=1
	s_or_b64 exec, exec, s[8:9]
	v_bfe_u32 v48, v4, 16, 8
	v_cvt_f32_fp8_sdwa v48, v48 src0_sel:BYTE_0
	s_nop 0
	v_mul_f32_e32 v49, s10, v48
	v_and_b32_e32 v48, 0x7f800000, v49
	v_cmp_ne_u32_e64 s[0:1], s14, v48
                                        ; implicit-def: $vgpr48
	s_and_saveexec_b64 s[8:9], s[0:1]
	s_xor_b64 s[0:1], exec, s[8:9]
; %bb.339:                              ;   in Loop: Header=BB343_232 Depth=1
	v_bfe_u32 v48, v49, 16, 1
	v_add3_u32 v48, v49, v48, s15
                                        ; implicit-def: $vgpr49
; %bb.340:                              ;   in Loop: Header=BB343_232 Depth=1
	s_andn2_saveexec_b64 s[8:9], s[0:1]
; %bb.341:                              ;   in Loop: Header=BB343_232 Depth=1
	v_or_b32_e32 v48, 0x10000, v49
	v_cmp_eq_u32_sdwa s[0:1], v49, v17 src0_sel:WORD_0 src1_sel:DWORD
	s_nop 1
	v_cndmask_b32_e64 v48, v48, v49, s[0:1]
; %bb.342:                              ;   in Loop: Header=BB343_232 Depth=1
	s_or_b64 exec, exec, s[8:9]
	v_lshrrev_b32_e32 v4, 24, v4
	v_cvt_f32_fp8_sdwa v4, v4 src0_sel:BYTE_0
	s_nop 0
	v_mul_f32_e32 v49, s10, v4
	v_and_b32_e32 v4, 0x7f800000, v49
	v_cmp_ne_u32_e64 s[0:1], s14, v4
                                        ; implicit-def: $vgpr4
	s_and_saveexec_b64 s[8:9], s[0:1]
	s_xor_b64 s[0:1], exec, s[8:9]
; %bb.343:                              ;   in Loop: Header=BB343_232 Depth=1
	v_bfe_u32 v4, v49, 16, 1
	v_add3_u32 v4, v49, v4, s15
                                        ; implicit-def: $vgpr49
; %bb.344:                              ;   in Loop: Header=BB343_232 Depth=1
	s_andn2_saveexec_b64 s[8:9], s[0:1]
; %bb.345:                              ;   in Loop: Header=BB343_232 Depth=1
	v_or_b32_e32 v4, 0x10000, v49
	v_cmp_eq_u32_sdwa s[0:1], v49, v17 src0_sel:WORD_0 src1_sel:DWORD
	s_nop 1
	v_cndmask_b32_e64 v4, v4, v49, s[0:1]
; %bb.346:                              ;   in Loop: Header=BB343_232 Depth=1
	s_or_b64 exec, exec, s[8:9]
	v_and_b32_e32 v49, 0xff, v5
	v_cvt_f32_fp8_sdwa v49, v49 src0_sel:BYTE_0
	s_nop 0
	v_mul_f32_e32 v50, s10, v49
	v_and_b32_e32 v49, 0x7f800000, v50
	v_cmp_ne_u32_e64 s[0:1], s14, v49
                                        ; implicit-def: $vgpr49
	s_and_saveexec_b64 s[8:9], s[0:1]
	s_xor_b64 s[0:1], exec, s[8:9]
; %bb.347:                              ;   in Loop: Header=BB343_232 Depth=1
	v_bfe_u32 v49, v50, 16, 1
	v_add3_u32 v49, v50, v49, s15
                                        ; implicit-def: $vgpr50
; %bb.348:                              ;   in Loop: Header=BB343_232 Depth=1
	s_andn2_saveexec_b64 s[8:9], s[0:1]
; %bb.349:                              ;   in Loop: Header=BB343_232 Depth=1
	v_or_b32_e32 v49, 0x10000, v50
	v_cmp_eq_u32_sdwa s[0:1], v50, v17 src0_sel:WORD_0 src1_sel:DWORD
	s_nop 1
	v_cndmask_b32_e64 v49, v49, v50, s[0:1]
; %bb.350:                              ;   in Loop: Header=BB343_232 Depth=1
	s_or_b64 exec, exec, s[8:9]
	v_bfe_u32 v50, v5, 8, 8
	v_cvt_f32_fp8_sdwa v50, v50 src0_sel:BYTE_0
	s_nop 0
	v_mul_f32_e32 v51, s10, v50
	v_and_b32_e32 v50, 0x7f800000, v51
	v_cmp_ne_u32_e64 s[0:1], s14, v50
                                        ; implicit-def: $vgpr50
	s_and_saveexec_b64 s[8:9], s[0:1]
	s_xor_b64 s[0:1], exec, s[8:9]
; %bb.351:                              ;   in Loop: Header=BB343_232 Depth=1
	v_bfe_u32 v50, v51, 16, 1
	v_add3_u32 v50, v51, v50, s15
                                        ; implicit-def: $vgpr51
; %bb.352:                              ;   in Loop: Header=BB343_232 Depth=1
	s_andn2_saveexec_b64 s[8:9], s[0:1]
; %bb.353:                              ;   in Loop: Header=BB343_232 Depth=1
	v_or_b32_e32 v50, 0x10000, v51
	v_cmp_eq_u32_sdwa s[0:1], v51, v17 src0_sel:WORD_0 src1_sel:DWORD
	s_nop 1
	v_cndmask_b32_e64 v50, v50, v51, s[0:1]
; %bb.354:                              ;   in Loop: Header=BB343_232 Depth=1
	s_or_b64 exec, exec, s[8:9]
	v_bfe_u32 v51, v5, 16, 8
	v_cvt_f32_fp8_sdwa v51, v51 src0_sel:BYTE_0
	s_nop 0
	v_mul_f32_e32 v51, s10, v51
	v_and_b32_e32 v52, 0x7f800000, v51
	v_cmp_ne_u32_e64 s[0:1], s14, v52
                                        ; implicit-def: $vgpr52
	s_and_saveexec_b64 s[8:9], s[0:1]
	s_xor_b64 s[0:1], exec, s[8:9]
; %bb.355:                              ;   in Loop: Header=BB343_232 Depth=1
	v_bfe_u32 v52, v51, 16, 1
	v_add3_u32 v52, v51, v52, s15
                                        ; implicit-def: $vgpr51
; %bb.356:                              ;   in Loop: Header=BB343_232 Depth=1
	s_andn2_saveexec_b64 s[8:9], s[0:1]
; %bb.357:                              ;   in Loop: Header=BB343_232 Depth=1
	v_or_b32_e32 v52, 0x10000, v51
	v_cmp_eq_u32_sdwa s[0:1], v51, v17 src0_sel:WORD_0 src1_sel:DWORD
	s_nop 1
	v_cndmask_b32_e64 v52, v52, v51, s[0:1]
; %bb.358:                              ;   in Loop: Header=BB343_232 Depth=1
	s_or_b64 exec, exec, s[8:9]
	v_lshrrev_b32_e32 v5, 24, v5
	v_cvt_f32_fp8_sdwa v5, v5 src0_sel:BYTE_0
                                        ; implicit-def: $vgpr53
	s_nop 0
	v_mul_f32_e32 v5, s10, v5
	v_and_b32_e32 v51, 0x7f800000, v5
	v_cmp_ne_u32_e64 s[0:1], s14, v51
	s_and_saveexec_b64 s[8:9], s[0:1]
	s_xor_b64 s[0:1], exec, s[8:9]
; %bb.359:                              ;   in Loop: Header=BB343_232 Depth=1
	v_bfe_u32 v51, v5, 16, 1
	v_add3_u32 v53, v5, v51, s15
                                        ; implicit-def: $vgpr5
; %bb.360:                              ;   in Loop: Header=BB343_232 Depth=1
	s_andn2_saveexec_b64 s[8:9], s[0:1]
; %bb.361:                              ;   in Loop: Header=BB343_232 Depth=1
	v_or_b32_e32 v51, 0x10000, v5
	v_cmp_eq_u32_sdwa s[0:1], v5, v17 src0_sel:WORD_0 src1_sel:DWORD
	s_nop 1
	v_cndmask_b32_e64 v53, v51, v5, s[0:1]
; %bb.362:                              ;   in Loop: Header=BB343_232 Depth=1
	s_or_b64 exec, exec, s[8:9]
	v_lshrrev_b32_e32 v51, 16, v50
	v_lshrrev_b32_e32 v50, 16, v49
	;; [unrolled: 1-line block ×8, first 2 shown]
	s_and_saveexec_b64 s[8:9], vcc
	s_cbranch_execz .LBB343_364
; %bb.363:                              ;   in Loop: Header=BB343_232 Depth=1
	v_cmp_gt_i32_e64 s[0:1], s17, v30
	s_nop 1
	v_cndmask_b32_e64 v46, 0, v46, s[0:1]
	v_cmp_gt_i32_e64 s[0:1], s17, v36
	s_nop 1
	v_cndmask_b32_e64 v47, 0, v47, s[0:1]
	;; [unrolled: 3-line block ×8, first 2 shown]
.LBB343_364:                            ;   in Loop: Header=BB343_232 Depth=1
	s_or_b64 exec, exec, s[8:9]
	v_lshlrev_b32_e32 v46, 16, v46
	v_mul_f32_e32 v52, v38, v46
	v_and_b32_e32 v46, 0x7f800000, v52
	v_cmp_ne_u32_e64 s[0:1], s14, v46
                                        ; implicit-def: $vgpr46
	s_and_saveexec_b64 s[8:9], s[0:1]
	s_xor_b64 s[0:1], exec, s[8:9]
; %bb.365:                              ;   in Loop: Header=BB343_232 Depth=1
	v_bfe_u32 v46, v52, 16, 1
	v_add3_u32 v46, v52, v46, s15
                                        ; implicit-def: $vgpr52
; %bb.366:                              ;   in Loop: Header=BB343_232 Depth=1
	s_andn2_saveexec_b64 s[8:9], s[0:1]
; %bb.367:                              ;   in Loop: Header=BB343_232 Depth=1
	v_or_b32_e32 v46, 0x10000, v52
	v_cmp_eq_u32_sdwa s[0:1], v52, v17 src0_sel:WORD_0 src1_sel:DWORD
	s_nop 1
	v_cndmask_b32_e64 v46, v46, v52, s[0:1]
; %bb.368:                              ;   in Loop: Header=BB343_232 Depth=1
	s_or_b64 exec, exec, s[8:9]
	v_lshlrev_b32_e32 v47, 16, v47
	v_mul_f32_e32 v52, v39, v47
	v_and_b32_e32 v47, 0x7f800000, v52
	v_cmp_ne_u32_e64 s[0:1], s14, v47
                                        ; implicit-def: $vgpr47
	s_and_saveexec_b64 s[8:9], s[0:1]
	s_xor_b64 s[0:1], exec, s[8:9]
; %bb.369:                              ;   in Loop: Header=BB343_232 Depth=1
	v_bfe_u32 v47, v52, 16, 1
	v_add3_u32 v47, v52, v47, s15
                                        ; implicit-def: $vgpr52
; %bb.370:                              ;   in Loop: Header=BB343_232 Depth=1
	s_andn2_saveexec_b64 s[8:9], s[0:1]
; %bb.371:                              ;   in Loop: Header=BB343_232 Depth=1
	v_or_b32_e32 v47, 0x10000, v52
	v_cmp_eq_u32_sdwa s[0:1], v52, v17 src0_sel:WORD_0 src1_sel:DWORD
	s_nop 1
	v_cndmask_b32_e64 v47, v47, v52, s[0:1]
; %bb.372:                              ;   in Loop: Header=BB343_232 Depth=1
	s_or_b64 exec, exec, s[8:9]
	v_lshlrev_b32_e32 v48, 16, v48
	v_mul_f32_e32 v52, v40, v48
	v_and_b32_e32 v48, 0x7f800000, v52
	v_cmp_ne_u32_e64 s[0:1], s14, v48
                                        ; implicit-def: $vgpr48
	s_and_saveexec_b64 s[8:9], s[0:1]
	s_xor_b64 s[0:1], exec, s[8:9]
; %bb.373:                              ;   in Loop: Header=BB343_232 Depth=1
	v_bfe_u32 v48, v52, 16, 1
	v_add3_u32 v48, v52, v48, s15
                                        ; implicit-def: $vgpr52
; %bb.374:                              ;   in Loop: Header=BB343_232 Depth=1
	s_andn2_saveexec_b64 s[8:9], s[0:1]
; %bb.375:                              ;   in Loop: Header=BB343_232 Depth=1
	v_or_b32_e32 v48, 0x10000, v52
	v_cmp_eq_u32_sdwa s[0:1], v52, v17 src0_sel:WORD_0 src1_sel:DWORD
	s_nop 1
	v_cndmask_b32_e64 v48, v48, v52, s[0:1]
; %bb.376:                              ;   in Loop: Header=BB343_232 Depth=1
	s_or_b64 exec, exec, s[8:9]
	v_lshlrev_b32_e32 v49, 16, v49
	v_mul_f32_e32 v52, v41, v49
	v_and_b32_e32 v49, 0x7f800000, v52
	v_cmp_ne_u32_e64 s[0:1], s14, v49
                                        ; implicit-def: $vgpr49
	s_and_saveexec_b64 s[8:9], s[0:1]
	s_xor_b64 s[0:1], exec, s[8:9]
; %bb.377:                              ;   in Loop: Header=BB343_232 Depth=1
	v_bfe_u32 v49, v52, 16, 1
	v_add3_u32 v49, v52, v49, s15
                                        ; implicit-def: $vgpr52
; %bb.378:                              ;   in Loop: Header=BB343_232 Depth=1
	s_andn2_saveexec_b64 s[8:9], s[0:1]
; %bb.379:                              ;   in Loop: Header=BB343_232 Depth=1
	v_or_b32_e32 v49, 0x10000, v52
	v_cmp_eq_u32_sdwa s[0:1], v52, v17 src0_sel:WORD_0 src1_sel:DWORD
	s_nop 1
	v_cndmask_b32_e64 v49, v49, v52, s[0:1]
; %bb.380:                              ;   in Loop: Header=BB343_232 Depth=1
	s_or_b64 exec, exec, s[8:9]
	v_lshlrev_b32_e32 v50, 16, v50
	v_mul_f32_e32 v52, v42, v50
	v_and_b32_e32 v50, 0x7f800000, v52
	v_cmp_ne_u32_e64 s[0:1], s14, v50
                                        ; implicit-def: $vgpr50
	s_and_saveexec_b64 s[8:9], s[0:1]
	s_xor_b64 s[0:1], exec, s[8:9]
; %bb.381:                              ;   in Loop: Header=BB343_232 Depth=1
	v_bfe_u32 v50, v52, 16, 1
	v_add3_u32 v50, v52, v50, s15
                                        ; implicit-def: $vgpr52
; %bb.382:                              ;   in Loop: Header=BB343_232 Depth=1
	s_andn2_saveexec_b64 s[8:9], s[0:1]
; %bb.383:                              ;   in Loop: Header=BB343_232 Depth=1
	v_or_b32_e32 v50, 0x10000, v52
	v_cmp_eq_u32_sdwa s[0:1], v52, v17 src0_sel:WORD_0 src1_sel:DWORD
	s_nop 1
	v_cndmask_b32_e64 v50, v50, v52, s[0:1]
; %bb.384:                              ;   in Loop: Header=BB343_232 Depth=1
	s_or_b64 exec, exec, s[8:9]
	v_lshlrev_b32_e32 v51, 16, v51
	v_mul_f32_e32 v52, v43, v51
	v_and_b32_e32 v51, 0x7f800000, v52
	v_cmp_ne_u32_e64 s[0:1], s14, v51
                                        ; implicit-def: $vgpr51
	s_and_saveexec_b64 s[8:9], s[0:1]
	s_xor_b64 s[0:1], exec, s[8:9]
; %bb.385:                              ;   in Loop: Header=BB343_232 Depth=1
	v_bfe_u32 v51, v52, 16, 1
	v_add3_u32 v51, v52, v51, s15
                                        ; implicit-def: $vgpr52
; %bb.386:                              ;   in Loop: Header=BB343_232 Depth=1
	s_andn2_saveexec_b64 s[8:9], s[0:1]
; %bb.387:                              ;   in Loop: Header=BB343_232 Depth=1
	v_or_b32_e32 v51, 0x10000, v52
	v_cmp_eq_u32_sdwa s[0:1], v52, v17 src0_sel:WORD_0 src1_sel:DWORD
	s_nop 1
	v_cndmask_b32_e64 v51, v51, v52, s[0:1]
; %bb.388:                              ;   in Loop: Header=BB343_232 Depth=1
	s_or_b64 exec, exec, s[8:9]
	v_lshlrev_b32_e32 v5, 16, v5
	v_mul_f32_e32 v5, v44, v5
	v_and_b32_e32 v52, 0x7f800000, v5
	v_cmp_ne_u32_e64 s[0:1], s14, v52
                                        ; implicit-def: $vgpr52
	s_and_saveexec_b64 s[8:9], s[0:1]
	s_xor_b64 s[0:1], exec, s[8:9]
; %bb.389:                              ;   in Loop: Header=BB343_232 Depth=1
	v_bfe_u32 v52, v5, 16, 1
	v_add3_u32 v52, v5, v52, s15
                                        ; implicit-def: $vgpr5
; %bb.390:                              ;   in Loop: Header=BB343_232 Depth=1
	s_andn2_saveexec_b64 s[8:9], s[0:1]
; %bb.391:                              ;   in Loop: Header=BB343_232 Depth=1
	v_or_b32_e32 v52, 0x10000, v5
	v_cmp_eq_u32_sdwa s[0:1], v5, v17 src0_sel:WORD_0 src1_sel:DWORD
	s_nop 1
	v_cndmask_b32_e64 v52, v52, v5, s[0:1]
; %bb.392:                              ;   in Loop: Header=BB343_232 Depth=1
	s_or_b64 exec, exec, s[8:9]
	v_lshlrev_b32_e32 v4, 16, v4
	v_mul_f32_e32 v4, v45, v4
	v_and_b32_e32 v5, 0x7f800000, v4
	v_cmp_ne_u32_e64 s[0:1], s14, v5
                                        ; implicit-def: $vgpr53
	s_and_saveexec_b64 s[8:9], s[0:1]
	s_xor_b64 s[0:1], exec, s[8:9]
; %bb.393:                              ;   in Loop: Header=BB343_232 Depth=1
	v_bfe_u32 v5, v4, 16, 1
	v_add3_u32 v53, v4, v5, s15
                                        ; implicit-def: $vgpr4
; %bb.394:                              ;   in Loop: Header=BB343_232 Depth=1
	s_andn2_saveexec_b64 s[8:9], s[0:1]
; %bb.395:                              ;   in Loop: Header=BB343_232 Depth=1
	v_or_b32_e32 v5, 0x10000, v4
	v_cmp_eq_u32_sdwa s[0:1], v4, v17 src0_sel:WORD_0 src1_sel:DWORD
	s_nop 1
	v_cndmask_b32_e64 v53, v5, v4, s[0:1]
; %bb.396:                              ;   in Loop: Header=BB343_232 Depth=1
	s_or_b64 exec, exec, s[8:9]
	global_load_dwordx2 v[4:5], v[2:3], off offset:1024
	s_waitcnt vmcnt(0)
	v_and_b32_e32 v54, 0xff, v4
	v_cvt_f32_fp8_sdwa v54, v54 src0_sel:BYTE_0
	s_nop 0
	v_mul_f32_e32 v55, s10, v54
	v_and_b32_e32 v54, 0x7f800000, v55
	v_cmp_ne_u32_e64 s[0:1], s14, v54
                                        ; implicit-def: $vgpr54
	s_and_saveexec_b64 s[8:9], s[0:1]
	s_xor_b64 s[0:1], exec, s[8:9]
; %bb.397:                              ;   in Loop: Header=BB343_232 Depth=1
	v_bfe_u32 v54, v55, 16, 1
	v_add3_u32 v54, v55, v54, s15
                                        ; implicit-def: $vgpr55
; %bb.398:                              ;   in Loop: Header=BB343_232 Depth=1
	s_andn2_saveexec_b64 s[8:9], s[0:1]
; %bb.399:                              ;   in Loop: Header=BB343_232 Depth=1
	v_or_b32_e32 v54, 0x10000, v55
	v_cmp_eq_u32_sdwa s[0:1], v55, v17 src0_sel:WORD_0 src1_sel:DWORD
	s_nop 1
	v_cndmask_b32_e64 v54, v54, v55, s[0:1]
; %bb.400:                              ;   in Loop: Header=BB343_232 Depth=1
	s_or_b64 exec, exec, s[8:9]
	v_bfe_u32 v55, v4, 8, 8
	v_cvt_f32_fp8_sdwa v55, v55 src0_sel:BYTE_0
	s_nop 0
	v_mul_f32_e32 v56, s10, v55
	v_and_b32_e32 v55, 0x7f800000, v56
	v_cmp_ne_u32_e64 s[0:1], s14, v55
                                        ; implicit-def: $vgpr55
	s_and_saveexec_b64 s[8:9], s[0:1]
	s_xor_b64 s[0:1], exec, s[8:9]
; %bb.401:                              ;   in Loop: Header=BB343_232 Depth=1
	v_bfe_u32 v55, v56, 16, 1
	v_add3_u32 v55, v56, v55, s15
                                        ; implicit-def: $vgpr56
; %bb.402:                              ;   in Loop: Header=BB343_232 Depth=1
	s_andn2_saveexec_b64 s[8:9], s[0:1]
; %bb.403:                              ;   in Loop: Header=BB343_232 Depth=1
	v_or_b32_e32 v55, 0x10000, v56
	v_cmp_eq_u32_sdwa s[0:1], v56, v17 src0_sel:WORD_0 src1_sel:DWORD
	s_nop 1
	v_cndmask_b32_e64 v55, v55, v56, s[0:1]
; %bb.404:                              ;   in Loop: Header=BB343_232 Depth=1
	s_or_b64 exec, exec, s[8:9]
	v_bfe_u32 v56, v4, 16, 8
	v_cvt_f32_fp8_sdwa v56, v56 src0_sel:BYTE_0
	s_nop 0
	v_mul_f32_e32 v57, s10, v56
	v_and_b32_e32 v56, 0x7f800000, v57
	v_cmp_ne_u32_e64 s[0:1], s14, v56
                                        ; implicit-def: $vgpr56
	s_and_saveexec_b64 s[8:9], s[0:1]
	s_xor_b64 s[0:1], exec, s[8:9]
; %bb.405:                              ;   in Loop: Header=BB343_232 Depth=1
	v_bfe_u32 v56, v57, 16, 1
	v_add3_u32 v56, v57, v56, s15
                                        ; implicit-def: $vgpr57
; %bb.406:                              ;   in Loop: Header=BB343_232 Depth=1
	s_andn2_saveexec_b64 s[8:9], s[0:1]
; %bb.407:                              ;   in Loop: Header=BB343_232 Depth=1
	v_or_b32_e32 v56, 0x10000, v57
	v_cmp_eq_u32_sdwa s[0:1], v57, v17 src0_sel:WORD_0 src1_sel:DWORD
	s_nop 1
	v_cndmask_b32_e64 v56, v56, v57, s[0:1]
; %bb.408:                              ;   in Loop: Header=BB343_232 Depth=1
	s_or_b64 exec, exec, s[8:9]
	v_lshrrev_b32_e32 v4, 24, v4
	v_cvt_f32_fp8_sdwa v4, v4 src0_sel:BYTE_0
	s_nop 0
	v_mul_f32_e32 v57, s10, v4
	v_and_b32_e32 v4, 0x7f800000, v57
	v_cmp_ne_u32_e64 s[0:1], s14, v4
                                        ; implicit-def: $vgpr4
	s_and_saveexec_b64 s[8:9], s[0:1]
	s_xor_b64 s[0:1], exec, s[8:9]
; %bb.409:                              ;   in Loop: Header=BB343_232 Depth=1
	v_bfe_u32 v4, v57, 16, 1
	v_add3_u32 v4, v57, v4, s15
                                        ; implicit-def: $vgpr57
; %bb.410:                              ;   in Loop: Header=BB343_232 Depth=1
	s_andn2_saveexec_b64 s[8:9], s[0:1]
; %bb.411:                              ;   in Loop: Header=BB343_232 Depth=1
	v_or_b32_e32 v4, 0x10000, v57
	v_cmp_eq_u32_sdwa s[0:1], v57, v17 src0_sel:WORD_0 src1_sel:DWORD
	s_nop 1
	v_cndmask_b32_e64 v4, v4, v57, s[0:1]
; %bb.412:                              ;   in Loop: Header=BB343_232 Depth=1
	s_or_b64 exec, exec, s[8:9]
	v_and_b32_e32 v57, 0xff, v5
	v_cvt_f32_fp8_sdwa v57, v57 src0_sel:BYTE_0
	s_nop 0
	v_mul_f32_e32 v58, s10, v57
	v_and_b32_e32 v57, 0x7f800000, v58
	v_cmp_ne_u32_e64 s[0:1], s14, v57
                                        ; implicit-def: $vgpr57
	s_and_saveexec_b64 s[8:9], s[0:1]
	s_xor_b64 s[0:1], exec, s[8:9]
; %bb.413:                              ;   in Loop: Header=BB343_232 Depth=1
	v_bfe_u32 v57, v58, 16, 1
	v_add3_u32 v57, v58, v57, s15
                                        ; implicit-def: $vgpr58
; %bb.414:                              ;   in Loop: Header=BB343_232 Depth=1
	s_andn2_saveexec_b64 s[8:9], s[0:1]
; %bb.415:                              ;   in Loop: Header=BB343_232 Depth=1
	v_or_b32_e32 v57, 0x10000, v58
	v_cmp_eq_u32_sdwa s[0:1], v58, v17 src0_sel:WORD_0 src1_sel:DWORD
	s_nop 1
	v_cndmask_b32_e64 v57, v57, v58, s[0:1]
; %bb.416:                              ;   in Loop: Header=BB343_232 Depth=1
	s_or_b64 exec, exec, s[8:9]
	v_bfe_u32 v58, v5, 8, 8
	v_cvt_f32_fp8_sdwa v58, v58 src0_sel:BYTE_0
	s_nop 0
	v_mul_f32_e32 v59, s10, v58
	v_and_b32_e32 v58, 0x7f800000, v59
	v_cmp_ne_u32_e64 s[0:1], s14, v58
                                        ; implicit-def: $vgpr58
	s_and_saveexec_b64 s[8:9], s[0:1]
	s_xor_b64 s[0:1], exec, s[8:9]
; %bb.417:                              ;   in Loop: Header=BB343_232 Depth=1
	v_bfe_u32 v58, v59, 16, 1
	v_add3_u32 v58, v59, v58, s15
                                        ; implicit-def: $vgpr59
; %bb.418:                              ;   in Loop: Header=BB343_232 Depth=1
	s_andn2_saveexec_b64 s[8:9], s[0:1]
; %bb.419:                              ;   in Loop: Header=BB343_232 Depth=1
	v_or_b32_e32 v58, 0x10000, v59
	v_cmp_eq_u32_sdwa s[0:1], v59, v17 src0_sel:WORD_0 src1_sel:DWORD
	s_nop 1
	v_cndmask_b32_e64 v58, v58, v59, s[0:1]
; %bb.420:                              ;   in Loop: Header=BB343_232 Depth=1
	s_or_b64 exec, exec, s[8:9]
	v_bfe_u32 v59, v5, 16, 8
	v_cvt_f32_fp8_sdwa v59, v59 src0_sel:BYTE_0
	s_nop 0
	v_mul_f32_e32 v59, s10, v59
	v_and_b32_e32 v60, 0x7f800000, v59
	v_cmp_ne_u32_e64 s[0:1], s14, v60
                                        ; implicit-def: $vgpr60
	s_and_saveexec_b64 s[8:9], s[0:1]
	s_xor_b64 s[0:1], exec, s[8:9]
; %bb.421:                              ;   in Loop: Header=BB343_232 Depth=1
	v_bfe_u32 v60, v59, 16, 1
	v_add3_u32 v60, v59, v60, s15
                                        ; implicit-def: $vgpr59
; %bb.422:                              ;   in Loop: Header=BB343_232 Depth=1
	s_andn2_saveexec_b64 s[8:9], s[0:1]
; %bb.423:                              ;   in Loop: Header=BB343_232 Depth=1
	v_or_b32_e32 v60, 0x10000, v59
	v_cmp_eq_u32_sdwa s[0:1], v59, v17 src0_sel:WORD_0 src1_sel:DWORD
	s_nop 1
	v_cndmask_b32_e64 v60, v60, v59, s[0:1]
; %bb.424:                              ;   in Loop: Header=BB343_232 Depth=1
	s_or_b64 exec, exec, s[8:9]
	v_lshrrev_b32_e32 v5, 24, v5
	v_cvt_f32_fp8_sdwa v5, v5 src0_sel:BYTE_0
                                        ; implicit-def: $vgpr61
	s_nop 0
	v_mul_f32_e32 v5, s10, v5
	v_and_b32_e32 v59, 0x7f800000, v5
	v_cmp_ne_u32_e64 s[0:1], s14, v59
	s_and_saveexec_b64 s[8:9], s[0:1]
	s_xor_b64 s[0:1], exec, s[8:9]
; %bb.425:                              ;   in Loop: Header=BB343_232 Depth=1
	v_bfe_u32 v59, v5, 16, 1
	v_add3_u32 v61, v5, v59, s15
                                        ; implicit-def: $vgpr5
; %bb.426:                              ;   in Loop: Header=BB343_232 Depth=1
	s_andn2_saveexec_b64 s[8:9], s[0:1]
; %bb.427:                              ;   in Loop: Header=BB343_232 Depth=1
	v_or_b32_e32 v59, 0x10000, v5
	v_cmp_eq_u32_sdwa s[0:1], v5, v17 src0_sel:WORD_0 src1_sel:DWORD
	s_nop 1
	v_cndmask_b32_e64 v61, v59, v5, s[0:1]
; %bb.428:                              ;   in Loop: Header=BB343_232 Depth=1
	s_or_b64 exec, exec, s[8:9]
	v_lshrrev_b32_e32 v59, 16, v58
	v_lshrrev_b32_e32 v58, 16, v57
	;; [unrolled: 1-line block ×8, first 2 shown]
	s_and_saveexec_b64 s[8:9], vcc
	s_cbranch_execz .LBB343_430
; %bb.429:                              ;   in Loop: Header=BB343_232 Depth=1
	v_cmp_gt_i32_e64 s[0:1], s17, v30
	s_nop 1
	v_cndmask_b32_e64 v54, 0, v54, s[0:1]
	v_cmp_gt_i32_e64 s[0:1], s17, v36
	s_nop 1
	v_cndmask_b32_e64 v55, 0, v55, s[0:1]
	;; [unrolled: 3-line block ×8, first 2 shown]
.LBB343_430:                            ;   in Loop: Header=BB343_232 Depth=1
	s_or_b64 exec, exec, s[8:9]
	v_lshlrev_b32_e32 v54, 16, v54
	v_mul_f32_e32 v60, v38, v54
	v_and_b32_e32 v54, 0x7f800000, v60
	v_cmp_ne_u32_e64 s[0:1], s14, v54
                                        ; implicit-def: $vgpr54
	s_and_saveexec_b64 s[8:9], s[0:1]
	s_xor_b64 s[0:1], exec, s[8:9]
; %bb.431:                              ;   in Loop: Header=BB343_232 Depth=1
	v_bfe_u32 v54, v60, 16, 1
	v_add3_u32 v54, v60, v54, s15
                                        ; implicit-def: $vgpr60
; %bb.432:                              ;   in Loop: Header=BB343_232 Depth=1
	s_andn2_saveexec_b64 s[8:9], s[0:1]
; %bb.433:                              ;   in Loop: Header=BB343_232 Depth=1
	v_or_b32_e32 v54, 0x10000, v60
	v_cmp_eq_u32_sdwa s[0:1], v60, v17 src0_sel:WORD_0 src1_sel:DWORD
	s_nop 1
	v_cndmask_b32_e64 v54, v54, v60, s[0:1]
; %bb.434:                              ;   in Loop: Header=BB343_232 Depth=1
	s_or_b64 exec, exec, s[8:9]
	v_lshlrev_b32_e32 v55, 16, v55
	v_mul_f32_e32 v60, v39, v55
	v_and_b32_e32 v55, 0x7f800000, v60
	v_cmp_ne_u32_e64 s[0:1], s14, v55
                                        ; implicit-def: $vgpr55
	s_and_saveexec_b64 s[8:9], s[0:1]
	s_xor_b64 s[0:1], exec, s[8:9]
; %bb.435:                              ;   in Loop: Header=BB343_232 Depth=1
	v_bfe_u32 v55, v60, 16, 1
	v_add3_u32 v55, v60, v55, s15
                                        ; implicit-def: $vgpr60
; %bb.436:                              ;   in Loop: Header=BB343_232 Depth=1
	s_andn2_saveexec_b64 s[8:9], s[0:1]
; %bb.437:                              ;   in Loop: Header=BB343_232 Depth=1
	v_or_b32_e32 v55, 0x10000, v60
	v_cmp_eq_u32_sdwa s[0:1], v60, v17 src0_sel:WORD_0 src1_sel:DWORD
	s_nop 1
	v_cndmask_b32_e64 v55, v55, v60, s[0:1]
; %bb.438:                              ;   in Loop: Header=BB343_232 Depth=1
	s_or_b64 exec, exec, s[8:9]
	v_lshlrev_b32_e32 v56, 16, v56
	v_mul_f32_e32 v60, v40, v56
	v_and_b32_e32 v56, 0x7f800000, v60
	v_cmp_ne_u32_e64 s[0:1], s14, v56
                                        ; implicit-def: $vgpr56
	s_and_saveexec_b64 s[8:9], s[0:1]
	s_xor_b64 s[0:1], exec, s[8:9]
; %bb.439:                              ;   in Loop: Header=BB343_232 Depth=1
	v_bfe_u32 v56, v60, 16, 1
	v_add3_u32 v56, v60, v56, s15
                                        ; implicit-def: $vgpr60
; %bb.440:                              ;   in Loop: Header=BB343_232 Depth=1
	s_andn2_saveexec_b64 s[8:9], s[0:1]
; %bb.441:                              ;   in Loop: Header=BB343_232 Depth=1
	v_or_b32_e32 v56, 0x10000, v60
	v_cmp_eq_u32_sdwa s[0:1], v60, v17 src0_sel:WORD_0 src1_sel:DWORD
	s_nop 1
	v_cndmask_b32_e64 v56, v56, v60, s[0:1]
; %bb.442:                              ;   in Loop: Header=BB343_232 Depth=1
	s_or_b64 exec, exec, s[8:9]
	v_lshlrev_b32_e32 v57, 16, v57
	v_mul_f32_e32 v60, v41, v57
	v_and_b32_e32 v57, 0x7f800000, v60
	v_cmp_ne_u32_e64 s[0:1], s14, v57
                                        ; implicit-def: $vgpr57
	s_and_saveexec_b64 s[8:9], s[0:1]
	s_xor_b64 s[0:1], exec, s[8:9]
; %bb.443:                              ;   in Loop: Header=BB343_232 Depth=1
	v_bfe_u32 v57, v60, 16, 1
	v_add3_u32 v57, v60, v57, s15
                                        ; implicit-def: $vgpr60
; %bb.444:                              ;   in Loop: Header=BB343_232 Depth=1
	s_andn2_saveexec_b64 s[8:9], s[0:1]
; %bb.445:                              ;   in Loop: Header=BB343_232 Depth=1
	v_or_b32_e32 v57, 0x10000, v60
	v_cmp_eq_u32_sdwa s[0:1], v60, v17 src0_sel:WORD_0 src1_sel:DWORD
	s_nop 1
	v_cndmask_b32_e64 v57, v57, v60, s[0:1]
; %bb.446:                              ;   in Loop: Header=BB343_232 Depth=1
	s_or_b64 exec, exec, s[8:9]
	v_lshlrev_b32_e32 v58, 16, v58
	v_mul_f32_e32 v60, v42, v58
	v_and_b32_e32 v58, 0x7f800000, v60
	v_cmp_ne_u32_e64 s[0:1], s14, v58
                                        ; implicit-def: $vgpr58
	s_and_saveexec_b64 s[8:9], s[0:1]
	s_xor_b64 s[0:1], exec, s[8:9]
; %bb.447:                              ;   in Loop: Header=BB343_232 Depth=1
	v_bfe_u32 v58, v60, 16, 1
	v_add3_u32 v58, v60, v58, s15
                                        ; implicit-def: $vgpr60
; %bb.448:                              ;   in Loop: Header=BB343_232 Depth=1
	s_andn2_saveexec_b64 s[8:9], s[0:1]
; %bb.449:                              ;   in Loop: Header=BB343_232 Depth=1
	v_or_b32_e32 v58, 0x10000, v60
	v_cmp_eq_u32_sdwa s[0:1], v60, v17 src0_sel:WORD_0 src1_sel:DWORD
	s_nop 1
	v_cndmask_b32_e64 v58, v58, v60, s[0:1]
; %bb.450:                              ;   in Loop: Header=BB343_232 Depth=1
	s_or_b64 exec, exec, s[8:9]
	v_lshlrev_b32_e32 v59, 16, v59
	v_mul_f32_e32 v60, v43, v59
	v_and_b32_e32 v59, 0x7f800000, v60
	v_cmp_ne_u32_e64 s[0:1], s14, v59
                                        ; implicit-def: $vgpr59
	s_and_saveexec_b64 s[8:9], s[0:1]
	s_xor_b64 s[0:1], exec, s[8:9]
; %bb.451:                              ;   in Loop: Header=BB343_232 Depth=1
	v_bfe_u32 v59, v60, 16, 1
	v_add3_u32 v59, v60, v59, s15
                                        ; implicit-def: $vgpr60
; %bb.452:                              ;   in Loop: Header=BB343_232 Depth=1
	s_andn2_saveexec_b64 s[8:9], s[0:1]
; %bb.453:                              ;   in Loop: Header=BB343_232 Depth=1
	v_or_b32_e32 v59, 0x10000, v60
	v_cmp_eq_u32_sdwa s[0:1], v60, v17 src0_sel:WORD_0 src1_sel:DWORD
	s_nop 1
	v_cndmask_b32_e64 v59, v59, v60, s[0:1]
; %bb.454:                              ;   in Loop: Header=BB343_232 Depth=1
	s_or_b64 exec, exec, s[8:9]
	v_lshlrev_b32_e32 v5, 16, v5
	v_mul_f32_e32 v5, v44, v5
	v_and_b32_e32 v60, 0x7f800000, v5
	v_cmp_ne_u32_e64 s[0:1], s14, v60
                                        ; implicit-def: $vgpr60
	s_and_saveexec_b64 s[8:9], s[0:1]
	s_xor_b64 s[0:1], exec, s[8:9]
; %bb.455:                              ;   in Loop: Header=BB343_232 Depth=1
	v_bfe_u32 v60, v5, 16, 1
	v_add3_u32 v60, v5, v60, s15
                                        ; implicit-def: $vgpr5
; %bb.456:                              ;   in Loop: Header=BB343_232 Depth=1
	s_andn2_saveexec_b64 s[8:9], s[0:1]
; %bb.457:                              ;   in Loop: Header=BB343_232 Depth=1
	v_or_b32_e32 v60, 0x10000, v5
	v_cmp_eq_u32_sdwa s[0:1], v5, v17 src0_sel:WORD_0 src1_sel:DWORD
	s_nop 1
	v_cndmask_b32_e64 v60, v60, v5, s[0:1]
; %bb.458:                              ;   in Loop: Header=BB343_232 Depth=1
	s_or_b64 exec, exec, s[8:9]
	v_lshlrev_b32_e32 v4, 16, v4
	v_mul_f32_e32 v4, v45, v4
	v_and_b32_e32 v5, 0x7f800000, v4
	v_cmp_ne_u32_e64 s[0:1], s14, v5
                                        ; implicit-def: $vgpr61
	s_and_saveexec_b64 s[8:9], s[0:1]
	s_xor_b64 s[0:1], exec, s[8:9]
; %bb.459:                              ;   in Loop: Header=BB343_232 Depth=1
	v_bfe_u32 v5, v4, 16, 1
	v_add3_u32 v61, v4, v5, s15
                                        ; implicit-def: $vgpr4
; %bb.460:                              ;   in Loop: Header=BB343_232 Depth=1
	s_andn2_saveexec_b64 s[8:9], s[0:1]
; %bb.461:                              ;   in Loop: Header=BB343_232 Depth=1
	v_or_b32_e32 v5, 0x10000, v4
	v_cmp_eq_u32_sdwa s[0:1], v4, v17 src0_sel:WORD_0 src1_sel:DWORD
	s_nop 1
	v_cndmask_b32_e64 v61, v5, v4, s[0:1]
; %bb.462:                              ;   in Loop: Header=BB343_232 Depth=1
	s_or_b64 exec, exec, s[8:9]
	global_load_dwordx2 v[4:5], v[2:3], off offset:1536
	s_waitcnt vmcnt(0)
	v_and_b32_e32 v62, 0xff, v4
	v_cvt_f32_fp8_sdwa v62, v62 src0_sel:BYTE_0
	s_nop 0
	v_mul_f32_e32 v63, s10, v62
	v_and_b32_e32 v62, 0x7f800000, v63
	v_cmp_ne_u32_e64 s[0:1], s14, v62
                                        ; implicit-def: $vgpr62
	s_and_saveexec_b64 s[8:9], s[0:1]
	s_xor_b64 s[0:1], exec, s[8:9]
; %bb.463:                              ;   in Loop: Header=BB343_232 Depth=1
	v_bfe_u32 v62, v63, 16, 1
	v_add3_u32 v62, v63, v62, s15
                                        ; implicit-def: $vgpr63
; %bb.464:                              ;   in Loop: Header=BB343_232 Depth=1
	s_andn2_saveexec_b64 s[8:9], s[0:1]
; %bb.465:                              ;   in Loop: Header=BB343_232 Depth=1
	v_or_b32_e32 v62, 0x10000, v63
	v_cmp_eq_u32_sdwa s[0:1], v63, v17 src0_sel:WORD_0 src1_sel:DWORD
	s_nop 1
	v_cndmask_b32_e64 v62, v62, v63, s[0:1]
; %bb.466:                              ;   in Loop: Header=BB343_232 Depth=1
	s_or_b64 exec, exec, s[8:9]
	v_bfe_u32 v63, v4, 8, 8
	v_cvt_f32_fp8_sdwa v63, v63 src0_sel:BYTE_0
	s_nop 0
	v_mul_f32_e32 v64, s10, v63
	v_and_b32_e32 v63, 0x7f800000, v64
	v_cmp_ne_u32_e64 s[0:1], s14, v63
                                        ; implicit-def: $vgpr63
	s_and_saveexec_b64 s[8:9], s[0:1]
	s_xor_b64 s[0:1], exec, s[8:9]
; %bb.467:                              ;   in Loop: Header=BB343_232 Depth=1
	v_bfe_u32 v63, v64, 16, 1
	v_add3_u32 v63, v64, v63, s15
                                        ; implicit-def: $vgpr64
; %bb.468:                              ;   in Loop: Header=BB343_232 Depth=1
	s_andn2_saveexec_b64 s[8:9], s[0:1]
; %bb.469:                              ;   in Loop: Header=BB343_232 Depth=1
	v_or_b32_e32 v63, 0x10000, v64
	v_cmp_eq_u32_sdwa s[0:1], v64, v17 src0_sel:WORD_0 src1_sel:DWORD
	s_nop 1
	v_cndmask_b32_e64 v63, v63, v64, s[0:1]
; %bb.470:                              ;   in Loop: Header=BB343_232 Depth=1
	s_or_b64 exec, exec, s[8:9]
	v_bfe_u32 v64, v4, 16, 8
	v_cvt_f32_fp8_sdwa v64, v64 src0_sel:BYTE_0
	s_nop 0
	v_mul_f32_e32 v65, s10, v64
	v_and_b32_e32 v64, 0x7f800000, v65
	v_cmp_ne_u32_e64 s[0:1], s14, v64
                                        ; implicit-def: $vgpr64
	s_and_saveexec_b64 s[8:9], s[0:1]
	s_xor_b64 s[0:1], exec, s[8:9]
; %bb.471:                              ;   in Loop: Header=BB343_232 Depth=1
	v_bfe_u32 v64, v65, 16, 1
	v_add3_u32 v64, v65, v64, s15
                                        ; implicit-def: $vgpr65
; %bb.472:                              ;   in Loop: Header=BB343_232 Depth=1
	s_andn2_saveexec_b64 s[8:9], s[0:1]
; %bb.473:                              ;   in Loop: Header=BB343_232 Depth=1
	v_or_b32_e32 v64, 0x10000, v65
	v_cmp_eq_u32_sdwa s[0:1], v65, v17 src0_sel:WORD_0 src1_sel:DWORD
	s_nop 1
	v_cndmask_b32_e64 v64, v64, v65, s[0:1]
; %bb.474:                              ;   in Loop: Header=BB343_232 Depth=1
	s_or_b64 exec, exec, s[8:9]
	v_lshrrev_b32_e32 v4, 24, v4
	v_cvt_f32_fp8_sdwa v4, v4 src0_sel:BYTE_0
	s_nop 0
	v_mul_f32_e32 v65, s10, v4
	v_and_b32_e32 v4, 0x7f800000, v65
	v_cmp_ne_u32_e64 s[0:1], s14, v4
                                        ; implicit-def: $vgpr4
	s_and_saveexec_b64 s[8:9], s[0:1]
	s_xor_b64 s[0:1], exec, s[8:9]
; %bb.475:                              ;   in Loop: Header=BB343_232 Depth=1
	v_bfe_u32 v4, v65, 16, 1
	v_add3_u32 v4, v65, v4, s15
                                        ; implicit-def: $vgpr65
; %bb.476:                              ;   in Loop: Header=BB343_232 Depth=1
	s_andn2_saveexec_b64 s[8:9], s[0:1]
; %bb.477:                              ;   in Loop: Header=BB343_232 Depth=1
	v_or_b32_e32 v4, 0x10000, v65
	v_cmp_eq_u32_sdwa s[0:1], v65, v17 src0_sel:WORD_0 src1_sel:DWORD
	s_nop 1
	v_cndmask_b32_e64 v4, v4, v65, s[0:1]
; %bb.478:                              ;   in Loop: Header=BB343_232 Depth=1
	s_or_b64 exec, exec, s[8:9]
	v_and_b32_e32 v65, 0xff, v5
	v_cvt_f32_fp8_sdwa v65, v65 src0_sel:BYTE_0
	s_nop 0
	v_mul_f32_e32 v66, s10, v65
	v_and_b32_e32 v65, 0x7f800000, v66
	v_cmp_ne_u32_e64 s[0:1], s14, v65
                                        ; implicit-def: $vgpr65
	s_and_saveexec_b64 s[8:9], s[0:1]
	s_xor_b64 s[0:1], exec, s[8:9]
; %bb.479:                              ;   in Loop: Header=BB343_232 Depth=1
	v_bfe_u32 v65, v66, 16, 1
	v_add3_u32 v65, v66, v65, s15
                                        ; implicit-def: $vgpr66
; %bb.480:                              ;   in Loop: Header=BB343_232 Depth=1
	s_andn2_saveexec_b64 s[8:9], s[0:1]
; %bb.481:                              ;   in Loop: Header=BB343_232 Depth=1
	v_or_b32_e32 v65, 0x10000, v66
	v_cmp_eq_u32_sdwa s[0:1], v66, v17 src0_sel:WORD_0 src1_sel:DWORD
	s_nop 1
	v_cndmask_b32_e64 v65, v65, v66, s[0:1]
; %bb.482:                              ;   in Loop: Header=BB343_232 Depth=1
	s_or_b64 exec, exec, s[8:9]
	v_bfe_u32 v66, v5, 8, 8
	v_cvt_f32_fp8_sdwa v66, v66 src0_sel:BYTE_0
	s_nop 0
	v_mul_f32_e32 v67, s10, v66
	v_and_b32_e32 v66, 0x7f800000, v67
	v_cmp_ne_u32_e64 s[0:1], s14, v66
                                        ; implicit-def: $vgpr66
	s_and_saveexec_b64 s[8:9], s[0:1]
	s_xor_b64 s[0:1], exec, s[8:9]
; %bb.483:                              ;   in Loop: Header=BB343_232 Depth=1
	v_bfe_u32 v66, v67, 16, 1
	v_add3_u32 v66, v67, v66, s15
                                        ; implicit-def: $vgpr67
; %bb.484:                              ;   in Loop: Header=BB343_232 Depth=1
	s_andn2_saveexec_b64 s[8:9], s[0:1]
; %bb.485:                              ;   in Loop: Header=BB343_232 Depth=1
	v_or_b32_e32 v66, 0x10000, v67
	v_cmp_eq_u32_sdwa s[0:1], v67, v17 src0_sel:WORD_0 src1_sel:DWORD
	s_nop 1
	v_cndmask_b32_e64 v66, v66, v67, s[0:1]
; %bb.486:                              ;   in Loop: Header=BB343_232 Depth=1
	s_or_b64 exec, exec, s[8:9]
	v_bfe_u32 v67, v5, 16, 8
	v_cvt_f32_fp8_sdwa v67, v67 src0_sel:BYTE_0
	s_nop 0
	v_mul_f32_e32 v67, s10, v67
	v_and_b32_e32 v68, 0x7f800000, v67
	v_cmp_ne_u32_e64 s[0:1], s14, v68
                                        ; implicit-def: $vgpr68
	s_and_saveexec_b64 s[8:9], s[0:1]
	s_xor_b64 s[0:1], exec, s[8:9]
; %bb.487:                              ;   in Loop: Header=BB343_232 Depth=1
	v_bfe_u32 v68, v67, 16, 1
	v_add3_u32 v68, v67, v68, s15
                                        ; implicit-def: $vgpr67
; %bb.488:                              ;   in Loop: Header=BB343_232 Depth=1
	s_andn2_saveexec_b64 s[8:9], s[0:1]
; %bb.489:                              ;   in Loop: Header=BB343_232 Depth=1
	v_or_b32_e32 v68, 0x10000, v67
	v_cmp_eq_u32_sdwa s[0:1], v67, v17 src0_sel:WORD_0 src1_sel:DWORD
	s_nop 1
	v_cndmask_b32_e64 v68, v68, v67, s[0:1]
; %bb.490:                              ;   in Loop: Header=BB343_232 Depth=1
	s_or_b64 exec, exec, s[8:9]
	v_lshrrev_b32_e32 v5, 24, v5
	v_cvt_f32_fp8_sdwa v5, v5 src0_sel:BYTE_0
                                        ; implicit-def: $vgpr69
	s_nop 0
	v_mul_f32_e32 v5, s10, v5
	v_and_b32_e32 v67, 0x7f800000, v5
	v_cmp_ne_u32_e64 s[0:1], s14, v67
	s_and_saveexec_b64 s[8:9], s[0:1]
	s_xor_b64 s[0:1], exec, s[8:9]
; %bb.491:                              ;   in Loop: Header=BB343_232 Depth=1
	v_bfe_u32 v67, v5, 16, 1
	v_add3_u32 v69, v5, v67, s15
                                        ; implicit-def: $vgpr5
; %bb.492:                              ;   in Loop: Header=BB343_232 Depth=1
	s_andn2_saveexec_b64 s[8:9], s[0:1]
; %bb.493:                              ;   in Loop: Header=BB343_232 Depth=1
	v_or_b32_e32 v67, 0x10000, v5
	v_cmp_eq_u32_sdwa s[0:1], v5, v17 src0_sel:WORD_0 src1_sel:DWORD
	s_nop 1
	v_cndmask_b32_e64 v69, v67, v5, s[0:1]
; %bb.494:                              ;   in Loop: Header=BB343_232 Depth=1
	s_or_b64 exec, exec, s[8:9]
	v_lshrrev_b32_e32 v67, 16, v66
	v_lshrrev_b32_e32 v66, 16, v65
	;; [unrolled: 1-line block ×8, first 2 shown]
	s_and_saveexec_b64 s[8:9], vcc
	s_cbranch_execz .LBB343_496
; %bb.495:                              ;   in Loop: Header=BB343_232 Depth=1
	v_cmp_gt_i32_e64 s[0:1], s17, v30
	s_nop 1
	v_cndmask_b32_e64 v62, 0, v62, s[0:1]
	v_cmp_gt_i32_e64 s[0:1], s17, v36
	s_nop 1
	v_cndmask_b32_e64 v63, 0, v63, s[0:1]
	;; [unrolled: 3-line block ×8, first 2 shown]
.LBB343_496:                            ;   in Loop: Header=BB343_232 Depth=1
	s_or_b64 exec, exec, s[8:9]
	v_lshlrev_b32_e32 v62, 16, v62
	v_mul_f32_e32 v68, v38, v62
	v_and_b32_e32 v62, 0x7f800000, v68
	v_cmp_ne_u32_e64 s[0:1], s14, v62
                                        ; implicit-def: $vgpr62
	s_and_saveexec_b64 s[8:9], s[0:1]
	s_xor_b64 s[0:1], exec, s[8:9]
; %bb.497:                              ;   in Loop: Header=BB343_232 Depth=1
	v_bfe_u32 v62, v68, 16, 1
	v_add3_u32 v62, v68, v62, s15
                                        ; implicit-def: $vgpr68
; %bb.498:                              ;   in Loop: Header=BB343_232 Depth=1
	s_andn2_saveexec_b64 s[8:9], s[0:1]
; %bb.499:                              ;   in Loop: Header=BB343_232 Depth=1
	v_or_b32_e32 v62, 0x10000, v68
	v_cmp_eq_u32_sdwa s[0:1], v68, v17 src0_sel:WORD_0 src1_sel:DWORD
	s_nop 1
	v_cndmask_b32_e64 v62, v62, v68, s[0:1]
; %bb.500:                              ;   in Loop: Header=BB343_232 Depth=1
	s_or_b64 exec, exec, s[8:9]
	v_lshlrev_b32_e32 v63, 16, v63
	v_mul_f32_e32 v68, v39, v63
	v_and_b32_e32 v63, 0x7f800000, v68
	v_cmp_ne_u32_e64 s[0:1], s14, v63
                                        ; implicit-def: $vgpr63
	s_and_saveexec_b64 s[8:9], s[0:1]
	s_xor_b64 s[0:1], exec, s[8:9]
; %bb.501:                              ;   in Loop: Header=BB343_232 Depth=1
	v_bfe_u32 v63, v68, 16, 1
	v_add3_u32 v63, v68, v63, s15
                                        ; implicit-def: $vgpr68
; %bb.502:                              ;   in Loop: Header=BB343_232 Depth=1
	s_andn2_saveexec_b64 s[8:9], s[0:1]
; %bb.503:                              ;   in Loop: Header=BB343_232 Depth=1
	v_or_b32_e32 v63, 0x10000, v68
	v_cmp_eq_u32_sdwa s[0:1], v68, v17 src0_sel:WORD_0 src1_sel:DWORD
	s_nop 1
	v_cndmask_b32_e64 v63, v63, v68, s[0:1]
; %bb.504:                              ;   in Loop: Header=BB343_232 Depth=1
	s_or_b64 exec, exec, s[8:9]
	v_lshlrev_b32_e32 v64, 16, v64
	v_mul_f32_e32 v68, v40, v64
	v_and_b32_e32 v64, 0x7f800000, v68
	v_cmp_ne_u32_e64 s[0:1], s14, v64
                                        ; implicit-def: $vgpr64
	s_and_saveexec_b64 s[8:9], s[0:1]
	s_xor_b64 s[0:1], exec, s[8:9]
; %bb.505:                              ;   in Loop: Header=BB343_232 Depth=1
	v_bfe_u32 v64, v68, 16, 1
	v_add3_u32 v64, v68, v64, s15
                                        ; implicit-def: $vgpr68
; %bb.506:                              ;   in Loop: Header=BB343_232 Depth=1
	s_andn2_saveexec_b64 s[8:9], s[0:1]
; %bb.507:                              ;   in Loop: Header=BB343_232 Depth=1
	v_or_b32_e32 v64, 0x10000, v68
	v_cmp_eq_u32_sdwa s[0:1], v68, v17 src0_sel:WORD_0 src1_sel:DWORD
	s_nop 1
	v_cndmask_b32_e64 v64, v64, v68, s[0:1]
; %bb.508:                              ;   in Loop: Header=BB343_232 Depth=1
	s_or_b64 exec, exec, s[8:9]
	v_lshlrev_b32_e32 v65, 16, v65
	v_mul_f32_e32 v68, v41, v65
	v_and_b32_e32 v65, 0x7f800000, v68
	v_cmp_ne_u32_e64 s[0:1], s14, v65
                                        ; implicit-def: $vgpr65
	s_and_saveexec_b64 s[8:9], s[0:1]
	s_xor_b64 s[0:1], exec, s[8:9]
; %bb.509:                              ;   in Loop: Header=BB343_232 Depth=1
	v_bfe_u32 v65, v68, 16, 1
	v_add3_u32 v65, v68, v65, s15
                                        ; implicit-def: $vgpr68
; %bb.510:                              ;   in Loop: Header=BB343_232 Depth=1
	s_andn2_saveexec_b64 s[8:9], s[0:1]
; %bb.511:                              ;   in Loop: Header=BB343_232 Depth=1
	v_or_b32_e32 v65, 0x10000, v68
	v_cmp_eq_u32_sdwa s[0:1], v68, v17 src0_sel:WORD_0 src1_sel:DWORD
	s_nop 1
	v_cndmask_b32_e64 v65, v65, v68, s[0:1]
; %bb.512:                              ;   in Loop: Header=BB343_232 Depth=1
	s_or_b64 exec, exec, s[8:9]
	v_lshlrev_b32_e32 v66, 16, v66
	v_mul_f32_e32 v68, v42, v66
	v_and_b32_e32 v66, 0x7f800000, v68
	v_cmp_ne_u32_e64 s[0:1], s14, v66
                                        ; implicit-def: $vgpr66
	s_and_saveexec_b64 s[8:9], s[0:1]
	s_xor_b64 s[0:1], exec, s[8:9]
; %bb.513:                              ;   in Loop: Header=BB343_232 Depth=1
	v_bfe_u32 v66, v68, 16, 1
	v_add3_u32 v66, v68, v66, s15
                                        ; implicit-def: $vgpr68
; %bb.514:                              ;   in Loop: Header=BB343_232 Depth=1
	s_andn2_saveexec_b64 s[8:9], s[0:1]
; %bb.515:                              ;   in Loop: Header=BB343_232 Depth=1
	v_or_b32_e32 v66, 0x10000, v68
	v_cmp_eq_u32_sdwa s[0:1], v68, v17 src0_sel:WORD_0 src1_sel:DWORD
	s_nop 1
	v_cndmask_b32_e64 v66, v66, v68, s[0:1]
; %bb.516:                              ;   in Loop: Header=BB343_232 Depth=1
	s_or_b64 exec, exec, s[8:9]
	v_lshlrev_b32_e32 v67, 16, v67
	v_mul_f32_e32 v68, v43, v67
	v_and_b32_e32 v67, 0x7f800000, v68
	v_cmp_ne_u32_e64 s[0:1], s14, v67
                                        ; implicit-def: $vgpr67
	s_and_saveexec_b64 s[8:9], s[0:1]
	s_xor_b64 s[0:1], exec, s[8:9]
; %bb.517:                              ;   in Loop: Header=BB343_232 Depth=1
	v_bfe_u32 v67, v68, 16, 1
	v_add3_u32 v67, v68, v67, s15
                                        ; implicit-def: $vgpr68
; %bb.518:                              ;   in Loop: Header=BB343_232 Depth=1
	s_andn2_saveexec_b64 s[8:9], s[0:1]
; %bb.519:                              ;   in Loop: Header=BB343_232 Depth=1
	v_or_b32_e32 v67, 0x10000, v68
	v_cmp_eq_u32_sdwa s[0:1], v68, v17 src0_sel:WORD_0 src1_sel:DWORD
	s_nop 1
	v_cndmask_b32_e64 v67, v67, v68, s[0:1]
; %bb.520:                              ;   in Loop: Header=BB343_232 Depth=1
	s_or_b64 exec, exec, s[8:9]
	v_lshlrev_b32_e32 v5, 16, v5
	v_mul_f32_e32 v5, v44, v5
	v_and_b32_e32 v68, 0x7f800000, v5
	v_cmp_ne_u32_e64 s[0:1], s14, v68
                                        ; implicit-def: $vgpr68
	s_and_saveexec_b64 s[8:9], s[0:1]
	s_xor_b64 s[0:1], exec, s[8:9]
; %bb.521:                              ;   in Loop: Header=BB343_232 Depth=1
	v_bfe_u32 v68, v5, 16, 1
	v_add3_u32 v68, v5, v68, s15
                                        ; implicit-def: $vgpr5
; %bb.522:                              ;   in Loop: Header=BB343_232 Depth=1
	s_andn2_saveexec_b64 s[8:9], s[0:1]
; %bb.523:                              ;   in Loop: Header=BB343_232 Depth=1
	v_or_b32_e32 v68, 0x10000, v5
	v_cmp_eq_u32_sdwa s[0:1], v5, v17 src0_sel:WORD_0 src1_sel:DWORD
	s_nop 1
	v_cndmask_b32_e64 v68, v68, v5, s[0:1]
; %bb.524:                              ;   in Loop: Header=BB343_232 Depth=1
	s_or_b64 exec, exec, s[8:9]
	v_lshlrev_b32_e32 v4, 16, v4
	v_mul_f32_e32 v4, v45, v4
	v_and_b32_e32 v5, 0x7f800000, v4
	v_cmp_ne_u32_e64 s[0:1], s14, v5
                                        ; implicit-def: $vgpr69
	s_and_saveexec_b64 s[8:9], s[0:1]
	s_xor_b64 s[0:1], exec, s[8:9]
; %bb.525:                              ;   in Loop: Header=BB343_232 Depth=1
	v_bfe_u32 v5, v4, 16, 1
	v_add3_u32 v69, v4, v5, s15
                                        ; implicit-def: $vgpr4
; %bb.526:                              ;   in Loop: Header=BB343_232 Depth=1
	s_andn2_saveexec_b64 s[8:9], s[0:1]
; %bb.527:                              ;   in Loop: Header=BB343_232 Depth=1
	v_or_b32_e32 v5, 0x10000, v4
	v_cmp_eq_u32_sdwa s[0:1], v4, v17 src0_sel:WORD_0 src1_sel:DWORD
	s_nop 1
	v_cndmask_b32_e64 v69, v5, v4, s[0:1]
; %bb.528:                              ;   in Loop: Header=BB343_232 Depth=1
	s_or_b64 exec, exec, s[8:9]
	global_load_dwordx2 v[4:5], v[2:3], off offset:2048
	s_waitcnt vmcnt(0)
	v_and_b32_e32 v70, 0xff, v4
	v_cvt_f32_fp8_sdwa v70, v70 src0_sel:BYTE_0
	s_nop 0
	v_mul_f32_e32 v71, s10, v70
	v_and_b32_e32 v70, 0x7f800000, v71
	v_cmp_ne_u32_e64 s[0:1], s14, v70
                                        ; implicit-def: $vgpr70
	s_and_saveexec_b64 s[8:9], s[0:1]
	s_xor_b64 s[0:1], exec, s[8:9]
; %bb.529:                              ;   in Loop: Header=BB343_232 Depth=1
	v_bfe_u32 v70, v71, 16, 1
	v_add3_u32 v70, v71, v70, s15
                                        ; implicit-def: $vgpr71
; %bb.530:                              ;   in Loop: Header=BB343_232 Depth=1
	s_andn2_saveexec_b64 s[8:9], s[0:1]
; %bb.531:                              ;   in Loop: Header=BB343_232 Depth=1
	v_or_b32_e32 v70, 0x10000, v71
	v_cmp_eq_u32_sdwa s[0:1], v71, v17 src0_sel:WORD_0 src1_sel:DWORD
	s_nop 1
	v_cndmask_b32_e64 v70, v70, v71, s[0:1]
; %bb.532:                              ;   in Loop: Header=BB343_232 Depth=1
	s_or_b64 exec, exec, s[8:9]
	v_bfe_u32 v71, v4, 8, 8
	v_cvt_f32_fp8_sdwa v71, v71 src0_sel:BYTE_0
	s_nop 0
	v_mul_f32_e32 v72, s10, v71
	v_and_b32_e32 v71, 0x7f800000, v72
	v_cmp_ne_u32_e64 s[0:1], s14, v71
                                        ; implicit-def: $vgpr71
	s_and_saveexec_b64 s[8:9], s[0:1]
	s_xor_b64 s[0:1], exec, s[8:9]
; %bb.533:                              ;   in Loop: Header=BB343_232 Depth=1
	v_bfe_u32 v71, v72, 16, 1
	v_add3_u32 v71, v72, v71, s15
                                        ; implicit-def: $vgpr72
; %bb.534:                              ;   in Loop: Header=BB343_232 Depth=1
	s_andn2_saveexec_b64 s[8:9], s[0:1]
; %bb.535:                              ;   in Loop: Header=BB343_232 Depth=1
	v_or_b32_e32 v71, 0x10000, v72
	v_cmp_eq_u32_sdwa s[0:1], v72, v17 src0_sel:WORD_0 src1_sel:DWORD
	s_nop 1
	v_cndmask_b32_e64 v71, v71, v72, s[0:1]
; %bb.536:                              ;   in Loop: Header=BB343_232 Depth=1
	s_or_b64 exec, exec, s[8:9]
	v_bfe_u32 v72, v4, 16, 8
	v_cvt_f32_fp8_sdwa v72, v72 src0_sel:BYTE_0
	s_nop 0
	v_mul_f32_e32 v73, s10, v72
	v_and_b32_e32 v72, 0x7f800000, v73
	v_cmp_ne_u32_e64 s[0:1], s14, v72
                                        ; implicit-def: $vgpr72
	s_and_saveexec_b64 s[8:9], s[0:1]
	s_xor_b64 s[0:1], exec, s[8:9]
; %bb.537:                              ;   in Loop: Header=BB343_232 Depth=1
	v_bfe_u32 v72, v73, 16, 1
	v_add3_u32 v72, v73, v72, s15
                                        ; implicit-def: $vgpr73
; %bb.538:                              ;   in Loop: Header=BB343_232 Depth=1
	s_andn2_saveexec_b64 s[8:9], s[0:1]
; %bb.539:                              ;   in Loop: Header=BB343_232 Depth=1
	v_or_b32_e32 v72, 0x10000, v73
	v_cmp_eq_u32_sdwa s[0:1], v73, v17 src0_sel:WORD_0 src1_sel:DWORD
	s_nop 1
	v_cndmask_b32_e64 v72, v72, v73, s[0:1]
; %bb.540:                              ;   in Loop: Header=BB343_232 Depth=1
	s_or_b64 exec, exec, s[8:9]
	v_lshrrev_b32_e32 v4, 24, v4
	v_cvt_f32_fp8_sdwa v4, v4 src0_sel:BYTE_0
	s_nop 0
	v_mul_f32_e32 v73, s10, v4
	v_and_b32_e32 v4, 0x7f800000, v73
	v_cmp_ne_u32_e64 s[0:1], s14, v4
                                        ; implicit-def: $vgpr4
	s_and_saveexec_b64 s[8:9], s[0:1]
	s_xor_b64 s[0:1], exec, s[8:9]
; %bb.541:                              ;   in Loop: Header=BB343_232 Depth=1
	v_bfe_u32 v4, v73, 16, 1
	v_add3_u32 v4, v73, v4, s15
                                        ; implicit-def: $vgpr73
; %bb.542:                              ;   in Loop: Header=BB343_232 Depth=1
	s_andn2_saveexec_b64 s[8:9], s[0:1]
; %bb.543:                              ;   in Loop: Header=BB343_232 Depth=1
	v_or_b32_e32 v4, 0x10000, v73
	v_cmp_eq_u32_sdwa s[0:1], v73, v17 src0_sel:WORD_0 src1_sel:DWORD
	s_nop 1
	v_cndmask_b32_e64 v4, v4, v73, s[0:1]
; %bb.544:                              ;   in Loop: Header=BB343_232 Depth=1
	s_or_b64 exec, exec, s[8:9]
	v_and_b32_e32 v73, 0xff, v5
	v_cvt_f32_fp8_sdwa v73, v73 src0_sel:BYTE_0
	s_nop 0
	v_mul_f32_e32 v73, s10, v73
	v_and_b32_e32 v74, 0x7f800000, v73
	v_cmp_ne_u32_e64 s[0:1], s14, v74
                                        ; implicit-def: $vgpr74
	s_and_saveexec_b64 s[8:9], s[0:1]
	s_xor_b64 s[0:1], exec, s[8:9]
; %bb.545:                              ;   in Loop: Header=BB343_232 Depth=1
	v_bfe_u32 v74, v73, 16, 1
	v_add3_u32 v74, v73, v74, s15
                                        ; implicit-def: $vgpr73
; %bb.546:                              ;   in Loop: Header=BB343_232 Depth=1
	s_andn2_saveexec_b64 s[8:9], s[0:1]
; %bb.547:                              ;   in Loop: Header=BB343_232 Depth=1
	v_or_b32_e32 v74, 0x10000, v73
	v_cmp_eq_u32_sdwa s[0:1], v73, v17 src0_sel:WORD_0 src1_sel:DWORD
	s_nop 1
	v_cndmask_b32_e64 v74, v74, v73, s[0:1]
; %bb.548:                              ;   in Loop: Header=BB343_232 Depth=1
	s_or_b64 exec, exec, s[8:9]
	v_bfe_u32 v73, v5, 8, 8
	v_cvt_f32_fp8_sdwa v73, v73 src0_sel:BYTE_0
	s_nop 0
	v_mul_f32_e32 v75, s10, v73
	v_and_b32_e32 v73, 0x7f800000, v75
	v_cmp_ne_u32_e64 s[0:1], s14, v73
                                        ; implicit-def: $vgpr73
	s_and_saveexec_b64 s[8:9], s[0:1]
	s_xor_b64 s[0:1], exec, s[8:9]
; %bb.549:                              ;   in Loop: Header=BB343_232 Depth=1
	v_bfe_u32 v73, v75, 16, 1
	v_add3_u32 v73, v75, v73, s15
                                        ; implicit-def: $vgpr75
; %bb.550:                              ;   in Loop: Header=BB343_232 Depth=1
	s_andn2_saveexec_b64 s[8:9], s[0:1]
; %bb.551:                              ;   in Loop: Header=BB343_232 Depth=1
	v_or_b32_e32 v73, 0x10000, v75
	v_cmp_eq_u32_sdwa s[0:1], v75, v17 src0_sel:WORD_0 src1_sel:DWORD
	s_nop 1
	v_cndmask_b32_e64 v73, v73, v75, s[0:1]
; %bb.552:                              ;   in Loop: Header=BB343_232 Depth=1
	s_or_b64 exec, exec, s[8:9]
	v_bfe_u32 v75, v5, 16, 8
	v_cvt_f32_fp8_sdwa v75, v75 src0_sel:BYTE_0
	s_nop 0
	v_mul_f32_e32 v76, s10, v75
	v_and_b32_e32 v75, 0x7f800000, v76
	v_cmp_ne_u32_e64 s[0:1], s14, v75
                                        ; implicit-def: $vgpr75
	s_and_saveexec_b64 s[8:9], s[0:1]
	s_xor_b64 s[0:1], exec, s[8:9]
; %bb.553:                              ;   in Loop: Header=BB343_232 Depth=1
	v_bfe_u32 v75, v76, 16, 1
	v_add3_u32 v75, v76, v75, s15
                                        ; implicit-def: $vgpr76
; %bb.554:                              ;   in Loop: Header=BB343_232 Depth=1
	s_andn2_saveexec_b64 s[8:9], s[0:1]
; %bb.555:                              ;   in Loop: Header=BB343_232 Depth=1
	v_or_b32_e32 v75, 0x10000, v76
	v_cmp_eq_u32_sdwa s[0:1], v76, v17 src0_sel:WORD_0 src1_sel:DWORD
	s_nop 1
	v_cndmask_b32_e64 v75, v75, v76, s[0:1]
; %bb.556:                              ;   in Loop: Header=BB343_232 Depth=1
	s_or_b64 exec, exec, s[8:9]
	v_lshrrev_b32_e32 v5, 24, v5
	v_cvt_f32_fp8_sdwa v5, v5 src0_sel:BYTE_0
                                        ; implicit-def: $vgpr78
	s_nop 0
	v_mul_f32_e32 v5, s10, v5
	v_and_b32_e32 v76, 0x7f800000, v5
	v_cmp_ne_u32_e64 s[0:1], s14, v76
	s_and_saveexec_b64 s[8:9], s[0:1]
	s_xor_b64 s[0:1], exec, s[8:9]
; %bb.557:                              ;   in Loop: Header=BB343_232 Depth=1
	v_bfe_u32 v76, v5, 16, 1
	v_add3_u32 v78, v5, v76, s15
                                        ; implicit-def: $vgpr5
; %bb.558:                              ;   in Loop: Header=BB343_232 Depth=1
	s_andn2_saveexec_b64 s[8:9], s[0:1]
; %bb.559:                              ;   in Loop: Header=BB343_232 Depth=1
	v_or_b32_e32 v76, 0x10000, v5
	v_cmp_eq_u32_sdwa s[0:1], v5, v17 src0_sel:WORD_0 src1_sel:DWORD
	s_nop 1
	v_cndmask_b32_e64 v78, v76, v5, s[0:1]
; %bb.560:                              ;   in Loop: Header=BB343_232 Depth=1
	s_or_b64 exec, exec, s[8:9]
	v_lshrrev_b32_e32 v73, 16, v73
	v_lshrrev_b32_e32 v76, 16, v74
	;; [unrolled: 1-line block ×8, first 2 shown]
	s_and_saveexec_b64 s[8:9], vcc
	s_cbranch_execz .LBB343_562
; %bb.561:                              ;   in Loop: Header=BB343_232 Depth=1
	v_cmp_gt_i32_e64 s[0:1], s17, v30
	s_nop 1
	v_cndmask_b32_e64 v4, 0, v4, s[0:1]
	v_cmp_gt_i32_e64 s[0:1], s17, v36
	s_nop 1
	v_cndmask_b32_e64 v5, 0, v5, s[0:1]
	;; [unrolled: 3-line block ×8, first 2 shown]
.LBB343_562:                            ;   in Loop: Header=BB343_232 Depth=1
	s_or_b64 exec, exec, s[8:9]
	v_lshlrev_b32_e32 v4, 16, v4
	v_mul_f32_e32 v70, v38, v4
	v_and_b32_e32 v4, 0x7f800000, v70
	v_cmp_ne_u32_e64 s[0:1], s14, v4
                                        ; implicit-def: $vgpr4
	s_and_saveexec_b64 s[8:9], s[0:1]
	s_xor_b64 s[0:1], exec, s[8:9]
; %bb.563:                              ;   in Loop: Header=BB343_232 Depth=1
	v_bfe_u32 v4, v70, 16, 1
	v_add3_u32 v4, v70, v4, s15
                                        ; implicit-def: $vgpr70
; %bb.564:                              ;   in Loop: Header=BB343_232 Depth=1
	s_andn2_saveexec_b64 s[8:9], s[0:1]
; %bb.565:                              ;   in Loop: Header=BB343_232 Depth=1
	v_or_b32_e32 v4, 0x10000, v70
	v_cmp_eq_u32_sdwa s[0:1], v70, v17 src0_sel:WORD_0 src1_sel:DWORD
	s_nop 1
	v_cndmask_b32_e64 v4, v4, v70, s[0:1]
; %bb.566:                              ;   in Loop: Header=BB343_232 Depth=1
	s_or_b64 exec, exec, s[8:9]
	v_lshlrev_b32_e32 v5, 16, v5
	v_mul_f32_e32 v70, v39, v5
	v_and_b32_e32 v5, 0x7f800000, v70
	v_cmp_ne_u32_e64 s[0:1], s14, v5
                                        ; implicit-def: $vgpr5
	s_and_saveexec_b64 s[8:9], s[0:1]
	s_xor_b64 s[0:1], exec, s[8:9]
; %bb.567:                              ;   in Loop: Header=BB343_232 Depth=1
	v_bfe_u32 v5, v70, 16, 1
	v_add3_u32 v5, v70, v5, s15
                                        ; implicit-def: $vgpr70
; %bb.568:                              ;   in Loop: Header=BB343_232 Depth=1
	s_andn2_saveexec_b64 s[8:9], s[0:1]
; %bb.569:                              ;   in Loop: Header=BB343_232 Depth=1
	v_or_b32_e32 v5, 0x10000, v70
	v_cmp_eq_u32_sdwa s[0:1], v70, v17 src0_sel:WORD_0 src1_sel:DWORD
	s_nop 1
	v_cndmask_b32_e64 v5, v5, v70, s[0:1]
; %bb.570:                              ;   in Loop: Header=BB343_232 Depth=1
	s_or_b64 exec, exec, s[8:9]
	v_lshlrev_b32_e32 v70, 16, v72
	v_mul_f32_e32 v71, v40, v70
	v_and_b32_e32 v70, 0x7f800000, v71
	v_cmp_ne_u32_e64 s[0:1], s14, v70
                                        ; implicit-def: $vgpr70
	s_and_saveexec_b64 s[8:9], s[0:1]
	s_xor_b64 s[0:1], exec, s[8:9]
; %bb.571:                              ;   in Loop: Header=BB343_232 Depth=1
	v_bfe_u32 v70, v71, 16, 1
	v_add3_u32 v70, v71, v70, s15
                                        ; implicit-def: $vgpr71
; %bb.572:                              ;   in Loop: Header=BB343_232 Depth=1
	s_andn2_saveexec_b64 s[8:9], s[0:1]
; %bb.573:                              ;   in Loop: Header=BB343_232 Depth=1
	v_or_b32_e32 v70, 0x10000, v71
	v_cmp_eq_u32_sdwa s[0:1], v71, v17 src0_sel:WORD_0 src1_sel:DWORD
	s_nop 1
	v_cndmask_b32_e64 v70, v70, v71, s[0:1]
; %bb.574:                              ;   in Loop: Header=BB343_232 Depth=1
	s_or_b64 exec, exec, s[8:9]
	v_lshlrev_b32_e32 v71, 16, v77
	v_mul_f32_e32 v72, v41, v71
	v_and_b32_e32 v71, 0x7f800000, v72
	v_cmp_ne_u32_e64 s[0:1], s14, v71
                                        ; implicit-def: $vgpr71
	s_and_saveexec_b64 s[8:9], s[0:1]
	s_xor_b64 s[0:1], exec, s[8:9]
; %bb.575:                              ;   in Loop: Header=BB343_232 Depth=1
	v_bfe_u32 v71, v72, 16, 1
	v_add3_u32 v71, v72, v71, s15
                                        ; implicit-def: $vgpr72
; %bb.576:                              ;   in Loop: Header=BB343_232 Depth=1
	s_andn2_saveexec_b64 s[8:9], s[0:1]
; %bb.577:                              ;   in Loop: Header=BB343_232 Depth=1
	v_or_b32_e32 v71, 0x10000, v72
	v_cmp_eq_u32_sdwa s[0:1], v72, v17 src0_sel:WORD_0 src1_sel:DWORD
	s_nop 1
	v_cndmask_b32_e64 v71, v71, v72, s[0:1]
; %bb.578:                              ;   in Loop: Header=BB343_232 Depth=1
	s_or_b64 exec, exec, s[8:9]
	v_lshlrev_b32_e32 v72, 16, v76
	v_mul_f32_e32 v76, v42, v72
	v_and_b32_e32 v72, 0x7f800000, v76
	v_cmp_ne_u32_e64 s[0:1], s14, v72
                                        ; implicit-def: $vgpr72
	s_and_saveexec_b64 s[8:9], s[0:1]
	s_xor_b64 s[0:1], exec, s[8:9]
; %bb.579:                              ;   in Loop: Header=BB343_232 Depth=1
	v_bfe_u32 v72, v76, 16, 1
	v_add3_u32 v72, v76, v72, s15
                                        ; implicit-def: $vgpr76
; %bb.580:                              ;   in Loop: Header=BB343_232 Depth=1
	s_andn2_saveexec_b64 s[8:9], s[0:1]
; %bb.581:                              ;   in Loop: Header=BB343_232 Depth=1
	v_or_b32_e32 v72, 0x10000, v76
	v_cmp_eq_u32_sdwa s[0:1], v76, v17 src0_sel:WORD_0 src1_sel:DWORD
	s_nop 1
	v_cndmask_b32_e64 v72, v72, v76, s[0:1]
; %bb.582:                              ;   in Loop: Header=BB343_232 Depth=1
	s_or_b64 exec, exec, s[8:9]
	v_lshlrev_b32_e32 v73, 16, v73
	v_mul_f32_e32 v76, v43, v73
	v_and_b32_e32 v73, 0x7f800000, v76
	v_cmp_ne_u32_e64 s[0:1], s14, v73
                                        ; implicit-def: $vgpr73
	s_and_saveexec_b64 s[8:9], s[0:1]
	s_xor_b64 s[0:1], exec, s[8:9]
; %bb.583:                              ;   in Loop: Header=BB343_232 Depth=1
	v_bfe_u32 v73, v76, 16, 1
	v_add3_u32 v73, v76, v73, s15
                                        ; implicit-def: $vgpr76
; %bb.584:                              ;   in Loop: Header=BB343_232 Depth=1
	s_andn2_saveexec_b64 s[8:9], s[0:1]
; %bb.585:                              ;   in Loop: Header=BB343_232 Depth=1
	v_or_b32_e32 v73, 0x10000, v76
	v_cmp_eq_u32_sdwa s[0:1], v76, v17 src0_sel:WORD_0 src1_sel:DWORD
	s_nop 1
	v_cndmask_b32_e64 v73, v73, v76, s[0:1]
; %bb.586:                              ;   in Loop: Header=BB343_232 Depth=1
	s_or_b64 exec, exec, s[8:9]
	v_lshlrev_b32_e32 v74, 16, v74
	v_mul_f32_e32 v76, v44, v74
	v_and_b32_e32 v74, 0x7f800000, v76
	v_cmp_ne_u32_e64 s[0:1], s14, v74
                                        ; implicit-def: $vgpr74
	s_and_saveexec_b64 s[8:9], s[0:1]
	s_xor_b64 s[0:1], exec, s[8:9]
; %bb.587:                              ;   in Loop: Header=BB343_232 Depth=1
	v_bfe_u32 v74, v76, 16, 1
	v_add3_u32 v74, v76, v74, s15
                                        ; implicit-def: $vgpr76
; %bb.588:                              ;   in Loop: Header=BB343_232 Depth=1
	s_andn2_saveexec_b64 s[8:9], s[0:1]
; %bb.589:                              ;   in Loop: Header=BB343_232 Depth=1
	v_or_b32_e32 v74, 0x10000, v76
	v_cmp_eq_u32_sdwa s[0:1], v76, v17 src0_sel:WORD_0 src1_sel:DWORD
	s_nop 1
	v_cndmask_b32_e64 v74, v74, v76, s[0:1]
; %bb.590:                              ;   in Loop: Header=BB343_232 Depth=1
	s_or_b64 exec, exec, s[8:9]
	v_lshlrev_b32_e32 v75, 16, v75
	v_mul_f32_e32 v76, v45, v75
	v_and_b32_e32 v75, 0x7f800000, v76
	v_cmp_ne_u32_e64 s[0:1], s14, v75
                                        ; implicit-def: $vgpr75
	s_and_saveexec_b64 s[8:9], s[0:1]
	s_xor_b64 s[0:1], exec, s[8:9]
; %bb.591:                              ;   in Loop: Header=BB343_232 Depth=1
	v_bfe_u32 v75, v76, 16, 1
	v_add3_u32 v75, v76, v75, s15
                                        ; implicit-def: $vgpr76
; %bb.592:                              ;   in Loop: Header=BB343_232 Depth=1
	s_andn2_saveexec_b64 s[8:9], s[0:1]
; %bb.593:                              ;   in Loop: Header=BB343_232 Depth=1
	v_or_b32_e32 v75, 0x10000, v76
	v_cmp_eq_u32_sdwa s[0:1], v76, v17 src0_sel:WORD_0 src1_sel:DWORD
	s_nop 1
	v_cndmask_b32_e64 v75, v75, v76, s[0:1]
; %bb.594:                              ;   in Loop: Header=BB343_232 Depth=1
	s_or_b64 exec, exec, s[8:9]
	global_load_dwordx2 v[2:3], v[2:3], off offset:2560
	s_waitcnt vmcnt(0)
	v_and_b32_e32 v76, 0xff, v2
	v_cvt_f32_fp8_sdwa v76, v76 src0_sel:BYTE_0
	s_nop 0
	v_mul_f32_e32 v77, s10, v76
	v_and_b32_e32 v76, 0x7f800000, v77
	v_cmp_ne_u32_e64 s[0:1], s14, v76
                                        ; implicit-def: $vgpr76
	s_and_saveexec_b64 s[8:9], s[0:1]
	s_xor_b64 s[0:1], exec, s[8:9]
; %bb.595:                              ;   in Loop: Header=BB343_232 Depth=1
	v_bfe_u32 v76, v77, 16, 1
	v_add3_u32 v76, v77, v76, s15
                                        ; implicit-def: $vgpr77
; %bb.596:                              ;   in Loop: Header=BB343_232 Depth=1
	s_andn2_saveexec_b64 s[8:9], s[0:1]
; %bb.597:                              ;   in Loop: Header=BB343_232 Depth=1
	v_or_b32_e32 v76, 0x10000, v77
	v_cmp_eq_u32_sdwa s[0:1], v77, v17 src0_sel:WORD_0 src1_sel:DWORD
	s_nop 1
	v_cndmask_b32_e64 v76, v76, v77, s[0:1]
; %bb.598:                              ;   in Loop: Header=BB343_232 Depth=1
	s_or_b64 exec, exec, s[8:9]
	v_bfe_u32 v77, v2, 8, 8
	v_cvt_f32_fp8_sdwa v77, v77 src0_sel:BYTE_0
	s_nop 0
	v_mul_f32_e32 v78, s10, v77
	v_and_b32_e32 v77, 0x7f800000, v78
	v_cmp_ne_u32_e64 s[0:1], s14, v77
                                        ; implicit-def: $vgpr77
	s_and_saveexec_b64 s[8:9], s[0:1]
	s_xor_b64 s[0:1], exec, s[8:9]
; %bb.599:                              ;   in Loop: Header=BB343_232 Depth=1
	v_bfe_u32 v77, v78, 16, 1
	v_add3_u32 v77, v78, v77, s15
                                        ; implicit-def: $vgpr78
; %bb.600:                              ;   in Loop: Header=BB343_232 Depth=1
	s_andn2_saveexec_b64 s[8:9], s[0:1]
; %bb.601:                              ;   in Loop: Header=BB343_232 Depth=1
	v_or_b32_e32 v77, 0x10000, v78
	v_cmp_eq_u32_sdwa s[0:1], v78, v17 src0_sel:WORD_0 src1_sel:DWORD
	s_nop 1
	v_cndmask_b32_e64 v77, v77, v78, s[0:1]
; %bb.602:                              ;   in Loop: Header=BB343_232 Depth=1
	s_or_b64 exec, exec, s[8:9]
	v_bfe_u32 v78, v2, 16, 8
	v_cvt_f32_fp8_sdwa v78, v78 src0_sel:BYTE_0
	s_nop 0
	v_mul_f32_e32 v78, s10, v78
	v_and_b32_e32 v79, 0x7f800000, v78
	v_cmp_ne_u32_e64 s[0:1], s14, v79
                                        ; implicit-def: $vgpr79
	s_and_saveexec_b64 s[8:9], s[0:1]
	s_xor_b64 s[0:1], exec, s[8:9]
; %bb.603:                              ;   in Loop: Header=BB343_232 Depth=1
	v_bfe_u32 v79, v78, 16, 1
	v_add3_u32 v79, v78, v79, s15
                                        ; implicit-def: $vgpr78
; %bb.604:                              ;   in Loop: Header=BB343_232 Depth=1
	s_andn2_saveexec_b64 s[8:9], s[0:1]
; %bb.605:                              ;   in Loop: Header=BB343_232 Depth=1
	v_or_b32_e32 v79, 0x10000, v78
	v_cmp_eq_u32_sdwa s[0:1], v78, v17 src0_sel:WORD_0 src1_sel:DWORD
	s_nop 1
	v_cndmask_b32_e64 v79, v79, v78, s[0:1]
; %bb.606:                              ;   in Loop: Header=BB343_232 Depth=1
	s_or_b64 exec, exec, s[8:9]
	v_lshrrev_b32_e32 v2, 24, v2
	v_cvt_f32_fp8_sdwa v2, v2 src0_sel:BYTE_0
	s_nop 0
	v_mul_f32_e32 v78, s10, v2
	v_and_b32_e32 v2, 0x7f800000, v78
	v_cmp_ne_u32_e64 s[0:1], s14, v2
                                        ; implicit-def: $vgpr2
	s_and_saveexec_b64 s[8:9], s[0:1]
	s_xor_b64 s[0:1], exec, s[8:9]
; %bb.607:                              ;   in Loop: Header=BB343_232 Depth=1
	v_bfe_u32 v2, v78, 16, 1
	v_add3_u32 v2, v78, v2, s15
                                        ; implicit-def: $vgpr78
; %bb.608:                              ;   in Loop: Header=BB343_232 Depth=1
	s_andn2_saveexec_b64 s[8:9], s[0:1]
; %bb.609:                              ;   in Loop: Header=BB343_232 Depth=1
	v_or_b32_e32 v2, 0x10000, v78
	v_cmp_eq_u32_sdwa s[0:1], v78, v17 src0_sel:WORD_0 src1_sel:DWORD
	s_nop 1
	v_cndmask_b32_e64 v2, v2, v78, s[0:1]
; %bb.610:                              ;   in Loop: Header=BB343_232 Depth=1
	s_or_b64 exec, exec, s[8:9]
	v_and_b32_e32 v78, 0xff, v3
	v_cvt_f32_fp8_sdwa v78, v78 src0_sel:BYTE_0
	s_nop 0
	v_mul_f32_e32 v78, s10, v78
	v_and_b32_e32 v80, 0x7f800000, v78
	v_cmp_ne_u32_e64 s[0:1], s14, v80
                                        ; implicit-def: $vgpr80
	s_and_saveexec_b64 s[8:9], s[0:1]
	s_xor_b64 s[0:1], exec, s[8:9]
; %bb.611:                              ;   in Loop: Header=BB343_232 Depth=1
	v_bfe_u32 v80, v78, 16, 1
	v_add3_u32 v80, v78, v80, s15
                                        ; implicit-def: $vgpr78
; %bb.612:                              ;   in Loop: Header=BB343_232 Depth=1
	s_andn2_saveexec_b64 s[8:9], s[0:1]
; %bb.613:                              ;   in Loop: Header=BB343_232 Depth=1
	v_or_b32_e32 v80, 0x10000, v78
	v_cmp_eq_u32_sdwa s[0:1], v78, v17 src0_sel:WORD_0 src1_sel:DWORD
	s_nop 1
	v_cndmask_b32_e64 v80, v80, v78, s[0:1]
; %bb.614:                              ;   in Loop: Header=BB343_232 Depth=1
	s_or_b64 exec, exec, s[8:9]
	v_bfe_u32 v78, v3, 8, 8
	v_cvt_f32_fp8_sdwa v78, v78 src0_sel:BYTE_0
	s_nop 0
	v_mul_f32_e32 v81, s10, v78
	v_and_b32_e32 v78, 0x7f800000, v81
	v_cmp_ne_u32_e64 s[0:1], s14, v78
                                        ; implicit-def: $vgpr78
	s_and_saveexec_b64 s[8:9], s[0:1]
	s_xor_b64 s[0:1], exec, s[8:9]
; %bb.615:                              ;   in Loop: Header=BB343_232 Depth=1
	v_bfe_u32 v78, v81, 16, 1
	v_add3_u32 v78, v81, v78, s15
                                        ; implicit-def: $vgpr81
; %bb.616:                              ;   in Loop: Header=BB343_232 Depth=1
	s_andn2_saveexec_b64 s[8:9], s[0:1]
; %bb.617:                              ;   in Loop: Header=BB343_232 Depth=1
	v_or_b32_e32 v78, 0x10000, v81
	v_cmp_eq_u32_sdwa s[0:1], v81, v17 src0_sel:WORD_0 src1_sel:DWORD
	s_nop 1
	v_cndmask_b32_e64 v78, v78, v81, s[0:1]
; %bb.618:                              ;   in Loop: Header=BB343_232 Depth=1
	s_or_b64 exec, exec, s[8:9]
	v_bfe_u32 v81, v3, 16, 8
	v_cvt_f32_fp8_sdwa v81, v81 src0_sel:BYTE_0
	s_nop 0
	v_mul_f32_e32 v81, s10, v81
	v_and_b32_e32 v82, 0x7f800000, v81
	v_cmp_ne_u32_e64 s[0:1], s14, v82
                                        ; implicit-def: $vgpr82
	s_and_saveexec_b64 s[8:9], s[0:1]
	s_xor_b64 s[0:1], exec, s[8:9]
; %bb.619:                              ;   in Loop: Header=BB343_232 Depth=1
	v_bfe_u32 v82, v81, 16, 1
	v_add3_u32 v82, v81, v82, s15
                                        ; implicit-def: $vgpr81
; %bb.620:                              ;   in Loop: Header=BB343_232 Depth=1
	s_andn2_saveexec_b64 s[8:9], s[0:1]
; %bb.621:                              ;   in Loop: Header=BB343_232 Depth=1
	v_or_b32_e32 v82, 0x10000, v81
	v_cmp_eq_u32_sdwa s[0:1], v81, v17 src0_sel:WORD_0 src1_sel:DWORD
	s_nop 1
	v_cndmask_b32_e64 v82, v82, v81, s[0:1]
; %bb.622:                              ;   in Loop: Header=BB343_232 Depth=1
	s_or_b64 exec, exec, s[8:9]
	v_lshrrev_b32_e32 v3, 24, v3
	v_cvt_f32_fp8_sdwa v3, v3 src0_sel:BYTE_0
                                        ; implicit-def: $vgpr83
	s_nop 0
	v_mul_f32_e32 v3, s10, v3
	v_and_b32_e32 v81, 0x7f800000, v3
	v_cmp_ne_u32_e64 s[0:1], s14, v81
	s_and_saveexec_b64 s[8:9], s[0:1]
	s_xor_b64 s[0:1], exec, s[8:9]
; %bb.623:                              ;   in Loop: Header=BB343_232 Depth=1
	v_bfe_u32 v81, v3, 16, 1
	v_add3_u32 v83, v3, v81, s15
                                        ; implicit-def: $vgpr3
; %bb.624:                              ;   in Loop: Header=BB343_232 Depth=1
	s_andn2_saveexec_b64 s[8:9], s[0:1]
; %bb.625:                              ;   in Loop: Header=BB343_232 Depth=1
	v_or_b32_e32 v81, 0x10000, v3
	v_cmp_eq_u32_sdwa s[0:1], v3, v17 src0_sel:WORD_0 src1_sel:DWORD
	s_nop 1
	v_cndmask_b32_e64 v83, v81, v3, s[0:1]
; %bb.626:                              ;   in Loop: Header=BB343_232 Depth=1
	s_or_b64 exec, exec, s[8:9]
	v_lshrrev_b32_e32 v78, 16, v78
	v_lshrrev_b32_e32 v80, 16, v80
	;; [unrolled: 1-line block ×8, first 2 shown]
	s_and_saveexec_b64 s[0:1], vcc
	s_cbranch_execz .LBB343_628
; %bb.627:                              ;   in Loop: Header=BB343_232 Depth=1
	v_cmp_gt_i32_e32 vcc, s17, v30
	s_nop 1
	v_cndmask_b32_e32 v2, 0, v2, vcc
	v_cmp_gt_i32_e32 vcc, s17, v36
	s_nop 1
	v_cndmask_b32_e32 v3, 0, v3, vcc
	;; [unrolled: 3-line block ×8, first 2 shown]
.LBB343_628:                            ;   in Loop: Header=BB343_232 Depth=1
	s_or_b64 exec, exec, s[0:1]
	v_lshlrev_b32_e32 v2, 16, v2
	v_mul_f32_e32 v30, v38, v2
	v_and_b32_e32 v2, 0x7f800000, v30
	v_cmp_ne_u32_e32 vcc, s14, v2
                                        ; implicit-def: $vgpr2
	s_and_saveexec_b64 s[0:1], vcc
	s_xor_b64 s[0:1], exec, s[0:1]
; %bb.629:                              ;   in Loop: Header=BB343_232 Depth=1
	v_bfe_u32 v2, v30, 16, 1
	v_add3_u32 v2, v30, v2, s15
                                        ; implicit-def: $vgpr30
; %bb.630:                              ;   in Loop: Header=BB343_232 Depth=1
	s_andn2_saveexec_b64 s[0:1], s[0:1]
; %bb.631:                              ;   in Loop: Header=BB343_232 Depth=1
	v_or_b32_e32 v2, 0x10000, v30
	v_cmp_eq_u32_sdwa vcc, v30, v17 src0_sel:WORD_0 src1_sel:DWORD
	s_nop 1
	v_cndmask_b32_e32 v2, v2, v30, vcc
; %bb.632:                              ;   in Loop: Header=BB343_232 Depth=1
	s_or_b64 exec, exec, s[0:1]
	v_lshlrev_b32_e32 v3, 16, v3
	v_mul_f32_e32 v30, v39, v3
	v_and_b32_e32 v3, 0x7f800000, v30
	v_cmp_ne_u32_e32 vcc, s14, v3
                                        ; implicit-def: $vgpr3
	s_and_saveexec_b64 s[0:1], vcc
	s_xor_b64 s[0:1], exec, s[0:1]
; %bb.633:                              ;   in Loop: Header=BB343_232 Depth=1
	v_bfe_u32 v3, v30, 16, 1
	v_add3_u32 v3, v30, v3, s15
                                        ; implicit-def: $vgpr30
; %bb.634:                              ;   in Loop: Header=BB343_232 Depth=1
	s_andn2_saveexec_b64 s[0:1], s[0:1]
; %bb.635:                              ;   in Loop: Header=BB343_232 Depth=1
	v_or_b32_e32 v3, 0x10000, v30
	v_cmp_eq_u32_sdwa vcc, v30, v17 src0_sel:WORD_0 src1_sel:DWORD
	s_nop 1
	v_cndmask_b32_e32 v3, v3, v30, vcc
; %bb.636:                              ;   in Loop: Header=BB343_232 Depth=1
	s_or_b64 exec, exec, s[0:1]
	v_lshlrev_b32_e32 v30, 16, v79
	v_mul_f32_e32 v31, v40, v30
	v_and_b32_e32 v30, 0x7f800000, v31
	v_cmp_ne_u32_e32 vcc, s14, v30
                                        ; implicit-def: $vgpr30
	s_and_saveexec_b64 s[0:1], vcc
	s_xor_b64 s[0:1], exec, s[0:1]
; %bb.637:                              ;   in Loop: Header=BB343_232 Depth=1
	v_bfe_u32 v30, v31, 16, 1
	v_add3_u32 v30, v31, v30, s15
                                        ; implicit-def: $vgpr31
; %bb.638:                              ;   in Loop: Header=BB343_232 Depth=1
	s_andn2_saveexec_b64 s[0:1], s[0:1]
; %bb.639:                              ;   in Loop: Header=BB343_232 Depth=1
	v_or_b32_e32 v30, 0x10000, v31
	v_cmp_eq_u32_sdwa vcc, v31, v17 src0_sel:WORD_0 src1_sel:DWORD
	s_nop 1
	v_cndmask_b32_e32 v30, v30, v31, vcc
; %bb.640:                              ;   in Loop: Header=BB343_232 Depth=1
	s_or_b64 exec, exec, s[0:1]
	v_lshlrev_b32_e32 v31, 16, v81
	v_mul_f32_e32 v32, v41, v31
	v_and_b32_e32 v31, 0x7f800000, v32
	v_cmp_ne_u32_e32 vcc, s14, v31
                                        ; implicit-def: $vgpr31
	s_and_saveexec_b64 s[0:1], vcc
	s_xor_b64 s[0:1], exec, s[0:1]
; %bb.641:                              ;   in Loop: Header=BB343_232 Depth=1
	v_bfe_u32 v31, v32, 16, 1
	v_add3_u32 v31, v32, v31, s15
                                        ; implicit-def: $vgpr32
; %bb.642:                              ;   in Loop: Header=BB343_232 Depth=1
	s_andn2_saveexec_b64 s[0:1], s[0:1]
; %bb.643:                              ;   in Loop: Header=BB343_232 Depth=1
	v_or_b32_e32 v31, 0x10000, v32
	v_cmp_eq_u32_sdwa vcc, v32, v17 src0_sel:WORD_0 src1_sel:DWORD
	s_nop 1
	v_cndmask_b32_e32 v31, v31, v32, vcc
; %bb.644:                              ;   in Loop: Header=BB343_232 Depth=1
	s_or_b64 exec, exec, s[0:1]
	v_lshlrev_b32_e32 v32, 16, v80
	v_mul_f32_e32 v33, v42, v32
	v_and_b32_e32 v32, 0x7f800000, v33
	v_cmp_ne_u32_e32 vcc, s14, v32
                                        ; implicit-def: $vgpr32
	s_and_saveexec_b64 s[0:1], vcc
	s_xor_b64 s[0:1], exec, s[0:1]
; %bb.645:                              ;   in Loop: Header=BB343_232 Depth=1
	v_bfe_u32 v32, v33, 16, 1
	v_add3_u32 v32, v33, v32, s15
                                        ; implicit-def: $vgpr33
; %bb.646:                              ;   in Loop: Header=BB343_232 Depth=1
	s_andn2_saveexec_b64 s[0:1], s[0:1]
; %bb.647:                              ;   in Loop: Header=BB343_232 Depth=1
	v_or_b32_e32 v32, 0x10000, v33
	v_cmp_eq_u32_sdwa vcc, v33, v17 src0_sel:WORD_0 src1_sel:DWORD
	s_nop 1
	v_cndmask_b32_e32 v32, v32, v33, vcc
; %bb.648:                              ;   in Loop: Header=BB343_232 Depth=1
	s_or_b64 exec, exec, s[0:1]
	v_lshlrev_b32_e32 v33, 16, v78
	v_mul_f32_e32 v34, v43, v33
	v_and_b32_e32 v33, 0x7f800000, v34
	v_cmp_ne_u32_e32 vcc, s14, v33
                                        ; implicit-def: $vgpr33
	s_and_saveexec_b64 s[0:1], vcc
	s_xor_b64 s[0:1], exec, s[0:1]
; %bb.649:                              ;   in Loop: Header=BB343_232 Depth=1
	v_bfe_u32 v33, v34, 16, 1
	v_add3_u32 v33, v34, v33, s15
                                        ; implicit-def: $vgpr34
; %bb.650:                              ;   in Loop: Header=BB343_232 Depth=1
	s_andn2_saveexec_b64 s[0:1], s[0:1]
; %bb.651:                              ;   in Loop: Header=BB343_232 Depth=1
	v_or_b32_e32 v33, 0x10000, v34
	v_cmp_eq_u32_sdwa vcc, v34, v17 src0_sel:WORD_0 src1_sel:DWORD
	s_nop 1
	v_cndmask_b32_e32 v33, v33, v34, vcc
; %bb.652:                              ;   in Loop: Header=BB343_232 Depth=1
	s_or_b64 exec, exec, s[0:1]
	v_lshlrev_b32_e32 v34, 16, v77
	v_mul_f32_e32 v35, v44, v34
	v_and_b32_e32 v34, 0x7f800000, v35
	v_cmp_ne_u32_e32 vcc, s14, v34
                                        ; implicit-def: $vgpr34
	s_and_saveexec_b64 s[0:1], vcc
	s_xor_b64 s[0:1], exec, s[0:1]
; %bb.653:                              ;   in Loop: Header=BB343_232 Depth=1
	v_bfe_u32 v34, v35, 16, 1
	v_add3_u32 v34, v35, v34, s15
                                        ; implicit-def: $vgpr35
; %bb.654:                              ;   in Loop: Header=BB343_232 Depth=1
	s_andn2_saveexec_b64 s[0:1], s[0:1]
; %bb.655:                              ;   in Loop: Header=BB343_232 Depth=1
	v_or_b32_e32 v34, 0x10000, v35
	v_cmp_eq_u32_sdwa vcc, v35, v17 src0_sel:WORD_0 src1_sel:DWORD
	s_nop 1
	v_cndmask_b32_e32 v34, v34, v35, vcc
; %bb.656:                              ;   in Loop: Header=BB343_232 Depth=1
	s_or_b64 exec, exec, s[0:1]
	v_lshlrev_b32_e32 v35, 16, v76
	v_mul_f32_e32 v36, v45, v35
	v_and_b32_e32 v35, 0x7f800000, v36
	v_cmp_ne_u32_e32 vcc, s14, v35
                                        ; implicit-def: $vgpr35
	s_and_saveexec_b64 s[0:1], vcc
	s_xor_b64 s[0:1], exec, s[0:1]
; %bb.657:                              ;   in Loop: Header=BB343_232 Depth=1
	v_bfe_u32 v35, v36, 16, 1
	v_add3_u32 v35, v36, v35, s15
                                        ; implicit-def: $vgpr36
; %bb.658:                              ;   in Loop: Header=BB343_232 Depth=1
	s_andn2_saveexec_b64 s[0:1], s[0:1]
	s_cbranch_execz .LBB343_231
; %bb.659:                              ;   in Loop: Header=BB343_232 Depth=1
	v_or_b32_e32 v35, 0x10000, v36
	v_cmp_eq_u32_sdwa vcc, v36, v17 src0_sel:WORD_0 src1_sel:DWORD
	s_nop 1
	v_cndmask_b32_e32 v35, v35, v36, vcc
	s_branch .LBB343_231
.LBB343_660:
	s_or_b64 exec, exec, s[6:7]
.LBB343_661:
	s_or_b64 exec, exec, s[2:3]
	ds_bpermute_b32 v2, v23, v14
	ds_bpermute_b32 v3, v23, v15
	;; [unrolled: 1-line block ×6, first 2 shown]
	s_waitcnt lgkmcnt(4)
	v_pk_add_f32 v[2:3], v[14:15], v[2:3]
	ds_bpermute_b32 v8, v24, v2
	s_waitcnt lgkmcnt(3)
	v_pk_add_f32 v[4:5], v[12:13], v[4:5]
	ds_bpermute_b32 v9, v24, v3
	s_waitcnt lgkmcnt(2)
	v_pk_add_f32 v[10:11], v[10:11], v[6:7]
	ds_bpermute_b32 v12, v24, v4
	ds_bpermute_b32 v13, v24, v5
	ds_bpermute_b32 v14, v24, v10
	;; [unrolled: 1-line block ×3, first 2 shown]
	v_and_b32_e32 v1, 0x3c3, v0
	s_waitcnt lgkmcnt(4)
	v_pk_add_f32 v[6:7], v[2:3], v[8:9]
	s_waitcnt lgkmcnt(2)
	v_pk_add_f32 v[2:3], v[4:5], v[12:13]
	v_cmp_eq_u32_e32 vcc, 64, v1
	s_waitcnt lgkmcnt(0)
	v_pk_add_f32 v[4:5], v[10:11], v[14:15]
	s_barrier
	s_and_saveexec_b64 s[0:1], vcc
	s_cbranch_execz .LBB343_663
; %bb.662:
	v_add_u32_e32 v1, 0xd0, v22
	ds_write2_b32 v1, v6, v7 offset1:16
	ds_write2_b32 v1, v2, v3 offset0:32 offset1:48
	ds_write2_b32 v1, v4, v5 offset0:64 offset1:80
.LBB343_663:
	s_or_b64 exec, exec, s[0:1]
	v_cmp_gt_u32_e32 vcc, 64, v0
	s_waitcnt lgkmcnt(0)
	s_barrier
	s_and_saveexec_b64 s[2:3], vcc
	s_cbranch_execz .LBB343_672
; %bb.664:
	v_cmp_eq_u32_e64 s[0:1], 0, v25
	v_lshrrev_b32_e32 v1, 2, v0
	s_and_saveexec_b64 s[6:7], s[0:1]
	s_cbranch_execnz .LBB343_700
; %bb.665:
	s_or_b64 exec, exec, s[6:7]
	s_and_saveexec_b64 s[6:7], s[0:1]
	s_cbranch_execnz .LBB343_701
.LBB343_666:
	s_or_b64 exec, exec, s[6:7]
	s_and_saveexec_b64 s[6:7], s[0:1]
	s_cbranch_execnz .LBB343_702
.LBB343_667:
	s_or_b64 exec, exec, s[6:7]
	s_and_saveexec_b64 s[6:7], s[0:1]
	s_cbranch_execnz .LBB343_703
.LBB343_668:
	s_or_b64 exec, exec, s[6:7]
	s_and_saveexec_b64 s[6:7], s[0:1]
	s_cbranch_execnz .LBB343_704
.LBB343_669:
	s_or_b64 exec, exec, s[6:7]
	s_and_saveexec_b64 s[6:7], s[0:1]
	s_cbranch_execz .LBB343_671
.LBB343_670:
	v_mov_b32_e32 v8, 0xd0
	v_lshl_add_u32 v1, v1, 2, v8
	ds_read_b32 v1, v1 offset:320
	s_waitcnt lgkmcnt(0)
	v_add_f32_e32 v5, v5, v1
.LBB343_671:
	s_or_b64 exec, exec, s[6:7]
.LBB343_672:
	s_or_b64 exec, exec, s[2:3]
	s_barrier
	s_and_saveexec_b64 s[0:1], vcc
	s_cbranch_execz .LBB343_699
; %bb.673:
	v_cmp_eq_u32_e32 vcc, 0, v25
	s_and_b64 exec, exec, vcc
	s_cbranch_execz .LBB343_699
; %bb.674:
	s_mov_b32 s0, 0x7f800000
	v_and_b32_e32 v1, 0x7f800000, v6
	v_cmp_ne_u32_e32 vcc, s0, v1
                                        ; implicit-def: $vgpr8
	s_and_saveexec_b64 s[0:1], vcc
	s_xor_b64 s[0:1], exec, s[0:1]
; %bb.675:
	v_bfe_u32 v1, v6, 16, 1
	s_movk_i32 s2, 0x7fff
	v_add3_u32 v8, v6, v1, s2
; %bb.676:
	s_andn2_saveexec_b64 s[0:1], s[0:1]
; %bb.677:
	v_mov_b32_e32 v1, 0
	v_or_b32_e32 v8, 0x10000, v6
	v_cmp_eq_u32_sdwa vcc, v6, v1 src0_sel:WORD_0 src1_sel:DWORD
	s_nop 1
	v_cndmask_b32_e32 v8, v8, v6, vcc
; %bb.678:
	s_or_b64 exec, exec, s[0:1]
	s_mul_i32 s0, s16, s12
	s_mul_i32 s0, s0, s5
	s_mulk_i32 s0, 0x60
	s_ashr_i32 s1, s0, 31
	s_lshl_b64 s[0:1], s[0:1], 1
	s_add_u32 s2, s20, s0
	s_mul_i32 s0, s12, s18
	s_addc_u32 s3, s21, s1
	s_ashr_i32 s1, s0, 31
	s_lshl_b64 s[0:1], s[0:1], 1
	s_add_u32 s2, s2, s0
	s_mul_i32 s0, s4, 0x60
	s_addc_u32 s3, s3, s1
	s_ashr_i32 s1, s0, 31
	s_lshl_b64 s[0:1], s[0:1], 1
	s_add_u32 s0, s2, s0
	v_lshrrev_b32_e32 v0, 1, v0
	s_mov_b32 s2, 0x7f800000
	v_and_b32_e32 v6, 0x7f800000, v7
	s_addc_u32 s1, s3, s1
	v_and_b32_e32 v0, 0x1fe, v0
	v_mov_b32_e32 v1, 0
	v_cmp_ne_u32_e32 vcc, s2, v6
	global_store_short_d16_hi v0, v8, s[0:1]
                                        ; implicit-def: $vgpr6
	s_and_saveexec_b64 s[2:3], vcc
	s_xor_b64 s[2:3], exec, s[2:3]
; %bb.679:
	v_bfe_u32 v6, v7, 16, 1
	s_movk_i32 s4, 0x7fff
	v_add3_u32 v6, v7, v6, s4
; %bb.680:
	s_or_saveexec_b64 s[2:3], s[2:3]
	v_lshl_add_u64 v[8:9], s[0:1], 0, v[0:1]
	s_xor_b64 exec, exec, s[2:3]
; %bb.681:
	v_mov_b32_e32 v0, 0
	v_or_b32_e32 v1, 0x10000, v7
	v_cmp_eq_u32_sdwa vcc, v7, v0 src0_sel:WORD_0 src1_sel:DWORD
	s_nop 1
	v_cndmask_b32_e32 v6, v1, v7, vcc
; %bb.682:
	s_or_b64 exec, exec, s[2:3]
	s_mov_b32 s0, 0x7f800000
	v_and_b32_e32 v0, 0x7f800000, v2
	v_cmp_ne_u32_e32 vcc, s0, v0
	global_store_short_d16_hi v[8:9], v6, off offset:32
                                        ; implicit-def: $vgpr0
	s_and_saveexec_b64 s[0:1], vcc
	s_xor_b64 s[0:1], exec, s[0:1]
; %bb.683:
	v_bfe_u32 v0, v2, 16, 1
	s_movk_i32 s2, 0x7fff
	v_add3_u32 v0, v2, v0, s2
; %bb.684:
	s_andn2_saveexec_b64 s[0:1], s[0:1]
; %bb.685:
	v_mov_b32_e32 v0, 0
	v_or_b32_e32 v1, 0x10000, v2
	v_cmp_eq_u32_sdwa vcc, v2, v0 src0_sel:WORD_0 src1_sel:DWORD
	s_nop 1
	v_cndmask_b32_e32 v0, v1, v2, vcc
; %bb.686:
	s_or_b64 exec, exec, s[0:1]
	global_store_short_d16_hi v[8:9], v0, off offset:64
	s_mov_b32 s0, 0x7f800000
	v_and_b32_e32 v0, 0x7f800000, v3
	v_cmp_ne_u32_e32 vcc, s0, v0
                                        ; implicit-def: $vgpr0
	s_and_saveexec_b64 s[0:1], vcc
	s_xor_b64 s[0:1], exec, s[0:1]
; %bb.687:
	v_bfe_u32 v0, v3, 16, 1
	s_movk_i32 s2, 0x7fff
	v_add3_u32 v0, v3, v0, s2
; %bb.688:
	s_andn2_saveexec_b64 s[0:1], s[0:1]
; %bb.689:
	v_mov_b32_e32 v0, 0
	v_or_b32_e32 v1, 0x10000, v3
	v_cmp_eq_u32_sdwa vcc, v3, v0 src0_sel:WORD_0 src1_sel:DWORD
	s_nop 1
	v_cndmask_b32_e32 v0, v1, v3, vcc
; %bb.690:
	s_or_b64 exec, exec, s[0:1]
	global_store_short_d16_hi v[8:9], v0, off offset:96
	s_mov_b32 s0, 0x7f800000
	v_and_b32_e32 v0, 0x7f800000, v4
	v_cmp_ne_u32_e32 vcc, s0, v0
	;; [unrolled: 21-line block ×3, first 2 shown]
                                        ; implicit-def: $vgpr6
	s_and_saveexec_b64 s[0:1], vcc
	s_xor_b64 s[0:1], exec, s[0:1]
; %bb.695:
	v_bfe_u32 v0, v5, 16, 1
	s_movk_i32 s2, 0x7fff
	v_add3_u32 v6, v5, v0, s2
                                        ; implicit-def: $vgpr0_vgpr1_vgpr2_vgpr3_vgpr4_vgpr5
; %bb.696:
	s_andn2_saveexec_b64 s[0:1], s[0:1]
; %bb.697:
	v_mov_b32_e32 v0, 0
	v_or_b32_e32 v1, 0x10000, v5
	v_cmp_eq_u32_sdwa vcc, v5, v0 src0_sel:WORD_0 src1_sel:DWORD
	s_nop 1
	v_cndmask_b32_e32 v6, v1, v5, vcc
; %bb.698:
	s_or_b64 exec, exec, s[0:1]
	global_store_short_d16_hi v[8:9], v6, off offset:160
.LBB343_699:
	s_endpgm
.LBB343_700:
	v_mov_b32_e32 v8, 0xd0
	v_lshl_add_u32 v8, v1, 2, v8
	ds_read_b32 v8, v8
	s_waitcnt lgkmcnt(0)
	v_add_f32_e32 v6, v6, v8
	s_or_b64 exec, exec, s[6:7]
	s_and_saveexec_b64 s[6:7], s[0:1]
	s_cbranch_execz .LBB343_666
.LBB343_701:
	v_mov_b32_e32 v8, 0xd0
	v_lshl_add_u32 v8, v1, 2, v8
	ds_read_b32 v8, v8 offset:64
	s_waitcnt lgkmcnt(0)
	v_add_f32_e32 v7, v7, v8
	s_or_b64 exec, exec, s[6:7]
	s_and_saveexec_b64 s[6:7], s[0:1]
	s_cbranch_execz .LBB343_667
.LBB343_702:
	v_mov_b32_e32 v8, 0xd0
	v_lshl_add_u32 v8, v1, 2, v8
	ds_read_b32 v8, v8 offset:128
	s_waitcnt lgkmcnt(0)
	v_add_f32_e32 v2, v2, v8
	s_or_b64 exec, exec, s[6:7]
	s_and_saveexec_b64 s[6:7], s[0:1]
	s_cbranch_execz .LBB343_668
.LBB343_703:
	v_mov_b32_e32 v8, 0xd0
	v_lshl_add_u32 v8, v1, 2, v8
	ds_read_b32 v8, v8 offset:192
	s_waitcnt lgkmcnt(0)
	v_add_f32_e32 v3, v3, v8
	s_or_b64 exec, exec, s[6:7]
	s_and_saveexec_b64 s[6:7], s[0:1]
	s_cbranch_execz .LBB343_669
.LBB343_704:
	v_mov_b32_e32 v8, 0xd0
	v_lshl_add_u32 v8, v1, 2, v8
	ds_read_b32 v8, v8 offset:256
	s_waitcnt lgkmcnt(0)
	v_add_f32_e32 v4, v4, v8
	s_or_b64 exec, exec, s[6:7]
	s_and_saveexec_b64 s[6:7], s[0:1]
	s_cbranch_execnz .LBB343_670
	s_branch .LBB343_671
	.section	.rodata,"a",@progbits
	.p2align	6, 0x0
	.amdhsa_kernel _ZN4vllm25paged_attention_v1_kernelI14__hip_bfloat16hLi96ELi32ELi128ELNS_18Fp8KVCacheDataTypeE1ELb0EEEvPT_PKS3_PKT0_S9_ifPKiSB_iPKfiiiSD_SD_iiiii
		.amdhsa_group_segment_fixed_size 208
		.amdhsa_private_segment_fixed_size 0
		.amdhsa_kernarg_size 384
		.amdhsa_user_sgpr_count 2
		.amdhsa_user_sgpr_dispatch_ptr 0
		.amdhsa_user_sgpr_queue_ptr 0
		.amdhsa_user_sgpr_kernarg_segment_ptr 1
		.amdhsa_user_sgpr_dispatch_id 0
		.amdhsa_user_sgpr_kernarg_preload_length 0
		.amdhsa_user_sgpr_kernarg_preload_offset 0
		.amdhsa_user_sgpr_private_segment_size 0
		.amdhsa_uses_dynamic_stack 0
		.amdhsa_enable_private_segment 0
		.amdhsa_system_sgpr_workgroup_id_x 1
		.amdhsa_system_sgpr_workgroup_id_y 1
		.amdhsa_system_sgpr_workgroup_id_z 1
		.amdhsa_system_sgpr_workgroup_info 0
		.amdhsa_system_vgpr_workitem_id 0
		.amdhsa_next_free_vgpr 114
		.amdhsa_next_free_sgpr 39
		.amdhsa_accum_offset 116
		.amdhsa_reserve_vcc 1
		.amdhsa_float_round_mode_32 0
		.amdhsa_float_round_mode_16_64 0
		.amdhsa_float_denorm_mode_32 3
		.amdhsa_float_denorm_mode_16_64 3
		.amdhsa_dx10_clamp 1
		.amdhsa_ieee_mode 1
		.amdhsa_fp16_overflow 0
		.amdhsa_tg_split 0
		.amdhsa_exception_fp_ieee_invalid_op 0
		.amdhsa_exception_fp_denorm_src 0
		.amdhsa_exception_fp_ieee_div_zero 0
		.amdhsa_exception_fp_ieee_overflow 0
		.amdhsa_exception_fp_ieee_underflow 0
		.amdhsa_exception_fp_ieee_inexact 0
		.amdhsa_exception_int_div_zero 0
	.end_amdhsa_kernel
	.section	.text._ZN4vllm25paged_attention_v1_kernelI14__hip_bfloat16hLi96ELi32ELi128ELNS_18Fp8KVCacheDataTypeE1ELb0EEEvPT_PKS3_PKT0_S9_ifPKiSB_iPKfiiiSD_SD_iiiii,"axG",@progbits,_ZN4vllm25paged_attention_v1_kernelI14__hip_bfloat16hLi96ELi32ELi128ELNS_18Fp8KVCacheDataTypeE1ELb0EEEvPT_PKS3_PKT0_S9_ifPKiSB_iPKfiiiSD_SD_iiiii,comdat
.Lfunc_end343:
	.size	_ZN4vllm25paged_attention_v1_kernelI14__hip_bfloat16hLi96ELi32ELi128ELNS_18Fp8KVCacheDataTypeE1ELb0EEEvPT_PKS3_PKT0_S9_ifPKiSB_iPKfiiiSD_SD_iiiii, .Lfunc_end343-_ZN4vllm25paged_attention_v1_kernelI14__hip_bfloat16hLi96ELi32ELi128ELNS_18Fp8KVCacheDataTypeE1ELb0EEEvPT_PKS3_PKT0_S9_ifPKiSB_iPKfiiiSD_SD_iiiii
                                        ; -- End function
	.section	.AMDGPU.csdata,"",@progbits
; Kernel info:
; codeLenInByte = 20848
; NumSgprs: 45
; NumVgprs: 114
; NumAgprs: 0
; TotalNumVgprs: 114
; ScratchSize: 0
; MemoryBound: 0
; FloatMode: 240
; IeeeMode: 1
; LDSByteSize: 208 bytes/workgroup (compile time only)
; SGPRBlocks: 5
; VGPRBlocks: 14
; NumSGPRsForWavesPerEU: 45
; NumVGPRsForWavesPerEU: 114
; AccumOffset: 116
; Occupancy: 4
; WaveLimiterHint : 1
; COMPUTE_PGM_RSRC2:SCRATCH_EN: 0
; COMPUTE_PGM_RSRC2:USER_SGPR: 2
; COMPUTE_PGM_RSRC2:TRAP_HANDLER: 0
; COMPUTE_PGM_RSRC2:TGID_X_EN: 1
; COMPUTE_PGM_RSRC2:TGID_Y_EN: 1
; COMPUTE_PGM_RSRC2:TGID_Z_EN: 1
; COMPUTE_PGM_RSRC2:TIDIG_COMP_CNT: 0
; COMPUTE_PGM_RSRC3_GFX90A:ACCUM_OFFSET: 28
; COMPUTE_PGM_RSRC3_GFX90A:TG_SPLIT: 0
	.text
	.p2align	2                               ; -- Begin function _ZN4vllm22paged_attention_kernelI14__hip_bfloat16hLi112ELi32ELi128ELNS_18Fp8KVCacheDataTypeE1ELb0ELi0EEEvPfS3_PT_PKS4_PKT0_SA_ifPKiSC_iPKfiiiSE_SE_iiiii
	.type	_ZN4vllm22paged_attention_kernelI14__hip_bfloat16hLi112ELi32ELi128ELNS_18Fp8KVCacheDataTypeE1ELb0ELi0EEEvPfS3_PT_PKS4_PKT0_SA_ifPKiSC_iPKfiiiSE_SE_iiiii,@function
_ZN4vllm22paged_attention_kernelI14__hip_bfloat16hLi112ELi32ELi128ELNS_18Fp8KVCacheDataTypeE1ELb0ELi0EEEvPfS3_PT_PKS4_PKT0_SA_ifPKiSC_iPKfiiiSE_SE_iiiii: ; @_ZN4vllm22paged_attention_kernelI14__hip_bfloat16hLi112ELi32ELi128ELNS_18Fp8KVCacheDataTypeE1ELb0ELi0EEEvPfS3_PT_PKS4_PKT0_SA_ifPKiSC_iPKfiiiSE_SE_iiiii
; %bb.0:
	s_waitcnt vmcnt(0) expcnt(0) lgkmcnt(0)
	scratch_store_dword off, v40, s32 offset:188 ; 4-byte Folded Spill
	scratch_store_dword off, v41, s32 offset:184 ; 4-byte Folded Spill
	;; [unrolled: 1-line block ×47, first 2 shown]
	scratch_store_dword off, a63, s32       ; 4-byte Folded Spill
	s_mov_b32 s10, s13
	s_ashr_i32 s11, s13, 31
	scratch_store_dwordx2 off, v[0:1], s32 offset:216 ; 8-byte Folded Spill
	v_lshl_add_u64 v[0:1], s[10:11], 2, v[12:13]
	flat_load_dword v29, v[0:1]
	v_sub_u32_e32 v0, 0, v8
	v_max_i32_e32 v0, v8, v0
	v_cvt_f32_u32_e32 v1, v0
	s_load_dword s0, s[8:9], 0x10
	s_load_dword s2, s[8:9], 0x0
	v_mov_b32_e32 v27, v7
	v_sub_u32_e32 v7, 0, v0
	v_rcp_iflag_f32_e32 v1, v1
	s_waitcnt lgkmcnt(0)
	s_lshr_b32 s0, s0, 16
	s_cmp_lg_u32 s0, 0
	s_cselect_b64 s[0:1], -1, 0
	v_mul_f32_e32 v1, 0x4f7ffffe, v1
	v_cvt_u32_f32_e32 v1, v1
	s_cmp_lg_u64 s[0:1], 0
	s_addc_u32 s11, s2, 0
	s_abs_i32 s0, s11
	v_mul_lo_u32 v7, v7, v1
	v_mul_hi_u32 v7, v1, v7
	v_add_u32_e32 v1, v1, v7
	v_mul_hi_u32 v1, s0, v1
	v_mul_lo_u32 v7, v1, v0
	v_sub_u32_e32 v7, s0, v7
	v_mov_b32_e32 v26, v6
	v_xor_b32_e32 v6, s11, v8
	v_add_u32_e32 v8, 1, v1
	v_cmp_ge_u32_e32 vcc, v7, v0
	v_ashrrev_i32_e32 v6, 31, v6
	v_mov_b32_e32 v25, v16
	v_cndmask_b32_e32 v1, v1, v8, vcc
	v_sub_u32_e32 v8, v7, v0
	v_cndmask_b32_e32 v7, v7, v8, vcc
	v_add_u32_e32 v8, 1, v1
	v_cmp_ge_u32_e32 vcc, v7, v0
	v_mov_b32_e32 v24, v15
	v_accvgpr_write_b32 a18, v20
	v_cndmask_b32_e32 v0, v1, v8, vcc
	v_xor_b32_e32 v0, v0, v6
	v_sub_u32_e32 v0, v0, v6
	v_sub_u32_e32 v1, 0, v0
	v_max_i32_e32 v1, v0, v1
	v_cvt_f32_u32_e32 v6, v1
	v_sub_u32_e32 v7, 0, v1
	s_abs_i32 s2, s12
	v_mov_b32_e32 v35, v23
	v_rcp_iflag_f32_e32 v6, v6
	v_mov_b32_e32 v34, v22
	v_accvgpr_write_b32 a19, v21
	v_accvgpr_write_b32 a4, v18
	v_mul_f32_e32 v6, 0x4f7ffffe, v6
	v_cvt_u32_f32_e32 v6, v6
	s_mov_b32 s16, s15
	v_cmp_ne_u64_e32 vcc, 0, v[24:25]
	v_mul_lo_u32 v7, v7, v6
	v_mul_hi_u32 v7, v6, v7
	v_add_u32_e32 v6, v6, v7
	v_mad_u64_u32 v[12:13], s[0:1], s2, v6, 0
	v_mov_b32_e32 v6, 0
	scratch_store_dword off, v6, s32 offset:208 ; 4-byte Folded Spill
	s_and_saveexec_b64 s[0:1], vcc
	s_cbranch_execz .LBB344_2
; %bb.1:
	s_ashr_i32 s13, s12, 31
	v_lshl_add_u64 v[6:7], s[12:13], 2, v[24:25]
	flat_load_dword v6, v[6:7]
	s_waitcnt vmcnt(0) lgkmcnt(0)
	scratch_store_dword off, v6, s32 offset:208 ; 4-byte Folded Spill
.LBB344_2:
	s_or_b64 exec, exec, s[0:1]
	v_and_b32_e32 v15, 0x3ff, v31
	s_ashr_i32 s3, s12, 31
	v_ashrrev_i32_e32 v6, 31, v0
	v_and_b32_e32 v0, 1, v15
	s_movk_i32 s4, 0x70
	s_mulk_i32 s12, 0x70
	v_cmp_gt_u32_e32 vcc, 28, v15
	v_lshlrev_b32_e32 v24, 3, v15
	s_and_saveexec_b64 s[0:1], vcc
	s_cbranch_execz .LBB344_4
; %bb.3:
	v_mul_lo_u32 v16, s10, v17
	v_ashrrev_i32_e32 v17, 31, v16
	v_lshl_add_u64 v[2:3], v[16:17], 1, v[2:3]
	s_ashr_i32 s13, s12, 31
	v_lshl_add_u64 v[2:3], s[12:13], 1, v[2:3]
	v_mov_b32_e32 v25, 0
	v_lshl_add_u64 v[2:3], v[2:3], 0, v[24:25]
	flat_load_dwordx2 v[2:3], v[2:3]
	v_lshlrev_b32_e32 v7, 2, v15
	v_and_b32_e32 v7, 0xff8, v7
	v_mad_u32_u24 v7, v0, s4, v7
	s_waitcnt vmcnt(0) lgkmcnt(0)
	ds_write_b64 v7, v[2:3]
.LBB344_4:
	s_or_b64 exec, exec, s[0:1]
	s_waitcnt vmcnt(0)
	v_add_u32_e32 v2, 31, v29
	v_ashrrev_i32_e32 v3, 31, v2
	v_lshrrev_b32_e32 v3, 27, v3
	v_add_u32_e32 v2, v2, v3
	v_mul_lo_u32 v3, v13, v1
	v_sub_u32_e32 v3, s2, v3
	v_ashrrev_i32_e32 v8, 5, v2
	v_xor_b32_e32 v2, s3, v6
	v_add_u32_e32 v6, 1, v13
	v_cmp_ge_u32_e32 vcc, v3, v1
	v_sub_u32_e32 v7, v3, v1
	v_lshrrev_b32_e32 v12, 6, v15
	v_cndmask_b32_e32 v6, v13, v6, vcc
	v_cndmask_b32_e32 v3, v3, v7, vcc
	v_add_u32_e32 v7, 1, v6
	v_cmp_ge_u32_e32 vcc, v3, v1
	v_mul_lo_u32 v30, s10, v14
	v_ashrrev_i32_e32 v31, 31, v30
	v_cndmask_b32_e32 v1, v6, v7, vcc
	v_xor_b32_e32 v1, v1, v2
	v_sub_u32_e32 v2, v1, v2
	v_cmp_lt_i32_e64 s[0:1], v12, v8
	v_accvgpr_write_b32 a34, v12
	v_cmp_ge_i32_e32 vcc, v12, v8
	v_mbcnt_lo_u32_b32 v1, -1, 0
	s_waitcnt lgkmcnt(0)
	s_barrier
	scratch_store_dword off, v8, s32 offset:192 ; 4-byte Folded Spill
                                        ; implicit-def: $sgpr4
                                        ; implicit-def: $vgpr8
                                        ; implicit-def: $vgpr12
	s_and_saveexec_b64 s[2:3], vcc
	s_xor_b64 s[2:3], exec, s[2:3]
; %bb.5:
	v_mbcnt_hi_u32_b32 v8, -1, v1
	v_and_b32_e32 v0, 64, v8
	v_add_u32_e32 v12, 64, v0
	s_mov_b32 s4, 0xff7fffff
                                        ; implicit-def: $vgpr0
                                        ; kill: killed $vgpr0
                                        ; implicit-def: $vgpr9
                                        ; implicit-def: $agpr18
                                        ; implicit-def: $vgpr4
                                        ; implicit-def: $vgpr0
                                        ; implicit-def: $vgpr1
; %bb.6:
	s_or_saveexec_b64 s[6:7], s[2:3]
	s_load_dword s15, s[8:9], 0x14
	s_load_dword s13, s[8:9], 0x8
	v_mul_lo_u32 v32, v2, v19
	v_mov_b32_e32 v23, s4
	v_ashrrev_i32_e32 v33, 31, v32
	v_lshrrev_b32_e32 v28, 4, v15
	scratch_store_dword off, v15, s32 offset:212 ; 4-byte Folded Spill
	s_xor_b64 exec, exec, s[6:7]
	s_cbranch_execz .LBB344_236
; %bb.7:
	scratch_store_dwordx2 off, v[24:25], s32 offset:252 ; 8-byte Folded Spill
	scratch_store_dwordx2 off, v[26:27], s32 offset:260 ; 8-byte Folded Spill
	scratch_store_dwordx2 off, v[34:35], s32 offset:268 ; 8-byte Folded Spill
	v_mul_u32_u24_e32 v2, 0x70, v0
	ds_read_b128 v[34:37], v2
	ds_read_b128 v[24:27], v2 offset:16
	v_mov_b32_e32 v22, v15
	ds_read_b128 v[14:17], v2 offset:32
	ds_read_b128 v[18:21], v2 offset:48
	v_bfe_u32 v6, v22, 1, 5
	s_waitcnt lgkmcnt(0)
	v_lshlrev_b32_e32 v3, 16, v34
	scratch_store_dword off, v3, s32 offset:196 ; 4-byte Folded Spill
	v_and_b32_e32 v3, 0xffff0000, v34
	scratch_store_dword off, v3, s32 offset:200 ; 4-byte Folded Spill
	v_lshlrev_b32_e32 v3, 16, v35
	scratch_store_dword off, v3, s32 offset:204 ; 4-byte Folded Spill
	v_and_b32_e32 v3, 0xffff0000, v35
	v_accvgpr_write_b32 a24, v3
	v_lshlrev_b32_e32 v3, 16, v36
	v_accvgpr_write_b32 a25, v3
	v_and_b32_e32 v3, 0xffff0000, v36
	v_accvgpr_write_b32 a26, v3
	v_lshlrev_b32_e32 v3, 16, v37
	v_accvgpr_write_b32 a27, v3
	;; [unrolled: 4-line block ×12, first 2 shown]
	v_and_b32_e32 v3, 0xffff0000, v19
	ds_read_b128 v[16:19], v2 offset:64
	ds_read_b128 v[12:15], v2 offset:80
	v_accvgpr_write_b32 a49, v3
	v_lshlrev_b32_e32 v3, 16, v20
	v_accvgpr_write_b32 a50, v3
	v_and_b32_e32 v3, 0xffff0000, v20
	v_accvgpr_write_b32 a51, v3
	v_lshlrev_b32_e32 v3, 16, v21
	v_accvgpr_write_b32 a52, v3
	v_and_b32_e32 v3, 0xffff0000, v21
	v_accvgpr_write_b32 a53, v3
	s_waitcnt lgkmcnt(1)
	v_lshlrev_b32_e32 v3, 16, v16
	v_accvgpr_write_b32 a54, v3
	v_and_b32_e32 v3, 0xffff0000, v16
	v_accvgpr_write_b32 a55, v3
	v_lshlrev_b32_e32 v3, 16, v17
	v_accvgpr_write_b32 a56, v3
	v_and_b32_e32 v3, 0xffff0000, v17
	v_accvgpr_write_b32 a57, v3
	v_lshlrev_b32_e32 v3, 16, v18
	v_accvgpr_write_b32 a58, v3
	v_and_b32_e32 v3, 0xffff0000, v18
	v_accvgpr_write_b32 a59, v3
	v_lshlrev_b32_e32 v3, 16, v19
	v_accvgpr_write_b32 a60, v3
	v_and_b32_e32 v3, 0xffff0000, v19
	v_accvgpr_write_b32 a61, v3
	s_waitcnt lgkmcnt(0)
	v_lshlrev_b32_e32 v3, 16, v12
	v_accvgpr_write_b32 a62, v3
	v_and_b32_e32 v3, 0xffff0000, v12
	v_accvgpr_write_b32 a63, v3
	v_lshlrev_b32_e32 v3, 16, v13
	v_accvgpr_write_b32 a0, v3
	v_and_b32_e32 v3, 0xffff0000, v13
	v_accvgpr_write_b32 a1, v3
	;; [unrolled: 4-line block ×3, first 2 shown]
	v_lshlrev_b32_e32 v3, 16, v15
	v_accvgpr_write_b32 a17, v3
	v_and_b32_e32 v3, 0xffff0000, v15
	ds_read_b128 v[12:15], v2 offset:96
	v_accvgpr_write_b32 a20, v3
	v_mbcnt_hi_u32_b32 v1, -1, v1
	v_cmp_eq_u32_e32 vcc, 0, v0
	s_ashr_i32 s17, s16, 31
	s_waitcnt lgkmcnt(0)
	v_lshlrev_b32_e32 v2, 16, v12
	v_accvgpr_write_b32 a13, v2
	v_and_b32_e32 v2, 0xffff0000, v12
	v_accvgpr_write_b32 a5, v2
	v_lshlrev_b32_e32 v2, 16, v13
	v_accvgpr_write_b32 a14, v2
	v_and_b32_e32 v2, 0xffff0000, v13
	v_accvgpr_write_b32 a15, v2
	;; [unrolled: 4-line block ×4, first 2 shown]
	v_lshl_add_u64 v[2:3], v[4:5], 0, v[32:33]
	v_lshlrev_b32_e32 v4, 4, v6
	v_mov_b32_e32 v5, 0
	v_lshl_add_u64 v[2:3], v[2:3], 0, v[4:5]
	v_accvgpr_write_b32 a7, v3
	v_lshlrev_b32_e32 v4, 2, v0
	v_and_b32_e32 v0, 64, v1
	v_accvgpr_write_b32 a6, v2
	v_add_u32_e32 v2, 64, v0
	v_xor_b32_e32 v0, 1, v1
	v_cmp_lt_i32_e64 s[2:3], v0, v2
	scratch_store_dword off, v1, s32 offset:236 ; 4-byte Folded Spill
	s_lshl_b64 s[4:5], s[16:17], 2
	v_cndmask_b32_e64 v0, v1, v0, s[2:3]
	v_lshlrev_b32_e32 v0, 2, v0
	v_accvgpr_write_b32 a9, v0
	scratch_load_dword v0, off, s32 offset:208 ; 4-byte Folded Reload
	v_mov_b32_e32 v1, v5
	s_getpc_b64 s[8:9]
	s_add_u32 s8, s8, llvm.amdgcn.dynlds.offset.table@rel32@lo+4
	s_addc_u32 s9, s9, llvm.amdgcn.dynlds.offset.table@rel32@hi+12
	s_add_u32 s8, s4, s8
	scratch_store_dwordx2 off, v[30:31], s32 offset:244 ; 8-byte Folded Spill
	s_addc_u32 s9, s5, s9
	s_mov_b64 s[18:19], 0
	s_mov_b32 s17, 0x7f800000
	s_movk_i32 s22, 0x7fff
	v_mov_b32_e32 v23, 0xff7fffff
	v_accvgpr_write_b32 a3, v9
	scratch_store_dwordx2 off, v[32:33], s32 offset:224 ; 8-byte Folded Spill
	scratch_store_dword off, v2, s32 offset:232 ; 4-byte Folded Spill
	scratch_store_dword off, v28, s32 offset:240 ; 4-byte Folded Spill
	scratch_store_dwordx2 off, v[10:11], s32 offset:276 ; 8-byte Folded Spill
	s_waitcnt vmcnt(5)
	v_cmp_neq_f32_e64 s[2:3], 0, v0
	v_and_b32_e32 v0, 60, v28
	v_lshl_add_u64 v[0:1], v[30:31], 2, v[0:1]
	v_lshl_add_u64 v[14:15], v[10:11], 0, v[0:1]
	v_accvgpr_read_b32 v30, a34
	v_lshlrev_b32_e32 v0, 2, v6
	v_lshl_or_b32 v39, v30, 5, v6
	v_lshl_or_b32 v48, v30, 7, v0
	s_branch .LBB344_9
.LBB344_8:                              ;   in Loop: Header=BB344_9 Depth=1
	s_or_b64 exec, exec, s[20:21]
	scratch_load_dword v0, off, s32 offset:192 ; 4-byte Folded Reload
	v_add_u32_e32 v30, 2, v30
	v_lshl_add_u64 v[14:15], v[14:15], 0, 8
	v_add_u32_e32 v39, 64, v39
	v_add_u32_e32 v48, 0x100, v48
	s_waitcnt vmcnt(0)
	v_cmp_ge_i32_e64 s[4:5], v30, v0
	s_or_b64 s[18:19], s[4:5], s[18:19]
	s_andn2_b64 exec, exec, s[18:19]
	s_cbranch_execz .LBB344_235
.LBB344_9:                              ; =>This Inner Loop Header: Depth=1
	flat_load_dword v0, v[14:15]
	v_accvgpr_read_b32 v6, a6
	v_accvgpr_read_b32 v2, a4
	;; [unrolled: 1-line block ×3, first 2 shown]
                                        ; implicit-def: $agpr21
	s_waitcnt vmcnt(0) lgkmcnt(0)
	v_mad_i64_i32 v[0:1], s[4:5], v0, v2, v[6:7]
	v_lshl_add_u64 v[16:17], v[0:1], 0, v[4:5]
	flat_load_dword v0, v[16:17]
	v_accvgpr_read_b32 v2, a18
	v_accvgpr_read_b32 v3, a19
	flat_load_dword v52, v[2:3]
	s_waitcnt vmcnt(0) lgkmcnt(0)
	v_and_b32_e32 v1, 0xff, v0
	v_cvt_f32_fp8_sdwa v1, v1 src0_sel:BYTE_0
	s_nop 0
	v_mul_f32_e32 v1, v52, v1
	v_and_b32_e32 v2, 0x7f800000, v1
	v_cmp_ne_u32_e64 s[4:5], s17, v2
	s_and_saveexec_b64 s[20:21], s[4:5]
	s_xor_b64 s[4:5], exec, s[20:21]
; %bb.10:                               ;   in Loop: Header=BB344_9 Depth=1
	v_bfe_u32 v2, v1, 16, 1
	v_add3_u32 v1, v1, v2, s22
	v_accvgpr_write_b32 a21, v1
                                        ; implicit-def: $vgpr1
; %bb.11:                               ;   in Loop: Header=BB344_9 Depth=1
	s_andn2_saveexec_b64 s[20:21], s[4:5]
; %bb.12:                               ;   in Loop: Header=BB344_9 Depth=1
	v_or_b32_e32 v2, 0x10000, v1
	v_cmp_eq_u32_sdwa s[4:5], v1, v5 src0_sel:WORD_0 src1_sel:DWORD
	s_nop 1
	v_cndmask_b32_e64 v1, v2, v1, s[4:5]
	v_accvgpr_write_b32 a21, v1
; %bb.13:                               ;   in Loop: Header=BB344_9 Depth=1
	s_or_b64 exec, exec, s[20:21]
	v_bfe_u32 v1, v0, 8, 8
	v_cvt_f32_fp8_sdwa v1, v1 src0_sel:BYTE_0
                                        ; implicit-def: $agpr22
	s_nop 0
	v_mul_f32_e32 v1, v52, v1
	v_and_b32_e32 v2, 0x7f800000, v1
	v_cmp_ne_u32_e64 s[4:5], s17, v2
	s_and_saveexec_b64 s[20:21], s[4:5]
	s_xor_b64 s[4:5], exec, s[20:21]
; %bb.14:                               ;   in Loop: Header=BB344_9 Depth=1
	v_bfe_u32 v2, v1, 16, 1
	v_add3_u32 v1, v1, v2, s22
	v_accvgpr_write_b32 a22, v1
                                        ; implicit-def: $vgpr1
; %bb.15:                               ;   in Loop: Header=BB344_9 Depth=1
	s_andn2_saveexec_b64 s[20:21], s[4:5]
; %bb.16:                               ;   in Loop: Header=BB344_9 Depth=1
	v_or_b32_e32 v2, 0x10000, v1
	v_cmp_eq_u32_sdwa s[4:5], v1, v5 src0_sel:WORD_0 src1_sel:DWORD
	s_nop 1
	v_cndmask_b32_e64 v1, v2, v1, s[4:5]
	v_accvgpr_write_b32 a22, v1
; %bb.17:                               ;   in Loop: Header=BB344_9 Depth=1
	s_or_b64 exec, exec, s[20:21]
	v_bfe_u32 v1, v0, 16, 8
	v_cvt_f32_fp8_sdwa v1, v1 src0_sel:BYTE_0
                                        ; implicit-def: $agpr23
	s_nop 0
	v_mul_f32_e32 v1, v52, v1
	v_and_b32_e32 v2, 0x7f800000, v1
	v_cmp_ne_u32_e64 s[4:5], s17, v2
	s_and_saveexec_b64 s[20:21], s[4:5]
	s_xor_b64 s[4:5], exec, s[20:21]
; %bb.18:                               ;   in Loop: Header=BB344_9 Depth=1
	v_bfe_u32 v2, v1, 16, 1
	v_add3_u32 v1, v1, v2, s22
	v_accvgpr_write_b32 a23, v1
                                        ; implicit-def: $vgpr1
; %bb.19:                               ;   in Loop: Header=BB344_9 Depth=1
	s_andn2_saveexec_b64 s[20:21], s[4:5]
; %bb.20:                               ;   in Loop: Header=BB344_9 Depth=1
	v_or_b32_e32 v2, 0x10000, v1
	v_cmp_eq_u32_sdwa s[4:5], v1, v5 src0_sel:WORD_0 src1_sel:DWORD
	s_nop 1
	v_cndmask_b32_e64 v1, v2, v1, s[4:5]
	v_accvgpr_write_b32 a23, v1
; %bb.21:                               ;   in Loop: Header=BB344_9 Depth=1
	s_or_b64 exec, exec, s[20:21]
	v_lshrrev_b32_e32 v0, 24, v0
	v_cvt_f32_fp8_sdwa v0, v0 src0_sel:BYTE_0
                                        ; implicit-def: $vgpr53
	s_nop 0
	v_mul_f32_e32 v0, v52, v0
	v_and_b32_e32 v1, 0x7f800000, v0
	v_cmp_ne_u32_e64 s[4:5], s17, v1
	s_and_saveexec_b64 s[20:21], s[4:5]
	s_xor_b64 s[4:5], exec, s[20:21]
; %bb.22:                               ;   in Loop: Header=BB344_9 Depth=1
	v_bfe_u32 v1, v0, 16, 1
	v_add3_u32 v53, v0, v1, s22
                                        ; implicit-def: $vgpr0
; %bb.23:                               ;   in Loop: Header=BB344_9 Depth=1
	s_andn2_saveexec_b64 s[20:21], s[4:5]
; %bb.24:                               ;   in Loop: Header=BB344_9 Depth=1
	v_or_b32_e32 v1, 0x10000, v0
	v_cmp_eq_u32_sdwa s[4:5], v0, v5 src0_sel:WORD_0 src1_sel:DWORD
	s_nop 1
	v_cndmask_b32_e64 v53, v1, v0, s[4:5]
; %bb.25:                               ;   in Loop: Header=BB344_9 Depth=1
	s_or_b64 exec, exec, s[20:21]
	flat_load_dword v0, v[16:17] offset:8
                                        ; implicit-def: $vgpr54
	s_waitcnt vmcnt(0) lgkmcnt(0)
	v_and_b32_e32 v1, 0xff, v0
	v_cvt_f32_fp8_sdwa v1, v1 src0_sel:BYTE_0
	s_nop 0
	v_mul_f32_e32 v1, v52, v1
	v_and_b32_e32 v2, 0x7f800000, v1
	v_cmp_ne_u32_e64 s[4:5], s17, v2
	s_and_saveexec_b64 s[20:21], s[4:5]
	s_xor_b64 s[4:5], exec, s[20:21]
; %bb.26:                               ;   in Loop: Header=BB344_9 Depth=1
	v_bfe_u32 v2, v1, 16, 1
	v_add3_u32 v54, v1, v2, s22
                                        ; implicit-def: $vgpr1
; %bb.27:                               ;   in Loop: Header=BB344_9 Depth=1
	s_andn2_saveexec_b64 s[20:21], s[4:5]
; %bb.28:                               ;   in Loop: Header=BB344_9 Depth=1
	v_or_b32_e32 v2, 0x10000, v1
	v_cmp_eq_u32_sdwa s[4:5], v1, v5 src0_sel:WORD_0 src1_sel:DWORD
	s_nop 1
	v_cndmask_b32_e64 v54, v2, v1, s[4:5]
; %bb.29:                               ;   in Loop: Header=BB344_9 Depth=1
	s_or_b64 exec, exec, s[20:21]
	v_bfe_u32 v1, v0, 8, 8
	v_cvt_f32_fp8_sdwa v1, v1 src0_sel:BYTE_0
                                        ; implicit-def: $vgpr55
	s_nop 0
	v_mul_f32_e32 v1, v52, v1
	v_and_b32_e32 v2, 0x7f800000, v1
	v_cmp_ne_u32_e64 s[4:5], s17, v2
	s_and_saveexec_b64 s[20:21], s[4:5]
	s_xor_b64 s[4:5], exec, s[20:21]
; %bb.30:                               ;   in Loop: Header=BB344_9 Depth=1
	v_bfe_u32 v2, v1, 16, 1
	v_add3_u32 v55, v1, v2, s22
                                        ; implicit-def: $vgpr1
; %bb.31:                               ;   in Loop: Header=BB344_9 Depth=1
	s_andn2_saveexec_b64 s[20:21], s[4:5]
; %bb.32:                               ;   in Loop: Header=BB344_9 Depth=1
	v_or_b32_e32 v2, 0x10000, v1
	v_cmp_eq_u32_sdwa s[4:5], v1, v5 src0_sel:WORD_0 src1_sel:DWORD
	s_nop 1
	v_cndmask_b32_e64 v55, v2, v1, s[4:5]
; %bb.33:                               ;   in Loop: Header=BB344_9 Depth=1
	s_or_b64 exec, exec, s[20:21]
	v_bfe_u32 v1, v0, 16, 8
	v_cvt_f32_fp8_sdwa v1, v1 src0_sel:BYTE_0
                                        ; implicit-def: $vgpr40
	s_nop 0
	v_mul_f32_e32 v1, v52, v1
	v_and_b32_e32 v2, 0x7f800000, v1
	v_cmp_ne_u32_e64 s[4:5], s17, v2
	s_and_saveexec_b64 s[20:21], s[4:5]
	s_xor_b64 s[4:5], exec, s[20:21]
; %bb.34:                               ;   in Loop: Header=BB344_9 Depth=1
	v_bfe_u32 v2, v1, 16, 1
	v_add3_u32 v40, v1, v2, s22
                                        ; implicit-def: $vgpr1
; %bb.35:                               ;   in Loop: Header=BB344_9 Depth=1
	s_andn2_saveexec_b64 s[20:21], s[4:5]
; %bb.36:                               ;   in Loop: Header=BB344_9 Depth=1
	v_or_b32_e32 v2, 0x10000, v1
	v_cmp_eq_u32_sdwa s[4:5], v1, v5 src0_sel:WORD_0 src1_sel:DWORD
	s_nop 1
	v_cndmask_b32_e64 v40, v2, v1, s[4:5]
; %bb.37:                               ;   in Loop: Header=BB344_9 Depth=1
	s_or_b64 exec, exec, s[20:21]
	v_lshrrev_b32_e32 v0, 24, v0
	v_cvt_f32_fp8_sdwa v0, v0 src0_sel:BYTE_0
                                        ; implicit-def: $vgpr41
	s_nop 0
	v_mul_f32_e32 v0, v52, v0
	v_and_b32_e32 v1, 0x7f800000, v0
	v_cmp_ne_u32_e64 s[4:5], s17, v1
	s_and_saveexec_b64 s[20:21], s[4:5]
	s_xor_b64 s[4:5], exec, s[20:21]
; %bb.38:                               ;   in Loop: Header=BB344_9 Depth=1
	v_bfe_u32 v1, v0, 16, 1
	v_add3_u32 v41, v0, v1, s22
                                        ; implicit-def: $vgpr0
; %bb.39:                               ;   in Loop: Header=BB344_9 Depth=1
	s_andn2_saveexec_b64 s[20:21], s[4:5]
; %bb.40:                               ;   in Loop: Header=BB344_9 Depth=1
	v_or_b32_e32 v1, 0x10000, v0
	v_cmp_eq_u32_sdwa s[4:5], v0, v5 src0_sel:WORD_0 src1_sel:DWORD
	s_nop 1
	v_cndmask_b32_e64 v41, v1, v0, s[4:5]
; %bb.41:                               ;   in Loop: Header=BB344_9 Depth=1
	s_or_b64 exec, exec, s[20:21]
	flat_load_dword v0, v[16:17] offset:512
                                        ; implicit-def: $vgpr42
	s_waitcnt vmcnt(0) lgkmcnt(0)
	v_and_b32_e32 v1, 0xff, v0
	v_cvt_f32_fp8_sdwa v1, v1 src0_sel:BYTE_0
	s_nop 0
	v_mul_f32_e32 v1, v52, v1
	v_and_b32_e32 v2, 0x7f800000, v1
	v_cmp_ne_u32_e64 s[4:5], s17, v2
	s_and_saveexec_b64 s[20:21], s[4:5]
	s_xor_b64 s[4:5], exec, s[20:21]
; %bb.42:                               ;   in Loop: Header=BB344_9 Depth=1
	v_bfe_u32 v2, v1, 16, 1
	v_add3_u32 v42, v1, v2, s22
                                        ; implicit-def: $vgpr1
; %bb.43:                               ;   in Loop: Header=BB344_9 Depth=1
	s_andn2_saveexec_b64 s[20:21], s[4:5]
; %bb.44:                               ;   in Loop: Header=BB344_9 Depth=1
	v_or_b32_e32 v2, 0x10000, v1
	v_cmp_eq_u32_sdwa s[4:5], v1, v5 src0_sel:WORD_0 src1_sel:DWORD
	s_nop 1
	v_cndmask_b32_e64 v42, v2, v1, s[4:5]
; %bb.45:                               ;   in Loop: Header=BB344_9 Depth=1
	s_or_b64 exec, exec, s[20:21]
	v_bfe_u32 v1, v0, 8, 8
	v_cvt_f32_fp8_sdwa v1, v1 src0_sel:BYTE_0
                                        ; implicit-def: $vgpr43
	s_nop 0
	v_mul_f32_e32 v1, v52, v1
	v_and_b32_e32 v2, 0x7f800000, v1
	v_cmp_ne_u32_e64 s[4:5], s17, v2
	s_and_saveexec_b64 s[20:21], s[4:5]
	s_xor_b64 s[4:5], exec, s[20:21]
; %bb.46:                               ;   in Loop: Header=BB344_9 Depth=1
	v_bfe_u32 v2, v1, 16, 1
	v_add3_u32 v43, v1, v2, s22
                                        ; implicit-def: $vgpr1
; %bb.47:                               ;   in Loop: Header=BB344_9 Depth=1
	s_andn2_saveexec_b64 s[20:21], s[4:5]
; %bb.48:                               ;   in Loop: Header=BB344_9 Depth=1
	v_or_b32_e32 v2, 0x10000, v1
	v_cmp_eq_u32_sdwa s[4:5], v1, v5 src0_sel:WORD_0 src1_sel:DWORD
	s_nop 1
	v_cndmask_b32_e64 v43, v2, v1, s[4:5]
; %bb.49:                               ;   in Loop: Header=BB344_9 Depth=1
	s_or_b64 exec, exec, s[20:21]
	v_bfe_u32 v1, v0, 16, 8
	v_cvt_f32_fp8_sdwa v1, v1 src0_sel:BYTE_0
                                        ; implicit-def: $vgpr44
	s_nop 0
	v_mul_f32_e32 v1, v52, v1
	v_and_b32_e32 v2, 0x7f800000, v1
	v_cmp_ne_u32_e64 s[4:5], s17, v2
	s_and_saveexec_b64 s[20:21], s[4:5]
	s_xor_b64 s[4:5], exec, s[20:21]
; %bb.50:                               ;   in Loop: Header=BB344_9 Depth=1
	v_bfe_u32 v2, v1, 16, 1
	v_add3_u32 v44, v1, v2, s22
                                        ; implicit-def: $vgpr1
; %bb.51:                               ;   in Loop: Header=BB344_9 Depth=1
	s_andn2_saveexec_b64 s[20:21], s[4:5]
; %bb.52:                               ;   in Loop: Header=BB344_9 Depth=1
	v_or_b32_e32 v2, 0x10000, v1
	v_cmp_eq_u32_sdwa s[4:5], v1, v5 src0_sel:WORD_0 src1_sel:DWORD
	s_nop 1
	v_cndmask_b32_e64 v44, v2, v1, s[4:5]
; %bb.53:                               ;   in Loop: Header=BB344_9 Depth=1
	s_or_b64 exec, exec, s[20:21]
	v_lshrrev_b32_e32 v0, 24, v0
	v_cvt_f32_fp8_sdwa v0, v0 src0_sel:BYTE_0
                                        ; implicit-def: $vgpr45
	s_nop 0
	v_mul_f32_e32 v0, v52, v0
	v_and_b32_e32 v1, 0x7f800000, v0
	v_cmp_ne_u32_e64 s[4:5], s17, v1
	s_and_saveexec_b64 s[20:21], s[4:5]
	s_xor_b64 s[4:5], exec, s[20:21]
; %bb.54:                               ;   in Loop: Header=BB344_9 Depth=1
	v_bfe_u32 v1, v0, 16, 1
	v_add3_u32 v45, v0, v1, s22
                                        ; implicit-def: $vgpr0
; %bb.55:                               ;   in Loop: Header=BB344_9 Depth=1
	s_andn2_saveexec_b64 s[20:21], s[4:5]
; %bb.56:                               ;   in Loop: Header=BB344_9 Depth=1
	v_or_b32_e32 v1, 0x10000, v0
	v_cmp_eq_u32_sdwa s[4:5], v0, v5 src0_sel:WORD_0 src1_sel:DWORD
	s_nop 1
	v_cndmask_b32_e64 v45, v1, v0, s[4:5]
; %bb.57:                               ;   in Loop: Header=BB344_9 Depth=1
	s_or_b64 exec, exec, s[20:21]
	flat_load_dword v0, v[16:17] offset:520
                                        ; implicit-def: $vgpr46
	s_waitcnt vmcnt(0) lgkmcnt(0)
	v_and_b32_e32 v1, 0xff, v0
	v_cvt_f32_fp8_sdwa v1, v1 src0_sel:BYTE_0
	s_nop 0
	v_mul_f32_e32 v1, v52, v1
	v_and_b32_e32 v2, 0x7f800000, v1
	v_cmp_ne_u32_e64 s[4:5], s17, v2
	s_and_saveexec_b64 s[20:21], s[4:5]
	s_xor_b64 s[4:5], exec, s[20:21]
; %bb.58:                               ;   in Loop: Header=BB344_9 Depth=1
	v_bfe_u32 v2, v1, 16, 1
	v_add3_u32 v46, v1, v2, s22
                                        ; implicit-def: $vgpr1
; %bb.59:                               ;   in Loop: Header=BB344_9 Depth=1
	s_andn2_saveexec_b64 s[20:21], s[4:5]
; %bb.60:                               ;   in Loop: Header=BB344_9 Depth=1
	v_or_b32_e32 v2, 0x10000, v1
	v_cmp_eq_u32_sdwa s[4:5], v1, v5 src0_sel:WORD_0 src1_sel:DWORD
	s_nop 1
	v_cndmask_b32_e64 v46, v2, v1, s[4:5]
; %bb.61:                               ;   in Loop: Header=BB344_9 Depth=1
	s_or_b64 exec, exec, s[20:21]
	v_bfe_u32 v1, v0, 8, 8
	v_cvt_f32_fp8_sdwa v1, v1 src0_sel:BYTE_0
                                        ; implicit-def: $vgpr47
	s_nop 0
	v_mul_f32_e32 v1, v52, v1
	v_and_b32_e32 v2, 0x7f800000, v1
	v_cmp_ne_u32_e64 s[4:5], s17, v2
	s_and_saveexec_b64 s[20:21], s[4:5]
	s_xor_b64 s[4:5], exec, s[20:21]
; %bb.62:                               ;   in Loop: Header=BB344_9 Depth=1
	v_bfe_u32 v2, v1, 16, 1
	v_add3_u32 v47, v1, v2, s22
                                        ; implicit-def: $vgpr1
; %bb.63:                               ;   in Loop: Header=BB344_9 Depth=1
	s_andn2_saveexec_b64 s[20:21], s[4:5]
; %bb.64:                               ;   in Loop: Header=BB344_9 Depth=1
	v_or_b32_e32 v2, 0x10000, v1
	v_cmp_eq_u32_sdwa s[4:5], v1, v5 src0_sel:WORD_0 src1_sel:DWORD
	s_nop 1
	v_cndmask_b32_e64 v47, v2, v1, s[4:5]
; %bb.65:                               ;   in Loop: Header=BB344_9 Depth=1
	s_or_b64 exec, exec, s[20:21]
	v_bfe_u32 v1, v0, 16, 8
	v_cvt_f32_fp8_sdwa v1, v1 src0_sel:BYTE_0
                                        ; implicit-def: $vgpr56
	s_nop 0
	v_mul_f32_e32 v1, v52, v1
	v_and_b32_e32 v2, 0x7f800000, v1
	v_cmp_ne_u32_e64 s[4:5], s17, v2
	s_and_saveexec_b64 s[20:21], s[4:5]
	s_xor_b64 s[4:5], exec, s[20:21]
; %bb.66:                               ;   in Loop: Header=BB344_9 Depth=1
	v_bfe_u32 v2, v1, 16, 1
	v_add3_u32 v56, v1, v2, s22
                                        ; implicit-def: $vgpr1
; %bb.67:                               ;   in Loop: Header=BB344_9 Depth=1
	s_andn2_saveexec_b64 s[20:21], s[4:5]
; %bb.68:                               ;   in Loop: Header=BB344_9 Depth=1
	v_or_b32_e32 v2, 0x10000, v1
	v_cmp_eq_u32_sdwa s[4:5], v1, v5 src0_sel:WORD_0 src1_sel:DWORD
	s_nop 1
	v_cndmask_b32_e64 v56, v2, v1, s[4:5]
; %bb.69:                               ;   in Loop: Header=BB344_9 Depth=1
	s_or_b64 exec, exec, s[20:21]
	v_lshrrev_b32_e32 v0, 24, v0
	v_cvt_f32_fp8_sdwa v0, v0 src0_sel:BYTE_0
                                        ; implicit-def: $vgpr57
	s_nop 0
	v_mul_f32_e32 v0, v52, v0
	v_and_b32_e32 v1, 0x7f800000, v0
	v_cmp_ne_u32_e64 s[4:5], s17, v1
	s_and_saveexec_b64 s[20:21], s[4:5]
	s_xor_b64 s[4:5], exec, s[20:21]
; %bb.70:                               ;   in Loop: Header=BB344_9 Depth=1
	v_bfe_u32 v1, v0, 16, 1
	v_add3_u32 v57, v0, v1, s22
                                        ; implicit-def: $vgpr0
; %bb.71:                               ;   in Loop: Header=BB344_9 Depth=1
	s_andn2_saveexec_b64 s[20:21], s[4:5]
; %bb.72:                               ;   in Loop: Header=BB344_9 Depth=1
	v_or_b32_e32 v1, 0x10000, v0
	v_cmp_eq_u32_sdwa s[4:5], v0, v5 src0_sel:WORD_0 src1_sel:DWORD
	s_nop 1
	v_cndmask_b32_e64 v57, v1, v0, s[4:5]
; %bb.73:                               ;   in Loop: Header=BB344_9 Depth=1
	s_or_b64 exec, exec, s[20:21]
	flat_load_dword v0, v[16:17] offset:1024
                                        ; implicit-def: $vgpr58
	s_waitcnt vmcnt(0) lgkmcnt(0)
	v_and_b32_e32 v1, 0xff, v0
	v_cvt_f32_fp8_sdwa v1, v1 src0_sel:BYTE_0
	s_nop 0
	v_mul_f32_e32 v1, v52, v1
	v_and_b32_e32 v2, 0x7f800000, v1
	v_cmp_ne_u32_e64 s[4:5], s17, v2
	s_and_saveexec_b64 s[20:21], s[4:5]
	s_xor_b64 s[4:5], exec, s[20:21]
; %bb.74:                               ;   in Loop: Header=BB344_9 Depth=1
	v_bfe_u32 v2, v1, 16, 1
	v_add3_u32 v58, v1, v2, s22
                                        ; implicit-def: $vgpr1
; %bb.75:                               ;   in Loop: Header=BB344_9 Depth=1
	s_andn2_saveexec_b64 s[20:21], s[4:5]
; %bb.76:                               ;   in Loop: Header=BB344_9 Depth=1
	v_or_b32_e32 v2, 0x10000, v1
	v_cmp_eq_u32_sdwa s[4:5], v1, v5 src0_sel:WORD_0 src1_sel:DWORD
	s_nop 1
	v_cndmask_b32_e64 v58, v2, v1, s[4:5]
; %bb.77:                               ;   in Loop: Header=BB344_9 Depth=1
	s_or_b64 exec, exec, s[20:21]
	v_bfe_u32 v1, v0, 8, 8
	v_cvt_f32_fp8_sdwa v1, v1 src0_sel:BYTE_0
                                        ; implicit-def: $vgpr59
	s_nop 0
	v_mul_f32_e32 v1, v52, v1
	v_and_b32_e32 v2, 0x7f800000, v1
	v_cmp_ne_u32_e64 s[4:5], s17, v2
	s_and_saveexec_b64 s[20:21], s[4:5]
	s_xor_b64 s[4:5], exec, s[20:21]
; %bb.78:                               ;   in Loop: Header=BB344_9 Depth=1
	v_bfe_u32 v2, v1, 16, 1
	v_add3_u32 v59, v1, v2, s22
                                        ; implicit-def: $vgpr1
; %bb.79:                               ;   in Loop: Header=BB344_9 Depth=1
	s_andn2_saveexec_b64 s[20:21], s[4:5]
; %bb.80:                               ;   in Loop: Header=BB344_9 Depth=1
	v_or_b32_e32 v2, 0x10000, v1
	v_cmp_eq_u32_sdwa s[4:5], v1, v5 src0_sel:WORD_0 src1_sel:DWORD
	s_nop 1
	v_cndmask_b32_e64 v59, v2, v1, s[4:5]
; %bb.81:                               ;   in Loop: Header=BB344_9 Depth=1
	s_or_b64 exec, exec, s[20:21]
	v_bfe_u32 v1, v0, 16, 8
	v_cvt_f32_fp8_sdwa v1, v1 src0_sel:BYTE_0
                                        ; implicit-def: $vgpr60
	s_nop 0
	v_mul_f32_e32 v1, v52, v1
	v_and_b32_e32 v2, 0x7f800000, v1
	v_cmp_ne_u32_e64 s[4:5], s17, v2
	s_and_saveexec_b64 s[20:21], s[4:5]
	s_xor_b64 s[4:5], exec, s[20:21]
; %bb.82:                               ;   in Loop: Header=BB344_9 Depth=1
	v_bfe_u32 v2, v1, 16, 1
	v_add3_u32 v60, v1, v2, s22
                                        ; implicit-def: $vgpr1
; %bb.83:                               ;   in Loop: Header=BB344_9 Depth=1
	s_andn2_saveexec_b64 s[20:21], s[4:5]
; %bb.84:                               ;   in Loop: Header=BB344_9 Depth=1
	v_or_b32_e32 v2, 0x10000, v1
	v_cmp_eq_u32_sdwa s[4:5], v1, v5 src0_sel:WORD_0 src1_sel:DWORD
	s_nop 1
	v_cndmask_b32_e64 v60, v2, v1, s[4:5]
; %bb.85:                               ;   in Loop: Header=BB344_9 Depth=1
	s_or_b64 exec, exec, s[20:21]
	v_lshrrev_b32_e32 v0, 24, v0
	v_cvt_f32_fp8_sdwa v0, v0 src0_sel:BYTE_0
                                        ; implicit-def: $vgpr61
	s_nop 0
	v_mul_f32_e32 v0, v52, v0
	v_and_b32_e32 v1, 0x7f800000, v0
	v_cmp_ne_u32_e64 s[4:5], s17, v1
	s_and_saveexec_b64 s[20:21], s[4:5]
	s_xor_b64 s[4:5], exec, s[20:21]
; %bb.86:                               ;   in Loop: Header=BB344_9 Depth=1
	v_bfe_u32 v1, v0, 16, 1
	v_add3_u32 v61, v0, v1, s22
                                        ; implicit-def: $vgpr0
; %bb.87:                               ;   in Loop: Header=BB344_9 Depth=1
	s_andn2_saveexec_b64 s[20:21], s[4:5]
; %bb.88:                               ;   in Loop: Header=BB344_9 Depth=1
	v_or_b32_e32 v1, 0x10000, v0
	v_cmp_eq_u32_sdwa s[4:5], v0, v5 src0_sel:WORD_0 src1_sel:DWORD
	s_nop 1
	v_cndmask_b32_e64 v61, v1, v0, s[4:5]
; %bb.89:                               ;   in Loop: Header=BB344_9 Depth=1
	s_or_b64 exec, exec, s[20:21]
	flat_load_dword v0, v[16:17] offset:1032
                                        ; implicit-def: $vgpr62
	s_waitcnt vmcnt(0) lgkmcnt(0)
	v_and_b32_e32 v1, 0xff, v0
	v_cvt_f32_fp8_sdwa v1, v1 src0_sel:BYTE_0
	s_nop 0
	v_mul_f32_e32 v1, v52, v1
	v_and_b32_e32 v2, 0x7f800000, v1
	v_cmp_ne_u32_e64 s[4:5], s17, v2
	s_and_saveexec_b64 s[20:21], s[4:5]
	s_xor_b64 s[4:5], exec, s[20:21]
; %bb.90:                               ;   in Loop: Header=BB344_9 Depth=1
	v_bfe_u32 v2, v1, 16, 1
	v_add3_u32 v62, v1, v2, s22
                                        ; implicit-def: $vgpr1
; %bb.91:                               ;   in Loop: Header=BB344_9 Depth=1
	s_andn2_saveexec_b64 s[20:21], s[4:5]
; %bb.92:                               ;   in Loop: Header=BB344_9 Depth=1
	v_or_b32_e32 v2, 0x10000, v1
	v_cmp_eq_u32_sdwa s[4:5], v1, v5 src0_sel:WORD_0 src1_sel:DWORD
	s_nop 1
	v_cndmask_b32_e64 v62, v2, v1, s[4:5]
; %bb.93:                               ;   in Loop: Header=BB344_9 Depth=1
	s_or_b64 exec, exec, s[20:21]
	v_bfe_u32 v1, v0, 8, 8
	v_cvt_f32_fp8_sdwa v1, v1 src0_sel:BYTE_0
                                        ; implicit-def: $vgpr63
	s_nop 0
	v_mul_f32_e32 v1, v52, v1
	v_and_b32_e32 v2, 0x7f800000, v1
	v_cmp_ne_u32_e64 s[4:5], s17, v2
	s_and_saveexec_b64 s[20:21], s[4:5]
	s_xor_b64 s[4:5], exec, s[20:21]
; %bb.94:                               ;   in Loop: Header=BB344_9 Depth=1
	v_bfe_u32 v2, v1, 16, 1
	v_add3_u32 v63, v1, v2, s22
                                        ; implicit-def: $vgpr1
; %bb.95:                               ;   in Loop: Header=BB344_9 Depth=1
	s_andn2_saveexec_b64 s[20:21], s[4:5]
; %bb.96:                               ;   in Loop: Header=BB344_9 Depth=1
	v_or_b32_e32 v2, 0x10000, v1
	v_cmp_eq_u32_sdwa s[4:5], v1, v5 src0_sel:WORD_0 src1_sel:DWORD
	s_nop 1
	v_cndmask_b32_e64 v63, v2, v1, s[4:5]
; %bb.97:                               ;   in Loop: Header=BB344_9 Depth=1
	s_or_b64 exec, exec, s[20:21]
	v_bfe_u32 v1, v0, 16, 8
	v_cvt_f32_fp8_sdwa v1, v1 src0_sel:BYTE_0
                                        ; implicit-def: $vgpr8
	s_nop 0
	v_mul_f32_e32 v1, v52, v1
	v_and_b32_e32 v2, 0x7f800000, v1
	v_cmp_ne_u32_e64 s[4:5], s17, v2
	s_and_saveexec_b64 s[20:21], s[4:5]
	s_xor_b64 s[4:5], exec, s[20:21]
; %bb.98:                               ;   in Loop: Header=BB344_9 Depth=1
	v_bfe_u32 v2, v1, 16, 1
	v_add3_u32 v8, v1, v2, s22
                                        ; implicit-def: $vgpr1
; %bb.99:                               ;   in Loop: Header=BB344_9 Depth=1
	s_andn2_saveexec_b64 s[20:21], s[4:5]
; %bb.100:                              ;   in Loop: Header=BB344_9 Depth=1
	v_or_b32_e32 v2, 0x10000, v1
	v_cmp_eq_u32_sdwa s[4:5], v1, v5 src0_sel:WORD_0 src1_sel:DWORD
	s_nop 1
	v_cndmask_b32_e64 v8, v2, v1, s[4:5]
; %bb.101:                              ;   in Loop: Header=BB344_9 Depth=1
	s_or_b64 exec, exec, s[20:21]
	v_lshrrev_b32_e32 v0, 24, v0
	v_cvt_f32_fp8_sdwa v0, v0 src0_sel:BYTE_0
                                        ; implicit-def: $vgpr2
	s_nop 0
	v_mul_f32_e32 v0, v52, v0
	v_and_b32_e32 v1, 0x7f800000, v0
	v_cmp_ne_u32_e64 s[4:5], s17, v1
	s_and_saveexec_b64 s[20:21], s[4:5]
	s_xor_b64 s[4:5], exec, s[20:21]
; %bb.102:                              ;   in Loop: Header=BB344_9 Depth=1
	v_bfe_u32 v1, v0, 16, 1
	v_add3_u32 v2, v0, v1, s22
                                        ; implicit-def: $vgpr0
; %bb.103:                              ;   in Loop: Header=BB344_9 Depth=1
	s_andn2_saveexec_b64 s[20:21], s[4:5]
; %bb.104:                              ;   in Loop: Header=BB344_9 Depth=1
	v_or_b32_e32 v1, 0x10000, v0
	v_cmp_eq_u32_sdwa s[4:5], v0, v5 src0_sel:WORD_0 src1_sel:DWORD
	s_nop 1
	v_cndmask_b32_e64 v2, v1, v0, s[4:5]
; %bb.105:                              ;   in Loop: Header=BB344_9 Depth=1
	s_or_b64 exec, exec, s[20:21]
	flat_load_dword v0, v[16:17] offset:1536
	s_waitcnt vmcnt(0) lgkmcnt(0)
	v_and_b32_e32 v1, 0xff, v0
	v_cvt_f32_fp8_sdwa v1, v1 src0_sel:BYTE_0
	s_nop 0
	v_mul_f32_e32 v1, v52, v1
	v_and_b32_e32 v3, 0x7f800000, v1
	v_cmp_ne_u32_e64 s[4:5], s17, v3
                                        ; implicit-def: $vgpr3
	s_and_saveexec_b64 s[20:21], s[4:5]
	s_xor_b64 s[4:5], exec, s[20:21]
; %bb.106:                              ;   in Loop: Header=BB344_9 Depth=1
	v_bfe_u32 v3, v1, 16, 1
	v_add3_u32 v3, v1, v3, s22
                                        ; implicit-def: $vgpr1
; %bb.107:                              ;   in Loop: Header=BB344_9 Depth=1
	s_andn2_saveexec_b64 s[20:21], s[4:5]
; %bb.108:                              ;   in Loop: Header=BB344_9 Depth=1
	v_or_b32_e32 v3, 0x10000, v1
	v_cmp_eq_u32_sdwa s[4:5], v1, v5 src0_sel:WORD_0 src1_sel:DWORD
	s_nop 1
	v_cndmask_b32_e64 v3, v3, v1, s[4:5]
; %bb.109:                              ;   in Loop: Header=BB344_9 Depth=1
	s_or_b64 exec, exec, s[20:21]
	v_bfe_u32 v1, v0, 8, 8
	v_cvt_f32_fp8_sdwa v1, v1 src0_sel:BYTE_0
                                        ; implicit-def: $vgpr24
	s_nop 0
	v_mul_f32_e32 v1, v52, v1
	v_and_b32_e32 v6, 0x7f800000, v1
	v_cmp_ne_u32_e64 s[4:5], s17, v6
	s_and_saveexec_b64 s[20:21], s[4:5]
	s_xor_b64 s[4:5], exec, s[20:21]
; %bb.110:                              ;   in Loop: Header=BB344_9 Depth=1
	v_bfe_u32 v6, v1, 16, 1
	v_add3_u32 v24, v1, v6, s22
                                        ; implicit-def: $vgpr1
; %bb.111:                              ;   in Loop: Header=BB344_9 Depth=1
	s_andn2_saveexec_b64 s[20:21], s[4:5]
; %bb.112:                              ;   in Loop: Header=BB344_9 Depth=1
	v_or_b32_e32 v6, 0x10000, v1
	v_cmp_eq_u32_sdwa s[4:5], v1, v5 src0_sel:WORD_0 src1_sel:DWORD
	s_nop 1
	v_cndmask_b32_e64 v24, v6, v1, s[4:5]
; %bb.113:                              ;   in Loop: Header=BB344_9 Depth=1
	s_or_b64 exec, exec, s[20:21]
	v_bfe_u32 v1, v0, 16, 8
	v_cvt_f32_fp8_sdwa v1, v1 src0_sel:BYTE_0
                                        ; implicit-def: $vgpr49
	s_nop 0
	v_mul_f32_e32 v1, v52, v1
	v_and_b32_e32 v6, 0x7f800000, v1
	v_cmp_ne_u32_e64 s[4:5], s17, v6
	s_and_saveexec_b64 s[20:21], s[4:5]
	s_xor_b64 s[4:5], exec, s[20:21]
; %bb.114:                              ;   in Loop: Header=BB344_9 Depth=1
	v_bfe_u32 v6, v1, 16, 1
	v_add3_u32 v49, v1, v6, s22
                                        ; implicit-def: $vgpr1
; %bb.115:                              ;   in Loop: Header=BB344_9 Depth=1
	s_andn2_saveexec_b64 s[20:21], s[4:5]
; %bb.116:                              ;   in Loop: Header=BB344_9 Depth=1
	v_or_b32_e32 v6, 0x10000, v1
	v_cmp_eq_u32_sdwa s[4:5], v1, v5 src0_sel:WORD_0 src1_sel:DWORD
	s_nop 1
	v_cndmask_b32_e64 v49, v6, v1, s[4:5]
; %bb.117:                              ;   in Loop: Header=BB344_9 Depth=1
	s_or_b64 exec, exec, s[20:21]
	v_lshrrev_b32_e32 v0, 24, v0
	v_cvt_f32_fp8_sdwa v0, v0 src0_sel:BYTE_0
                                        ; implicit-def: $vgpr22
	s_nop 0
	v_mul_f32_e32 v0, v52, v0
	v_and_b32_e32 v1, 0x7f800000, v0
	v_cmp_ne_u32_e64 s[4:5], s17, v1
	s_and_saveexec_b64 s[20:21], s[4:5]
	s_xor_b64 s[4:5], exec, s[20:21]
; %bb.118:                              ;   in Loop: Header=BB344_9 Depth=1
	v_bfe_u32 v1, v0, 16, 1
	v_add3_u32 v22, v0, v1, s22
                                        ; implicit-def: $vgpr0
; %bb.119:                              ;   in Loop: Header=BB344_9 Depth=1
	s_andn2_saveexec_b64 s[20:21], s[4:5]
; %bb.120:                              ;   in Loop: Header=BB344_9 Depth=1
	v_or_b32_e32 v1, 0x10000, v0
	v_cmp_eq_u32_sdwa s[4:5], v0, v5 src0_sel:WORD_0 src1_sel:DWORD
	s_nop 1
	v_cndmask_b32_e64 v22, v1, v0, s[4:5]
; %bb.121:                              ;   in Loop: Header=BB344_9 Depth=1
	s_or_b64 exec, exec, s[20:21]
	flat_load_dword v0, v[16:17] offset:1544
                                        ; implicit-def: $vgpr7
	s_waitcnt vmcnt(0) lgkmcnt(0)
	v_and_b32_e32 v1, 0xff, v0
	v_cvt_f32_fp8_sdwa v1, v1 src0_sel:BYTE_0
	s_nop 0
	v_mul_f32_e32 v1, v52, v1
	v_and_b32_e32 v6, 0x7f800000, v1
	v_cmp_ne_u32_e64 s[4:5], s17, v6
	s_and_saveexec_b64 s[20:21], s[4:5]
	s_xor_b64 s[4:5], exec, s[20:21]
; %bb.122:                              ;   in Loop: Header=BB344_9 Depth=1
	v_bfe_u32 v6, v1, 16, 1
	v_add3_u32 v7, v1, v6, s22
                                        ; implicit-def: $vgpr1
; %bb.123:                              ;   in Loop: Header=BB344_9 Depth=1
	s_andn2_saveexec_b64 s[20:21], s[4:5]
; %bb.124:                              ;   in Loop: Header=BB344_9 Depth=1
	v_or_b32_e32 v6, 0x10000, v1
	v_cmp_eq_u32_sdwa s[4:5], v1, v5 src0_sel:WORD_0 src1_sel:DWORD
	s_nop 1
	v_cndmask_b32_e64 v7, v6, v1, s[4:5]
; %bb.125:                              ;   in Loop: Header=BB344_9 Depth=1
	s_or_b64 exec, exec, s[20:21]
	v_bfe_u32 v1, v0, 8, 8
	v_cvt_f32_fp8_sdwa v1, v1 src0_sel:BYTE_0
	s_nop 0
	v_mul_f32_e32 v1, v52, v1
	v_and_b32_e32 v6, 0x7f800000, v1
	v_cmp_ne_u32_e64 s[4:5], s17, v6
                                        ; implicit-def: $vgpr6
	s_and_saveexec_b64 s[20:21], s[4:5]
	s_xor_b64 s[4:5], exec, s[20:21]
; %bb.126:                              ;   in Loop: Header=BB344_9 Depth=1
	v_bfe_u32 v6, v1, 16, 1
	v_add3_u32 v6, v1, v6, s22
                                        ; implicit-def: $vgpr1
; %bb.127:                              ;   in Loop: Header=BB344_9 Depth=1
	s_andn2_saveexec_b64 s[20:21], s[4:5]
; %bb.128:                              ;   in Loop: Header=BB344_9 Depth=1
	v_or_b32_e32 v6, 0x10000, v1
	v_cmp_eq_u32_sdwa s[4:5], v1, v5 src0_sel:WORD_0 src1_sel:DWORD
	s_nop 1
	v_cndmask_b32_e64 v6, v6, v1, s[4:5]
; %bb.129:                              ;   in Loop: Header=BB344_9 Depth=1
	s_or_b64 exec, exec, s[20:21]
	v_bfe_u32 v1, v0, 16, 8
	v_cvt_f32_fp8_sdwa v1, v1 src0_sel:BYTE_0
                                        ; implicit-def: $vgpr26
	s_nop 0
	v_mul_f32_e32 v1, v52, v1
	v_and_b32_e32 v9, 0x7f800000, v1
	v_cmp_ne_u32_e64 s[4:5], s17, v9
	s_and_saveexec_b64 s[20:21], s[4:5]
	s_xor_b64 s[4:5], exec, s[20:21]
; %bb.130:                              ;   in Loop: Header=BB344_9 Depth=1
	v_bfe_u32 v9, v1, 16, 1
	v_add3_u32 v26, v1, v9, s22
                                        ; implicit-def: $vgpr1
; %bb.131:                              ;   in Loop: Header=BB344_9 Depth=1
	s_andn2_saveexec_b64 s[20:21], s[4:5]
; %bb.132:                              ;   in Loop: Header=BB344_9 Depth=1
	v_or_b32_e32 v9, 0x10000, v1
	v_cmp_eq_u32_sdwa s[4:5], v1, v5 src0_sel:WORD_0 src1_sel:DWORD
	s_nop 1
	v_cndmask_b32_e64 v26, v9, v1, s[4:5]
; %bb.133:                              ;   in Loop: Header=BB344_9 Depth=1
	s_or_b64 exec, exec, s[20:21]
	v_lshrrev_b32_e32 v0, 24, v0
	v_cvt_f32_fp8_sdwa v0, v0 src0_sel:BYTE_0
                                        ; implicit-def: $vgpr27
	s_nop 0
	v_mul_f32_e32 v0, v52, v0
	v_and_b32_e32 v1, 0x7f800000, v0
	v_cmp_ne_u32_e64 s[4:5], s17, v1
	s_and_saveexec_b64 s[20:21], s[4:5]
	s_xor_b64 s[4:5], exec, s[20:21]
; %bb.134:                              ;   in Loop: Header=BB344_9 Depth=1
	v_bfe_u32 v1, v0, 16, 1
	v_add3_u32 v27, v0, v1, s22
                                        ; implicit-def: $vgpr0
; %bb.135:                              ;   in Loop: Header=BB344_9 Depth=1
	s_andn2_saveexec_b64 s[20:21], s[4:5]
; %bb.136:                              ;   in Loop: Header=BB344_9 Depth=1
	v_or_b32_e32 v1, 0x10000, v0
	v_cmp_eq_u32_sdwa s[4:5], v0, v5 src0_sel:WORD_0 src1_sel:DWORD
	s_nop 1
	v_cndmask_b32_e64 v27, v1, v0, s[4:5]
; %bb.137:                              ;   in Loop: Header=BB344_9 Depth=1
	s_or_b64 exec, exec, s[20:21]
	flat_load_dword v0, v[16:17] offset:2048
                                        ; implicit-def: $vgpr10
	s_waitcnt vmcnt(0) lgkmcnt(0)
	v_and_b32_e32 v1, 0xff, v0
	v_cvt_f32_fp8_sdwa v1, v1 src0_sel:BYTE_0
	s_nop 0
	v_mul_f32_e32 v1, v52, v1
	v_and_b32_e32 v9, 0x7f800000, v1
	v_cmp_ne_u32_e64 s[4:5], s17, v9
	s_and_saveexec_b64 s[20:21], s[4:5]
	s_xor_b64 s[4:5], exec, s[20:21]
; %bb.138:                              ;   in Loop: Header=BB344_9 Depth=1
	v_bfe_u32 v9, v1, 16, 1
	v_add3_u32 v10, v1, v9, s22
                                        ; implicit-def: $vgpr1
; %bb.139:                              ;   in Loop: Header=BB344_9 Depth=1
	s_andn2_saveexec_b64 s[20:21], s[4:5]
; %bb.140:                              ;   in Loop: Header=BB344_9 Depth=1
	v_or_b32_e32 v9, 0x10000, v1
	v_cmp_eq_u32_sdwa s[4:5], v1, v5 src0_sel:WORD_0 src1_sel:DWORD
	s_nop 1
	v_cndmask_b32_e64 v10, v9, v1, s[4:5]
; %bb.141:                              ;   in Loop: Header=BB344_9 Depth=1
	s_or_b64 exec, exec, s[20:21]
	v_bfe_u32 v1, v0, 8, 8
	v_cvt_f32_fp8_sdwa v1, v1 src0_sel:BYTE_0
                                        ; implicit-def: $vgpr11
	s_nop 0
	v_mul_f32_e32 v1, v52, v1
	v_and_b32_e32 v9, 0x7f800000, v1
	v_cmp_ne_u32_e64 s[4:5], s17, v9
	s_and_saveexec_b64 s[20:21], s[4:5]
	s_xor_b64 s[4:5], exec, s[20:21]
; %bb.142:                              ;   in Loop: Header=BB344_9 Depth=1
	v_bfe_u32 v9, v1, 16, 1
	v_add3_u32 v11, v1, v9, s22
                                        ; implicit-def: $vgpr1
; %bb.143:                              ;   in Loop: Header=BB344_9 Depth=1
	s_andn2_saveexec_b64 s[20:21], s[4:5]
; %bb.144:                              ;   in Loop: Header=BB344_9 Depth=1
	v_or_b32_e32 v9, 0x10000, v1
	v_cmp_eq_u32_sdwa s[4:5], v1, v5 src0_sel:WORD_0 src1_sel:DWORD
	s_nop 1
	v_cndmask_b32_e64 v11, v9, v1, s[4:5]
; %bb.145:                              ;   in Loop: Header=BB344_9 Depth=1
	s_or_b64 exec, exec, s[20:21]
	v_bfe_u32 v1, v0, 16, 8
	v_cvt_f32_fp8_sdwa v1, v1 src0_sel:BYTE_0
                                        ; implicit-def: $vgpr25
	s_nop 0
	v_mul_f32_e32 v1, v52, v1
	v_and_b32_e32 v9, 0x7f800000, v1
	v_cmp_ne_u32_e64 s[4:5], s17, v9
	s_and_saveexec_b64 s[20:21], s[4:5]
	s_xor_b64 s[4:5], exec, s[20:21]
; %bb.146:                              ;   in Loop: Header=BB344_9 Depth=1
	v_bfe_u32 v9, v1, 16, 1
	v_add3_u32 v25, v1, v9, s22
                                        ; implicit-def: $vgpr1
; %bb.147:                              ;   in Loop: Header=BB344_9 Depth=1
	s_andn2_saveexec_b64 s[20:21], s[4:5]
; %bb.148:                              ;   in Loop: Header=BB344_9 Depth=1
	v_or_b32_e32 v9, 0x10000, v1
	v_cmp_eq_u32_sdwa s[4:5], v1, v5 src0_sel:WORD_0 src1_sel:DWORD
	s_nop 1
	v_cndmask_b32_e64 v25, v9, v1, s[4:5]
; %bb.149:                              ;   in Loop: Header=BB344_9 Depth=1
	s_or_b64 exec, exec, s[20:21]
	v_lshrrev_b32_e32 v0, 24, v0
	v_cvt_f32_fp8_sdwa v0, v0 src0_sel:BYTE_0
                                        ; implicit-def: $vgpr28
	s_nop 0
	v_mul_f32_e32 v0, v52, v0
	v_and_b32_e32 v1, 0x7f800000, v0
	v_cmp_ne_u32_e64 s[4:5], s17, v1
	s_and_saveexec_b64 s[20:21], s[4:5]
	s_xor_b64 s[4:5], exec, s[20:21]
; %bb.150:                              ;   in Loop: Header=BB344_9 Depth=1
	v_bfe_u32 v1, v0, 16, 1
	v_add3_u32 v28, v0, v1, s22
                                        ; implicit-def: $vgpr0
; %bb.151:                              ;   in Loop: Header=BB344_9 Depth=1
	s_andn2_saveexec_b64 s[20:21], s[4:5]
; %bb.152:                              ;   in Loop: Header=BB344_9 Depth=1
	v_or_b32_e32 v1, 0x10000, v0
	v_cmp_eq_u32_sdwa s[4:5], v0, v5 src0_sel:WORD_0 src1_sel:DWORD
	s_nop 1
	v_cndmask_b32_e64 v28, v1, v0, s[4:5]
; %bb.153:                              ;   in Loop: Header=BB344_9 Depth=1
	s_or_b64 exec, exec, s[20:21]
	flat_load_dword v0, v[16:17] offset:2056
                                        ; implicit-def: $vgpr19
	s_waitcnt vmcnt(0) lgkmcnt(0)
	v_and_b32_e32 v1, 0xff, v0
	v_cvt_f32_fp8_sdwa v1, v1 src0_sel:BYTE_0
	s_nop 0
	v_mul_f32_e32 v1, v52, v1
	v_and_b32_e32 v9, 0x7f800000, v1
	v_cmp_ne_u32_e64 s[4:5], s17, v9
	s_and_saveexec_b64 s[20:21], s[4:5]
	s_xor_b64 s[4:5], exec, s[20:21]
; %bb.154:                              ;   in Loop: Header=BB344_9 Depth=1
	v_bfe_u32 v9, v1, 16, 1
	v_add3_u32 v19, v1, v9, s22
                                        ; implicit-def: $vgpr1
; %bb.155:                              ;   in Loop: Header=BB344_9 Depth=1
	s_andn2_saveexec_b64 s[20:21], s[4:5]
; %bb.156:                              ;   in Loop: Header=BB344_9 Depth=1
	v_or_b32_e32 v9, 0x10000, v1
	v_cmp_eq_u32_sdwa s[4:5], v1, v5 src0_sel:WORD_0 src1_sel:DWORD
	s_nop 1
	v_cndmask_b32_e64 v19, v9, v1, s[4:5]
; %bb.157:                              ;   in Loop: Header=BB344_9 Depth=1
	s_or_b64 exec, exec, s[20:21]
	v_bfe_u32 v1, v0, 8, 8
	v_cvt_f32_fp8_sdwa v1, v1 src0_sel:BYTE_0
                                        ; implicit-def: $vgpr31
	s_nop 0
	v_mul_f32_e32 v1, v52, v1
	v_and_b32_e32 v9, 0x7f800000, v1
	v_cmp_ne_u32_e64 s[4:5], s17, v9
	s_and_saveexec_b64 s[20:21], s[4:5]
	s_xor_b64 s[4:5], exec, s[20:21]
; %bb.158:                              ;   in Loop: Header=BB344_9 Depth=1
	v_bfe_u32 v9, v1, 16, 1
	v_add3_u32 v31, v1, v9, s22
                                        ; implicit-def: $vgpr1
; %bb.159:                              ;   in Loop: Header=BB344_9 Depth=1
	s_andn2_saveexec_b64 s[20:21], s[4:5]
; %bb.160:                              ;   in Loop: Header=BB344_9 Depth=1
	v_or_b32_e32 v9, 0x10000, v1
	v_cmp_eq_u32_sdwa s[4:5], v1, v5 src0_sel:WORD_0 src1_sel:DWORD
	s_nop 1
	v_cndmask_b32_e64 v31, v9, v1, s[4:5]
; %bb.161:                              ;   in Loop: Header=BB344_9 Depth=1
	s_or_b64 exec, exec, s[20:21]
	v_bfe_u32 v1, v0, 16, 8
	v_cvt_f32_fp8_sdwa v1, v1 src0_sel:BYTE_0
                                        ; implicit-def: $vgpr32
	s_nop 0
	v_mul_f32_e32 v1, v52, v1
	v_and_b32_e32 v9, 0x7f800000, v1
	v_cmp_ne_u32_e64 s[4:5], s17, v9
	s_and_saveexec_b64 s[20:21], s[4:5]
	s_xor_b64 s[4:5], exec, s[20:21]
; %bb.162:                              ;   in Loop: Header=BB344_9 Depth=1
	v_bfe_u32 v9, v1, 16, 1
	v_add3_u32 v32, v1, v9, s22
                                        ; implicit-def: $vgpr1
; %bb.163:                              ;   in Loop: Header=BB344_9 Depth=1
	s_andn2_saveexec_b64 s[20:21], s[4:5]
; %bb.164:                              ;   in Loop: Header=BB344_9 Depth=1
	v_or_b32_e32 v9, 0x10000, v1
	v_cmp_eq_u32_sdwa s[4:5], v1, v5 src0_sel:WORD_0 src1_sel:DWORD
	s_nop 1
	v_cndmask_b32_e64 v32, v9, v1, s[4:5]
; %bb.165:                              ;   in Loop: Header=BB344_9 Depth=1
	s_or_b64 exec, exec, s[20:21]
	v_lshrrev_b32_e32 v0, 24, v0
	v_cvt_f32_fp8_sdwa v0, v0 src0_sel:BYTE_0
                                        ; implicit-def: $vgpr33
	s_nop 0
	v_mul_f32_e32 v0, v52, v0
	v_and_b32_e32 v1, 0x7f800000, v0
	v_cmp_ne_u32_e64 s[4:5], s17, v1
	s_and_saveexec_b64 s[20:21], s[4:5]
	s_xor_b64 s[4:5], exec, s[20:21]
; %bb.166:                              ;   in Loop: Header=BB344_9 Depth=1
	v_bfe_u32 v1, v0, 16, 1
	v_add3_u32 v33, v0, v1, s22
                                        ; implicit-def: $vgpr0
; %bb.167:                              ;   in Loop: Header=BB344_9 Depth=1
	s_andn2_saveexec_b64 s[20:21], s[4:5]
; %bb.168:                              ;   in Loop: Header=BB344_9 Depth=1
	v_or_b32_e32 v1, 0x10000, v0
	v_cmp_eq_u32_sdwa s[4:5], v0, v5 src0_sel:WORD_0 src1_sel:DWORD
	s_nop 1
	v_cndmask_b32_e64 v33, v1, v0, s[4:5]
; %bb.169:                              ;   in Loop: Header=BB344_9 Depth=1
	s_or_b64 exec, exec, s[20:21]
	flat_load_dword v0, v[16:17] offset:2560
                                        ; implicit-def: $vgpr34
	s_waitcnt vmcnt(0) lgkmcnt(0)
	v_and_b32_e32 v1, 0xff, v0
	v_cvt_f32_fp8_sdwa v1, v1 src0_sel:BYTE_0
	s_nop 0
	v_mul_f32_e32 v1, v52, v1
	v_and_b32_e32 v9, 0x7f800000, v1
	v_cmp_ne_u32_e64 s[4:5], s17, v9
	s_and_saveexec_b64 s[20:21], s[4:5]
	s_xor_b64 s[4:5], exec, s[20:21]
; %bb.170:                              ;   in Loop: Header=BB344_9 Depth=1
	v_bfe_u32 v9, v1, 16, 1
	v_add3_u32 v34, v1, v9, s22
                                        ; implicit-def: $vgpr1
; %bb.171:                              ;   in Loop: Header=BB344_9 Depth=1
	s_andn2_saveexec_b64 s[20:21], s[4:5]
; %bb.172:                              ;   in Loop: Header=BB344_9 Depth=1
	v_or_b32_e32 v9, 0x10000, v1
	v_cmp_eq_u32_sdwa s[4:5], v1, v5 src0_sel:WORD_0 src1_sel:DWORD
	s_nop 1
	v_cndmask_b32_e64 v34, v9, v1, s[4:5]
; %bb.173:                              ;   in Loop: Header=BB344_9 Depth=1
	s_or_b64 exec, exec, s[20:21]
	v_bfe_u32 v1, v0, 8, 8
	v_cvt_f32_fp8_sdwa v1, v1 src0_sel:BYTE_0
                                        ; implicit-def: $vgpr35
	s_nop 0
	v_mul_f32_e32 v1, v52, v1
	v_and_b32_e32 v9, 0x7f800000, v1
	v_cmp_ne_u32_e64 s[4:5], s17, v9
	s_and_saveexec_b64 s[20:21], s[4:5]
	s_xor_b64 s[4:5], exec, s[20:21]
; %bb.174:                              ;   in Loop: Header=BB344_9 Depth=1
	v_bfe_u32 v9, v1, 16, 1
	v_add3_u32 v35, v1, v9, s22
                                        ; implicit-def: $vgpr1
; %bb.175:                              ;   in Loop: Header=BB344_9 Depth=1
	s_andn2_saveexec_b64 s[20:21], s[4:5]
; %bb.176:                              ;   in Loop: Header=BB344_9 Depth=1
	v_or_b32_e32 v9, 0x10000, v1
	v_cmp_eq_u32_sdwa s[4:5], v1, v5 src0_sel:WORD_0 src1_sel:DWORD
	s_nop 1
	v_cndmask_b32_e64 v35, v9, v1, s[4:5]
; %bb.177:                              ;   in Loop: Header=BB344_9 Depth=1
	s_or_b64 exec, exec, s[20:21]
	v_bfe_u32 v1, v0, 16, 8
	v_cvt_f32_fp8_sdwa v1, v1 src0_sel:BYTE_0
	s_nop 0
	v_mul_f32_e32 v1, v52, v1
	v_and_b32_e32 v9, 0x7f800000, v1
	v_cmp_ne_u32_e64 s[4:5], s17, v9
                                        ; implicit-def: $vgpr9
	s_and_saveexec_b64 s[20:21], s[4:5]
	s_xor_b64 s[4:5], exec, s[20:21]
; %bb.178:                              ;   in Loop: Header=BB344_9 Depth=1
	v_bfe_u32 v9, v1, 16, 1
	v_add3_u32 v9, v1, v9, s22
                                        ; implicit-def: $vgpr1
; %bb.179:                              ;   in Loop: Header=BB344_9 Depth=1
	s_andn2_saveexec_b64 s[20:21], s[4:5]
; %bb.180:                              ;   in Loop: Header=BB344_9 Depth=1
	v_or_b32_e32 v9, 0x10000, v1
	v_cmp_eq_u32_sdwa s[4:5], v1, v5 src0_sel:WORD_0 src1_sel:DWORD
	s_nop 1
	v_cndmask_b32_e64 v9, v9, v1, s[4:5]
; %bb.181:                              ;   in Loop: Header=BB344_9 Depth=1
	s_or_b64 exec, exec, s[20:21]
	v_lshrrev_b32_e32 v0, 24, v0
	v_cvt_f32_fp8_sdwa v0, v0 src0_sel:BYTE_0
                                        ; implicit-def: $vgpr36
	s_nop 0
	v_mul_f32_e32 v0, v52, v0
	v_and_b32_e32 v1, 0x7f800000, v0
	v_cmp_ne_u32_e64 s[4:5], s17, v1
	s_and_saveexec_b64 s[20:21], s[4:5]
	s_xor_b64 s[4:5], exec, s[20:21]
; %bb.182:                              ;   in Loop: Header=BB344_9 Depth=1
	v_bfe_u32 v1, v0, 16, 1
	v_add3_u32 v36, v0, v1, s22
                                        ; implicit-def: $vgpr0
; %bb.183:                              ;   in Loop: Header=BB344_9 Depth=1
	s_andn2_saveexec_b64 s[20:21], s[4:5]
; %bb.184:                              ;   in Loop: Header=BB344_9 Depth=1
	v_or_b32_e32 v1, 0x10000, v0
	v_cmp_eq_u32_sdwa s[4:5], v0, v5 src0_sel:WORD_0 src1_sel:DWORD
	s_nop 1
	v_cndmask_b32_e64 v36, v1, v0, s[4:5]
; %bb.185:                              ;   in Loop: Header=BB344_9 Depth=1
	s_or_b64 exec, exec, s[20:21]
	flat_load_dword v12, v[16:17] offset:2568
                                        ; implicit-def: $vgpr38
	s_waitcnt vmcnt(0) lgkmcnt(0)
	v_and_b32_e32 v0, 0xff, v12
	v_cvt_f32_fp8_sdwa v0, v0 src0_sel:BYTE_0
	s_nop 0
	v_mul_f32_e32 v0, v52, v0
	v_and_b32_e32 v1, 0x7f800000, v0
	v_cmp_ne_u32_e64 s[4:5], s17, v1
	s_and_saveexec_b64 s[20:21], s[4:5]
	s_xor_b64 s[4:5], exec, s[20:21]
; %bb.186:                              ;   in Loop: Header=BB344_9 Depth=1
	v_bfe_u32 v1, v0, 16, 1
	v_add3_u32 v38, v0, v1, s22
                                        ; implicit-def: $vgpr0
; %bb.187:                              ;   in Loop: Header=BB344_9 Depth=1
	s_andn2_saveexec_b64 s[20:21], s[4:5]
; %bb.188:                              ;   in Loop: Header=BB344_9 Depth=1
	v_or_b32_e32 v1, 0x10000, v0
	v_cmp_eq_u32_sdwa s[4:5], v0, v5 src0_sel:WORD_0 src1_sel:DWORD
	s_nop 1
	v_cndmask_b32_e64 v38, v1, v0, s[4:5]
; %bb.189:                              ;   in Loop: Header=BB344_9 Depth=1
	s_or_b64 exec, exec, s[20:21]
	v_bfe_u32 v0, v12, 8, 8
	v_cvt_f32_fp8_sdwa v0, v0 src0_sel:BYTE_0
	s_nop 0
	v_mul_f32_e32 v1, v52, v0
	v_and_b32_e32 v0, 0x7f800000, v1
	v_cmp_ne_u32_e64 s[4:5], s17, v0
                                        ; implicit-def: $vgpr0
	s_and_saveexec_b64 s[20:21], s[4:5]
	s_xor_b64 s[4:5], exec, s[20:21]
; %bb.190:                              ;   in Loop: Header=BB344_9 Depth=1
	v_bfe_u32 v0, v1, 16, 1
	v_add3_u32 v0, v1, v0, s22
                                        ; implicit-def: $vgpr1
; %bb.191:                              ;   in Loop: Header=BB344_9 Depth=1
	s_andn2_saveexec_b64 s[20:21], s[4:5]
; %bb.192:                              ;   in Loop: Header=BB344_9 Depth=1
	v_or_b32_e32 v0, 0x10000, v1
	v_cmp_eq_u32_sdwa s[4:5], v1, v5 src0_sel:WORD_0 src1_sel:DWORD
	s_nop 1
	v_cndmask_b32_e64 v0, v0, v1, s[4:5]
; %bb.193:                              ;   in Loop: Header=BB344_9 Depth=1
	s_or_b64 exec, exec, s[20:21]
	v_bfe_u32 v1, v12, 16, 8
	v_cvt_f32_fp8_sdwa v1, v1 src0_sel:BYTE_0
	s_nop 0
	v_mul_f32_e32 v13, v52, v1
	v_and_b32_e32 v1, 0x7f800000, v13
	v_cmp_ne_u32_e64 s[4:5], s17, v1
                                        ; implicit-def: $vgpr1
	s_and_saveexec_b64 s[20:21], s[4:5]
	s_xor_b64 s[4:5], exec, s[20:21]
; %bb.194:                              ;   in Loop: Header=BB344_9 Depth=1
	v_bfe_u32 v1, v13, 16, 1
	v_add3_u32 v1, v13, v1, s22
                                        ; implicit-def: $vgpr13
; %bb.195:                              ;   in Loop: Header=BB344_9 Depth=1
	s_andn2_saveexec_b64 s[20:21], s[4:5]
; %bb.196:                              ;   in Loop: Header=BB344_9 Depth=1
	v_or_b32_e32 v1, 0x10000, v13
	v_cmp_eq_u32_sdwa s[4:5], v13, v5 src0_sel:WORD_0 src1_sel:DWORD
	s_nop 1
	v_cndmask_b32_e64 v1, v1, v13, s[4:5]
; %bb.197:                              ;   in Loop: Header=BB344_9 Depth=1
	s_or_b64 exec, exec, s[20:21]
	v_lshrrev_b32_e32 v12, 24, v12
	v_cvt_f32_fp8_sdwa v12, v12 src0_sel:BYTE_0
	s_nop 0
	v_mul_f32_e32 v13, v52, v12
	v_and_b32_e32 v12, 0x7f800000, v13
	v_cmp_ne_u32_e64 s[4:5], s17, v12
                                        ; implicit-def: $vgpr12
	s_and_saveexec_b64 s[20:21], s[4:5]
	s_xor_b64 s[4:5], exec, s[20:21]
; %bb.198:                              ;   in Loop: Header=BB344_9 Depth=1
	v_bfe_u32 v12, v13, 16, 1
	v_add3_u32 v12, v13, v12, s22
                                        ; implicit-def: $vgpr13
; %bb.199:                              ;   in Loop: Header=BB344_9 Depth=1
	s_andn2_saveexec_b64 s[20:21], s[4:5]
; %bb.200:                              ;   in Loop: Header=BB344_9 Depth=1
	v_or_b32_e32 v12, 0x10000, v13
	v_cmp_eq_u32_sdwa s[4:5], v13, v5 src0_sel:WORD_0 src1_sel:DWORD
	s_nop 1
	v_cndmask_b32_e64 v12, v12, v13, s[4:5]
; %bb.201:                              ;   in Loop: Header=BB344_9 Depth=1
	s_or_b64 exec, exec, s[20:21]
	flat_load_dword v20, v[16:17] offset:3072
	s_waitcnt vmcnt(0) lgkmcnt(0)
	v_and_b32_e32 v13, 0xff, v20
	v_cvt_f32_fp8_sdwa v13, v13 src0_sel:BYTE_0
	s_nop 0
	v_mul_f32_e32 v18, v52, v13
	v_and_b32_e32 v13, 0x7f800000, v18
	v_cmp_ne_u32_e64 s[4:5], s17, v13
                                        ; implicit-def: $vgpr13
	s_and_saveexec_b64 s[20:21], s[4:5]
	s_xor_b64 s[4:5], exec, s[20:21]
; %bb.202:                              ;   in Loop: Header=BB344_9 Depth=1
	v_bfe_u32 v13, v18, 16, 1
	v_add3_u32 v13, v18, v13, s22
                                        ; implicit-def: $vgpr18
; %bb.203:                              ;   in Loop: Header=BB344_9 Depth=1
	s_andn2_saveexec_b64 s[20:21], s[4:5]
; %bb.204:                              ;   in Loop: Header=BB344_9 Depth=1
	v_or_b32_e32 v13, 0x10000, v18
	v_cmp_eq_u32_sdwa s[4:5], v18, v5 src0_sel:WORD_0 src1_sel:DWORD
	s_nop 1
	v_cndmask_b32_e64 v13, v13, v18, s[4:5]
; %bb.205:                              ;   in Loop: Header=BB344_9 Depth=1
	s_or_b64 exec, exec, s[20:21]
	v_bfe_u32 v18, v20, 8, 8
	v_cvt_f32_fp8_sdwa v18, v18 src0_sel:BYTE_0
                                        ; implicit-def: $vgpr37
	s_nop 0
	v_mul_f32_e32 v18, v52, v18
	v_and_b32_e32 v21, 0x7f800000, v18
	v_cmp_ne_u32_e64 s[4:5], s17, v21
	s_and_saveexec_b64 s[20:21], s[4:5]
	s_xor_b64 s[4:5], exec, s[20:21]
; %bb.206:                              ;   in Loop: Header=BB344_9 Depth=1
	v_bfe_u32 v21, v18, 16, 1
	v_add3_u32 v37, v18, v21, s22
                                        ; implicit-def: $vgpr18
; %bb.207:                              ;   in Loop: Header=BB344_9 Depth=1
	s_andn2_saveexec_b64 s[20:21], s[4:5]
; %bb.208:                              ;   in Loop: Header=BB344_9 Depth=1
	v_or_b32_e32 v21, 0x10000, v18
	v_cmp_eq_u32_sdwa s[4:5], v18, v5 src0_sel:WORD_0 src1_sel:DWORD
	s_nop 1
	v_cndmask_b32_e64 v37, v21, v18, s[4:5]
; %bb.209:                              ;   in Loop: Header=BB344_9 Depth=1
	s_or_b64 exec, exec, s[20:21]
	v_bfe_u32 v18, v20, 16, 8
	v_cvt_f32_fp8_sdwa v18, v18 src0_sel:BYTE_0
	s_nop 0
	v_mul_f32_e32 v18, v52, v18
	v_and_b32_e32 v21, 0x7f800000, v18
	v_cmp_ne_u32_e64 s[4:5], s17, v21
                                        ; implicit-def: $vgpr21
	s_and_saveexec_b64 s[20:21], s[4:5]
	s_xor_b64 s[4:5], exec, s[20:21]
; %bb.210:                              ;   in Loop: Header=BB344_9 Depth=1
	v_bfe_u32 v21, v18, 16, 1
	v_add3_u32 v21, v18, v21, s22
                                        ; implicit-def: $vgpr18
; %bb.211:                              ;   in Loop: Header=BB344_9 Depth=1
	s_andn2_saveexec_b64 s[20:21], s[4:5]
; %bb.212:                              ;   in Loop: Header=BB344_9 Depth=1
	v_or_b32_e32 v21, 0x10000, v18
	v_cmp_eq_u32_sdwa s[4:5], v18, v5 src0_sel:WORD_0 src1_sel:DWORD
	s_nop 1
	v_cndmask_b32_e64 v21, v21, v18, s[4:5]
; %bb.213:                              ;   in Loop: Header=BB344_9 Depth=1
	s_or_b64 exec, exec, s[20:21]
	v_lshrrev_b32_e32 v18, 24, v20
	v_cvt_f32_fp8_sdwa v18, v18 src0_sel:BYTE_0
	s_nop 0
	v_mul_f32_e32 v18, v52, v18
	v_and_b32_e32 v20, 0x7f800000, v18
	v_cmp_ne_u32_e64 s[4:5], s17, v20
                                        ; implicit-def: $vgpr20
	s_and_saveexec_b64 s[20:21], s[4:5]
	s_xor_b64 s[4:5], exec, s[20:21]
; %bb.214:                              ;   in Loop: Header=BB344_9 Depth=1
	v_bfe_u32 v20, v18, 16, 1
	v_add3_u32 v20, v18, v20, s22
                                        ; implicit-def: $vgpr18
; %bb.215:                              ;   in Loop: Header=BB344_9 Depth=1
	s_andn2_saveexec_b64 s[20:21], s[4:5]
; %bb.216:                              ;   in Loop: Header=BB344_9 Depth=1
	v_or_b32_e32 v20, 0x10000, v18
	v_cmp_eq_u32_sdwa s[4:5], v18, v5 src0_sel:WORD_0 src1_sel:DWORD
	s_nop 1
	v_cndmask_b32_e64 v20, v20, v18, s[4:5]
; %bb.217:                              ;   in Loop: Header=BB344_9 Depth=1
	s_or_b64 exec, exec, s[20:21]
	flat_load_dword v18, v[16:17] offset:3080
	s_waitcnt vmcnt(0) lgkmcnt(0)
	v_and_b32_e32 v16, 0xff, v18
	v_cvt_f32_fp8_sdwa v16, v16 src0_sel:BYTE_0
	s_nop 0
	v_mul_f32_e32 v17, v52, v16
	v_and_b32_e32 v16, 0x7f800000, v17
	v_cmp_ne_u32_e64 s[4:5], s17, v16
                                        ; implicit-def: $vgpr16
	s_and_saveexec_b64 s[20:21], s[4:5]
	s_xor_b64 s[4:5], exec, s[20:21]
; %bb.218:                              ;   in Loop: Header=BB344_9 Depth=1
	v_bfe_u32 v16, v17, 16, 1
	v_add3_u32 v16, v17, v16, s22
                                        ; implicit-def: $vgpr17
; %bb.219:                              ;   in Loop: Header=BB344_9 Depth=1
	s_andn2_saveexec_b64 s[20:21], s[4:5]
; %bb.220:                              ;   in Loop: Header=BB344_9 Depth=1
	v_or_b32_e32 v16, 0x10000, v17
	v_cmp_eq_u32_sdwa s[4:5], v17, v5 src0_sel:WORD_0 src1_sel:DWORD
	s_nop 1
	v_cndmask_b32_e64 v16, v16, v17, s[4:5]
; %bb.221:                              ;   in Loop: Header=BB344_9 Depth=1
	s_or_b64 exec, exec, s[20:21]
	v_bfe_u32 v17, v18, 8, 8
	v_cvt_f32_fp8_sdwa v17, v17 src0_sel:BYTE_0
	s_nop 0
	v_mul_f32_e32 v50, v52, v17
	v_and_b32_e32 v17, 0x7f800000, v50
	v_cmp_ne_u32_e64 s[4:5], s17, v17
                                        ; implicit-def: $vgpr17
	s_and_saveexec_b64 s[20:21], s[4:5]
	s_xor_b64 s[4:5], exec, s[20:21]
; %bb.222:                              ;   in Loop: Header=BB344_9 Depth=1
	v_bfe_u32 v17, v50, 16, 1
	v_add3_u32 v17, v50, v17, s22
                                        ; implicit-def: $vgpr50
; %bb.223:                              ;   in Loop: Header=BB344_9 Depth=1
	s_andn2_saveexec_b64 s[20:21], s[4:5]
; %bb.224:                              ;   in Loop: Header=BB344_9 Depth=1
	v_or_b32_e32 v17, 0x10000, v50
	v_cmp_eq_u32_sdwa s[4:5], v50, v5 src0_sel:WORD_0 src1_sel:DWORD
	s_nop 1
	v_cndmask_b32_e64 v17, v17, v50, s[4:5]
; %bb.225:                              ;   in Loop: Header=BB344_9 Depth=1
	s_or_b64 exec, exec, s[20:21]
	v_bfe_u32 v50, v18, 16, 8
	v_cvt_f32_fp8_sdwa v50, v50 src0_sel:BYTE_0
	s_nop 0
	v_mul_f32_e32 v51, v52, v50
	v_and_b32_e32 v50, 0x7f800000, v51
	v_cmp_ne_u32_e64 s[4:5], s17, v50
                                        ; implicit-def: $vgpr50
	s_and_saveexec_b64 s[20:21], s[4:5]
	s_xor_b64 s[4:5], exec, s[20:21]
; %bb.226:                              ;   in Loop: Header=BB344_9 Depth=1
	v_bfe_u32 v50, v51, 16, 1
	v_add3_u32 v50, v51, v50, s22
                                        ; implicit-def: $vgpr51
; %bb.227:                              ;   in Loop: Header=BB344_9 Depth=1
	s_andn2_saveexec_b64 s[20:21], s[4:5]
; %bb.228:                              ;   in Loop: Header=BB344_9 Depth=1
	v_or_b32_e32 v50, 0x10000, v51
	v_cmp_eq_u32_sdwa s[4:5], v51, v5 src0_sel:WORD_0 src1_sel:DWORD
	s_nop 1
	v_cndmask_b32_e64 v50, v50, v51, s[4:5]
; %bb.229:                              ;   in Loop: Header=BB344_9 Depth=1
	s_or_b64 exec, exec, s[20:21]
	v_lshrrev_b32_e32 v18, 24, v18
	v_cvt_f32_fp8_sdwa v18, v18 src0_sel:BYTE_0
	s_nop 0
	v_mul_f32_e32 v18, v52, v18
	v_and_b32_e32 v51, 0x7f800000, v18
	v_cmp_ne_u32_e64 s[4:5], s17, v51
                                        ; implicit-def: $vgpr52
	s_and_saveexec_b64 s[20:21], s[4:5]
	s_xor_b64 s[4:5], exec, s[20:21]
; %bb.230:                              ;   in Loop: Header=BB344_9 Depth=1
	v_bfe_u32 v51, v18, 16, 1
	v_add3_u32 v52, v18, v51, s22
                                        ; implicit-def: $vgpr18
; %bb.231:                              ;   in Loop: Header=BB344_9 Depth=1
	s_andn2_saveexec_b64 s[20:21], s[4:5]
; %bb.232:                              ;   in Loop: Header=BB344_9 Depth=1
	v_or_b32_e32 v51, 0x10000, v18
	v_cmp_eq_u32_sdwa s[4:5], v18, v5 src0_sel:WORD_0 src1_sel:DWORD
	s_nop 1
	v_cndmask_b32_e64 v52, v51, v18, s[4:5]
; %bb.233:                              ;   in Loop: Header=BB344_9 Depth=1
	s_or_b64 exec, exec, s[20:21]
	v_and_b32_e32 v18, 0xffff0000, v54
	v_accvgpr_read_b32 v54, a25
	v_mul_f32_e32 v54, v54, v18
	scratch_load_dword v18, off, s32 offset:196 ; 4-byte Folded Reload
	v_accvgpr_read_b32 v51, a21
	v_and_b32_e32 v51, 0xffff0000, v51
	v_and_b32_e32 v8, 0xffff0000, v8
	;; [unrolled: 1-line block ×4, first 2 shown]
	s_waitcnt vmcnt(0)
	v_fmac_f32_e32 v54, v18, v51
	v_and_b32_e32 v18, 0xffff0000, v55
	v_accvgpr_read_b32 v55, a26
	v_mul_f32_e32 v18, v55, v18
	scratch_load_dword v55, off, s32 offset:200 ; 4-byte Folded Reload
	v_accvgpr_read_b32 v51, a22
	v_and_b32_e32 v51, 0xffff0000, v51
	s_waitcnt vmcnt(0)
	v_fmac_f32_e32 v18, v55, v51
	v_and_b32_e32 v51, 0xffff0000, v40
	v_accvgpr_read_b32 v40, a27
	v_mul_f32_e32 v51, v40, v51
	scratch_load_dword v40, off, s32 offset:204 ; 4-byte Folded Reload
	v_accvgpr_read_b32 v55, a23
	v_and_b32_e32 v55, 0xffff0000, v55
	s_waitcnt vmcnt(0)
	v_fmac_f32_e32 v51, v40, v55
	v_and_b32_e32 v55, 0xffff0000, v41
	v_and_b32_e32 v40, 0xffff0000, v53
	v_accvgpr_read_b32 v53, a28
	v_mul_f32_e32 v53, v53, v55
	v_accvgpr_read_b32 v55, a24
	v_fmac_f32_e32 v53, v55, v40
	v_and_b32_e32 v55, 0xffff0000, v42
	v_accvgpr_read_b32 v40, a29
	v_fmac_f32_e32 v54, v40, v55
	v_and_b32_e32 v55, 0xffff0000, v43
	;; [unrolled: 3-line block ×14, first 2 shown]
	v_accvgpr_read_b32 v40, a43
	v_fmac_f32_e32 v18, v40, v55
	v_accvgpr_read_b32 v55, a44
	v_fmac_f32_e32 v51, v55, v8
	;; [unrolled: 2-line block ×3, first 2 shown]
	v_and_b32_e32 v2, 0xffff0000, v3
	v_accvgpr_read_b32 v3, a46
	v_fmac_f32_e32 v54, v3, v2
	v_and_b32_e32 v2, 0xffff0000, v24
	v_accvgpr_read_b32 v3, a47
	v_fmac_f32_e32 v18, v3, v2
	;; [unrolled: 3-line block ×21, first 2 shown]
	v_accvgpr_read_b32 v2, a16
	v_fmac_f32_e32 v18, v2, v0
	v_and_b32_e32 v0, 0xffff0000, v1
	v_accvgpr_read_b32 v1, a17
	v_fmac_f32_e32 v51, v1, v0
	v_and_b32_e32 v0, 0xffff0000, v12
	;; [unrolled: 3-line block ×10, first 2 shown]
	v_accvgpr_read_b32 v1, a8
	v_fmac_f32_e32 v53, v1, v0
	v_add_f32_e32 v0, v54, v18
	v_add_f32_e32 v0, v0, v51
	;; [unrolled: 1-line block ×3, first 2 shown]
	v_accvgpr_read_b32 v1, a9
	ds_bpermute_b32 v1, v1, v0
	s_and_saveexec_b64 s[20:21], vcc
	s_cbranch_execz .LBB344_8
; %bb.234:                              ;   in Loop: Header=BB344_9 Depth=1
	s_waitcnt lgkmcnt(0)
	v_add_f32_e32 v0, v0, v1
	scratch_load_dword v1, off, s32 offset:208 ; 4-byte Folded Reload
	v_sub_u32_e32 v2, 1, v29
	v_add_u32_e32 v2, v2, v39
	v_cvt_f32_i32_e32 v2, v2
	s_load_dword s4, s[8:9], 0x0
	v_accvgpr_read_b32 v3, a3
	s_waitcnt vmcnt(0)
	v_mul_f32_e32 v1, v1, v2
	v_cndmask_b32_e64 v1, 0, v1, s[2:3]
	s_waitcnt lgkmcnt(0)
	v_add_u32_e32 v2, s4, v48
	v_fmac_f32_e32 v1, v0, v3
	v_cmp_lt_i32_e64 s[4:5], v39, v29
	s_nop 1
	v_cndmask_b32_e64 v0, 0, v1, s[4:5]
	ds_write_b32 v2, v0
	v_max_f32_e32 v0, v23, v23
	v_max_f32_e32 v0, v0, v1
	v_cndmask_b32_e64 v23, v23, v0, s[4:5]
	s_branch .LBB344_8
.LBB344_235:
	s_or_b64 exec, exec, s[18:19]
	scratch_load_dword v15, off, s32 offset:212 ; 4-byte Folded Reload
	scratch_load_dwordx2 v[10:11], off, s32 offset:276 ; 8-byte Folded Reload
	scratch_load_dwordx2 v[34:35], off, s32 offset:268 ; 8-byte Folded Reload
	;; [unrolled: 1-line block ×5, first 2 shown]
	scratch_load_dword v28, off, s32 offset:240 ; 4-byte Folded Reload
	scratch_load_dwordx2 v[32:33], off, s32 offset:224 ; 8-byte Folded Reload
	scratch_load_dword v8, off, s32 offset:236 ; 4-byte Folded Reload
	scratch_load_dword v12, off, s32 offset:232 ; 4-byte Folded Reload
.LBB344_236:
	s_or_b64 exec, exec, s[6:7]
	s_waitcnt vmcnt(1)
	v_xor_b32_e32 v0, 32, v8
	s_waitcnt vmcnt(0)
	v_cmp_lt_i32_e32 vcc, v0, v12
	v_xor_b32_e32 v3, 16, v8
	v_max_f32_e32 v2, v23, v23
	v_cndmask_b32_e32 v0, v8, v0, vcc
	s_waitcnt lgkmcnt(0)
	v_lshlrev_b32_e32 v1, 2, v0
	ds_bpermute_b32 v0, v1, v23
	v_cmp_lt_i32_e32 vcc, v3, v12
	v_xor_b32_e32 v4, 8, v8
	v_xor_b32_e32 v5, 4, v8
	;; [unrolled: 1-line block ×3, first 2 shown]
	s_waitcnt lgkmcnt(0)
	v_max_f32_e32 v0, v0, v0
	v_max_f32_e32 v0, v2, v0
	v_cndmask_b32_e32 v2, v8, v3, vcc
	v_lshlrev_b32_e32 v2, 2, v2
	ds_bpermute_b32 v3, v2, v0
	v_cmp_lt_i32_e32 vcc, v4, v12
	v_and_b32_e32 v18, 63, v15
	s_lshr_b32 s15, s15, 16
	s_waitcnt lgkmcnt(0)
	v_max_f32_e32 v3, v3, v3
	v_max_f32_e32 v0, v0, v3
	v_cndmask_b32_e32 v3, v8, v4, vcc
	v_lshlrev_b32_e32 v3, 2, v3
	ds_bpermute_b32 v4, v3, v0
	v_cmp_lt_i32_e32 vcc, v5, v12
	s_waitcnt lgkmcnt(0)
	v_max_f32_e32 v4, v4, v4
	v_max_f32_e32 v0, v0, v4
	v_cndmask_b32_e32 v4, v8, v5, vcc
	v_lshlrev_b32_e32 v4, 2, v4
	ds_bpermute_b32 v5, v4, v0
	v_cmp_lt_i32_e32 vcc, v6, v12
	s_waitcnt lgkmcnt(0)
	v_max_f32_e32 v5, v5, v5
	v_max_f32_e32 v0, v0, v5
	v_cndmask_b32_e32 v5, v8, v6, vcc
	v_lshlrev_b32_e32 v19, 2, v5
	ds_bpermute_b32 v6, v19, v0
	v_accvgpr_read_b32 v5, a34
	v_cmp_eq_u32_e32 vcc, 0, v18
	v_lshlrev_b32_e32 v5, 2, v5
	s_and_saveexec_b64 s[2:3], vcc
	s_cbranch_execz .LBB344_238
; %bb.237:
	s_waitcnt lgkmcnt(0)
	v_max_f32_e32 v6, v6, v6
	v_max_f32_e32 v0, v0, v0
	v_max_f32_e32 v0, v0, v6
	ds_write_b32 v5, v0 offset:224
.LBB344_238:
	s_or_b64 exec, exec, s[2:3]
	v_cmp_gt_u32_e64 s[2:3], 2, v18
	v_mov_b32_e32 v0, 0xff7fffff
	s_waitcnt lgkmcnt(0)
	v_lshlrev_b32_e32 v6, 2, v18
	s_barrier
	s_and_saveexec_b64 s[4:5], s[2:3]
	s_cbranch_execz .LBB344_240
; %bb.239:
	ds_read_b32 v0, v6 offset:224
.LBB344_240:
	s_or_b64 exec, exec, s[4:5]
	v_xor_b32_e32 v7, 1, v8
	v_cmp_lt_i32_e64 s[4:5], v7, v12
	v_mov_b32_e32 v9, 0
	s_nop 0
	v_cndmask_b32_e64 v7, v8, v7, s[4:5]
	v_lshlrev_b32_e32 v21, 2, v7
	s_waitcnt lgkmcnt(0)
	ds_bpermute_b32 v7, v21, v0
	v_max_f32_e32 v0, v0, v0
	v_lshlrev_b32_e32 v8, 2, v8
	s_waitcnt lgkmcnt(0)
	v_max_f32_e32 v7, v7, v7
	v_max_f32_e32 v0, v0, v7
	v_and_b32_e32 v7, 0xffffff00, v8
	ds_bpermute_b32 v8, v7, v0
	scratch_load_dword v0, off, s32 offset:192 ; 4-byte Folded Reload
	s_waitcnt vmcnt(0)
	v_lshlrev_b32_e32 v0, 5, v0
	v_min_i32_e32 v0, v0, v29
	v_cmp_lt_i32_e64 s[4:5], v15, v0
	s_and_saveexec_b64 s[8:9], s[4:5]
	s_cbranch_execz .LBB344_244
; %bb.241:
	s_ashr_i32 s17, s16, 31
	s_lshl_b64 s[6:7], s[16:17], 2
	s_getpc_b64 s[18:19]
	s_add_u32 s18, s18, llvm.amdgcn.dynlds.offset.table@rel32@lo+4
	s_addc_u32 s19, s19, llvm.amdgcn.dynlds.offset.table@rel32@hi+12
	s_add_u32 s6, s6, s18
	s_addc_u32 s7, s7, s19
	s_load_dword s6, s[6:7], 0x0
	s_mov_b64 s[18:19], 0
	v_mov_b32_e32 v9, 0
	v_mov_b32_e32 v14, v15
	s_waitcnt lgkmcnt(0)
	v_lshl_add_u32 v13, v15, 2, s6
.LBB344_242:                            ; =>This Inner Loop Header: Depth=1
	ds_read_b32 v12, v13
	v_add_u32_e32 v14, 0x80, v14
	v_cmp_ge_i32_e64 s[6:7], v14, v0
	s_or_b64 s[18:19], s[6:7], s[18:19]
	s_waitcnt lgkmcnt(0)
	v_sub_f32_e32 v12, v12, v8
	v_mul_f32_e32 v12, 0x3fb8aa3b, v12
	v_exp_f32_e32 v12, v12
	ds_write_b32 v13, v12
	v_add_f32_e32 v9, v9, v12
	v_add_u32_e32 v13, 0x200, v13
	s_andn2_b64 exec, exec, s[18:19]
	s_cbranch_execnz .LBB344_242
; %bb.243:
	s_or_b64 exec, exec, s[18:19]
.LBB344_244:
	s_or_b64 exec, exec, s[8:9]
	ds_bpermute_b32 v1, v1, v9
	s_waitcnt lgkmcnt(0)
	v_add_f32_e32 v1, v9, v1
	ds_bpermute_b32 v2, v2, v1
	s_waitcnt lgkmcnt(0)
	v_add_f32_e32 v1, v1, v2
	;; [unrolled: 3-line block ×6, first 2 shown]
	s_and_saveexec_b64 s[6:7], vcc
	s_cbranch_execz .LBB344_246
; %bb.245:
	ds_write_b32 v5, v1 offset:232
.LBB344_246:
	s_or_b64 exec, exec, s[6:7]
	s_waitcnt lgkmcnt(0)
	s_barrier
	s_and_saveexec_b64 s[6:7], s[2:3]
	s_cbranch_execz .LBB344_248
; %bb.247:
	ds_read_b32 v1, v6 offset:232
.LBB344_248:
	s_or_b64 exec, exec, s[6:7]
	s_waitcnt lgkmcnt(0)
	ds_bpermute_b32 v2, v21, v1
	s_waitcnt lgkmcnt(0)
	v_add_f32_e32 v1, v1, v2
	ds_bpermute_b32 v1, v7, v1
	s_and_saveexec_b64 s[2:3], s[4:5]
	s_cbranch_execz .LBB344_261
; %bb.249:
	s_waitcnt lgkmcnt(0)
	v_add_f32_e32 v1, 0x358637bd, v1
	v_div_scale_f32 v2, s[4:5], v1, v1, 1.0
	v_rcp_f32_e32 v3, v2
	v_div_scale_f32 v4, vcc, 1.0, v1, 1.0
	s_movk_i32 s4, 0x7f
	v_fma_f32 v5, -v2, v3, 1.0
	v_fmac_f32_e32 v3, v5, v3
	v_mul_f32_e32 v5, v4, v3
	v_fma_f32 v6, -v2, v5, v4
	v_fmac_f32_e32 v5, v6, v3
	v_fma_f32 v2, -v2, v5, v4
	v_div_fmas_f32 v2, v2, v3, v5
	v_div_fixup_f32 v4, v2, v1, 1.0
	v_xad_u32 v2, v15, -1, v0
	v_cmp_lt_u32_e32 vcc, s4, v2
	s_mov_b64 s[6:7], -1
	v_mov_b32_e32 v1, v15
	s_and_saveexec_b64 s[4:5], vcc
	s_cbranch_execz .LBB344_258
; %bb.250:
	v_lshrrev_b32_e32 v1, 7, v2
	v_add_u32_e32 v3, -1, v1
	v_lshrrev_b32_e32 v2, 1, v3
	v_mov_b32_e32 v5, v4
	v_add_u32_e32 v2, 1, v2
	v_cmp_lt_u32_e32 vcc, 13, v3
	v_mov_b32_e32 v7, 0
	s_and_saveexec_b64 s[6:7], vcc
	s_cbranch_execz .LBB344_254
; %bb.251:
	s_ashr_i32 s17, s16, 31
	s_lshl_b64 s[8:9], s[16:17], 2
	s_getpc_b64 s[18:19]
	s_add_u32 s18, s18, llvm.amdgcn.dynlds.offset.table@rel32@lo+4
	s_addc_u32 s19, s19, llvm.amdgcn.dynlds.offset.table@rel32@hi+12
	s_add_u32 s8, s8, s18
	s_addc_u32 s9, s9, s19
	s_load_dword s8, s[8:9], 0x0
	v_and_b32_e32 v3, -8, v2
	s_mov_b32 s17, 0
	s_waitcnt lgkmcnt(0)
	v_lshl_add_u32 v6, v15, 2, s8
	s_mov_b64 s[8:9], 0
.LBB344_252:                            ; =>This Inner Loop Header: Depth=1
	ds_read2st64_b32 v[8:9], v6 offset1:2
	ds_read2st64_b32 v[16:17], v6 offset0:4 offset1:6
	ds_read2st64_b32 v[12:13], v6 offset0:8 offset1:10
	;; [unrolled: 1-line block ×3, first 2 shown]
	v_add_u32_e32 v3, -8, v3
	s_waitcnt lgkmcnt(3)
	v_pk_mul_f32 v[8:9], v[4:5], v[8:9]
	s_waitcnt lgkmcnt(2)
	v_pk_mul_f32 v[16:17], v[4:5], v[16:17]
	ds_write2st64_b32 v6, v8, v9 offset1:2
	ds_write2st64_b32 v6, v16, v17 offset0:4 offset1:6
	s_waitcnt lgkmcnt(3)
	v_pk_mul_f32 v[8:9], v[4:5], v[12:13]
	ds_read2st64_b32 v[12:13], v6 offset0:16 offset1:18
	ds_write2st64_b32 v6, v8, v9 offset0:8 offset1:10
	s_waitcnt lgkmcnt(4)
	v_pk_mul_f32 v[8:9], v[4:5], v[14:15]
	ds_write2st64_b32 v6, v8, v9 offset0:12 offset1:14
	ds_read2st64_b32 v[8:9], v6 offset0:20 offset1:22
	s_waitcnt lgkmcnt(3)
	v_pk_mul_f32 v[14:15], v[4:5], v[12:13]
	ds_read2st64_b32 v[12:13], v6 offset0:24 offset1:26
	ds_write2st64_b32 v6, v14, v15 offset0:16 offset1:18
	ds_read2st64_b32 v[14:15], v6 offset0:28 offset1:30
	s_waitcnt lgkmcnt(3)
	v_pk_mul_f32 v[8:9], v[4:5], v[8:9]
	ds_write2st64_b32 v6, v8, v9 offset0:20 offset1:22
	s_waitcnt lgkmcnt(3)
	v_pk_mul_f32 v[8:9], v[4:5], v[12:13]
	ds_write2st64_b32 v6, v8, v9 offset0:24 offset1:26
	s_waitcnt lgkmcnt(2)
	v_pk_mul_f32 v[8:9], v[4:5], v[14:15]
	s_add_i32 s17, s17, 16
	v_cmp_eq_u32_e32 vcc, 0, v3
	ds_write2st64_b32 v6, v8, v9 offset0:28 offset1:30
	v_add_u32_e32 v6, 0x2000, v6
	s_or_b64 s[8:9], vcc, s[8:9]
	v_mov_b32_e32 v7, s17
	s_andn2_b64 exec, exec, s[8:9]
	s_cbranch_execnz .LBB344_252
; %bb.253:
	s_or_b64 exec, exec, s[8:9]
	scratch_load_dword v15, off, s32 offset:212 ; 4-byte Folded Reload
.LBB344_254:
	s_or_b64 exec, exec, s[6:7]
	v_and_b32_e32 v2, 7, v2
	v_cmp_ne_u32_e32 vcc, 0, v2
	s_and_saveexec_b64 s[6:7], vcc
	s_cbranch_execz .LBB344_257
; %bb.255:
	s_ashr_i32 s17, s16, 31
	s_lshl_b64 s[8:9], s[16:17], 2
	s_getpc_b64 s[18:19]
	s_add_u32 s18, s18, llvm.amdgcn.dynlds.offset.table@rel32@lo+4
	s_addc_u32 s19, s19, llvm.amdgcn.dynlds.offset.table@rel32@hi+12
	s_add_u32 s8, s8, s18
	s_addc_u32 s9, s9, s19
	s_load_dword s8, s[8:9], 0x0
	v_lshlrev_b32_e32 v3, 9, v7
	s_waitcnt vmcnt(0)
	v_lshlrev_b32_e32 v6, 2, v15
	s_waitcnt lgkmcnt(0)
	v_add3_u32 v3, v3, v6, s8
	s_mov_b64 s[8:9], 0
.LBB344_256:                            ; =>This Inner Loop Header: Depth=1
	ds_read2st64_b32 v[6:7], v3 offset1:2
	v_add_u32_e32 v2, -1, v2
	v_cmp_eq_u32_e32 vcc, 0, v2
	s_or_b64 s[8:9], vcc, s[8:9]
	s_waitcnt lgkmcnt(0)
	v_pk_mul_f32 v[6:7], v[4:5], v[6:7]
	ds_write2st64_b32 v3, v6, v7 offset1:2
	v_add_u32_e32 v3, 0x400, v3
	s_andn2_b64 exec, exec, s[8:9]
	s_cbranch_execnz .LBB344_256
.LBB344_257:
	s_or_b64 exec, exec, s[6:7]
	v_add_u32_e32 v2, 1, v1
	v_and_b32_e32 v3, 0x3fffffe, v2
	v_cmp_ne_u32_e32 vcc, v2, v3
	s_waitcnt vmcnt(0)
	v_lshl_add_u32 v1, v3, 7, v15
	s_orn2_b64 s[6:7], vcc, exec
.LBB344_258:
	s_or_b64 exec, exec, s[4:5]
	s_and_b64 exec, exec, s[6:7]
	s_cbranch_execz .LBB344_261
; %bb.259:
	s_ashr_i32 s17, s16, 31
	s_lshl_b64 s[4:5], s[16:17], 2
	s_getpc_b64 s[6:7]
	s_add_u32 s6, s6, llvm.amdgcn.dynlds.offset.table@rel32@lo+4
	s_addc_u32 s7, s7, llvm.amdgcn.dynlds.offset.table@rel32@hi+12
	s_add_u32 s4, s4, s6
	s_addc_u32 s5, s5, s7
	s_load_dword s4, s[4:5], 0x0
	s_waitcnt lgkmcnt(0)
	v_lshl_add_u32 v2, v1, 2, s4
	s_mov_b64 s[4:5], 0
.LBB344_260:                            ; =>This Inner Loop Header: Depth=1
	ds_read_b32 v3, v2
	v_add_u32_e32 v1, 0x80, v1
	v_cmp_ge_i32_e32 vcc, v1, v0
	s_or_b64 s[4:5], vcc, s[4:5]
	s_waitcnt lgkmcnt(0)
	v_mul_f32_e32 v3, v4, v3
	ds_write_b32 v2, v3
	v_add_u32_e32 v2, 0x200, v2
	s_andn2_b64 exec, exec, s[4:5]
	s_cbranch_execnz .LBB344_260
.LBB344_261:
	s_or_b64 exec, exec, s[2:3]
	v_mov_b32_e32 v20, 0
	v_and_b32_e32 v25, 3, v15
	v_mov_b32_e32 v13, 0
	v_mov_b32_e32 v12, 0
	;; [unrolled: 1-line block ×6, first 2 shown]
	s_waitcnt lgkmcnt(0)
	s_barrier
	s_and_saveexec_b64 s[2:3], s[0:1]
	s_cbranch_execz .LBB344_759
; %bb.262:
	scratch_load_dword v3, off, s32 offset:192 ; 4-byte Folded Reload
	s_ashr_i32 s17, s16, 31
	flat_load_dword v34, v[34:35]
	s_lshl_b64 s[0:1], s[16:17], 2
	v_accvgpr_write_b32 a7, v21
	v_lshl_add_u64 v[0:1], v[26:27], 0, v[32:33]
	v_and_b32_e32 v20, 0x1f8, v24
	v_mov_b32_e32 v21, 0
	s_getpc_b64 s[4:5]
	s_add_u32 s4, s4, llvm.amdgcn.dynlds.offset.table@rel32@lo+4
	s_addc_u32 s5, s5, llvm.amdgcn.dynlds.offset.table@rel32@hi+12
	s_add_u32 s0, s0, s4
	v_lshl_add_u64 v[0:1], v[0:1], 0, v[20:21]
	s_addc_u32 s1, s1, s5
	v_accvgpr_write_b32 a11, v1
	v_and_b32_e32 v20, 60, v28
	s_load_dword s0, s[0:1], 0x0
	v_accvgpr_write_b32 a10, v0
	v_lshl_add_u64 v[0:1], v[30:31], 2, v[20:21]
	v_lshl_add_u64 v[10:11], v[10:11], 0, v[0:1]
	v_accvgpr_read_b32 v1, a34
	v_and_b32_e32 v2, 24, v24
	v_lshlrev_b32_e32 v0, 5, v1
	v_or3_b32 v24, v0, v2, 7
	v_lshlrev_b32_e32 v0, 5, v25
	v_lshl_or_b32 v0, v1, 7, v0
	v_accvgpr_write_b32 a6, v19
	v_accvgpr_write_b32 a5, v18
	;; [unrolled: 1-line block ×3, first 2 shown]
	s_waitcnt lgkmcnt(0)
	v_add_u32_e32 v27, s0, v0
	s_mov_b64 s[4:5], 0
	s_mov_b32 s8, 0x7f800000
	s_movk_i32 s9, 0x7fff
	v_mov_b32_e32 v16, 0
	v_mov_b32_e32 v17, 0
	;; [unrolled: 1-line block ×7, first 2 shown]
	s_waitcnt vmcnt(0)
	v_add_u32_e32 v3, -1, v3
	v_accvgpr_write_b32 a9, v3
	s_branch .LBB344_264
.LBB344_263:                            ;   in Loop: Header=BB344_264 Depth=1
	s_or_b64 exec, exec, s[0:1]
	v_accvgpr_read_b32 v43, a15
	v_and_b32_e32 v45, 0xffff0000, v43
	v_accvgpr_read_b32 v43, a13
	v_and_b32_e32 v44, 0xffff0000, v43
	;; [unrolled: 2-line block ×4, first 2 shown]
	v_accvgpr_read_b32 v43, a19
	v_pk_add_f32 v[44:45], v[56:57], v[44:45]
	v_and_b32_e32 v57, 0xffff0000, v43
	v_accvgpr_read_b32 v43, a17
	v_and_b32_e32 v56, 0xffff0000, v43
	v_accvgpr_read_b32 v43, a18
	;; [unrolled: 2-line block ×3, first 2 shown]
	v_and_b32_e32 v58, 0xffff0000, v43
	v_pk_add_f32 v[56:57], v[58:59], v[56:57]
	v_add_f32_e32 v43, v44, v45
	v_add_f32_e32 v43, v43, v56
	v_accvgpr_read_b32 v44, a30
	v_accvgpr_read_b32 v56, a29
	v_add_f32_e32 v43, v43, v57
	v_and_b32_e32 v45, 0xffff0000, v44
	v_accvgpr_read_b32 v44, a28
	v_and_b32_e32 v57, 0xffff0000, v56
	v_accvgpr_read_b32 v56, a27
	v_and_b32_e32 v44, 0xffff0000, v44
	v_and_b32_e32 v56, 0xffff0000, v56
	v_add_f32_e32 v16, v16, v43
	v_accvgpr_read_b32 v43, a32
	v_pk_add_f32 v[44:45], v[56:57], v[44:45]
	v_and_b32_e32 v56, 0xffff0000, v43
	v_accvgpr_read_b32 v43, a33
	v_and_b32_e32 v59, 0xffff0000, v43
	v_accvgpr_read_b32 v43, a31
	v_and_b32_e32 v57, 0xffff0000, v23
	v_and_b32_e32 v58, 0xffff0000, v43
	v_pk_add_f32 v[56:57], v[58:59], v[56:57]
	v_add_f32_e32 v43, v44, v45
	v_add_f32_e32 v43, v43, v56
	v_and_b32_e32 v56, 0xffff0000, v1
	v_and_b32_e32 v1, 0xffff0000, v19
	v_accvgpr_read_b32 v19, a35
	v_and_b32_e32 v44, 0xffff0000, v0
	v_and_b32_e32 v0, 0xffff0000, v63
	;; [unrolled: 1-line block ×4, first 2 shown]
	v_add_f32_e32 v43, v43, v57
	v_and_b32_e32 v45, 0xffff0000, v31
	v_and_b32_e32 v57, 0xffff0000, v28
	v_pk_add_f32 v[0:1], v[58:59], v[0:1]
	v_pk_add_f32 v[44:45], v[56:57], v[44:45]
	v_add_f32_e32 v0, v0, v1
	v_add_f32_e32 v0, v0, v44
	;; [unrolled: 1-line block ×3, first 2 shown]
	v_and_b32_e32 v1, 0xffff0000, v7
	v_and_b32_e32 v7, 0xffff0000, v18
	;; [unrolled: 1-line block ×6, first 2 shown]
	v_add_f32_e32 v14, v14, v0
	v_and_b32_e32 v0, 0xffff0000, v6
	v_and_b32_e32 v6, 0xffff0000, v26
	v_pk_add_f32 v[18:19], v[30:31], v[18:19]
	v_pk_add_f32 v[0:1], v[6:7], v[0:1]
	v_add_f32_e32 v6, v18, v19
	v_add_f32_e32 v0, v6, v0
	v_add_f32_e32 v0, v0, v1
	v_and_b32_e32 v19, 0xffff0000, v36
	v_and_b32_e32 v18, 0xffff0000, v9
	v_and_b32_e32 v9, 0xffff0000, v35
	v_and_b32_e32 v8, 0xffff0000, v8
	v_add_f32_e32 v15, v15, v0
	v_and_b32_e32 v1, 0xffff0000, v47
	v_and_b32_e32 v0, 0xffff0000, v38
	v_and_b32_e32 v7, 0xffff0000, v46
	v_and_b32_e32 v6, 0xffff0000, v37
	v_pk_add_f32 v[8:9], v[8:9], v[18:19]
	v_pk_add_f32 v[0:1], v[6:7], v[0:1]
	v_add_f32_e32 v6, v8, v9
	v_add_f32_e32 v0, v6, v0
	v_add_f32_e32 v0, v0, v1
	v_and_b32_e32 v9, 0xffff0000, v48
	v_and_b32_e32 v8, 0xffff0000, v5
	v_and_b32_e32 v5, 0xffff0000, v39
	v_and_b32_e32 v4, 0xffff0000, v4
	v_add_f32_e32 v12, v12, v0
	v_and_b32_e32 v1, 0xffff0000, v52
	v_and_b32_e32 v0, 0xffff0000, v50
	;; [unrolled: 14-line block ×3, first 2 shown]
	v_and_b32_e32 v5, 0xffff0000, v41
	v_and_b32_e32 v4, 0xffff0000, v55
	v_pk_add_f32 v[2:3], v[2:3], v[6:7]
	v_pk_add_f32 v[0:1], v[4:5], v[0:1]
	v_add_f32_e32 v2, v2, v3
	v_add_f32_e32 v0, v2, v0
	;; [unrolled: 1-line block ×4, first 2 shown]
	scratch_load_dword v0, off, s32 offset:192 ; 4-byte Folded Reload
	v_accvgpr_read_b32 v1, a34
	v_add_u32_e32 v1, 2, v1
	v_add_f32_e32 v17, v17, v43
	v_lshl_add_u64 v[10:11], v[10:11], 0, 8
	v_add_u32_e32 v24, 64, v24
	v_accvgpr_write_b32 a34, v1
	v_add_u32_e32 v27, 0x100, v27
	s_waitcnt vmcnt(0)
	v_cmp_ge_i32_e32 vcc, v1, v0
	s_or_b64 s[4:5], vcc, s[4:5]
	s_andn2_b64 exec, exec, s[4:5]
	s_cbranch_execz .LBB344_758
.LBB344_264:                            ; =>This Inner Loop Header: Depth=1
	flat_load_dword v26, v[10:11]
	ds_read2_b64 v[6:9], v27 offset1:1
	ds_read2_b64 v[2:5], v27 offset0:2 offset1:3
                                        ; implicit-def: $vgpr25
	s_waitcnt lgkmcnt(0)
	v_and_b32_e32 v0, 0x7f800000, v6
	v_cmp_ne_u32_e32 vcc, s8, v0
	s_and_saveexec_b64 s[0:1], vcc
	s_xor_b64 s[0:1], exec, s[0:1]
; %bb.265:                              ;   in Loop: Header=BB344_264 Depth=1
	v_bfe_u32 v0, v6, 16, 1
	v_add3_u32 v25, v6, v0, s9
; %bb.266:                              ;   in Loop: Header=BB344_264 Depth=1
	s_andn2_saveexec_b64 s[0:1], s[0:1]
; %bb.267:                              ;   in Loop: Header=BB344_264 Depth=1
	v_or_b32_e32 v0, 0x10000, v6
	v_cmp_eq_u32_sdwa vcc, v6, v21 src0_sel:WORD_0 src1_sel:DWORD
	s_nop 1
	v_cndmask_b32_e32 v25, v0, v6, vcc
; %bb.268:                              ;   in Loop: Header=BB344_264 Depth=1
	s_or_b64 exec, exec, s[0:1]
	v_and_b32_e32 v0, 0x7f800000, v7
	v_cmp_ne_u32_e32 vcc, s8, v0
                                        ; implicit-def: $vgpr22
	s_and_saveexec_b64 s[0:1], vcc
	s_xor_b64 s[0:1], exec, s[0:1]
; %bb.269:                              ;   in Loop: Header=BB344_264 Depth=1
	v_bfe_u32 v0, v7, 16, 1
	v_add3_u32 v22, v7, v0, s9
; %bb.270:                              ;   in Loop: Header=BB344_264 Depth=1
	s_andn2_saveexec_b64 s[0:1], s[0:1]
; %bb.271:                              ;   in Loop: Header=BB344_264 Depth=1
	v_or_b32_e32 v0, 0x10000, v7
	v_cmp_eq_u32_sdwa vcc, v7, v21 src0_sel:WORD_0 src1_sel:DWORD
	s_nop 1
	v_cndmask_b32_e32 v22, v0, v7, vcc
; %bb.272:                              ;   in Loop: Header=BB344_264 Depth=1
	s_or_b64 exec, exec, s[0:1]
	v_and_b32_e32 v0, 0x7f800000, v8
	v_cmp_ne_u32_e32 vcc, s8, v0
                                        ; implicit-def: $vgpr19
	s_and_saveexec_b64 s[0:1], vcc
	s_xor_b64 s[0:1], exec, s[0:1]
; %bb.273:                              ;   in Loop: Header=BB344_264 Depth=1
	v_bfe_u32 v0, v8, 16, 1
	v_add3_u32 v19, v8, v0, s9
; %bb.274:                              ;   in Loop: Header=BB344_264 Depth=1
	s_andn2_saveexec_b64 s[0:1], s[0:1]
; %bb.275:                              ;   in Loop: Header=BB344_264 Depth=1
	v_or_b32_e32 v0, 0x10000, v8
	v_cmp_eq_u32_sdwa vcc, v8, v21 src0_sel:WORD_0 src1_sel:DWORD
	s_nop 1
	v_cndmask_b32_e32 v19, v0, v8, vcc
; %bb.276:                              ;   in Loop: Header=BB344_264 Depth=1
	s_or_b64 exec, exec, s[0:1]
	v_and_b32_e32 v0, 0x7f800000, v9
	v_cmp_ne_u32_e32 vcc, s8, v0
                                        ; implicit-def: $vgpr18
	s_and_saveexec_b64 s[0:1], vcc
	s_xor_b64 s[0:1], exec, s[0:1]
; %bb.277:                              ;   in Loop: Header=BB344_264 Depth=1
	v_bfe_u32 v0, v9, 16, 1
	v_add3_u32 v18, v9, v0, s9
                                        ; implicit-def: $vgpr6_vgpr7_vgpr8_vgpr9
; %bb.278:                              ;   in Loop: Header=BB344_264 Depth=1
	s_andn2_saveexec_b64 s[0:1], s[0:1]
; %bb.279:                              ;   in Loop: Header=BB344_264 Depth=1
	v_or_b32_e32 v0, 0x10000, v9
	v_cmp_eq_u32_sdwa vcc, v9, v21 src0_sel:WORD_0 src1_sel:DWORD
	s_nop 1
	v_cndmask_b32_e32 v18, v0, v9, vcc
; %bb.280:                              ;   in Loop: Header=BB344_264 Depth=1
	s_or_b64 exec, exec, s[0:1]
	v_and_b32_e32 v0, 0x7f800000, v2
	v_cmp_ne_u32_e32 vcc, s8, v0
                                        ; implicit-def: $vgpr7
	s_and_saveexec_b64 s[0:1], vcc
	s_xor_b64 s[0:1], exec, s[0:1]
; %bb.281:                              ;   in Loop: Header=BB344_264 Depth=1
	v_bfe_u32 v0, v2, 16, 1
	v_add3_u32 v7, v2, v0, s9
; %bb.282:                              ;   in Loop: Header=BB344_264 Depth=1
	s_andn2_saveexec_b64 s[0:1], s[0:1]
; %bb.283:                              ;   in Loop: Header=BB344_264 Depth=1
	v_or_b32_e32 v0, 0x10000, v2
	v_cmp_eq_u32_sdwa vcc, v2, v21 src0_sel:WORD_0 src1_sel:DWORD
	s_nop 1
	v_cndmask_b32_e32 v7, v0, v2, vcc
; %bb.284:                              ;   in Loop: Header=BB344_264 Depth=1
	s_or_b64 exec, exec, s[0:1]
	v_and_b32_e32 v0, 0x7f800000, v3
	v_cmp_ne_u32_e32 vcc, s8, v0
                                        ; implicit-def: $vgpr6
	s_and_saveexec_b64 s[0:1], vcc
	s_xor_b64 s[0:1], exec, s[0:1]
; %bb.285:                              ;   in Loop: Header=BB344_264 Depth=1
	v_bfe_u32 v0, v3, 16, 1
	v_add3_u32 v6, v3, v0, s9
; %bb.286:                              ;   in Loop: Header=BB344_264 Depth=1
	s_andn2_saveexec_b64 s[0:1], s[0:1]
; %bb.287:                              ;   in Loop: Header=BB344_264 Depth=1
	v_or_b32_e32 v0, 0x10000, v3
	v_cmp_eq_u32_sdwa vcc, v3, v21 src0_sel:WORD_0 src1_sel:DWORD
	s_nop 1
	v_cndmask_b32_e32 v6, v0, v3, vcc
; %bb.288:                              ;   in Loop: Header=BB344_264 Depth=1
	s_or_b64 exec, exec, s[0:1]
	v_and_b32_e32 v0, 0x7f800000, v4
	v_cmp_ne_u32_e32 vcc, s8, v0
                                        ; implicit-def: $vgpr1
	s_and_saveexec_b64 s[0:1], vcc
	s_xor_b64 s[0:1], exec, s[0:1]
; %bb.289:                              ;   in Loop: Header=BB344_264 Depth=1
	v_bfe_u32 v0, v4, 16, 1
	v_add3_u32 v1, v4, v0, s9
; %bb.290:                              ;   in Loop: Header=BB344_264 Depth=1
	s_andn2_saveexec_b64 s[0:1], s[0:1]
; %bb.291:                              ;   in Loop: Header=BB344_264 Depth=1
	v_or_b32_e32 v0, 0x10000, v4
	v_cmp_eq_u32_sdwa vcc, v4, v21 src0_sel:WORD_0 src1_sel:DWORD
	s_nop 1
	v_cndmask_b32_e32 v1, v0, v4, vcc
; %bb.292:                              ;   in Loop: Header=BB344_264 Depth=1
	s_or_b64 exec, exec, s[0:1]
	v_and_b32_e32 v0, 0x7f800000, v5
	v_cmp_ne_u32_e32 vcc, s8, v0
                                        ; implicit-def: $vgpr0
	s_and_saveexec_b64 s[0:1], vcc
	s_xor_b64 s[0:1], exec, s[0:1]
; %bb.293:                              ;   in Loop: Header=BB344_264 Depth=1
	v_bfe_u32 v0, v5, 16, 1
	v_add3_u32 v0, v5, v0, s9
                                        ; implicit-def: $vgpr2_vgpr3_vgpr4_vgpr5
; %bb.294:                              ;   in Loop: Header=BB344_264 Depth=1
	s_andn2_saveexec_b64 s[0:1], s[0:1]
; %bb.295:                              ;   in Loop: Header=BB344_264 Depth=1
	v_or_b32_e32 v0, 0x10000, v5
	v_cmp_eq_u32_sdwa vcc, v5, v21 src0_sel:WORD_0 src1_sel:DWORD
	s_nop 1
	v_cndmask_b32_e32 v0, v0, v5, vcc
; %bb.296:                              ;   in Loop: Header=BB344_264 Depth=1
	s_or_b64 exec, exec, s[0:1]
	v_accvgpr_read_b32 v4, a10
	v_accvgpr_read_b32 v2, a4
	;; [unrolled: 1-line block ×3, first 2 shown]
	s_waitcnt vmcnt(0)
	v_mad_i64_i32 v[2:3], s[0:1], v26, v2, v[4:5]
	flat_load_dwordx2 v[4:5], v[2:3]
	s_waitcnt vmcnt(0) lgkmcnt(0)
	v_and_b32_e32 v8, 0xff, v4
	v_cvt_f32_fp8_sdwa v8, v8 src0_sel:BYTE_0
	s_nop 0
	v_mul_f32_e32 v9, v34, v8
	v_and_b32_e32 v8, 0x7f800000, v9
	v_cmp_ne_u32_e32 vcc, s8, v8
                                        ; implicit-def: $vgpr8
	s_and_saveexec_b64 s[0:1], vcc
	s_xor_b64 s[0:1], exec, s[0:1]
; %bb.297:                              ;   in Loop: Header=BB344_264 Depth=1
	v_bfe_u32 v8, v9, 16, 1
	v_add3_u32 v8, v9, v8, s9
                                        ; implicit-def: $vgpr9
; %bb.298:                              ;   in Loop: Header=BB344_264 Depth=1
	s_andn2_saveexec_b64 s[0:1], s[0:1]
; %bb.299:                              ;   in Loop: Header=BB344_264 Depth=1
	v_or_b32_e32 v8, 0x10000, v9
	v_cmp_eq_u32_sdwa vcc, v9, v21 src0_sel:WORD_0 src1_sel:DWORD
	s_nop 1
	v_cndmask_b32_e32 v8, v8, v9, vcc
; %bb.300:                              ;   in Loop: Header=BB344_264 Depth=1
	s_or_b64 exec, exec, s[0:1]
	v_bfe_u32 v9, v4, 8, 8
	v_cvt_f32_fp8_sdwa v9, v9 src0_sel:BYTE_0
	s_nop 0
	v_mul_f32_e32 v26, v34, v9
	v_and_b32_e32 v9, 0x7f800000, v26
	v_cmp_ne_u32_e32 vcc, s8, v9
                                        ; implicit-def: $vgpr9
	s_and_saveexec_b64 s[0:1], vcc
	s_xor_b64 s[0:1], exec, s[0:1]
; %bb.301:                              ;   in Loop: Header=BB344_264 Depth=1
	v_bfe_u32 v9, v26, 16, 1
	v_add3_u32 v9, v26, v9, s9
                                        ; implicit-def: $vgpr26
; %bb.302:                              ;   in Loop: Header=BB344_264 Depth=1
	s_andn2_saveexec_b64 s[0:1], s[0:1]
; %bb.303:                              ;   in Loop: Header=BB344_264 Depth=1
	v_or_b32_e32 v9, 0x10000, v26
	v_cmp_eq_u32_sdwa vcc, v26, v21 src0_sel:WORD_0 src1_sel:DWORD
	s_nop 1
	v_cndmask_b32_e32 v9, v9, v26, vcc
; %bb.304:                              ;   in Loop: Header=BB344_264 Depth=1
	s_or_b64 exec, exec, s[0:1]
	v_bfe_u32 v26, v4, 16, 8
	v_cvt_f32_fp8_sdwa v26, v26 src0_sel:BYTE_0
	s_nop 0
	v_mul_f32_e32 v26, v34, v26
	v_and_b32_e32 v28, 0x7f800000, v26
	v_cmp_ne_u32_e32 vcc, s8, v28
                                        ; implicit-def: $vgpr28
	s_and_saveexec_b64 s[0:1], vcc
	s_xor_b64 s[0:1], exec, s[0:1]
; %bb.305:                              ;   in Loop: Header=BB344_264 Depth=1
	v_bfe_u32 v28, v26, 16, 1
	v_add3_u32 v28, v26, v28, s9
                                        ; implicit-def: $vgpr26
; %bb.306:                              ;   in Loop: Header=BB344_264 Depth=1
	s_andn2_saveexec_b64 s[0:1], s[0:1]
; %bb.307:                              ;   in Loop: Header=BB344_264 Depth=1
	v_or_b32_e32 v28, 0x10000, v26
	v_cmp_eq_u32_sdwa vcc, v26, v21 src0_sel:WORD_0 src1_sel:DWORD
	s_nop 1
	v_cndmask_b32_e32 v28, v28, v26, vcc
; %bb.308:                              ;   in Loop: Header=BB344_264 Depth=1
	s_or_b64 exec, exec, s[0:1]
	v_lshrrev_b32_e32 v4, 24, v4
	v_cvt_f32_fp8_sdwa v4, v4 src0_sel:BYTE_0
	s_nop 0
	v_mul_f32_e32 v26, v34, v4
	v_and_b32_e32 v4, 0x7f800000, v26
	v_cmp_ne_u32_e32 vcc, s8, v4
                                        ; implicit-def: $vgpr4
	s_and_saveexec_b64 s[0:1], vcc
	s_xor_b64 s[0:1], exec, s[0:1]
; %bb.309:                              ;   in Loop: Header=BB344_264 Depth=1
	v_bfe_u32 v4, v26, 16, 1
	v_add3_u32 v4, v26, v4, s9
                                        ; implicit-def: $vgpr26
; %bb.310:                              ;   in Loop: Header=BB344_264 Depth=1
	s_andn2_saveexec_b64 s[0:1], s[0:1]
; %bb.311:                              ;   in Loop: Header=BB344_264 Depth=1
	v_or_b32_e32 v4, 0x10000, v26
	v_cmp_eq_u32_sdwa vcc, v26, v21 src0_sel:WORD_0 src1_sel:DWORD
	s_nop 1
	v_cndmask_b32_e32 v4, v4, v26, vcc
; %bb.312:                              ;   in Loop: Header=BB344_264 Depth=1
	s_or_b64 exec, exec, s[0:1]
	v_and_b32_e32 v26, 0xff, v5
	v_cvt_f32_fp8_sdwa v26, v26 src0_sel:BYTE_0
	s_nop 0
	v_mul_f32_e32 v26, v34, v26
	v_and_b32_e32 v30, 0x7f800000, v26
	v_cmp_ne_u32_e32 vcc, s8, v30
                                        ; implicit-def: $vgpr30
	s_and_saveexec_b64 s[0:1], vcc
	s_xor_b64 s[0:1], exec, s[0:1]
; %bb.313:                              ;   in Loop: Header=BB344_264 Depth=1
	v_bfe_u32 v30, v26, 16, 1
	v_add3_u32 v30, v26, v30, s9
                                        ; implicit-def: $vgpr26
; %bb.314:                              ;   in Loop: Header=BB344_264 Depth=1
	s_andn2_saveexec_b64 s[0:1], s[0:1]
; %bb.315:                              ;   in Loop: Header=BB344_264 Depth=1
	v_or_b32_e32 v30, 0x10000, v26
	v_cmp_eq_u32_sdwa vcc, v26, v21 src0_sel:WORD_0 src1_sel:DWORD
	s_nop 1
	v_cndmask_b32_e32 v30, v30, v26, vcc
; %bb.316:                              ;   in Loop: Header=BB344_264 Depth=1
	s_or_b64 exec, exec, s[0:1]
	v_bfe_u32 v26, v5, 8, 8
	v_cvt_f32_fp8_sdwa v26, v26 src0_sel:BYTE_0
	s_nop 0
	v_mul_f32_e32 v31, v34, v26
	v_and_b32_e32 v26, 0x7f800000, v31
	v_cmp_ne_u32_e32 vcc, s8, v26
                                        ; implicit-def: $vgpr26
	s_and_saveexec_b64 s[0:1], vcc
	s_xor_b64 s[0:1], exec, s[0:1]
; %bb.317:                              ;   in Loop: Header=BB344_264 Depth=1
	v_bfe_u32 v26, v31, 16, 1
	v_add3_u32 v26, v31, v26, s9
                                        ; implicit-def: $vgpr31
; %bb.318:                              ;   in Loop: Header=BB344_264 Depth=1
	s_andn2_saveexec_b64 s[0:1], s[0:1]
; %bb.319:                              ;   in Loop: Header=BB344_264 Depth=1
	v_or_b32_e32 v26, 0x10000, v31
	v_cmp_eq_u32_sdwa vcc, v31, v21 src0_sel:WORD_0 src1_sel:DWORD
	s_nop 1
	v_cndmask_b32_e32 v26, v26, v31, vcc
; %bb.320:                              ;   in Loop: Header=BB344_264 Depth=1
	s_or_b64 exec, exec, s[0:1]
	v_bfe_u32 v31, v5, 16, 8
	v_cvt_f32_fp8_sdwa v31, v31 src0_sel:BYTE_0
	s_nop 0
	v_mul_f32_e32 v31, v34, v31
	v_and_b32_e32 v32, 0x7f800000, v31
	v_cmp_ne_u32_e32 vcc, s8, v32
                                        ; implicit-def: $vgpr32
	s_and_saveexec_b64 s[0:1], vcc
	s_xor_b64 s[0:1], exec, s[0:1]
; %bb.321:                              ;   in Loop: Header=BB344_264 Depth=1
	v_bfe_u32 v32, v31, 16, 1
	v_add3_u32 v32, v31, v32, s9
                                        ; implicit-def: $vgpr31
; %bb.322:                              ;   in Loop: Header=BB344_264 Depth=1
	s_andn2_saveexec_b64 s[0:1], s[0:1]
; %bb.323:                              ;   in Loop: Header=BB344_264 Depth=1
	v_or_b32_e32 v32, 0x10000, v31
	v_cmp_eq_u32_sdwa vcc, v31, v21 src0_sel:WORD_0 src1_sel:DWORD
	s_nop 1
	v_cndmask_b32_e32 v32, v32, v31, vcc
; %bb.324:                              ;   in Loop: Header=BB344_264 Depth=1
	s_or_b64 exec, exec, s[0:1]
	v_lshrrev_b32_e32 v5, 24, v5
	v_cvt_f32_fp8_sdwa v5, v5 src0_sel:BYTE_0
                                        ; implicit-def: $vgpr33
	s_nop 0
	v_mul_f32_e32 v5, v34, v5
	v_and_b32_e32 v31, 0x7f800000, v5
	v_cmp_ne_u32_e32 vcc, s8, v31
	s_and_saveexec_b64 s[0:1], vcc
	s_xor_b64 s[0:1], exec, s[0:1]
; %bb.325:                              ;   in Loop: Header=BB344_264 Depth=1
	v_bfe_u32 v31, v5, 16, 1
	v_add3_u32 v33, v5, v31, s9
                                        ; implicit-def: $vgpr5
; %bb.326:                              ;   in Loop: Header=BB344_264 Depth=1
	s_andn2_saveexec_b64 s[0:1], s[0:1]
; %bb.327:                              ;   in Loop: Header=BB344_264 Depth=1
	v_or_b32_e32 v31, 0x10000, v5
	v_cmp_eq_u32_sdwa vcc, v5, v21 src0_sel:WORD_0 src1_sel:DWORD
	s_nop 1
	v_cndmask_b32_e32 v33, v31, v5, vcc
; %bb.328:                              ;   in Loop: Header=BB344_264 Depth=1
	s_or_b64 exec, exec, s[0:1]
	v_accvgpr_read_b32 v5, a9
	v_accvgpr_read_b32 v23, a34
	v_cmp_eq_u32_e32 vcc, v5, v23
	v_add_u32_e32 v5, -7, v24
	v_accvgpr_write_b32 a20, v5
	v_lshrrev_b32_e32 v5, 16, v32
	v_add_u32_e32 v32, -6, v24
	v_accvgpr_write_b32 a26, v32
	v_add_u32_e32 v32, -5, v24
	v_accvgpr_write_b32 a25, v32
	;; [unrolled: 2-line block ×5, first 2 shown]
	v_add_u32_e32 v32, -1, v24
	v_lshrrev_b32_e32 v26, 16, v26
	v_lshrrev_b32_e32 v30, 16, v30
	;; [unrolled: 1-line block ×7, first 2 shown]
	v_accvgpr_write_b32 a21, v32
	s_and_saveexec_b64 s[6:7], vcc
	s_cbranch_execz .LBB344_330
; %bb.329:                              ;   in Loop: Header=BB344_264 Depth=1
	v_accvgpr_read_b32 v32, a20
	v_cmp_lt_i32_e64 s[0:1], v32, v29
	v_accvgpr_read_b32 v32, a26
	s_nop 0
	v_cndmask_b32_e64 v8, 0, v8, s[0:1]
	v_cmp_lt_i32_e64 s[0:1], v32, v29
	v_accvgpr_read_b32 v32, a25
	s_nop 0
	v_cndmask_b32_e64 v9, 0, v9, s[0:1]
	;; [unrolled: 4-line block ×6, first 2 shown]
	v_cmp_lt_i32_e64 s[0:1], v32, v29
	s_nop 1
	v_cndmask_b32_e64 v5, 0, v5, s[0:1]
	v_cmp_lt_i32_e64 s[0:1], v24, v29
	s_nop 1
	v_cndmask_b32_e64 v4, 0, v4, s[0:1]
.LBB344_330:                            ;   in Loop: Header=BB344_264 Depth=1
	s_or_b64 exec, exec, s[6:7]
	v_and_b32_e32 v54, 0xffff0000, v25
	v_lshlrev_b32_e32 v8, 16, v8
	v_mul_f32_e32 v8, v54, v8
	v_and_b32_e32 v25, 0x7f800000, v8
	v_cmp_ne_u32_e64 s[0:1], s8, v25
                                        ; implicit-def: $agpr12
	s_and_saveexec_b64 s[6:7], s[0:1]
	s_xor_b64 s[0:1], exec, s[6:7]
; %bb.331:                              ;   in Loop: Header=BB344_264 Depth=1
	v_bfe_u32 v25, v8, 16, 1
	v_add3_u32 v8, v8, v25, s9
	v_accvgpr_write_b32 a12, v8
                                        ; implicit-def: $vgpr8
; %bb.332:                              ;   in Loop: Header=BB344_264 Depth=1
	s_andn2_saveexec_b64 s[6:7], s[0:1]
; %bb.333:                              ;   in Loop: Header=BB344_264 Depth=1
	v_or_b32_e32 v25, 0x10000, v8
	v_cmp_eq_u32_sdwa s[0:1], v8, v21 src0_sel:WORD_0 src1_sel:DWORD
	s_nop 1
	v_cndmask_b32_e64 v8, v25, v8, s[0:1]
	v_accvgpr_write_b32 a12, v8
; %bb.334:                              ;   in Loop: Header=BB344_264 Depth=1
	s_or_b64 exec, exec, s[6:7]
	v_and_b32_e32 v55, 0xffff0000, v22
	v_lshlrev_b32_e32 v8, 16, v9
	v_mul_f32_e32 v8, v55, v8
	v_and_b32_e32 v9, 0x7f800000, v8
	v_cmp_ne_u32_e64 s[0:1], s8, v9
                                        ; implicit-def: $agpr13
	s_and_saveexec_b64 s[6:7], s[0:1]
	s_xor_b64 s[0:1], exec, s[6:7]
; %bb.335:                              ;   in Loop: Header=BB344_264 Depth=1
	v_bfe_u32 v9, v8, 16, 1
	v_add3_u32 v8, v8, v9, s9
	v_accvgpr_write_b32 a13, v8
                                        ; implicit-def: $vgpr8
; %bb.336:                              ;   in Loop: Header=BB344_264 Depth=1
	s_andn2_saveexec_b64 s[6:7], s[0:1]
; %bb.337:                              ;   in Loop: Header=BB344_264 Depth=1
	v_or_b32_e32 v9, 0x10000, v8
	v_cmp_eq_u32_sdwa s[0:1], v8, v21 src0_sel:WORD_0 src1_sel:DWORD
	s_nop 1
	v_cndmask_b32_e64 v8, v9, v8, s[0:1]
	v_accvgpr_write_b32 a13, v8
; %bb.338:                              ;   in Loop: Header=BB344_264 Depth=1
	s_or_b64 exec, exec, s[6:7]
	v_and_b32_e32 v40, 0xffff0000, v19
	v_lshlrev_b32_e32 v8, 16, v28
	v_mul_f32_e32 v8, v40, v8
	v_and_b32_e32 v9, 0x7f800000, v8
	v_cmp_ne_u32_e64 s[0:1], s8, v9
                                        ; implicit-def: $agpr14
	s_and_saveexec_b64 s[6:7], s[0:1]
	s_xor_b64 s[0:1], exec, s[6:7]
; %bb.339:                              ;   in Loop: Header=BB344_264 Depth=1
	v_bfe_u32 v9, v8, 16, 1
	v_add3_u32 v8, v8, v9, s9
	v_accvgpr_write_b32 a14, v8
                                        ; implicit-def: $vgpr8
; %bb.340:                              ;   in Loop: Header=BB344_264 Depth=1
	s_andn2_saveexec_b64 s[6:7], s[0:1]
; %bb.341:                              ;   in Loop: Header=BB344_264 Depth=1
	v_or_b32_e32 v9, 0x10000, v8
	v_cmp_eq_u32_sdwa s[0:1], v8, v21 src0_sel:WORD_0 src1_sel:DWORD
	s_nop 1
	v_cndmask_b32_e64 v8, v9, v8, s[0:1]
	v_accvgpr_write_b32 a14, v8
; %bb.342:                              ;   in Loop: Header=BB344_264 Depth=1
	s_or_b64 exec, exec, s[6:7]
	v_and_b32_e32 v41, 0xffff0000, v18
	v_lshlrev_b32_e32 v8, 16, v31
	v_mul_f32_e32 v8, v41, v8
	v_and_b32_e32 v9, 0x7f800000, v8
	v_cmp_ne_u32_e64 s[0:1], s8, v9
                                        ; implicit-def: $agpr15
	s_and_saveexec_b64 s[6:7], s[0:1]
	s_xor_b64 s[0:1], exec, s[6:7]
; %bb.343:                              ;   in Loop: Header=BB344_264 Depth=1
	v_bfe_u32 v9, v8, 16, 1
	v_add3_u32 v8, v8, v9, s9
	v_accvgpr_write_b32 a15, v8
                                        ; implicit-def: $vgpr8
; %bb.344:                              ;   in Loop: Header=BB344_264 Depth=1
	s_andn2_saveexec_b64 s[6:7], s[0:1]
; %bb.345:                              ;   in Loop: Header=BB344_264 Depth=1
	v_or_b32_e32 v9, 0x10000, v8
	v_cmp_eq_u32_sdwa s[0:1], v8, v21 src0_sel:WORD_0 src1_sel:DWORD
	s_nop 1
	v_cndmask_b32_e64 v8, v9, v8, s[0:1]
	v_accvgpr_write_b32 a15, v8
; %bb.346:                              ;   in Loop: Header=BB344_264 Depth=1
	s_or_b64 exec, exec, s[6:7]
	v_and_b32_e32 v42, 0xffff0000, v7
	v_lshlrev_b32_e32 v7, 16, v30
	v_mul_f32_e32 v7, v42, v7
	v_and_b32_e32 v8, 0x7f800000, v7
	v_cmp_ne_u32_e64 s[0:1], s8, v8
                                        ; implicit-def: $agpr16
	s_and_saveexec_b64 s[6:7], s[0:1]
	s_xor_b64 s[0:1], exec, s[6:7]
; %bb.347:                              ;   in Loop: Header=BB344_264 Depth=1
	v_bfe_u32 v8, v7, 16, 1
	v_add3_u32 v7, v7, v8, s9
	v_accvgpr_write_b32 a16, v7
                                        ; implicit-def: $vgpr7
; %bb.348:                              ;   in Loop: Header=BB344_264 Depth=1
	s_andn2_saveexec_b64 s[6:7], s[0:1]
; %bb.349:                              ;   in Loop: Header=BB344_264 Depth=1
	v_or_b32_e32 v8, 0x10000, v7
	v_cmp_eq_u32_sdwa s[0:1], v7, v21 src0_sel:WORD_0 src1_sel:DWORD
	s_nop 1
	v_cndmask_b32_e64 v7, v8, v7, s[0:1]
	v_accvgpr_write_b32 a16, v7
; %bb.350:                              ;   in Loop: Header=BB344_264 Depth=1
	s_or_b64 exec, exec, s[6:7]
	v_and_b32_e32 v43, 0xffff0000, v6
	v_lshlrev_b32_e32 v6, 16, v26
	v_mul_f32_e32 v6, v43, v6
	v_and_b32_e32 v7, 0x7f800000, v6
	v_cmp_ne_u32_e64 s[0:1], s8, v7
                                        ; implicit-def: $agpr17
	s_and_saveexec_b64 s[6:7], s[0:1]
	s_xor_b64 s[0:1], exec, s[6:7]
; %bb.351:                              ;   in Loop: Header=BB344_264 Depth=1
	v_bfe_u32 v7, v6, 16, 1
	v_add3_u32 v6, v6, v7, s9
	v_accvgpr_write_b32 a17, v6
                                        ; implicit-def: $vgpr6
; %bb.352:                              ;   in Loop: Header=BB344_264 Depth=1
	s_andn2_saveexec_b64 s[6:7], s[0:1]
; %bb.353:                              ;   in Loop: Header=BB344_264 Depth=1
	v_or_b32_e32 v7, 0x10000, v6
	v_cmp_eq_u32_sdwa s[0:1], v6, v21 src0_sel:WORD_0 src1_sel:DWORD
	s_nop 1
	v_cndmask_b32_e64 v6, v7, v6, s[0:1]
	v_accvgpr_write_b32 a17, v6
; %bb.354:                              ;   in Loop: Header=BB344_264 Depth=1
	s_or_b64 exec, exec, s[6:7]
	v_and_b32_e32 v44, 0xffff0000, v1
	v_lshlrev_b32_e32 v1, 16, v5
	v_mul_f32_e32 v1, v44, v1
	v_and_b32_e32 v5, 0x7f800000, v1
	v_cmp_ne_u32_e64 s[0:1], s8, v5
                                        ; implicit-def: $agpr18
	s_and_saveexec_b64 s[6:7], s[0:1]
	s_xor_b64 s[0:1], exec, s[6:7]
; %bb.355:                              ;   in Loop: Header=BB344_264 Depth=1
	v_bfe_u32 v5, v1, 16, 1
	v_add3_u32 v1, v1, v5, s9
	v_accvgpr_write_b32 a18, v1
                                        ; implicit-def: $vgpr1
; %bb.356:                              ;   in Loop: Header=BB344_264 Depth=1
	s_andn2_saveexec_b64 s[6:7], s[0:1]
; %bb.357:                              ;   in Loop: Header=BB344_264 Depth=1
	v_or_b32_e32 v5, 0x10000, v1
	v_cmp_eq_u32_sdwa s[0:1], v1, v21 src0_sel:WORD_0 src1_sel:DWORD
	s_nop 1
	v_cndmask_b32_e64 v1, v5, v1, s[0:1]
	v_accvgpr_write_b32 a18, v1
; %bb.358:                              ;   in Loop: Header=BB344_264 Depth=1
	s_or_b64 exec, exec, s[6:7]
	v_and_b32_e32 v45, 0xffff0000, v0
	v_lshlrev_b32_e32 v0, 16, v4
	v_mul_f32_e32 v0, v45, v0
	v_and_b32_e32 v1, 0x7f800000, v0
	v_cmp_ne_u32_e64 s[0:1], s8, v1
                                        ; implicit-def: $agpr19
	s_and_saveexec_b64 s[6:7], s[0:1]
	s_xor_b64 s[0:1], exec, s[6:7]
; %bb.359:                              ;   in Loop: Header=BB344_264 Depth=1
	v_bfe_u32 v1, v0, 16, 1
	v_add3_u32 v0, v0, v1, s9
	v_accvgpr_write_b32 a19, v0
                                        ; implicit-def: $vgpr0
; %bb.360:                              ;   in Loop: Header=BB344_264 Depth=1
	s_andn2_saveexec_b64 s[6:7], s[0:1]
; %bb.361:                              ;   in Loop: Header=BB344_264 Depth=1
	v_or_b32_e32 v1, 0x10000, v0
	v_cmp_eq_u32_sdwa s[0:1], v0, v21 src0_sel:WORD_0 src1_sel:DWORD
	s_nop 1
	v_cndmask_b32_e64 v0, v1, v0, s[0:1]
	v_accvgpr_write_b32 a19, v0
; %bb.362:                              ;   in Loop: Header=BB344_264 Depth=1
	s_or_b64 exec, exec, s[6:7]
	flat_load_dwordx2 v[4:5], v[2:3] offset:512
	s_waitcnt vmcnt(0) lgkmcnt(0)
	v_and_b32_e32 v0, 0xff, v4
	v_cvt_f32_fp8_sdwa v0, v0 src0_sel:BYTE_0
	s_nop 0
	v_mul_f32_e32 v1, v34, v0
	v_and_b32_e32 v0, 0x7f800000, v1
	v_cmp_ne_u32_e64 s[0:1], s8, v0
                                        ; implicit-def: $vgpr0
	s_and_saveexec_b64 s[6:7], s[0:1]
	s_xor_b64 s[0:1], exec, s[6:7]
; %bb.363:                              ;   in Loop: Header=BB344_264 Depth=1
	v_bfe_u32 v0, v1, 16, 1
	v_add3_u32 v0, v1, v0, s9
                                        ; implicit-def: $vgpr1
; %bb.364:                              ;   in Loop: Header=BB344_264 Depth=1
	s_andn2_saveexec_b64 s[6:7], s[0:1]
; %bb.365:                              ;   in Loop: Header=BB344_264 Depth=1
	v_or_b32_e32 v0, 0x10000, v1
	v_cmp_eq_u32_sdwa s[0:1], v1, v21 src0_sel:WORD_0 src1_sel:DWORD
	s_nop 1
	v_cndmask_b32_e64 v0, v0, v1, s[0:1]
; %bb.366:                              ;   in Loop: Header=BB344_264 Depth=1
	s_or_b64 exec, exec, s[6:7]
	v_bfe_u32 v1, v4, 8, 8
	v_cvt_f32_fp8_sdwa v1, v1 src0_sel:BYTE_0
	s_nop 0
	v_mul_f32_e32 v6, v34, v1
	v_and_b32_e32 v1, 0x7f800000, v6
	v_cmp_ne_u32_e64 s[0:1], s8, v1
                                        ; implicit-def: $vgpr1
	s_and_saveexec_b64 s[6:7], s[0:1]
	s_xor_b64 s[0:1], exec, s[6:7]
; %bb.367:                              ;   in Loop: Header=BB344_264 Depth=1
	v_bfe_u32 v1, v6, 16, 1
	v_add3_u32 v1, v6, v1, s9
                                        ; implicit-def: $vgpr6
; %bb.368:                              ;   in Loop: Header=BB344_264 Depth=1
	s_andn2_saveexec_b64 s[6:7], s[0:1]
; %bb.369:                              ;   in Loop: Header=BB344_264 Depth=1
	v_or_b32_e32 v1, 0x10000, v6
	v_cmp_eq_u32_sdwa s[0:1], v6, v21 src0_sel:WORD_0 src1_sel:DWORD
	s_nop 1
	v_cndmask_b32_e64 v1, v1, v6, s[0:1]
; %bb.370:                              ;   in Loop: Header=BB344_264 Depth=1
	s_or_b64 exec, exec, s[6:7]
	v_bfe_u32 v6, v4, 16, 8
	v_cvt_f32_fp8_sdwa v6, v6 src0_sel:BYTE_0
	s_nop 0
	v_mul_f32_e32 v7, v34, v6
	v_and_b32_e32 v6, 0x7f800000, v7
	v_cmp_ne_u32_e64 s[0:1], s8, v6
                                        ; implicit-def: $vgpr6
	s_and_saveexec_b64 s[6:7], s[0:1]
	s_xor_b64 s[0:1], exec, s[6:7]
; %bb.371:                              ;   in Loop: Header=BB344_264 Depth=1
	v_bfe_u32 v6, v7, 16, 1
	v_add3_u32 v6, v7, v6, s9
                                        ; implicit-def: $vgpr7
; %bb.372:                              ;   in Loop: Header=BB344_264 Depth=1
	s_andn2_saveexec_b64 s[6:7], s[0:1]
; %bb.373:                              ;   in Loop: Header=BB344_264 Depth=1
	v_or_b32_e32 v6, 0x10000, v7
	v_cmp_eq_u32_sdwa s[0:1], v7, v21 src0_sel:WORD_0 src1_sel:DWORD
	s_nop 1
	v_cndmask_b32_e64 v6, v6, v7, s[0:1]
; %bb.374:                              ;   in Loop: Header=BB344_264 Depth=1
	s_or_b64 exec, exec, s[6:7]
	v_lshrrev_b32_e32 v4, 24, v4
	v_cvt_f32_fp8_sdwa v4, v4 src0_sel:BYTE_0
	s_nop 0
	v_mul_f32_e32 v4, v34, v4
	v_and_b32_e32 v7, 0x7f800000, v4
	v_cmp_ne_u32_e64 s[0:1], s8, v7
                                        ; implicit-def: $vgpr7
	s_and_saveexec_b64 s[6:7], s[0:1]
	s_xor_b64 s[0:1], exec, s[6:7]
; %bb.375:                              ;   in Loop: Header=BB344_264 Depth=1
	v_bfe_u32 v7, v4, 16, 1
	v_add3_u32 v7, v4, v7, s9
                                        ; implicit-def: $vgpr4
; %bb.376:                              ;   in Loop: Header=BB344_264 Depth=1
	s_andn2_saveexec_b64 s[6:7], s[0:1]
; %bb.377:                              ;   in Loop: Header=BB344_264 Depth=1
	v_or_b32_e32 v7, 0x10000, v4
	v_cmp_eq_u32_sdwa s[0:1], v4, v21 src0_sel:WORD_0 src1_sel:DWORD
	s_nop 1
	v_cndmask_b32_e64 v7, v7, v4, s[0:1]
; %bb.378:                              ;   in Loop: Header=BB344_264 Depth=1
	s_or_b64 exec, exec, s[6:7]
	v_and_b32_e32 v4, 0xff, v5
	v_cvt_f32_fp8_sdwa v4, v4 src0_sel:BYTE_0
	s_nop 0
	v_mul_f32_e32 v4, v34, v4
	v_and_b32_e32 v8, 0x7f800000, v4
	v_cmp_ne_u32_e64 s[0:1], s8, v8
                                        ; implicit-def: $vgpr8
	s_and_saveexec_b64 s[6:7], s[0:1]
	s_xor_b64 s[0:1], exec, s[6:7]
; %bb.379:                              ;   in Loop: Header=BB344_264 Depth=1
	v_bfe_u32 v8, v4, 16, 1
	v_add3_u32 v8, v4, v8, s9
                                        ; implicit-def: $vgpr4
; %bb.380:                              ;   in Loop: Header=BB344_264 Depth=1
	s_andn2_saveexec_b64 s[6:7], s[0:1]
; %bb.381:                              ;   in Loop: Header=BB344_264 Depth=1
	v_or_b32_e32 v8, 0x10000, v4
	v_cmp_eq_u32_sdwa s[0:1], v4, v21 src0_sel:WORD_0 src1_sel:DWORD
	s_nop 1
	v_cndmask_b32_e64 v8, v8, v4, s[0:1]
; %bb.382:                              ;   in Loop: Header=BB344_264 Depth=1
	s_or_b64 exec, exec, s[6:7]
	v_bfe_u32 v4, v5, 8, 8
	v_cvt_f32_fp8_sdwa v4, v4 src0_sel:BYTE_0
	s_nop 0
	v_mul_f32_e32 v9, v34, v4
	v_and_b32_e32 v4, 0x7f800000, v9
	v_cmp_ne_u32_e64 s[0:1], s8, v4
                                        ; implicit-def: $vgpr4
	s_and_saveexec_b64 s[6:7], s[0:1]
	s_xor_b64 s[0:1], exec, s[6:7]
; %bb.383:                              ;   in Loop: Header=BB344_264 Depth=1
	v_bfe_u32 v4, v9, 16, 1
	v_add3_u32 v4, v9, v4, s9
                                        ; implicit-def: $vgpr9
; %bb.384:                              ;   in Loop: Header=BB344_264 Depth=1
	s_andn2_saveexec_b64 s[6:7], s[0:1]
; %bb.385:                              ;   in Loop: Header=BB344_264 Depth=1
	v_or_b32_e32 v4, 0x10000, v9
	v_cmp_eq_u32_sdwa s[0:1], v9, v21 src0_sel:WORD_0 src1_sel:DWORD
	s_nop 1
	v_cndmask_b32_e64 v4, v4, v9, s[0:1]
; %bb.386:                              ;   in Loop: Header=BB344_264 Depth=1
	s_or_b64 exec, exec, s[6:7]
	v_bfe_u32 v9, v5, 16, 8
	v_cvt_f32_fp8_sdwa v9, v9 src0_sel:BYTE_0
	s_nop 0
	v_mul_f32_e32 v18, v34, v9
	v_and_b32_e32 v9, 0x7f800000, v18
	v_cmp_ne_u32_e64 s[0:1], s8, v9
                                        ; implicit-def: $vgpr9
	s_and_saveexec_b64 s[6:7], s[0:1]
	s_xor_b64 s[0:1], exec, s[6:7]
; %bb.387:                              ;   in Loop: Header=BB344_264 Depth=1
	v_bfe_u32 v9, v18, 16, 1
	v_add3_u32 v9, v18, v9, s9
                                        ; implicit-def: $vgpr18
; %bb.388:                              ;   in Loop: Header=BB344_264 Depth=1
	s_andn2_saveexec_b64 s[6:7], s[0:1]
; %bb.389:                              ;   in Loop: Header=BB344_264 Depth=1
	v_or_b32_e32 v9, 0x10000, v18
	v_cmp_eq_u32_sdwa s[0:1], v18, v21 src0_sel:WORD_0 src1_sel:DWORD
	s_nop 1
	v_cndmask_b32_e64 v9, v9, v18, s[0:1]
; %bb.390:                              ;   in Loop: Header=BB344_264 Depth=1
	s_or_b64 exec, exec, s[6:7]
	v_lshrrev_b32_e32 v5, 24, v5
	v_cvt_f32_fp8_sdwa v5, v5 src0_sel:BYTE_0
                                        ; implicit-def: $vgpr19
	s_nop 0
	v_mul_f32_e32 v5, v34, v5
	v_and_b32_e32 v18, 0x7f800000, v5
	v_cmp_ne_u32_e64 s[0:1], s8, v18
	s_and_saveexec_b64 s[6:7], s[0:1]
	s_xor_b64 s[0:1], exec, s[6:7]
; %bb.391:                              ;   in Loop: Header=BB344_264 Depth=1
	v_bfe_u32 v18, v5, 16, 1
	v_add3_u32 v19, v5, v18, s9
                                        ; implicit-def: $vgpr5
; %bb.392:                              ;   in Loop: Header=BB344_264 Depth=1
	s_andn2_saveexec_b64 s[6:7], s[0:1]
; %bb.393:                              ;   in Loop: Header=BB344_264 Depth=1
	v_or_b32_e32 v18, 0x10000, v5
	v_cmp_eq_u32_sdwa s[0:1], v5, v21 src0_sel:WORD_0 src1_sel:DWORD
	s_nop 1
	v_cndmask_b32_e64 v19, v18, v5, s[0:1]
; %bb.394:                              ;   in Loop: Header=BB344_264 Depth=1
	s_or_b64 exec, exec, s[6:7]
	v_lshrrev_b32_e32 v4, 16, v4
	v_lshrrev_b32_e32 v5, 16, v8
	;; [unrolled: 1-line block ×8, first 2 shown]
	s_and_saveexec_b64 s[6:7], vcc
	s_cbranch_execz .LBB344_396
; %bb.395:                              ;   in Loop: Header=BB344_264 Depth=1
	v_accvgpr_read_b32 v9, a20
	v_cmp_lt_i32_e64 s[0:1], v9, v29
	v_accvgpr_read_b32 v9, a26
	s_nop 0
	v_cndmask_b32_e64 v18, 0, v18, s[0:1]
	v_cmp_lt_i32_e64 s[0:1], v9, v29
	v_accvgpr_read_b32 v9, a25
	s_nop 0
	v_cndmask_b32_e64 v8, 0, v8, s[0:1]
	;; [unrolled: 4-line block ×6, first 2 shown]
	v_cmp_lt_i32_e64 s[0:1], v9, v29
	s_nop 1
	v_cndmask_b32_e64 v1, 0, v1, s[0:1]
	v_cmp_lt_i32_e64 s[0:1], v24, v29
	s_nop 1
	v_cndmask_b32_e64 v0, 0, v0, s[0:1]
.LBB344_396:                            ;   in Loop: Header=BB344_264 Depth=1
	s_or_b64 exec, exec, s[6:7]
	v_lshlrev_b32_e32 v9, 16, v18
	v_mul_f32_e32 v9, v54, v9
	v_and_b32_e32 v18, 0x7f800000, v9
	v_cmp_ne_u32_e64 s[0:1], s8, v18
                                        ; implicit-def: $agpr27
	s_and_saveexec_b64 s[6:7], s[0:1]
	s_xor_b64 s[0:1], exec, s[6:7]
; %bb.397:                              ;   in Loop: Header=BB344_264 Depth=1
	v_bfe_u32 v18, v9, 16, 1
	v_add3_u32 v9, v9, v18, s9
	v_accvgpr_write_b32 a27, v9
                                        ; implicit-def: $vgpr9
; %bb.398:                              ;   in Loop: Header=BB344_264 Depth=1
	s_andn2_saveexec_b64 s[6:7], s[0:1]
; %bb.399:                              ;   in Loop: Header=BB344_264 Depth=1
	v_or_b32_e32 v18, 0x10000, v9
	v_cmp_eq_u32_sdwa s[0:1], v9, v21 src0_sel:WORD_0 src1_sel:DWORD
	s_nop 1
	v_cndmask_b32_e64 v9, v18, v9, s[0:1]
	v_accvgpr_write_b32 a27, v9
; %bb.400:                              ;   in Loop: Header=BB344_264 Depth=1
	s_or_b64 exec, exec, s[6:7]
	v_lshlrev_b32_e32 v8, 16, v8
	v_mul_f32_e32 v8, v55, v8
	v_and_b32_e32 v9, 0x7f800000, v8
	v_cmp_ne_u32_e64 s[0:1], s8, v9
                                        ; implicit-def: $agpr28
	s_and_saveexec_b64 s[6:7], s[0:1]
	s_xor_b64 s[0:1], exec, s[6:7]
; %bb.401:                              ;   in Loop: Header=BB344_264 Depth=1
	v_bfe_u32 v9, v8, 16, 1
	v_add3_u32 v8, v8, v9, s9
	v_accvgpr_write_b32 a28, v8
                                        ; implicit-def: $vgpr8
; %bb.402:                              ;   in Loop: Header=BB344_264 Depth=1
	s_andn2_saveexec_b64 s[6:7], s[0:1]
; %bb.403:                              ;   in Loop: Header=BB344_264 Depth=1
	v_or_b32_e32 v9, 0x10000, v8
	v_cmp_eq_u32_sdwa s[0:1], v8, v21 src0_sel:WORD_0 src1_sel:DWORD
	s_nop 1
	v_cndmask_b32_e64 v8, v9, v8, s[0:1]
	v_accvgpr_write_b32 a28, v8
; %bb.404:                              ;   in Loop: Header=BB344_264 Depth=1
	s_or_b64 exec, exec, s[6:7]
	v_lshlrev_b32_e32 v6, 16, v6
	v_mul_f32_e32 v6, v40, v6
	v_and_b32_e32 v8, 0x7f800000, v6
	v_cmp_ne_u32_e64 s[0:1], s8, v8
                                        ; implicit-def: $agpr29
	s_and_saveexec_b64 s[6:7], s[0:1]
	s_xor_b64 s[0:1], exec, s[6:7]
; %bb.405:                              ;   in Loop: Header=BB344_264 Depth=1
	v_bfe_u32 v8, v6, 16, 1
	v_add3_u32 v6, v6, v8, s9
	v_accvgpr_write_b32 a29, v6
                                        ; implicit-def: $vgpr6
; %bb.406:                              ;   in Loop: Header=BB344_264 Depth=1
	s_andn2_saveexec_b64 s[6:7], s[0:1]
; %bb.407:                              ;   in Loop: Header=BB344_264 Depth=1
	v_or_b32_e32 v8, 0x10000, v6
	v_cmp_eq_u32_sdwa s[0:1], v6, v21 src0_sel:WORD_0 src1_sel:DWORD
	s_nop 1
	v_cndmask_b32_e64 v6, v8, v6, s[0:1]
	v_accvgpr_write_b32 a29, v6
; %bb.408:                              ;   in Loop: Header=BB344_264 Depth=1
	s_or_b64 exec, exec, s[6:7]
	v_lshlrev_b32_e32 v6, 16, v7
	v_mul_f32_e32 v6, v41, v6
	v_and_b32_e32 v7, 0x7f800000, v6
	v_cmp_ne_u32_e64 s[0:1], s8, v7
                                        ; implicit-def: $agpr30
	s_and_saveexec_b64 s[6:7], s[0:1]
	s_xor_b64 s[0:1], exec, s[6:7]
; %bb.409:                              ;   in Loop: Header=BB344_264 Depth=1
	v_bfe_u32 v7, v6, 16, 1
	v_add3_u32 v6, v6, v7, s9
	v_accvgpr_write_b32 a30, v6
                                        ; implicit-def: $vgpr6
; %bb.410:                              ;   in Loop: Header=BB344_264 Depth=1
	s_andn2_saveexec_b64 s[6:7], s[0:1]
; %bb.411:                              ;   in Loop: Header=BB344_264 Depth=1
	v_or_b32_e32 v7, 0x10000, v6
	v_cmp_eq_u32_sdwa s[0:1], v6, v21 src0_sel:WORD_0 src1_sel:DWORD
	s_nop 1
	v_cndmask_b32_e64 v6, v7, v6, s[0:1]
	v_accvgpr_write_b32 a30, v6
; %bb.412:                              ;   in Loop: Header=BB344_264 Depth=1
	s_or_b64 exec, exec, s[6:7]
	v_lshlrev_b32_e32 v5, 16, v5
	v_mul_f32_e32 v5, v42, v5
	v_and_b32_e32 v6, 0x7f800000, v5
	v_cmp_ne_u32_e64 s[0:1], s8, v6
                                        ; implicit-def: $agpr31
	s_and_saveexec_b64 s[6:7], s[0:1]
	s_xor_b64 s[0:1], exec, s[6:7]
; %bb.413:                              ;   in Loop: Header=BB344_264 Depth=1
	v_bfe_u32 v6, v5, 16, 1
	v_add3_u32 v5, v5, v6, s9
	v_accvgpr_write_b32 a31, v5
                                        ; implicit-def: $vgpr5
; %bb.414:                              ;   in Loop: Header=BB344_264 Depth=1
	s_andn2_saveexec_b64 s[6:7], s[0:1]
; %bb.415:                              ;   in Loop: Header=BB344_264 Depth=1
	v_or_b32_e32 v6, 0x10000, v5
	v_cmp_eq_u32_sdwa s[0:1], v5, v21 src0_sel:WORD_0 src1_sel:DWORD
	s_nop 1
	v_cndmask_b32_e64 v5, v6, v5, s[0:1]
	v_accvgpr_write_b32 a31, v5
; %bb.416:                              ;   in Loop: Header=BB344_264 Depth=1
	s_or_b64 exec, exec, s[6:7]
	v_lshlrev_b32_e32 v4, 16, v4
	v_mul_f32_e32 v4, v43, v4
	v_and_b32_e32 v5, 0x7f800000, v4
	v_cmp_ne_u32_e64 s[0:1], s8, v5
                                        ; implicit-def: $agpr32
	s_and_saveexec_b64 s[6:7], s[0:1]
	s_xor_b64 s[0:1], exec, s[6:7]
; %bb.417:                              ;   in Loop: Header=BB344_264 Depth=1
	v_bfe_u32 v5, v4, 16, 1
	v_add3_u32 v4, v4, v5, s9
	v_accvgpr_write_b32 a32, v4
                                        ; implicit-def: $vgpr4
; %bb.418:                              ;   in Loop: Header=BB344_264 Depth=1
	s_andn2_saveexec_b64 s[6:7], s[0:1]
; %bb.419:                              ;   in Loop: Header=BB344_264 Depth=1
	v_or_b32_e32 v5, 0x10000, v4
	v_cmp_eq_u32_sdwa s[0:1], v4, v21 src0_sel:WORD_0 src1_sel:DWORD
	s_nop 1
	v_cndmask_b32_e64 v4, v5, v4, s[0:1]
	v_accvgpr_write_b32 a32, v4
; %bb.420:                              ;   in Loop: Header=BB344_264 Depth=1
	s_or_b64 exec, exec, s[6:7]
	v_lshlrev_b32_e32 v1, 16, v1
	v_mul_f32_e32 v1, v44, v1
	v_and_b32_e32 v4, 0x7f800000, v1
	v_cmp_ne_u32_e64 s[0:1], s8, v4
                                        ; implicit-def: $agpr33
	s_and_saveexec_b64 s[6:7], s[0:1]
	s_xor_b64 s[0:1], exec, s[6:7]
; %bb.421:                              ;   in Loop: Header=BB344_264 Depth=1
	v_bfe_u32 v4, v1, 16, 1
	v_add3_u32 v1, v1, v4, s9
	v_accvgpr_write_b32 a33, v1
                                        ; implicit-def: $vgpr1
; %bb.422:                              ;   in Loop: Header=BB344_264 Depth=1
	s_andn2_saveexec_b64 s[6:7], s[0:1]
; %bb.423:                              ;   in Loop: Header=BB344_264 Depth=1
	v_or_b32_e32 v4, 0x10000, v1
	v_cmp_eq_u32_sdwa s[0:1], v1, v21 src0_sel:WORD_0 src1_sel:DWORD
	s_nop 1
	v_cndmask_b32_e64 v1, v4, v1, s[0:1]
	v_accvgpr_write_b32 a33, v1
; %bb.424:                              ;   in Loop: Header=BB344_264 Depth=1
	s_or_b64 exec, exec, s[6:7]
	v_lshlrev_b32_e32 v0, 16, v0
	v_mul_f32_e32 v0, v45, v0
	v_and_b32_e32 v1, 0x7f800000, v0
	v_cmp_ne_u32_e64 s[0:1], s8, v1
                                        ; implicit-def: $vgpr23
	s_and_saveexec_b64 s[6:7], s[0:1]
	s_xor_b64 s[0:1], exec, s[6:7]
; %bb.425:                              ;   in Loop: Header=BB344_264 Depth=1
	v_bfe_u32 v1, v0, 16, 1
	v_add3_u32 v23, v0, v1, s9
                                        ; implicit-def: $vgpr0
; %bb.426:                              ;   in Loop: Header=BB344_264 Depth=1
	s_andn2_saveexec_b64 s[6:7], s[0:1]
; %bb.427:                              ;   in Loop: Header=BB344_264 Depth=1
	v_or_b32_e32 v1, 0x10000, v0
	v_cmp_eq_u32_sdwa s[0:1], v0, v21 src0_sel:WORD_0 src1_sel:DWORD
	s_nop 1
	v_cndmask_b32_e64 v23, v1, v0, s[0:1]
; %bb.428:                              ;   in Loop: Header=BB344_264 Depth=1
	s_or_b64 exec, exec, s[6:7]
	flat_load_dwordx2 v[4:5], v[2:3] offset:1024
	s_waitcnt vmcnt(0) lgkmcnt(0)
	v_and_b32_e32 v0, 0xff, v4
	v_cvt_f32_fp8_sdwa v0, v0 src0_sel:BYTE_0
	s_nop 0
	v_mul_f32_e32 v1, v34, v0
	v_and_b32_e32 v0, 0x7f800000, v1
	v_cmp_ne_u32_e64 s[0:1], s8, v0
                                        ; implicit-def: $vgpr0
	s_and_saveexec_b64 s[6:7], s[0:1]
	s_xor_b64 s[0:1], exec, s[6:7]
; %bb.429:                              ;   in Loop: Header=BB344_264 Depth=1
	v_bfe_u32 v0, v1, 16, 1
	v_add3_u32 v0, v1, v0, s9
                                        ; implicit-def: $vgpr1
; %bb.430:                              ;   in Loop: Header=BB344_264 Depth=1
	s_andn2_saveexec_b64 s[6:7], s[0:1]
; %bb.431:                              ;   in Loop: Header=BB344_264 Depth=1
	v_or_b32_e32 v0, 0x10000, v1
	v_cmp_eq_u32_sdwa s[0:1], v1, v21 src0_sel:WORD_0 src1_sel:DWORD
	s_nop 1
	v_cndmask_b32_e64 v0, v0, v1, s[0:1]
; %bb.432:                              ;   in Loop: Header=BB344_264 Depth=1
	s_or_b64 exec, exec, s[6:7]
	v_bfe_u32 v1, v4, 8, 8
	v_cvt_f32_fp8_sdwa v1, v1 src0_sel:BYTE_0
	s_nop 0
	v_mul_f32_e32 v6, v34, v1
	v_and_b32_e32 v1, 0x7f800000, v6
	v_cmp_ne_u32_e64 s[0:1], s8, v1
                                        ; implicit-def: $vgpr1
	s_and_saveexec_b64 s[6:7], s[0:1]
	s_xor_b64 s[0:1], exec, s[6:7]
; %bb.433:                              ;   in Loop: Header=BB344_264 Depth=1
	v_bfe_u32 v1, v6, 16, 1
	v_add3_u32 v1, v6, v1, s9
                                        ; implicit-def: $vgpr6
; %bb.434:                              ;   in Loop: Header=BB344_264 Depth=1
	s_andn2_saveexec_b64 s[6:7], s[0:1]
; %bb.435:                              ;   in Loop: Header=BB344_264 Depth=1
	v_or_b32_e32 v1, 0x10000, v6
	v_cmp_eq_u32_sdwa s[0:1], v6, v21 src0_sel:WORD_0 src1_sel:DWORD
	s_nop 1
	v_cndmask_b32_e64 v1, v1, v6, s[0:1]
; %bb.436:                              ;   in Loop: Header=BB344_264 Depth=1
	s_or_b64 exec, exec, s[6:7]
	v_bfe_u32 v6, v4, 16, 8
	v_cvt_f32_fp8_sdwa v6, v6 src0_sel:BYTE_0
	s_nop 0
	v_mul_f32_e32 v6, v34, v6
	v_and_b32_e32 v7, 0x7f800000, v6
	v_cmp_ne_u32_e64 s[0:1], s8, v7
                                        ; implicit-def: $vgpr7
	s_and_saveexec_b64 s[6:7], s[0:1]
	s_xor_b64 s[0:1], exec, s[6:7]
; %bb.437:                              ;   in Loop: Header=BB344_264 Depth=1
	v_bfe_u32 v7, v6, 16, 1
	v_add3_u32 v7, v6, v7, s9
                                        ; implicit-def: $vgpr6
; %bb.438:                              ;   in Loop: Header=BB344_264 Depth=1
	s_andn2_saveexec_b64 s[6:7], s[0:1]
; %bb.439:                              ;   in Loop: Header=BB344_264 Depth=1
	v_or_b32_e32 v7, 0x10000, v6
	v_cmp_eq_u32_sdwa s[0:1], v6, v21 src0_sel:WORD_0 src1_sel:DWORD
	s_nop 1
	v_cndmask_b32_e64 v7, v7, v6, s[0:1]
; %bb.440:                              ;   in Loop: Header=BB344_264 Depth=1
	s_or_b64 exec, exec, s[6:7]
	v_lshrrev_b32_e32 v4, 24, v4
	v_cvt_f32_fp8_sdwa v4, v4 src0_sel:BYTE_0
	s_nop 0
	v_mul_f32_e32 v6, v34, v4
	v_and_b32_e32 v4, 0x7f800000, v6
	v_cmp_ne_u32_e64 s[0:1], s8, v4
                                        ; implicit-def: $vgpr4
	s_and_saveexec_b64 s[6:7], s[0:1]
	s_xor_b64 s[0:1], exec, s[6:7]
; %bb.441:                              ;   in Loop: Header=BB344_264 Depth=1
	v_bfe_u32 v4, v6, 16, 1
	v_add3_u32 v4, v6, v4, s9
                                        ; implicit-def: $vgpr6
; %bb.442:                              ;   in Loop: Header=BB344_264 Depth=1
	s_andn2_saveexec_b64 s[6:7], s[0:1]
; %bb.443:                              ;   in Loop: Header=BB344_264 Depth=1
	v_or_b32_e32 v4, 0x10000, v6
	v_cmp_eq_u32_sdwa s[0:1], v6, v21 src0_sel:WORD_0 src1_sel:DWORD
	s_nop 1
	v_cndmask_b32_e64 v4, v4, v6, s[0:1]
; %bb.444:                              ;   in Loop: Header=BB344_264 Depth=1
	s_or_b64 exec, exec, s[6:7]
	v_and_b32_e32 v6, 0xff, v5
	v_cvt_f32_fp8_sdwa v6, v6 src0_sel:BYTE_0
	s_nop 0
	v_mul_f32_e32 v6, v34, v6
	v_and_b32_e32 v8, 0x7f800000, v6
	v_cmp_ne_u32_e64 s[0:1], s8, v8
                                        ; implicit-def: $vgpr8
	s_and_saveexec_b64 s[6:7], s[0:1]
	s_xor_b64 s[0:1], exec, s[6:7]
; %bb.445:                              ;   in Loop: Header=BB344_264 Depth=1
	v_bfe_u32 v8, v6, 16, 1
	v_add3_u32 v8, v6, v8, s9
                                        ; implicit-def: $vgpr6
; %bb.446:                              ;   in Loop: Header=BB344_264 Depth=1
	s_andn2_saveexec_b64 s[6:7], s[0:1]
; %bb.447:                              ;   in Loop: Header=BB344_264 Depth=1
	v_or_b32_e32 v8, 0x10000, v6
	v_cmp_eq_u32_sdwa s[0:1], v6, v21 src0_sel:WORD_0 src1_sel:DWORD
	s_nop 1
	v_cndmask_b32_e64 v8, v8, v6, s[0:1]
; %bb.448:                              ;   in Loop: Header=BB344_264 Depth=1
	s_or_b64 exec, exec, s[6:7]
	v_bfe_u32 v6, v5, 8, 8
	v_cvt_f32_fp8_sdwa v6, v6 src0_sel:BYTE_0
	s_nop 0
	v_mul_f32_e32 v9, v34, v6
	v_and_b32_e32 v6, 0x7f800000, v9
	v_cmp_ne_u32_e64 s[0:1], s8, v6
                                        ; implicit-def: $vgpr6
	s_and_saveexec_b64 s[6:7], s[0:1]
	s_xor_b64 s[0:1], exec, s[6:7]
; %bb.449:                              ;   in Loop: Header=BB344_264 Depth=1
	v_bfe_u32 v6, v9, 16, 1
	v_add3_u32 v6, v9, v6, s9
                                        ; implicit-def: $vgpr9
; %bb.450:                              ;   in Loop: Header=BB344_264 Depth=1
	s_andn2_saveexec_b64 s[6:7], s[0:1]
; %bb.451:                              ;   in Loop: Header=BB344_264 Depth=1
	v_or_b32_e32 v6, 0x10000, v9
	v_cmp_eq_u32_sdwa s[0:1], v9, v21 src0_sel:WORD_0 src1_sel:DWORD
	s_nop 1
	v_cndmask_b32_e64 v6, v6, v9, s[0:1]
; %bb.452:                              ;   in Loop: Header=BB344_264 Depth=1
	s_or_b64 exec, exec, s[6:7]
	v_bfe_u32 v9, v5, 16, 8
	v_cvt_f32_fp8_sdwa v9, v9 src0_sel:BYTE_0
	s_nop 0
	v_mul_f32_e32 v9, v34, v9
	v_and_b32_e32 v18, 0x7f800000, v9
	v_cmp_ne_u32_e64 s[0:1], s8, v18
                                        ; implicit-def: $vgpr18
	s_and_saveexec_b64 s[6:7], s[0:1]
	s_xor_b64 s[0:1], exec, s[6:7]
; %bb.453:                              ;   in Loop: Header=BB344_264 Depth=1
	v_bfe_u32 v18, v9, 16, 1
	v_add3_u32 v18, v9, v18, s9
                                        ; implicit-def: $vgpr9
; %bb.454:                              ;   in Loop: Header=BB344_264 Depth=1
	s_andn2_saveexec_b64 s[6:7], s[0:1]
; %bb.455:                              ;   in Loop: Header=BB344_264 Depth=1
	v_or_b32_e32 v18, 0x10000, v9
	v_cmp_eq_u32_sdwa s[0:1], v9, v21 src0_sel:WORD_0 src1_sel:DWORD
	s_nop 1
	v_cndmask_b32_e64 v18, v18, v9, s[0:1]
; %bb.456:                              ;   in Loop: Header=BB344_264 Depth=1
	s_or_b64 exec, exec, s[6:7]
	v_lshrrev_b32_e32 v5, 24, v5
	v_cvt_f32_fp8_sdwa v5, v5 src0_sel:BYTE_0
                                        ; implicit-def: $vgpr19
	s_nop 0
	v_mul_f32_e32 v5, v34, v5
	v_and_b32_e32 v9, 0x7f800000, v5
	v_cmp_ne_u32_e64 s[0:1], s8, v9
	s_and_saveexec_b64 s[6:7], s[0:1]
	s_xor_b64 s[0:1], exec, s[6:7]
; %bb.457:                              ;   in Loop: Header=BB344_264 Depth=1
	v_bfe_u32 v9, v5, 16, 1
	v_add3_u32 v19, v5, v9, s9
                                        ; implicit-def: $vgpr5
; %bb.458:                              ;   in Loop: Header=BB344_264 Depth=1
	s_andn2_saveexec_b64 s[6:7], s[0:1]
; %bb.459:                              ;   in Loop: Header=BB344_264 Depth=1
	v_or_b32_e32 v9, 0x10000, v5
	v_cmp_eq_u32_sdwa s[0:1], v5, v21 src0_sel:WORD_0 src1_sel:DWORD
	s_nop 1
	v_cndmask_b32_e64 v19, v9, v5, s[0:1]
; %bb.460:                              ;   in Loop: Header=BB344_264 Depth=1
	s_or_b64 exec, exec, s[6:7]
	v_lshrrev_b32_e32 v6, 16, v6
	v_lshrrev_b32_e32 v8, 16, v8
	;; [unrolled: 1-line block ×8, first 2 shown]
	s_and_saveexec_b64 s[6:7], vcc
	s_cbranch_execz .LBB344_462
; %bb.461:                              ;   in Loop: Header=BB344_264 Depth=1
	v_accvgpr_read_b32 v18, a20
	v_cmp_lt_i32_e64 s[0:1], v18, v29
	v_accvgpr_read_b32 v18, a26
	s_nop 0
	v_cndmask_b32_e64 v0, 0, v0, s[0:1]
	v_cmp_lt_i32_e64 s[0:1], v18, v29
	v_accvgpr_read_b32 v18, a25
	s_nop 0
	v_cndmask_b32_e64 v1, 0, v1, s[0:1]
	;; [unrolled: 4-line block ×6, first 2 shown]
	v_cmp_lt_i32_e64 s[0:1], v18, v29
	s_nop 1
	v_cndmask_b32_e64 v5, 0, v5, s[0:1]
	v_cmp_lt_i32_e64 s[0:1], v24, v29
	s_nop 1
	v_cndmask_b32_e64 v4, 0, v4, s[0:1]
.LBB344_462:                            ;   in Loop: Header=BB344_264 Depth=1
	s_or_b64 exec, exec, s[6:7]
	v_lshlrev_b32_e32 v0, 16, v0
	v_mul_f32_e32 v0, v54, v0
	v_and_b32_e32 v18, 0x7f800000, v0
	v_cmp_ne_u32_e64 s[0:1], s8, v18
                                        ; implicit-def: $agpr35
	s_and_saveexec_b64 s[6:7], s[0:1]
	s_xor_b64 s[0:1], exec, s[6:7]
; %bb.463:                              ;   in Loop: Header=BB344_264 Depth=1
	v_bfe_u32 v18, v0, 16, 1
	v_add3_u32 v0, v0, v18, s9
	v_accvgpr_write_b32 a35, v0
                                        ; implicit-def: $vgpr0
; %bb.464:                              ;   in Loop: Header=BB344_264 Depth=1
	s_andn2_saveexec_b64 s[6:7], s[0:1]
; %bb.465:                              ;   in Loop: Header=BB344_264 Depth=1
	v_or_b32_e32 v18, 0x10000, v0
	v_cmp_eq_u32_sdwa s[0:1], v0, v21 src0_sel:WORD_0 src1_sel:DWORD
	s_nop 1
	v_cndmask_b32_e64 v0, v18, v0, s[0:1]
	v_accvgpr_write_b32 a35, v0
; %bb.466:                              ;   in Loop: Header=BB344_264 Depth=1
	s_or_b64 exec, exec, s[6:7]
	v_lshlrev_b32_e32 v0, 16, v1
	v_mul_f32_e32 v0, v55, v0
	v_and_b32_e32 v1, 0x7f800000, v0
	v_cmp_ne_u32_e64 s[0:1], s8, v1
                                        ; implicit-def: $vgpr63
	s_and_saveexec_b64 s[6:7], s[0:1]
	s_xor_b64 s[0:1], exec, s[6:7]
; %bb.467:                              ;   in Loop: Header=BB344_264 Depth=1
	v_bfe_u32 v1, v0, 16, 1
	v_add3_u32 v63, v0, v1, s9
                                        ; implicit-def: $vgpr0
; %bb.468:                              ;   in Loop: Header=BB344_264 Depth=1
	s_andn2_saveexec_b64 s[6:7], s[0:1]
; %bb.469:                              ;   in Loop: Header=BB344_264 Depth=1
	v_or_b32_e32 v1, 0x10000, v0
	v_cmp_eq_u32_sdwa s[0:1], v0, v21 src0_sel:WORD_0 src1_sel:DWORD
	s_nop 1
	v_cndmask_b32_e64 v63, v1, v0, s[0:1]
; %bb.470:                              ;   in Loop: Header=BB344_264 Depth=1
	s_or_b64 exec, exec, s[6:7]
	v_lshlrev_b32_e32 v0, 16, v7
	v_mul_f32_e32 v0, v40, v0
	v_and_b32_e32 v1, 0x7f800000, v0
	v_cmp_ne_u32_e64 s[0:1], s8, v1
                                        ; implicit-def: $vgpr33
	s_and_saveexec_b64 s[6:7], s[0:1]
	s_xor_b64 s[0:1], exec, s[6:7]
; %bb.471:                              ;   in Loop: Header=BB344_264 Depth=1
	v_bfe_u32 v1, v0, 16, 1
	v_add3_u32 v33, v0, v1, s9
                                        ; implicit-def: $vgpr0
; %bb.472:                              ;   in Loop: Header=BB344_264 Depth=1
	s_andn2_saveexec_b64 s[6:7], s[0:1]
; %bb.473:                              ;   in Loop: Header=BB344_264 Depth=1
	v_or_b32_e32 v1, 0x10000, v0
	v_cmp_eq_u32_sdwa s[0:1], v0, v21 src0_sel:WORD_0 src1_sel:DWORD
	s_nop 1
	v_cndmask_b32_e64 v33, v1, v0, s[0:1]
; %bb.474:                              ;   in Loop: Header=BB344_264 Depth=1
	s_or_b64 exec, exec, s[6:7]
	v_lshlrev_b32_e32 v0, 16, v9
	v_mul_f32_e32 v0, v41, v0
	v_and_b32_e32 v1, 0x7f800000, v0
	v_cmp_ne_u32_e64 s[0:1], s8, v1
                                        ; implicit-def: $vgpr19
	s_and_saveexec_b64 s[6:7], s[0:1]
	s_xor_b64 s[0:1], exec, s[6:7]
; %bb.475:                              ;   in Loop: Header=BB344_264 Depth=1
	v_bfe_u32 v1, v0, 16, 1
	v_add3_u32 v19, v0, v1, s9
                                        ; implicit-def: $vgpr0
; %bb.476:                              ;   in Loop: Header=BB344_264 Depth=1
	s_andn2_saveexec_b64 s[6:7], s[0:1]
; %bb.477:                              ;   in Loop: Header=BB344_264 Depth=1
	v_or_b32_e32 v1, 0x10000, v0
	v_cmp_eq_u32_sdwa s[0:1], v0, v21 src0_sel:WORD_0 src1_sel:DWORD
	s_nop 1
	v_cndmask_b32_e64 v19, v1, v0, s[0:1]
; %bb.478:                              ;   in Loop: Header=BB344_264 Depth=1
	s_or_b64 exec, exec, s[6:7]
	v_lshlrev_b32_e32 v0, 16, v8
	v_mul_f32_e32 v0, v42, v0
	v_and_b32_e32 v1, 0x7f800000, v0
	v_cmp_ne_u32_e64 s[0:1], s8, v1
                                        ; implicit-def: $vgpr1
	s_and_saveexec_b64 s[6:7], s[0:1]
	s_xor_b64 s[0:1], exec, s[6:7]
; %bb.479:                              ;   in Loop: Header=BB344_264 Depth=1
	v_bfe_u32 v1, v0, 16, 1
	v_add3_u32 v1, v0, v1, s9
                                        ; implicit-def: $vgpr0
; %bb.480:                              ;   in Loop: Header=BB344_264 Depth=1
	s_andn2_saveexec_b64 s[6:7], s[0:1]
; %bb.481:                              ;   in Loop: Header=BB344_264 Depth=1
	v_or_b32_e32 v1, 0x10000, v0
	v_cmp_eq_u32_sdwa s[0:1], v0, v21 src0_sel:WORD_0 src1_sel:DWORD
	s_nop 1
	v_cndmask_b32_e64 v1, v1, v0, s[0:1]
; %bb.482:                              ;   in Loop: Header=BB344_264 Depth=1
	s_or_b64 exec, exec, s[6:7]
	v_lshlrev_b32_e32 v0, 16, v6
	v_mul_f32_e32 v6, v43, v0
	v_and_b32_e32 v0, 0x7f800000, v6
	v_cmp_ne_u32_e64 s[0:1], s8, v0
                                        ; implicit-def: $vgpr0
	s_and_saveexec_b64 s[6:7], s[0:1]
	s_xor_b64 s[0:1], exec, s[6:7]
; %bb.483:                              ;   in Loop: Header=BB344_264 Depth=1
	v_bfe_u32 v0, v6, 16, 1
	v_add3_u32 v0, v6, v0, s9
                                        ; implicit-def: $vgpr6
; %bb.484:                              ;   in Loop: Header=BB344_264 Depth=1
	s_andn2_saveexec_b64 s[6:7], s[0:1]
; %bb.485:                              ;   in Loop: Header=BB344_264 Depth=1
	v_or_b32_e32 v0, 0x10000, v6
	v_cmp_eq_u32_sdwa s[0:1], v6, v21 src0_sel:WORD_0 src1_sel:DWORD
	s_nop 1
	v_cndmask_b32_e64 v0, v0, v6, s[0:1]
; %bb.486:                              ;   in Loop: Header=BB344_264 Depth=1
	s_or_b64 exec, exec, s[6:7]
	v_lshlrev_b32_e32 v5, 16, v5
	v_mul_f32_e32 v5, v44, v5
	v_and_b32_e32 v6, 0x7f800000, v5
	v_cmp_ne_u32_e64 s[0:1], s8, v6
                                        ; implicit-def: $vgpr28
	s_and_saveexec_b64 s[6:7], s[0:1]
	s_xor_b64 s[0:1], exec, s[6:7]
; %bb.487:                              ;   in Loop: Header=BB344_264 Depth=1
	v_bfe_u32 v6, v5, 16, 1
	v_add3_u32 v28, v5, v6, s9
                                        ; implicit-def: $vgpr5
; %bb.488:                              ;   in Loop: Header=BB344_264 Depth=1
	s_andn2_saveexec_b64 s[6:7], s[0:1]
; %bb.489:                              ;   in Loop: Header=BB344_264 Depth=1
	v_or_b32_e32 v6, 0x10000, v5
	v_cmp_eq_u32_sdwa s[0:1], v5, v21 src0_sel:WORD_0 src1_sel:DWORD
	s_nop 1
	v_cndmask_b32_e64 v28, v6, v5, s[0:1]
; %bb.490:                              ;   in Loop: Header=BB344_264 Depth=1
	s_or_b64 exec, exec, s[6:7]
	v_lshlrev_b32_e32 v4, 16, v4
	v_mul_f32_e32 v4, v45, v4
	v_and_b32_e32 v5, 0x7f800000, v4
	v_cmp_ne_u32_e64 s[0:1], s8, v5
                                        ; implicit-def: $vgpr31
	s_and_saveexec_b64 s[6:7], s[0:1]
	s_xor_b64 s[0:1], exec, s[6:7]
; %bb.491:                              ;   in Loop: Header=BB344_264 Depth=1
	v_bfe_u32 v5, v4, 16, 1
	v_add3_u32 v31, v4, v5, s9
                                        ; implicit-def: $vgpr4
; %bb.492:                              ;   in Loop: Header=BB344_264 Depth=1
	s_andn2_saveexec_b64 s[6:7], s[0:1]
; %bb.493:                              ;   in Loop: Header=BB344_264 Depth=1
	v_or_b32_e32 v5, 0x10000, v4
	v_cmp_eq_u32_sdwa s[0:1], v4, v21 src0_sel:WORD_0 src1_sel:DWORD
	s_nop 1
	v_cndmask_b32_e64 v31, v5, v4, s[0:1]
; %bb.494:                              ;   in Loop: Header=BB344_264 Depth=1
	s_or_b64 exec, exec, s[6:7]
	flat_load_dwordx2 v[4:5], v[2:3] offset:1536
	s_waitcnt vmcnt(0) lgkmcnt(0)
	v_and_b32_e32 v6, 0xff, v4
	v_cvt_f32_fp8_sdwa v6, v6 src0_sel:BYTE_0
	s_nop 0
	v_mul_f32_e32 v7, v34, v6
	v_and_b32_e32 v6, 0x7f800000, v7
	v_cmp_ne_u32_e64 s[0:1], s8, v6
                                        ; implicit-def: $vgpr6
	s_and_saveexec_b64 s[6:7], s[0:1]
	s_xor_b64 s[0:1], exec, s[6:7]
; %bb.495:                              ;   in Loop: Header=BB344_264 Depth=1
	v_bfe_u32 v6, v7, 16, 1
	v_add3_u32 v6, v7, v6, s9
                                        ; implicit-def: $vgpr7
; %bb.496:                              ;   in Loop: Header=BB344_264 Depth=1
	s_andn2_saveexec_b64 s[6:7], s[0:1]
; %bb.497:                              ;   in Loop: Header=BB344_264 Depth=1
	v_or_b32_e32 v6, 0x10000, v7
	v_cmp_eq_u32_sdwa s[0:1], v7, v21 src0_sel:WORD_0 src1_sel:DWORD
	s_nop 1
	v_cndmask_b32_e64 v6, v6, v7, s[0:1]
; %bb.498:                              ;   in Loop: Header=BB344_264 Depth=1
	s_or_b64 exec, exec, s[6:7]
	v_bfe_u32 v7, v4, 8, 8
	v_cvt_f32_fp8_sdwa v7, v7 src0_sel:BYTE_0
	s_nop 0
	v_mul_f32_e32 v8, v34, v7
	v_and_b32_e32 v7, 0x7f800000, v8
	v_cmp_ne_u32_e64 s[0:1], s8, v7
                                        ; implicit-def: $vgpr7
	s_and_saveexec_b64 s[6:7], s[0:1]
	s_xor_b64 s[0:1], exec, s[6:7]
; %bb.499:                              ;   in Loop: Header=BB344_264 Depth=1
	v_bfe_u32 v7, v8, 16, 1
	v_add3_u32 v7, v8, v7, s9
                                        ; implicit-def: $vgpr8
; %bb.500:                              ;   in Loop: Header=BB344_264 Depth=1
	s_andn2_saveexec_b64 s[6:7], s[0:1]
; %bb.501:                              ;   in Loop: Header=BB344_264 Depth=1
	v_or_b32_e32 v7, 0x10000, v8
	v_cmp_eq_u32_sdwa s[0:1], v8, v21 src0_sel:WORD_0 src1_sel:DWORD
	s_nop 1
	v_cndmask_b32_e64 v7, v7, v8, s[0:1]
; %bb.502:                              ;   in Loop: Header=BB344_264 Depth=1
	s_or_b64 exec, exec, s[6:7]
	v_bfe_u32 v8, v4, 16, 8
	v_cvt_f32_fp8_sdwa v8, v8 src0_sel:BYTE_0
	s_nop 0
	v_mul_f32_e32 v8, v34, v8
	v_and_b32_e32 v9, 0x7f800000, v8
	v_cmp_ne_u32_e64 s[0:1], s8, v9
                                        ; implicit-def: $vgpr9
	s_and_saveexec_b64 s[6:7], s[0:1]
	s_xor_b64 s[0:1], exec, s[6:7]
; %bb.503:                              ;   in Loop: Header=BB344_264 Depth=1
	v_bfe_u32 v9, v8, 16, 1
	v_add3_u32 v9, v8, v9, s9
                                        ; implicit-def: $vgpr8
; %bb.504:                              ;   in Loop: Header=BB344_264 Depth=1
	s_andn2_saveexec_b64 s[6:7], s[0:1]
; %bb.505:                              ;   in Loop: Header=BB344_264 Depth=1
	v_or_b32_e32 v9, 0x10000, v8
	v_cmp_eq_u32_sdwa s[0:1], v8, v21 src0_sel:WORD_0 src1_sel:DWORD
	s_nop 1
	v_cndmask_b32_e64 v9, v9, v8, s[0:1]
; %bb.506:                              ;   in Loop: Header=BB344_264 Depth=1
	s_or_b64 exec, exec, s[6:7]
	v_lshrrev_b32_e32 v4, 24, v4
	v_cvt_f32_fp8_sdwa v4, v4 src0_sel:BYTE_0
	s_nop 0
	v_mul_f32_e32 v8, v34, v4
	v_and_b32_e32 v4, 0x7f800000, v8
	v_cmp_ne_u32_e64 s[0:1], s8, v4
                                        ; implicit-def: $vgpr4
	s_and_saveexec_b64 s[6:7], s[0:1]
	s_xor_b64 s[0:1], exec, s[6:7]
; %bb.507:                              ;   in Loop: Header=BB344_264 Depth=1
	v_bfe_u32 v4, v8, 16, 1
	v_add3_u32 v4, v8, v4, s9
                                        ; implicit-def: $vgpr8
; %bb.508:                              ;   in Loop: Header=BB344_264 Depth=1
	s_andn2_saveexec_b64 s[6:7], s[0:1]
; %bb.509:                              ;   in Loop: Header=BB344_264 Depth=1
	v_or_b32_e32 v4, 0x10000, v8
	v_cmp_eq_u32_sdwa s[0:1], v8, v21 src0_sel:WORD_0 src1_sel:DWORD
	s_nop 1
	v_cndmask_b32_e64 v4, v4, v8, s[0:1]
; %bb.510:                              ;   in Loop: Header=BB344_264 Depth=1
	s_or_b64 exec, exec, s[6:7]
	v_and_b32_e32 v8, 0xff, v5
	v_cvt_f32_fp8_sdwa v8, v8 src0_sel:BYTE_0
	s_nop 0
	v_mul_f32_e32 v8, v34, v8
	v_and_b32_e32 v18, 0x7f800000, v8
	v_cmp_ne_u32_e64 s[0:1], s8, v18
                                        ; implicit-def: $vgpr18
	s_and_saveexec_b64 s[6:7], s[0:1]
	s_xor_b64 s[0:1], exec, s[6:7]
; %bb.511:                              ;   in Loop: Header=BB344_264 Depth=1
	v_bfe_u32 v18, v8, 16, 1
	v_add3_u32 v18, v8, v18, s9
                                        ; implicit-def: $vgpr8
; %bb.512:                              ;   in Loop: Header=BB344_264 Depth=1
	s_andn2_saveexec_b64 s[6:7], s[0:1]
; %bb.513:                              ;   in Loop: Header=BB344_264 Depth=1
	v_or_b32_e32 v18, 0x10000, v8
	v_cmp_eq_u32_sdwa s[0:1], v8, v21 src0_sel:WORD_0 src1_sel:DWORD
	s_nop 1
	v_cndmask_b32_e64 v18, v18, v8, s[0:1]
; %bb.514:                              ;   in Loop: Header=BB344_264 Depth=1
	s_or_b64 exec, exec, s[6:7]
	v_bfe_u32 v8, v5, 8, 8
	v_cvt_f32_fp8_sdwa v8, v8 src0_sel:BYTE_0
	s_nop 0
	v_mul_f32_e32 v22, v34, v8
	v_and_b32_e32 v8, 0x7f800000, v22
	v_cmp_ne_u32_e64 s[0:1], s8, v8
                                        ; implicit-def: $vgpr8
	s_and_saveexec_b64 s[6:7], s[0:1]
	s_xor_b64 s[0:1], exec, s[6:7]
; %bb.515:                              ;   in Loop: Header=BB344_264 Depth=1
	v_bfe_u32 v8, v22, 16, 1
	v_add3_u32 v8, v22, v8, s9
                                        ; implicit-def: $vgpr22
; %bb.516:                              ;   in Loop: Header=BB344_264 Depth=1
	s_andn2_saveexec_b64 s[6:7], s[0:1]
; %bb.517:                              ;   in Loop: Header=BB344_264 Depth=1
	v_or_b32_e32 v8, 0x10000, v22
	v_cmp_eq_u32_sdwa s[0:1], v22, v21 src0_sel:WORD_0 src1_sel:DWORD
	s_nop 1
	v_cndmask_b32_e64 v8, v8, v22, s[0:1]
; %bb.518:                              ;   in Loop: Header=BB344_264 Depth=1
	s_or_b64 exec, exec, s[6:7]
	v_bfe_u32 v22, v5, 16, 8
	v_cvt_f32_fp8_sdwa v22, v22 src0_sel:BYTE_0
	s_nop 0
	v_mul_f32_e32 v25, v34, v22
	v_and_b32_e32 v22, 0x7f800000, v25
	v_cmp_ne_u32_e64 s[0:1], s8, v22
                                        ; implicit-def: $vgpr22
	s_and_saveexec_b64 s[6:7], s[0:1]
	s_xor_b64 s[0:1], exec, s[6:7]
; %bb.519:                              ;   in Loop: Header=BB344_264 Depth=1
	v_bfe_u32 v22, v25, 16, 1
	v_add3_u32 v22, v25, v22, s9
                                        ; implicit-def: $vgpr25
; %bb.520:                              ;   in Loop: Header=BB344_264 Depth=1
	s_andn2_saveexec_b64 s[6:7], s[0:1]
; %bb.521:                              ;   in Loop: Header=BB344_264 Depth=1
	v_or_b32_e32 v22, 0x10000, v25
	v_cmp_eq_u32_sdwa s[0:1], v25, v21 src0_sel:WORD_0 src1_sel:DWORD
	s_nop 1
	v_cndmask_b32_e64 v22, v22, v25, s[0:1]
; %bb.522:                              ;   in Loop: Header=BB344_264 Depth=1
	s_or_b64 exec, exec, s[6:7]
	v_lshrrev_b32_e32 v5, 24, v5
	v_cvt_f32_fp8_sdwa v5, v5 src0_sel:BYTE_0
	s_nop 0
	v_mul_f32_e32 v5, v34, v5
	v_and_b32_e32 v25, 0x7f800000, v5
	v_cmp_ne_u32_e64 s[0:1], s8, v25
                                        ; implicit-def: $vgpr25
	s_and_saveexec_b64 s[6:7], s[0:1]
	s_xor_b64 s[0:1], exec, s[6:7]
; %bb.523:                              ;   in Loop: Header=BB344_264 Depth=1
	v_bfe_u32 v25, v5, 16, 1
	v_add3_u32 v25, v5, v25, s9
                                        ; implicit-def: $vgpr5
; %bb.524:                              ;   in Loop: Header=BB344_264 Depth=1
	s_andn2_saveexec_b64 s[6:7], s[0:1]
; %bb.525:                              ;   in Loop: Header=BB344_264 Depth=1
	v_or_b32_e32 v25, 0x10000, v5
	v_cmp_eq_u32_sdwa s[0:1], v5, v21 src0_sel:WORD_0 src1_sel:DWORD
	s_nop 1
	v_cndmask_b32_e64 v25, v25, v5, s[0:1]
; %bb.526:                              ;   in Loop: Header=BB344_264 Depth=1
	s_or_b64 exec, exec, s[6:7]
	v_lshrrev_b32_e32 v8, 16, v8
	v_lshrrev_b32_e32 v18, 16, v18
	;; [unrolled: 1-line block ×8, first 2 shown]
	s_and_saveexec_b64 s[6:7], vcc
	s_cbranch_execz .LBB344_528
; %bb.527:                              ;   in Loop: Header=BB344_264 Depth=1
	v_accvgpr_read_b32 v22, a20
	v_cmp_lt_i32_e64 s[0:1], v22, v29
	v_accvgpr_read_b32 v22, a26
	s_nop 0
	v_cndmask_b32_e64 v6, 0, v6, s[0:1]
	v_cmp_lt_i32_e64 s[0:1], v22, v29
	v_accvgpr_read_b32 v22, a25
	s_nop 0
	v_cndmask_b32_e64 v7, 0, v7, s[0:1]
	;; [unrolled: 4-line block ×6, first 2 shown]
	v_cmp_lt_i32_e64 s[0:1], v22, v29
	s_nop 1
	v_cndmask_b32_e64 v5, 0, v5, s[0:1]
	v_cmp_lt_i32_e64 s[0:1], v24, v29
	s_nop 1
	v_cndmask_b32_e64 v4, 0, v4, s[0:1]
.LBB344_528:                            ;   in Loop: Header=BB344_264 Depth=1
	s_or_b64 exec, exec, s[6:7]
	v_lshlrev_b32_e32 v6, 16, v6
	v_mul_f32_e32 v6, v54, v6
	v_and_b32_e32 v22, 0x7f800000, v6
	v_cmp_ne_u32_e64 s[0:1], s8, v22
                                        ; implicit-def: $vgpr22
	s_and_saveexec_b64 s[6:7], s[0:1]
	s_xor_b64 s[0:1], exec, s[6:7]
; %bb.529:                              ;   in Loop: Header=BB344_264 Depth=1
	v_bfe_u32 v22, v6, 16, 1
	v_add3_u32 v22, v6, v22, s9
                                        ; implicit-def: $vgpr6
; %bb.530:                              ;   in Loop: Header=BB344_264 Depth=1
	s_andn2_saveexec_b64 s[6:7], s[0:1]
; %bb.531:                              ;   in Loop: Header=BB344_264 Depth=1
	v_or_b32_e32 v22, 0x10000, v6
	v_cmp_eq_u32_sdwa s[0:1], v6, v21 src0_sel:WORD_0 src1_sel:DWORD
	s_nop 1
	v_cndmask_b32_e64 v22, v22, v6, s[0:1]
; %bb.532:                              ;   in Loop: Header=BB344_264 Depth=1
	s_or_b64 exec, exec, s[6:7]
	v_lshlrev_b32_e32 v6, 16, v7
	v_mul_f32_e32 v6, v55, v6
	v_and_b32_e32 v7, 0x7f800000, v6
	v_cmp_ne_u32_e64 s[0:1], s8, v7
                                        ; implicit-def: $vgpr25
	s_and_saveexec_b64 s[6:7], s[0:1]
	s_xor_b64 s[0:1], exec, s[6:7]
; %bb.533:                              ;   in Loop: Header=BB344_264 Depth=1
	v_bfe_u32 v7, v6, 16, 1
	v_add3_u32 v25, v6, v7, s9
                                        ; implicit-def: $vgpr6
; %bb.534:                              ;   in Loop: Header=BB344_264 Depth=1
	s_andn2_saveexec_b64 s[6:7], s[0:1]
; %bb.535:                              ;   in Loop: Header=BB344_264 Depth=1
	v_or_b32_e32 v7, 0x10000, v6
	v_cmp_eq_u32_sdwa s[0:1], v6, v21 src0_sel:WORD_0 src1_sel:DWORD
	s_nop 1
	v_cndmask_b32_e64 v25, v7, v6, s[0:1]
; %bb.536:                              ;   in Loop: Header=BB344_264 Depth=1
	s_or_b64 exec, exec, s[6:7]
	v_lshlrev_b32_e32 v6, 16, v9
	v_mul_f32_e32 v6, v40, v6
	v_and_b32_e32 v7, 0x7f800000, v6
	v_cmp_ne_u32_e64 s[0:1], s8, v7
                                        ; implicit-def: $vgpr30
	s_and_saveexec_b64 s[6:7], s[0:1]
	s_xor_b64 s[0:1], exec, s[6:7]
; %bb.537:                              ;   in Loop: Header=BB344_264 Depth=1
	v_bfe_u32 v7, v6, 16, 1
	v_add3_u32 v30, v6, v7, s9
                                        ; implicit-def: $vgpr6
; %bb.538:                              ;   in Loop: Header=BB344_264 Depth=1
	s_andn2_saveexec_b64 s[6:7], s[0:1]
; %bb.539:                              ;   in Loop: Header=BB344_264 Depth=1
	v_or_b32_e32 v7, 0x10000, v6
	v_cmp_eq_u32_sdwa s[0:1], v6, v21 src0_sel:WORD_0 src1_sel:DWORD
	s_nop 1
	v_cndmask_b32_e64 v30, v7, v6, s[0:1]
; %bb.540:                              ;   in Loop: Header=BB344_264 Depth=1
	s_or_b64 exec, exec, s[6:7]
	v_lshlrev_b32_e32 v6, 16, v26
	v_mul_f32_e32 v6, v41, v6
	v_and_b32_e32 v7, 0x7f800000, v6
	v_cmp_ne_u32_e64 s[0:1], s8, v7
                                        ; implicit-def: $vgpr32
	s_and_saveexec_b64 s[6:7], s[0:1]
	s_xor_b64 s[0:1], exec, s[6:7]
; %bb.541:                              ;   in Loop: Header=BB344_264 Depth=1
	v_bfe_u32 v7, v6, 16, 1
	v_add3_u32 v32, v6, v7, s9
                                        ; implicit-def: $vgpr6
; %bb.542:                              ;   in Loop: Header=BB344_264 Depth=1
	s_andn2_saveexec_b64 s[6:7], s[0:1]
; %bb.543:                              ;   in Loop: Header=BB344_264 Depth=1
	v_or_b32_e32 v7, 0x10000, v6
	v_cmp_eq_u32_sdwa s[0:1], v6, v21 src0_sel:WORD_0 src1_sel:DWORD
	s_nop 1
	v_cndmask_b32_e64 v32, v7, v6, s[0:1]
; %bb.544:                              ;   in Loop: Header=BB344_264 Depth=1
	s_or_b64 exec, exec, s[6:7]
	v_lshlrev_b32_e32 v6, 16, v18
	v_mul_f32_e32 v6, v42, v6
	v_and_b32_e32 v7, 0x7f800000, v6
	v_cmp_ne_u32_e64 s[0:1], s8, v7
                                        ; implicit-def: $vgpr26
	s_and_saveexec_b64 s[6:7], s[0:1]
	s_xor_b64 s[0:1], exec, s[6:7]
; %bb.545:                              ;   in Loop: Header=BB344_264 Depth=1
	v_bfe_u32 v7, v6, 16, 1
	v_add3_u32 v26, v6, v7, s9
                                        ; implicit-def: $vgpr6
; %bb.546:                              ;   in Loop: Header=BB344_264 Depth=1
	s_andn2_saveexec_b64 s[6:7], s[0:1]
; %bb.547:                              ;   in Loop: Header=BB344_264 Depth=1
	v_or_b32_e32 v7, 0x10000, v6
	v_cmp_eq_u32_sdwa s[0:1], v6, v21 src0_sel:WORD_0 src1_sel:DWORD
	s_nop 1
	v_cndmask_b32_e64 v26, v7, v6, s[0:1]
; %bb.548:                              ;   in Loop: Header=BB344_264 Depth=1
	s_or_b64 exec, exec, s[6:7]
	v_lshlrev_b32_e32 v6, 16, v8
	v_mul_f32_e32 v7, v43, v6
	v_and_b32_e32 v6, 0x7f800000, v7
	v_cmp_ne_u32_e64 s[0:1], s8, v6
                                        ; implicit-def: $vgpr6
	s_and_saveexec_b64 s[6:7], s[0:1]
	s_xor_b64 s[0:1], exec, s[6:7]
; %bb.549:                              ;   in Loop: Header=BB344_264 Depth=1
	v_bfe_u32 v6, v7, 16, 1
	v_add3_u32 v6, v7, v6, s9
                                        ; implicit-def: $vgpr7
; %bb.550:                              ;   in Loop: Header=BB344_264 Depth=1
	s_andn2_saveexec_b64 s[6:7], s[0:1]
; %bb.551:                              ;   in Loop: Header=BB344_264 Depth=1
	v_or_b32_e32 v6, 0x10000, v7
	v_cmp_eq_u32_sdwa s[0:1], v7, v21 src0_sel:WORD_0 src1_sel:DWORD
	s_nop 1
	v_cndmask_b32_e64 v6, v6, v7, s[0:1]
; %bb.552:                              ;   in Loop: Header=BB344_264 Depth=1
	s_or_b64 exec, exec, s[6:7]
	v_lshlrev_b32_e32 v5, 16, v5
	v_mul_f32_e32 v5, v44, v5
	v_and_b32_e32 v7, 0x7f800000, v5
	v_cmp_ne_u32_e64 s[0:1], s8, v7
                                        ; implicit-def: $vgpr18
	s_and_saveexec_b64 s[6:7], s[0:1]
	s_xor_b64 s[0:1], exec, s[6:7]
; %bb.553:                              ;   in Loop: Header=BB344_264 Depth=1
	v_bfe_u32 v7, v5, 16, 1
	v_add3_u32 v18, v5, v7, s9
                                        ; implicit-def: $vgpr5
; %bb.554:                              ;   in Loop: Header=BB344_264 Depth=1
	s_andn2_saveexec_b64 s[6:7], s[0:1]
; %bb.555:                              ;   in Loop: Header=BB344_264 Depth=1
	v_or_b32_e32 v7, 0x10000, v5
	v_cmp_eq_u32_sdwa s[0:1], v5, v21 src0_sel:WORD_0 src1_sel:DWORD
	s_nop 1
	v_cndmask_b32_e64 v18, v7, v5, s[0:1]
; %bb.556:                              ;   in Loop: Header=BB344_264 Depth=1
	s_or_b64 exec, exec, s[6:7]
	v_lshlrev_b32_e32 v4, 16, v4
	v_mul_f32_e32 v4, v45, v4
	v_and_b32_e32 v5, 0x7f800000, v4
	v_cmp_ne_u32_e64 s[0:1], s8, v5
                                        ; implicit-def: $vgpr7
	s_and_saveexec_b64 s[6:7], s[0:1]
	s_xor_b64 s[0:1], exec, s[6:7]
; %bb.557:                              ;   in Loop: Header=BB344_264 Depth=1
	v_bfe_u32 v5, v4, 16, 1
	v_add3_u32 v7, v4, v5, s9
                                        ; implicit-def: $vgpr4
; %bb.558:                              ;   in Loop: Header=BB344_264 Depth=1
	s_andn2_saveexec_b64 s[6:7], s[0:1]
; %bb.559:                              ;   in Loop: Header=BB344_264 Depth=1
	v_or_b32_e32 v5, 0x10000, v4
	v_cmp_eq_u32_sdwa s[0:1], v4, v21 src0_sel:WORD_0 src1_sel:DWORD
	s_nop 1
	v_cndmask_b32_e64 v7, v5, v4, s[0:1]
; %bb.560:                              ;   in Loop: Header=BB344_264 Depth=1
	s_or_b64 exec, exec, s[6:7]
	flat_load_dwordx2 v[4:5], v[2:3] offset:2048
	s_waitcnt vmcnt(0) lgkmcnt(0)
	v_and_b32_e32 v8, 0xff, v4
	v_cvt_f32_fp8_sdwa v8, v8 src0_sel:BYTE_0
	s_nop 0
	v_mul_f32_e32 v9, v34, v8
	v_and_b32_e32 v8, 0x7f800000, v9
	v_cmp_ne_u32_e64 s[0:1], s8, v8
                                        ; implicit-def: $vgpr8
	s_and_saveexec_b64 s[6:7], s[0:1]
	s_xor_b64 s[0:1], exec, s[6:7]
; %bb.561:                              ;   in Loop: Header=BB344_264 Depth=1
	v_bfe_u32 v8, v9, 16, 1
	v_add3_u32 v8, v9, v8, s9
                                        ; implicit-def: $vgpr9
; %bb.562:                              ;   in Loop: Header=BB344_264 Depth=1
	s_andn2_saveexec_b64 s[6:7], s[0:1]
; %bb.563:                              ;   in Loop: Header=BB344_264 Depth=1
	v_or_b32_e32 v8, 0x10000, v9
	v_cmp_eq_u32_sdwa s[0:1], v9, v21 src0_sel:WORD_0 src1_sel:DWORD
	s_nop 1
	v_cndmask_b32_e64 v8, v8, v9, s[0:1]
; %bb.564:                              ;   in Loop: Header=BB344_264 Depth=1
	s_or_b64 exec, exec, s[6:7]
	v_bfe_u32 v9, v4, 8, 8
	v_cvt_f32_fp8_sdwa v9, v9 src0_sel:BYTE_0
	s_nop 0
	v_mul_f32_e32 v35, v34, v9
	v_and_b32_e32 v9, 0x7f800000, v35
	v_cmp_ne_u32_e64 s[0:1], s8, v9
                                        ; implicit-def: $vgpr9
	s_and_saveexec_b64 s[6:7], s[0:1]
	s_xor_b64 s[0:1], exec, s[6:7]
; %bb.565:                              ;   in Loop: Header=BB344_264 Depth=1
	v_bfe_u32 v9, v35, 16, 1
	v_add3_u32 v9, v35, v9, s9
                                        ; implicit-def: $vgpr35
; %bb.566:                              ;   in Loop: Header=BB344_264 Depth=1
	s_andn2_saveexec_b64 s[6:7], s[0:1]
; %bb.567:                              ;   in Loop: Header=BB344_264 Depth=1
	v_or_b32_e32 v9, 0x10000, v35
	v_cmp_eq_u32_sdwa s[0:1], v35, v21 src0_sel:WORD_0 src1_sel:DWORD
	s_nop 1
	v_cndmask_b32_e64 v9, v9, v35, s[0:1]
; %bb.568:                              ;   in Loop: Header=BB344_264 Depth=1
	s_or_b64 exec, exec, s[6:7]
	v_bfe_u32 v35, v4, 16, 8
	v_cvt_f32_fp8_sdwa v35, v35 src0_sel:BYTE_0
	s_nop 0
	v_mul_f32_e32 v36, v34, v35
	v_and_b32_e32 v35, 0x7f800000, v36
	v_cmp_ne_u32_e64 s[0:1], s8, v35
                                        ; implicit-def: $vgpr35
	s_and_saveexec_b64 s[6:7], s[0:1]
	s_xor_b64 s[0:1], exec, s[6:7]
; %bb.569:                              ;   in Loop: Header=BB344_264 Depth=1
	v_bfe_u32 v35, v36, 16, 1
	v_add3_u32 v35, v36, v35, s9
                                        ; implicit-def: $vgpr36
; %bb.570:                              ;   in Loop: Header=BB344_264 Depth=1
	s_andn2_saveexec_b64 s[6:7], s[0:1]
; %bb.571:                              ;   in Loop: Header=BB344_264 Depth=1
	v_or_b32_e32 v35, 0x10000, v36
	v_cmp_eq_u32_sdwa s[0:1], v36, v21 src0_sel:WORD_0 src1_sel:DWORD
	s_nop 1
	v_cndmask_b32_e64 v35, v35, v36, s[0:1]
; %bb.572:                              ;   in Loop: Header=BB344_264 Depth=1
	s_or_b64 exec, exec, s[6:7]
	v_lshrrev_b32_e32 v4, 24, v4
	v_cvt_f32_fp8_sdwa v4, v4 src0_sel:BYTE_0
	s_nop 0
	v_mul_f32_e32 v36, v34, v4
	v_and_b32_e32 v4, 0x7f800000, v36
	v_cmp_ne_u32_e64 s[0:1], s8, v4
                                        ; implicit-def: $vgpr4
	s_and_saveexec_b64 s[6:7], s[0:1]
	s_xor_b64 s[0:1], exec, s[6:7]
; %bb.573:                              ;   in Loop: Header=BB344_264 Depth=1
	v_bfe_u32 v4, v36, 16, 1
	v_add3_u32 v4, v36, v4, s9
                                        ; implicit-def: $vgpr36
; %bb.574:                              ;   in Loop: Header=BB344_264 Depth=1
	s_andn2_saveexec_b64 s[6:7], s[0:1]
; %bb.575:                              ;   in Loop: Header=BB344_264 Depth=1
	v_or_b32_e32 v4, 0x10000, v36
	v_cmp_eq_u32_sdwa s[0:1], v36, v21 src0_sel:WORD_0 src1_sel:DWORD
	s_nop 1
	v_cndmask_b32_e64 v4, v4, v36, s[0:1]
; %bb.576:                              ;   in Loop: Header=BB344_264 Depth=1
	s_or_b64 exec, exec, s[6:7]
	v_and_b32_e32 v36, 0xff, v5
	v_cvt_f32_fp8_sdwa v36, v36 src0_sel:BYTE_0
	s_nop 0
	v_mul_f32_e32 v37, v34, v36
	v_and_b32_e32 v36, 0x7f800000, v37
	v_cmp_ne_u32_e64 s[0:1], s8, v36
                                        ; implicit-def: $vgpr36
	s_and_saveexec_b64 s[6:7], s[0:1]
	s_xor_b64 s[0:1], exec, s[6:7]
; %bb.577:                              ;   in Loop: Header=BB344_264 Depth=1
	v_bfe_u32 v36, v37, 16, 1
	v_add3_u32 v36, v37, v36, s9
                                        ; implicit-def: $vgpr37
; %bb.578:                              ;   in Loop: Header=BB344_264 Depth=1
	s_andn2_saveexec_b64 s[6:7], s[0:1]
; %bb.579:                              ;   in Loop: Header=BB344_264 Depth=1
	v_or_b32_e32 v36, 0x10000, v37
	v_cmp_eq_u32_sdwa s[0:1], v37, v21 src0_sel:WORD_0 src1_sel:DWORD
	s_nop 1
	v_cndmask_b32_e64 v36, v36, v37, s[0:1]
; %bb.580:                              ;   in Loop: Header=BB344_264 Depth=1
	s_or_b64 exec, exec, s[6:7]
	v_bfe_u32 v37, v5, 8, 8
	v_cvt_f32_fp8_sdwa v37, v37 src0_sel:BYTE_0
	s_nop 0
	v_mul_f32_e32 v38, v34, v37
	v_and_b32_e32 v37, 0x7f800000, v38
	v_cmp_ne_u32_e64 s[0:1], s8, v37
                                        ; implicit-def: $vgpr37
	s_and_saveexec_b64 s[6:7], s[0:1]
	s_xor_b64 s[0:1], exec, s[6:7]
; %bb.581:                              ;   in Loop: Header=BB344_264 Depth=1
	v_bfe_u32 v37, v38, 16, 1
	v_add3_u32 v37, v38, v37, s9
                                        ; implicit-def: $vgpr38
; %bb.582:                              ;   in Loop: Header=BB344_264 Depth=1
	s_andn2_saveexec_b64 s[6:7], s[0:1]
; %bb.583:                              ;   in Loop: Header=BB344_264 Depth=1
	v_or_b32_e32 v37, 0x10000, v38
	v_cmp_eq_u32_sdwa s[0:1], v38, v21 src0_sel:WORD_0 src1_sel:DWORD
	s_nop 1
	v_cndmask_b32_e64 v37, v37, v38, s[0:1]
; %bb.584:                              ;   in Loop: Header=BB344_264 Depth=1
	s_or_b64 exec, exec, s[6:7]
	v_bfe_u32 v38, v5, 16, 8
	v_cvt_f32_fp8_sdwa v38, v38 src0_sel:BYTE_0
	s_nop 0
	v_mul_f32_e32 v38, v34, v38
	v_and_b32_e32 v39, 0x7f800000, v38
	v_cmp_ne_u32_e64 s[0:1], s8, v39
                                        ; implicit-def: $vgpr39
	s_and_saveexec_b64 s[6:7], s[0:1]
	s_xor_b64 s[0:1], exec, s[6:7]
; %bb.585:                              ;   in Loop: Header=BB344_264 Depth=1
	v_bfe_u32 v39, v38, 16, 1
	v_add3_u32 v39, v38, v39, s9
                                        ; implicit-def: $vgpr38
; %bb.586:                              ;   in Loop: Header=BB344_264 Depth=1
	s_andn2_saveexec_b64 s[6:7], s[0:1]
; %bb.587:                              ;   in Loop: Header=BB344_264 Depth=1
	v_or_b32_e32 v39, 0x10000, v38
	v_cmp_eq_u32_sdwa s[0:1], v38, v21 src0_sel:WORD_0 src1_sel:DWORD
	s_nop 1
	v_cndmask_b32_e64 v39, v39, v38, s[0:1]
; %bb.588:                              ;   in Loop: Header=BB344_264 Depth=1
	s_or_b64 exec, exec, s[6:7]
	v_lshrrev_b32_e32 v5, 24, v5
	v_cvt_f32_fp8_sdwa v5, v5 src0_sel:BYTE_0
                                        ; implicit-def: $vgpr48
	s_nop 0
	v_mul_f32_e32 v5, v34, v5
	v_and_b32_e32 v38, 0x7f800000, v5
	v_cmp_ne_u32_e64 s[0:1], s8, v38
	s_and_saveexec_b64 s[6:7], s[0:1]
	s_xor_b64 s[0:1], exec, s[6:7]
; %bb.589:                              ;   in Loop: Header=BB344_264 Depth=1
	v_bfe_u32 v38, v5, 16, 1
	v_add3_u32 v48, v5, v38, s9
                                        ; implicit-def: $vgpr5
; %bb.590:                              ;   in Loop: Header=BB344_264 Depth=1
	s_andn2_saveexec_b64 s[6:7], s[0:1]
; %bb.591:                              ;   in Loop: Header=BB344_264 Depth=1
	v_or_b32_e32 v38, 0x10000, v5
	v_cmp_eq_u32_sdwa s[0:1], v5, v21 src0_sel:WORD_0 src1_sel:DWORD
	s_nop 1
	v_cndmask_b32_e64 v48, v38, v5, s[0:1]
; %bb.592:                              ;   in Loop: Header=BB344_264 Depth=1
	s_or_b64 exec, exec, s[6:7]
	v_lshrrev_b32_e32 v38, 16, v37
	v_lshrrev_b32_e32 v37, 16, v36
	;; [unrolled: 1-line block ×8, first 2 shown]
	s_and_saveexec_b64 s[6:7], vcc
	s_cbranch_execz .LBB344_594
; %bb.593:                              ;   in Loop: Header=BB344_264 Depth=1
	v_accvgpr_read_b32 v39, a20
	v_cmp_lt_i32_e64 s[0:1], v39, v29
	v_accvgpr_read_b32 v39, a26
	s_nop 0
	v_cndmask_b32_e64 v8, 0, v8, s[0:1]
	v_cmp_lt_i32_e64 s[0:1], v39, v29
	v_accvgpr_read_b32 v39, a25
	s_nop 0
	v_cndmask_b32_e64 v9, 0, v9, s[0:1]
	;; [unrolled: 4-line block ×6, first 2 shown]
	v_cmp_lt_i32_e64 s[0:1], v39, v29
	s_nop 1
	v_cndmask_b32_e64 v5, 0, v5, s[0:1]
	v_cmp_lt_i32_e64 s[0:1], v24, v29
	s_nop 1
	v_cndmask_b32_e64 v4, 0, v4, s[0:1]
.LBB344_594:                            ;   in Loop: Header=BB344_264 Depth=1
	s_or_b64 exec, exec, s[6:7]
	v_lshlrev_b32_e32 v8, 16, v8
	v_mul_f32_e32 v39, v54, v8
	v_and_b32_e32 v8, 0x7f800000, v39
	v_cmp_ne_u32_e64 s[0:1], s8, v8
                                        ; implicit-def: $vgpr8
	s_and_saveexec_b64 s[6:7], s[0:1]
	s_xor_b64 s[0:1], exec, s[6:7]
; %bb.595:                              ;   in Loop: Header=BB344_264 Depth=1
	v_bfe_u32 v8, v39, 16, 1
	v_add3_u32 v8, v39, v8, s9
                                        ; implicit-def: $vgpr39
; %bb.596:                              ;   in Loop: Header=BB344_264 Depth=1
	s_andn2_saveexec_b64 s[6:7], s[0:1]
; %bb.597:                              ;   in Loop: Header=BB344_264 Depth=1
	v_or_b32_e32 v8, 0x10000, v39
	v_cmp_eq_u32_sdwa s[0:1], v39, v21 src0_sel:WORD_0 src1_sel:DWORD
	s_nop 1
	v_cndmask_b32_e64 v8, v8, v39, s[0:1]
; %bb.598:                              ;   in Loop: Header=BB344_264 Depth=1
	s_or_b64 exec, exec, s[6:7]
	v_lshlrev_b32_e32 v9, 16, v9
	v_mul_f32_e32 v39, v55, v9
	v_and_b32_e32 v9, 0x7f800000, v39
	v_cmp_ne_u32_e64 s[0:1], s8, v9
                                        ; implicit-def: $vgpr9
	s_and_saveexec_b64 s[6:7], s[0:1]
	s_xor_b64 s[0:1], exec, s[6:7]
; %bb.599:                              ;   in Loop: Header=BB344_264 Depth=1
	v_bfe_u32 v9, v39, 16, 1
	v_add3_u32 v9, v39, v9, s9
                                        ; implicit-def: $vgpr39
; %bb.600:                              ;   in Loop: Header=BB344_264 Depth=1
	s_andn2_saveexec_b64 s[6:7], s[0:1]
; %bb.601:                              ;   in Loop: Header=BB344_264 Depth=1
	v_or_b32_e32 v9, 0x10000, v39
	v_cmp_eq_u32_sdwa s[0:1], v39, v21 src0_sel:WORD_0 src1_sel:DWORD
	s_nop 1
	v_cndmask_b32_e64 v9, v9, v39, s[0:1]
; %bb.602:                              ;   in Loop: Header=BB344_264 Depth=1
	s_or_b64 exec, exec, s[6:7]
	v_lshlrev_b32_e32 v35, 16, v35
	v_mul_f32_e32 v39, v40, v35
	v_and_b32_e32 v35, 0x7f800000, v39
	v_cmp_ne_u32_e64 s[0:1], s8, v35
                                        ; implicit-def: $vgpr35
	s_and_saveexec_b64 s[6:7], s[0:1]
	s_xor_b64 s[0:1], exec, s[6:7]
; %bb.603:                              ;   in Loop: Header=BB344_264 Depth=1
	v_bfe_u32 v35, v39, 16, 1
	v_add3_u32 v35, v39, v35, s9
                                        ; implicit-def: $vgpr39
; %bb.604:                              ;   in Loop: Header=BB344_264 Depth=1
	s_andn2_saveexec_b64 s[6:7], s[0:1]
; %bb.605:                              ;   in Loop: Header=BB344_264 Depth=1
	v_or_b32_e32 v35, 0x10000, v39
	v_cmp_eq_u32_sdwa s[0:1], v39, v21 src0_sel:WORD_0 src1_sel:DWORD
	s_nop 1
	v_cndmask_b32_e64 v35, v35, v39, s[0:1]
; %bb.606:                              ;   in Loop: Header=BB344_264 Depth=1
	s_or_b64 exec, exec, s[6:7]
	v_lshlrev_b32_e32 v36, 16, v36
	v_mul_f32_e32 v39, v41, v36
	v_and_b32_e32 v36, 0x7f800000, v39
	v_cmp_ne_u32_e64 s[0:1], s8, v36
                                        ; implicit-def: $vgpr36
	s_and_saveexec_b64 s[6:7], s[0:1]
	s_xor_b64 s[0:1], exec, s[6:7]
; %bb.607:                              ;   in Loop: Header=BB344_264 Depth=1
	v_bfe_u32 v36, v39, 16, 1
	v_add3_u32 v36, v39, v36, s9
                                        ; implicit-def: $vgpr39
; %bb.608:                              ;   in Loop: Header=BB344_264 Depth=1
	s_andn2_saveexec_b64 s[6:7], s[0:1]
; %bb.609:                              ;   in Loop: Header=BB344_264 Depth=1
	v_or_b32_e32 v36, 0x10000, v39
	v_cmp_eq_u32_sdwa s[0:1], v39, v21 src0_sel:WORD_0 src1_sel:DWORD
	s_nop 1
	v_cndmask_b32_e64 v36, v36, v39, s[0:1]
; %bb.610:                              ;   in Loop: Header=BB344_264 Depth=1
	s_or_b64 exec, exec, s[6:7]
	v_lshlrev_b32_e32 v37, 16, v37
	v_mul_f32_e32 v39, v42, v37
	v_and_b32_e32 v37, 0x7f800000, v39
	v_cmp_ne_u32_e64 s[0:1], s8, v37
                                        ; implicit-def: $vgpr37
	s_and_saveexec_b64 s[6:7], s[0:1]
	s_xor_b64 s[0:1], exec, s[6:7]
; %bb.611:                              ;   in Loop: Header=BB344_264 Depth=1
	v_bfe_u32 v37, v39, 16, 1
	v_add3_u32 v37, v39, v37, s9
                                        ; implicit-def: $vgpr39
; %bb.612:                              ;   in Loop: Header=BB344_264 Depth=1
	s_andn2_saveexec_b64 s[6:7], s[0:1]
; %bb.613:                              ;   in Loop: Header=BB344_264 Depth=1
	v_or_b32_e32 v37, 0x10000, v39
	v_cmp_eq_u32_sdwa s[0:1], v39, v21 src0_sel:WORD_0 src1_sel:DWORD
	s_nop 1
	v_cndmask_b32_e64 v37, v37, v39, s[0:1]
; %bb.614:                              ;   in Loop: Header=BB344_264 Depth=1
	s_or_b64 exec, exec, s[6:7]
	v_lshlrev_b32_e32 v38, 16, v38
	v_mul_f32_e32 v39, v43, v38
	v_and_b32_e32 v38, 0x7f800000, v39
	v_cmp_ne_u32_e64 s[0:1], s8, v38
                                        ; implicit-def: $vgpr38
	s_and_saveexec_b64 s[6:7], s[0:1]
	s_xor_b64 s[0:1], exec, s[6:7]
; %bb.615:                              ;   in Loop: Header=BB344_264 Depth=1
	v_bfe_u32 v38, v39, 16, 1
	v_add3_u32 v38, v39, v38, s9
                                        ; implicit-def: $vgpr39
; %bb.616:                              ;   in Loop: Header=BB344_264 Depth=1
	s_andn2_saveexec_b64 s[6:7], s[0:1]
; %bb.617:                              ;   in Loop: Header=BB344_264 Depth=1
	v_or_b32_e32 v38, 0x10000, v39
	v_cmp_eq_u32_sdwa s[0:1], v39, v21 src0_sel:WORD_0 src1_sel:DWORD
	s_nop 1
	v_cndmask_b32_e64 v38, v38, v39, s[0:1]
; %bb.618:                              ;   in Loop: Header=BB344_264 Depth=1
	s_or_b64 exec, exec, s[6:7]
	v_lshlrev_b32_e32 v5, 16, v5
	v_mul_f32_e32 v5, v44, v5
	v_and_b32_e32 v39, 0x7f800000, v5
	v_cmp_ne_u32_e64 s[0:1], s8, v39
                                        ; implicit-def: $vgpr46
	s_and_saveexec_b64 s[6:7], s[0:1]
	s_xor_b64 s[0:1], exec, s[6:7]
; %bb.619:                              ;   in Loop: Header=BB344_264 Depth=1
	v_bfe_u32 v39, v5, 16, 1
	v_add3_u32 v46, v5, v39, s9
                                        ; implicit-def: $vgpr5
; %bb.620:                              ;   in Loop: Header=BB344_264 Depth=1
	s_andn2_saveexec_b64 s[6:7], s[0:1]
; %bb.621:                              ;   in Loop: Header=BB344_264 Depth=1
	v_or_b32_e32 v39, 0x10000, v5
	v_cmp_eq_u32_sdwa s[0:1], v5, v21 src0_sel:WORD_0 src1_sel:DWORD
	s_nop 1
	v_cndmask_b32_e64 v46, v39, v5, s[0:1]
; %bb.622:                              ;   in Loop: Header=BB344_264 Depth=1
	s_or_b64 exec, exec, s[6:7]
	v_lshlrev_b32_e32 v4, 16, v4
	v_mul_f32_e32 v4, v45, v4
	v_and_b32_e32 v5, 0x7f800000, v4
	v_cmp_ne_u32_e64 s[0:1], s8, v5
                                        ; implicit-def: $vgpr47
	s_and_saveexec_b64 s[6:7], s[0:1]
	s_xor_b64 s[0:1], exec, s[6:7]
; %bb.623:                              ;   in Loop: Header=BB344_264 Depth=1
	v_bfe_u32 v5, v4, 16, 1
	v_add3_u32 v47, v4, v5, s9
                                        ; implicit-def: $vgpr4
; %bb.624:                              ;   in Loop: Header=BB344_264 Depth=1
	s_andn2_saveexec_b64 s[6:7], s[0:1]
; %bb.625:                              ;   in Loop: Header=BB344_264 Depth=1
	v_or_b32_e32 v5, 0x10000, v4
	v_cmp_eq_u32_sdwa s[0:1], v4, v21 src0_sel:WORD_0 src1_sel:DWORD
	s_nop 1
	v_cndmask_b32_e64 v47, v5, v4, s[0:1]
; %bb.626:                              ;   in Loop: Header=BB344_264 Depth=1
	s_or_b64 exec, exec, s[6:7]
	flat_load_dwordx2 v[4:5], v[2:3] offset:2560
	s_waitcnt vmcnt(0) lgkmcnt(0)
	v_and_b32_e32 v39, 0xff, v4
	v_cvt_f32_fp8_sdwa v39, v39 src0_sel:BYTE_0
	s_nop 0
	v_mul_f32_e32 v48, v34, v39
	v_and_b32_e32 v39, 0x7f800000, v48
	v_cmp_ne_u32_e64 s[0:1], s8, v39
                                        ; implicit-def: $vgpr39
	s_and_saveexec_b64 s[6:7], s[0:1]
	s_xor_b64 s[0:1], exec, s[6:7]
; %bb.627:                              ;   in Loop: Header=BB344_264 Depth=1
	v_bfe_u32 v39, v48, 16, 1
	v_add3_u32 v39, v48, v39, s9
                                        ; implicit-def: $vgpr48
; %bb.628:                              ;   in Loop: Header=BB344_264 Depth=1
	s_andn2_saveexec_b64 s[6:7], s[0:1]
; %bb.629:                              ;   in Loop: Header=BB344_264 Depth=1
	v_or_b32_e32 v39, 0x10000, v48
	v_cmp_eq_u32_sdwa s[0:1], v48, v21 src0_sel:WORD_0 src1_sel:DWORD
	s_nop 1
	v_cndmask_b32_e64 v39, v39, v48, s[0:1]
; %bb.630:                              ;   in Loop: Header=BB344_264 Depth=1
	s_or_b64 exec, exec, s[6:7]
	v_bfe_u32 v48, v4, 8, 8
	v_cvt_f32_fp8_sdwa v48, v48 src0_sel:BYTE_0
	s_nop 0
	v_mul_f32_e32 v49, v34, v48
	v_and_b32_e32 v48, 0x7f800000, v49
	v_cmp_ne_u32_e64 s[0:1], s8, v48
                                        ; implicit-def: $vgpr48
	s_and_saveexec_b64 s[6:7], s[0:1]
	s_xor_b64 s[0:1], exec, s[6:7]
; %bb.631:                              ;   in Loop: Header=BB344_264 Depth=1
	v_bfe_u32 v48, v49, 16, 1
	v_add3_u32 v48, v49, v48, s9
                                        ; implicit-def: $vgpr49
; %bb.632:                              ;   in Loop: Header=BB344_264 Depth=1
	s_andn2_saveexec_b64 s[6:7], s[0:1]
; %bb.633:                              ;   in Loop: Header=BB344_264 Depth=1
	v_or_b32_e32 v48, 0x10000, v49
	v_cmp_eq_u32_sdwa s[0:1], v49, v21 src0_sel:WORD_0 src1_sel:DWORD
	s_nop 1
	v_cndmask_b32_e64 v48, v48, v49, s[0:1]
; %bb.634:                              ;   in Loop: Header=BB344_264 Depth=1
	s_or_b64 exec, exec, s[6:7]
	v_bfe_u32 v49, v4, 16, 8
	v_cvt_f32_fp8_sdwa v49, v49 src0_sel:BYTE_0
	s_nop 0
	v_mul_f32_e32 v50, v34, v49
	v_and_b32_e32 v49, 0x7f800000, v50
	v_cmp_ne_u32_e64 s[0:1], s8, v49
                                        ; implicit-def: $vgpr49
	s_and_saveexec_b64 s[6:7], s[0:1]
	s_xor_b64 s[0:1], exec, s[6:7]
; %bb.635:                              ;   in Loop: Header=BB344_264 Depth=1
	v_bfe_u32 v49, v50, 16, 1
	v_add3_u32 v49, v50, v49, s9
                                        ; implicit-def: $vgpr50
; %bb.636:                              ;   in Loop: Header=BB344_264 Depth=1
	s_andn2_saveexec_b64 s[6:7], s[0:1]
; %bb.637:                              ;   in Loop: Header=BB344_264 Depth=1
	v_or_b32_e32 v49, 0x10000, v50
	v_cmp_eq_u32_sdwa s[0:1], v50, v21 src0_sel:WORD_0 src1_sel:DWORD
	s_nop 1
	v_cndmask_b32_e64 v49, v49, v50, s[0:1]
; %bb.638:                              ;   in Loop: Header=BB344_264 Depth=1
	s_or_b64 exec, exec, s[6:7]
	v_lshrrev_b32_e32 v4, 24, v4
	v_cvt_f32_fp8_sdwa v4, v4 src0_sel:BYTE_0
	s_nop 0
	v_mul_f32_e32 v50, v34, v4
	v_and_b32_e32 v4, 0x7f800000, v50
	v_cmp_ne_u32_e64 s[0:1], s8, v4
                                        ; implicit-def: $vgpr4
	s_and_saveexec_b64 s[6:7], s[0:1]
	s_xor_b64 s[0:1], exec, s[6:7]
; %bb.639:                              ;   in Loop: Header=BB344_264 Depth=1
	v_bfe_u32 v4, v50, 16, 1
	v_add3_u32 v4, v50, v4, s9
                                        ; implicit-def: $vgpr50
; %bb.640:                              ;   in Loop: Header=BB344_264 Depth=1
	s_andn2_saveexec_b64 s[6:7], s[0:1]
; %bb.641:                              ;   in Loop: Header=BB344_264 Depth=1
	v_or_b32_e32 v4, 0x10000, v50
	v_cmp_eq_u32_sdwa s[0:1], v50, v21 src0_sel:WORD_0 src1_sel:DWORD
	s_nop 1
	v_cndmask_b32_e64 v4, v4, v50, s[0:1]
; %bb.642:                              ;   in Loop: Header=BB344_264 Depth=1
	s_or_b64 exec, exec, s[6:7]
	v_and_b32_e32 v50, 0xff, v5
	v_cvt_f32_fp8_sdwa v50, v50 src0_sel:BYTE_0
	s_nop 0
	v_mul_f32_e32 v50, v34, v50
	v_and_b32_e32 v51, 0x7f800000, v50
	v_cmp_ne_u32_e64 s[0:1], s8, v51
                                        ; implicit-def: $vgpr51
	s_and_saveexec_b64 s[6:7], s[0:1]
	s_xor_b64 s[0:1], exec, s[6:7]
; %bb.643:                              ;   in Loop: Header=BB344_264 Depth=1
	v_bfe_u32 v51, v50, 16, 1
	v_add3_u32 v51, v50, v51, s9
                                        ; implicit-def: $vgpr50
; %bb.644:                              ;   in Loop: Header=BB344_264 Depth=1
	s_andn2_saveexec_b64 s[6:7], s[0:1]
; %bb.645:                              ;   in Loop: Header=BB344_264 Depth=1
	v_or_b32_e32 v51, 0x10000, v50
	v_cmp_eq_u32_sdwa s[0:1], v50, v21 src0_sel:WORD_0 src1_sel:DWORD
	s_nop 1
	v_cndmask_b32_e64 v51, v51, v50, s[0:1]
; %bb.646:                              ;   in Loop: Header=BB344_264 Depth=1
	s_or_b64 exec, exec, s[6:7]
	v_bfe_u32 v50, v5, 8, 8
	v_cvt_f32_fp8_sdwa v50, v50 src0_sel:BYTE_0
	s_nop 0
	v_mul_f32_e32 v52, v34, v50
	v_and_b32_e32 v50, 0x7f800000, v52
	v_cmp_ne_u32_e64 s[0:1], s8, v50
                                        ; implicit-def: $vgpr50
	s_and_saveexec_b64 s[6:7], s[0:1]
	s_xor_b64 s[0:1], exec, s[6:7]
; %bb.647:                              ;   in Loop: Header=BB344_264 Depth=1
	v_bfe_u32 v50, v52, 16, 1
	v_add3_u32 v50, v52, v50, s9
                                        ; implicit-def: $vgpr52
; %bb.648:                              ;   in Loop: Header=BB344_264 Depth=1
	s_andn2_saveexec_b64 s[6:7], s[0:1]
; %bb.649:                              ;   in Loop: Header=BB344_264 Depth=1
	v_or_b32_e32 v50, 0x10000, v52
	v_cmp_eq_u32_sdwa s[0:1], v52, v21 src0_sel:WORD_0 src1_sel:DWORD
	s_nop 1
	v_cndmask_b32_e64 v50, v50, v52, s[0:1]
; %bb.650:                              ;   in Loop: Header=BB344_264 Depth=1
	s_or_b64 exec, exec, s[6:7]
	v_bfe_u32 v52, v5, 16, 8
	v_cvt_f32_fp8_sdwa v52, v52 src0_sel:BYTE_0
	s_nop 0
	v_mul_f32_e32 v53, v34, v52
	v_and_b32_e32 v52, 0x7f800000, v53
	v_cmp_ne_u32_e64 s[0:1], s8, v52
                                        ; implicit-def: $vgpr52
	s_and_saveexec_b64 s[6:7], s[0:1]
	s_xor_b64 s[0:1], exec, s[6:7]
; %bb.651:                              ;   in Loop: Header=BB344_264 Depth=1
	v_bfe_u32 v52, v53, 16, 1
	v_add3_u32 v52, v53, v52, s9
                                        ; implicit-def: $vgpr53
; %bb.652:                              ;   in Loop: Header=BB344_264 Depth=1
	s_andn2_saveexec_b64 s[6:7], s[0:1]
; %bb.653:                              ;   in Loop: Header=BB344_264 Depth=1
	v_or_b32_e32 v52, 0x10000, v53
	v_cmp_eq_u32_sdwa s[0:1], v53, v21 src0_sel:WORD_0 src1_sel:DWORD
	s_nop 1
	v_cndmask_b32_e64 v52, v52, v53, s[0:1]
; %bb.654:                              ;   in Loop: Header=BB344_264 Depth=1
	s_or_b64 exec, exec, s[6:7]
	v_lshrrev_b32_e32 v5, 24, v5
	v_cvt_f32_fp8_sdwa v5, v5 src0_sel:BYTE_0
                                        ; implicit-def: $vgpr57
	s_nop 0
	v_mul_f32_e32 v5, v34, v5
	v_and_b32_e32 v53, 0x7f800000, v5
	v_cmp_ne_u32_e64 s[0:1], s8, v53
	s_and_saveexec_b64 s[6:7], s[0:1]
	s_xor_b64 s[0:1], exec, s[6:7]
; %bb.655:                              ;   in Loop: Header=BB344_264 Depth=1
	v_bfe_u32 v53, v5, 16, 1
	v_add3_u32 v57, v5, v53, s9
                                        ; implicit-def: $vgpr5
; %bb.656:                              ;   in Loop: Header=BB344_264 Depth=1
	s_andn2_saveexec_b64 s[6:7], s[0:1]
; %bb.657:                              ;   in Loop: Header=BB344_264 Depth=1
	v_or_b32_e32 v53, 0x10000, v5
	v_cmp_eq_u32_sdwa s[0:1], v5, v21 src0_sel:WORD_0 src1_sel:DWORD
	s_nop 1
	v_cndmask_b32_e64 v57, v53, v5, s[0:1]
; %bb.658:                              ;   in Loop: Header=BB344_264 Depth=1
	s_or_b64 exec, exec, s[6:7]
	v_lshrrev_b32_e32 v50, 16, v50
	v_lshrrev_b32_e32 v53, 16, v51
	v_lshrrev_b32_e32 v56, 16, v4
	v_lshrrev_b32_e32 v49, 16, v49
	v_lshrrev_b32_e32 v5, 16, v48
	v_lshrrev_b32_e32 v4, 16, v39
	v_lshrrev_b32_e32 v51, 16, v52
	v_lshrrev_b32_e32 v52, 16, v57
	s_and_saveexec_b64 s[6:7], vcc
	s_cbranch_execz .LBB344_660
; %bb.659:                              ;   in Loop: Header=BB344_264 Depth=1
	v_accvgpr_read_b32 v39, a20
	v_cmp_lt_i32_e64 s[0:1], v39, v29
	v_accvgpr_read_b32 v39, a26
	s_nop 0
	v_cndmask_b32_e64 v4, 0, v4, s[0:1]
	v_cmp_lt_i32_e64 s[0:1], v39, v29
	v_accvgpr_read_b32 v39, a25
	s_nop 0
	v_cndmask_b32_e64 v5, 0, v5, s[0:1]
	;; [unrolled: 4-line block ×6, first 2 shown]
	v_cmp_lt_i32_e64 s[0:1], v39, v29
	s_nop 1
	v_cndmask_b32_e64 v51, 0, v51, s[0:1]
	v_cmp_lt_i32_e64 s[0:1], v24, v29
	s_nop 1
	v_cndmask_b32_e64 v52, 0, v52, s[0:1]
.LBB344_660:                            ;   in Loop: Header=BB344_264 Depth=1
	s_or_b64 exec, exec, s[6:7]
	v_lshlrev_b32_e32 v4, 16, v4
	v_mul_f32_e32 v39, v54, v4
	v_and_b32_e32 v4, 0x7f800000, v39
	v_cmp_ne_u32_e64 s[0:1], s8, v4
                                        ; implicit-def: $vgpr4
	s_and_saveexec_b64 s[6:7], s[0:1]
	s_xor_b64 s[0:1], exec, s[6:7]
; %bb.661:                              ;   in Loop: Header=BB344_264 Depth=1
	v_bfe_u32 v4, v39, 16, 1
	v_add3_u32 v4, v39, v4, s9
                                        ; implicit-def: $vgpr39
; %bb.662:                              ;   in Loop: Header=BB344_264 Depth=1
	s_andn2_saveexec_b64 s[6:7], s[0:1]
; %bb.663:                              ;   in Loop: Header=BB344_264 Depth=1
	v_or_b32_e32 v4, 0x10000, v39
	v_cmp_eq_u32_sdwa s[0:1], v39, v21 src0_sel:WORD_0 src1_sel:DWORD
	s_nop 1
	v_cndmask_b32_e64 v4, v4, v39, s[0:1]
; %bb.664:                              ;   in Loop: Header=BB344_264 Depth=1
	s_or_b64 exec, exec, s[6:7]
	v_lshlrev_b32_e32 v5, 16, v5
	v_mul_f32_e32 v39, v55, v5
	v_and_b32_e32 v5, 0x7f800000, v39
	v_cmp_ne_u32_e64 s[0:1], s8, v5
                                        ; implicit-def: $vgpr5
	s_and_saveexec_b64 s[6:7], s[0:1]
	s_xor_b64 s[0:1], exec, s[6:7]
; %bb.665:                              ;   in Loop: Header=BB344_264 Depth=1
	v_bfe_u32 v5, v39, 16, 1
	v_add3_u32 v5, v39, v5, s9
                                        ; implicit-def: $vgpr39
; %bb.666:                              ;   in Loop: Header=BB344_264 Depth=1
	s_andn2_saveexec_b64 s[6:7], s[0:1]
; %bb.667:                              ;   in Loop: Header=BB344_264 Depth=1
	v_or_b32_e32 v5, 0x10000, v39
	v_cmp_eq_u32_sdwa s[0:1], v39, v21 src0_sel:WORD_0 src1_sel:DWORD
	s_nop 1
	v_cndmask_b32_e64 v5, v5, v39, s[0:1]
; %bb.668:                              ;   in Loop: Header=BB344_264 Depth=1
	s_or_b64 exec, exec, s[6:7]
	v_lshlrev_b32_e32 v39, 16, v49
	v_mul_f32_e32 v48, v40, v39
	v_and_b32_e32 v39, 0x7f800000, v48
	v_cmp_ne_u32_e64 s[0:1], s8, v39
                                        ; implicit-def: $vgpr39
	s_and_saveexec_b64 s[6:7], s[0:1]
	s_xor_b64 s[0:1], exec, s[6:7]
; %bb.669:                              ;   in Loop: Header=BB344_264 Depth=1
	v_bfe_u32 v39, v48, 16, 1
	v_add3_u32 v39, v48, v39, s9
                                        ; implicit-def: $vgpr48
; %bb.670:                              ;   in Loop: Header=BB344_264 Depth=1
	s_andn2_saveexec_b64 s[6:7], s[0:1]
; %bb.671:                              ;   in Loop: Header=BB344_264 Depth=1
	v_or_b32_e32 v39, 0x10000, v48
	v_cmp_eq_u32_sdwa s[0:1], v48, v21 src0_sel:WORD_0 src1_sel:DWORD
	s_nop 1
	v_cndmask_b32_e64 v39, v39, v48, s[0:1]
; %bb.672:                              ;   in Loop: Header=BB344_264 Depth=1
	s_or_b64 exec, exec, s[6:7]
	v_lshlrev_b32_e32 v48, 16, v56
	v_mul_f32_e32 v49, v41, v48
	v_and_b32_e32 v48, 0x7f800000, v49
	v_cmp_ne_u32_e64 s[0:1], s8, v48
                                        ; implicit-def: $vgpr48
	s_and_saveexec_b64 s[6:7], s[0:1]
	s_xor_b64 s[0:1], exec, s[6:7]
; %bb.673:                              ;   in Loop: Header=BB344_264 Depth=1
	v_bfe_u32 v48, v49, 16, 1
	v_add3_u32 v48, v49, v48, s9
                                        ; implicit-def: $vgpr49
; %bb.674:                              ;   in Loop: Header=BB344_264 Depth=1
	s_andn2_saveexec_b64 s[6:7], s[0:1]
; %bb.675:                              ;   in Loop: Header=BB344_264 Depth=1
	v_or_b32_e32 v48, 0x10000, v49
	v_cmp_eq_u32_sdwa s[0:1], v49, v21 src0_sel:WORD_0 src1_sel:DWORD
	s_nop 1
	v_cndmask_b32_e64 v48, v48, v49, s[0:1]
; %bb.676:                              ;   in Loop: Header=BB344_264 Depth=1
	s_or_b64 exec, exec, s[6:7]
	v_lshlrev_b32_e32 v49, 16, v53
	v_mul_f32_e32 v53, v42, v49
	v_and_b32_e32 v49, 0x7f800000, v53
	v_cmp_ne_u32_e64 s[0:1], s8, v49
                                        ; implicit-def: $vgpr49
	s_and_saveexec_b64 s[6:7], s[0:1]
	s_xor_b64 s[0:1], exec, s[6:7]
; %bb.677:                              ;   in Loop: Header=BB344_264 Depth=1
	v_bfe_u32 v49, v53, 16, 1
	v_add3_u32 v49, v53, v49, s9
                                        ; implicit-def: $vgpr53
; %bb.678:                              ;   in Loop: Header=BB344_264 Depth=1
	s_andn2_saveexec_b64 s[6:7], s[0:1]
; %bb.679:                              ;   in Loop: Header=BB344_264 Depth=1
	v_or_b32_e32 v49, 0x10000, v53
	v_cmp_eq_u32_sdwa s[0:1], v53, v21 src0_sel:WORD_0 src1_sel:DWORD
	s_nop 1
	v_cndmask_b32_e64 v49, v49, v53, s[0:1]
; %bb.680:                              ;   in Loop: Header=BB344_264 Depth=1
	s_or_b64 exec, exec, s[6:7]
	v_lshlrev_b32_e32 v50, 16, v50
	v_mul_f32_e32 v53, v43, v50
	v_and_b32_e32 v50, 0x7f800000, v53
	v_cmp_ne_u32_e64 s[0:1], s8, v50
                                        ; implicit-def: $vgpr50
	s_and_saveexec_b64 s[6:7], s[0:1]
	s_xor_b64 s[0:1], exec, s[6:7]
; %bb.681:                              ;   in Loop: Header=BB344_264 Depth=1
	v_bfe_u32 v50, v53, 16, 1
	v_add3_u32 v50, v53, v50, s9
                                        ; implicit-def: $vgpr53
; %bb.682:                              ;   in Loop: Header=BB344_264 Depth=1
	s_andn2_saveexec_b64 s[6:7], s[0:1]
; %bb.683:                              ;   in Loop: Header=BB344_264 Depth=1
	v_or_b32_e32 v50, 0x10000, v53
	v_cmp_eq_u32_sdwa s[0:1], v53, v21 src0_sel:WORD_0 src1_sel:DWORD
	s_nop 1
	v_cndmask_b32_e64 v50, v50, v53, s[0:1]
; %bb.684:                              ;   in Loop: Header=BB344_264 Depth=1
	s_or_b64 exec, exec, s[6:7]
	v_lshlrev_b32_e32 v51, 16, v51
	v_mul_f32_e32 v53, v44, v51
	v_and_b32_e32 v51, 0x7f800000, v53
	v_cmp_ne_u32_e64 s[0:1], s8, v51
                                        ; implicit-def: $vgpr51
	s_and_saveexec_b64 s[6:7], s[0:1]
	s_xor_b64 s[0:1], exec, s[6:7]
; %bb.685:                              ;   in Loop: Header=BB344_264 Depth=1
	v_bfe_u32 v51, v53, 16, 1
	v_add3_u32 v51, v53, v51, s9
                                        ; implicit-def: $vgpr53
; %bb.686:                              ;   in Loop: Header=BB344_264 Depth=1
	s_andn2_saveexec_b64 s[6:7], s[0:1]
; %bb.687:                              ;   in Loop: Header=BB344_264 Depth=1
	v_or_b32_e32 v51, 0x10000, v53
	v_cmp_eq_u32_sdwa s[0:1], v53, v21 src0_sel:WORD_0 src1_sel:DWORD
	s_nop 1
	v_cndmask_b32_e64 v51, v51, v53, s[0:1]
; %bb.688:                              ;   in Loop: Header=BB344_264 Depth=1
	s_or_b64 exec, exec, s[6:7]
	v_lshlrev_b32_e32 v52, 16, v52
	v_mul_f32_e32 v53, v45, v52
	v_and_b32_e32 v52, 0x7f800000, v53
	v_cmp_ne_u32_e64 s[0:1], s8, v52
                                        ; implicit-def: $vgpr52
	s_and_saveexec_b64 s[6:7], s[0:1]
	s_xor_b64 s[0:1], exec, s[6:7]
; %bb.689:                              ;   in Loop: Header=BB344_264 Depth=1
	v_bfe_u32 v52, v53, 16, 1
	v_add3_u32 v52, v53, v52, s9
                                        ; implicit-def: $vgpr53
; %bb.690:                              ;   in Loop: Header=BB344_264 Depth=1
	s_andn2_saveexec_b64 s[6:7], s[0:1]
; %bb.691:                              ;   in Loop: Header=BB344_264 Depth=1
	v_or_b32_e32 v52, 0x10000, v53
	v_cmp_eq_u32_sdwa s[0:1], v53, v21 src0_sel:WORD_0 src1_sel:DWORD
	s_nop 1
	v_cndmask_b32_e64 v52, v52, v53, s[0:1]
; %bb.692:                              ;   in Loop: Header=BB344_264 Depth=1
	s_or_b64 exec, exec, s[6:7]
	flat_load_dwordx2 v[2:3], v[2:3] offset:3072
	s_waitcnt vmcnt(0) lgkmcnt(0)
	v_and_b32_e32 v53, 0xff, v2
	v_cvt_f32_fp8_sdwa v53, v53 src0_sel:BYTE_0
	s_nop 0
	v_mul_f32_e32 v53, v34, v53
	v_and_b32_e32 v56, 0x7f800000, v53
	v_cmp_ne_u32_e64 s[0:1], s8, v56
                                        ; implicit-def: $vgpr56
	s_and_saveexec_b64 s[6:7], s[0:1]
	s_xor_b64 s[0:1], exec, s[6:7]
; %bb.693:                              ;   in Loop: Header=BB344_264 Depth=1
	v_bfe_u32 v56, v53, 16, 1
	v_add3_u32 v56, v53, v56, s9
                                        ; implicit-def: $vgpr53
; %bb.694:                              ;   in Loop: Header=BB344_264 Depth=1
	s_andn2_saveexec_b64 s[6:7], s[0:1]
; %bb.695:                              ;   in Loop: Header=BB344_264 Depth=1
	v_or_b32_e32 v56, 0x10000, v53
	v_cmp_eq_u32_sdwa s[0:1], v53, v21 src0_sel:WORD_0 src1_sel:DWORD
	s_nop 1
	v_cndmask_b32_e64 v56, v56, v53, s[0:1]
; %bb.696:                              ;   in Loop: Header=BB344_264 Depth=1
	s_or_b64 exec, exec, s[6:7]
	v_bfe_u32 v53, v2, 8, 8
	v_cvt_f32_fp8_sdwa v53, v53 src0_sel:BYTE_0
	s_nop 0
	v_mul_f32_e32 v53, v34, v53
	v_and_b32_e32 v57, 0x7f800000, v53
	v_cmp_ne_u32_e64 s[0:1], s8, v57
                                        ; implicit-def: $vgpr57
	s_and_saveexec_b64 s[6:7], s[0:1]
	s_xor_b64 s[0:1], exec, s[6:7]
; %bb.697:                              ;   in Loop: Header=BB344_264 Depth=1
	v_bfe_u32 v57, v53, 16, 1
	v_add3_u32 v57, v53, v57, s9
                                        ; implicit-def: $vgpr53
; %bb.698:                              ;   in Loop: Header=BB344_264 Depth=1
	s_andn2_saveexec_b64 s[6:7], s[0:1]
; %bb.699:                              ;   in Loop: Header=BB344_264 Depth=1
	v_or_b32_e32 v57, 0x10000, v53
	v_cmp_eq_u32_sdwa s[0:1], v53, v21 src0_sel:WORD_0 src1_sel:DWORD
	s_nop 1
	v_cndmask_b32_e64 v57, v57, v53, s[0:1]
; %bb.700:                              ;   in Loop: Header=BB344_264 Depth=1
	s_or_b64 exec, exec, s[6:7]
	v_bfe_u32 v53, v2, 16, 8
	v_cvt_f32_fp8_sdwa v53, v53 src0_sel:BYTE_0
	s_nop 0
	v_mul_f32_e32 v58, v34, v53
	v_and_b32_e32 v53, 0x7f800000, v58
	v_cmp_ne_u32_e64 s[0:1], s8, v53
                                        ; implicit-def: $vgpr53
	s_and_saveexec_b64 s[6:7], s[0:1]
	s_xor_b64 s[0:1], exec, s[6:7]
; %bb.701:                              ;   in Loop: Header=BB344_264 Depth=1
	v_bfe_u32 v53, v58, 16, 1
	v_add3_u32 v53, v58, v53, s9
                                        ; implicit-def: $vgpr58
; %bb.702:                              ;   in Loop: Header=BB344_264 Depth=1
	s_andn2_saveexec_b64 s[6:7], s[0:1]
; %bb.703:                              ;   in Loop: Header=BB344_264 Depth=1
	v_or_b32_e32 v53, 0x10000, v58
	v_cmp_eq_u32_sdwa s[0:1], v58, v21 src0_sel:WORD_0 src1_sel:DWORD
	s_nop 1
	v_cndmask_b32_e64 v53, v53, v58, s[0:1]
; %bb.704:                              ;   in Loop: Header=BB344_264 Depth=1
	s_or_b64 exec, exec, s[6:7]
	v_lshrrev_b32_e32 v2, 24, v2
	v_cvt_f32_fp8_sdwa v2, v2 src0_sel:BYTE_0
	s_nop 0
	v_mul_f32_e32 v58, v34, v2
	v_and_b32_e32 v2, 0x7f800000, v58
	v_cmp_ne_u32_e64 s[0:1], s8, v2
                                        ; implicit-def: $vgpr2
	s_and_saveexec_b64 s[6:7], s[0:1]
	s_xor_b64 s[0:1], exec, s[6:7]
; %bb.705:                              ;   in Loop: Header=BB344_264 Depth=1
	v_bfe_u32 v2, v58, 16, 1
	v_add3_u32 v2, v58, v2, s9
                                        ; implicit-def: $vgpr58
; %bb.706:                              ;   in Loop: Header=BB344_264 Depth=1
	s_andn2_saveexec_b64 s[6:7], s[0:1]
; %bb.707:                              ;   in Loop: Header=BB344_264 Depth=1
	v_or_b32_e32 v2, 0x10000, v58
	v_cmp_eq_u32_sdwa s[0:1], v58, v21 src0_sel:WORD_0 src1_sel:DWORD
	s_nop 1
	v_cndmask_b32_e64 v2, v2, v58, s[0:1]
; %bb.708:                              ;   in Loop: Header=BB344_264 Depth=1
	s_or_b64 exec, exec, s[6:7]
	v_and_b32_e32 v58, 0xff, v3
	v_cvt_f32_fp8_sdwa v58, v58 src0_sel:BYTE_0
	s_nop 0
	v_mul_f32_e32 v58, v34, v58
	v_and_b32_e32 v59, 0x7f800000, v58
	v_cmp_ne_u32_e64 s[0:1], s8, v59
                                        ; implicit-def: $vgpr59
	s_and_saveexec_b64 s[6:7], s[0:1]
	s_xor_b64 s[0:1], exec, s[6:7]
; %bb.709:                              ;   in Loop: Header=BB344_264 Depth=1
	v_bfe_u32 v59, v58, 16, 1
	v_add3_u32 v59, v58, v59, s9
                                        ; implicit-def: $vgpr58
; %bb.710:                              ;   in Loop: Header=BB344_264 Depth=1
	s_andn2_saveexec_b64 s[6:7], s[0:1]
; %bb.711:                              ;   in Loop: Header=BB344_264 Depth=1
	v_or_b32_e32 v59, 0x10000, v58
	v_cmp_eq_u32_sdwa s[0:1], v58, v21 src0_sel:WORD_0 src1_sel:DWORD
	s_nop 1
	v_cndmask_b32_e64 v59, v59, v58, s[0:1]
; %bb.712:                              ;   in Loop: Header=BB344_264 Depth=1
	s_or_b64 exec, exec, s[6:7]
	v_bfe_u32 v58, v3, 8, 8
	v_cvt_f32_fp8_sdwa v58, v58 src0_sel:BYTE_0
	s_nop 0
	v_mul_f32_e32 v60, v34, v58
	v_and_b32_e32 v58, 0x7f800000, v60
	v_cmp_ne_u32_e64 s[0:1], s8, v58
                                        ; implicit-def: $vgpr58
	s_and_saveexec_b64 s[6:7], s[0:1]
	s_xor_b64 s[0:1], exec, s[6:7]
; %bb.713:                              ;   in Loop: Header=BB344_264 Depth=1
	v_bfe_u32 v58, v60, 16, 1
	v_add3_u32 v58, v60, v58, s9
                                        ; implicit-def: $vgpr60
; %bb.714:                              ;   in Loop: Header=BB344_264 Depth=1
	s_andn2_saveexec_b64 s[6:7], s[0:1]
; %bb.715:                              ;   in Loop: Header=BB344_264 Depth=1
	v_or_b32_e32 v58, 0x10000, v60
	v_cmp_eq_u32_sdwa s[0:1], v60, v21 src0_sel:WORD_0 src1_sel:DWORD
	s_nop 1
	v_cndmask_b32_e64 v58, v58, v60, s[0:1]
; %bb.716:                              ;   in Loop: Header=BB344_264 Depth=1
	s_or_b64 exec, exec, s[6:7]
	v_bfe_u32 v60, v3, 16, 8
	v_cvt_f32_fp8_sdwa v60, v60 src0_sel:BYTE_0
	s_nop 0
	v_mul_f32_e32 v60, v34, v60
	v_and_b32_e32 v61, 0x7f800000, v60
	v_cmp_ne_u32_e64 s[0:1], s8, v61
                                        ; implicit-def: $vgpr61
	s_and_saveexec_b64 s[6:7], s[0:1]
	s_xor_b64 s[0:1], exec, s[6:7]
; %bb.717:                              ;   in Loop: Header=BB344_264 Depth=1
	v_bfe_u32 v61, v60, 16, 1
	v_add3_u32 v61, v60, v61, s9
                                        ; implicit-def: $vgpr60
; %bb.718:                              ;   in Loop: Header=BB344_264 Depth=1
	s_andn2_saveexec_b64 s[6:7], s[0:1]
; %bb.719:                              ;   in Loop: Header=BB344_264 Depth=1
	v_or_b32_e32 v61, 0x10000, v60
	v_cmp_eq_u32_sdwa s[0:1], v60, v21 src0_sel:WORD_0 src1_sel:DWORD
	s_nop 1
	v_cndmask_b32_e64 v61, v61, v60, s[0:1]
; %bb.720:                              ;   in Loop: Header=BB344_264 Depth=1
	s_or_b64 exec, exec, s[6:7]
	v_lshrrev_b32_e32 v3, 24, v3
	v_cvt_f32_fp8_sdwa v3, v3 src0_sel:BYTE_0
                                        ; implicit-def: $vgpr62
	s_nop 0
	v_mul_f32_e32 v3, v34, v3
	v_and_b32_e32 v60, 0x7f800000, v3
	v_cmp_ne_u32_e64 s[0:1], s8, v60
	s_and_saveexec_b64 s[6:7], s[0:1]
	s_xor_b64 s[0:1], exec, s[6:7]
; %bb.721:                              ;   in Loop: Header=BB344_264 Depth=1
	v_bfe_u32 v60, v3, 16, 1
	v_add3_u32 v62, v3, v60, s9
                                        ; implicit-def: $vgpr3
; %bb.722:                              ;   in Loop: Header=BB344_264 Depth=1
	s_andn2_saveexec_b64 s[6:7], s[0:1]
; %bb.723:                              ;   in Loop: Header=BB344_264 Depth=1
	v_or_b32_e32 v60, 0x10000, v3
	v_cmp_eq_u32_sdwa s[0:1], v3, v21 src0_sel:WORD_0 src1_sel:DWORD
	s_nop 1
	v_cndmask_b32_e64 v62, v60, v3, s[0:1]
; %bb.724:                              ;   in Loop: Header=BB344_264 Depth=1
	s_or_b64 exec, exec, s[6:7]
	v_lshrrev_b32_e32 v58, 16, v58
	v_lshrrev_b32_e32 v59, 16, v59
	;; [unrolled: 1-line block ×8, first 2 shown]
	s_and_saveexec_b64 s[0:1], vcc
	s_cbranch_execz .LBB344_726
; %bb.725:                              ;   in Loop: Header=BB344_264 Depth=1
	v_accvgpr_read_b32 v61, a20
	v_cmp_lt_i32_e32 vcc, v61, v29
	v_accvgpr_read_b32 v61, a26
	s_nop 0
	v_cndmask_b32_e32 v2, 0, v2, vcc
	v_cmp_lt_i32_e32 vcc, v61, v29
	v_accvgpr_read_b32 v61, a25
	s_nop 0
	v_cndmask_b32_e32 v3, 0, v3, vcc
	;; [unrolled: 4-line block ×6, first 2 shown]
	v_cmp_lt_i32_e32 vcc, v61, v29
	s_nop 1
	v_cndmask_b32_e32 v57, 0, v57, vcc
	v_cmp_lt_i32_e32 vcc, v24, v29
	s_nop 1
	v_cndmask_b32_e32 v56, 0, v56, vcc
.LBB344_726:                            ;   in Loop: Header=BB344_264 Depth=1
	s_or_b64 exec, exec, s[0:1]
	v_lshlrev_b32_e32 v2, 16, v2
	v_mul_f32_e32 v54, v54, v2
	v_and_b32_e32 v2, 0x7f800000, v54
	v_cmp_ne_u32_e32 vcc, s8, v2
                                        ; implicit-def: $vgpr2
	s_and_saveexec_b64 s[0:1], vcc
	s_xor_b64 s[0:1], exec, s[0:1]
; %bb.727:                              ;   in Loop: Header=BB344_264 Depth=1
	v_bfe_u32 v2, v54, 16, 1
	v_add3_u32 v2, v54, v2, s9
                                        ; implicit-def: $vgpr54
; %bb.728:                              ;   in Loop: Header=BB344_264 Depth=1
	s_andn2_saveexec_b64 s[0:1], s[0:1]
; %bb.729:                              ;   in Loop: Header=BB344_264 Depth=1
	v_or_b32_e32 v2, 0x10000, v54
	v_cmp_eq_u32_sdwa vcc, v54, v21 src0_sel:WORD_0 src1_sel:DWORD
	s_nop 1
	v_cndmask_b32_e32 v2, v2, v54, vcc
; %bb.730:                              ;   in Loop: Header=BB344_264 Depth=1
	s_or_b64 exec, exec, s[0:1]
	v_lshlrev_b32_e32 v3, 16, v3
	v_mul_f32_e32 v54, v55, v3
	v_and_b32_e32 v3, 0x7f800000, v54
	v_cmp_ne_u32_e32 vcc, s8, v3
                                        ; implicit-def: $vgpr3
	s_and_saveexec_b64 s[0:1], vcc
	s_xor_b64 s[0:1], exec, s[0:1]
; %bb.731:                              ;   in Loop: Header=BB344_264 Depth=1
	v_bfe_u32 v3, v54, 16, 1
	v_add3_u32 v3, v54, v3, s9
                                        ; implicit-def: $vgpr54
; %bb.732:                              ;   in Loop: Header=BB344_264 Depth=1
	s_andn2_saveexec_b64 s[0:1], s[0:1]
; %bb.733:                              ;   in Loop: Header=BB344_264 Depth=1
	v_or_b32_e32 v3, 0x10000, v54
	v_cmp_eq_u32_sdwa vcc, v54, v21 src0_sel:WORD_0 src1_sel:DWORD
	s_nop 1
	v_cndmask_b32_e32 v3, v3, v54, vcc
; %bb.734:                              ;   in Loop: Header=BB344_264 Depth=1
	s_or_b64 exec, exec, s[0:1]
	v_lshlrev_b32_e32 v53, 16, v53
	v_mul_f32_e32 v54, v40, v53
	v_and_b32_e32 v53, 0x7f800000, v54
	v_cmp_ne_u32_e32 vcc, s8, v53
                                        ; implicit-def: $vgpr53
	s_and_saveexec_b64 s[0:1], vcc
	s_xor_b64 s[0:1], exec, s[0:1]
; %bb.735:                              ;   in Loop: Header=BB344_264 Depth=1
	v_bfe_u32 v53, v54, 16, 1
	v_add3_u32 v53, v54, v53, s9
                                        ; implicit-def: $vgpr54
; %bb.736:                              ;   in Loop: Header=BB344_264 Depth=1
	s_andn2_saveexec_b64 s[0:1], s[0:1]
; %bb.737:                              ;   in Loop: Header=BB344_264 Depth=1
	v_or_b32_e32 v53, 0x10000, v54
	v_cmp_eq_u32_sdwa vcc, v54, v21 src0_sel:WORD_0 src1_sel:DWORD
	s_nop 1
	v_cndmask_b32_e32 v53, v53, v54, vcc
; %bb.738:                              ;   in Loop: Header=BB344_264 Depth=1
	s_or_b64 exec, exec, s[0:1]
	v_lshlrev_b32_e32 v54, 16, v60
	v_mul_f32_e32 v55, v41, v54
	v_and_b32_e32 v54, 0x7f800000, v55
	v_cmp_ne_u32_e32 vcc, s8, v54
                                        ; implicit-def: $vgpr54
	s_and_saveexec_b64 s[0:1], vcc
	s_xor_b64 s[0:1], exec, s[0:1]
; %bb.739:                              ;   in Loop: Header=BB344_264 Depth=1
	v_bfe_u32 v54, v55, 16, 1
	v_add3_u32 v54, v55, v54, s9
                                        ; implicit-def: $vgpr55
; %bb.740:                              ;   in Loop: Header=BB344_264 Depth=1
	s_andn2_saveexec_b64 s[0:1], s[0:1]
; %bb.741:                              ;   in Loop: Header=BB344_264 Depth=1
	v_or_b32_e32 v54, 0x10000, v55
	v_cmp_eq_u32_sdwa vcc, v55, v21 src0_sel:WORD_0 src1_sel:DWORD
	s_nop 1
	v_cndmask_b32_e32 v54, v54, v55, vcc
; %bb.742:                              ;   in Loop: Header=BB344_264 Depth=1
	s_or_b64 exec, exec, s[0:1]
	v_lshlrev_b32_e32 v55, 16, v59
	v_mul_f32_e32 v40, v42, v55
	v_and_b32_e32 v55, 0x7f800000, v40
	v_cmp_ne_u32_e32 vcc, s8, v55
                                        ; implicit-def: $vgpr55
	s_and_saveexec_b64 s[0:1], vcc
	s_xor_b64 s[0:1], exec, s[0:1]
; %bb.743:                              ;   in Loop: Header=BB344_264 Depth=1
	v_bfe_u32 v55, v40, 16, 1
	v_add3_u32 v55, v40, v55, s9
                                        ; implicit-def: $vgpr40
; %bb.744:                              ;   in Loop: Header=BB344_264 Depth=1
	s_andn2_saveexec_b64 s[0:1], s[0:1]
; %bb.745:                              ;   in Loop: Header=BB344_264 Depth=1
	v_or_b32_e32 v55, 0x10000, v40
	v_cmp_eq_u32_sdwa vcc, v40, v21 src0_sel:WORD_0 src1_sel:DWORD
	s_nop 1
	v_cndmask_b32_e32 v55, v55, v40, vcc
; %bb.746:                              ;   in Loop: Header=BB344_264 Depth=1
	s_or_b64 exec, exec, s[0:1]
	v_lshlrev_b32_e32 v40, 16, v58
	v_mul_f32_e32 v41, v43, v40
	v_and_b32_e32 v40, 0x7f800000, v41
	v_cmp_ne_u32_e32 vcc, s8, v40
                                        ; implicit-def: $vgpr40
	s_and_saveexec_b64 s[0:1], vcc
	s_xor_b64 s[0:1], exec, s[0:1]
; %bb.747:                              ;   in Loop: Header=BB344_264 Depth=1
	v_bfe_u32 v40, v41, 16, 1
	v_add3_u32 v40, v41, v40, s9
                                        ; implicit-def: $vgpr41
; %bb.748:                              ;   in Loop: Header=BB344_264 Depth=1
	s_andn2_saveexec_b64 s[0:1], s[0:1]
; %bb.749:                              ;   in Loop: Header=BB344_264 Depth=1
	v_or_b32_e32 v40, 0x10000, v41
	v_cmp_eq_u32_sdwa vcc, v41, v21 src0_sel:WORD_0 src1_sel:DWORD
	s_nop 1
	v_cndmask_b32_e32 v40, v40, v41, vcc
; %bb.750:                              ;   in Loop: Header=BB344_264 Depth=1
	s_or_b64 exec, exec, s[0:1]
	v_lshlrev_b32_e32 v41, 16, v57
	v_mul_f32_e32 v42, v44, v41
	v_and_b32_e32 v41, 0x7f800000, v42
	v_cmp_ne_u32_e32 vcc, s8, v41
                                        ; implicit-def: $vgpr41
	s_and_saveexec_b64 s[0:1], vcc
	s_xor_b64 s[0:1], exec, s[0:1]
; %bb.751:                              ;   in Loop: Header=BB344_264 Depth=1
	v_bfe_u32 v41, v42, 16, 1
	v_add3_u32 v41, v42, v41, s9
                                        ; implicit-def: $vgpr42
; %bb.752:                              ;   in Loop: Header=BB344_264 Depth=1
	s_andn2_saveexec_b64 s[0:1], s[0:1]
; %bb.753:                              ;   in Loop: Header=BB344_264 Depth=1
	v_or_b32_e32 v41, 0x10000, v42
	v_cmp_eq_u32_sdwa vcc, v42, v21 src0_sel:WORD_0 src1_sel:DWORD
	s_nop 1
	v_cndmask_b32_e32 v41, v41, v42, vcc
; %bb.754:                              ;   in Loop: Header=BB344_264 Depth=1
	s_or_b64 exec, exec, s[0:1]
	v_lshlrev_b32_e32 v42, 16, v56
	v_mul_f32_e32 v43, v45, v42
	v_and_b32_e32 v42, 0x7f800000, v43
	v_cmp_ne_u32_e32 vcc, s8, v42
                                        ; implicit-def: $vgpr42
	s_and_saveexec_b64 s[0:1], vcc
	s_xor_b64 s[0:1], exec, s[0:1]
; %bb.755:                              ;   in Loop: Header=BB344_264 Depth=1
	v_bfe_u32 v42, v43, 16, 1
	v_add3_u32 v42, v43, v42, s9
                                        ; implicit-def: $vgpr43
; %bb.756:                              ;   in Loop: Header=BB344_264 Depth=1
	s_andn2_saveexec_b64 s[0:1], s[0:1]
	s_cbranch_execz .LBB344_263
; %bb.757:                              ;   in Loop: Header=BB344_264 Depth=1
	v_or_b32_e32 v42, 0x10000, v43
	v_cmp_eq_u32_sdwa vcc, v43, v21 src0_sel:WORD_0 src1_sel:DWORD
	s_nop 1
	v_cndmask_b32_e32 v42, v42, v43, vcc
	s_branch .LBB344_263
.LBB344_758:
	s_or_b64 exec, exec, s[4:5]
	v_accvgpr_read_b32 v18, a5
	v_accvgpr_read_b32 v19, a6
	;; [unrolled: 1-line block ×4, first 2 shown]
.LBB344_759:
	s_or_b64 exec, exec, s[2:3]
	ds_bpermute_b32 v0, v19, v16
	ds_bpermute_b32 v1, v19, v17
	;; [unrolled: 1-line block ×6, first 2 shown]
	s_waitcnt lgkmcnt(4)
	v_pk_add_f32 v[0:1], v[16:17], v[0:1]
	ds_bpermute_b32 v4, v21, v0
	s_waitcnt lgkmcnt(3)
	v_pk_add_f32 v[2:3], v[14:15], v[2:3]
	ds_bpermute_b32 v5, v21, v1
	s_waitcnt lgkmcnt(2)
	v_pk_add_f32 v[6:7], v[12:13], v[6:7]
	ds_bpermute_b32 v10, v21, v2
	ds_bpermute_b32 v8, v19, v20
	ds_bpermute_b32 v11, v21, v3
	;; [unrolled: 1-line block ×4, first 2 shown]
	s_waitcnt lgkmcnt(0)
	v_add_f32_e32 v14, v20, v8
	v_pk_add_f32 v[8:9], v[0:1], v[4:5]
	v_pk_add_f32 v[4:5], v[2:3], v[10:11]
	;; [unrolled: 1-line block ×3, first 2 shown]
	s_barrier
	scratch_load_dword v7, off, s32 offset:212 ; 4-byte Folded Reload
	ds_bpermute_b32 v15, v21, v14
	s_waitcnt lgkmcnt(0)
	v_add_f32_e32 v6, v14, v15
	s_waitcnt vmcnt(0)
	v_and_b32_e32 v0, 0x3c3, v7
	v_cmp_eq_u32_e32 vcc, 64, v0
	s_and_saveexec_b64 s[0:1], vcc
	s_cbranch_execz .LBB344_761
; %bb.760:
	s_ashr_i32 s17, s16, 31
	s_lshl_b64 s[2:3], s[16:17], 2
	s_getpc_b64 s[4:5]
	s_add_u32 s4, s4, llvm.amdgcn.dynlds.offset.table@rel32@lo+4
	s_addc_u32 s5, s5, llvm.amdgcn.dynlds.offset.table@rel32@hi+12
	s_add_u32 s2, s2, s4
	s_addc_u32 s3, s3, s5
	s_load_dword s2, s[2:3], 0x0
	s_waitcnt lgkmcnt(0)
	v_add_u32_e32 v0, s2, v18
	ds_write2_b32 v0, v8, v9 offset1:16
	ds_write2_b32 v0, v4, v5 offset0:32 offset1:48
	ds_write2_b32 v0, v2, v3 offset0:64 offset1:80
	ds_write_b32 v0, v6 offset:384
.LBB344_761:
	s_or_b64 exec, exec, s[0:1]
	v_cmp_gt_u32_e32 vcc, 64, v7
	s_waitcnt lgkmcnt(0)
	s_barrier
	s_and_saveexec_b64 s[2:3], vcc
	s_cbranch_execz .LBB344_771
; %bb.762:
	v_cmp_eq_u32_e64 s[0:1], 0, v25
	v_lshrrev_b32_e32 v0, 2, v7
	s_and_saveexec_b64 s[4:5], s[0:1]
	s_cbranch_execnz .LBB344_803
; %bb.763:
	s_or_b64 exec, exec, s[4:5]
	s_and_saveexec_b64 s[4:5], s[0:1]
	s_cbranch_execnz .LBB344_804
.LBB344_764:
	s_or_b64 exec, exec, s[4:5]
	s_and_saveexec_b64 s[4:5], s[0:1]
	s_cbranch_execnz .LBB344_805
.LBB344_765:
	s_or_b64 exec, exec, s[4:5]
	s_and_saveexec_b64 s[4:5], s[0:1]
	s_cbranch_execnz .LBB344_806
.LBB344_766:
	s_or_b64 exec, exec, s[4:5]
	s_and_saveexec_b64 s[4:5], s[0:1]
	s_cbranch_execnz .LBB344_807
.LBB344_767:
	s_or_b64 exec, exec, s[4:5]
	s_and_saveexec_b64 s[4:5], s[0:1]
	s_cbranch_execnz .LBB344_808
.LBB344_768:
	s_or_b64 exec, exec, s[4:5]
	s_and_saveexec_b64 s[4:5], s[0:1]
	s_cbranch_execz .LBB344_770
.LBB344_769:
	s_ashr_i32 s17, s16, 31
	s_lshl_b64 s[0:1], s[16:17], 2
	s_getpc_b64 s[6:7]
	s_add_u32 s6, s6, llvm.amdgcn.dynlds.offset.table@rel32@lo+4
	s_addc_u32 s7, s7, llvm.amdgcn.dynlds.offset.table@rel32@hi+12
	s_add_u32 s0, s0, s6
	s_addc_u32 s1, s1, s7
	s_load_dword s0, s[0:1], 0x0
	s_waitcnt lgkmcnt(0)
	v_lshl_add_u32 v0, v0, 2, s0
	ds_read_b32 v0, v0 offset:384
	s_waitcnt lgkmcnt(0)
	v_add_f32_e32 v6, v6, v0
.LBB344_770:
	s_or_b64 exec, exec, s[4:5]
.LBB344_771:
	s_or_b64 exec, exec, s[2:3]
	s_barrier
	s_and_saveexec_b64 s[0:1], vcc
	s_cbranch_execz .LBB344_802
; %bb.772:
	v_cmp_eq_u32_e32 vcc, 0, v25
	s_and_b64 exec, exec, vcc
	s_cbranch_execz .LBB344_802
; %bb.773:
	s_mov_b32 s2, 0x7f800000
	v_and_b32_e32 v0, 0x7f800000, v8
	v_cmp_ne_u32_e32 vcc, s2, v0
                                        ; implicit-def: $vgpr0
	s_and_saveexec_b64 s[2:3], vcc
	s_xor_b64 s[2:3], exec, s[2:3]
; %bb.774:
	v_bfe_u32 v0, v8, 16, 1
	s_movk_i32 s4, 0x7fff
	v_add3_u32 v0, v8, v0, s4
; %bb.775:
	s_andn2_saveexec_b64 s[2:3], s[2:3]
; %bb.776:
	v_mov_b32_e32 v0, 0
	v_or_b32_e32 v1, 0x10000, v8
	v_cmp_eq_u32_sdwa vcc, v8, v0 src0_sel:WORD_0 src1_sel:DWORD
	s_nop 1
	v_cndmask_b32_e32 v0, v1, v8, vcc
; %bb.777:
	s_or_b64 exec, exec, s[2:3]
	scratch_load_dwordx2 v[10:11], off, s32 offset:216 ; 8-byte Folded Reload
	v_cmp_ne_u16_e64 s[2:3], s15, 0
	s_cmp_lg_u64 s[2:3], 0
	s_addc_u32 s4, s13, 0
	s_mul_i32 s2, s4, s10
	s_mul_i32 s2, s2, s11
	s_mulk_i32 s2, 0x70
	s_mul_i32 s4, s12, s4
	s_mul_i32 s6, s14, 0x70
	s_ashr_i32 s3, s2, 31
	s_ashr_i32 s5, s4, 31
	s_ashr_i32 s7, s6, 31
	s_lshl_b64 s[2:3], s[2:3], 1
	s_lshl_b64 s[4:5], s[4:5], 1
	;; [unrolled: 1-line block ×3, first 2 shown]
	s_add_u32 s4, s6, s4
	s_addc_u32 s5, s7, s5
	s_add_u32 s2, s4, s2
	s_addc_u32 s3, s5, s3
	v_lshrrev_b32_e32 v1, 1, v7
	v_and_b32_e32 v12, 0x1fe, v1
	v_mov_b32_e32 v13, 0
	s_waitcnt vmcnt(0)
	v_lshl_add_u64 v[10:11], s[2:3], 0, v[10:11]
	v_lshl_add_u64 v[10:11], v[10:11], 0, v[12:13]
	flat_store_short_d16_hi v[10:11], v0
	s_mov_b32 s2, 0x7f800000
	v_and_b32_e32 v0, 0x7f800000, v9
	v_cmp_ne_u32_e32 vcc, s2, v0
                                        ; implicit-def: $vgpr0
	s_and_saveexec_b64 s[2:3], vcc
	s_xor_b64 s[2:3], exec, s[2:3]
; %bb.778:
	v_bfe_u32 v0, v9, 16, 1
	s_movk_i32 s4, 0x7fff
	v_add3_u32 v0, v9, v0, s4
; %bb.779:
	s_andn2_saveexec_b64 s[2:3], s[2:3]
; %bb.780:
	v_mov_b32_e32 v0, 0
	v_or_b32_e32 v1, 0x10000, v9
	v_cmp_eq_u32_sdwa vcc, v9, v0 src0_sel:WORD_0 src1_sel:DWORD
	s_nop 1
	v_cndmask_b32_e32 v0, v1, v9, vcc
; %bb.781:
	s_or_b64 exec, exec, s[2:3]
	flat_store_short_d16_hi v[10:11], v0 offset:32
	s_mov_b32 s2, 0x7f800000
	v_and_b32_e32 v0, 0x7f800000, v4
	v_cmp_ne_u32_e32 vcc, s2, v0
                                        ; implicit-def: $vgpr0
	s_and_saveexec_b64 s[2:3], vcc
	s_xor_b64 s[2:3], exec, s[2:3]
; %bb.782:
	v_bfe_u32 v0, v4, 16, 1
	s_movk_i32 s4, 0x7fff
	v_add3_u32 v0, v4, v0, s4
; %bb.783:
	s_andn2_saveexec_b64 s[2:3], s[2:3]
; %bb.784:
	v_mov_b32_e32 v0, 0
	v_or_b32_e32 v1, 0x10000, v4
	v_cmp_eq_u32_sdwa vcc, v4, v0 src0_sel:WORD_0 src1_sel:DWORD
	s_nop 1
	v_cndmask_b32_e32 v0, v1, v4, vcc
; %bb.785:
	s_or_b64 exec, exec, s[2:3]
	flat_store_short_d16_hi v[10:11], v0 offset:64
	;; [unrolled: 21-line block ×5, first 2 shown]
	s_mov_b32 s2, 0x7f800000
	v_and_b32_e32 v0, 0x7f800000, v6
	v_cmp_ne_u32_e32 vcc, s2, v0
                                        ; implicit-def: $vgpr7
	s_and_saveexec_b64 s[2:3], vcc
	s_xor_b64 s[2:3], exec, s[2:3]
; %bb.798:
	v_bfe_u32 v0, v6, 16, 1
	s_movk_i32 s4, 0x7fff
	v_add3_u32 v7, v6, v0, s4
                                        ; implicit-def: $vgpr0_vgpr1_vgpr2_vgpr3_vgpr4_vgpr5_vgpr6
; %bb.799:
	s_andn2_saveexec_b64 s[2:3], s[2:3]
; %bb.800:
	v_mov_b32_e32 v0, 0
	v_or_b32_e32 v1, 0x10000, v6
	v_cmp_eq_u32_sdwa vcc, v6, v0 src0_sel:WORD_0 src1_sel:DWORD
	s_nop 1
	v_cndmask_b32_e32 v7, v1, v6, vcc
; %bb.801:
	s_or_b64 exec, exec, s[2:3]
	flat_store_short_d16_hi v[10:11], v7 offset:192
.LBB344_802:
	s_or_b64 exec, exec, s[0:1]
	scratch_load_dword a63, off, s32        ; 4-byte Folded Reload
	scratch_load_dword a62, off, s32 offset:4 ; 4-byte Folded Reload
	scratch_load_dword a61, off, s32 offset:8 ; 4-byte Folded Reload
	;; [unrolled: 1-line block ×47, first 2 shown]
	s_waitcnt vmcnt(0) lgkmcnt(0)
	s_setpc_b64 s[30:31]
.LBB344_803:
	s_ashr_i32 s17, s16, 31
	s_lshl_b64 s[6:7], s[16:17], 2
	s_getpc_b64 s[8:9]
	s_add_u32 s8, s8, llvm.amdgcn.dynlds.offset.table@rel32@lo+4
	s_addc_u32 s9, s9, llvm.amdgcn.dynlds.offset.table@rel32@hi+12
	s_add_u32 s6, s6, s8
	s_addc_u32 s7, s7, s9
	s_load_dword s6, s[6:7], 0x0
	s_waitcnt lgkmcnt(0)
	v_lshl_add_u32 v1, v0, 2, s6
	ds_read_b32 v1, v1
	s_waitcnt lgkmcnt(0)
	v_add_f32_e32 v8, v8, v1
	s_or_b64 exec, exec, s[4:5]
	s_and_saveexec_b64 s[4:5], s[0:1]
	s_cbranch_execz .LBB344_764
.LBB344_804:
	s_ashr_i32 s17, s16, 31
	s_lshl_b64 s[6:7], s[16:17], 2
	s_getpc_b64 s[8:9]
	s_add_u32 s8, s8, llvm.amdgcn.dynlds.offset.table@rel32@lo+4
	s_addc_u32 s9, s9, llvm.amdgcn.dynlds.offset.table@rel32@hi+12
	s_add_u32 s6, s6, s8
	s_addc_u32 s7, s7, s9
	s_load_dword s6, s[6:7], 0x0
	s_waitcnt lgkmcnt(0)
	v_lshl_add_u32 v1, v0, 2, s6
	ds_read_b32 v1, v1 offset:64
	s_waitcnt lgkmcnt(0)
	v_add_f32_e32 v9, v9, v1
	s_or_b64 exec, exec, s[4:5]
	s_and_saveexec_b64 s[4:5], s[0:1]
	s_cbranch_execz .LBB344_765
.LBB344_805:
	s_ashr_i32 s17, s16, 31
	s_lshl_b64 s[6:7], s[16:17], 2
	s_getpc_b64 s[8:9]
	s_add_u32 s8, s8, llvm.amdgcn.dynlds.offset.table@rel32@lo+4
	s_addc_u32 s9, s9, llvm.amdgcn.dynlds.offset.table@rel32@hi+12
	s_add_u32 s6, s6, s8
	s_addc_u32 s7, s7, s9
	s_load_dword s6, s[6:7], 0x0
	s_waitcnt lgkmcnt(0)
	v_lshl_add_u32 v1, v0, 2, s6
	ds_read_b32 v1, v1 offset:128
	s_waitcnt lgkmcnt(0)
	v_add_f32_e32 v4, v4, v1
	s_or_b64 exec, exec, s[4:5]
	s_and_saveexec_b64 s[4:5], s[0:1]
	s_cbranch_execz .LBB344_766
.LBB344_806:
	s_ashr_i32 s17, s16, 31
	s_lshl_b64 s[6:7], s[16:17], 2
	s_getpc_b64 s[8:9]
	s_add_u32 s8, s8, llvm.amdgcn.dynlds.offset.table@rel32@lo+4
	s_addc_u32 s9, s9, llvm.amdgcn.dynlds.offset.table@rel32@hi+12
	s_add_u32 s6, s6, s8
	s_addc_u32 s7, s7, s9
	s_load_dword s6, s[6:7], 0x0
	s_waitcnt lgkmcnt(0)
	v_lshl_add_u32 v1, v0, 2, s6
	ds_read_b32 v1, v1 offset:192
	s_waitcnt lgkmcnt(0)
	v_add_f32_e32 v5, v5, v1
	s_or_b64 exec, exec, s[4:5]
	s_and_saveexec_b64 s[4:5], s[0:1]
	s_cbranch_execz .LBB344_767
.LBB344_807:
	s_ashr_i32 s17, s16, 31
	s_lshl_b64 s[6:7], s[16:17], 2
	s_getpc_b64 s[8:9]
	s_add_u32 s8, s8, llvm.amdgcn.dynlds.offset.table@rel32@lo+4
	s_addc_u32 s9, s9, llvm.amdgcn.dynlds.offset.table@rel32@hi+12
	s_add_u32 s6, s6, s8
	s_addc_u32 s7, s7, s9
	s_load_dword s6, s[6:7], 0x0
	s_waitcnt lgkmcnt(0)
	v_lshl_add_u32 v1, v0, 2, s6
	ds_read_b32 v1, v1 offset:256
	s_waitcnt lgkmcnt(0)
	v_add_f32_e32 v2, v2, v1
	s_or_b64 exec, exec, s[4:5]
	s_and_saveexec_b64 s[4:5], s[0:1]
	s_cbranch_execz .LBB344_768
.LBB344_808:
	s_ashr_i32 s17, s16, 31
	s_lshl_b64 s[6:7], s[16:17], 2
	s_getpc_b64 s[8:9]
	s_add_u32 s8, s8, llvm.amdgcn.dynlds.offset.table@rel32@lo+4
	s_addc_u32 s9, s9, llvm.amdgcn.dynlds.offset.table@rel32@hi+12
	s_add_u32 s6, s6, s8
	s_addc_u32 s7, s7, s9
	s_load_dword s6, s[6:7], 0x0
	s_waitcnt lgkmcnt(0)
	v_lshl_add_u32 v1, v0, 2, s6
	ds_read_b32 v1, v1 offset:320
	s_waitcnt lgkmcnt(0)
	v_add_f32_e32 v3, v3, v1
	s_or_b64 exec, exec, s[4:5]
	s_and_saveexec_b64 s[4:5], s[0:1]
	s_cbranch_execnz .LBB344_769
	s_branch .LBB344_770
.Lfunc_end344:
	.size	_ZN4vllm22paged_attention_kernelI14__hip_bfloat16hLi112ELi32ELi128ELNS_18Fp8KVCacheDataTypeE1ELb0ELi0EEEvPfS3_PT_PKS4_PKT0_SA_ifPKiSC_iPKfiiiSE_SE_iiiii, .Lfunc_end344-_ZN4vllm22paged_attention_kernelI14__hip_bfloat16hLi112ELi32ELi128ELNS_18Fp8KVCacheDataTypeE1ELb0ELi0EEEvPfS3_PT_PKS4_PKT0_SA_ifPKiSC_iPKfiiiSE_SE_iiiii
                                        ; -- End function
	.section	.AMDGPU.csdata,"",@progbits
; Function info:
; codeLenInByte = 27572
; NumSgprs: 39
; NumVgprs: 64
; NumAgprs: 64
; TotalNumVgprs: 128
; ScratchSize: 288
; MemoryBound: 0
	.section	.text._ZN4vllm25paged_attention_v1_kernelI14__hip_bfloat16hLi112ELi32ELi128ELNS_18Fp8KVCacheDataTypeE1ELb0EEEvPT_PKS3_PKT0_S9_ifPKiSB_iPKfiiiSD_SD_iiiii,"axG",@progbits,_ZN4vllm25paged_attention_v1_kernelI14__hip_bfloat16hLi112ELi32ELi128ELNS_18Fp8KVCacheDataTypeE1ELb0EEEvPT_PKS3_PKT0_S9_ifPKiSB_iPKfiiiSD_SD_iiiii,comdat
	.protected	_ZN4vllm25paged_attention_v1_kernelI14__hip_bfloat16hLi112ELi32ELi128ELNS_18Fp8KVCacheDataTypeE1ELb0EEEvPT_PKS3_PKT0_S9_ifPKiSB_iPKfiiiSD_SD_iiiii ; -- Begin function _ZN4vllm25paged_attention_v1_kernelI14__hip_bfloat16hLi112ELi32ELi128ELNS_18Fp8KVCacheDataTypeE1ELb0EEEvPT_PKS3_PKT0_S9_ifPKiSB_iPKfiiiSD_SD_iiiii
	.globl	_ZN4vllm25paged_attention_v1_kernelI14__hip_bfloat16hLi112ELi32ELi128ELNS_18Fp8KVCacheDataTypeE1ELb0EEEvPT_PKS3_PKT0_S9_ifPKiSB_iPKfiiiSD_SD_iiiii
	.p2align	8
	.type	_ZN4vllm25paged_attention_v1_kernelI14__hip_bfloat16hLi112ELi32ELi128ELNS_18Fp8KVCacheDataTypeE1ELb0EEEvPT_PKS3_PKT0_S9_ifPKiSB_iPKfiiiSD_SD_iiiii,@function
_ZN4vllm25paged_attention_v1_kernelI14__hip_bfloat16hLi112ELi32ELi128ELNS_18Fp8KVCacheDataTypeE1ELb0EEEvPT_PKS3_PKT0_S9_ifPKiSB_iPKfiiiSD_SD_iiiii: ; @_ZN4vllm25paged_attention_v1_kernelI14__hip_bfloat16hLi112ELi32ELi128ELNS_18Fp8KVCacheDataTypeE1ELb0EEEvPT_PKS3_PKT0_S9_ifPKiSB_iPKfiiiSD_SD_iiiii
; %bb.0:
	s_load_dwordx8 s[16:23], s[0:1], 0x0
	s_load_dwordx4 s[36:39], s[0:1], 0x20
	s_load_dwordx2 s[6:7], s[0:1], 0x30
	s_load_dword s5, s[0:1], 0x38
	s_load_dwordx2 s[10:11], s[0:1], 0x40
	s_load_dwordx8 s[24:31], s[0:1], 0x48
	s_add_u32 s8, s0, 0x80
	s_addc_u32 s9, s1, 0
	s_mov_b32 s12, s2
	s_mov_b32 s13, s3
	;; [unrolled: 1-line block ×4, first 2 shown]
	v_mov_b32_e32 v31, v0
	s_waitcnt lgkmcnt(0)
	v_mov_b32_e32 v0, s16
	v_mov_b32_e32 v1, s17
	;; [unrolled: 1-line block ×24, first 2 shown]
	s_mov_b32 s32, 0
	s_getpc_b64 s[0:1]
	s_add_u32 s0, s0, _ZN4vllm22paged_attention_kernelI14__hip_bfloat16hLi112ELi32ELi128ELNS_18Fp8KVCacheDataTypeE1ELb0ELi0EEEvPfS3_PT_PKS4_PKT0_SA_ifPKiSC_iPKfiiiSE_SE_iiiii@rel32@lo+4
	s_addc_u32 s1, s1, _ZN4vllm22paged_attention_kernelI14__hip_bfloat16hLi112ELi32ELi128ELNS_18Fp8KVCacheDataTypeE1ELb0ELi0EEEvPfS3_PT_PKS4_PKT0_SA_ifPKiSC_iPKfiiiSE_SE_iiiii@rel32@hi+12
	s_swappc_b64 s[30:31], s[0:1]
	s_endpgm
	.section	.rodata,"a",@progbits
	.p2align	6, 0x0
	.amdhsa_kernel _ZN4vllm25paged_attention_v1_kernelI14__hip_bfloat16hLi112ELi32ELi128ELNS_18Fp8KVCacheDataTypeE1ELb0EEEvPT_PKS3_PKT0_S9_ifPKiSB_iPKfiiiSD_SD_iiiii
		.amdhsa_group_segment_fixed_size 240
		.amdhsa_private_segment_fixed_size 288
		.amdhsa_kernarg_size 384
		.amdhsa_user_sgpr_count 2
		.amdhsa_user_sgpr_dispatch_ptr 0
		.amdhsa_user_sgpr_queue_ptr 0
		.amdhsa_user_sgpr_kernarg_segment_ptr 1
		.amdhsa_user_sgpr_dispatch_id 0
		.amdhsa_user_sgpr_kernarg_preload_length 0
		.amdhsa_user_sgpr_kernarg_preload_offset 0
		.amdhsa_user_sgpr_private_segment_size 0
		.amdhsa_uses_dynamic_stack 0
		.amdhsa_enable_private_segment 1
		.amdhsa_system_sgpr_workgroup_id_x 1
		.amdhsa_system_sgpr_workgroup_id_y 1
		.amdhsa_system_sgpr_workgroup_id_z 1
		.amdhsa_system_sgpr_workgroup_info 0
		.amdhsa_system_vgpr_workitem_id 0
		.amdhsa_next_free_vgpr 128
		.amdhsa_next_free_sgpr 40
		.amdhsa_accum_offset 64
		.amdhsa_reserve_vcc 1
		.amdhsa_float_round_mode_32 0
		.amdhsa_float_round_mode_16_64 0
		.amdhsa_float_denorm_mode_32 3
		.amdhsa_float_denorm_mode_16_64 3
		.amdhsa_dx10_clamp 1
		.amdhsa_ieee_mode 1
		.amdhsa_fp16_overflow 0
		.amdhsa_tg_split 0
		.amdhsa_exception_fp_ieee_invalid_op 0
		.amdhsa_exception_fp_denorm_src 0
		.amdhsa_exception_fp_ieee_div_zero 0
		.amdhsa_exception_fp_ieee_overflow 0
		.amdhsa_exception_fp_ieee_underflow 0
		.amdhsa_exception_fp_ieee_inexact 0
		.amdhsa_exception_int_div_zero 0
	.end_amdhsa_kernel
	.section	.text._ZN4vllm25paged_attention_v1_kernelI14__hip_bfloat16hLi112ELi32ELi128ELNS_18Fp8KVCacheDataTypeE1ELb0EEEvPT_PKS3_PKT0_S9_ifPKiSB_iPKfiiiSD_SD_iiiii,"axG",@progbits,_ZN4vllm25paged_attention_v1_kernelI14__hip_bfloat16hLi112ELi32ELi128ELNS_18Fp8KVCacheDataTypeE1ELb0EEEvPT_PKS3_PKT0_S9_ifPKiSB_iPKfiiiSD_SD_iiiii,comdat
.Lfunc_end345:
	.size	_ZN4vllm25paged_attention_v1_kernelI14__hip_bfloat16hLi112ELi32ELi128ELNS_18Fp8KVCacheDataTypeE1ELb0EEEvPT_PKS3_PKT0_S9_ifPKiSB_iPKfiiiSD_SD_iiiii, .Lfunc_end345-_ZN4vllm25paged_attention_v1_kernelI14__hip_bfloat16hLi112ELi32ELi128ELNS_18Fp8KVCacheDataTypeE1ELb0EEEvPT_PKS3_PKT0_S9_ifPKiSB_iPKfiiiSD_SD_iiiii
                                        ; -- End function
	.section	.AMDGPU.csdata,"",@progbits
; Kernel info:
; codeLenInByte = 212
; NumSgprs: 46
; NumVgprs: 64
; NumAgprs: 64
; TotalNumVgprs: 128
; ScratchSize: 288
; MemoryBound: 0
; FloatMode: 240
; IeeeMode: 1
; LDSByteSize: 240 bytes/workgroup (compile time only)
; SGPRBlocks: 5
; VGPRBlocks: 15
; NumSGPRsForWavesPerEU: 46
; NumVGPRsForWavesPerEU: 128
; AccumOffset: 64
; Occupancy: 4
; WaveLimiterHint : 1
; COMPUTE_PGM_RSRC2:SCRATCH_EN: 1
; COMPUTE_PGM_RSRC2:USER_SGPR: 2
; COMPUTE_PGM_RSRC2:TRAP_HANDLER: 0
; COMPUTE_PGM_RSRC2:TGID_X_EN: 1
; COMPUTE_PGM_RSRC2:TGID_Y_EN: 1
; COMPUTE_PGM_RSRC2:TGID_Z_EN: 1
; COMPUTE_PGM_RSRC2:TIDIG_COMP_CNT: 0
; COMPUTE_PGM_RSRC3_GFX90A:ACCUM_OFFSET: 15
; COMPUTE_PGM_RSRC3_GFX90A:TG_SPLIT: 0
	.text
	.p2align	2                               ; -- Begin function _ZN4vllm22paged_attention_kernelI14__hip_bfloat16hLi120ELi32ELi128ELNS_18Fp8KVCacheDataTypeE1ELb0ELi0EEEvPfS3_PT_PKS4_PKT0_SA_ifPKiSC_iPKfiiiSE_SE_iiiii
	.type	_ZN4vllm22paged_attention_kernelI14__hip_bfloat16hLi120ELi32ELi128ELNS_18Fp8KVCacheDataTypeE1ELb0ELi0EEEvPfS3_PT_PKS4_PKT0_SA_ifPKiSC_iPKfiiiSE_SE_iiiii,@function
_ZN4vllm22paged_attention_kernelI14__hip_bfloat16hLi120ELi32ELi128ELNS_18Fp8KVCacheDataTypeE1ELb0ELi0EEEvPfS3_PT_PKS4_PKT0_SA_ifPKiSC_iPKfiiiSE_SE_iiiii: ; @_ZN4vllm22paged_attention_kernelI14__hip_bfloat16hLi120ELi32ELi128ELNS_18Fp8KVCacheDataTypeE1ELb0ELi0EEEvPfS3_PT_PKS4_PKT0_SA_ifPKiSC_iPKfiiiSE_SE_iiiii
; %bb.0:
	s_waitcnt vmcnt(0) expcnt(0) lgkmcnt(0)
	scratch_store_dword off, v40, s32 offset:188 ; 4-byte Folded Spill
	scratch_store_dword off, v41, s32 offset:184 ; 4-byte Folded Spill
	;; [unrolled: 1-line block ×47, first 2 shown]
	scratch_store_dword off, a63, s32       ; 4-byte Folded Spill
	s_mov_b32 s10, s13
	s_ashr_i32 s11, s13, 31
	scratch_store_dwordx2 off, v[0:1], s32 offset:252 ; 8-byte Folded Spill
	v_lshl_add_u64 v[0:1], s[10:11], 2, v[12:13]
	flat_load_dword v32, v[0:1]
	v_sub_u32_e32 v0, 0, v8
	v_max_i32_e32 v0, v8, v0
	v_cvt_f32_u32_e32 v1, v0
	scratch_store_dwordx2 off, v[22:23], s32 offset:240 ; 8-byte Folded Spill
	scratch_store_dword off, v9, s32 offset:248 ; 4-byte Folded Spill
	s_load_dword s0, s[8:9], 0x10
	s_load_dword s2, s[8:9], 0x0
	v_rcp_iflag_f32_e32 v1, v1
	v_mov_b32_e32 v29, v7
	v_sub_u32_e32 v7, 0, v0
	s_waitcnt lgkmcnt(0)
	s_lshr_b32 s0, s0, 16
	v_mul_f32_e32 v1, 0x4f7ffffe, v1
	v_cvt_u32_f32_e32 v1, v1
	s_cmp_lg_u32 s0, 0
	s_cselect_b64 s[0:1], -1, 0
	s_cmp_lg_u64 s[0:1], 0
	v_mul_lo_u32 v7, v7, v1
	s_addc_u32 s11, s2, 0
	v_mul_hi_u32 v7, v1, v7
	s_abs_i32 s0, s11
	v_add_u32_e32 v1, v1, v7
	v_mul_hi_u32 v1, s0, v1
	v_mul_lo_u32 v7, v1, v0
	v_sub_u32_e32 v7, s0, v7
	v_mov_b32_e32 v28, v6
	v_xor_b32_e32 v6, s11, v8
	v_add_u32_e32 v8, 1, v1
	v_cmp_ge_u32_e32 vcc, v7, v0
	v_ashrrev_i32_e32 v6, 31, v6
	v_mov_b32_e32 v25, v16
	v_cndmask_b32_e32 v1, v1, v8, vcc
	v_sub_u32_e32 v8, v7, v0
	v_cndmask_b32_e32 v7, v7, v8, vcc
	v_add_u32_e32 v8, 1, v1
	v_cmp_ge_u32_e32 vcc, v7, v0
	v_mov_b32_e32 v24, v15
	v_accvgpr_write_b32 a18, v20
	v_cndmask_b32_e32 v0, v1, v8, vcc
	v_xor_b32_e32 v0, v0, v6
	v_sub_u32_e32 v0, v0, v6
	v_sub_u32_e32 v1, 0, v0
	v_max_i32_e32 v1, v0, v1
	v_cvt_f32_u32_e32 v6, v1
	v_sub_u32_e32 v7, 0, v1
	s_abs_i32 s2, s12
	v_accvgpr_write_b32 a19, v21
	v_rcp_iflag_f32_e32 v6, v6
	v_accvgpr_write_b32 a6, v18
	s_mov_b32 s16, s15
	v_cmp_ne_u64_e32 vcc, 0, v[24:25]
	v_mul_f32_e32 v6, 0x4f7ffffe, v6
	v_cvt_u32_f32_e32 v6, v6
	v_mul_lo_u32 v7, v7, v6
	v_mul_hi_u32 v7, v6, v7
	v_add_u32_e32 v6, v6, v7
	v_mad_u64_u32 v[12:13], s[0:1], s2, v6, 0
	v_mov_b32_e32 v6, 0
	scratch_store_dword off, v6, s32 offset:236 ; 4-byte Folded Spill
	s_and_saveexec_b64 s[0:1], vcc
	s_cbranch_execz .LBB346_2
; %bb.1:
	s_ashr_i32 s13, s12, 31
	v_lshl_add_u64 v[6:7], s[12:13], 2, v[24:25]
	flat_load_dword v6, v[6:7]
	s_waitcnt vmcnt(0) lgkmcnt(0)
	scratch_store_dword off, v6, s32 offset:236 ; 4-byte Folded Spill
.LBB346_2:
	s_or_b64 exec, exec, s[0:1]
	v_and_b32_e32 v18, 0x3ff, v31
	s_ashr_i32 s3, s12, 31
	v_ashrrev_i32_e32 v6, 31, v0
	v_and_b32_e32 v0, 1, v18
	s_movk_i32 s4, 0x78
	s_mulk_i32 s12, 0x78
	v_cmp_gt_u32_e32 vcc, 30, v18
	v_lshlrev_b32_e32 v30, 3, v18
	s_and_saveexec_b64 s[0:1], vcc
	s_cbranch_execz .LBB346_4
; %bb.3:
	v_mul_lo_u32 v16, s10, v17
	v_ashrrev_i32_e32 v17, 31, v16
	v_lshl_add_u64 v[2:3], v[16:17], 1, v[2:3]
	s_ashr_i32 s13, s12, 31
	v_lshl_add_u64 v[2:3], s[12:13], 1, v[2:3]
	v_mov_b32_e32 v31, 0
	v_lshl_add_u64 v[2:3], v[2:3], 0, v[30:31]
	flat_load_dwordx2 v[2:3], v[2:3]
	v_lshlrev_b32_e32 v7, 2, v18
	v_and_b32_e32 v7, 0xff8, v7
	v_mad_u32_u24 v7, v0, s4, v7
	s_waitcnt vmcnt(0) lgkmcnt(0)
	ds_write_b64 v7, v[2:3]
.LBB346_4:
	s_or_b64 exec, exec, s[0:1]
	s_waitcnt vmcnt(0)
	v_add_u32_e32 v2, 31, v32
	v_ashrrev_i32_e32 v3, 31, v2
	v_lshrrev_b32_e32 v3, 27, v3
	v_add_u32_e32 v2, v2, v3
	v_mul_lo_u32 v3, v13, v1
	v_sub_u32_e32 v3, s2, v3
	v_ashrrev_i32_e32 v8, 5, v2
	v_xor_b32_e32 v2, s3, v6
	v_add_u32_e32 v6, 1, v13
	v_cmp_ge_u32_e32 vcc, v3, v1
	v_sub_u32_e32 v7, v3, v1
	v_lshrrev_b32_e32 v12, 6, v18
	v_cndmask_b32_e32 v6, v13, v6, vcc
	v_cndmask_b32_e32 v3, v3, v7, vcc
	v_add_u32_e32 v7, 1, v6
	v_cmp_ge_u32_e32 vcc, v3, v1
	v_mul_lo_u32 v34, s10, v14
	v_ashrrev_i32_e32 v35, 31, v34
	v_cndmask_b32_e32 v1, v6, v7, vcc
	v_xor_b32_e32 v1, v1, v2
	v_sub_u32_e32 v2, v1, v2
	v_cmp_lt_i32_e64 s[0:1], v12, v8
	v_accvgpr_write_b32 a7, v12
	v_cmp_ge_i32_e32 vcc, v12, v8
	v_mbcnt_lo_u32_b32 v1, -1, 0
	s_waitcnt lgkmcnt(0)
	s_barrier
	scratch_store_dword off, v8, s32 offset:192 ; 4-byte Folded Spill
                                        ; implicit-def: $sgpr4
                                        ; implicit-def: $vgpr12
                                        ; implicit-def: $vgpr13
	s_and_saveexec_b64 s[2:3], vcc
	s_xor_b64 s[2:3], exec, s[2:3]
; %bb.5:
	v_mbcnt_hi_u32_b32 v12, -1, v1
	v_and_b32_e32 v0, 64, v12
	v_add_u32_e32 v13, 64, v0
                                        ; implicit-def: $vgpr0
	s_mov_b32 s4, 0xff7fffff
                                        ; kill: killed $vgpr0
                                        ; implicit-def: $vgpr0
                                        ; kill: killed $vgpr0
                                        ; implicit-def: $agpr18
                                        ; implicit-def: $vgpr4
                                        ; implicit-def: $vgpr0
                                        ; implicit-def: $vgpr1
; %bb.6:
	s_or_saveexec_b64 s[6:7], s[2:3]
	s_load_dword s15, s[8:9], 0x14
	s_load_dword s13, s[8:9], 0x8
	v_mul_lo_u32 v38, v2, v19
	v_mov_b32_e32 v3, s4
	v_ashrrev_i32_e32 v39, 31, v38
	v_lshrrev_b32_e32 v25, 4, v18
	s_xor_b64 exec, exec, s[6:7]
	s_cbranch_execz .LBB346_252
; %bb.7:
	scratch_store_dwordx2 off, v[30:31], s32 offset:292 ; 8-byte Folded Spill
	scratch_store_dwordx2 off, v[28:29], s32 offset:300 ; 8-byte Folded Spill
	v_mul_u32_u24_e32 v14, 0x78, v0
	ds_read2_b64 v[26:29], v14 offset1:1
	ds_read2_b64 v[20:23], v14 offset0:2 offset1:3
	v_bfe_u32 v6, v18, 1, 5
	v_cmp_eq_u32_e32 vcc, 0, v0
	v_mbcnt_hi_u32_b32 v1, -1, v1
	s_waitcnt lgkmcnt(0)
	v_lshlrev_b32_e32 v2, 16, v26
	scratch_store_dword off, v2, s32 offset:200 ; 4-byte Folded Spill
	v_and_b32_e32 v2, 0xffff0000, v26
	scratch_store_dword off, v2, s32 offset:204 ; 4-byte Folded Spill
	v_lshlrev_b32_e32 v2, 16, v27
	scratch_store_dword off, v2, s32 offset:208 ; 4-byte Folded Spill
	v_and_b32_e32 v2, 0xffff0000, v27
	scratch_store_dword off, v2, s32 offset:212 ; 4-byte Folded Spill
	;; [unrolled: 4-line block ×4, first 2 shown]
	v_lshlrev_b32_e32 v2, 16, v20
	scratch_store_dword off, v2, s32 offset:232 ; 4-byte Folded Spill
	v_and_b32_e32 v2, 0xffff0000, v20
	v_accvgpr_write_b32 a32, v2
	v_lshlrev_b32_e32 v2, 16, v21
	v_accvgpr_write_b32 a33, v2
	v_and_b32_e32 v2, 0xffff0000, v21
	ds_read2_b64 v[26:29], v14 offset0:4 offset1:5
	v_accvgpr_write_b32 a34, v2
	v_lshlrev_b32_e32 v2, 16, v22
	v_accvgpr_write_b32 a35, v2
	v_and_b32_e32 v2, 0xffff0000, v22
	v_accvgpr_write_b32 a36, v2
	v_lshlrev_b32_e32 v2, 16, v23
	v_accvgpr_write_b32 a37, v2
	v_and_b32_e32 v2, 0xffff0000, v23
	ds_read2_b64 v[20:23], v14 offset0:6 offset1:7
	v_accvgpr_write_b32 a38, v2
	s_waitcnt lgkmcnt(1)
	v_lshlrev_b32_e32 v2, 16, v26
	v_accvgpr_write_b32 a39, v2
	v_and_b32_e32 v2, 0xffff0000, v26
	v_accvgpr_write_b32 a40, v2
	v_lshlrev_b32_e32 v2, 16, v27
	v_accvgpr_write_b32 a41, v2
	v_and_b32_e32 v2, 0xffff0000, v27
	v_accvgpr_write_b32 a42, v2
	;; [unrolled: 4-line block ×4, first 2 shown]
	s_waitcnt lgkmcnt(0)
	v_lshlrev_b32_e32 v2, 16, v20
	v_accvgpr_write_b32 a47, v2
	v_and_b32_e32 v2, 0xffff0000, v20
	v_accvgpr_write_b32 a48, v2
	v_lshlrev_b32_e32 v2, 16, v21
	v_accvgpr_write_b32 a49, v2
	v_and_b32_e32 v2, 0xffff0000, v21
	ds_read2_b64 v[26:29], v14 offset0:8 offset1:9
	v_accvgpr_write_b32 a50, v2
	v_lshlrev_b32_e32 v2, 16, v22
	v_accvgpr_write_b32 a51, v2
	v_and_b32_e32 v2, 0xffff0000, v22
	v_accvgpr_write_b32 a52, v2
	v_lshlrev_b32_e32 v2, 16, v23
	v_accvgpr_write_b32 a53, v2
	v_and_b32_e32 v2, 0xffff0000, v23
	ds_read2_b64 v[20:23], v14 offset0:10 offset1:11
	v_accvgpr_write_b32 a54, v2
	s_waitcnt lgkmcnt(1)
	v_lshlrev_b32_e32 v2, 16, v26
	v_accvgpr_write_b32 a55, v2
	v_and_b32_e32 v2, 0xffff0000, v26
	v_accvgpr_write_b32 a56, v2
	v_lshlrev_b32_e32 v2, 16, v27
	v_accvgpr_write_b32 a57, v2
	v_and_b32_e32 v2, 0xffff0000, v27
	v_accvgpr_write_b32 a58, v2
	;; [unrolled: 4-line block ×4, first 2 shown]
	s_waitcnt lgkmcnt(0)
	v_lshlrev_b32_e32 v2, 16, v20
	v_accvgpr_write_b32 a63, v2
	v_and_b32_e32 v2, 0xffff0000, v20
	v_accvgpr_write_b32 a0, v2
	v_lshlrev_b32_e32 v2, 16, v21
	v_accvgpr_write_b32 a1, v2
	v_and_b32_e32 v2, 0xffff0000, v21
	v_accvgpr_write_b32 a16, v2
	;; [unrolled: 4-line block ×3, first 2 shown]
	v_lshlrev_b32_e32 v2, 16, v23
	v_accvgpr_write_b32 a22, v2
	v_and_b32_e32 v2, 0xffff0000, v23
	ds_read2_b64 v[20:23], v14 offset0:12 offset1:13
	v_accvgpr_write_b32 a21, v2
	s_ashr_i32 s17, s16, 31
	scratch_store_dword off, v1, s32 offset:276 ; 4-byte Folded Spill
	s_lshl_b64 s[4:5], s[16:17], 2
	s_waitcnt lgkmcnt(0)
	v_lshlrev_b32_e32 v2, 16, v20
	v_accvgpr_write_b32 a13, v2
	v_and_b32_e32 v2, 0xffff0000, v20
	v_accvgpr_write_b32 a14, v2
	v_lshlrev_b32_e32 v2, 16, v21
	v_accvgpr_write_b32 a15, v2
	v_and_b32_e32 v2, 0xffff0000, v21
	v_accvgpr_write_b32 a12, v2
	;; [unrolled: 4-line block ×4, first 2 shown]
	v_lshl_add_u64 v[2:3], v[4:5], 0, v[38:39]
	v_lshlrev_b32_e32 v4, 4, v6
	v_mov_b32_e32 v5, 0
	v_lshl_add_u64 v[2:3], v[2:3], 0, v[4:5]
	v_accvgpr_write_b32 a5, v3
	v_accvgpr_write_b32 a4, v2
	ds_read_b64 v[2:3], v14 offset:112
	v_lshlrev_b32_e32 v4, 2, v0
	s_getpc_b64 s[8:9]
	s_add_u32 s8, s8, llvm.amdgcn.dynlds.offset.table@rel32@lo+4
	s_addc_u32 s9, s9, llvm.amdgcn.dynlds.offset.table@rel32@hi+12
	s_add_u32 s8, s4, s8
	v_accvgpr_read_b32 v33, a7
	s_waitcnt lgkmcnt(0)
	v_lshlrev_b32_e32 v0, 16, v2
	v_accvgpr_write_b32 a3, v0
	v_and_b32_e32 v0, 0xffff0000, v2
	v_accvgpr_write_b32 a20, v0
	v_lshlrev_b32_e32 v0, 16, v3
	v_accvgpr_write_b32 a23, v0
	v_and_b32_e32 v0, 0xffff0000, v3
	v_accvgpr_write_b32 a24, v0
	v_and_b32_e32 v0, 64, v1
	v_add_u32_e32 v2, 64, v0
	v_xor_b32_e32 v0, 1, v1
	v_cmp_lt_i32_e64 s[2:3], v0, v2
	scratch_store_dwordx2 off, v[38:39], s32 offset:260 ; 8-byte Folded Spill
	s_addc_u32 s9, s5, s9
	v_cndmask_b32_e64 v0, v1, v0, s[2:3]
	v_lshlrev_b32_e32 v0, 2, v0
	v_accvgpr_write_b32 a25, v0
	scratch_load_dword v0, off, s32 offset:236 ; 4-byte Folded Reload
	v_mov_b32_e32 v1, v5
	v_lshl_or_b32 v39, v33, 5, v6
	s_mov_b64 s[18:19], 0
	s_mov_b32 s17, 0x7f800000
	s_movk_i32 s22, 0x7fff
	scratch_store_dword off, v18, s32 offset:268 ; 4-byte Folded Spill
	scratch_store_dword off, v2, s32 offset:272 ; 4-byte Folded Spill
	;; [unrolled: 1-line block ×3, first 2 shown]
	scratch_store_dwordx2 off, v[34:35], s32 offset:284 ; 8-byte Folded Spill
	scratch_store_dwordx2 off, v[10:11], s32 offset:308 ; 8-byte Folded Spill
	s_waitcnt vmcnt(5)
	v_cmp_neq_f32_e64 s[2:3], 0, v0
	v_and_b32_e32 v0, 60, v25
	v_lshl_add_u64 v[0:1], v[34:35], 2, v[0:1]
	v_lshl_add_u64 v[14:15], v[10:11], 0, v[0:1]
	v_lshlrev_b32_e32 v0, 2, v6
	v_lshl_or_b32 v43, v33, 7, v0
	v_mov_b32_e32 v0, 0xff7fffff
	scratch_store_dword off, v0, s32 offset:196 ; 4-byte Folded Spill
	s_branch .LBB346_9
.LBB346_8:                              ;   in Loop: Header=BB346_9 Depth=1
	s_or_b64 exec, exec, s[20:21]
	scratch_load_dword v0, off, s32 offset:192 ; 4-byte Folded Reload
	v_add_u32_e32 v33, 2, v33
	v_lshl_add_u64 v[14:15], v[14:15], 0, 8
	v_add_u32_e32 v39, 64, v39
	v_add_u32_e32 v43, 0x100, v43
	s_waitcnt vmcnt(0)
	v_cmp_ge_i32_e64 s[4:5], v33, v0
	s_or_b64 s[18:19], s[4:5], s[18:19]
	s_andn2_b64 exec, exec, s[18:19]
	s_cbranch_execz .LBB346_251
.LBB346_9:                              ; =>This Inner Loop Header: Depth=1
	flat_load_dword v0, v[14:15]
	v_accvgpr_read_b32 v7, a5
	v_accvgpr_read_b32 v2, a6
	;; [unrolled: 1-line block ×3, first 2 shown]
                                        ; implicit-def: $vgpr9
	s_waitcnt vmcnt(0) lgkmcnt(0)
	v_mad_i64_i32 v[0:1], s[4:5], v0, v2, v[6:7]
	v_lshl_add_u64 v[16:17], v[0:1], 0, v[4:5]
	flat_load_dword v0, v[16:17]
	v_accvgpr_read_b32 v2, a18
	v_accvgpr_read_b32 v3, a19
	flat_load_dword v52, v[2:3]
	s_waitcnt vmcnt(0) lgkmcnt(0)
	v_and_b32_e32 v1, 0xff, v0
	v_cvt_f32_fp8_sdwa v1, v1 src0_sel:BYTE_0
	s_nop 0
	v_mul_f32_e32 v1, v52, v1
	v_and_b32_e32 v2, 0x7f800000, v1
	v_cmp_ne_u32_e64 s[4:5], s17, v2
	s_and_saveexec_b64 s[20:21], s[4:5]
	s_xor_b64 s[4:5], exec, s[20:21]
; %bb.10:                               ;   in Loop: Header=BB346_9 Depth=1
	v_bfe_u32 v2, v1, 16, 1
	v_add3_u32 v9, v1, v2, s22
                                        ; implicit-def: $vgpr1
; %bb.11:                               ;   in Loop: Header=BB346_9 Depth=1
	s_andn2_saveexec_b64 s[20:21], s[4:5]
; %bb.12:                               ;   in Loop: Header=BB346_9 Depth=1
	v_or_b32_e32 v2, 0x10000, v1
	v_cmp_eq_u32_sdwa s[4:5], v1, v5 src0_sel:WORD_0 src1_sel:DWORD
	s_nop 1
	v_cndmask_b32_e64 v9, v2, v1, s[4:5]
; %bb.13:                               ;   in Loop: Header=BB346_9 Depth=1
	s_or_b64 exec, exec, s[20:21]
	v_bfe_u32 v1, v0, 8, 8
	v_cvt_f32_fp8_sdwa v1, v1 src0_sel:BYTE_0
                                        ; implicit-def: $vgpr40
	s_nop 0
	v_mul_f32_e32 v1, v52, v1
	v_and_b32_e32 v2, 0x7f800000, v1
	v_cmp_ne_u32_e64 s[4:5], s17, v2
	s_and_saveexec_b64 s[20:21], s[4:5]
	s_xor_b64 s[4:5], exec, s[20:21]
; %bb.14:                               ;   in Loop: Header=BB346_9 Depth=1
	v_bfe_u32 v2, v1, 16, 1
	v_add3_u32 v40, v1, v2, s22
                                        ; implicit-def: $vgpr1
; %bb.15:                               ;   in Loop: Header=BB346_9 Depth=1
	s_andn2_saveexec_b64 s[20:21], s[4:5]
; %bb.16:                               ;   in Loop: Header=BB346_9 Depth=1
	v_or_b32_e32 v2, 0x10000, v1
	v_cmp_eq_u32_sdwa s[4:5], v1, v5 src0_sel:WORD_0 src1_sel:DWORD
	s_nop 1
	v_cndmask_b32_e64 v40, v2, v1, s[4:5]
; %bb.17:                               ;   in Loop: Header=BB346_9 Depth=1
	s_or_b64 exec, exec, s[20:21]
	v_bfe_u32 v1, v0, 16, 8
	v_cvt_f32_fp8_sdwa v1, v1 src0_sel:BYTE_0
                                        ; implicit-def: $vgpr41
	s_nop 0
	v_mul_f32_e32 v1, v52, v1
	v_and_b32_e32 v2, 0x7f800000, v1
	v_cmp_ne_u32_e64 s[4:5], s17, v2
	s_and_saveexec_b64 s[20:21], s[4:5]
	s_xor_b64 s[4:5], exec, s[20:21]
; %bb.18:                               ;   in Loop: Header=BB346_9 Depth=1
	v_bfe_u32 v2, v1, 16, 1
	v_add3_u32 v41, v1, v2, s22
                                        ; implicit-def: $vgpr1
; %bb.19:                               ;   in Loop: Header=BB346_9 Depth=1
	s_andn2_saveexec_b64 s[20:21], s[4:5]
; %bb.20:                               ;   in Loop: Header=BB346_9 Depth=1
	v_or_b32_e32 v2, 0x10000, v1
	v_cmp_eq_u32_sdwa s[4:5], v1, v5 src0_sel:WORD_0 src1_sel:DWORD
	s_nop 1
	v_cndmask_b32_e64 v41, v2, v1, s[4:5]
; %bb.21:                               ;   in Loop: Header=BB346_9 Depth=1
	s_or_b64 exec, exec, s[20:21]
	v_lshrrev_b32_e32 v0, 24, v0
	v_cvt_f32_fp8_sdwa v0, v0 src0_sel:BYTE_0
                                        ; implicit-def: $vgpr42
	s_nop 0
	v_mul_f32_e32 v0, v52, v0
	v_and_b32_e32 v1, 0x7f800000, v0
	v_cmp_ne_u32_e64 s[4:5], s17, v1
	s_and_saveexec_b64 s[20:21], s[4:5]
	s_xor_b64 s[4:5], exec, s[20:21]
; %bb.22:                               ;   in Loop: Header=BB346_9 Depth=1
	v_bfe_u32 v1, v0, 16, 1
	v_add3_u32 v42, v0, v1, s22
                                        ; implicit-def: $vgpr0
; %bb.23:                               ;   in Loop: Header=BB346_9 Depth=1
	s_andn2_saveexec_b64 s[20:21], s[4:5]
; %bb.24:                               ;   in Loop: Header=BB346_9 Depth=1
	v_or_b32_e32 v1, 0x10000, v0
	v_cmp_eq_u32_sdwa s[4:5], v0, v5 src0_sel:WORD_0 src1_sel:DWORD
	s_nop 1
	v_cndmask_b32_e64 v42, v1, v0, s[4:5]
; %bb.25:                               ;   in Loop: Header=BB346_9 Depth=1
	s_or_b64 exec, exec, s[20:21]
	flat_load_dword v0, v[16:17] offset:8
                                        ; implicit-def: $agpr26
	s_waitcnt vmcnt(0) lgkmcnt(0)
	v_and_b32_e32 v1, 0xff, v0
	v_cvt_f32_fp8_sdwa v1, v1 src0_sel:BYTE_0
	s_nop 0
	v_mul_f32_e32 v1, v52, v1
	v_and_b32_e32 v2, 0x7f800000, v1
	v_cmp_ne_u32_e64 s[4:5], s17, v2
	s_and_saveexec_b64 s[20:21], s[4:5]
	s_xor_b64 s[4:5], exec, s[20:21]
; %bb.26:                               ;   in Loop: Header=BB346_9 Depth=1
	v_bfe_u32 v2, v1, 16, 1
	v_add3_u32 v1, v1, v2, s22
	v_accvgpr_write_b32 a26, v1
                                        ; implicit-def: $vgpr1
; %bb.27:                               ;   in Loop: Header=BB346_9 Depth=1
	s_andn2_saveexec_b64 s[20:21], s[4:5]
; %bb.28:                               ;   in Loop: Header=BB346_9 Depth=1
	v_or_b32_e32 v2, 0x10000, v1
	v_cmp_eq_u32_sdwa s[4:5], v1, v5 src0_sel:WORD_0 src1_sel:DWORD
	s_nop 1
	v_cndmask_b32_e64 v1, v2, v1, s[4:5]
	v_accvgpr_write_b32 a26, v1
; %bb.29:                               ;   in Loop: Header=BB346_9 Depth=1
	s_or_b64 exec, exec, s[20:21]
	v_bfe_u32 v1, v0, 8, 8
	v_cvt_f32_fp8_sdwa v1, v1 src0_sel:BYTE_0
                                        ; implicit-def: $agpr27
	s_nop 0
	v_mul_f32_e32 v1, v52, v1
	v_and_b32_e32 v2, 0x7f800000, v1
	v_cmp_ne_u32_e64 s[4:5], s17, v2
	s_and_saveexec_b64 s[20:21], s[4:5]
	s_xor_b64 s[4:5], exec, s[20:21]
; %bb.30:                               ;   in Loop: Header=BB346_9 Depth=1
	v_bfe_u32 v2, v1, 16, 1
	v_add3_u32 v1, v1, v2, s22
	v_accvgpr_write_b32 a27, v1
                                        ; implicit-def: $vgpr1
; %bb.31:                               ;   in Loop: Header=BB346_9 Depth=1
	s_andn2_saveexec_b64 s[20:21], s[4:5]
; %bb.32:                               ;   in Loop: Header=BB346_9 Depth=1
	v_or_b32_e32 v2, 0x10000, v1
	v_cmp_eq_u32_sdwa s[4:5], v1, v5 src0_sel:WORD_0 src1_sel:DWORD
	s_nop 1
	v_cndmask_b32_e64 v1, v2, v1, s[4:5]
	v_accvgpr_write_b32 a27, v1
; %bb.33:                               ;   in Loop: Header=BB346_9 Depth=1
	s_or_b64 exec, exec, s[20:21]
	v_bfe_u32 v1, v0, 16, 8
	v_cvt_f32_fp8_sdwa v1, v1 src0_sel:BYTE_0
                                        ; implicit-def: $agpr28
	s_nop 0
	v_mul_f32_e32 v1, v52, v1
	v_and_b32_e32 v2, 0x7f800000, v1
	v_cmp_ne_u32_e64 s[4:5], s17, v2
	s_and_saveexec_b64 s[20:21], s[4:5]
	s_xor_b64 s[4:5], exec, s[20:21]
; %bb.34:                               ;   in Loop: Header=BB346_9 Depth=1
	v_bfe_u32 v2, v1, 16, 1
	v_add3_u32 v1, v1, v2, s22
	v_accvgpr_write_b32 a28, v1
                                        ; implicit-def: $vgpr1
; %bb.35:                               ;   in Loop: Header=BB346_9 Depth=1
	s_andn2_saveexec_b64 s[20:21], s[4:5]
; %bb.36:                               ;   in Loop: Header=BB346_9 Depth=1
	v_or_b32_e32 v2, 0x10000, v1
	v_cmp_eq_u32_sdwa s[4:5], v1, v5 src0_sel:WORD_0 src1_sel:DWORD
	s_nop 1
	v_cndmask_b32_e64 v1, v2, v1, s[4:5]
	v_accvgpr_write_b32 a28, v1
; %bb.37:                               ;   in Loop: Header=BB346_9 Depth=1
	s_or_b64 exec, exec, s[20:21]
	v_lshrrev_b32_e32 v0, 24, v0
	v_cvt_f32_fp8_sdwa v0, v0 src0_sel:BYTE_0
                                        ; implicit-def: $agpr29
	s_nop 0
	v_mul_f32_e32 v0, v52, v0
	v_and_b32_e32 v1, 0x7f800000, v0
	v_cmp_ne_u32_e64 s[4:5], s17, v1
	s_and_saveexec_b64 s[20:21], s[4:5]
	s_xor_b64 s[4:5], exec, s[20:21]
; %bb.38:                               ;   in Loop: Header=BB346_9 Depth=1
	v_bfe_u32 v1, v0, 16, 1
	v_add3_u32 v0, v0, v1, s22
	v_accvgpr_write_b32 a29, v0
                                        ; implicit-def: $vgpr0
; %bb.39:                               ;   in Loop: Header=BB346_9 Depth=1
	s_andn2_saveexec_b64 s[20:21], s[4:5]
; %bb.40:                               ;   in Loop: Header=BB346_9 Depth=1
	v_or_b32_e32 v1, 0x10000, v0
	v_cmp_eq_u32_sdwa s[4:5], v0, v5 src0_sel:WORD_0 src1_sel:DWORD
	s_nop 1
	v_cndmask_b32_e64 v0, v1, v0, s[4:5]
	v_accvgpr_write_b32 a29, v0
; %bb.41:                               ;   in Loop: Header=BB346_9 Depth=1
	s_or_b64 exec, exec, s[20:21]
	flat_load_dword v0, v[16:17] offset:512
                                        ; implicit-def: $agpr30
	s_waitcnt vmcnt(0) lgkmcnt(0)
	v_and_b32_e32 v1, 0xff, v0
	v_cvt_f32_fp8_sdwa v1, v1 src0_sel:BYTE_0
	s_nop 0
	v_mul_f32_e32 v1, v52, v1
	v_and_b32_e32 v2, 0x7f800000, v1
	v_cmp_ne_u32_e64 s[4:5], s17, v2
	s_and_saveexec_b64 s[20:21], s[4:5]
	s_xor_b64 s[4:5], exec, s[20:21]
; %bb.42:                               ;   in Loop: Header=BB346_9 Depth=1
	v_bfe_u32 v2, v1, 16, 1
	v_add3_u32 v1, v1, v2, s22
	v_accvgpr_write_b32 a30, v1
                                        ; implicit-def: $vgpr1
; %bb.43:                               ;   in Loop: Header=BB346_9 Depth=1
	s_andn2_saveexec_b64 s[20:21], s[4:5]
; %bb.44:                               ;   in Loop: Header=BB346_9 Depth=1
	v_or_b32_e32 v2, 0x10000, v1
	v_cmp_eq_u32_sdwa s[4:5], v1, v5 src0_sel:WORD_0 src1_sel:DWORD
	s_nop 1
	v_cndmask_b32_e64 v1, v2, v1, s[4:5]
	v_accvgpr_write_b32 a30, v1
; %bb.45:                               ;   in Loop: Header=BB346_9 Depth=1
	s_or_b64 exec, exec, s[20:21]
	v_bfe_u32 v1, v0, 8, 8
	v_cvt_f32_fp8_sdwa v1, v1 src0_sel:BYTE_0
                                        ; implicit-def: $agpr31
	s_nop 0
	v_mul_f32_e32 v1, v52, v1
	v_and_b32_e32 v2, 0x7f800000, v1
	v_cmp_ne_u32_e64 s[4:5], s17, v2
	s_and_saveexec_b64 s[20:21], s[4:5]
	s_xor_b64 s[4:5], exec, s[20:21]
; %bb.46:                               ;   in Loop: Header=BB346_9 Depth=1
	v_bfe_u32 v2, v1, 16, 1
	v_add3_u32 v1, v1, v2, s22
	v_accvgpr_write_b32 a31, v1
                                        ; implicit-def: $vgpr1
; %bb.47:                               ;   in Loop: Header=BB346_9 Depth=1
	s_andn2_saveexec_b64 s[20:21], s[4:5]
; %bb.48:                               ;   in Loop: Header=BB346_9 Depth=1
	v_or_b32_e32 v2, 0x10000, v1
	v_cmp_eq_u32_sdwa s[4:5], v1, v5 src0_sel:WORD_0 src1_sel:DWORD
	s_nop 1
	v_cndmask_b32_e64 v1, v2, v1, s[4:5]
	v_accvgpr_write_b32 a31, v1
; %bb.49:                               ;   in Loop: Header=BB346_9 Depth=1
	s_or_b64 exec, exec, s[20:21]
	v_bfe_u32 v1, v0, 16, 8
	v_cvt_f32_fp8_sdwa v1, v1 src0_sel:BYTE_0
                                        ; implicit-def: $vgpr44
	s_nop 0
	v_mul_f32_e32 v1, v52, v1
	v_and_b32_e32 v2, 0x7f800000, v1
	v_cmp_ne_u32_e64 s[4:5], s17, v2
	s_and_saveexec_b64 s[20:21], s[4:5]
	s_xor_b64 s[4:5], exec, s[20:21]
; %bb.50:                               ;   in Loop: Header=BB346_9 Depth=1
	v_bfe_u32 v2, v1, 16, 1
	v_add3_u32 v44, v1, v2, s22
                                        ; implicit-def: $vgpr1
; %bb.51:                               ;   in Loop: Header=BB346_9 Depth=1
	s_andn2_saveexec_b64 s[20:21], s[4:5]
; %bb.52:                               ;   in Loop: Header=BB346_9 Depth=1
	v_or_b32_e32 v2, 0x10000, v1
	v_cmp_eq_u32_sdwa s[4:5], v1, v5 src0_sel:WORD_0 src1_sel:DWORD
	s_nop 1
	v_cndmask_b32_e64 v44, v2, v1, s[4:5]
; %bb.53:                               ;   in Loop: Header=BB346_9 Depth=1
	s_or_b64 exec, exec, s[20:21]
	v_lshrrev_b32_e32 v0, 24, v0
	v_cvt_f32_fp8_sdwa v0, v0 src0_sel:BYTE_0
                                        ; implicit-def: $vgpr45
	s_nop 0
	v_mul_f32_e32 v0, v52, v0
	v_and_b32_e32 v1, 0x7f800000, v0
	v_cmp_ne_u32_e64 s[4:5], s17, v1
	s_and_saveexec_b64 s[20:21], s[4:5]
	s_xor_b64 s[4:5], exec, s[20:21]
; %bb.54:                               ;   in Loop: Header=BB346_9 Depth=1
	v_bfe_u32 v1, v0, 16, 1
	v_add3_u32 v45, v0, v1, s22
                                        ; implicit-def: $vgpr0
; %bb.55:                               ;   in Loop: Header=BB346_9 Depth=1
	s_andn2_saveexec_b64 s[20:21], s[4:5]
; %bb.56:                               ;   in Loop: Header=BB346_9 Depth=1
	v_or_b32_e32 v1, 0x10000, v0
	v_cmp_eq_u32_sdwa s[4:5], v0, v5 src0_sel:WORD_0 src1_sel:DWORD
	s_nop 1
	v_cndmask_b32_e64 v45, v1, v0, s[4:5]
; %bb.57:                               ;   in Loop: Header=BB346_9 Depth=1
	s_or_b64 exec, exec, s[20:21]
	flat_load_dword v0, v[16:17] offset:520
                                        ; implicit-def: $vgpr46
	s_waitcnt vmcnt(0) lgkmcnt(0)
	v_and_b32_e32 v1, 0xff, v0
	v_cvt_f32_fp8_sdwa v1, v1 src0_sel:BYTE_0
	s_nop 0
	v_mul_f32_e32 v1, v52, v1
	v_and_b32_e32 v2, 0x7f800000, v1
	v_cmp_ne_u32_e64 s[4:5], s17, v2
	s_and_saveexec_b64 s[20:21], s[4:5]
	s_xor_b64 s[4:5], exec, s[20:21]
; %bb.58:                               ;   in Loop: Header=BB346_9 Depth=1
	v_bfe_u32 v2, v1, 16, 1
	v_add3_u32 v46, v1, v2, s22
                                        ; implicit-def: $vgpr1
; %bb.59:                               ;   in Loop: Header=BB346_9 Depth=1
	s_andn2_saveexec_b64 s[20:21], s[4:5]
; %bb.60:                               ;   in Loop: Header=BB346_9 Depth=1
	v_or_b32_e32 v2, 0x10000, v1
	v_cmp_eq_u32_sdwa s[4:5], v1, v5 src0_sel:WORD_0 src1_sel:DWORD
	s_nop 1
	v_cndmask_b32_e64 v46, v2, v1, s[4:5]
; %bb.61:                               ;   in Loop: Header=BB346_9 Depth=1
	s_or_b64 exec, exec, s[20:21]
	v_bfe_u32 v1, v0, 8, 8
	v_cvt_f32_fp8_sdwa v1, v1 src0_sel:BYTE_0
                                        ; implicit-def: $vgpr47
	s_nop 0
	v_mul_f32_e32 v1, v52, v1
	v_and_b32_e32 v2, 0x7f800000, v1
	v_cmp_ne_u32_e64 s[4:5], s17, v2
	s_and_saveexec_b64 s[20:21], s[4:5]
	s_xor_b64 s[4:5], exec, s[20:21]
; %bb.62:                               ;   in Loop: Header=BB346_9 Depth=1
	v_bfe_u32 v2, v1, 16, 1
	v_add3_u32 v47, v1, v2, s22
                                        ; implicit-def: $vgpr1
; %bb.63:                               ;   in Loop: Header=BB346_9 Depth=1
	s_andn2_saveexec_b64 s[20:21], s[4:5]
; %bb.64:                               ;   in Loop: Header=BB346_9 Depth=1
	v_or_b32_e32 v2, 0x10000, v1
	v_cmp_eq_u32_sdwa s[4:5], v1, v5 src0_sel:WORD_0 src1_sel:DWORD
	s_nop 1
	v_cndmask_b32_e64 v47, v2, v1, s[4:5]
; %bb.65:                               ;   in Loop: Header=BB346_9 Depth=1
	s_or_b64 exec, exec, s[20:21]
	v_bfe_u32 v1, v0, 16, 8
	v_cvt_f32_fp8_sdwa v1, v1 src0_sel:BYTE_0
                                        ; implicit-def: $vgpr56
	s_nop 0
	v_mul_f32_e32 v1, v52, v1
	v_and_b32_e32 v2, 0x7f800000, v1
	v_cmp_ne_u32_e64 s[4:5], s17, v2
	s_and_saveexec_b64 s[20:21], s[4:5]
	s_xor_b64 s[4:5], exec, s[20:21]
; %bb.66:                               ;   in Loop: Header=BB346_9 Depth=1
	v_bfe_u32 v2, v1, 16, 1
	v_add3_u32 v56, v1, v2, s22
                                        ; implicit-def: $vgpr1
; %bb.67:                               ;   in Loop: Header=BB346_9 Depth=1
	s_andn2_saveexec_b64 s[20:21], s[4:5]
; %bb.68:                               ;   in Loop: Header=BB346_9 Depth=1
	v_or_b32_e32 v2, 0x10000, v1
	v_cmp_eq_u32_sdwa s[4:5], v1, v5 src0_sel:WORD_0 src1_sel:DWORD
	s_nop 1
	v_cndmask_b32_e64 v56, v2, v1, s[4:5]
; %bb.69:                               ;   in Loop: Header=BB346_9 Depth=1
	s_or_b64 exec, exec, s[20:21]
	v_lshrrev_b32_e32 v0, 24, v0
	v_cvt_f32_fp8_sdwa v0, v0 src0_sel:BYTE_0
                                        ; implicit-def: $vgpr57
	s_nop 0
	v_mul_f32_e32 v0, v52, v0
	v_and_b32_e32 v1, 0x7f800000, v0
	v_cmp_ne_u32_e64 s[4:5], s17, v1
	s_and_saveexec_b64 s[20:21], s[4:5]
	s_xor_b64 s[4:5], exec, s[20:21]
; %bb.70:                               ;   in Loop: Header=BB346_9 Depth=1
	v_bfe_u32 v1, v0, 16, 1
	v_add3_u32 v57, v0, v1, s22
                                        ; implicit-def: $vgpr0
; %bb.71:                               ;   in Loop: Header=BB346_9 Depth=1
	s_andn2_saveexec_b64 s[20:21], s[4:5]
; %bb.72:                               ;   in Loop: Header=BB346_9 Depth=1
	v_or_b32_e32 v1, 0x10000, v0
	v_cmp_eq_u32_sdwa s[4:5], v0, v5 src0_sel:WORD_0 src1_sel:DWORD
	s_nop 1
	v_cndmask_b32_e64 v57, v1, v0, s[4:5]
; %bb.73:                               ;   in Loop: Header=BB346_9 Depth=1
	s_or_b64 exec, exec, s[20:21]
	flat_load_dword v0, v[16:17] offset:1024
                                        ; implicit-def: $vgpr58
	s_waitcnt vmcnt(0) lgkmcnt(0)
	v_and_b32_e32 v1, 0xff, v0
	v_cvt_f32_fp8_sdwa v1, v1 src0_sel:BYTE_0
	s_nop 0
	v_mul_f32_e32 v1, v52, v1
	v_and_b32_e32 v2, 0x7f800000, v1
	v_cmp_ne_u32_e64 s[4:5], s17, v2
	s_and_saveexec_b64 s[20:21], s[4:5]
	s_xor_b64 s[4:5], exec, s[20:21]
; %bb.74:                               ;   in Loop: Header=BB346_9 Depth=1
	v_bfe_u32 v2, v1, 16, 1
	v_add3_u32 v58, v1, v2, s22
                                        ; implicit-def: $vgpr1
; %bb.75:                               ;   in Loop: Header=BB346_9 Depth=1
	s_andn2_saveexec_b64 s[20:21], s[4:5]
; %bb.76:                               ;   in Loop: Header=BB346_9 Depth=1
	v_or_b32_e32 v2, 0x10000, v1
	v_cmp_eq_u32_sdwa s[4:5], v1, v5 src0_sel:WORD_0 src1_sel:DWORD
	s_nop 1
	v_cndmask_b32_e64 v58, v2, v1, s[4:5]
; %bb.77:                               ;   in Loop: Header=BB346_9 Depth=1
	s_or_b64 exec, exec, s[20:21]
	v_bfe_u32 v1, v0, 8, 8
	v_cvt_f32_fp8_sdwa v1, v1 src0_sel:BYTE_0
                                        ; implicit-def: $vgpr59
	s_nop 0
	v_mul_f32_e32 v1, v52, v1
	v_and_b32_e32 v2, 0x7f800000, v1
	v_cmp_ne_u32_e64 s[4:5], s17, v2
	s_and_saveexec_b64 s[20:21], s[4:5]
	s_xor_b64 s[4:5], exec, s[20:21]
; %bb.78:                               ;   in Loop: Header=BB346_9 Depth=1
	v_bfe_u32 v2, v1, 16, 1
	v_add3_u32 v59, v1, v2, s22
                                        ; implicit-def: $vgpr1
; %bb.79:                               ;   in Loop: Header=BB346_9 Depth=1
	s_andn2_saveexec_b64 s[20:21], s[4:5]
; %bb.80:                               ;   in Loop: Header=BB346_9 Depth=1
	v_or_b32_e32 v2, 0x10000, v1
	v_cmp_eq_u32_sdwa s[4:5], v1, v5 src0_sel:WORD_0 src1_sel:DWORD
	s_nop 1
	v_cndmask_b32_e64 v59, v2, v1, s[4:5]
; %bb.81:                               ;   in Loop: Header=BB346_9 Depth=1
	s_or_b64 exec, exec, s[20:21]
	v_bfe_u32 v1, v0, 16, 8
	v_cvt_f32_fp8_sdwa v1, v1 src0_sel:BYTE_0
                                        ; implicit-def: $vgpr60
	s_nop 0
	v_mul_f32_e32 v1, v52, v1
	v_and_b32_e32 v2, 0x7f800000, v1
	v_cmp_ne_u32_e64 s[4:5], s17, v2
	s_and_saveexec_b64 s[20:21], s[4:5]
	s_xor_b64 s[4:5], exec, s[20:21]
; %bb.82:                               ;   in Loop: Header=BB346_9 Depth=1
	v_bfe_u32 v2, v1, 16, 1
	v_add3_u32 v60, v1, v2, s22
                                        ; implicit-def: $vgpr1
; %bb.83:                               ;   in Loop: Header=BB346_9 Depth=1
	s_andn2_saveexec_b64 s[20:21], s[4:5]
; %bb.84:                               ;   in Loop: Header=BB346_9 Depth=1
	v_or_b32_e32 v2, 0x10000, v1
	v_cmp_eq_u32_sdwa s[4:5], v1, v5 src0_sel:WORD_0 src1_sel:DWORD
	s_nop 1
	v_cndmask_b32_e64 v60, v2, v1, s[4:5]
; %bb.85:                               ;   in Loop: Header=BB346_9 Depth=1
	s_or_b64 exec, exec, s[20:21]
	v_lshrrev_b32_e32 v0, 24, v0
	v_cvt_f32_fp8_sdwa v0, v0 src0_sel:BYTE_0
                                        ; implicit-def: $vgpr61
	s_nop 0
	v_mul_f32_e32 v0, v52, v0
	v_and_b32_e32 v1, 0x7f800000, v0
	v_cmp_ne_u32_e64 s[4:5], s17, v1
	s_and_saveexec_b64 s[20:21], s[4:5]
	s_xor_b64 s[4:5], exec, s[20:21]
; %bb.86:                               ;   in Loop: Header=BB346_9 Depth=1
	v_bfe_u32 v1, v0, 16, 1
	v_add3_u32 v61, v0, v1, s22
                                        ; implicit-def: $vgpr0
; %bb.87:                               ;   in Loop: Header=BB346_9 Depth=1
	s_andn2_saveexec_b64 s[20:21], s[4:5]
; %bb.88:                               ;   in Loop: Header=BB346_9 Depth=1
	v_or_b32_e32 v1, 0x10000, v0
	v_cmp_eq_u32_sdwa s[4:5], v0, v5 src0_sel:WORD_0 src1_sel:DWORD
	s_nop 1
	v_cndmask_b32_e64 v61, v1, v0, s[4:5]
; %bb.89:                               ;   in Loop: Header=BB346_9 Depth=1
	s_or_b64 exec, exec, s[20:21]
	flat_load_dword v1, v[16:17] offset:1032
                                        ; implicit-def: $vgpr62
	s_waitcnt vmcnt(0) lgkmcnt(0)
	v_and_b32_e32 v0, 0xff, v1
	v_cvt_f32_fp8_sdwa v0, v0 src0_sel:BYTE_0
	s_nop 0
	v_mul_f32_e32 v0, v52, v0
	v_and_b32_e32 v2, 0x7f800000, v0
	v_cmp_ne_u32_e64 s[4:5], s17, v2
	s_and_saveexec_b64 s[20:21], s[4:5]
	s_xor_b64 s[4:5], exec, s[20:21]
; %bb.90:                               ;   in Loop: Header=BB346_9 Depth=1
	v_bfe_u32 v2, v0, 16, 1
	v_add3_u32 v62, v0, v2, s22
                                        ; implicit-def: $vgpr0
; %bb.91:                               ;   in Loop: Header=BB346_9 Depth=1
	s_andn2_saveexec_b64 s[20:21], s[4:5]
; %bb.92:                               ;   in Loop: Header=BB346_9 Depth=1
	v_or_b32_e32 v2, 0x10000, v0
	v_cmp_eq_u32_sdwa s[4:5], v0, v5 src0_sel:WORD_0 src1_sel:DWORD
	s_nop 1
	v_cndmask_b32_e64 v62, v2, v0, s[4:5]
; %bb.93:                               ;   in Loop: Header=BB346_9 Depth=1
	s_or_b64 exec, exec, s[20:21]
	v_bfe_u32 v0, v1, 8, 8
	v_cvt_f32_fp8_sdwa v0, v0 src0_sel:BYTE_0
                                        ; implicit-def: $vgpr63
	s_nop 0
	v_mul_f32_e32 v0, v52, v0
	v_and_b32_e32 v2, 0x7f800000, v0
	v_cmp_ne_u32_e64 s[4:5], s17, v2
	s_and_saveexec_b64 s[20:21], s[4:5]
	s_xor_b64 s[4:5], exec, s[20:21]
; %bb.94:                               ;   in Loop: Header=BB346_9 Depth=1
	v_bfe_u32 v2, v0, 16, 1
	v_add3_u32 v63, v0, v2, s22
                                        ; implicit-def: $vgpr0
; %bb.95:                               ;   in Loop: Header=BB346_9 Depth=1
	s_andn2_saveexec_b64 s[20:21], s[4:5]
; %bb.96:                               ;   in Loop: Header=BB346_9 Depth=1
	v_or_b32_e32 v2, 0x10000, v0
	v_cmp_eq_u32_sdwa s[4:5], v0, v5 src0_sel:WORD_0 src1_sel:DWORD
	s_nop 1
	v_cndmask_b32_e64 v63, v2, v0, s[4:5]
; %bb.97:                               ;   in Loop: Header=BB346_9 Depth=1
	s_or_b64 exec, exec, s[20:21]
	v_bfe_u32 v0, v1, 16, 8
	v_cvt_f32_fp8_sdwa v0, v0 src0_sel:BYTE_0
	s_nop 0
	v_mul_f32_e32 v2, v52, v0
	v_and_b32_e32 v0, 0x7f800000, v2
	v_cmp_ne_u32_e64 s[4:5], s17, v0
                                        ; implicit-def: $vgpr0
	s_and_saveexec_b64 s[20:21], s[4:5]
	s_xor_b64 s[4:5], exec, s[20:21]
; %bb.98:                               ;   in Loop: Header=BB346_9 Depth=1
	v_bfe_u32 v0, v2, 16, 1
	v_add3_u32 v0, v2, v0, s22
                                        ; implicit-def: $vgpr2
; %bb.99:                               ;   in Loop: Header=BB346_9 Depth=1
	s_andn2_saveexec_b64 s[20:21], s[4:5]
; %bb.100:                              ;   in Loop: Header=BB346_9 Depth=1
	v_or_b32_e32 v0, 0x10000, v2
	v_cmp_eq_u32_sdwa s[4:5], v2, v5 src0_sel:WORD_0 src1_sel:DWORD
	s_nop 1
	v_cndmask_b32_e64 v0, v0, v2, s[4:5]
; %bb.101:                              ;   in Loop: Header=BB346_9 Depth=1
	s_or_b64 exec, exec, s[20:21]
	v_lshrrev_b32_e32 v1, 24, v1
	v_cvt_f32_fp8_sdwa v1, v1 src0_sel:BYTE_0
	s_nop 0
	v_mul_f32_e32 v1, v52, v1
	v_and_b32_e32 v2, 0x7f800000, v1
	v_cmp_ne_u32_e64 s[4:5], s17, v2
                                        ; implicit-def: $vgpr2
	s_and_saveexec_b64 s[20:21], s[4:5]
	s_xor_b64 s[4:5], exec, s[20:21]
; %bb.102:                              ;   in Loop: Header=BB346_9 Depth=1
	v_bfe_u32 v2, v1, 16, 1
	v_add3_u32 v2, v1, v2, s22
                                        ; implicit-def: $vgpr1
; %bb.103:                              ;   in Loop: Header=BB346_9 Depth=1
	s_andn2_saveexec_b64 s[20:21], s[4:5]
; %bb.104:                              ;   in Loop: Header=BB346_9 Depth=1
	v_or_b32_e32 v2, 0x10000, v1
	v_cmp_eq_u32_sdwa s[4:5], v1, v5 src0_sel:WORD_0 src1_sel:DWORD
	s_nop 1
	v_cndmask_b32_e64 v2, v2, v1, s[4:5]
; %bb.105:                              ;   in Loop: Header=BB346_9 Depth=1
	s_or_b64 exec, exec, s[20:21]
	flat_load_dword v1, v[16:17] offset:1536
	s_waitcnt vmcnt(0) lgkmcnt(0)
	v_and_b32_e32 v3, 0xff, v1
	v_cvt_f32_fp8_sdwa v3, v3 src0_sel:BYTE_0
	s_nop 0
	v_mul_f32_e32 v6, v52, v3
	v_and_b32_e32 v3, 0x7f800000, v6
	v_cmp_ne_u32_e64 s[4:5], s17, v3
                                        ; implicit-def: $vgpr3
	s_and_saveexec_b64 s[20:21], s[4:5]
	s_xor_b64 s[4:5], exec, s[20:21]
; %bb.106:                              ;   in Loop: Header=BB346_9 Depth=1
	v_bfe_u32 v3, v6, 16, 1
	v_add3_u32 v3, v6, v3, s22
                                        ; implicit-def: $vgpr6
; %bb.107:                              ;   in Loop: Header=BB346_9 Depth=1
	s_andn2_saveexec_b64 s[20:21], s[4:5]
; %bb.108:                              ;   in Loop: Header=BB346_9 Depth=1
	v_or_b32_e32 v3, 0x10000, v6
	v_cmp_eq_u32_sdwa s[4:5], v6, v5 src0_sel:WORD_0 src1_sel:DWORD
	s_nop 1
	v_cndmask_b32_e64 v3, v3, v6, s[4:5]
; %bb.109:                              ;   in Loop: Header=BB346_9 Depth=1
	s_or_b64 exec, exec, s[20:21]
	v_bfe_u32 v6, v1, 8, 8
	v_cvt_f32_fp8_sdwa v6, v6 src0_sel:BYTE_0
                                        ; implicit-def: $vgpr24
	s_nop 0
	v_mul_f32_e32 v6, v52, v6
	v_and_b32_e32 v7, 0x7f800000, v6
	v_cmp_ne_u32_e64 s[4:5], s17, v7
	s_and_saveexec_b64 s[20:21], s[4:5]
	s_xor_b64 s[4:5], exec, s[20:21]
; %bb.110:                              ;   in Loop: Header=BB346_9 Depth=1
	v_bfe_u32 v7, v6, 16, 1
	v_add3_u32 v24, v6, v7, s22
                                        ; implicit-def: $vgpr6
; %bb.111:                              ;   in Loop: Header=BB346_9 Depth=1
	s_andn2_saveexec_b64 s[20:21], s[4:5]
; %bb.112:                              ;   in Loop: Header=BB346_9 Depth=1
	v_or_b32_e32 v7, 0x10000, v6
	v_cmp_eq_u32_sdwa s[4:5], v6, v5 src0_sel:WORD_0 src1_sel:DWORD
	s_nop 1
	v_cndmask_b32_e64 v24, v7, v6, s[4:5]
; %bb.113:                              ;   in Loop: Header=BB346_9 Depth=1
	s_or_b64 exec, exec, s[20:21]
	v_bfe_u32 v6, v1, 16, 8
	v_cvt_f32_fp8_sdwa v6, v6 src0_sel:BYTE_0
                                        ; implicit-def: $vgpr26
	s_nop 0
	v_mul_f32_e32 v6, v52, v6
	v_and_b32_e32 v7, 0x7f800000, v6
	v_cmp_ne_u32_e64 s[4:5], s17, v7
	s_and_saveexec_b64 s[20:21], s[4:5]
	s_xor_b64 s[4:5], exec, s[20:21]
; %bb.114:                              ;   in Loop: Header=BB346_9 Depth=1
	v_bfe_u32 v7, v6, 16, 1
	v_add3_u32 v26, v6, v7, s22
                                        ; implicit-def: $vgpr6
; %bb.115:                              ;   in Loop: Header=BB346_9 Depth=1
	s_andn2_saveexec_b64 s[20:21], s[4:5]
; %bb.116:                              ;   in Loop: Header=BB346_9 Depth=1
	v_or_b32_e32 v7, 0x10000, v6
	v_cmp_eq_u32_sdwa s[4:5], v6, v5 src0_sel:WORD_0 src1_sel:DWORD
	s_nop 1
	v_cndmask_b32_e64 v26, v7, v6, s[4:5]
; %bb.117:                              ;   in Loop: Header=BB346_9 Depth=1
	s_or_b64 exec, exec, s[20:21]
	v_lshrrev_b32_e32 v1, 24, v1
	v_cvt_f32_fp8_sdwa v1, v1 src0_sel:BYTE_0
                                        ; implicit-def: $vgpr27
	s_nop 0
	v_mul_f32_e32 v1, v52, v1
	v_and_b32_e32 v6, 0x7f800000, v1
	v_cmp_ne_u32_e64 s[4:5], s17, v6
	s_and_saveexec_b64 s[20:21], s[4:5]
	s_xor_b64 s[4:5], exec, s[20:21]
; %bb.118:                              ;   in Loop: Header=BB346_9 Depth=1
	v_bfe_u32 v6, v1, 16, 1
	v_add3_u32 v27, v1, v6, s22
                                        ; implicit-def: $vgpr1
; %bb.119:                              ;   in Loop: Header=BB346_9 Depth=1
	s_andn2_saveexec_b64 s[20:21], s[4:5]
; %bb.120:                              ;   in Loop: Header=BB346_9 Depth=1
	v_or_b32_e32 v6, 0x10000, v1
	v_cmp_eq_u32_sdwa s[4:5], v1, v5 src0_sel:WORD_0 src1_sel:DWORD
	s_nop 1
	v_cndmask_b32_e64 v27, v6, v1, s[4:5]
; %bb.121:                              ;   in Loop: Header=BB346_9 Depth=1
	s_or_b64 exec, exec, s[20:21]
	flat_load_dword v1, v[16:17] offset:1544
	s_waitcnt vmcnt(0) lgkmcnt(0)
	v_and_b32_e32 v6, 0xff, v1
	v_cvt_f32_fp8_sdwa v6, v6 src0_sel:BYTE_0
	s_nop 0
	v_mul_f32_e32 v7, v52, v6
	v_and_b32_e32 v6, 0x7f800000, v7
	v_cmp_ne_u32_e64 s[4:5], s17, v6
                                        ; implicit-def: $vgpr6
	s_and_saveexec_b64 s[20:21], s[4:5]
	s_xor_b64 s[4:5], exec, s[20:21]
; %bb.122:                              ;   in Loop: Header=BB346_9 Depth=1
	v_bfe_u32 v6, v7, 16, 1
	v_add3_u32 v6, v7, v6, s22
                                        ; implicit-def: $vgpr7
; %bb.123:                              ;   in Loop: Header=BB346_9 Depth=1
	s_andn2_saveexec_b64 s[20:21], s[4:5]
; %bb.124:                              ;   in Loop: Header=BB346_9 Depth=1
	v_or_b32_e32 v6, 0x10000, v7
	v_cmp_eq_u32_sdwa s[4:5], v7, v5 src0_sel:WORD_0 src1_sel:DWORD
	s_nop 1
	v_cndmask_b32_e64 v6, v6, v7, s[4:5]
; %bb.125:                              ;   in Loop: Header=BB346_9 Depth=1
	s_or_b64 exec, exec, s[20:21]
	v_bfe_u32 v7, v1, 8, 8
	v_cvt_f32_fp8_sdwa v7, v7 src0_sel:BYTE_0
	s_nop 0
	v_mul_f32_e32 v8, v52, v7
	v_and_b32_e32 v7, 0x7f800000, v8
	v_cmp_ne_u32_e64 s[4:5], s17, v7
                                        ; implicit-def: $vgpr7
	s_and_saveexec_b64 s[20:21], s[4:5]
	s_xor_b64 s[4:5], exec, s[20:21]
; %bb.126:                              ;   in Loop: Header=BB346_9 Depth=1
	v_bfe_u32 v7, v8, 16, 1
	v_add3_u32 v7, v8, v7, s22
                                        ; implicit-def: $vgpr8
; %bb.127:                              ;   in Loop: Header=BB346_9 Depth=1
	s_andn2_saveexec_b64 s[20:21], s[4:5]
; %bb.128:                              ;   in Loop: Header=BB346_9 Depth=1
	v_or_b32_e32 v7, 0x10000, v8
	v_cmp_eq_u32_sdwa s[4:5], v8, v5 src0_sel:WORD_0 src1_sel:DWORD
	s_nop 1
	v_cndmask_b32_e64 v7, v7, v8, s[4:5]
; %bb.129:                              ;   in Loop: Header=BB346_9 Depth=1
	s_or_b64 exec, exec, s[20:21]
	v_bfe_u32 v8, v1, 16, 8
	v_cvt_f32_fp8_sdwa v8, v8 src0_sel:BYTE_0
	s_nop 0
	v_mul_f32_e32 v8, v52, v8
	v_and_b32_e32 v10, 0x7f800000, v8
	v_cmp_ne_u32_e64 s[4:5], s17, v10
                                        ; implicit-def: $vgpr10
	s_and_saveexec_b64 s[20:21], s[4:5]
	s_xor_b64 s[4:5], exec, s[20:21]
; %bb.130:                              ;   in Loop: Header=BB346_9 Depth=1
	v_bfe_u32 v10, v8, 16, 1
	v_add3_u32 v10, v8, v10, s22
                                        ; implicit-def: $vgpr8
; %bb.131:                              ;   in Loop: Header=BB346_9 Depth=1
	s_andn2_saveexec_b64 s[20:21], s[4:5]
; %bb.132:                              ;   in Loop: Header=BB346_9 Depth=1
	v_or_b32_e32 v10, 0x10000, v8
	v_cmp_eq_u32_sdwa s[4:5], v8, v5 src0_sel:WORD_0 src1_sel:DWORD
	s_nop 1
	v_cndmask_b32_e64 v10, v10, v8, s[4:5]
; %bb.133:                              ;   in Loop: Header=BB346_9 Depth=1
	s_or_b64 exec, exec, s[20:21]
	v_lshrrev_b32_e32 v1, 24, v1
	v_cvt_f32_fp8_sdwa v1, v1 src0_sel:BYTE_0
                                        ; implicit-def: $vgpr11
	s_nop 0
	v_mul_f32_e32 v1, v52, v1
	v_and_b32_e32 v8, 0x7f800000, v1
	v_cmp_ne_u32_e64 s[4:5], s17, v8
	s_and_saveexec_b64 s[20:21], s[4:5]
	s_xor_b64 s[4:5], exec, s[20:21]
; %bb.134:                              ;   in Loop: Header=BB346_9 Depth=1
	v_bfe_u32 v8, v1, 16, 1
	v_add3_u32 v11, v1, v8, s22
                                        ; implicit-def: $vgpr1
; %bb.135:                              ;   in Loop: Header=BB346_9 Depth=1
	s_andn2_saveexec_b64 s[20:21], s[4:5]
; %bb.136:                              ;   in Loop: Header=BB346_9 Depth=1
	v_or_b32_e32 v8, 0x10000, v1
	v_cmp_eq_u32_sdwa s[4:5], v1, v5 src0_sel:WORD_0 src1_sel:DWORD
	s_nop 1
	v_cndmask_b32_e64 v11, v8, v1, s[4:5]
; %bb.137:                              ;   in Loop: Header=BB346_9 Depth=1
	s_or_b64 exec, exec, s[20:21]
	flat_load_dword v1, v[16:17] offset:2048
                                        ; implicit-def: $vgpr22
	s_waitcnt vmcnt(0) lgkmcnt(0)
	v_and_b32_e32 v8, 0xff, v1
	v_cvt_f32_fp8_sdwa v8, v8 src0_sel:BYTE_0
	s_nop 0
	v_mul_f32_e32 v8, v52, v8
	v_and_b32_e32 v12, 0x7f800000, v8
	v_cmp_ne_u32_e64 s[4:5], s17, v12
	s_and_saveexec_b64 s[20:21], s[4:5]
	s_xor_b64 s[4:5], exec, s[20:21]
; %bb.138:                              ;   in Loop: Header=BB346_9 Depth=1
	v_bfe_u32 v12, v8, 16, 1
	v_add3_u32 v22, v8, v12, s22
                                        ; implicit-def: $vgpr8
; %bb.139:                              ;   in Loop: Header=BB346_9 Depth=1
	s_andn2_saveexec_b64 s[20:21], s[4:5]
; %bb.140:                              ;   in Loop: Header=BB346_9 Depth=1
	v_or_b32_e32 v12, 0x10000, v8
	v_cmp_eq_u32_sdwa s[4:5], v8, v5 src0_sel:WORD_0 src1_sel:DWORD
	s_nop 1
	v_cndmask_b32_e64 v22, v12, v8, s[4:5]
; %bb.141:                              ;   in Loop: Header=BB346_9 Depth=1
	s_or_b64 exec, exec, s[20:21]
	v_bfe_u32 v8, v1, 8, 8
	v_cvt_f32_fp8_sdwa v8, v8 src0_sel:BYTE_0
                                        ; implicit-def: $vgpr48
	s_nop 0
	v_mul_f32_e32 v8, v52, v8
	v_and_b32_e32 v12, 0x7f800000, v8
	v_cmp_ne_u32_e64 s[4:5], s17, v12
	s_and_saveexec_b64 s[20:21], s[4:5]
	s_xor_b64 s[4:5], exec, s[20:21]
; %bb.142:                              ;   in Loop: Header=BB346_9 Depth=1
	v_bfe_u32 v12, v8, 16, 1
	v_add3_u32 v48, v8, v12, s22
                                        ; implicit-def: $vgpr8
; %bb.143:                              ;   in Loop: Header=BB346_9 Depth=1
	s_andn2_saveexec_b64 s[20:21], s[4:5]
; %bb.144:                              ;   in Loop: Header=BB346_9 Depth=1
	v_or_b32_e32 v12, 0x10000, v8
	v_cmp_eq_u32_sdwa s[4:5], v8, v5 src0_sel:WORD_0 src1_sel:DWORD
	s_nop 1
	v_cndmask_b32_e64 v48, v12, v8, s[4:5]
; %bb.145:                              ;   in Loop: Header=BB346_9 Depth=1
	s_or_b64 exec, exec, s[20:21]
	v_bfe_u32 v8, v1, 16, 8
	v_cvt_f32_fp8_sdwa v8, v8 src0_sel:BYTE_0
                                        ; implicit-def: $vgpr19
	s_nop 0
	v_mul_f32_e32 v8, v52, v8
	v_and_b32_e32 v12, 0x7f800000, v8
	v_cmp_ne_u32_e64 s[4:5], s17, v12
	s_and_saveexec_b64 s[20:21], s[4:5]
	s_xor_b64 s[4:5], exec, s[20:21]
; %bb.146:                              ;   in Loop: Header=BB346_9 Depth=1
	v_bfe_u32 v12, v8, 16, 1
	v_add3_u32 v19, v8, v12, s22
                                        ; implicit-def: $vgpr8
; %bb.147:                              ;   in Loop: Header=BB346_9 Depth=1
	s_andn2_saveexec_b64 s[20:21], s[4:5]
; %bb.148:                              ;   in Loop: Header=BB346_9 Depth=1
	v_or_b32_e32 v12, 0x10000, v8
	v_cmp_eq_u32_sdwa s[4:5], v8, v5 src0_sel:WORD_0 src1_sel:DWORD
	s_nop 1
	v_cndmask_b32_e64 v19, v12, v8, s[4:5]
; %bb.149:                              ;   in Loop: Header=BB346_9 Depth=1
	s_or_b64 exec, exec, s[20:21]
	v_lshrrev_b32_e32 v1, 24, v1
	v_cvt_f32_fp8_sdwa v1, v1 src0_sel:BYTE_0
                                        ; implicit-def: $vgpr23
	s_nop 0
	v_mul_f32_e32 v1, v52, v1
	v_and_b32_e32 v8, 0x7f800000, v1
	v_cmp_ne_u32_e64 s[4:5], s17, v8
	s_and_saveexec_b64 s[20:21], s[4:5]
	s_xor_b64 s[4:5], exec, s[20:21]
; %bb.150:                              ;   in Loop: Header=BB346_9 Depth=1
	v_bfe_u32 v8, v1, 16, 1
	v_add3_u32 v23, v1, v8, s22
                                        ; implicit-def: $vgpr1
; %bb.151:                              ;   in Loop: Header=BB346_9 Depth=1
	s_andn2_saveexec_b64 s[20:21], s[4:5]
; %bb.152:                              ;   in Loop: Header=BB346_9 Depth=1
	v_or_b32_e32 v8, 0x10000, v1
	v_cmp_eq_u32_sdwa s[4:5], v1, v5 src0_sel:WORD_0 src1_sel:DWORD
	s_nop 1
	v_cndmask_b32_e64 v23, v8, v1, s[4:5]
; %bb.153:                              ;   in Loop: Header=BB346_9 Depth=1
	s_or_b64 exec, exec, s[20:21]
	flat_load_dword v1, v[16:17] offset:2056
                                        ; implicit-def: $vgpr25
	s_waitcnt vmcnt(0) lgkmcnt(0)
	v_and_b32_e32 v8, 0xff, v1
	v_cvt_f32_fp8_sdwa v8, v8 src0_sel:BYTE_0
	s_nop 0
	v_mul_f32_e32 v8, v52, v8
	v_and_b32_e32 v12, 0x7f800000, v8
	v_cmp_ne_u32_e64 s[4:5], s17, v12
	s_and_saveexec_b64 s[20:21], s[4:5]
	s_xor_b64 s[4:5], exec, s[20:21]
; %bb.154:                              ;   in Loop: Header=BB346_9 Depth=1
	v_bfe_u32 v12, v8, 16, 1
	v_add3_u32 v25, v8, v12, s22
                                        ; implicit-def: $vgpr8
; %bb.155:                              ;   in Loop: Header=BB346_9 Depth=1
	s_andn2_saveexec_b64 s[20:21], s[4:5]
; %bb.156:                              ;   in Loop: Header=BB346_9 Depth=1
	v_or_b32_e32 v12, 0x10000, v8
	v_cmp_eq_u32_sdwa s[4:5], v8, v5 src0_sel:WORD_0 src1_sel:DWORD
	s_nop 1
	v_cndmask_b32_e64 v25, v12, v8, s[4:5]
; %bb.157:                              ;   in Loop: Header=BB346_9 Depth=1
	s_or_b64 exec, exec, s[20:21]
	v_bfe_u32 v8, v1, 8, 8
	v_cvt_f32_fp8_sdwa v8, v8 src0_sel:BYTE_0
                                        ; implicit-def: $vgpr28
	s_nop 0
	v_mul_f32_e32 v8, v52, v8
	v_and_b32_e32 v12, 0x7f800000, v8
	v_cmp_ne_u32_e64 s[4:5], s17, v12
	s_and_saveexec_b64 s[20:21], s[4:5]
	s_xor_b64 s[4:5], exec, s[20:21]
; %bb.158:                              ;   in Loop: Header=BB346_9 Depth=1
	v_bfe_u32 v12, v8, 16, 1
	v_add3_u32 v28, v8, v12, s22
                                        ; implicit-def: $vgpr8
; %bb.159:                              ;   in Loop: Header=BB346_9 Depth=1
	s_andn2_saveexec_b64 s[20:21], s[4:5]
; %bb.160:                              ;   in Loop: Header=BB346_9 Depth=1
	v_or_b32_e32 v12, 0x10000, v8
	v_cmp_eq_u32_sdwa s[4:5], v8, v5 src0_sel:WORD_0 src1_sel:DWORD
	s_nop 1
	v_cndmask_b32_e64 v28, v12, v8, s[4:5]
; %bb.161:                              ;   in Loop: Header=BB346_9 Depth=1
	s_or_b64 exec, exec, s[20:21]
	v_bfe_u32 v8, v1, 16, 8
	v_cvt_f32_fp8_sdwa v8, v8 src0_sel:BYTE_0
                                        ; implicit-def: $vgpr29
	s_nop 0
	v_mul_f32_e32 v8, v52, v8
	v_and_b32_e32 v12, 0x7f800000, v8
	v_cmp_ne_u32_e64 s[4:5], s17, v12
	s_and_saveexec_b64 s[20:21], s[4:5]
	s_xor_b64 s[4:5], exec, s[20:21]
; %bb.162:                              ;   in Loop: Header=BB346_9 Depth=1
	v_bfe_u32 v12, v8, 16, 1
	v_add3_u32 v29, v8, v12, s22
                                        ; implicit-def: $vgpr8
; %bb.163:                              ;   in Loop: Header=BB346_9 Depth=1
	s_andn2_saveexec_b64 s[20:21], s[4:5]
; %bb.164:                              ;   in Loop: Header=BB346_9 Depth=1
	v_or_b32_e32 v12, 0x10000, v8
	v_cmp_eq_u32_sdwa s[4:5], v8, v5 src0_sel:WORD_0 src1_sel:DWORD
	s_nop 1
	v_cndmask_b32_e64 v29, v12, v8, s[4:5]
; %bb.165:                              ;   in Loop: Header=BB346_9 Depth=1
	s_or_b64 exec, exec, s[20:21]
	v_lshrrev_b32_e32 v1, 24, v1
	v_cvt_f32_fp8_sdwa v1, v1 src0_sel:BYTE_0
                                        ; implicit-def: $vgpr30
	s_nop 0
	v_mul_f32_e32 v1, v52, v1
	v_and_b32_e32 v8, 0x7f800000, v1
	v_cmp_ne_u32_e64 s[4:5], s17, v8
	s_and_saveexec_b64 s[20:21], s[4:5]
	s_xor_b64 s[4:5], exec, s[20:21]
; %bb.166:                              ;   in Loop: Header=BB346_9 Depth=1
	v_bfe_u32 v8, v1, 16, 1
	v_add3_u32 v30, v1, v8, s22
                                        ; implicit-def: $vgpr1
; %bb.167:                              ;   in Loop: Header=BB346_9 Depth=1
	s_andn2_saveexec_b64 s[20:21], s[4:5]
; %bb.168:                              ;   in Loop: Header=BB346_9 Depth=1
	v_or_b32_e32 v8, 0x10000, v1
	v_cmp_eq_u32_sdwa s[4:5], v1, v5 src0_sel:WORD_0 src1_sel:DWORD
	s_nop 1
	v_cndmask_b32_e64 v30, v8, v1, s[4:5]
; %bb.169:                              ;   in Loop: Header=BB346_9 Depth=1
	s_or_b64 exec, exec, s[20:21]
	flat_load_dword v1, v[16:17] offset:2560
                                        ; implicit-def: $vgpr34
	s_waitcnt vmcnt(0) lgkmcnt(0)
	v_and_b32_e32 v8, 0xff, v1
	v_cvt_f32_fp8_sdwa v8, v8 src0_sel:BYTE_0
	s_nop 0
	v_mul_f32_e32 v8, v52, v8
	v_and_b32_e32 v12, 0x7f800000, v8
	v_cmp_ne_u32_e64 s[4:5], s17, v12
	s_and_saveexec_b64 s[20:21], s[4:5]
	s_xor_b64 s[4:5], exec, s[20:21]
; %bb.170:                              ;   in Loop: Header=BB346_9 Depth=1
	v_bfe_u32 v12, v8, 16, 1
	v_add3_u32 v34, v8, v12, s22
                                        ; implicit-def: $vgpr8
; %bb.171:                              ;   in Loop: Header=BB346_9 Depth=1
	s_andn2_saveexec_b64 s[20:21], s[4:5]
; %bb.172:                              ;   in Loop: Header=BB346_9 Depth=1
	v_or_b32_e32 v12, 0x10000, v8
	v_cmp_eq_u32_sdwa s[4:5], v8, v5 src0_sel:WORD_0 src1_sel:DWORD
	s_nop 1
	v_cndmask_b32_e64 v34, v12, v8, s[4:5]
; %bb.173:                              ;   in Loop: Header=BB346_9 Depth=1
	s_or_b64 exec, exec, s[20:21]
	v_bfe_u32 v8, v1, 8, 8
	v_cvt_f32_fp8_sdwa v8, v8 src0_sel:BYTE_0
                                        ; implicit-def: $vgpr35
	s_nop 0
	v_mul_f32_e32 v8, v52, v8
	v_and_b32_e32 v12, 0x7f800000, v8
	v_cmp_ne_u32_e64 s[4:5], s17, v12
	s_and_saveexec_b64 s[20:21], s[4:5]
	s_xor_b64 s[4:5], exec, s[20:21]
; %bb.174:                              ;   in Loop: Header=BB346_9 Depth=1
	v_bfe_u32 v12, v8, 16, 1
	v_add3_u32 v35, v8, v12, s22
                                        ; implicit-def: $vgpr8
; %bb.175:                              ;   in Loop: Header=BB346_9 Depth=1
	s_andn2_saveexec_b64 s[20:21], s[4:5]
; %bb.176:                              ;   in Loop: Header=BB346_9 Depth=1
	v_or_b32_e32 v12, 0x10000, v8
	v_cmp_eq_u32_sdwa s[4:5], v8, v5 src0_sel:WORD_0 src1_sel:DWORD
	s_nop 1
	v_cndmask_b32_e64 v35, v12, v8, s[4:5]
; %bb.177:                              ;   in Loop: Header=BB346_9 Depth=1
	s_or_b64 exec, exec, s[20:21]
	v_bfe_u32 v8, v1, 16, 8
	v_cvt_f32_fp8_sdwa v8, v8 src0_sel:BYTE_0
                                        ; implicit-def: $vgpr36
	s_nop 0
	v_mul_f32_e32 v8, v52, v8
	v_and_b32_e32 v12, 0x7f800000, v8
	v_cmp_ne_u32_e64 s[4:5], s17, v12
	s_and_saveexec_b64 s[20:21], s[4:5]
	s_xor_b64 s[4:5], exec, s[20:21]
; %bb.178:                              ;   in Loop: Header=BB346_9 Depth=1
	v_bfe_u32 v12, v8, 16, 1
	v_add3_u32 v36, v8, v12, s22
                                        ; implicit-def: $vgpr8
; %bb.179:                              ;   in Loop: Header=BB346_9 Depth=1
	s_andn2_saveexec_b64 s[20:21], s[4:5]
; %bb.180:                              ;   in Loop: Header=BB346_9 Depth=1
	v_or_b32_e32 v12, 0x10000, v8
	v_cmp_eq_u32_sdwa s[4:5], v8, v5 src0_sel:WORD_0 src1_sel:DWORD
	s_nop 1
	v_cndmask_b32_e64 v36, v12, v8, s[4:5]
; %bb.181:                              ;   in Loop: Header=BB346_9 Depth=1
	s_or_b64 exec, exec, s[20:21]
	v_lshrrev_b32_e32 v1, 24, v1
	v_cvt_f32_fp8_sdwa v1, v1 src0_sel:BYTE_0
                                        ; implicit-def: $vgpr37
	s_nop 0
	v_mul_f32_e32 v1, v52, v1
	v_and_b32_e32 v8, 0x7f800000, v1
	v_cmp_ne_u32_e64 s[4:5], s17, v8
	s_and_saveexec_b64 s[20:21], s[4:5]
	s_xor_b64 s[4:5], exec, s[20:21]
; %bb.182:                              ;   in Loop: Header=BB346_9 Depth=1
	v_bfe_u32 v8, v1, 16, 1
	v_add3_u32 v37, v1, v8, s22
                                        ; implicit-def: $vgpr1
; %bb.183:                              ;   in Loop: Header=BB346_9 Depth=1
	s_andn2_saveexec_b64 s[20:21], s[4:5]
; %bb.184:                              ;   in Loop: Header=BB346_9 Depth=1
	v_or_b32_e32 v8, 0x10000, v1
	v_cmp_eq_u32_sdwa s[4:5], v1, v5 src0_sel:WORD_0 src1_sel:DWORD
	s_nop 1
	v_cndmask_b32_e64 v37, v8, v1, s[4:5]
; %bb.185:                              ;   in Loop: Header=BB346_9 Depth=1
	s_or_b64 exec, exec, s[20:21]
	flat_load_dword v12, v[16:17] offset:2568
                                        ; implicit-def: $vgpr38
	s_waitcnt vmcnt(0) lgkmcnt(0)
	v_and_b32_e32 v1, 0xff, v12
	v_cvt_f32_fp8_sdwa v1, v1 src0_sel:BYTE_0
	s_nop 0
	v_mul_f32_e32 v1, v52, v1
	v_and_b32_e32 v8, 0x7f800000, v1
	v_cmp_ne_u32_e64 s[4:5], s17, v8
	s_and_saveexec_b64 s[20:21], s[4:5]
	s_xor_b64 s[4:5], exec, s[20:21]
; %bb.186:                              ;   in Loop: Header=BB346_9 Depth=1
	v_bfe_u32 v8, v1, 16, 1
	v_add3_u32 v38, v1, v8, s22
                                        ; implicit-def: $vgpr1
; %bb.187:                              ;   in Loop: Header=BB346_9 Depth=1
	s_andn2_saveexec_b64 s[20:21], s[4:5]
; %bb.188:                              ;   in Loop: Header=BB346_9 Depth=1
	v_or_b32_e32 v8, 0x10000, v1
	v_cmp_eq_u32_sdwa s[4:5], v1, v5 src0_sel:WORD_0 src1_sel:DWORD
	s_nop 1
	v_cndmask_b32_e64 v38, v8, v1, s[4:5]
; %bb.189:                              ;   in Loop: Header=BB346_9 Depth=1
	s_or_b64 exec, exec, s[20:21]
	v_bfe_u32 v1, v12, 8, 8
	v_cvt_f32_fp8_sdwa v1, v1 src0_sel:BYTE_0
	s_nop 0
	v_mul_f32_e32 v8, v52, v1
	v_and_b32_e32 v1, 0x7f800000, v8
	v_cmp_ne_u32_e64 s[4:5], s17, v1
                                        ; implicit-def: $vgpr1
	s_and_saveexec_b64 s[20:21], s[4:5]
	s_xor_b64 s[4:5], exec, s[20:21]
; %bb.190:                              ;   in Loop: Header=BB346_9 Depth=1
	v_bfe_u32 v1, v8, 16, 1
	v_add3_u32 v1, v8, v1, s22
                                        ; implicit-def: $vgpr8
; %bb.191:                              ;   in Loop: Header=BB346_9 Depth=1
	s_andn2_saveexec_b64 s[20:21], s[4:5]
; %bb.192:                              ;   in Loop: Header=BB346_9 Depth=1
	v_or_b32_e32 v1, 0x10000, v8
	v_cmp_eq_u32_sdwa s[4:5], v8, v5 src0_sel:WORD_0 src1_sel:DWORD
	s_nop 1
	v_cndmask_b32_e64 v1, v1, v8, s[4:5]
; %bb.193:                              ;   in Loop: Header=BB346_9 Depth=1
	s_or_b64 exec, exec, s[20:21]
	v_bfe_u32 v8, v12, 16, 8
	v_cvt_f32_fp8_sdwa v8, v8 src0_sel:BYTE_0
	s_nop 0
	v_mul_f32_e32 v13, v52, v8
	v_and_b32_e32 v8, 0x7f800000, v13
	v_cmp_ne_u32_e64 s[4:5], s17, v8
                                        ; implicit-def: $vgpr8
	s_and_saveexec_b64 s[20:21], s[4:5]
	s_xor_b64 s[4:5], exec, s[20:21]
; %bb.194:                              ;   in Loop: Header=BB346_9 Depth=1
	v_bfe_u32 v8, v13, 16, 1
	v_add3_u32 v8, v13, v8, s22
                                        ; implicit-def: $vgpr13
; %bb.195:                              ;   in Loop: Header=BB346_9 Depth=1
	s_andn2_saveexec_b64 s[20:21], s[4:5]
; %bb.196:                              ;   in Loop: Header=BB346_9 Depth=1
	v_or_b32_e32 v8, 0x10000, v13
	v_cmp_eq_u32_sdwa s[4:5], v13, v5 src0_sel:WORD_0 src1_sel:DWORD
	s_nop 1
	v_cndmask_b32_e64 v8, v8, v13, s[4:5]
; %bb.197:                              ;   in Loop: Header=BB346_9 Depth=1
	s_or_b64 exec, exec, s[20:21]
	v_lshrrev_b32_e32 v12, 24, v12
	v_cvt_f32_fp8_sdwa v12, v12 src0_sel:BYTE_0
	s_nop 0
	v_mul_f32_e32 v13, v52, v12
	v_and_b32_e32 v12, 0x7f800000, v13
	v_cmp_ne_u32_e64 s[4:5], s17, v12
                                        ; implicit-def: $vgpr12
	s_and_saveexec_b64 s[20:21], s[4:5]
	s_xor_b64 s[4:5], exec, s[20:21]
; %bb.198:                              ;   in Loop: Header=BB346_9 Depth=1
	v_bfe_u32 v12, v13, 16, 1
	v_add3_u32 v12, v13, v12, s22
                                        ; implicit-def: $vgpr13
; %bb.199:                              ;   in Loop: Header=BB346_9 Depth=1
	s_andn2_saveexec_b64 s[20:21], s[4:5]
; %bb.200:                              ;   in Loop: Header=BB346_9 Depth=1
	v_or_b32_e32 v12, 0x10000, v13
	v_cmp_eq_u32_sdwa s[4:5], v13, v5 src0_sel:WORD_0 src1_sel:DWORD
	s_nop 1
	v_cndmask_b32_e64 v12, v12, v13, s[4:5]
; %bb.201:                              ;   in Loop: Header=BB346_9 Depth=1
	s_or_b64 exec, exec, s[20:21]
	flat_load_dword v18, v[16:17] offset:3072
	s_waitcnt vmcnt(0) lgkmcnt(0)
	v_and_b32_e32 v13, 0xff, v18
	v_cvt_f32_fp8_sdwa v13, v13 src0_sel:BYTE_0
	s_nop 0
	v_mul_f32_e32 v20, v52, v13
	v_and_b32_e32 v13, 0x7f800000, v20
	v_cmp_ne_u32_e64 s[4:5], s17, v13
                                        ; implicit-def: $vgpr13
	s_and_saveexec_b64 s[20:21], s[4:5]
	s_xor_b64 s[4:5], exec, s[20:21]
; %bb.202:                              ;   in Loop: Header=BB346_9 Depth=1
	v_bfe_u32 v13, v20, 16, 1
	v_add3_u32 v13, v20, v13, s22
                                        ; implicit-def: $vgpr20
; %bb.203:                              ;   in Loop: Header=BB346_9 Depth=1
	s_andn2_saveexec_b64 s[20:21], s[4:5]
; %bb.204:                              ;   in Loop: Header=BB346_9 Depth=1
	v_or_b32_e32 v13, 0x10000, v20
	v_cmp_eq_u32_sdwa s[4:5], v20, v5 src0_sel:WORD_0 src1_sel:DWORD
	s_nop 1
	v_cndmask_b32_e64 v13, v13, v20, s[4:5]
; %bb.205:                              ;   in Loop: Header=BB346_9 Depth=1
	s_or_b64 exec, exec, s[20:21]
	v_bfe_u32 v20, v18, 8, 8
	v_cvt_f32_fp8_sdwa v20, v20 src0_sel:BYTE_0
                                        ; implicit-def: $vgpr31
	s_nop 0
	v_mul_f32_e32 v20, v52, v20
	v_and_b32_e32 v21, 0x7f800000, v20
	v_cmp_ne_u32_e64 s[4:5], s17, v21
	s_and_saveexec_b64 s[20:21], s[4:5]
	s_xor_b64 s[4:5], exec, s[20:21]
; %bb.206:                              ;   in Loop: Header=BB346_9 Depth=1
	v_bfe_u32 v21, v20, 16, 1
	v_add3_u32 v31, v20, v21, s22
                                        ; implicit-def: $vgpr20
; %bb.207:                              ;   in Loop: Header=BB346_9 Depth=1
	s_andn2_saveexec_b64 s[20:21], s[4:5]
; %bb.208:                              ;   in Loop: Header=BB346_9 Depth=1
	v_or_b32_e32 v21, 0x10000, v20
	v_cmp_eq_u32_sdwa s[4:5], v20, v5 src0_sel:WORD_0 src1_sel:DWORD
	s_nop 1
	v_cndmask_b32_e64 v31, v21, v20, s[4:5]
; %bb.209:                              ;   in Loop: Header=BB346_9 Depth=1
	s_or_b64 exec, exec, s[20:21]
	v_bfe_u32 v20, v18, 16, 8
	v_cvt_f32_fp8_sdwa v20, v20 src0_sel:BYTE_0
	s_nop 0
	v_mul_f32_e32 v20, v52, v20
	v_and_b32_e32 v21, 0x7f800000, v20
	v_cmp_ne_u32_e64 s[4:5], s17, v21
                                        ; implicit-def: $vgpr21
	s_and_saveexec_b64 s[20:21], s[4:5]
	s_xor_b64 s[4:5], exec, s[20:21]
; %bb.210:                              ;   in Loop: Header=BB346_9 Depth=1
	v_bfe_u32 v21, v20, 16, 1
	v_add3_u32 v21, v20, v21, s22
                                        ; implicit-def: $vgpr20
; %bb.211:                              ;   in Loop: Header=BB346_9 Depth=1
	s_andn2_saveexec_b64 s[20:21], s[4:5]
; %bb.212:                              ;   in Loop: Header=BB346_9 Depth=1
	v_or_b32_e32 v21, 0x10000, v20
	v_cmp_eq_u32_sdwa s[4:5], v20, v5 src0_sel:WORD_0 src1_sel:DWORD
	s_nop 1
	v_cndmask_b32_e64 v21, v21, v20, s[4:5]
; %bb.213:                              ;   in Loop: Header=BB346_9 Depth=1
	s_or_b64 exec, exec, s[20:21]
	v_lshrrev_b32_e32 v18, 24, v18
	v_cvt_f32_fp8_sdwa v18, v18 src0_sel:BYTE_0
	s_nop 0
	v_mul_f32_e32 v18, v52, v18
	v_and_b32_e32 v20, 0x7f800000, v18
	v_cmp_ne_u32_e64 s[4:5], s17, v20
                                        ; implicit-def: $vgpr20
	s_and_saveexec_b64 s[20:21], s[4:5]
	s_xor_b64 s[4:5], exec, s[20:21]
; %bb.214:                              ;   in Loop: Header=BB346_9 Depth=1
	v_bfe_u32 v20, v18, 16, 1
	v_add3_u32 v20, v18, v20, s22
                                        ; implicit-def: $vgpr18
; %bb.215:                              ;   in Loop: Header=BB346_9 Depth=1
	s_andn2_saveexec_b64 s[20:21], s[4:5]
; %bb.216:                              ;   in Loop: Header=BB346_9 Depth=1
	v_or_b32_e32 v20, 0x10000, v18
	v_cmp_eq_u32_sdwa s[4:5], v18, v5 src0_sel:WORD_0 src1_sel:DWORD
	s_nop 1
	v_cndmask_b32_e64 v20, v20, v18, s[4:5]
; %bb.217:                              ;   in Loop: Header=BB346_9 Depth=1
	s_or_b64 exec, exec, s[20:21]
	flat_load_dword v18, v[16:17] offset:3080
	s_waitcnt vmcnt(0) lgkmcnt(0)
	v_and_b32_e32 v49, 0xff, v18
	v_cvt_f32_fp8_sdwa v49, v49 src0_sel:BYTE_0
	s_nop 0
	v_mul_f32_e32 v50, v52, v49
	v_and_b32_e32 v49, 0x7f800000, v50
	v_cmp_ne_u32_e64 s[4:5], s17, v49
                                        ; implicit-def: $vgpr49
	s_and_saveexec_b64 s[20:21], s[4:5]
	s_xor_b64 s[4:5], exec, s[20:21]
; %bb.218:                              ;   in Loop: Header=BB346_9 Depth=1
	v_bfe_u32 v49, v50, 16, 1
	v_add3_u32 v49, v50, v49, s22
                                        ; implicit-def: $vgpr50
; %bb.219:                              ;   in Loop: Header=BB346_9 Depth=1
	s_andn2_saveexec_b64 s[20:21], s[4:5]
; %bb.220:                              ;   in Loop: Header=BB346_9 Depth=1
	v_or_b32_e32 v49, 0x10000, v50
	v_cmp_eq_u32_sdwa s[4:5], v50, v5 src0_sel:WORD_0 src1_sel:DWORD
	s_nop 1
	v_cndmask_b32_e64 v49, v49, v50, s[4:5]
; %bb.221:                              ;   in Loop: Header=BB346_9 Depth=1
	s_or_b64 exec, exec, s[20:21]
	v_bfe_u32 v50, v18, 8, 8
	v_cvt_f32_fp8_sdwa v50, v50 src0_sel:BYTE_0
	s_nop 0
	v_mul_f32_e32 v51, v52, v50
	v_and_b32_e32 v50, 0x7f800000, v51
	v_cmp_ne_u32_e64 s[4:5], s17, v50
                                        ; implicit-def: $vgpr50
	s_and_saveexec_b64 s[20:21], s[4:5]
	s_xor_b64 s[4:5], exec, s[20:21]
; %bb.222:                              ;   in Loop: Header=BB346_9 Depth=1
	v_bfe_u32 v50, v51, 16, 1
	v_add3_u32 v50, v51, v50, s22
                                        ; implicit-def: $vgpr51
; %bb.223:                              ;   in Loop: Header=BB346_9 Depth=1
	s_andn2_saveexec_b64 s[20:21], s[4:5]
; %bb.224:                              ;   in Loop: Header=BB346_9 Depth=1
	v_or_b32_e32 v50, 0x10000, v51
	v_cmp_eq_u32_sdwa s[4:5], v51, v5 src0_sel:WORD_0 src1_sel:DWORD
	s_nop 1
	v_cndmask_b32_e64 v50, v50, v51, s[4:5]
; %bb.225:                              ;   in Loop: Header=BB346_9 Depth=1
	s_or_b64 exec, exec, s[20:21]
	v_bfe_u32 v51, v18, 16, 8
	v_cvt_f32_fp8_sdwa v51, v51 src0_sel:BYTE_0
	s_nop 0
	v_mul_f32_e32 v53, v52, v51
	v_and_b32_e32 v51, 0x7f800000, v53
	v_cmp_ne_u32_e64 s[4:5], s17, v51
                                        ; implicit-def: $vgpr51
	s_and_saveexec_b64 s[20:21], s[4:5]
	s_xor_b64 s[4:5], exec, s[20:21]
; %bb.226:                              ;   in Loop: Header=BB346_9 Depth=1
	v_bfe_u32 v51, v53, 16, 1
	v_add3_u32 v51, v53, v51, s22
                                        ; implicit-def: $vgpr53
; %bb.227:                              ;   in Loop: Header=BB346_9 Depth=1
	s_andn2_saveexec_b64 s[20:21], s[4:5]
; %bb.228:                              ;   in Loop: Header=BB346_9 Depth=1
	v_or_b32_e32 v51, 0x10000, v53
	v_cmp_eq_u32_sdwa s[4:5], v53, v5 src0_sel:WORD_0 src1_sel:DWORD
	s_nop 1
	v_cndmask_b32_e64 v51, v51, v53, s[4:5]
; %bb.229:                              ;   in Loop: Header=BB346_9 Depth=1
	s_or_b64 exec, exec, s[20:21]
	v_lshrrev_b32_e32 v18, 24, v18
	v_cvt_f32_fp8_sdwa v18, v18 src0_sel:BYTE_0
	s_nop 0
	v_mul_f32_e32 v18, v52, v18
	v_and_b32_e32 v53, 0x7f800000, v18
	v_cmp_ne_u32_e64 s[4:5], s17, v53
                                        ; implicit-def: $vgpr53
	s_and_saveexec_b64 s[20:21], s[4:5]
	s_xor_b64 s[4:5], exec, s[20:21]
; %bb.230:                              ;   in Loop: Header=BB346_9 Depth=1
	v_bfe_u32 v53, v18, 16, 1
	v_add3_u32 v53, v18, v53, s22
                                        ; implicit-def: $vgpr18
; %bb.231:                              ;   in Loop: Header=BB346_9 Depth=1
	s_andn2_saveexec_b64 s[20:21], s[4:5]
; %bb.232:                              ;   in Loop: Header=BB346_9 Depth=1
	v_or_b32_e32 v53, 0x10000, v18
	v_cmp_eq_u32_sdwa s[4:5], v18, v5 src0_sel:WORD_0 src1_sel:DWORD
	s_nop 1
	v_cndmask_b32_e64 v53, v53, v18, s[4:5]
; %bb.233:                              ;   in Loop: Header=BB346_9 Depth=1
	s_or_b64 exec, exec, s[20:21]
	flat_load_dword v18, v[16:17] offset:3584
	s_waitcnt vmcnt(0) lgkmcnt(0)
	v_and_b32_e32 v16, 0xff, v18
	v_cvt_f32_fp8_sdwa v16, v16 src0_sel:BYTE_0
	s_nop 0
	v_mul_f32_e32 v17, v52, v16
	v_and_b32_e32 v16, 0x7f800000, v17
	v_cmp_ne_u32_e64 s[4:5], s17, v16
                                        ; implicit-def: $vgpr16
	s_and_saveexec_b64 s[20:21], s[4:5]
	s_xor_b64 s[4:5], exec, s[20:21]
; %bb.234:                              ;   in Loop: Header=BB346_9 Depth=1
	v_bfe_u32 v16, v17, 16, 1
	v_add3_u32 v16, v17, v16, s22
                                        ; implicit-def: $vgpr17
; %bb.235:                              ;   in Loop: Header=BB346_9 Depth=1
	s_andn2_saveexec_b64 s[20:21], s[4:5]
; %bb.236:                              ;   in Loop: Header=BB346_9 Depth=1
	v_or_b32_e32 v16, 0x10000, v17
	v_cmp_eq_u32_sdwa s[4:5], v17, v5 src0_sel:WORD_0 src1_sel:DWORD
	s_nop 1
	v_cndmask_b32_e64 v16, v16, v17, s[4:5]
; %bb.237:                              ;   in Loop: Header=BB346_9 Depth=1
	s_or_b64 exec, exec, s[20:21]
	v_bfe_u32 v17, v18, 8, 8
	v_cvt_f32_fp8_sdwa v17, v17 src0_sel:BYTE_0
	s_nop 0
	v_mul_f32_e32 v54, v52, v17
	v_and_b32_e32 v17, 0x7f800000, v54
	v_cmp_ne_u32_e64 s[4:5], s17, v17
                                        ; implicit-def: $vgpr17
	s_and_saveexec_b64 s[20:21], s[4:5]
	s_xor_b64 s[4:5], exec, s[20:21]
; %bb.238:                              ;   in Loop: Header=BB346_9 Depth=1
	v_bfe_u32 v17, v54, 16, 1
	v_add3_u32 v17, v54, v17, s22
                                        ; implicit-def: $vgpr54
; %bb.239:                              ;   in Loop: Header=BB346_9 Depth=1
	s_andn2_saveexec_b64 s[20:21], s[4:5]
; %bb.240:                              ;   in Loop: Header=BB346_9 Depth=1
	v_or_b32_e32 v17, 0x10000, v54
	v_cmp_eq_u32_sdwa s[4:5], v54, v5 src0_sel:WORD_0 src1_sel:DWORD
	s_nop 1
	v_cndmask_b32_e64 v17, v17, v54, s[4:5]
; %bb.241:                              ;   in Loop: Header=BB346_9 Depth=1
	s_or_b64 exec, exec, s[20:21]
	v_bfe_u32 v54, v18, 16, 8
	v_cvt_f32_fp8_sdwa v54, v54 src0_sel:BYTE_0
	s_nop 0
	v_mul_f32_e32 v55, v52, v54
	v_and_b32_e32 v54, 0x7f800000, v55
	v_cmp_ne_u32_e64 s[4:5], s17, v54
                                        ; implicit-def: $vgpr54
	s_and_saveexec_b64 s[20:21], s[4:5]
	s_xor_b64 s[4:5], exec, s[20:21]
; %bb.242:                              ;   in Loop: Header=BB346_9 Depth=1
	v_bfe_u32 v54, v55, 16, 1
	v_add3_u32 v54, v55, v54, s22
                                        ; implicit-def: $vgpr55
; %bb.243:                              ;   in Loop: Header=BB346_9 Depth=1
	s_andn2_saveexec_b64 s[20:21], s[4:5]
; %bb.244:                              ;   in Loop: Header=BB346_9 Depth=1
	v_or_b32_e32 v54, 0x10000, v55
	v_cmp_eq_u32_sdwa s[4:5], v55, v5 src0_sel:WORD_0 src1_sel:DWORD
	s_nop 1
	v_cndmask_b32_e64 v54, v54, v55, s[4:5]
; %bb.245:                              ;   in Loop: Header=BB346_9 Depth=1
	s_or_b64 exec, exec, s[20:21]
	v_lshrrev_b32_e32 v18, 24, v18
	v_cvt_f32_fp8_sdwa v18, v18 src0_sel:BYTE_0
	s_nop 0
	v_mul_f32_e32 v18, v52, v18
	v_and_b32_e32 v52, 0x7f800000, v18
	v_cmp_ne_u32_e64 s[4:5], s17, v52
                                        ; implicit-def: $vgpr52
	s_and_saveexec_b64 s[20:21], s[4:5]
	s_xor_b64 s[4:5], exec, s[20:21]
; %bb.246:                              ;   in Loop: Header=BB346_9 Depth=1
	v_bfe_u32 v52, v18, 16, 1
	v_add3_u32 v52, v18, v52, s22
                                        ; implicit-def: $vgpr18
; %bb.247:                              ;   in Loop: Header=BB346_9 Depth=1
	s_andn2_saveexec_b64 s[20:21], s[4:5]
; %bb.248:                              ;   in Loop: Header=BB346_9 Depth=1
	v_or_b32_e32 v52, 0x10000, v18
	v_cmp_eq_u32_sdwa s[4:5], v18, v5 src0_sel:WORD_0 src1_sel:DWORD
	s_nop 1
	v_cndmask_b32_e64 v52, v52, v18, s[4:5]
; %bb.249:                              ;   in Loop: Header=BB346_9 Depth=1
	s_or_b64 exec, exec, s[20:21]
	v_and_b32_e32 v55, 0xffff0000, v9
	scratch_load_dword v9, off, s32 offset:216 ; 4-byte Folded Reload
	v_accvgpr_read_b32 v18, a26
	v_and_b32_e32 v18, 0xffff0000, v18
	v_and_b32_e32 v40, 0xffff0000, v40
	;; [unrolled: 1-line block ×5, first 2 shown]
	s_waitcnt vmcnt(0)
	v_mul_f32_e32 v18, v9, v18
	scratch_load_dword v9, off, s32 offset:200 ; 4-byte Folded Reload
	s_waitcnt vmcnt(0)
	v_fmac_f32_e32 v18, v9, v55
	v_accvgpr_read_b32 v9, a27
	v_and_b32_e32 v55, 0xffff0000, v9
	scratch_load_dword v9, off, s32 offset:220 ; 4-byte Folded Reload
	s_waitcnt vmcnt(0)
	v_mul_f32_e32 v55, v9, v55
	scratch_load_dword v9, off, s32 offset:204 ; 4-byte Folded Reload
	s_waitcnt vmcnt(0)
	v_fmac_f32_e32 v55, v9, v40
	v_accvgpr_read_b32 v9, a28
	v_and_b32_e32 v40, 0xffff0000, v9
	scratch_load_dword v9, off, s32 offset:224 ; 4-byte Folded Reload
	;; [unrolled: 8-line block ×4, first 2 shown]
	s_waitcnt vmcnt(0)
	v_fmac_f32_e32 v18, v9, v42
	v_accvgpr_read_b32 v9, a31
	v_and_b32_e32 v42, 0xffff0000, v9
	v_accvgpr_read_b32 v9, a32
	v_fmac_f32_e32 v55, v9, v42
	v_and_b32_e32 v42, 0xffff0000, v44
	v_accvgpr_read_b32 v9, a33
	v_fmac_f32_e32 v40, v9, v42
	;; [unrolled: 3-line block ×13, first 2 shown]
	v_accvgpr_read_b32 v9, a45
	v_fmac_f32_e32 v40, v9, v0
	v_and_b32_e32 v0, 0xffff0000, v2
	v_accvgpr_read_b32 v2, a46
	v_fmac_f32_e32 v41, v2, v0
	v_and_b32_e32 v0, 0xffff0000, v3
	;; [unrolled: 3-line block ×37, first 2 shown]
	v_accvgpr_read_b32 v1, a24
	v_fmac_f32_e32 v41, v1, v0
	v_add_f32_e32 v0, v18, v55
	v_add_f32_e32 v0, v0, v40
	v_add_f32_e32 v0, v41, v0
	v_accvgpr_read_b32 v1, a25
	ds_bpermute_b32 v1, v1, v0
	s_and_saveexec_b64 s[20:21], vcc
	s_cbranch_execz .LBB346_8
; %bb.250:                              ;   in Loop: Header=BB346_9 Depth=1
	s_waitcnt lgkmcnt(0)
	v_add_f32_e32 v0, v0, v1
	scratch_load_dword v1, off, s32 offset:236 ; 4-byte Folded Reload
	scratch_load_dword v3, off, s32 offset:248 ; 4-byte Folded Reload
	v_sub_u32_e32 v2, 1, v32
	v_add_u32_e32 v2, v2, v39
	v_cvt_f32_i32_e32 v2, v2
	s_load_dword s4, s[8:9], 0x0
	s_waitcnt vmcnt(1)
	v_mul_f32_e32 v1, v1, v2
	v_cndmask_b32_e64 v1, 0, v1, s[2:3]
	s_waitcnt lgkmcnt(0)
	v_add_u32_e32 v2, s4, v43
	s_waitcnt vmcnt(0)
	v_fmac_f32_e32 v1, v0, v3
	v_cmp_lt_i32_e64 s[4:5], v39, v32
	s_nop 1
	v_cndmask_b32_e64 v0, 0, v1, s[4:5]
	ds_write_b32 v2, v0
	scratch_load_dword v2, off, s32 offset:196 ; 4-byte Folded Reload
	s_waitcnt vmcnt(0)
	v_max_f32_e32 v0, v2, v2
	v_max_f32_e32 v0, v0, v1
	v_cndmask_b32_e64 v2, v2, v0, s[4:5]
	scratch_store_dword off, v2, s32 offset:196 ; 4-byte Folded Spill
	s_branch .LBB346_8
.LBB346_251:
	s_or_b64 exec, exec, s[18:19]
	scratch_load_dword v18, off, s32 offset:268 ; 4-byte Folded Reload
	scratch_load_dwordx2 v[10:11], off, s32 offset:308 ; 8-byte Folded Reload
	scratch_load_dwordx2 v[28:29], off, s32 offset:300 ; 8-byte Folded Reload
	;; [unrolled: 1-line block ×4, first 2 shown]
	scratch_load_dword v25, off, s32 offset:280 ; 4-byte Folded Reload
	scratch_load_dwordx2 v[38:39], off, s32 offset:260 ; 8-byte Folded Reload
	scratch_load_dword v12, off, s32 offset:276 ; 4-byte Folded Reload
	scratch_load_dword v13, off, s32 offset:272 ; 4-byte Folded Reload
	;; [unrolled: 1-line block ×3, first 2 shown]
.LBB346_252:
	s_or_b64 exec, exec, s[6:7]
	s_waitcnt vmcnt(2)
	v_xor_b32_e32 v0, 32, v12
	s_waitcnt vmcnt(1)
	v_cmp_lt_i32_e32 vcc, v0, v13
	s_waitcnt vmcnt(0) lgkmcnt(0)
	v_max_f32_e32 v1, v3, v3
	v_xor_b32_e32 v4, 8, v12
	v_cndmask_b32_e32 v0, v12, v0, vcc
	v_lshlrev_b32_e32 v2, 2, v0
	ds_bpermute_b32 v0, v2, v3
	v_xor_b32_e32 v3, 16, v12
	v_cmp_lt_i32_e32 vcc, v3, v13
	v_xor_b32_e32 v5, 4, v12
	v_xor_b32_e32 v6, 2, v12
	s_waitcnt lgkmcnt(0)
	v_max_f32_e32 v0, v0, v0
	v_max_f32_e32 v0, v1, v0
	v_cndmask_b32_e32 v1, v12, v3, vcc
	v_lshlrev_b32_e32 v3, 2, v1
	ds_bpermute_b32 v1, v3, v0
	v_cmp_lt_i32_e32 vcc, v4, v13
	s_lshr_b32 s15, s15, 16
	s_waitcnt lgkmcnt(0)
	v_max_f32_e32 v1, v1, v1
	v_max_f32_e32 v0, v0, v1
	v_cndmask_b32_e32 v1, v12, v4, vcc
	v_lshlrev_b32_e32 v4, 2, v1
	ds_bpermute_b32 v1, v4, v0
	v_cmp_lt_i32_e32 vcc, v5, v13
	s_waitcnt lgkmcnt(0)
	v_max_f32_e32 v1, v1, v1
	v_max_f32_e32 v0, v0, v1
	v_cndmask_b32_e32 v1, v12, v5, vcc
	v_lshlrev_b32_e32 v5, 2, v1
	ds_bpermute_b32 v1, v5, v0
	v_cmp_lt_i32_e32 vcc, v6, v13
	s_waitcnt lgkmcnt(0)
	v_max_f32_e32 v1, v1, v1
	v_max_f32_e32 v1, v0, v1
	v_cndmask_b32_e32 v0, v12, v6, vcc
	v_lshlrev_b32_e32 v19, 2, v0
	ds_bpermute_b32 v7, v19, v1
	v_and_b32_e32 v0, 63, v18
	v_accvgpr_read_b32 v6, a7
	v_cmp_eq_u32_e32 vcc, 0, v0
	v_lshlrev_b32_e32 v6, 2, v6
	s_and_saveexec_b64 s[2:3], vcc
	s_cbranch_execz .LBB346_254
; %bb.253:
	s_waitcnt lgkmcnt(0)
	v_max_f32_e32 v7, v7, v7
	v_max_f32_e32 v1, v1, v1
	;; [unrolled: 1-line block ×3, first 2 shown]
	ds_write_b32 v6, v1 offset:240
.LBB346_254:
	s_or_b64 exec, exec, s[2:3]
	v_cmp_gt_u32_e64 s[2:3], 2, v0
	v_mov_b32_e32 v1, 0xff7fffff
	s_waitcnt lgkmcnt(0)
	v_lshlrev_b32_e32 v7, 2, v0
	s_barrier
	s_and_saveexec_b64 s[4:5], s[2:3]
	s_cbranch_execz .LBB346_256
; %bb.255:
	ds_read_b32 v1, v7 offset:240
.LBB346_256:
	s_or_b64 exec, exec, s[4:5]
	v_xor_b32_e32 v8, 1, v12
	v_cmp_lt_i32_e64 s[4:5], v8, v13
	v_lshlrev_b32_e32 v9, 2, v12
	v_mov_b32_e32 v14, 0
	v_cndmask_b32_e64 v8, v12, v8, s[4:5]
	v_lshlrev_b32_e32 v22, 2, v8
	s_waitcnt lgkmcnt(0)
	ds_bpermute_b32 v8, v22, v1
	v_max_f32_e32 v1, v1, v1
	s_waitcnt lgkmcnt(0)
	v_max_f32_e32 v8, v8, v8
	v_max_f32_e32 v1, v1, v8
	v_and_b32_e32 v8, 0xffffff00, v9
	ds_bpermute_b32 v9, v8, v1
	scratch_load_dword v1, off, s32 offset:192 ; 4-byte Folded Reload
	s_waitcnt vmcnt(0)
	v_lshlrev_b32_e32 v1, 5, v1
	v_min_i32_e32 v1, v1, v32
	v_cmp_lt_i32_e64 s[4:5], v18, v1
	s_and_saveexec_b64 s[8:9], s[4:5]
	s_cbranch_execz .LBB346_260
; %bb.257:
	s_ashr_i32 s17, s16, 31
	s_lshl_b64 s[6:7], s[16:17], 2
	s_getpc_b64 s[18:19]
	s_add_u32 s18, s18, llvm.amdgcn.dynlds.offset.table@rel32@lo+4
	s_addc_u32 s19, s19, llvm.amdgcn.dynlds.offset.table@rel32@hi+12
	s_add_u32 s6, s6, s18
	s_addc_u32 s7, s7, s19
	s_load_dword s6, s[6:7], 0x0
	s_mov_b64 s[18:19], 0
	v_mov_b32_e32 v14, 0
	v_mov_b32_e32 v12, v18
	s_waitcnt lgkmcnt(0)
	v_lshl_add_u32 v15, v18, 2, s6
.LBB346_258:                            ; =>This Inner Loop Header: Depth=1
	ds_read_b32 v13, v15
	v_add_u32_e32 v12, 0x80, v12
	v_cmp_ge_i32_e64 s[6:7], v12, v1
	s_or_b64 s[18:19], s[6:7], s[18:19]
	s_waitcnt lgkmcnt(0)
	v_sub_f32_e32 v13, v13, v9
	v_mul_f32_e32 v13, 0x3fb8aa3b, v13
	v_exp_f32_e32 v13, v13
	ds_write_b32 v15, v13
	v_add_f32_e32 v14, v14, v13
	v_add_u32_e32 v15, 0x200, v15
	s_andn2_b64 exec, exec, s[18:19]
	s_cbranch_execnz .LBB346_258
; %bb.259:
	s_or_b64 exec, exec, s[18:19]
.LBB346_260:
	s_or_b64 exec, exec, s[8:9]
	ds_bpermute_b32 v2, v2, v14
	s_waitcnt lgkmcnt(0)
	v_add_f32_e32 v2, v14, v2
	ds_bpermute_b32 v3, v3, v2
	s_waitcnt lgkmcnt(0)
	v_add_f32_e32 v2, v2, v3
	;; [unrolled: 3-line block ×6, first 2 shown]
	s_and_saveexec_b64 s[6:7], vcc
	s_cbranch_execz .LBB346_262
; %bb.261:
	ds_write_b32 v6, v2 offset:248
.LBB346_262:
	s_or_b64 exec, exec, s[6:7]
	s_waitcnt lgkmcnt(0)
	s_barrier
	s_and_saveexec_b64 s[6:7], s[2:3]
	s_cbranch_execz .LBB346_264
; %bb.263:
	ds_read_b32 v2, v7 offset:248
.LBB346_264:
	s_or_b64 exec, exec, s[6:7]
	s_waitcnt lgkmcnt(0)
	ds_bpermute_b32 v3, v22, v2
	s_waitcnt lgkmcnt(0)
	v_add_f32_e32 v2, v2, v3
	ds_bpermute_b32 v2, v8, v2
	s_and_saveexec_b64 s[2:3], s[4:5]
	s_cbranch_execz .LBB346_277
; %bb.265:
	s_waitcnt lgkmcnt(0)
	v_add_f32_e32 v2, 0x358637bd, v2
	v_div_scale_f32 v3, s[4:5], v2, v2, 1.0
	v_rcp_f32_e32 v4, v3
	v_div_scale_f32 v5, vcc, 1.0, v2, 1.0
	s_movk_i32 s4, 0x7f
	v_fma_f32 v6, -v3, v4, 1.0
	v_fmac_f32_e32 v4, v6, v4
	v_mul_f32_e32 v6, v5, v4
	v_fma_f32 v7, -v3, v6, v5
	v_fmac_f32_e32 v6, v7, v4
	v_fma_f32 v3, -v3, v6, v5
	v_div_fmas_f32 v3, v3, v4, v6
	v_div_fixup_f32 v4, v3, v2, 1.0
	v_xad_u32 v3, v18, -1, v1
	v_cmp_lt_u32_e32 vcc, s4, v3
	s_mov_b64 s[6:7], -1
	v_mov_b32_e32 v2, v18
	s_and_saveexec_b64 s[4:5], vcc
	s_cbranch_execz .LBB346_274
; %bb.266:
	v_lshrrev_b32_e32 v2, 7, v3
	v_add_u32_e32 v6, -1, v2
	v_lshrrev_b32_e32 v3, 1, v6
	v_mov_b32_e32 v5, v4
	v_add_u32_e32 v3, 1, v3
	v_cmp_lt_u32_e32 vcc, 13, v6
	v_mov_b32_e32 v8, 0
	s_and_saveexec_b64 s[6:7], vcc
	s_cbranch_execz .LBB346_270
; %bb.267:
	s_ashr_i32 s17, s16, 31
	s_lshl_b64 s[8:9], s[16:17], 2
	s_getpc_b64 s[18:19]
	s_add_u32 s18, s18, llvm.amdgcn.dynlds.offset.table@rel32@lo+4
	s_addc_u32 s19, s19, llvm.amdgcn.dynlds.offset.table@rel32@hi+12
	s_add_u32 s8, s8, s18
	s_addc_u32 s9, s9, s19
	s_load_dword s8, s[8:9], 0x0
	v_and_b32_e32 v6, -8, v3
	s_mov_b32 s17, 0
	s_waitcnt lgkmcnt(0)
	v_lshl_add_u32 v7, v18, 2, s8
	s_mov_b64 s[8:9], 0
.LBB346_268:                            ; =>This Inner Loop Header: Depth=1
	ds_read2st64_b32 v[8:9], v7 offset1:2
	ds_read2st64_b32 v[16:17], v7 offset0:4 offset1:6
	ds_read2st64_b32 v[12:13], v7 offset0:8 offset1:10
	;; [unrolled: 1-line block ×3, first 2 shown]
	v_add_u32_e32 v6, -8, v6
	s_waitcnt lgkmcnt(3)
	v_pk_mul_f32 v[8:9], v[4:5], v[8:9]
	s_waitcnt lgkmcnt(2)
	v_pk_mul_f32 v[16:17], v[4:5], v[16:17]
	ds_write2st64_b32 v7, v8, v9 offset1:2
	ds_write2st64_b32 v7, v16, v17 offset0:4 offset1:6
	s_waitcnt lgkmcnt(3)
	v_pk_mul_f32 v[8:9], v[4:5], v[12:13]
	ds_read2st64_b32 v[12:13], v7 offset0:16 offset1:18
	ds_write2st64_b32 v7, v8, v9 offset0:8 offset1:10
	s_waitcnt lgkmcnt(4)
	v_pk_mul_f32 v[8:9], v[4:5], v[14:15]
	ds_write2st64_b32 v7, v8, v9 offset0:12 offset1:14
	ds_read2st64_b32 v[8:9], v7 offset0:20 offset1:22
	s_waitcnt lgkmcnt(3)
	v_pk_mul_f32 v[14:15], v[4:5], v[12:13]
	ds_read2st64_b32 v[12:13], v7 offset0:24 offset1:26
	ds_write2st64_b32 v7, v14, v15 offset0:16 offset1:18
	ds_read2st64_b32 v[14:15], v7 offset0:28 offset1:30
	s_waitcnt lgkmcnt(3)
	v_pk_mul_f32 v[8:9], v[4:5], v[8:9]
	ds_write2st64_b32 v7, v8, v9 offset0:20 offset1:22
	s_waitcnt lgkmcnt(3)
	v_pk_mul_f32 v[8:9], v[4:5], v[12:13]
	ds_write2st64_b32 v7, v8, v9 offset0:24 offset1:26
	s_waitcnt lgkmcnt(2)
	v_pk_mul_f32 v[8:9], v[4:5], v[14:15]
	s_add_i32 s17, s17, 16
	v_cmp_eq_u32_e32 vcc, 0, v6
	ds_write2st64_b32 v7, v8, v9 offset0:28 offset1:30
	v_add_u32_e32 v7, 0x2000, v7
	s_or_b64 s[8:9], vcc, s[8:9]
	v_mov_b32_e32 v8, s17
	s_andn2_b64 exec, exec, s[8:9]
	s_cbranch_execnz .LBB346_268
; %bb.269:
	s_or_b64 exec, exec, s[8:9]
.LBB346_270:
	s_or_b64 exec, exec, s[6:7]
	v_and_b32_e32 v3, 7, v3
	v_cmp_ne_u32_e32 vcc, 0, v3
	s_and_saveexec_b64 s[6:7], vcc
	s_cbranch_execz .LBB346_273
; %bb.271:
	s_ashr_i32 s17, s16, 31
	s_lshl_b64 s[8:9], s[16:17], 2
	s_getpc_b64 s[18:19]
	s_add_u32 s18, s18, llvm.amdgcn.dynlds.offset.table@rel32@lo+4
	s_addc_u32 s19, s19, llvm.amdgcn.dynlds.offset.table@rel32@hi+12
	s_add_u32 s8, s8, s18
	s_addc_u32 s9, s9, s19
	s_load_dword s8, s[8:9], 0x0
	v_lshlrev_b32_e32 v6, 9, v8
	v_lshlrev_b32_e32 v7, 2, v18
	s_waitcnt lgkmcnt(0)
	v_add3_u32 v6, v6, v7, s8
	s_mov_b64 s[8:9], 0
.LBB346_272:                            ; =>This Inner Loop Header: Depth=1
	ds_read2st64_b32 v[8:9], v6 offset1:2
	v_add_u32_e32 v3, -1, v3
	v_cmp_eq_u32_e32 vcc, 0, v3
	s_or_b64 s[8:9], vcc, s[8:9]
	s_waitcnt lgkmcnt(0)
	v_pk_mul_f32 v[8:9], v[4:5], v[8:9]
	ds_write2st64_b32 v6, v8, v9 offset1:2
	v_add_u32_e32 v6, 0x400, v6
	s_andn2_b64 exec, exec, s[8:9]
	s_cbranch_execnz .LBB346_272
.LBB346_273:
	s_or_b64 exec, exec, s[6:7]
	v_add_u32_e32 v3, 1, v2
	v_and_b32_e32 v5, 0x3fffffe, v3
	v_cmp_ne_u32_e32 vcc, v3, v5
	v_lshl_add_u32 v2, v5, 7, v18
	s_orn2_b64 s[6:7], vcc, exec
.LBB346_274:
	s_or_b64 exec, exec, s[4:5]
	s_and_b64 exec, exec, s[6:7]
	s_cbranch_execz .LBB346_277
; %bb.275:
	s_ashr_i32 s17, s16, 31
	s_lshl_b64 s[4:5], s[16:17], 2
	s_getpc_b64 s[6:7]
	s_add_u32 s6, s6, llvm.amdgcn.dynlds.offset.table@rel32@lo+4
	s_addc_u32 s7, s7, llvm.amdgcn.dynlds.offset.table@rel32@hi+12
	s_add_u32 s4, s4, s6
	s_addc_u32 s5, s5, s7
	s_load_dword s4, s[4:5], 0x0
	s_waitcnt lgkmcnt(0)
	v_lshl_add_u32 v3, v2, 2, s4
	s_mov_b64 s[4:5], 0
.LBB346_276:                            ; =>This Inner Loop Header: Depth=1
	ds_read_b32 v5, v3
	v_add_u32_e32 v2, 0x80, v2
	v_cmp_ge_i32_e32 vcc, v2, v1
	s_or_b64 s[4:5], vcc, s[4:5]
	s_waitcnt lgkmcnt(0)
	v_mul_f32_e32 v5, v4, v5
	ds_write_b32 v3, v5
	v_add_u32_e32 v3, 0x200, v3
	s_andn2_b64 exec, exec, s[4:5]
	s_cbranch_execnz .LBB346_276
.LBB346_277:
	s_or_b64 exec, exec, s[2:3]
	v_mov_b32_e32 v27, 0
	v_lshrrev_b32_e32 v24, 2, v0
	v_and_b32_e32 v23, 3, v18
	v_mov_b32_e32 v26, 0
	v_mov_b32_e32 v15, 0
	v_mov_b32_e32 v14, 0
	v_mov_b32_e32 v17, 0
	v_mov_b32_e32 v16, 0
	v_mov_b32_e32 v21, 0
	v_mov_b32_e32 v20, 0
	s_waitcnt lgkmcnt(0)
	s_barrier
	s_and_saveexec_b64 s[4:5], s[0:1]
	s_cbranch_execz .LBB346_843
; %bb.278:
	scratch_load_dwordx2 v[0:1], off, s32 offset:240 ; 8-byte Folded Reload
	s_movk_i32 s0, 0x78
	s_ashr_i32 s17, s16, 31
	v_mov_b32_e32 v27, 0
	v_and_b32_e32 v2, 24, v30
	v_accvgpr_write_b32 a9, v22
	v_accvgpr_write_b32 a8, v19
	;; [unrolled: 1-line block ×3, first 2 shown]
	v_lshl_or_b32 v26, v24, 5, v2
	v_accvgpr_write_b32 a11, v24
	v_accvgpr_write_b32 a10, v23
	s_mov_b64 s[6:7], 0
	s_movk_i32 s20, 0x7fff
	v_mov_b32_e32 v20, v27
	v_mov_b32_e32 v21, v27
	;; [unrolled: 1-line block ×6, first 2 shown]
	s_waitcnt vmcnt(0)
	flat_load_dword v37, v[0:1]
	v_lshl_add_u64 v[0:1], v[28:29], 0, v[38:39]
	v_accvgpr_write_b32 a15, v1
	v_accvgpr_write_b32 a14, v0
	scratch_load_dword v0, off, s32 offset:192 ; 4-byte Folded Reload
	v_mov_b32_e32 v1, v27
	s_waitcnt vmcnt(0)
	v_add_u32_e32 v0, -1, v0
	v_accvgpr_write_b32 a16, v0
	v_or_b32_e32 v0, 0x70, v24
	v_cmp_gt_u32_e32 vcc, s0, v0
	s_lshl_b64 s[0:1], s[16:17], 2
	s_getpc_b64 s[2:3]
	s_add_u32 s2, s2, llvm.amdgcn.dynlds.offset.table@rel32@lo+4
	s_addc_u32 s3, s3, llvm.amdgcn.dynlds.offset.table@rel32@hi+12
	v_lshl_or_b32 v0, v0, 5, v2
	v_accvgpr_write_b32 a19, v1
	s_add_u32 s0, s0, s2
	v_accvgpr_write_b32 a18, v0
	s_addc_u32 s1, s1, s3
	v_and_b32_e32 v0, 60, v25
	s_load_dword s0, s[0:1], 0x0
	v_lshl_add_u64 v[0:1], v[34:35], 2, v[0:1]
	v_lshl_add_u64 v[10:11], v[10:11], 0, v[0:1]
	v_accvgpr_read_b32 v1, a7
	v_lshlrev_b32_e32 v0, 5, v1
	v_or3_b32 v39, v0, v2, 7
	v_lshlrev_b32_e32 v0, 5, v23
	v_lshl_or_b32 v0, v1, 7, v0
	v_mov_b32_e32 v1, v27
	s_waitcnt lgkmcnt(0)
	v_add_u32_e32 v48, s0, v0
	v_mov_b32_e32 v0, v27
	v_accvgpr_write_b32 a13, v1
	s_mov_b32 s17, 0x7f800000
	v_accvgpr_write_b32 a12, v0
	s_branch .LBB346_281
.LBB346_279:                            ;   in Loop: Header=BB346_281 Depth=1
	s_or_b64 exec, exec, s[2:3]
	v_and_b32_e32 v23, 0xffff0000, v22
	v_and_b32_e32 v22, 0xffff0000, v18
	;; [unrolled: 1-line block ×8, first 2 shown]
	v_pk_add_f32 v[0:1], v[18:19], v[12:13]
	v_pk_add_f32 v[2:3], v[2:3], v[22:23]
	v_add_f32_e32 v0, v0, v1
	v_add_f32_e32 v0, v0, v2
	;; [unrolled: 1-line block ×3, first 2 shown]
	v_accvgpr_read_b32 v2, a12
	v_accvgpr_read_b32 v3, a13
	v_add_f32_e32 v3, v3, v0
	v_accvgpr_write_b32 a13, v3
	v_accvgpr_write_b32 a12, v2
.LBB346_280:                            ;   in Loop: Header=BB346_281 Depth=1
	s_or_b64 exec, exec, s[8:9]
	v_accvgpr_read_b32 v0, a22
	v_accvgpr_read_b32 v2, a21
	v_and_b32_e32 v1, 0xffff0000, v0
	v_accvgpr_read_b32 v0, a20
	v_and_b32_e32 v3, 0xffff0000, v2
	v_accvgpr_read_b32 v2, a17
	v_and_b32_e32 v0, 0xffff0000, v0
	v_and_b32_e32 v2, 0xffff0000, v2
	v_pk_add_f32 v[0:1], v[2:3], v[0:1]
	v_accvgpr_read_b32 v2, a26
	v_accvgpr_read_b32 v12, a25
	v_and_b32_e32 v3, 0xffff0000, v2
	v_accvgpr_read_b32 v2, a24
	v_and_b32_e32 v13, 0xffff0000, v12
	;; [unrolled: 2-line block ×3, first 2 shown]
	v_and_b32_e32 v12, 0xffff0000, v12
	v_pk_add_f32 v[2:3], v[12:13], v[2:3]
	v_add_f32_e32 v0, v0, v1
	v_add_f32_e32 v0, v0, v2
	;; [unrolled: 1-line block ×3, first 2 shown]
	v_accvgpr_read_b32 v12, a31
	v_accvgpr_read_b32 v18, a30
	v_add_f32_e32 v20, v20, v0
	v_accvgpr_read_b32 v0, a35
	v_accvgpr_read_b32 v2, a34
	v_and_b32_e32 v13, 0xffff0000, v12
	v_accvgpr_read_b32 v12, a29
	v_and_b32_e32 v19, 0xffff0000, v18
	;; [unrolled: 2-line block ×5, first 2 shown]
	v_and_b32_e32 v18, 0xffff0000, v18
	v_and_b32_e32 v0, 0xffff0000, v0
	;; [unrolled: 1-line block ×3, first 2 shown]
	v_pk_add_f32 v[12:13], v[18:19], v[12:13]
	v_pk_add_f32 v[0:1], v[2:3], v[0:1]
	v_add_f32_e32 v2, v12, v13
	v_add_f32_e32 v0, v2, v0
	;; [unrolled: 1-line block ×3, first 2 shown]
	v_accvgpr_read_b32 v12, a39
	v_accvgpr_read_b32 v18, a38
	v_add_f32_e32 v21, v21, v0
	v_accvgpr_read_b32 v0, a43
	v_accvgpr_read_b32 v2, a42
	v_and_b32_e32 v13, 0xffff0000, v12
	v_accvgpr_read_b32 v12, a37
	v_and_b32_e32 v19, 0xffff0000, v18
	;; [unrolled: 2-line block ×5, first 2 shown]
	v_and_b32_e32 v18, 0xffff0000, v18
	v_and_b32_e32 v0, 0xffff0000, v0
	;; [unrolled: 1-line block ×3, first 2 shown]
	v_pk_add_f32 v[12:13], v[18:19], v[12:13]
	v_pk_add_f32 v[0:1], v[2:3], v[0:1]
	v_add_f32_e32 v2, v12, v13
	v_add_f32_e32 v0, v2, v0
	;; [unrolled: 1-line block ×3, first 2 shown]
	v_and_b32_e32 v1, 0xffff0000, v8
	v_accvgpr_read_b32 v8, a45
	v_and_b32_e32 v12, 0xffff0000, v8
	v_accvgpr_read_b32 v8, a44
	v_and_b32_e32 v13, 0xffff0000, v29
	v_and_b32_e32 v19, 0xffff0000, v28
	;; [unrolled: 1-line block ×3, first 2 shown]
	v_add_f32_e32 v16, v16, v0
	v_and_b32_e32 v0, 0xffff0000, v24
	v_and_b32_e32 v3, 0xffff0000, v25
	v_and_b32_e32 v2, 0xffff0000, v31
	v_pk_add_f32 v[12:13], v[18:19], v[12:13]
	v_pk_add_f32 v[0:1], v[2:3], v[0:1]
	v_add_f32_e32 v2, v12, v13
	v_add_f32_e32 v0, v2, v0
	v_add_f32_e32 v0, v0, v1
	v_and_b32_e32 v13, 0xffff0000, v50
	v_and_b32_e32 v12, 0xffff0000, v9
	v_and_b32_e32 v9, 0xffff0000, v49
	v_and_b32_e32 v8, 0xffff0000, v33
	v_add_f32_e32 v17, v17, v0
	v_and_b32_e32 v1, 0xffff0000, v54
	v_and_b32_e32 v0, 0xffff0000, v52
	v_and_b32_e32 v3, 0xffff0000, v53
	v_and_b32_e32 v2, 0xffff0000, v51
	v_pk_add_f32 v[8:9], v[8:9], v[12:13]
	v_pk_add_f32 v[0:1], v[2:3], v[0:1]
	v_add_f32_e32 v2, v8, v9
	v_add_f32_e32 v0, v2, v0
	v_add_f32_e32 v0, v0, v1
	v_and_b32_e32 v9, 0xffff0000, v57
	v_and_b32_e32 v8, 0xffff0000, v7
	v_and_b32_e32 v7, 0xffff0000, v56
	v_and_b32_e32 v6, 0xffff0000, v6
	v_add_f32_e32 v14, v14, v0
	v_and_b32_e32 v1, 0xffff0000, v61
	;; [unrolled: 14-line block ×3, first 2 shown]
	v_and_b32_e32 v0, 0xffff0000, v35
	v_and_b32_e32 v3, 0xffff0000, v36
	;; [unrolled: 1-line block ×3, first 2 shown]
	v_pk_add_f32 v[4:5], v[4:5], v[6:7]
	v_pk_add_f32 v[0:1], v[2:3], v[0:1]
	v_add_f32_e32 v2, v4, v5
	v_add_f32_e32 v0, v2, v0
	;; [unrolled: 1-line block ×3, first 2 shown]
	v_accvgpr_read_b32 v2, a12
	v_add_f32_e32 v2, v2, v0
	scratch_load_dword v0, off, s32 offset:192 ; 4-byte Folded Reload
	v_accvgpr_read_b32 v1, a7
	v_accvgpr_read_b32 v3, a13
	v_add_u32_e32 v1, 2, v1
	v_accvgpr_write_b32 a13, v3
	v_accvgpr_write_b32 a12, v2
	v_lshl_add_u64 v[10:11], v[10:11], 0, 8
	v_add_u32_e32 v39, 64, v39
	v_accvgpr_write_b32 a7, v1
	v_add_u32_e32 v48, 0x100, v48
	s_waitcnt vmcnt(0)
	v_cmp_ge_i32_e64 s[0:1], v1, v0
	s_or_b64 s[6:7], s[0:1], s[6:7]
	s_andn2_b64 exec, exec, s[6:7]
	s_cbranch_execz .LBB346_842
.LBB346_281:                            ; =>This Inner Loop Header: Depth=1
	flat_load_dword v25, v[10:11]
	ds_read2_b64 v[6:9], v48 offset1:1
	ds_read2_b64 v[2:5], v48 offset0:2 offset1:3
                                        ; implicit-def: $vgpr24
	s_waitcnt lgkmcnt(0)
	v_and_b32_e32 v0, 0x7f800000, v6
	v_cmp_ne_u32_e64 s[0:1], s17, v0
	s_and_saveexec_b64 s[2:3], s[0:1]
	s_xor_b64 s[0:1], exec, s[2:3]
; %bb.282:                              ;   in Loop: Header=BB346_281 Depth=1
	v_bfe_u32 v0, v6, 16, 1
	v_add3_u32 v24, v6, v0, s20
; %bb.283:                              ;   in Loop: Header=BB346_281 Depth=1
	s_andn2_saveexec_b64 s[2:3], s[0:1]
; %bb.284:                              ;   in Loop: Header=BB346_281 Depth=1
	v_or_b32_e32 v0, 0x10000, v6
	v_cmp_eq_u32_sdwa s[0:1], v6, v27 src0_sel:WORD_0 src1_sel:DWORD
	s_nop 1
	v_cndmask_b32_e64 v24, v0, v6, s[0:1]
; %bb.285:                              ;   in Loop: Header=BB346_281 Depth=1
	s_or_b64 exec, exec, s[2:3]
	v_and_b32_e32 v0, 0x7f800000, v7
	v_cmp_ne_u32_e64 s[0:1], s17, v0
                                        ; implicit-def: $vgpr23
	s_and_saveexec_b64 s[2:3], s[0:1]
	s_xor_b64 s[0:1], exec, s[2:3]
; %bb.286:                              ;   in Loop: Header=BB346_281 Depth=1
	v_bfe_u32 v0, v7, 16, 1
	v_add3_u32 v23, v7, v0, s20
; %bb.287:                              ;   in Loop: Header=BB346_281 Depth=1
	s_andn2_saveexec_b64 s[2:3], s[0:1]
; %bb.288:                              ;   in Loop: Header=BB346_281 Depth=1
	v_or_b32_e32 v0, 0x10000, v7
	v_cmp_eq_u32_sdwa s[0:1], v7, v27 src0_sel:WORD_0 src1_sel:DWORD
	s_nop 1
	v_cndmask_b32_e64 v23, v0, v7, s[0:1]
; %bb.289:                              ;   in Loop: Header=BB346_281 Depth=1
	s_or_b64 exec, exec, s[2:3]
	v_and_b32_e32 v0, 0x7f800000, v8
	v_cmp_ne_u32_e64 s[0:1], s17, v0
                                        ; implicit-def: $vgpr22
	s_and_saveexec_b64 s[2:3], s[0:1]
	s_xor_b64 s[0:1], exec, s[2:3]
; %bb.290:                              ;   in Loop: Header=BB346_281 Depth=1
	v_bfe_u32 v0, v8, 16, 1
	v_add3_u32 v22, v8, v0, s20
; %bb.291:                              ;   in Loop: Header=BB346_281 Depth=1
	s_andn2_saveexec_b64 s[2:3], s[0:1]
; %bb.292:                              ;   in Loop: Header=BB346_281 Depth=1
	v_or_b32_e32 v0, 0x10000, v8
	v_cmp_eq_u32_sdwa s[0:1], v8, v27 src0_sel:WORD_0 src1_sel:DWORD
	s_nop 1
	v_cndmask_b32_e64 v22, v0, v8, s[0:1]
; %bb.293:                              ;   in Loop: Header=BB346_281 Depth=1
	s_or_b64 exec, exec, s[2:3]
	v_and_b32_e32 v0, 0x7f800000, v9
	v_cmp_ne_u32_e64 s[0:1], s17, v0
                                        ; implicit-def: $vgpr19
	s_and_saveexec_b64 s[2:3], s[0:1]
	s_xor_b64 s[0:1], exec, s[2:3]
; %bb.294:                              ;   in Loop: Header=BB346_281 Depth=1
	v_bfe_u32 v0, v9, 16, 1
	v_add3_u32 v19, v9, v0, s20
                                        ; implicit-def: $vgpr6_vgpr7_vgpr8_vgpr9
; %bb.295:                              ;   in Loop: Header=BB346_281 Depth=1
	s_andn2_saveexec_b64 s[2:3], s[0:1]
; %bb.296:                              ;   in Loop: Header=BB346_281 Depth=1
	v_or_b32_e32 v0, 0x10000, v9
	v_cmp_eq_u32_sdwa s[0:1], v9, v27 src0_sel:WORD_0 src1_sel:DWORD
	s_nop 1
	v_cndmask_b32_e64 v19, v0, v9, s[0:1]
; %bb.297:                              ;   in Loop: Header=BB346_281 Depth=1
	s_or_b64 exec, exec, s[2:3]
	v_and_b32_e32 v0, 0x7f800000, v2
	v_cmp_ne_u32_e64 s[0:1], s17, v0
                                        ; implicit-def: $vgpr9
	s_and_saveexec_b64 s[2:3], s[0:1]
	s_xor_b64 s[0:1], exec, s[2:3]
; %bb.298:                              ;   in Loop: Header=BB346_281 Depth=1
	v_bfe_u32 v0, v2, 16, 1
	v_add3_u32 v9, v2, v0, s20
; %bb.299:                              ;   in Loop: Header=BB346_281 Depth=1
	s_andn2_saveexec_b64 s[2:3], s[0:1]
; %bb.300:                              ;   in Loop: Header=BB346_281 Depth=1
	v_or_b32_e32 v0, 0x10000, v2
	v_cmp_eq_u32_sdwa s[0:1], v2, v27 src0_sel:WORD_0 src1_sel:DWORD
	s_nop 1
	v_cndmask_b32_e64 v9, v0, v2, s[0:1]
; %bb.301:                              ;   in Loop: Header=BB346_281 Depth=1
	s_or_b64 exec, exec, s[2:3]
	v_and_b32_e32 v0, 0x7f800000, v3
	v_cmp_ne_u32_e64 s[0:1], s17, v0
                                        ; implicit-def: $vgpr8
	s_and_saveexec_b64 s[2:3], s[0:1]
	s_xor_b64 s[0:1], exec, s[2:3]
; %bb.302:                              ;   in Loop: Header=BB346_281 Depth=1
	v_bfe_u32 v0, v3, 16, 1
	v_add3_u32 v8, v3, v0, s20
; %bb.303:                              ;   in Loop: Header=BB346_281 Depth=1
	s_andn2_saveexec_b64 s[2:3], s[0:1]
; %bb.304:                              ;   in Loop: Header=BB346_281 Depth=1
	v_or_b32_e32 v0, 0x10000, v3
	v_cmp_eq_u32_sdwa s[0:1], v3, v27 src0_sel:WORD_0 src1_sel:DWORD
	s_nop 1
	v_cndmask_b32_e64 v8, v0, v3, s[0:1]
; %bb.305:                              ;   in Loop: Header=BB346_281 Depth=1
	s_or_b64 exec, exec, s[2:3]
	v_and_b32_e32 v0, 0x7f800000, v4
	v_cmp_ne_u32_e64 s[0:1], s17, v0
                                        ; implicit-def: $vgpr1
	s_and_saveexec_b64 s[2:3], s[0:1]
	s_xor_b64 s[0:1], exec, s[2:3]
; %bb.306:                              ;   in Loop: Header=BB346_281 Depth=1
	v_bfe_u32 v0, v4, 16, 1
	v_add3_u32 v1, v4, v0, s20
; %bb.307:                              ;   in Loop: Header=BB346_281 Depth=1
	s_andn2_saveexec_b64 s[2:3], s[0:1]
; %bb.308:                              ;   in Loop: Header=BB346_281 Depth=1
	v_or_b32_e32 v0, 0x10000, v4
	v_cmp_eq_u32_sdwa s[0:1], v4, v27 src0_sel:WORD_0 src1_sel:DWORD
	s_nop 1
	v_cndmask_b32_e64 v1, v0, v4, s[0:1]
; %bb.309:                              ;   in Loop: Header=BB346_281 Depth=1
	s_or_b64 exec, exec, s[2:3]
	v_and_b32_e32 v0, 0x7f800000, v5
	v_cmp_ne_u32_e64 s[0:1], s17, v0
                                        ; implicit-def: $vgpr0
	s_and_saveexec_b64 s[2:3], s[0:1]
	s_xor_b64 s[0:1], exec, s[2:3]
; %bb.310:                              ;   in Loop: Header=BB346_281 Depth=1
	v_bfe_u32 v0, v5, 16, 1
	v_add3_u32 v0, v5, v0, s20
                                        ; implicit-def: $vgpr2_vgpr3_vgpr4_vgpr5
; %bb.311:                              ;   in Loop: Header=BB346_281 Depth=1
	s_andn2_saveexec_b64 s[2:3], s[0:1]
; %bb.312:                              ;   in Loop: Header=BB346_281 Depth=1
	v_or_b32_e32 v0, 0x10000, v5
	v_cmp_eq_u32_sdwa s[0:1], v5, v27 src0_sel:WORD_0 src1_sel:DWORD
	s_nop 1
	v_cndmask_b32_e64 v0, v0, v5, s[0:1]
; %bb.313:                              ;   in Loop: Header=BB346_281 Depth=1
	s_or_b64 exec, exec, s[2:3]
	v_accvgpr_read_b32 v4, a14
	v_accvgpr_read_b32 v2, a6
	;; [unrolled: 1-line block ×3, first 2 shown]
	s_waitcnt vmcnt(0)
	v_mad_i64_i32 v[2:3], s[0:1], v25, v2, v[4:5]
	v_lshl_add_u64 v[4:5], v[2:3], 0, v[26:27]
	flat_load_dwordx2 v[6:7], v[4:5]
                                        ; implicit-def: $vgpr25
	s_waitcnt vmcnt(0) lgkmcnt(0)
	v_and_b32_e32 v12, 0xff, v6
	v_cvt_f32_fp8_sdwa v12, v12 src0_sel:BYTE_0
	s_nop 0
	v_mul_f32_e32 v12, v37, v12
	v_and_b32_e32 v13, 0x7f800000, v12
	v_cmp_ne_u32_e64 s[0:1], s17, v13
	s_and_saveexec_b64 s[2:3], s[0:1]
	s_xor_b64 s[0:1], exec, s[2:3]
; %bb.314:                              ;   in Loop: Header=BB346_281 Depth=1
	v_bfe_u32 v13, v12, 16, 1
	v_add3_u32 v25, v12, v13, s20
                                        ; implicit-def: $vgpr12
; %bb.315:                              ;   in Loop: Header=BB346_281 Depth=1
	s_andn2_saveexec_b64 s[2:3], s[0:1]
; %bb.316:                              ;   in Loop: Header=BB346_281 Depth=1
	v_or_b32_e32 v13, 0x10000, v12
	v_cmp_eq_u32_sdwa s[0:1], v12, v27 src0_sel:WORD_0 src1_sel:DWORD
	s_nop 1
	v_cndmask_b32_e64 v25, v13, v12, s[0:1]
; %bb.317:                              ;   in Loop: Header=BB346_281 Depth=1
	s_or_b64 exec, exec, s[2:3]
	v_bfe_u32 v12, v6, 8, 8
	v_cvt_f32_fp8_sdwa v12, v12 src0_sel:BYTE_0
                                        ; implicit-def: $vgpr28
	s_nop 0
	v_mul_f32_e32 v12, v37, v12
	v_and_b32_e32 v13, 0x7f800000, v12
	v_cmp_ne_u32_e64 s[0:1], s17, v13
	s_and_saveexec_b64 s[2:3], s[0:1]
	s_xor_b64 s[0:1], exec, s[2:3]
; %bb.318:                              ;   in Loop: Header=BB346_281 Depth=1
	v_bfe_u32 v13, v12, 16, 1
	v_add3_u32 v28, v12, v13, s20
                                        ; implicit-def: $vgpr12
; %bb.319:                              ;   in Loop: Header=BB346_281 Depth=1
	s_andn2_saveexec_b64 s[2:3], s[0:1]
; %bb.320:                              ;   in Loop: Header=BB346_281 Depth=1
	v_or_b32_e32 v13, 0x10000, v12
	v_cmp_eq_u32_sdwa s[0:1], v12, v27 src0_sel:WORD_0 src1_sel:DWORD
	s_nop 1
	v_cndmask_b32_e64 v28, v13, v12, s[0:1]
; %bb.321:                              ;   in Loop: Header=BB346_281 Depth=1
	s_or_b64 exec, exec, s[2:3]
	v_bfe_u32 v12, v6, 16, 8
	v_cvt_f32_fp8_sdwa v12, v12 src0_sel:BYTE_0
                                        ; implicit-def: $vgpr30
	s_nop 0
	v_mul_f32_e32 v12, v37, v12
	v_and_b32_e32 v13, 0x7f800000, v12
	v_cmp_ne_u32_e64 s[0:1], s17, v13
	s_and_saveexec_b64 s[2:3], s[0:1]
	s_xor_b64 s[0:1], exec, s[2:3]
; %bb.322:                              ;   in Loop: Header=BB346_281 Depth=1
	v_bfe_u32 v13, v12, 16, 1
	v_add3_u32 v30, v12, v13, s20
                                        ; implicit-def: $vgpr12
; %bb.323:                              ;   in Loop: Header=BB346_281 Depth=1
	s_andn2_saveexec_b64 s[2:3], s[0:1]
; %bb.324:                              ;   in Loop: Header=BB346_281 Depth=1
	v_or_b32_e32 v13, 0x10000, v12
	v_cmp_eq_u32_sdwa s[0:1], v12, v27 src0_sel:WORD_0 src1_sel:DWORD
	s_nop 1
	v_cndmask_b32_e64 v30, v13, v12, s[0:1]
; %bb.325:                              ;   in Loop: Header=BB346_281 Depth=1
	s_or_b64 exec, exec, s[2:3]
	v_lshrrev_b32_e32 v6, 24, v6
	v_cvt_f32_fp8_sdwa v6, v6 src0_sel:BYTE_0
	s_nop 0
	v_mul_f32_e32 v12, v37, v6
	v_and_b32_e32 v6, 0x7f800000, v12
	v_cmp_ne_u32_e64 s[0:1], s17, v6
                                        ; implicit-def: $vgpr6
	s_and_saveexec_b64 s[2:3], s[0:1]
	s_xor_b64 s[0:1], exec, s[2:3]
; %bb.326:                              ;   in Loop: Header=BB346_281 Depth=1
	v_bfe_u32 v6, v12, 16, 1
	v_add3_u32 v6, v12, v6, s20
                                        ; implicit-def: $vgpr12
; %bb.327:                              ;   in Loop: Header=BB346_281 Depth=1
	s_andn2_saveexec_b64 s[2:3], s[0:1]
; %bb.328:                              ;   in Loop: Header=BB346_281 Depth=1
	v_or_b32_e32 v6, 0x10000, v12
	v_cmp_eq_u32_sdwa s[0:1], v12, v27 src0_sel:WORD_0 src1_sel:DWORD
	s_nop 1
	v_cndmask_b32_e64 v6, v6, v12, s[0:1]
; %bb.329:                              ;   in Loop: Header=BB346_281 Depth=1
	s_or_b64 exec, exec, s[2:3]
	v_and_b32_e32 v12, 0xff, v7
	v_cvt_f32_fp8_sdwa v12, v12 src0_sel:BYTE_0
	s_nop 0
	v_mul_f32_e32 v13, v37, v12
	v_and_b32_e32 v12, 0x7f800000, v13
	v_cmp_ne_u32_e64 s[0:1], s17, v12
                                        ; implicit-def: $vgpr12
	s_and_saveexec_b64 s[2:3], s[0:1]
	s_xor_b64 s[0:1], exec, s[2:3]
; %bb.330:                              ;   in Loop: Header=BB346_281 Depth=1
	v_bfe_u32 v12, v13, 16, 1
	v_add3_u32 v12, v13, v12, s20
                                        ; implicit-def: $vgpr13
; %bb.331:                              ;   in Loop: Header=BB346_281 Depth=1
	s_andn2_saveexec_b64 s[2:3], s[0:1]
; %bb.332:                              ;   in Loop: Header=BB346_281 Depth=1
	v_or_b32_e32 v12, 0x10000, v13
	v_cmp_eq_u32_sdwa s[0:1], v13, v27 src0_sel:WORD_0 src1_sel:DWORD
	s_nop 1
	v_cndmask_b32_e64 v12, v12, v13, s[0:1]
; %bb.333:                              ;   in Loop: Header=BB346_281 Depth=1
	s_or_b64 exec, exec, s[2:3]
	v_bfe_u32 v13, v7, 8, 8
	v_cvt_f32_fp8_sdwa v13, v13 src0_sel:BYTE_0
	s_nop 0
	v_mul_f32_e32 v18, v37, v13
	v_and_b32_e32 v13, 0x7f800000, v18
	v_cmp_ne_u32_e64 s[0:1], s17, v13
                                        ; implicit-def: $vgpr13
	s_and_saveexec_b64 s[2:3], s[0:1]
	s_xor_b64 s[0:1], exec, s[2:3]
; %bb.334:                              ;   in Loop: Header=BB346_281 Depth=1
	v_bfe_u32 v13, v18, 16, 1
	v_add3_u32 v13, v18, v13, s20
                                        ; implicit-def: $vgpr18
; %bb.335:                              ;   in Loop: Header=BB346_281 Depth=1
	s_andn2_saveexec_b64 s[2:3], s[0:1]
; %bb.336:                              ;   in Loop: Header=BB346_281 Depth=1
	v_or_b32_e32 v13, 0x10000, v18
	v_cmp_eq_u32_sdwa s[0:1], v18, v27 src0_sel:WORD_0 src1_sel:DWORD
	s_nop 1
	v_cndmask_b32_e64 v13, v13, v18, s[0:1]
; %bb.337:                              ;   in Loop: Header=BB346_281 Depth=1
	s_or_b64 exec, exec, s[2:3]
	v_bfe_u32 v18, v7, 16, 8
	v_cvt_f32_fp8_sdwa v18, v18 src0_sel:BYTE_0
                                        ; implicit-def: $vgpr33
	s_nop 0
	v_mul_f32_e32 v18, v37, v18
	v_and_b32_e32 v29, 0x7f800000, v18
	v_cmp_ne_u32_e64 s[0:1], s17, v29
	s_and_saveexec_b64 s[2:3], s[0:1]
	s_xor_b64 s[0:1], exec, s[2:3]
; %bb.338:                              ;   in Loop: Header=BB346_281 Depth=1
	v_bfe_u32 v29, v18, 16, 1
	v_add3_u32 v33, v18, v29, s20
                                        ; implicit-def: $vgpr18
; %bb.339:                              ;   in Loop: Header=BB346_281 Depth=1
	s_andn2_saveexec_b64 s[2:3], s[0:1]
; %bb.340:                              ;   in Loop: Header=BB346_281 Depth=1
	v_or_b32_e32 v29, 0x10000, v18
	v_cmp_eq_u32_sdwa s[0:1], v18, v27 src0_sel:WORD_0 src1_sel:DWORD
	s_nop 1
	v_cndmask_b32_e64 v33, v29, v18, s[0:1]
; %bb.341:                              ;   in Loop: Header=BB346_281 Depth=1
	s_or_b64 exec, exec, s[2:3]
	v_lshrrev_b32_e32 v7, 24, v7
	v_cvt_f32_fp8_sdwa v7, v7 src0_sel:BYTE_0
                                        ; implicit-def: $vgpr34
	s_nop 0
	v_mul_f32_e32 v7, v37, v7
	v_and_b32_e32 v18, 0x7f800000, v7
	v_cmp_ne_u32_e64 s[0:1], s17, v18
	s_and_saveexec_b64 s[2:3], s[0:1]
	s_xor_b64 s[0:1], exec, s[2:3]
; %bb.342:                              ;   in Loop: Header=BB346_281 Depth=1
	v_bfe_u32 v18, v7, 16, 1
	v_add3_u32 v34, v7, v18, s20
                                        ; implicit-def: $vgpr7
; %bb.343:                              ;   in Loop: Header=BB346_281 Depth=1
	s_andn2_saveexec_b64 s[2:3], s[0:1]
; %bb.344:                              ;   in Loop: Header=BB346_281 Depth=1
	v_or_b32_e32 v18, 0x10000, v7
	v_cmp_eq_u32_sdwa s[0:1], v7, v27 src0_sel:WORD_0 src1_sel:DWORD
	s_nop 1
	v_cndmask_b32_e64 v34, v18, v7, s[0:1]
; %bb.345:                              ;   in Loop: Header=BB346_281 Depth=1
	s_or_b64 exec, exec, s[2:3]
	v_accvgpr_read_b32 v7, a7
	v_accvgpr_read_b32 v18, a16
	v_cmp_eq_u32_e64 s[0:1], v18, v7
	v_add_u32_e32 v7, -7, v39
	v_accvgpr_write_b32 a27, v7
	v_lshrrev_b32_e32 v29, 16, v13
	v_lshrrev_b32_e32 v31, 16, v12
	;; [unrolled: 1-line block ×8, first 2 shown]
	s_and_saveexec_b64 s[8:9], s[0:1]
	s_cbranch_execz .LBB346_347
; %bb.346:                              ;   in Loop: Header=BB346_281 Depth=1
	v_accvgpr_read_b32 v28, a27
	v_cmp_lt_i32_e64 s[2:3], v28, v32
	v_add_u32_e32 v28, -6, v39
	s_nop 0
	v_cndmask_b32_e64 v25, 0, v25, s[2:3]
	v_cmp_lt_i32_e64 s[2:3], v28, v32
	v_add_u32_e32 v28, -5, v39
	s_nop 0
	v_cndmask_b32_e64 v18, 0, v18, s[2:3]
	;; [unrolled: 4-line block ×6, first 2 shown]
	v_cmp_lt_i32_e64 s[2:3], v28, v32
	s_nop 1
	v_cndmask_b32_e64 v7, 0, v7, s[2:3]
	v_cmp_lt_i32_e64 s[2:3], v39, v32
	s_nop 1
	v_cndmask_b32_e64 v6, 0, v6, s[2:3]
.LBB346_347:                            ;   in Loop: Header=BB346_281 Depth=1
	s_or_b64 exec, exec, s[8:9]
	v_and_b32_e32 v40, 0xffff0000, v24
	v_lshlrev_b32_e32 v24, 16, v25
	v_mul_f32_e32 v24, v40, v24
	v_and_b32_e32 v25, 0x7f800000, v24
	v_cmp_ne_u32_e64 s[2:3], s17, v25
                                        ; implicit-def: $agpr17
	s_and_saveexec_b64 s[8:9], s[2:3]
	s_xor_b64 s[2:3], exec, s[8:9]
; %bb.348:                              ;   in Loop: Header=BB346_281 Depth=1
	v_bfe_u32 v25, v24, 16, 1
	v_add3_u32 v24, v24, v25, s20
	v_accvgpr_write_b32 a17, v24
                                        ; implicit-def: $vgpr24
; %bb.349:                              ;   in Loop: Header=BB346_281 Depth=1
	s_andn2_saveexec_b64 s[8:9], s[2:3]
; %bb.350:                              ;   in Loop: Header=BB346_281 Depth=1
	v_or_b32_e32 v25, 0x10000, v24
	v_cmp_eq_u32_sdwa s[2:3], v24, v27 src0_sel:WORD_0 src1_sel:DWORD
	s_nop 1
	v_cndmask_b32_e64 v24, v25, v24, s[2:3]
	v_accvgpr_write_b32 a17, v24
; %bb.351:                              ;   in Loop: Header=BB346_281 Depth=1
	s_or_b64 exec, exec, s[8:9]
	v_and_b32_e32 v41, 0xffff0000, v23
	v_lshlrev_b32_e32 v18, 16, v18
	v_mul_f32_e32 v18, v41, v18
	v_and_b32_e32 v23, 0x7f800000, v18
	v_cmp_ne_u32_e64 s[2:3], s17, v23
                                        ; implicit-def: $agpr20
	s_and_saveexec_b64 s[8:9], s[2:3]
	s_xor_b64 s[2:3], exec, s[8:9]
; %bb.352:                              ;   in Loop: Header=BB346_281 Depth=1
	v_bfe_u32 v23, v18, 16, 1
	v_add3_u32 v18, v18, v23, s20
	v_accvgpr_write_b32 a20, v18
                                        ; implicit-def: $vgpr18
; %bb.353:                              ;   in Loop: Header=BB346_281 Depth=1
	s_andn2_saveexec_b64 s[8:9], s[2:3]
; %bb.354:                              ;   in Loop: Header=BB346_281 Depth=1
	v_or_b32_e32 v23, 0x10000, v18
	v_cmp_eq_u32_sdwa s[2:3], v18, v27 src0_sel:WORD_0 src1_sel:DWORD
	s_nop 1
	v_cndmask_b32_e64 v18, v23, v18, s[2:3]
	v_accvgpr_write_b32 a20, v18
; %bb.355:                              ;   in Loop: Header=BB346_281 Depth=1
	s_or_b64 exec, exec, s[8:9]
	v_and_b32_e32 v42, 0xffff0000, v22
	v_lshlrev_b32_e32 v13, 16, v13
	v_mul_f32_e32 v13, v42, v13
	v_and_b32_e32 v18, 0x7f800000, v13
	v_cmp_ne_u32_e64 s[2:3], s17, v18
                                        ; implicit-def: $agpr21
	s_and_saveexec_b64 s[8:9], s[2:3]
	s_xor_b64 s[2:3], exec, s[8:9]
; %bb.356:                              ;   in Loop: Header=BB346_281 Depth=1
	v_bfe_u32 v18, v13, 16, 1
	v_add3_u32 v13, v13, v18, s20
	v_accvgpr_write_b32 a21, v13
                                        ; implicit-def: $vgpr13
; %bb.357:                              ;   in Loop: Header=BB346_281 Depth=1
	s_andn2_saveexec_b64 s[8:9], s[2:3]
; %bb.358:                              ;   in Loop: Header=BB346_281 Depth=1
	v_or_b32_e32 v18, 0x10000, v13
	v_cmp_eq_u32_sdwa s[2:3], v13, v27 src0_sel:WORD_0 src1_sel:DWORD
	s_nop 1
	v_cndmask_b32_e64 v13, v18, v13, s[2:3]
	v_accvgpr_write_b32 a21, v13
; %bb.359:                              ;   in Loop: Header=BB346_281 Depth=1
	s_or_b64 exec, exec, s[8:9]
	v_and_b32_e32 v43, 0xffff0000, v19
	v_lshlrev_b32_e32 v12, 16, v12
	v_mul_f32_e32 v12, v43, v12
	v_and_b32_e32 v13, 0x7f800000, v12
	v_cmp_ne_u32_e64 s[2:3], s17, v13
                                        ; implicit-def: $agpr22
	s_and_saveexec_b64 s[8:9], s[2:3]
	s_xor_b64 s[2:3], exec, s[8:9]
; %bb.360:                              ;   in Loop: Header=BB346_281 Depth=1
	v_bfe_u32 v13, v12, 16, 1
	v_add3_u32 v12, v12, v13, s20
	v_accvgpr_write_b32 a22, v12
                                        ; implicit-def: $vgpr12
; %bb.361:                              ;   in Loop: Header=BB346_281 Depth=1
	s_andn2_saveexec_b64 s[8:9], s[2:3]
; %bb.362:                              ;   in Loop: Header=BB346_281 Depth=1
	v_or_b32_e32 v13, 0x10000, v12
	v_cmp_eq_u32_sdwa s[2:3], v12, v27 src0_sel:WORD_0 src1_sel:DWORD
	s_nop 1
	v_cndmask_b32_e64 v12, v13, v12, s[2:3]
	v_accvgpr_write_b32 a22, v12
; %bb.363:                              ;   in Loop: Header=BB346_281 Depth=1
	s_or_b64 exec, exec, s[8:9]
	v_and_b32_e32 v44, 0xffff0000, v9
	v_lshlrev_b32_e32 v9, 16, v31
	v_mul_f32_e32 v9, v44, v9
	v_and_b32_e32 v12, 0x7f800000, v9
	v_cmp_ne_u32_e64 s[2:3], s17, v12
                                        ; implicit-def: $agpr23
	s_and_saveexec_b64 s[8:9], s[2:3]
	s_xor_b64 s[2:3], exec, s[8:9]
; %bb.364:                              ;   in Loop: Header=BB346_281 Depth=1
	v_bfe_u32 v12, v9, 16, 1
	v_add3_u32 v9, v9, v12, s20
	v_accvgpr_write_b32 a23, v9
                                        ; implicit-def: $vgpr9
; %bb.365:                              ;   in Loop: Header=BB346_281 Depth=1
	s_andn2_saveexec_b64 s[8:9], s[2:3]
; %bb.366:                              ;   in Loop: Header=BB346_281 Depth=1
	v_or_b32_e32 v12, 0x10000, v9
	v_cmp_eq_u32_sdwa s[2:3], v9, v27 src0_sel:WORD_0 src1_sel:DWORD
	s_nop 1
	v_cndmask_b32_e64 v9, v12, v9, s[2:3]
	v_accvgpr_write_b32 a23, v9
; %bb.367:                              ;   in Loop: Header=BB346_281 Depth=1
	s_or_b64 exec, exec, s[8:9]
	v_and_b32_e32 v45, 0xffff0000, v8
	v_lshlrev_b32_e32 v8, 16, v29
	v_mul_f32_e32 v8, v45, v8
	v_and_b32_e32 v9, 0x7f800000, v8
	v_cmp_ne_u32_e64 s[2:3], s17, v9
                                        ; implicit-def: $agpr24
	s_and_saveexec_b64 s[8:9], s[2:3]
	s_xor_b64 s[2:3], exec, s[8:9]
; %bb.368:                              ;   in Loop: Header=BB346_281 Depth=1
	v_bfe_u32 v9, v8, 16, 1
	v_add3_u32 v8, v8, v9, s20
	v_accvgpr_write_b32 a24, v8
                                        ; implicit-def: $vgpr8
; %bb.369:                              ;   in Loop: Header=BB346_281 Depth=1
	s_andn2_saveexec_b64 s[8:9], s[2:3]
; %bb.370:                              ;   in Loop: Header=BB346_281 Depth=1
	v_or_b32_e32 v9, 0x10000, v8
	v_cmp_eq_u32_sdwa s[2:3], v8, v27 src0_sel:WORD_0 src1_sel:DWORD
	s_nop 1
	v_cndmask_b32_e64 v8, v9, v8, s[2:3]
	v_accvgpr_write_b32 a24, v8
; %bb.371:                              ;   in Loop: Header=BB346_281 Depth=1
	s_or_b64 exec, exec, s[8:9]
	v_and_b32_e32 v46, 0xffff0000, v1
	v_lshlrev_b32_e32 v1, 16, v7
	v_mul_f32_e32 v1, v46, v1
	v_and_b32_e32 v7, 0x7f800000, v1
	v_cmp_ne_u32_e64 s[2:3], s17, v7
                                        ; implicit-def: $agpr25
	s_and_saveexec_b64 s[8:9], s[2:3]
	s_xor_b64 s[2:3], exec, s[8:9]
; %bb.372:                              ;   in Loop: Header=BB346_281 Depth=1
	v_bfe_u32 v7, v1, 16, 1
	v_add3_u32 v1, v1, v7, s20
	v_accvgpr_write_b32 a25, v1
                                        ; implicit-def: $vgpr1
; %bb.373:                              ;   in Loop: Header=BB346_281 Depth=1
	s_andn2_saveexec_b64 s[8:9], s[2:3]
; %bb.374:                              ;   in Loop: Header=BB346_281 Depth=1
	v_or_b32_e32 v7, 0x10000, v1
	v_cmp_eq_u32_sdwa s[2:3], v1, v27 src0_sel:WORD_0 src1_sel:DWORD
	s_nop 1
	v_cndmask_b32_e64 v1, v7, v1, s[2:3]
	v_accvgpr_write_b32 a25, v1
; %bb.375:                              ;   in Loop: Header=BB346_281 Depth=1
	s_or_b64 exec, exec, s[8:9]
	v_and_b32_e32 v47, 0xffff0000, v0
	v_lshlrev_b32_e32 v0, 16, v6
	v_mul_f32_e32 v0, v47, v0
	v_and_b32_e32 v1, 0x7f800000, v0
	v_cmp_ne_u32_e64 s[2:3], s17, v1
                                        ; implicit-def: $agpr26
	s_and_saveexec_b64 s[8:9], s[2:3]
	s_xor_b64 s[2:3], exec, s[8:9]
; %bb.376:                              ;   in Loop: Header=BB346_281 Depth=1
	v_bfe_u32 v1, v0, 16, 1
	v_add3_u32 v0, v0, v1, s20
	v_accvgpr_write_b32 a26, v0
                                        ; implicit-def: $vgpr0
; %bb.377:                              ;   in Loop: Header=BB346_281 Depth=1
	s_andn2_saveexec_b64 s[8:9], s[2:3]
; %bb.378:                              ;   in Loop: Header=BB346_281 Depth=1
	v_or_b32_e32 v1, 0x10000, v0
	v_cmp_eq_u32_sdwa s[2:3], v0, v27 src0_sel:WORD_0 src1_sel:DWORD
	s_nop 1
	v_cndmask_b32_e64 v0, v1, v0, s[2:3]
	v_accvgpr_write_b32 a26, v0
; %bb.379:                              ;   in Loop: Header=BB346_281 Depth=1
	s_or_b64 exec, exec, s[8:9]
	flat_load_dwordx2 v[6:7], v[4:5] offset:512
	s_waitcnt vmcnt(0) lgkmcnt(0)
	v_and_b32_e32 v0, 0xff, v6
	v_cvt_f32_fp8_sdwa v0, v0 src0_sel:BYTE_0
	s_nop 0
	v_mul_f32_e32 v1, v37, v0
	v_and_b32_e32 v0, 0x7f800000, v1
	v_cmp_ne_u32_e64 s[2:3], s17, v0
                                        ; implicit-def: $vgpr0
	s_and_saveexec_b64 s[8:9], s[2:3]
	s_xor_b64 s[2:3], exec, s[8:9]
; %bb.380:                              ;   in Loop: Header=BB346_281 Depth=1
	v_bfe_u32 v0, v1, 16, 1
	v_add3_u32 v0, v1, v0, s20
                                        ; implicit-def: $vgpr1
; %bb.381:                              ;   in Loop: Header=BB346_281 Depth=1
	s_andn2_saveexec_b64 s[8:9], s[2:3]
; %bb.382:                              ;   in Loop: Header=BB346_281 Depth=1
	v_or_b32_e32 v0, 0x10000, v1
	v_cmp_eq_u32_sdwa s[2:3], v1, v27 src0_sel:WORD_0 src1_sel:DWORD
	s_nop 1
	v_cndmask_b32_e64 v0, v0, v1, s[2:3]
; %bb.383:                              ;   in Loop: Header=BB346_281 Depth=1
	s_or_b64 exec, exec, s[8:9]
	v_bfe_u32 v1, v6, 8, 8
	v_cvt_f32_fp8_sdwa v1, v1 src0_sel:BYTE_0
	s_nop 0
	v_mul_f32_e32 v8, v37, v1
	v_and_b32_e32 v1, 0x7f800000, v8
	v_cmp_ne_u32_e64 s[2:3], s17, v1
                                        ; implicit-def: $vgpr1
	s_and_saveexec_b64 s[8:9], s[2:3]
	s_xor_b64 s[2:3], exec, s[8:9]
; %bb.384:                              ;   in Loop: Header=BB346_281 Depth=1
	v_bfe_u32 v1, v8, 16, 1
	v_add3_u32 v1, v8, v1, s20
                                        ; implicit-def: $vgpr8
; %bb.385:                              ;   in Loop: Header=BB346_281 Depth=1
	s_andn2_saveexec_b64 s[8:9], s[2:3]
; %bb.386:                              ;   in Loop: Header=BB346_281 Depth=1
	v_or_b32_e32 v1, 0x10000, v8
	v_cmp_eq_u32_sdwa s[2:3], v8, v27 src0_sel:WORD_0 src1_sel:DWORD
	s_nop 1
	v_cndmask_b32_e64 v1, v1, v8, s[2:3]
; %bb.387:                              ;   in Loop: Header=BB346_281 Depth=1
	s_or_b64 exec, exec, s[8:9]
	v_bfe_u32 v8, v6, 16, 8
	v_cvt_f32_fp8_sdwa v8, v8 src0_sel:BYTE_0
	s_nop 0
	v_mul_f32_e32 v9, v37, v8
	v_and_b32_e32 v8, 0x7f800000, v9
	v_cmp_ne_u32_e64 s[2:3], s17, v8
                                        ; implicit-def: $vgpr8
	s_and_saveexec_b64 s[8:9], s[2:3]
	s_xor_b64 s[2:3], exec, s[8:9]
; %bb.388:                              ;   in Loop: Header=BB346_281 Depth=1
	v_bfe_u32 v8, v9, 16, 1
	v_add3_u32 v8, v9, v8, s20
                                        ; implicit-def: $vgpr9
; %bb.389:                              ;   in Loop: Header=BB346_281 Depth=1
	s_andn2_saveexec_b64 s[8:9], s[2:3]
; %bb.390:                              ;   in Loop: Header=BB346_281 Depth=1
	v_or_b32_e32 v8, 0x10000, v9
	v_cmp_eq_u32_sdwa s[2:3], v9, v27 src0_sel:WORD_0 src1_sel:DWORD
	s_nop 1
	v_cndmask_b32_e64 v8, v8, v9, s[2:3]
; %bb.391:                              ;   in Loop: Header=BB346_281 Depth=1
	s_or_b64 exec, exec, s[8:9]
	v_lshrrev_b32_e32 v6, 24, v6
	v_cvt_f32_fp8_sdwa v6, v6 src0_sel:BYTE_0
	s_nop 0
	v_mul_f32_e32 v6, v37, v6
	v_and_b32_e32 v9, 0x7f800000, v6
	v_cmp_ne_u32_e64 s[2:3], s17, v9
                                        ; implicit-def: $vgpr9
	s_and_saveexec_b64 s[8:9], s[2:3]
	s_xor_b64 s[2:3], exec, s[8:9]
; %bb.392:                              ;   in Loop: Header=BB346_281 Depth=1
	v_bfe_u32 v9, v6, 16, 1
	v_add3_u32 v9, v6, v9, s20
                                        ; implicit-def: $vgpr6
; %bb.393:                              ;   in Loop: Header=BB346_281 Depth=1
	s_andn2_saveexec_b64 s[8:9], s[2:3]
; %bb.394:                              ;   in Loop: Header=BB346_281 Depth=1
	v_or_b32_e32 v9, 0x10000, v6
	v_cmp_eq_u32_sdwa s[2:3], v6, v27 src0_sel:WORD_0 src1_sel:DWORD
	s_nop 1
	v_cndmask_b32_e64 v9, v9, v6, s[2:3]
; %bb.395:                              ;   in Loop: Header=BB346_281 Depth=1
	s_or_b64 exec, exec, s[8:9]
	v_and_b32_e32 v6, 0xff, v7
	v_cvt_f32_fp8_sdwa v6, v6 src0_sel:BYTE_0
	s_nop 0
	v_mul_f32_e32 v6, v37, v6
	v_and_b32_e32 v12, 0x7f800000, v6
	v_cmp_ne_u32_e64 s[2:3], s17, v12
                                        ; implicit-def: $vgpr12
	s_and_saveexec_b64 s[8:9], s[2:3]
	s_xor_b64 s[2:3], exec, s[8:9]
; %bb.396:                              ;   in Loop: Header=BB346_281 Depth=1
	v_bfe_u32 v12, v6, 16, 1
	v_add3_u32 v12, v6, v12, s20
                                        ; implicit-def: $vgpr6
; %bb.397:                              ;   in Loop: Header=BB346_281 Depth=1
	s_andn2_saveexec_b64 s[8:9], s[2:3]
; %bb.398:                              ;   in Loop: Header=BB346_281 Depth=1
	v_or_b32_e32 v12, 0x10000, v6
	v_cmp_eq_u32_sdwa s[2:3], v6, v27 src0_sel:WORD_0 src1_sel:DWORD
	s_nop 1
	v_cndmask_b32_e64 v12, v12, v6, s[2:3]
; %bb.399:                              ;   in Loop: Header=BB346_281 Depth=1
	s_or_b64 exec, exec, s[8:9]
	v_bfe_u32 v6, v7, 8, 8
	v_cvt_f32_fp8_sdwa v6, v6 src0_sel:BYTE_0
	s_nop 0
	v_mul_f32_e32 v13, v37, v6
	v_and_b32_e32 v6, 0x7f800000, v13
	v_cmp_ne_u32_e64 s[2:3], s17, v6
                                        ; implicit-def: $vgpr6
	s_and_saveexec_b64 s[8:9], s[2:3]
	s_xor_b64 s[2:3], exec, s[8:9]
; %bb.400:                              ;   in Loop: Header=BB346_281 Depth=1
	v_bfe_u32 v6, v13, 16, 1
	v_add3_u32 v6, v13, v6, s20
                                        ; implicit-def: $vgpr13
; %bb.401:                              ;   in Loop: Header=BB346_281 Depth=1
	s_andn2_saveexec_b64 s[8:9], s[2:3]
; %bb.402:                              ;   in Loop: Header=BB346_281 Depth=1
	v_or_b32_e32 v6, 0x10000, v13
	v_cmp_eq_u32_sdwa s[2:3], v13, v27 src0_sel:WORD_0 src1_sel:DWORD
	s_nop 1
	v_cndmask_b32_e64 v6, v6, v13, s[2:3]
; %bb.403:                              ;   in Loop: Header=BB346_281 Depth=1
	s_or_b64 exec, exec, s[8:9]
	v_bfe_u32 v13, v7, 16, 8
	v_cvt_f32_fp8_sdwa v13, v13 src0_sel:BYTE_0
	s_nop 0
	v_mul_f32_e32 v18, v37, v13
	v_and_b32_e32 v13, 0x7f800000, v18
	v_cmp_ne_u32_e64 s[2:3], s17, v13
                                        ; implicit-def: $vgpr13
	s_and_saveexec_b64 s[8:9], s[2:3]
	s_xor_b64 s[2:3], exec, s[8:9]
; %bb.404:                              ;   in Loop: Header=BB346_281 Depth=1
	v_bfe_u32 v13, v18, 16, 1
	v_add3_u32 v13, v18, v13, s20
                                        ; implicit-def: $vgpr18
; %bb.405:                              ;   in Loop: Header=BB346_281 Depth=1
	s_andn2_saveexec_b64 s[8:9], s[2:3]
; %bb.406:                              ;   in Loop: Header=BB346_281 Depth=1
	v_or_b32_e32 v13, 0x10000, v18
	v_cmp_eq_u32_sdwa s[2:3], v18, v27 src0_sel:WORD_0 src1_sel:DWORD
	s_nop 1
	v_cndmask_b32_e64 v13, v13, v18, s[2:3]
; %bb.407:                              ;   in Loop: Header=BB346_281 Depth=1
	s_or_b64 exec, exec, s[8:9]
	v_lshrrev_b32_e32 v7, 24, v7
	v_cvt_f32_fp8_sdwa v7, v7 src0_sel:BYTE_0
                                        ; implicit-def: $vgpr19
	s_nop 0
	v_mul_f32_e32 v7, v37, v7
	v_and_b32_e32 v18, 0x7f800000, v7
	v_cmp_ne_u32_e64 s[2:3], s17, v18
	s_and_saveexec_b64 s[8:9], s[2:3]
	s_xor_b64 s[2:3], exec, s[8:9]
; %bb.408:                              ;   in Loop: Header=BB346_281 Depth=1
	v_bfe_u32 v18, v7, 16, 1
	v_add3_u32 v19, v7, v18, s20
                                        ; implicit-def: $vgpr7
; %bb.409:                              ;   in Loop: Header=BB346_281 Depth=1
	s_andn2_saveexec_b64 s[8:9], s[2:3]
; %bb.410:                              ;   in Loop: Header=BB346_281 Depth=1
	v_or_b32_e32 v18, 0x10000, v7
	v_cmp_eq_u32_sdwa s[2:3], v7, v27 src0_sel:WORD_0 src1_sel:DWORD
	s_nop 1
	v_cndmask_b32_e64 v19, v18, v7, s[2:3]
; %bb.411:                              ;   in Loop: Header=BB346_281 Depth=1
	s_or_b64 exec, exec, s[8:9]
	v_lshrrev_b32_e32 v6, 16, v6
	v_lshrrev_b32_e32 v7, 16, v12
	v_lshrrev_b32_e32 v9, 16, v9
	v_lshrrev_b32_e32 v8, 16, v8
	v_lshrrev_b32_e32 v12, 16, v1
	v_lshrrev_b32_e32 v18, 16, v0
	v_lshrrev_b32_e32 v1, 16, v13
	v_lshrrev_b32_e32 v0, 16, v19
	s_and_saveexec_b64 s[8:9], s[0:1]
	s_cbranch_execz .LBB346_413
; %bb.412:                              ;   in Loop: Header=BB346_281 Depth=1
	v_accvgpr_read_b32 v13, a27
	v_cmp_lt_i32_e64 s[2:3], v13, v32
	v_add_u32_e32 v13, -6, v39
	s_nop 0
	v_cndmask_b32_e64 v18, 0, v18, s[2:3]
	v_cmp_lt_i32_e64 s[2:3], v13, v32
	v_add_u32_e32 v13, -5, v39
	s_nop 0
	v_cndmask_b32_e64 v12, 0, v12, s[2:3]
	;; [unrolled: 4-line block ×6, first 2 shown]
	v_cmp_lt_i32_e64 s[2:3], v13, v32
	s_nop 1
	v_cndmask_b32_e64 v1, 0, v1, s[2:3]
	v_cmp_lt_i32_e64 s[2:3], v39, v32
	s_nop 1
	v_cndmask_b32_e64 v0, 0, v0, s[2:3]
.LBB346_413:                            ;   in Loop: Header=BB346_281 Depth=1
	s_or_b64 exec, exec, s[8:9]
	v_lshlrev_b32_e32 v13, 16, v18
	v_mul_f32_e32 v13, v40, v13
	v_and_b32_e32 v18, 0x7f800000, v13
	v_cmp_ne_u32_e64 s[2:3], s17, v18
                                        ; implicit-def: $agpr28
	s_and_saveexec_b64 s[8:9], s[2:3]
	s_xor_b64 s[2:3], exec, s[8:9]
; %bb.414:                              ;   in Loop: Header=BB346_281 Depth=1
	v_bfe_u32 v18, v13, 16, 1
	v_add3_u32 v13, v13, v18, s20
	v_accvgpr_write_b32 a28, v13
                                        ; implicit-def: $vgpr13
; %bb.415:                              ;   in Loop: Header=BB346_281 Depth=1
	s_andn2_saveexec_b64 s[8:9], s[2:3]
; %bb.416:                              ;   in Loop: Header=BB346_281 Depth=1
	v_or_b32_e32 v18, 0x10000, v13
	v_cmp_eq_u32_sdwa s[2:3], v13, v27 src0_sel:WORD_0 src1_sel:DWORD
	s_nop 1
	v_cndmask_b32_e64 v13, v18, v13, s[2:3]
	v_accvgpr_write_b32 a28, v13
; %bb.417:                              ;   in Loop: Header=BB346_281 Depth=1
	s_or_b64 exec, exec, s[8:9]
	v_lshlrev_b32_e32 v12, 16, v12
	v_mul_f32_e32 v12, v41, v12
	v_and_b32_e32 v13, 0x7f800000, v12
	v_cmp_ne_u32_e64 s[2:3], s17, v13
                                        ; implicit-def: $agpr29
	s_and_saveexec_b64 s[8:9], s[2:3]
	s_xor_b64 s[2:3], exec, s[8:9]
; %bb.418:                              ;   in Loop: Header=BB346_281 Depth=1
	v_bfe_u32 v13, v12, 16, 1
	v_add3_u32 v12, v12, v13, s20
	v_accvgpr_write_b32 a29, v12
                                        ; implicit-def: $vgpr12
; %bb.419:                              ;   in Loop: Header=BB346_281 Depth=1
	s_andn2_saveexec_b64 s[8:9], s[2:3]
; %bb.420:                              ;   in Loop: Header=BB346_281 Depth=1
	v_or_b32_e32 v13, 0x10000, v12
	v_cmp_eq_u32_sdwa s[2:3], v12, v27 src0_sel:WORD_0 src1_sel:DWORD
	s_nop 1
	v_cndmask_b32_e64 v12, v13, v12, s[2:3]
	v_accvgpr_write_b32 a29, v12
; %bb.421:                              ;   in Loop: Header=BB346_281 Depth=1
	s_or_b64 exec, exec, s[8:9]
	v_lshlrev_b32_e32 v8, 16, v8
	v_mul_f32_e32 v8, v42, v8
	v_and_b32_e32 v12, 0x7f800000, v8
	v_cmp_ne_u32_e64 s[2:3], s17, v12
                                        ; implicit-def: $agpr30
	s_and_saveexec_b64 s[8:9], s[2:3]
	s_xor_b64 s[2:3], exec, s[8:9]
; %bb.422:                              ;   in Loop: Header=BB346_281 Depth=1
	v_bfe_u32 v12, v8, 16, 1
	v_add3_u32 v8, v8, v12, s20
	v_accvgpr_write_b32 a30, v8
                                        ; implicit-def: $vgpr8
; %bb.423:                              ;   in Loop: Header=BB346_281 Depth=1
	s_andn2_saveexec_b64 s[8:9], s[2:3]
; %bb.424:                              ;   in Loop: Header=BB346_281 Depth=1
	v_or_b32_e32 v12, 0x10000, v8
	v_cmp_eq_u32_sdwa s[2:3], v8, v27 src0_sel:WORD_0 src1_sel:DWORD
	s_nop 1
	v_cndmask_b32_e64 v8, v12, v8, s[2:3]
	v_accvgpr_write_b32 a30, v8
; %bb.425:                              ;   in Loop: Header=BB346_281 Depth=1
	s_or_b64 exec, exec, s[8:9]
	v_lshlrev_b32_e32 v8, 16, v9
	v_mul_f32_e32 v8, v43, v8
	v_and_b32_e32 v9, 0x7f800000, v8
	v_cmp_ne_u32_e64 s[2:3], s17, v9
                                        ; implicit-def: $agpr31
	s_and_saveexec_b64 s[8:9], s[2:3]
	s_xor_b64 s[2:3], exec, s[8:9]
; %bb.426:                              ;   in Loop: Header=BB346_281 Depth=1
	v_bfe_u32 v9, v8, 16, 1
	v_add3_u32 v8, v8, v9, s20
	v_accvgpr_write_b32 a31, v8
                                        ; implicit-def: $vgpr8
; %bb.427:                              ;   in Loop: Header=BB346_281 Depth=1
	s_andn2_saveexec_b64 s[8:9], s[2:3]
; %bb.428:                              ;   in Loop: Header=BB346_281 Depth=1
	v_or_b32_e32 v9, 0x10000, v8
	v_cmp_eq_u32_sdwa s[2:3], v8, v27 src0_sel:WORD_0 src1_sel:DWORD
	s_nop 1
	v_cndmask_b32_e64 v8, v9, v8, s[2:3]
	v_accvgpr_write_b32 a31, v8
; %bb.429:                              ;   in Loop: Header=BB346_281 Depth=1
	s_or_b64 exec, exec, s[8:9]
	v_lshlrev_b32_e32 v7, 16, v7
	v_mul_f32_e32 v7, v44, v7
	v_and_b32_e32 v8, 0x7f800000, v7
	v_cmp_ne_u32_e64 s[2:3], s17, v8
                                        ; implicit-def: $agpr32
	s_and_saveexec_b64 s[8:9], s[2:3]
	s_xor_b64 s[2:3], exec, s[8:9]
; %bb.430:                              ;   in Loop: Header=BB346_281 Depth=1
	v_bfe_u32 v8, v7, 16, 1
	v_add3_u32 v7, v7, v8, s20
	v_accvgpr_write_b32 a32, v7
                                        ; implicit-def: $vgpr7
; %bb.431:                              ;   in Loop: Header=BB346_281 Depth=1
	s_andn2_saveexec_b64 s[8:9], s[2:3]
; %bb.432:                              ;   in Loop: Header=BB346_281 Depth=1
	v_or_b32_e32 v8, 0x10000, v7
	v_cmp_eq_u32_sdwa s[2:3], v7, v27 src0_sel:WORD_0 src1_sel:DWORD
	s_nop 1
	v_cndmask_b32_e64 v7, v8, v7, s[2:3]
	v_accvgpr_write_b32 a32, v7
; %bb.433:                              ;   in Loop: Header=BB346_281 Depth=1
	s_or_b64 exec, exec, s[8:9]
	v_lshlrev_b32_e32 v6, 16, v6
	v_mul_f32_e32 v6, v45, v6
	v_and_b32_e32 v7, 0x7f800000, v6
	v_cmp_ne_u32_e64 s[2:3], s17, v7
                                        ; implicit-def: $agpr33
	s_and_saveexec_b64 s[8:9], s[2:3]
	s_xor_b64 s[2:3], exec, s[8:9]
; %bb.434:                              ;   in Loop: Header=BB346_281 Depth=1
	v_bfe_u32 v7, v6, 16, 1
	v_add3_u32 v6, v6, v7, s20
	v_accvgpr_write_b32 a33, v6
                                        ; implicit-def: $vgpr6
; %bb.435:                              ;   in Loop: Header=BB346_281 Depth=1
	s_andn2_saveexec_b64 s[8:9], s[2:3]
; %bb.436:                              ;   in Loop: Header=BB346_281 Depth=1
	v_or_b32_e32 v7, 0x10000, v6
	v_cmp_eq_u32_sdwa s[2:3], v6, v27 src0_sel:WORD_0 src1_sel:DWORD
	s_nop 1
	v_cndmask_b32_e64 v6, v7, v6, s[2:3]
	v_accvgpr_write_b32 a33, v6
; %bb.437:                              ;   in Loop: Header=BB346_281 Depth=1
	s_or_b64 exec, exec, s[8:9]
	v_lshlrev_b32_e32 v1, 16, v1
	v_mul_f32_e32 v1, v46, v1
	v_and_b32_e32 v6, 0x7f800000, v1
	v_cmp_ne_u32_e64 s[2:3], s17, v6
                                        ; implicit-def: $agpr34
	s_and_saveexec_b64 s[8:9], s[2:3]
	s_xor_b64 s[2:3], exec, s[8:9]
; %bb.438:                              ;   in Loop: Header=BB346_281 Depth=1
	v_bfe_u32 v6, v1, 16, 1
	v_add3_u32 v1, v1, v6, s20
	v_accvgpr_write_b32 a34, v1
                                        ; implicit-def: $vgpr1
; %bb.439:                              ;   in Loop: Header=BB346_281 Depth=1
	s_andn2_saveexec_b64 s[8:9], s[2:3]
; %bb.440:                              ;   in Loop: Header=BB346_281 Depth=1
	v_or_b32_e32 v6, 0x10000, v1
	v_cmp_eq_u32_sdwa s[2:3], v1, v27 src0_sel:WORD_0 src1_sel:DWORD
	s_nop 1
	v_cndmask_b32_e64 v1, v6, v1, s[2:3]
	v_accvgpr_write_b32 a34, v1
; %bb.441:                              ;   in Loop: Header=BB346_281 Depth=1
	s_or_b64 exec, exec, s[8:9]
	v_lshlrev_b32_e32 v0, 16, v0
	v_mul_f32_e32 v0, v47, v0
	v_and_b32_e32 v1, 0x7f800000, v0
	v_cmp_ne_u32_e64 s[2:3], s17, v1
                                        ; implicit-def: $agpr35
	s_and_saveexec_b64 s[8:9], s[2:3]
	s_xor_b64 s[2:3], exec, s[8:9]
; %bb.442:                              ;   in Loop: Header=BB346_281 Depth=1
	v_bfe_u32 v1, v0, 16, 1
	v_add3_u32 v0, v0, v1, s20
	v_accvgpr_write_b32 a35, v0
                                        ; implicit-def: $vgpr0
; %bb.443:                              ;   in Loop: Header=BB346_281 Depth=1
	s_andn2_saveexec_b64 s[8:9], s[2:3]
; %bb.444:                              ;   in Loop: Header=BB346_281 Depth=1
	v_or_b32_e32 v1, 0x10000, v0
	v_cmp_eq_u32_sdwa s[2:3], v0, v27 src0_sel:WORD_0 src1_sel:DWORD
	s_nop 1
	v_cndmask_b32_e64 v0, v1, v0, s[2:3]
	v_accvgpr_write_b32 a35, v0
; %bb.445:                              ;   in Loop: Header=BB346_281 Depth=1
	s_or_b64 exec, exec, s[8:9]
	flat_load_dwordx2 v[6:7], v[4:5] offset:1024
	s_waitcnt vmcnt(0) lgkmcnt(0)
	v_and_b32_e32 v0, 0xff, v6
	v_cvt_f32_fp8_sdwa v0, v0 src0_sel:BYTE_0
	s_nop 0
	v_mul_f32_e32 v1, v37, v0
	v_and_b32_e32 v0, 0x7f800000, v1
	v_cmp_ne_u32_e64 s[2:3], s17, v0
                                        ; implicit-def: $vgpr0
	s_and_saveexec_b64 s[8:9], s[2:3]
	s_xor_b64 s[2:3], exec, s[8:9]
; %bb.446:                              ;   in Loop: Header=BB346_281 Depth=1
	v_bfe_u32 v0, v1, 16, 1
	v_add3_u32 v0, v1, v0, s20
                                        ; implicit-def: $vgpr1
; %bb.447:                              ;   in Loop: Header=BB346_281 Depth=1
	s_andn2_saveexec_b64 s[8:9], s[2:3]
; %bb.448:                              ;   in Loop: Header=BB346_281 Depth=1
	v_or_b32_e32 v0, 0x10000, v1
	v_cmp_eq_u32_sdwa s[2:3], v1, v27 src0_sel:WORD_0 src1_sel:DWORD
	s_nop 1
	v_cndmask_b32_e64 v0, v0, v1, s[2:3]
; %bb.449:                              ;   in Loop: Header=BB346_281 Depth=1
	s_or_b64 exec, exec, s[8:9]
	v_bfe_u32 v1, v6, 8, 8
	v_cvt_f32_fp8_sdwa v1, v1 src0_sel:BYTE_0
	s_nop 0
	v_mul_f32_e32 v8, v37, v1
	v_and_b32_e32 v1, 0x7f800000, v8
	v_cmp_ne_u32_e64 s[2:3], s17, v1
                                        ; implicit-def: $vgpr1
	s_and_saveexec_b64 s[8:9], s[2:3]
	s_xor_b64 s[2:3], exec, s[8:9]
; %bb.450:                              ;   in Loop: Header=BB346_281 Depth=1
	v_bfe_u32 v1, v8, 16, 1
	v_add3_u32 v1, v8, v1, s20
                                        ; implicit-def: $vgpr8
; %bb.451:                              ;   in Loop: Header=BB346_281 Depth=1
	s_andn2_saveexec_b64 s[8:9], s[2:3]
; %bb.452:                              ;   in Loop: Header=BB346_281 Depth=1
	v_or_b32_e32 v1, 0x10000, v8
	v_cmp_eq_u32_sdwa s[2:3], v8, v27 src0_sel:WORD_0 src1_sel:DWORD
	s_nop 1
	v_cndmask_b32_e64 v1, v1, v8, s[2:3]
; %bb.453:                              ;   in Loop: Header=BB346_281 Depth=1
	s_or_b64 exec, exec, s[8:9]
	v_bfe_u32 v8, v6, 16, 8
	v_cvt_f32_fp8_sdwa v8, v8 src0_sel:BYTE_0
	s_nop 0
	v_mul_f32_e32 v9, v37, v8
	v_and_b32_e32 v8, 0x7f800000, v9
	v_cmp_ne_u32_e64 s[2:3], s17, v8
                                        ; implicit-def: $vgpr8
	s_and_saveexec_b64 s[8:9], s[2:3]
	s_xor_b64 s[2:3], exec, s[8:9]
; %bb.454:                              ;   in Loop: Header=BB346_281 Depth=1
	v_bfe_u32 v8, v9, 16, 1
	v_add3_u32 v8, v9, v8, s20
                                        ; implicit-def: $vgpr9
; %bb.455:                              ;   in Loop: Header=BB346_281 Depth=1
	s_andn2_saveexec_b64 s[8:9], s[2:3]
; %bb.456:                              ;   in Loop: Header=BB346_281 Depth=1
	v_or_b32_e32 v8, 0x10000, v9
	v_cmp_eq_u32_sdwa s[2:3], v9, v27 src0_sel:WORD_0 src1_sel:DWORD
	s_nop 1
	v_cndmask_b32_e64 v8, v8, v9, s[2:3]
; %bb.457:                              ;   in Loop: Header=BB346_281 Depth=1
	s_or_b64 exec, exec, s[8:9]
	v_lshrrev_b32_e32 v6, 24, v6
	v_cvt_f32_fp8_sdwa v6, v6 src0_sel:BYTE_0
	s_nop 0
	v_mul_f32_e32 v9, v37, v6
	v_and_b32_e32 v6, 0x7f800000, v9
	v_cmp_ne_u32_e64 s[2:3], s17, v6
                                        ; implicit-def: $vgpr6
	s_and_saveexec_b64 s[8:9], s[2:3]
	s_xor_b64 s[2:3], exec, s[8:9]
; %bb.458:                              ;   in Loop: Header=BB346_281 Depth=1
	v_bfe_u32 v6, v9, 16, 1
	v_add3_u32 v6, v9, v6, s20
                                        ; implicit-def: $vgpr9
; %bb.459:                              ;   in Loop: Header=BB346_281 Depth=1
	s_andn2_saveexec_b64 s[8:9], s[2:3]
; %bb.460:                              ;   in Loop: Header=BB346_281 Depth=1
	v_or_b32_e32 v6, 0x10000, v9
	v_cmp_eq_u32_sdwa s[2:3], v9, v27 src0_sel:WORD_0 src1_sel:DWORD
	s_nop 1
	v_cndmask_b32_e64 v6, v6, v9, s[2:3]
; %bb.461:                              ;   in Loop: Header=BB346_281 Depth=1
	s_or_b64 exec, exec, s[8:9]
	v_and_b32_e32 v9, 0xff, v7
	v_cvt_f32_fp8_sdwa v9, v9 src0_sel:BYTE_0
	s_nop 0
	v_mul_f32_e32 v12, v37, v9
	v_and_b32_e32 v9, 0x7f800000, v12
	v_cmp_ne_u32_e64 s[2:3], s17, v9
                                        ; implicit-def: $vgpr9
	s_and_saveexec_b64 s[8:9], s[2:3]
	s_xor_b64 s[2:3], exec, s[8:9]
; %bb.462:                              ;   in Loop: Header=BB346_281 Depth=1
	v_bfe_u32 v9, v12, 16, 1
	v_add3_u32 v9, v12, v9, s20
                                        ; implicit-def: $vgpr12
; %bb.463:                              ;   in Loop: Header=BB346_281 Depth=1
	s_andn2_saveexec_b64 s[8:9], s[2:3]
; %bb.464:                              ;   in Loop: Header=BB346_281 Depth=1
	v_or_b32_e32 v9, 0x10000, v12
	v_cmp_eq_u32_sdwa s[2:3], v12, v27 src0_sel:WORD_0 src1_sel:DWORD
	s_nop 1
	v_cndmask_b32_e64 v9, v9, v12, s[2:3]
; %bb.465:                              ;   in Loop: Header=BB346_281 Depth=1
	s_or_b64 exec, exec, s[8:9]
	v_bfe_u32 v12, v7, 8, 8
	v_cvt_f32_fp8_sdwa v12, v12 src0_sel:BYTE_0
	s_nop 0
	v_mul_f32_e32 v13, v37, v12
	v_and_b32_e32 v12, 0x7f800000, v13
	v_cmp_ne_u32_e64 s[2:3], s17, v12
                                        ; implicit-def: $vgpr12
	s_and_saveexec_b64 s[8:9], s[2:3]
	s_xor_b64 s[2:3], exec, s[8:9]
; %bb.466:                              ;   in Loop: Header=BB346_281 Depth=1
	v_bfe_u32 v12, v13, 16, 1
	v_add3_u32 v12, v13, v12, s20
                                        ; implicit-def: $vgpr13
; %bb.467:                              ;   in Loop: Header=BB346_281 Depth=1
	s_andn2_saveexec_b64 s[8:9], s[2:3]
; %bb.468:                              ;   in Loop: Header=BB346_281 Depth=1
	v_or_b32_e32 v12, 0x10000, v13
	v_cmp_eq_u32_sdwa s[2:3], v13, v27 src0_sel:WORD_0 src1_sel:DWORD
	s_nop 1
	v_cndmask_b32_e64 v12, v12, v13, s[2:3]
; %bb.469:                              ;   in Loop: Header=BB346_281 Depth=1
	s_or_b64 exec, exec, s[8:9]
	v_bfe_u32 v13, v7, 16, 8
	v_cvt_f32_fp8_sdwa v13, v13 src0_sel:BYTE_0
	s_nop 0
	v_mul_f32_e32 v13, v37, v13
	v_and_b32_e32 v18, 0x7f800000, v13
	v_cmp_ne_u32_e64 s[2:3], s17, v18
                                        ; implicit-def: $vgpr18
	s_and_saveexec_b64 s[8:9], s[2:3]
	s_xor_b64 s[2:3], exec, s[8:9]
; %bb.470:                              ;   in Loop: Header=BB346_281 Depth=1
	v_bfe_u32 v18, v13, 16, 1
	v_add3_u32 v18, v13, v18, s20
                                        ; implicit-def: $vgpr13
; %bb.471:                              ;   in Loop: Header=BB346_281 Depth=1
	s_andn2_saveexec_b64 s[8:9], s[2:3]
; %bb.472:                              ;   in Loop: Header=BB346_281 Depth=1
	v_or_b32_e32 v18, 0x10000, v13
	v_cmp_eq_u32_sdwa s[2:3], v13, v27 src0_sel:WORD_0 src1_sel:DWORD
	s_nop 1
	v_cndmask_b32_e64 v18, v18, v13, s[2:3]
; %bb.473:                              ;   in Loop: Header=BB346_281 Depth=1
	s_or_b64 exec, exec, s[8:9]
	v_lshrrev_b32_e32 v7, 24, v7
	v_cvt_f32_fp8_sdwa v7, v7 src0_sel:BYTE_0
                                        ; implicit-def: $vgpr19
	s_nop 0
	v_mul_f32_e32 v7, v37, v7
	v_and_b32_e32 v13, 0x7f800000, v7
	v_cmp_ne_u32_e64 s[2:3], s17, v13
	s_and_saveexec_b64 s[8:9], s[2:3]
	s_xor_b64 s[2:3], exec, s[8:9]
; %bb.474:                              ;   in Loop: Header=BB346_281 Depth=1
	v_bfe_u32 v13, v7, 16, 1
	v_add3_u32 v19, v7, v13, s20
                                        ; implicit-def: $vgpr7
; %bb.475:                              ;   in Loop: Header=BB346_281 Depth=1
	s_andn2_saveexec_b64 s[8:9], s[2:3]
; %bb.476:                              ;   in Loop: Header=BB346_281 Depth=1
	v_or_b32_e32 v13, 0x10000, v7
	v_cmp_eq_u32_sdwa s[2:3], v7, v27 src0_sel:WORD_0 src1_sel:DWORD
	s_nop 1
	v_cndmask_b32_e64 v19, v13, v7, s[2:3]
; %bb.477:                              ;   in Loop: Header=BB346_281 Depth=1
	s_or_b64 exec, exec, s[8:9]
	v_lshrrev_b32_e32 v7, 16, v12
	v_lshrrev_b32_e32 v9, 16, v9
	;; [unrolled: 1-line block ×8, first 2 shown]
	s_and_saveexec_b64 s[8:9], s[0:1]
	s_cbranch_execz .LBB346_479
; %bb.478:                              ;   in Loop: Header=BB346_281 Depth=1
	v_accvgpr_read_b32 v18, a27
	v_cmp_lt_i32_e64 s[2:3], v18, v32
	v_add_u32_e32 v18, -6, v39
	s_nop 0
	v_cndmask_b32_e64 v0, 0, v0, s[2:3]
	v_cmp_lt_i32_e64 s[2:3], v18, v32
	v_add_u32_e32 v18, -5, v39
	s_nop 0
	v_cndmask_b32_e64 v13, 0, v13, s[2:3]
	;; [unrolled: 4-line block ×6, first 2 shown]
	v_cmp_lt_i32_e64 s[2:3], v18, v32
	s_nop 1
	v_cndmask_b32_e64 v1, 0, v1, s[2:3]
	v_cmp_lt_i32_e64 s[2:3], v39, v32
	s_nop 1
	v_cndmask_b32_e64 v6, 0, v6, s[2:3]
.LBB346_479:                            ;   in Loop: Header=BB346_281 Depth=1
	s_or_b64 exec, exec, s[8:9]
	v_lshlrev_b32_e32 v0, 16, v0
	v_mul_f32_e32 v0, v40, v0
	v_and_b32_e32 v18, 0x7f800000, v0
	v_cmp_ne_u32_e64 s[2:3], s17, v18
                                        ; implicit-def: $agpr36
	s_and_saveexec_b64 s[8:9], s[2:3]
	s_xor_b64 s[2:3], exec, s[8:9]
; %bb.480:                              ;   in Loop: Header=BB346_281 Depth=1
	v_bfe_u32 v18, v0, 16, 1
	v_add3_u32 v0, v0, v18, s20
	v_accvgpr_write_b32 a36, v0
                                        ; implicit-def: $vgpr0
; %bb.481:                              ;   in Loop: Header=BB346_281 Depth=1
	s_andn2_saveexec_b64 s[8:9], s[2:3]
; %bb.482:                              ;   in Loop: Header=BB346_281 Depth=1
	v_or_b32_e32 v18, 0x10000, v0
	v_cmp_eq_u32_sdwa s[2:3], v0, v27 src0_sel:WORD_0 src1_sel:DWORD
	s_nop 1
	v_cndmask_b32_e64 v0, v18, v0, s[2:3]
	v_accvgpr_write_b32 a36, v0
; %bb.483:                              ;   in Loop: Header=BB346_281 Depth=1
	s_or_b64 exec, exec, s[8:9]
	v_lshlrev_b32_e32 v0, 16, v13
	v_mul_f32_e32 v0, v41, v0
	v_and_b32_e32 v13, 0x7f800000, v0
	v_cmp_ne_u32_e64 s[2:3], s17, v13
                                        ; implicit-def: $agpr37
	s_and_saveexec_b64 s[8:9], s[2:3]
	s_xor_b64 s[2:3], exec, s[8:9]
; %bb.484:                              ;   in Loop: Header=BB346_281 Depth=1
	v_bfe_u32 v13, v0, 16, 1
	v_add3_u32 v0, v0, v13, s20
	v_accvgpr_write_b32 a37, v0
                                        ; implicit-def: $vgpr0
; %bb.485:                              ;   in Loop: Header=BB346_281 Depth=1
	s_andn2_saveexec_b64 s[8:9], s[2:3]
; %bb.486:                              ;   in Loop: Header=BB346_281 Depth=1
	v_or_b32_e32 v13, 0x10000, v0
	v_cmp_eq_u32_sdwa s[2:3], v0, v27 src0_sel:WORD_0 src1_sel:DWORD
	s_nop 1
	v_cndmask_b32_e64 v0, v13, v0, s[2:3]
	v_accvgpr_write_b32 a37, v0
; %bb.487:                              ;   in Loop: Header=BB346_281 Depth=1
	s_or_b64 exec, exec, s[8:9]
	v_lshlrev_b32_e32 v0, 16, v8
	v_mul_f32_e32 v0, v42, v0
	v_and_b32_e32 v8, 0x7f800000, v0
	v_cmp_ne_u32_e64 s[2:3], s17, v8
                                        ; implicit-def: $agpr38
	s_and_saveexec_b64 s[8:9], s[2:3]
	s_xor_b64 s[2:3], exec, s[8:9]
; %bb.488:                              ;   in Loop: Header=BB346_281 Depth=1
	v_bfe_u32 v8, v0, 16, 1
	v_add3_u32 v0, v0, v8, s20
	v_accvgpr_write_b32 a38, v0
                                        ; implicit-def: $vgpr0
; %bb.489:                              ;   in Loop: Header=BB346_281 Depth=1
	s_andn2_saveexec_b64 s[8:9], s[2:3]
; %bb.490:                              ;   in Loop: Header=BB346_281 Depth=1
	v_or_b32_e32 v8, 0x10000, v0
	v_cmp_eq_u32_sdwa s[2:3], v0, v27 src0_sel:WORD_0 src1_sel:DWORD
	s_nop 1
	v_cndmask_b32_e64 v0, v8, v0, s[2:3]
	v_accvgpr_write_b32 a38, v0
; %bb.491:                              ;   in Loop: Header=BB346_281 Depth=1
	s_or_b64 exec, exec, s[8:9]
	v_lshlrev_b32_e32 v0, 16, v12
	v_mul_f32_e32 v0, v43, v0
	v_and_b32_e32 v8, 0x7f800000, v0
	v_cmp_ne_u32_e64 s[2:3], s17, v8
                                        ; implicit-def: $agpr39
	s_and_saveexec_b64 s[8:9], s[2:3]
	s_xor_b64 s[2:3], exec, s[8:9]
; %bb.492:                              ;   in Loop: Header=BB346_281 Depth=1
	v_bfe_u32 v8, v0, 16, 1
	v_add3_u32 v0, v0, v8, s20
	v_accvgpr_write_b32 a39, v0
                                        ; implicit-def: $vgpr0
; %bb.493:                              ;   in Loop: Header=BB346_281 Depth=1
	s_andn2_saveexec_b64 s[8:9], s[2:3]
; %bb.494:                              ;   in Loop: Header=BB346_281 Depth=1
	v_or_b32_e32 v8, 0x10000, v0
	v_cmp_eq_u32_sdwa s[2:3], v0, v27 src0_sel:WORD_0 src1_sel:DWORD
	s_nop 1
	v_cndmask_b32_e64 v0, v8, v0, s[2:3]
	v_accvgpr_write_b32 a39, v0
; %bb.495:                              ;   in Loop: Header=BB346_281 Depth=1
	s_or_b64 exec, exec, s[8:9]
	v_lshlrev_b32_e32 v0, 16, v9
	v_mul_f32_e32 v0, v44, v0
	v_and_b32_e32 v8, 0x7f800000, v0
	v_cmp_ne_u32_e64 s[2:3], s17, v8
                                        ; implicit-def: $agpr40
	s_and_saveexec_b64 s[8:9], s[2:3]
	s_xor_b64 s[2:3], exec, s[8:9]
; %bb.496:                              ;   in Loop: Header=BB346_281 Depth=1
	v_bfe_u32 v8, v0, 16, 1
	v_add3_u32 v0, v0, v8, s20
	v_accvgpr_write_b32 a40, v0
                                        ; implicit-def: $vgpr0
; %bb.497:                              ;   in Loop: Header=BB346_281 Depth=1
	s_andn2_saveexec_b64 s[8:9], s[2:3]
; %bb.498:                              ;   in Loop: Header=BB346_281 Depth=1
	v_or_b32_e32 v8, 0x10000, v0
	v_cmp_eq_u32_sdwa s[2:3], v0, v27 src0_sel:WORD_0 src1_sel:DWORD
	s_nop 1
	v_cndmask_b32_e64 v0, v8, v0, s[2:3]
	v_accvgpr_write_b32 a40, v0
; %bb.499:                              ;   in Loop: Header=BB346_281 Depth=1
	s_or_b64 exec, exec, s[8:9]
	v_lshlrev_b32_e32 v0, 16, v7
	v_mul_f32_e32 v0, v45, v0
	v_and_b32_e32 v7, 0x7f800000, v0
	v_cmp_ne_u32_e64 s[2:3], s17, v7
                                        ; implicit-def: $agpr41
	s_and_saveexec_b64 s[8:9], s[2:3]
	s_xor_b64 s[2:3], exec, s[8:9]
; %bb.500:                              ;   in Loop: Header=BB346_281 Depth=1
	v_bfe_u32 v7, v0, 16, 1
	v_add3_u32 v0, v0, v7, s20
	v_accvgpr_write_b32 a41, v0
                                        ; implicit-def: $vgpr0
; %bb.501:                              ;   in Loop: Header=BB346_281 Depth=1
	s_andn2_saveexec_b64 s[8:9], s[2:3]
; %bb.502:                              ;   in Loop: Header=BB346_281 Depth=1
	v_or_b32_e32 v7, 0x10000, v0
	v_cmp_eq_u32_sdwa s[2:3], v0, v27 src0_sel:WORD_0 src1_sel:DWORD
	s_nop 1
	v_cndmask_b32_e64 v0, v7, v0, s[2:3]
	v_accvgpr_write_b32 a41, v0
; %bb.503:                              ;   in Loop: Header=BB346_281 Depth=1
	s_or_b64 exec, exec, s[8:9]
	v_lshlrev_b32_e32 v0, 16, v1
	v_mul_f32_e32 v0, v46, v0
	v_and_b32_e32 v1, 0x7f800000, v0
	v_cmp_ne_u32_e64 s[2:3], s17, v1
                                        ; implicit-def: $agpr42
	s_and_saveexec_b64 s[8:9], s[2:3]
	s_xor_b64 s[2:3], exec, s[8:9]
; %bb.504:                              ;   in Loop: Header=BB346_281 Depth=1
	v_bfe_u32 v1, v0, 16, 1
	v_add3_u32 v0, v0, v1, s20
	v_accvgpr_write_b32 a42, v0
                                        ; implicit-def: $vgpr0
; %bb.505:                              ;   in Loop: Header=BB346_281 Depth=1
	s_andn2_saveexec_b64 s[8:9], s[2:3]
; %bb.506:                              ;   in Loop: Header=BB346_281 Depth=1
	v_or_b32_e32 v1, 0x10000, v0
	v_cmp_eq_u32_sdwa s[2:3], v0, v27 src0_sel:WORD_0 src1_sel:DWORD
	s_nop 1
	v_cndmask_b32_e64 v0, v1, v0, s[2:3]
	v_accvgpr_write_b32 a42, v0
; %bb.507:                              ;   in Loop: Header=BB346_281 Depth=1
	s_or_b64 exec, exec, s[8:9]
	v_lshlrev_b32_e32 v0, 16, v6
	v_mul_f32_e32 v0, v47, v0
	v_and_b32_e32 v1, 0x7f800000, v0
	v_cmp_ne_u32_e64 s[2:3], s17, v1
                                        ; implicit-def: $agpr43
	s_and_saveexec_b64 s[8:9], s[2:3]
	s_xor_b64 s[2:3], exec, s[8:9]
; %bb.508:                              ;   in Loop: Header=BB346_281 Depth=1
	v_bfe_u32 v1, v0, 16, 1
	v_add3_u32 v0, v0, v1, s20
	v_accvgpr_write_b32 a43, v0
                                        ; implicit-def: $vgpr0
; %bb.509:                              ;   in Loop: Header=BB346_281 Depth=1
	s_andn2_saveexec_b64 s[8:9], s[2:3]
; %bb.510:                              ;   in Loop: Header=BB346_281 Depth=1
	v_or_b32_e32 v1, 0x10000, v0
	v_cmp_eq_u32_sdwa s[2:3], v0, v27 src0_sel:WORD_0 src1_sel:DWORD
	s_nop 1
	v_cndmask_b32_e64 v0, v1, v0, s[2:3]
	v_accvgpr_write_b32 a43, v0
; %bb.511:                              ;   in Loop: Header=BB346_281 Depth=1
	s_or_b64 exec, exec, s[8:9]
	flat_load_dwordx2 v[6:7], v[4:5] offset:1536
	s_waitcnt vmcnt(0) lgkmcnt(0)
	v_and_b32_e32 v0, 0xff, v6
	v_cvt_f32_fp8_sdwa v0, v0 src0_sel:BYTE_0
	s_nop 0
	v_mul_f32_e32 v0, v37, v0
	v_and_b32_e32 v1, 0x7f800000, v0
	v_cmp_ne_u32_e64 s[2:3], s17, v1
                                        ; implicit-def: $vgpr1
	s_and_saveexec_b64 s[8:9], s[2:3]
	s_xor_b64 s[2:3], exec, s[8:9]
; %bb.512:                              ;   in Loop: Header=BB346_281 Depth=1
	v_bfe_u32 v1, v0, 16, 1
	v_add3_u32 v1, v0, v1, s20
                                        ; implicit-def: $vgpr0
; %bb.513:                              ;   in Loop: Header=BB346_281 Depth=1
	s_andn2_saveexec_b64 s[8:9], s[2:3]
; %bb.514:                              ;   in Loop: Header=BB346_281 Depth=1
	v_or_b32_e32 v1, 0x10000, v0
	v_cmp_eq_u32_sdwa s[2:3], v0, v27 src0_sel:WORD_0 src1_sel:DWORD
	s_nop 1
	v_cndmask_b32_e64 v1, v1, v0, s[2:3]
; %bb.515:                              ;   in Loop: Header=BB346_281 Depth=1
	s_or_b64 exec, exec, s[8:9]
	v_bfe_u32 v0, v6, 8, 8
	v_cvt_f32_fp8_sdwa v0, v0 src0_sel:BYTE_0
	s_nop 0
	v_mul_f32_e32 v8, v37, v0
	v_and_b32_e32 v0, 0x7f800000, v8
	v_cmp_ne_u32_e64 s[2:3], s17, v0
                                        ; implicit-def: $vgpr0
	s_and_saveexec_b64 s[8:9], s[2:3]
	s_xor_b64 s[2:3], exec, s[8:9]
; %bb.516:                              ;   in Loop: Header=BB346_281 Depth=1
	v_bfe_u32 v0, v8, 16, 1
	v_add3_u32 v0, v8, v0, s20
                                        ; implicit-def: $vgpr8
; %bb.517:                              ;   in Loop: Header=BB346_281 Depth=1
	s_andn2_saveexec_b64 s[8:9], s[2:3]
; %bb.518:                              ;   in Loop: Header=BB346_281 Depth=1
	v_or_b32_e32 v0, 0x10000, v8
	v_cmp_eq_u32_sdwa s[2:3], v8, v27 src0_sel:WORD_0 src1_sel:DWORD
	s_nop 1
	v_cndmask_b32_e64 v0, v0, v8, s[2:3]
; %bb.519:                              ;   in Loop: Header=BB346_281 Depth=1
	s_or_b64 exec, exec, s[8:9]
	v_bfe_u32 v8, v6, 16, 8
	v_cvt_f32_fp8_sdwa v8, v8 src0_sel:BYTE_0
	s_nop 0
	v_mul_f32_e32 v9, v37, v8
	v_and_b32_e32 v8, 0x7f800000, v9
	v_cmp_ne_u32_e64 s[2:3], s17, v8
                                        ; implicit-def: $vgpr8
	s_and_saveexec_b64 s[8:9], s[2:3]
	s_xor_b64 s[2:3], exec, s[8:9]
; %bb.520:                              ;   in Loop: Header=BB346_281 Depth=1
	v_bfe_u32 v8, v9, 16, 1
	v_add3_u32 v8, v9, v8, s20
                                        ; implicit-def: $vgpr9
; %bb.521:                              ;   in Loop: Header=BB346_281 Depth=1
	s_andn2_saveexec_b64 s[8:9], s[2:3]
; %bb.522:                              ;   in Loop: Header=BB346_281 Depth=1
	v_or_b32_e32 v8, 0x10000, v9
	v_cmp_eq_u32_sdwa s[2:3], v9, v27 src0_sel:WORD_0 src1_sel:DWORD
	s_nop 1
	v_cndmask_b32_e64 v8, v8, v9, s[2:3]
; %bb.523:                              ;   in Loop: Header=BB346_281 Depth=1
	s_or_b64 exec, exec, s[8:9]
	v_lshrrev_b32_e32 v6, 24, v6
	v_cvt_f32_fp8_sdwa v6, v6 src0_sel:BYTE_0
	s_nop 0
	v_mul_f32_e32 v9, v37, v6
	v_and_b32_e32 v6, 0x7f800000, v9
	v_cmp_ne_u32_e64 s[2:3], s17, v6
                                        ; implicit-def: $vgpr6
	s_and_saveexec_b64 s[8:9], s[2:3]
	s_xor_b64 s[2:3], exec, s[8:9]
; %bb.524:                              ;   in Loop: Header=BB346_281 Depth=1
	v_bfe_u32 v6, v9, 16, 1
	v_add3_u32 v6, v9, v6, s20
                                        ; implicit-def: $vgpr9
; %bb.525:                              ;   in Loop: Header=BB346_281 Depth=1
	s_andn2_saveexec_b64 s[8:9], s[2:3]
; %bb.526:                              ;   in Loop: Header=BB346_281 Depth=1
	v_or_b32_e32 v6, 0x10000, v9
	v_cmp_eq_u32_sdwa s[2:3], v9, v27 src0_sel:WORD_0 src1_sel:DWORD
	s_nop 1
	v_cndmask_b32_e64 v6, v6, v9, s[2:3]
; %bb.527:                              ;   in Loop: Header=BB346_281 Depth=1
	s_or_b64 exec, exec, s[8:9]
	v_and_b32_e32 v9, 0xff, v7
	v_cvt_f32_fp8_sdwa v9, v9 src0_sel:BYTE_0
	s_nop 0
	v_mul_f32_e32 v12, v37, v9
	v_and_b32_e32 v9, 0x7f800000, v12
	v_cmp_ne_u32_e64 s[2:3], s17, v9
                                        ; implicit-def: $vgpr9
	s_and_saveexec_b64 s[8:9], s[2:3]
	s_xor_b64 s[2:3], exec, s[8:9]
; %bb.528:                              ;   in Loop: Header=BB346_281 Depth=1
	v_bfe_u32 v9, v12, 16, 1
	v_add3_u32 v9, v12, v9, s20
                                        ; implicit-def: $vgpr12
; %bb.529:                              ;   in Loop: Header=BB346_281 Depth=1
	s_andn2_saveexec_b64 s[8:9], s[2:3]
; %bb.530:                              ;   in Loop: Header=BB346_281 Depth=1
	v_or_b32_e32 v9, 0x10000, v12
	v_cmp_eq_u32_sdwa s[2:3], v12, v27 src0_sel:WORD_0 src1_sel:DWORD
	s_nop 1
	v_cndmask_b32_e64 v9, v9, v12, s[2:3]
; %bb.531:                              ;   in Loop: Header=BB346_281 Depth=1
	s_or_b64 exec, exec, s[8:9]
	v_bfe_u32 v12, v7, 8, 8
	v_cvt_f32_fp8_sdwa v12, v12 src0_sel:BYTE_0
	s_nop 0
	v_mul_f32_e32 v13, v37, v12
	v_and_b32_e32 v12, 0x7f800000, v13
	v_cmp_ne_u32_e64 s[2:3], s17, v12
                                        ; implicit-def: $vgpr12
	s_and_saveexec_b64 s[8:9], s[2:3]
	s_xor_b64 s[2:3], exec, s[8:9]
; %bb.532:                              ;   in Loop: Header=BB346_281 Depth=1
	v_bfe_u32 v12, v13, 16, 1
	v_add3_u32 v12, v13, v12, s20
                                        ; implicit-def: $vgpr13
; %bb.533:                              ;   in Loop: Header=BB346_281 Depth=1
	s_andn2_saveexec_b64 s[8:9], s[2:3]
; %bb.534:                              ;   in Loop: Header=BB346_281 Depth=1
	v_or_b32_e32 v12, 0x10000, v13
	v_cmp_eq_u32_sdwa s[2:3], v13, v27 src0_sel:WORD_0 src1_sel:DWORD
	s_nop 1
	v_cndmask_b32_e64 v12, v12, v13, s[2:3]
; %bb.535:                              ;   in Loop: Header=BB346_281 Depth=1
	s_or_b64 exec, exec, s[8:9]
	v_bfe_u32 v13, v7, 16, 8
	v_cvt_f32_fp8_sdwa v13, v13 src0_sel:BYTE_0
	s_nop 0
	v_mul_f32_e32 v18, v37, v13
	v_and_b32_e32 v13, 0x7f800000, v18
	v_cmp_ne_u32_e64 s[2:3], s17, v13
                                        ; implicit-def: $vgpr13
	s_and_saveexec_b64 s[8:9], s[2:3]
	s_xor_b64 s[2:3], exec, s[8:9]
; %bb.536:                              ;   in Loop: Header=BB346_281 Depth=1
	v_bfe_u32 v13, v18, 16, 1
	v_add3_u32 v13, v18, v13, s20
                                        ; implicit-def: $vgpr18
; %bb.537:                              ;   in Loop: Header=BB346_281 Depth=1
	s_andn2_saveexec_b64 s[8:9], s[2:3]
; %bb.538:                              ;   in Loop: Header=BB346_281 Depth=1
	v_or_b32_e32 v13, 0x10000, v18
	v_cmp_eq_u32_sdwa s[2:3], v18, v27 src0_sel:WORD_0 src1_sel:DWORD
	s_nop 1
	v_cndmask_b32_e64 v13, v13, v18, s[2:3]
; %bb.539:                              ;   in Loop: Header=BB346_281 Depth=1
	s_or_b64 exec, exec, s[8:9]
	v_lshrrev_b32_e32 v7, 24, v7
	v_cvt_f32_fp8_sdwa v7, v7 src0_sel:BYTE_0
                                        ; implicit-def: $vgpr19
	s_nop 0
	v_mul_f32_e32 v7, v37, v7
	v_and_b32_e32 v18, 0x7f800000, v7
	v_cmp_ne_u32_e64 s[2:3], s17, v18
	s_and_saveexec_b64 s[8:9], s[2:3]
	s_xor_b64 s[2:3], exec, s[8:9]
; %bb.540:                              ;   in Loop: Header=BB346_281 Depth=1
	v_bfe_u32 v18, v7, 16, 1
	v_add3_u32 v19, v7, v18, s20
                                        ; implicit-def: $vgpr7
; %bb.541:                              ;   in Loop: Header=BB346_281 Depth=1
	s_andn2_saveexec_b64 s[8:9], s[2:3]
; %bb.542:                              ;   in Loop: Header=BB346_281 Depth=1
	v_or_b32_e32 v18, 0x10000, v7
	v_cmp_eq_u32_sdwa s[2:3], v7, v27 src0_sel:WORD_0 src1_sel:DWORD
	s_nop 1
	v_cndmask_b32_e64 v19, v18, v7, s[2:3]
; %bb.543:                              ;   in Loop: Header=BB346_281 Depth=1
	s_or_b64 exec, exec, s[8:9]
	v_lshrrev_b32_e32 v7, 16, v12
	v_lshrrev_b32_e32 v9, 16, v9
	;; [unrolled: 1-line block ×8, first 2 shown]
	s_and_saveexec_b64 s[8:9], s[0:1]
	s_cbranch_execz .LBB346_545
; %bb.544:                              ;   in Loop: Header=BB346_281 Depth=1
	v_accvgpr_read_b32 v13, a27
	v_cmp_lt_i32_e64 s[2:3], v13, v32
	v_add_u32_e32 v13, -6, v39
	s_nop 0
	v_cndmask_b32_e64 v18, 0, v18, s[2:3]
	v_cmp_lt_i32_e64 s[2:3], v13, v32
	v_add_u32_e32 v13, -5, v39
	s_nop 0
	v_cndmask_b32_e64 v0, 0, v0, s[2:3]
	;; [unrolled: 4-line block ×6, first 2 shown]
	v_cmp_lt_i32_e64 s[2:3], v13, v32
	s_nop 1
	v_cndmask_b32_e64 v1, 0, v1, s[2:3]
	v_cmp_lt_i32_e64 s[2:3], v39, v32
	s_nop 1
	v_cndmask_b32_e64 v6, 0, v6, s[2:3]
.LBB346_545:                            ;   in Loop: Header=BB346_281 Depth=1
	s_or_b64 exec, exec, s[8:9]
	v_lshlrev_b32_e32 v13, 16, v18
	v_mul_f32_e32 v13, v40, v13
	v_and_b32_e32 v18, 0x7f800000, v13
	v_cmp_ne_u32_e64 s[2:3], s17, v18
                                        ; implicit-def: $agpr44
	s_and_saveexec_b64 s[8:9], s[2:3]
	s_xor_b64 s[2:3], exec, s[8:9]
; %bb.546:                              ;   in Loop: Header=BB346_281 Depth=1
	v_bfe_u32 v18, v13, 16, 1
	v_add3_u32 v13, v13, v18, s20
	v_accvgpr_write_b32 a44, v13
                                        ; implicit-def: $vgpr13
; %bb.547:                              ;   in Loop: Header=BB346_281 Depth=1
	s_andn2_saveexec_b64 s[8:9], s[2:3]
; %bb.548:                              ;   in Loop: Header=BB346_281 Depth=1
	v_or_b32_e32 v18, 0x10000, v13
	v_cmp_eq_u32_sdwa s[2:3], v13, v27 src0_sel:WORD_0 src1_sel:DWORD
	s_nop 1
	v_cndmask_b32_e64 v13, v18, v13, s[2:3]
	v_accvgpr_write_b32 a44, v13
; %bb.549:                              ;   in Loop: Header=BB346_281 Depth=1
	s_or_b64 exec, exec, s[8:9]
	v_lshlrev_b32_e32 v0, 16, v0
	v_mul_f32_e32 v0, v41, v0
	v_and_b32_e32 v13, 0x7f800000, v0
	v_cmp_ne_u32_e64 s[2:3], s17, v13
                                        ; implicit-def: $agpr45
	s_and_saveexec_b64 s[8:9], s[2:3]
	s_xor_b64 s[2:3], exec, s[8:9]
; %bb.550:                              ;   in Loop: Header=BB346_281 Depth=1
	v_bfe_u32 v13, v0, 16, 1
	v_add3_u32 v0, v0, v13, s20
	v_accvgpr_write_b32 a45, v0
                                        ; implicit-def: $vgpr0
; %bb.551:                              ;   in Loop: Header=BB346_281 Depth=1
	s_andn2_saveexec_b64 s[8:9], s[2:3]
; %bb.552:                              ;   in Loop: Header=BB346_281 Depth=1
	v_or_b32_e32 v13, 0x10000, v0
	v_cmp_eq_u32_sdwa s[2:3], v0, v27 src0_sel:WORD_0 src1_sel:DWORD
	s_nop 1
	v_cndmask_b32_e64 v0, v13, v0, s[2:3]
	v_accvgpr_write_b32 a45, v0
; %bb.553:                              ;   in Loop: Header=BB346_281 Depth=1
	s_or_b64 exec, exec, s[8:9]
	v_lshlrev_b32_e32 v0, 16, v8
	v_mul_f32_e32 v0, v42, v0
	v_and_b32_e32 v8, 0x7f800000, v0
	v_cmp_ne_u32_e64 s[2:3], s17, v8
                                        ; implicit-def: $vgpr28
	s_and_saveexec_b64 s[8:9], s[2:3]
	s_xor_b64 s[2:3], exec, s[8:9]
; %bb.554:                              ;   in Loop: Header=BB346_281 Depth=1
	v_bfe_u32 v8, v0, 16, 1
	v_add3_u32 v28, v0, v8, s20
                                        ; implicit-def: $vgpr0
; %bb.555:                              ;   in Loop: Header=BB346_281 Depth=1
	s_andn2_saveexec_b64 s[8:9], s[2:3]
; %bb.556:                              ;   in Loop: Header=BB346_281 Depth=1
	v_or_b32_e32 v8, 0x10000, v0
	v_cmp_eq_u32_sdwa s[2:3], v0, v27 src0_sel:WORD_0 src1_sel:DWORD
	s_nop 1
	v_cndmask_b32_e64 v28, v8, v0, s[2:3]
; %bb.557:                              ;   in Loop: Header=BB346_281 Depth=1
	s_or_b64 exec, exec, s[8:9]
	v_lshlrev_b32_e32 v0, 16, v12
	v_mul_f32_e32 v0, v43, v0
	v_and_b32_e32 v8, 0x7f800000, v0
	v_cmp_ne_u32_e64 s[2:3], s17, v8
                                        ; implicit-def: $vgpr29
	s_and_saveexec_b64 s[8:9], s[2:3]
	s_xor_b64 s[2:3], exec, s[8:9]
; %bb.558:                              ;   in Loop: Header=BB346_281 Depth=1
	v_bfe_u32 v8, v0, 16, 1
	v_add3_u32 v29, v0, v8, s20
                                        ; implicit-def: $vgpr0
; %bb.559:                              ;   in Loop: Header=BB346_281 Depth=1
	s_andn2_saveexec_b64 s[8:9], s[2:3]
; %bb.560:                              ;   in Loop: Header=BB346_281 Depth=1
	v_or_b32_e32 v8, 0x10000, v0
	v_cmp_eq_u32_sdwa s[2:3], v0, v27 src0_sel:WORD_0 src1_sel:DWORD
	s_nop 1
	v_cndmask_b32_e64 v29, v8, v0, s[2:3]
; %bb.561:                              ;   in Loop: Header=BB346_281 Depth=1
	s_or_b64 exec, exec, s[8:9]
	v_lshlrev_b32_e32 v0, 16, v9
	v_mul_f32_e32 v0, v44, v0
	v_and_b32_e32 v8, 0x7f800000, v0
	v_cmp_ne_u32_e64 s[2:3], s17, v8
                                        ; implicit-def: $vgpr31
	s_and_saveexec_b64 s[8:9], s[2:3]
	s_xor_b64 s[2:3], exec, s[8:9]
; %bb.562:                              ;   in Loop: Header=BB346_281 Depth=1
	v_bfe_u32 v8, v0, 16, 1
	v_add3_u32 v31, v0, v8, s20
                                        ; implicit-def: $vgpr0
; %bb.563:                              ;   in Loop: Header=BB346_281 Depth=1
	s_andn2_saveexec_b64 s[8:9], s[2:3]
; %bb.564:                              ;   in Loop: Header=BB346_281 Depth=1
	v_or_b32_e32 v8, 0x10000, v0
	v_cmp_eq_u32_sdwa s[2:3], v0, v27 src0_sel:WORD_0 src1_sel:DWORD
	s_nop 1
	v_cndmask_b32_e64 v31, v8, v0, s[2:3]
; %bb.565:                              ;   in Loop: Header=BB346_281 Depth=1
	s_or_b64 exec, exec, s[8:9]
	v_lshlrev_b32_e32 v0, 16, v7
	v_mul_f32_e32 v0, v45, v0
	v_and_b32_e32 v7, 0x7f800000, v0
	v_cmp_ne_u32_e64 s[2:3], s17, v7
                                        ; implicit-def: $vgpr24
	s_and_saveexec_b64 s[8:9], s[2:3]
	s_xor_b64 s[2:3], exec, s[8:9]
; %bb.566:                              ;   in Loop: Header=BB346_281 Depth=1
	v_bfe_u32 v7, v0, 16, 1
	v_add3_u32 v24, v0, v7, s20
                                        ; implicit-def: $vgpr0
; %bb.567:                              ;   in Loop: Header=BB346_281 Depth=1
	s_andn2_saveexec_b64 s[8:9], s[2:3]
; %bb.568:                              ;   in Loop: Header=BB346_281 Depth=1
	v_or_b32_e32 v7, 0x10000, v0
	v_cmp_eq_u32_sdwa s[2:3], v0, v27 src0_sel:WORD_0 src1_sel:DWORD
	s_nop 1
	v_cndmask_b32_e64 v24, v7, v0, s[2:3]
; %bb.569:                              ;   in Loop: Header=BB346_281 Depth=1
	s_or_b64 exec, exec, s[8:9]
	v_lshlrev_b32_e32 v0, 16, v1
	v_mul_f32_e32 v0, v46, v0
	v_and_b32_e32 v1, 0x7f800000, v0
	v_cmp_ne_u32_e64 s[2:3], s17, v1
                                        ; implicit-def: $vgpr25
	s_and_saveexec_b64 s[8:9], s[2:3]
	s_xor_b64 s[2:3], exec, s[8:9]
; %bb.570:                              ;   in Loop: Header=BB346_281 Depth=1
	v_bfe_u32 v1, v0, 16, 1
	v_add3_u32 v25, v0, v1, s20
                                        ; implicit-def: $vgpr0
; %bb.571:                              ;   in Loop: Header=BB346_281 Depth=1
	s_andn2_saveexec_b64 s[8:9], s[2:3]
; %bb.572:                              ;   in Loop: Header=BB346_281 Depth=1
	v_or_b32_e32 v1, 0x10000, v0
	v_cmp_eq_u32_sdwa s[2:3], v0, v27 src0_sel:WORD_0 src1_sel:DWORD
	s_nop 1
	v_cndmask_b32_e64 v25, v1, v0, s[2:3]
; %bb.573:                              ;   in Loop: Header=BB346_281 Depth=1
	s_or_b64 exec, exec, s[8:9]
	v_lshlrev_b32_e32 v0, 16, v6
	v_mul_f32_e32 v0, v47, v0
	v_and_b32_e32 v1, 0x7f800000, v0
	v_cmp_ne_u32_e64 s[2:3], s17, v1
                                        ; implicit-def: $vgpr8
	s_and_saveexec_b64 s[8:9], s[2:3]
	s_xor_b64 s[2:3], exec, s[8:9]
; %bb.574:                              ;   in Loop: Header=BB346_281 Depth=1
	v_bfe_u32 v1, v0, 16, 1
	v_add3_u32 v8, v0, v1, s20
                                        ; implicit-def: $vgpr0
; %bb.575:                              ;   in Loop: Header=BB346_281 Depth=1
	s_andn2_saveexec_b64 s[8:9], s[2:3]
; %bb.576:                              ;   in Loop: Header=BB346_281 Depth=1
	v_or_b32_e32 v1, 0x10000, v0
	v_cmp_eq_u32_sdwa s[2:3], v0, v27 src0_sel:WORD_0 src1_sel:DWORD
	s_nop 1
	v_cndmask_b32_e64 v8, v1, v0, s[2:3]
; %bb.577:                              ;   in Loop: Header=BB346_281 Depth=1
	s_or_b64 exec, exec, s[8:9]
	flat_load_dwordx2 v[6:7], v[4:5] offset:2048
	s_waitcnt vmcnt(0) lgkmcnt(0)
	v_and_b32_e32 v0, 0xff, v6
	v_cvt_f32_fp8_sdwa v0, v0 src0_sel:BYTE_0
	s_nop 0
	v_mul_f32_e32 v0, v37, v0
	v_and_b32_e32 v1, 0x7f800000, v0
	v_cmp_ne_u32_e64 s[2:3], s17, v1
                                        ; implicit-def: $vgpr1
	s_and_saveexec_b64 s[8:9], s[2:3]
	s_xor_b64 s[2:3], exec, s[8:9]
; %bb.578:                              ;   in Loop: Header=BB346_281 Depth=1
	v_bfe_u32 v1, v0, 16, 1
	v_add3_u32 v1, v0, v1, s20
                                        ; implicit-def: $vgpr0
; %bb.579:                              ;   in Loop: Header=BB346_281 Depth=1
	s_andn2_saveexec_b64 s[8:9], s[2:3]
; %bb.580:                              ;   in Loop: Header=BB346_281 Depth=1
	v_or_b32_e32 v1, 0x10000, v0
	v_cmp_eq_u32_sdwa s[2:3], v0, v27 src0_sel:WORD_0 src1_sel:DWORD
	s_nop 1
	v_cndmask_b32_e64 v1, v1, v0, s[2:3]
; %bb.581:                              ;   in Loop: Header=BB346_281 Depth=1
	s_or_b64 exec, exec, s[8:9]
	v_bfe_u32 v0, v6, 8, 8
	v_cvt_f32_fp8_sdwa v0, v0 src0_sel:BYTE_0
	s_nop 0
	v_mul_f32_e32 v9, v37, v0
	v_and_b32_e32 v0, 0x7f800000, v9
	v_cmp_ne_u32_e64 s[2:3], s17, v0
                                        ; implicit-def: $vgpr0
	s_and_saveexec_b64 s[8:9], s[2:3]
	s_xor_b64 s[2:3], exec, s[8:9]
; %bb.582:                              ;   in Loop: Header=BB346_281 Depth=1
	v_bfe_u32 v0, v9, 16, 1
	v_add3_u32 v0, v9, v0, s20
                                        ; implicit-def: $vgpr9
; %bb.583:                              ;   in Loop: Header=BB346_281 Depth=1
	s_andn2_saveexec_b64 s[8:9], s[2:3]
; %bb.584:                              ;   in Loop: Header=BB346_281 Depth=1
	v_or_b32_e32 v0, 0x10000, v9
	v_cmp_eq_u32_sdwa s[2:3], v9, v27 src0_sel:WORD_0 src1_sel:DWORD
	s_nop 1
	v_cndmask_b32_e64 v0, v0, v9, s[2:3]
; %bb.585:                              ;   in Loop: Header=BB346_281 Depth=1
	s_or_b64 exec, exec, s[8:9]
	v_bfe_u32 v9, v6, 16, 8
	v_cvt_f32_fp8_sdwa v9, v9 src0_sel:BYTE_0
	s_nop 0
	v_mul_f32_e32 v12, v37, v9
	v_and_b32_e32 v9, 0x7f800000, v12
	v_cmp_ne_u32_e64 s[2:3], s17, v9
                                        ; implicit-def: $vgpr9
	s_and_saveexec_b64 s[8:9], s[2:3]
	s_xor_b64 s[2:3], exec, s[8:9]
; %bb.586:                              ;   in Loop: Header=BB346_281 Depth=1
	v_bfe_u32 v9, v12, 16, 1
	v_add3_u32 v9, v12, v9, s20
                                        ; implicit-def: $vgpr12
; %bb.587:                              ;   in Loop: Header=BB346_281 Depth=1
	s_andn2_saveexec_b64 s[8:9], s[2:3]
; %bb.588:                              ;   in Loop: Header=BB346_281 Depth=1
	v_or_b32_e32 v9, 0x10000, v12
	v_cmp_eq_u32_sdwa s[2:3], v12, v27 src0_sel:WORD_0 src1_sel:DWORD
	s_nop 1
	v_cndmask_b32_e64 v9, v9, v12, s[2:3]
; %bb.589:                              ;   in Loop: Header=BB346_281 Depth=1
	s_or_b64 exec, exec, s[8:9]
	v_lshrrev_b32_e32 v6, 24, v6
	v_cvt_f32_fp8_sdwa v6, v6 src0_sel:BYTE_0
	s_nop 0
	v_mul_f32_e32 v12, v37, v6
	v_and_b32_e32 v6, 0x7f800000, v12
	v_cmp_ne_u32_e64 s[2:3], s17, v6
                                        ; implicit-def: $vgpr6
	s_and_saveexec_b64 s[8:9], s[2:3]
	s_xor_b64 s[2:3], exec, s[8:9]
; %bb.590:                              ;   in Loop: Header=BB346_281 Depth=1
	v_bfe_u32 v6, v12, 16, 1
	v_add3_u32 v6, v12, v6, s20
                                        ; implicit-def: $vgpr12
; %bb.591:                              ;   in Loop: Header=BB346_281 Depth=1
	s_andn2_saveexec_b64 s[8:9], s[2:3]
; %bb.592:                              ;   in Loop: Header=BB346_281 Depth=1
	v_or_b32_e32 v6, 0x10000, v12
	v_cmp_eq_u32_sdwa s[2:3], v12, v27 src0_sel:WORD_0 src1_sel:DWORD
	s_nop 1
	v_cndmask_b32_e64 v6, v6, v12, s[2:3]
; %bb.593:                              ;   in Loop: Header=BB346_281 Depth=1
	s_or_b64 exec, exec, s[8:9]
	v_and_b32_e32 v12, 0xff, v7
	v_cvt_f32_fp8_sdwa v12, v12 src0_sel:BYTE_0
	s_nop 0
	v_mul_f32_e32 v13, v37, v12
	v_and_b32_e32 v12, 0x7f800000, v13
	v_cmp_ne_u32_e64 s[2:3], s17, v12
                                        ; implicit-def: $vgpr12
	s_and_saveexec_b64 s[8:9], s[2:3]
	s_xor_b64 s[2:3], exec, s[8:9]
; %bb.594:                              ;   in Loop: Header=BB346_281 Depth=1
	v_bfe_u32 v12, v13, 16, 1
	v_add3_u32 v12, v13, v12, s20
                                        ; implicit-def: $vgpr13
; %bb.595:                              ;   in Loop: Header=BB346_281 Depth=1
	s_andn2_saveexec_b64 s[8:9], s[2:3]
; %bb.596:                              ;   in Loop: Header=BB346_281 Depth=1
	v_or_b32_e32 v12, 0x10000, v13
	v_cmp_eq_u32_sdwa s[2:3], v13, v27 src0_sel:WORD_0 src1_sel:DWORD
	s_nop 1
	v_cndmask_b32_e64 v12, v12, v13, s[2:3]
; %bb.597:                              ;   in Loop: Header=BB346_281 Depth=1
	s_or_b64 exec, exec, s[8:9]
	v_bfe_u32 v13, v7, 8, 8
	v_cvt_f32_fp8_sdwa v13, v13 src0_sel:BYTE_0
	s_nop 0
	v_mul_f32_e32 v18, v37, v13
	v_and_b32_e32 v13, 0x7f800000, v18
	v_cmp_ne_u32_e64 s[2:3], s17, v13
                                        ; implicit-def: $vgpr13
	s_and_saveexec_b64 s[8:9], s[2:3]
	s_xor_b64 s[2:3], exec, s[8:9]
; %bb.598:                              ;   in Loop: Header=BB346_281 Depth=1
	v_bfe_u32 v13, v18, 16, 1
	v_add3_u32 v13, v18, v13, s20
                                        ; implicit-def: $vgpr18
; %bb.599:                              ;   in Loop: Header=BB346_281 Depth=1
	s_andn2_saveexec_b64 s[8:9], s[2:3]
; %bb.600:                              ;   in Loop: Header=BB346_281 Depth=1
	v_or_b32_e32 v13, 0x10000, v18
	v_cmp_eq_u32_sdwa s[2:3], v18, v27 src0_sel:WORD_0 src1_sel:DWORD
	s_nop 1
	v_cndmask_b32_e64 v13, v13, v18, s[2:3]
; %bb.601:                              ;   in Loop: Header=BB346_281 Depth=1
	s_or_b64 exec, exec, s[8:9]
	v_bfe_u32 v18, v7, 16, 8
	v_cvt_f32_fp8_sdwa v18, v18 src0_sel:BYTE_0
	s_nop 0
	v_mul_f32_e32 v19, v37, v18
	v_and_b32_e32 v18, 0x7f800000, v19
	v_cmp_ne_u32_e64 s[2:3], s17, v18
                                        ; implicit-def: $vgpr18
	s_and_saveexec_b64 s[8:9], s[2:3]
	s_xor_b64 s[2:3], exec, s[8:9]
; %bb.602:                              ;   in Loop: Header=BB346_281 Depth=1
	v_bfe_u32 v18, v19, 16, 1
	v_add3_u32 v18, v19, v18, s20
                                        ; implicit-def: $vgpr19
; %bb.603:                              ;   in Loop: Header=BB346_281 Depth=1
	s_andn2_saveexec_b64 s[8:9], s[2:3]
; %bb.604:                              ;   in Loop: Header=BB346_281 Depth=1
	v_or_b32_e32 v18, 0x10000, v19
	v_cmp_eq_u32_sdwa s[2:3], v19, v27 src0_sel:WORD_0 src1_sel:DWORD
	s_nop 1
	v_cndmask_b32_e64 v18, v18, v19, s[2:3]
; %bb.605:                              ;   in Loop: Header=BB346_281 Depth=1
	s_or_b64 exec, exec, s[8:9]
	v_lshrrev_b32_e32 v7, 24, v7
	v_cvt_f32_fp8_sdwa v7, v7 src0_sel:BYTE_0
                                        ; implicit-def: $vgpr23
	s_nop 0
	v_mul_f32_e32 v7, v37, v7
	v_and_b32_e32 v19, 0x7f800000, v7
	v_cmp_ne_u32_e64 s[2:3], s17, v19
	s_and_saveexec_b64 s[8:9], s[2:3]
	s_xor_b64 s[2:3], exec, s[8:9]
; %bb.606:                              ;   in Loop: Header=BB346_281 Depth=1
	v_bfe_u32 v19, v7, 16, 1
	v_add3_u32 v23, v7, v19, s20
                                        ; implicit-def: $vgpr7
; %bb.607:                              ;   in Loop: Header=BB346_281 Depth=1
	s_andn2_saveexec_b64 s[8:9], s[2:3]
; %bb.608:                              ;   in Loop: Header=BB346_281 Depth=1
	v_or_b32_e32 v19, 0x10000, v7
	v_cmp_eq_u32_sdwa s[2:3], v7, v27 src0_sel:WORD_0 src1_sel:DWORD
	s_nop 1
	v_cndmask_b32_e64 v23, v19, v7, s[2:3]
; %bb.609:                              ;   in Loop: Header=BB346_281 Depth=1
	s_or_b64 exec, exec, s[8:9]
	v_lshrrev_b32_e32 v7, 16, v13
	v_lshrrev_b32_e32 v19, 16, v12
	;; [unrolled: 1-line block ×8, first 2 shown]
	s_and_saveexec_b64 s[8:9], s[0:1]
	s_cbranch_execz .LBB346_611
; %bb.610:                              ;   in Loop: Header=BB346_281 Depth=1
	v_accvgpr_read_b32 v18, a27
	v_cmp_lt_i32_e64 s[2:3], v18, v32
	v_add_u32_e32 v18, -6, v39
	s_nop 0
	v_cndmask_b32_e64 v9, 0, v9, s[2:3]
	v_cmp_lt_i32_e64 s[2:3], v18, v32
	v_add_u32_e32 v18, -5, v39
	s_nop 0
	v_cndmask_b32_e64 v0, 0, v0, s[2:3]
	;; [unrolled: 4-line block ×6, first 2 shown]
	v_cmp_lt_i32_e64 s[2:3], v18, v32
	s_nop 1
	v_cndmask_b32_e64 v1, 0, v1, s[2:3]
	v_cmp_lt_i32_e64 s[2:3], v39, v32
	s_nop 1
	v_cndmask_b32_e64 v6, 0, v6, s[2:3]
.LBB346_611:                            ;   in Loop: Header=BB346_281 Depth=1
	s_or_b64 exec, exec, s[8:9]
	v_lshlrev_b32_e32 v9, 16, v9
	v_mul_f32_e32 v9, v40, v9
	v_and_b32_e32 v18, 0x7f800000, v9
	v_cmp_ne_u32_e64 s[2:3], s17, v18
                                        ; implicit-def: $vgpr33
	s_and_saveexec_b64 s[8:9], s[2:3]
	s_xor_b64 s[2:3], exec, s[8:9]
; %bb.612:                              ;   in Loop: Header=BB346_281 Depth=1
	v_bfe_u32 v18, v9, 16, 1
	v_add3_u32 v33, v9, v18, s20
                                        ; implicit-def: $vgpr9
; %bb.613:                              ;   in Loop: Header=BB346_281 Depth=1
	s_andn2_saveexec_b64 s[8:9], s[2:3]
; %bb.614:                              ;   in Loop: Header=BB346_281 Depth=1
	v_or_b32_e32 v18, 0x10000, v9
	v_cmp_eq_u32_sdwa s[2:3], v9, v27 src0_sel:WORD_0 src1_sel:DWORD
	s_nop 1
	v_cndmask_b32_e64 v33, v18, v9, s[2:3]
; %bb.615:                              ;   in Loop: Header=BB346_281 Depth=1
	s_or_b64 exec, exec, s[8:9]
	v_lshlrev_b32_e32 v0, 16, v0
	v_mul_f32_e32 v0, v41, v0
	v_and_b32_e32 v9, 0x7f800000, v0
	v_cmp_ne_u32_e64 s[2:3], s17, v9
                                        ; implicit-def: $vgpr9
	s_and_saveexec_b64 s[8:9], s[2:3]
	s_xor_b64 s[2:3], exec, s[8:9]
; %bb.616:                              ;   in Loop: Header=BB346_281 Depth=1
	v_bfe_u32 v9, v0, 16, 1
	v_add3_u32 v9, v0, v9, s20
                                        ; implicit-def: $vgpr0
; %bb.617:                              ;   in Loop: Header=BB346_281 Depth=1
	s_andn2_saveexec_b64 s[8:9], s[2:3]
; %bb.618:                              ;   in Loop: Header=BB346_281 Depth=1
	v_or_b32_e32 v9, 0x10000, v0
	v_cmp_eq_u32_sdwa s[2:3], v0, v27 src0_sel:WORD_0 src1_sel:DWORD
	s_nop 1
	v_cndmask_b32_e64 v9, v9, v0, s[2:3]
; %bb.619:                              ;   in Loop: Header=BB346_281 Depth=1
	s_or_b64 exec, exec, s[8:9]
	v_lshlrev_b32_e32 v0, 16, v13
	v_mul_f32_e32 v0, v42, v0
	v_and_b32_e32 v13, 0x7f800000, v0
	v_cmp_ne_u32_e64 s[2:3], s17, v13
                                        ; implicit-def: $vgpr49
	s_and_saveexec_b64 s[8:9], s[2:3]
	s_xor_b64 s[2:3], exec, s[8:9]
; %bb.620:                              ;   in Loop: Header=BB346_281 Depth=1
	v_bfe_u32 v13, v0, 16, 1
	v_add3_u32 v49, v0, v13, s20
                                        ; implicit-def: $vgpr0
; %bb.621:                              ;   in Loop: Header=BB346_281 Depth=1
	s_andn2_saveexec_b64 s[8:9], s[2:3]
; %bb.622:                              ;   in Loop: Header=BB346_281 Depth=1
	v_or_b32_e32 v13, 0x10000, v0
	v_cmp_eq_u32_sdwa s[2:3], v0, v27 src0_sel:WORD_0 src1_sel:DWORD
	s_nop 1
	v_cndmask_b32_e64 v49, v13, v0, s[2:3]
; %bb.623:                              ;   in Loop: Header=BB346_281 Depth=1
	s_or_b64 exec, exec, s[8:9]
	v_lshlrev_b32_e32 v0, 16, v12
	v_mul_f32_e32 v0, v43, v0
	v_and_b32_e32 v12, 0x7f800000, v0
	v_cmp_ne_u32_e64 s[2:3], s17, v12
                                        ; implicit-def: $vgpr50
	s_and_saveexec_b64 s[8:9], s[2:3]
	s_xor_b64 s[2:3], exec, s[8:9]
; %bb.624:                              ;   in Loop: Header=BB346_281 Depth=1
	v_bfe_u32 v12, v0, 16, 1
	v_add3_u32 v50, v0, v12, s20
                                        ; implicit-def: $vgpr0
; %bb.625:                              ;   in Loop: Header=BB346_281 Depth=1
	s_andn2_saveexec_b64 s[8:9], s[2:3]
; %bb.626:                              ;   in Loop: Header=BB346_281 Depth=1
	v_or_b32_e32 v12, 0x10000, v0
	v_cmp_eq_u32_sdwa s[2:3], v0, v27 src0_sel:WORD_0 src1_sel:DWORD
	s_nop 1
	v_cndmask_b32_e64 v50, v12, v0, s[2:3]
; %bb.627:                              ;   in Loop: Header=BB346_281 Depth=1
	s_or_b64 exec, exec, s[8:9]
	v_lshlrev_b32_e32 v0, 16, v19
	v_mul_f32_e32 v0, v44, v0
	v_and_b32_e32 v12, 0x7f800000, v0
	v_cmp_ne_u32_e64 s[2:3], s17, v12
                                        ; implicit-def: $vgpr51
	s_and_saveexec_b64 s[8:9], s[2:3]
	s_xor_b64 s[2:3], exec, s[8:9]
; %bb.628:                              ;   in Loop: Header=BB346_281 Depth=1
	v_bfe_u32 v12, v0, 16, 1
	v_add3_u32 v51, v0, v12, s20
                                        ; implicit-def: $vgpr0
; %bb.629:                              ;   in Loop: Header=BB346_281 Depth=1
	s_andn2_saveexec_b64 s[8:9], s[2:3]
; %bb.630:                              ;   in Loop: Header=BB346_281 Depth=1
	v_or_b32_e32 v12, 0x10000, v0
	v_cmp_eq_u32_sdwa s[2:3], v0, v27 src0_sel:WORD_0 src1_sel:DWORD
	s_nop 1
	v_cndmask_b32_e64 v51, v12, v0, s[2:3]
; %bb.631:                              ;   in Loop: Header=BB346_281 Depth=1
	s_or_b64 exec, exec, s[8:9]
	v_lshlrev_b32_e32 v0, 16, v7
	v_mul_f32_e32 v0, v45, v0
	v_and_b32_e32 v7, 0x7f800000, v0
	v_cmp_ne_u32_e64 s[2:3], s17, v7
                                        ; implicit-def: $vgpr52
	s_and_saveexec_b64 s[8:9], s[2:3]
	s_xor_b64 s[2:3], exec, s[8:9]
; %bb.632:                              ;   in Loop: Header=BB346_281 Depth=1
	v_bfe_u32 v7, v0, 16, 1
	v_add3_u32 v52, v0, v7, s20
                                        ; implicit-def: $vgpr0
; %bb.633:                              ;   in Loop: Header=BB346_281 Depth=1
	s_andn2_saveexec_b64 s[8:9], s[2:3]
; %bb.634:                              ;   in Loop: Header=BB346_281 Depth=1
	v_or_b32_e32 v7, 0x10000, v0
	v_cmp_eq_u32_sdwa s[2:3], v0, v27 src0_sel:WORD_0 src1_sel:DWORD
	s_nop 1
	v_cndmask_b32_e64 v52, v7, v0, s[2:3]
; %bb.635:                              ;   in Loop: Header=BB346_281 Depth=1
	s_or_b64 exec, exec, s[8:9]
	v_lshlrev_b32_e32 v0, 16, v1
	v_mul_f32_e32 v0, v46, v0
	v_and_b32_e32 v1, 0x7f800000, v0
	v_cmp_ne_u32_e64 s[2:3], s17, v1
                                        ; implicit-def: $vgpr53
	s_and_saveexec_b64 s[8:9], s[2:3]
	s_xor_b64 s[2:3], exec, s[8:9]
; %bb.636:                              ;   in Loop: Header=BB346_281 Depth=1
	v_bfe_u32 v1, v0, 16, 1
	v_add3_u32 v53, v0, v1, s20
                                        ; implicit-def: $vgpr0
; %bb.637:                              ;   in Loop: Header=BB346_281 Depth=1
	s_andn2_saveexec_b64 s[8:9], s[2:3]
; %bb.638:                              ;   in Loop: Header=BB346_281 Depth=1
	v_or_b32_e32 v1, 0x10000, v0
	v_cmp_eq_u32_sdwa s[2:3], v0, v27 src0_sel:WORD_0 src1_sel:DWORD
	s_nop 1
	v_cndmask_b32_e64 v53, v1, v0, s[2:3]
; %bb.639:                              ;   in Loop: Header=BB346_281 Depth=1
	s_or_b64 exec, exec, s[8:9]
	v_lshlrev_b32_e32 v0, 16, v6
	v_mul_f32_e32 v0, v47, v0
	v_and_b32_e32 v1, 0x7f800000, v0
	v_cmp_ne_u32_e64 s[2:3], s17, v1
                                        ; implicit-def: $vgpr54
	s_and_saveexec_b64 s[8:9], s[2:3]
	s_xor_b64 s[2:3], exec, s[8:9]
; %bb.640:                              ;   in Loop: Header=BB346_281 Depth=1
	v_bfe_u32 v1, v0, 16, 1
	v_add3_u32 v54, v0, v1, s20
                                        ; implicit-def: $vgpr0
; %bb.641:                              ;   in Loop: Header=BB346_281 Depth=1
	s_andn2_saveexec_b64 s[8:9], s[2:3]
; %bb.642:                              ;   in Loop: Header=BB346_281 Depth=1
	v_or_b32_e32 v1, 0x10000, v0
	v_cmp_eq_u32_sdwa s[2:3], v0, v27 src0_sel:WORD_0 src1_sel:DWORD
	s_nop 1
	v_cndmask_b32_e64 v54, v1, v0, s[2:3]
; %bb.643:                              ;   in Loop: Header=BB346_281 Depth=1
	s_or_b64 exec, exec, s[8:9]
	flat_load_dwordx2 v[6:7], v[4:5] offset:2560
	s_waitcnt vmcnt(0) lgkmcnt(0)
	v_and_b32_e32 v0, 0xff, v6
	v_cvt_f32_fp8_sdwa v0, v0 src0_sel:BYTE_0
	s_nop 0
	v_mul_f32_e32 v0, v37, v0
	v_and_b32_e32 v1, 0x7f800000, v0
	v_cmp_ne_u32_e64 s[2:3], s17, v1
                                        ; implicit-def: $vgpr1
	s_and_saveexec_b64 s[8:9], s[2:3]
	s_xor_b64 s[2:3], exec, s[8:9]
; %bb.644:                              ;   in Loop: Header=BB346_281 Depth=1
	v_bfe_u32 v1, v0, 16, 1
	v_add3_u32 v1, v0, v1, s20
                                        ; implicit-def: $vgpr0
; %bb.645:                              ;   in Loop: Header=BB346_281 Depth=1
	s_andn2_saveexec_b64 s[8:9], s[2:3]
; %bb.646:                              ;   in Loop: Header=BB346_281 Depth=1
	v_or_b32_e32 v1, 0x10000, v0
	v_cmp_eq_u32_sdwa s[2:3], v0, v27 src0_sel:WORD_0 src1_sel:DWORD
	s_nop 1
	v_cndmask_b32_e64 v1, v1, v0, s[2:3]
; %bb.647:                              ;   in Loop: Header=BB346_281 Depth=1
	s_or_b64 exec, exec, s[8:9]
	v_bfe_u32 v0, v6, 8, 8
	v_cvt_f32_fp8_sdwa v0, v0 src0_sel:BYTE_0
	s_nop 0
	v_mul_f32_e32 v12, v37, v0
	v_and_b32_e32 v0, 0x7f800000, v12
	v_cmp_ne_u32_e64 s[2:3], s17, v0
                                        ; implicit-def: $vgpr0
	s_and_saveexec_b64 s[8:9], s[2:3]
	s_xor_b64 s[2:3], exec, s[8:9]
; %bb.648:                              ;   in Loop: Header=BB346_281 Depth=1
	v_bfe_u32 v0, v12, 16, 1
	v_add3_u32 v0, v12, v0, s20
                                        ; implicit-def: $vgpr12
; %bb.649:                              ;   in Loop: Header=BB346_281 Depth=1
	s_andn2_saveexec_b64 s[8:9], s[2:3]
; %bb.650:                              ;   in Loop: Header=BB346_281 Depth=1
	v_or_b32_e32 v0, 0x10000, v12
	v_cmp_eq_u32_sdwa s[2:3], v12, v27 src0_sel:WORD_0 src1_sel:DWORD
	s_nop 1
	v_cndmask_b32_e64 v0, v0, v12, s[2:3]
; %bb.651:                              ;   in Loop: Header=BB346_281 Depth=1
	s_or_b64 exec, exec, s[8:9]
	v_bfe_u32 v12, v6, 16, 8
	v_cvt_f32_fp8_sdwa v12, v12 src0_sel:BYTE_0
                                        ; implicit-def: $vgpr30
	s_nop 0
	v_mul_f32_e32 v12, v37, v12
	v_and_b32_e32 v13, 0x7f800000, v12
	v_cmp_ne_u32_e64 s[2:3], s17, v13
	s_and_saveexec_b64 s[8:9], s[2:3]
	s_xor_b64 s[2:3], exec, s[8:9]
; %bb.652:                              ;   in Loop: Header=BB346_281 Depth=1
	v_bfe_u32 v13, v12, 16, 1
	v_add3_u32 v30, v12, v13, s20
                                        ; implicit-def: $vgpr12
; %bb.653:                              ;   in Loop: Header=BB346_281 Depth=1
	s_andn2_saveexec_b64 s[8:9], s[2:3]
; %bb.654:                              ;   in Loop: Header=BB346_281 Depth=1
	v_or_b32_e32 v13, 0x10000, v12
	v_cmp_eq_u32_sdwa s[2:3], v12, v27 src0_sel:WORD_0 src1_sel:DWORD
	s_nop 1
	v_cndmask_b32_e64 v30, v13, v12, s[2:3]
; %bb.655:                              ;   in Loop: Header=BB346_281 Depth=1
	s_or_b64 exec, exec, s[8:9]
	v_lshrrev_b32_e32 v6, 24, v6
	v_cvt_f32_fp8_sdwa v6, v6 src0_sel:BYTE_0
	s_nop 0
	v_mul_f32_e32 v12, v37, v6
	v_and_b32_e32 v6, 0x7f800000, v12
	v_cmp_ne_u32_e64 s[2:3], s17, v6
                                        ; implicit-def: $vgpr6
	s_and_saveexec_b64 s[8:9], s[2:3]
	s_xor_b64 s[2:3], exec, s[8:9]
; %bb.656:                              ;   in Loop: Header=BB346_281 Depth=1
	v_bfe_u32 v6, v12, 16, 1
	v_add3_u32 v6, v12, v6, s20
                                        ; implicit-def: $vgpr12
; %bb.657:                              ;   in Loop: Header=BB346_281 Depth=1
	s_andn2_saveexec_b64 s[8:9], s[2:3]
; %bb.658:                              ;   in Loop: Header=BB346_281 Depth=1
	v_or_b32_e32 v6, 0x10000, v12
	v_cmp_eq_u32_sdwa s[2:3], v12, v27 src0_sel:WORD_0 src1_sel:DWORD
	s_nop 1
	v_cndmask_b32_e64 v6, v6, v12, s[2:3]
; %bb.659:                              ;   in Loop: Header=BB346_281 Depth=1
	s_or_b64 exec, exec, s[8:9]
	v_and_b32_e32 v12, 0xff, v7
	v_cvt_f32_fp8_sdwa v12, v12 src0_sel:BYTE_0
	s_nop 0
	v_mul_f32_e32 v13, v37, v12
	v_and_b32_e32 v12, 0x7f800000, v13
	v_cmp_ne_u32_e64 s[2:3], s17, v12
                                        ; implicit-def: $vgpr12
	s_and_saveexec_b64 s[8:9], s[2:3]
	s_xor_b64 s[2:3], exec, s[8:9]
; %bb.660:                              ;   in Loop: Header=BB346_281 Depth=1
	v_bfe_u32 v12, v13, 16, 1
	v_add3_u32 v12, v13, v12, s20
                                        ; implicit-def: $vgpr13
; %bb.661:                              ;   in Loop: Header=BB346_281 Depth=1
	s_andn2_saveexec_b64 s[8:9], s[2:3]
; %bb.662:                              ;   in Loop: Header=BB346_281 Depth=1
	v_or_b32_e32 v12, 0x10000, v13
	v_cmp_eq_u32_sdwa s[2:3], v13, v27 src0_sel:WORD_0 src1_sel:DWORD
	s_nop 1
	v_cndmask_b32_e64 v12, v12, v13, s[2:3]
; %bb.663:                              ;   in Loop: Header=BB346_281 Depth=1
	s_or_b64 exec, exec, s[8:9]
	v_bfe_u32 v13, v7, 8, 8
	v_cvt_f32_fp8_sdwa v13, v13 src0_sel:BYTE_0
	s_nop 0
	v_mul_f32_e32 v18, v37, v13
	v_and_b32_e32 v13, 0x7f800000, v18
	v_cmp_ne_u32_e64 s[2:3], s17, v13
                                        ; implicit-def: $vgpr13
	s_and_saveexec_b64 s[8:9], s[2:3]
	s_xor_b64 s[2:3], exec, s[8:9]
; %bb.664:                              ;   in Loop: Header=BB346_281 Depth=1
	v_bfe_u32 v13, v18, 16, 1
	v_add3_u32 v13, v18, v13, s20
                                        ; implicit-def: $vgpr18
; %bb.665:                              ;   in Loop: Header=BB346_281 Depth=1
	s_andn2_saveexec_b64 s[8:9], s[2:3]
; %bb.666:                              ;   in Loop: Header=BB346_281 Depth=1
	v_or_b32_e32 v13, 0x10000, v18
	v_cmp_eq_u32_sdwa s[2:3], v18, v27 src0_sel:WORD_0 src1_sel:DWORD
	s_nop 1
	v_cndmask_b32_e64 v13, v13, v18, s[2:3]
; %bb.667:                              ;   in Loop: Header=BB346_281 Depth=1
	s_or_b64 exec, exec, s[8:9]
	v_bfe_u32 v18, v7, 16, 8
	v_cvt_f32_fp8_sdwa v18, v18 src0_sel:BYTE_0
	s_nop 0
	v_mul_f32_e32 v19, v37, v18
	v_and_b32_e32 v18, 0x7f800000, v19
	v_cmp_ne_u32_e64 s[2:3], s17, v18
                                        ; implicit-def: $vgpr18
	s_and_saveexec_b64 s[8:9], s[2:3]
	s_xor_b64 s[2:3], exec, s[8:9]
; %bb.668:                              ;   in Loop: Header=BB346_281 Depth=1
	v_bfe_u32 v18, v19, 16, 1
	v_add3_u32 v18, v19, v18, s20
                                        ; implicit-def: $vgpr19
; %bb.669:                              ;   in Loop: Header=BB346_281 Depth=1
	s_andn2_saveexec_b64 s[8:9], s[2:3]
; %bb.670:                              ;   in Loop: Header=BB346_281 Depth=1
	v_or_b32_e32 v18, 0x10000, v19
	v_cmp_eq_u32_sdwa s[2:3], v19, v27 src0_sel:WORD_0 src1_sel:DWORD
	s_nop 1
	v_cndmask_b32_e64 v18, v18, v19, s[2:3]
; %bb.671:                              ;   in Loop: Header=BB346_281 Depth=1
	s_or_b64 exec, exec, s[8:9]
	v_lshrrev_b32_e32 v7, 24, v7
	v_cvt_f32_fp8_sdwa v7, v7 src0_sel:BYTE_0
	s_nop 0
	v_mul_f32_e32 v19, v37, v7
	v_and_b32_e32 v7, 0x7f800000, v19
	v_cmp_ne_u32_e64 s[2:3], s17, v7
                                        ; implicit-def: $vgpr7
	s_and_saveexec_b64 s[8:9], s[2:3]
	s_xor_b64 s[2:3], exec, s[8:9]
; %bb.672:                              ;   in Loop: Header=BB346_281 Depth=1
	v_bfe_u32 v7, v19, 16, 1
	v_add3_u32 v7, v19, v7, s20
                                        ; implicit-def: $vgpr19
; %bb.673:                              ;   in Loop: Header=BB346_281 Depth=1
	s_andn2_saveexec_b64 s[8:9], s[2:3]
; %bb.674:                              ;   in Loop: Header=BB346_281 Depth=1
	v_or_b32_e32 v7, 0x10000, v19
	v_cmp_eq_u32_sdwa s[2:3], v19, v27 src0_sel:WORD_0 src1_sel:DWORD
	s_nop 1
	v_cndmask_b32_e64 v7, v7, v19, s[2:3]
; %bb.675:                              ;   in Loop: Header=BB346_281 Depth=1
	s_or_b64 exec, exec, s[8:9]
	v_lshrrev_b32_e32 v19, 16, v13
	v_lshrrev_b32_e32 v34, 16, v12
	;; [unrolled: 1-line block ×8, first 2 shown]
	s_and_saveexec_b64 s[8:9], s[0:1]
	s_cbranch_execz .LBB346_677
; %bb.676:                              ;   in Loop: Header=BB346_281 Depth=1
	v_accvgpr_read_b32 v7, a27
	v_cmp_lt_i32_e64 s[2:3], v7, v32
	v_add_u32_e32 v7, -6, v39
	s_nop 0
	v_cndmask_b32_e64 v6, 0, v6, s[2:3]
	v_cmp_lt_i32_e64 s[2:3], v7, v32
	v_add_u32_e32 v7, -5, v39
	s_nop 0
	v_cndmask_b32_e64 v0, 0, v0, s[2:3]
	;; [unrolled: 4-line block ×6, first 2 shown]
	v_cmp_lt_i32_e64 s[2:3], v7, v32
	s_nop 1
	v_cndmask_b32_e64 v1, 0, v1, s[2:3]
	v_cmp_lt_i32_e64 s[2:3], v39, v32
	s_nop 1
	v_cndmask_b32_e64 v30, 0, v30, s[2:3]
.LBB346_677:                            ;   in Loop: Header=BB346_281 Depth=1
	s_or_b64 exec, exec, s[8:9]
	v_lshlrev_b32_e32 v6, 16, v6
	v_mul_f32_e32 v7, v40, v6
	v_and_b32_e32 v6, 0x7f800000, v7
	v_cmp_ne_u32_e64 s[2:3], s17, v6
                                        ; implicit-def: $vgpr6
	s_and_saveexec_b64 s[8:9], s[2:3]
	s_xor_b64 s[2:3], exec, s[8:9]
; %bb.678:                              ;   in Loop: Header=BB346_281 Depth=1
	v_bfe_u32 v6, v7, 16, 1
	v_add3_u32 v6, v7, v6, s20
                                        ; implicit-def: $vgpr7
; %bb.679:                              ;   in Loop: Header=BB346_281 Depth=1
	s_andn2_saveexec_b64 s[8:9], s[2:3]
; %bb.680:                              ;   in Loop: Header=BB346_281 Depth=1
	v_or_b32_e32 v6, 0x10000, v7
	v_cmp_eq_u32_sdwa s[2:3], v7, v27 src0_sel:WORD_0 src1_sel:DWORD
	s_nop 1
	v_cndmask_b32_e64 v6, v6, v7, s[2:3]
; %bb.681:                              ;   in Loop: Header=BB346_281 Depth=1
	s_or_b64 exec, exec, s[8:9]
	v_lshlrev_b32_e32 v0, 16, v0
	v_mul_f32_e32 v0, v41, v0
	v_and_b32_e32 v7, 0x7f800000, v0
	v_cmp_ne_u32_e64 s[2:3], s17, v7
                                        ; implicit-def: $vgpr7
	s_and_saveexec_b64 s[8:9], s[2:3]
	s_xor_b64 s[2:3], exec, s[8:9]
; %bb.682:                              ;   in Loop: Header=BB346_281 Depth=1
	v_bfe_u32 v7, v0, 16, 1
	v_add3_u32 v7, v0, v7, s20
                                        ; implicit-def: $vgpr0
; %bb.683:                              ;   in Loop: Header=BB346_281 Depth=1
	s_andn2_saveexec_b64 s[8:9], s[2:3]
; %bb.684:                              ;   in Loop: Header=BB346_281 Depth=1
	v_or_b32_e32 v7, 0x10000, v0
	v_cmp_eq_u32_sdwa s[2:3], v0, v27 src0_sel:WORD_0 src1_sel:DWORD
	s_nop 1
	v_cndmask_b32_e64 v7, v7, v0, s[2:3]
; %bb.685:                              ;   in Loop: Header=BB346_281 Depth=1
	s_or_b64 exec, exec, s[8:9]
	v_lshlrev_b32_e32 v0, 16, v13
	v_mul_f32_e32 v0, v42, v0
	v_and_b32_e32 v13, 0x7f800000, v0
	v_cmp_ne_u32_e64 s[2:3], s17, v13
                                        ; implicit-def: $vgpr56
	s_and_saveexec_b64 s[8:9], s[2:3]
	s_xor_b64 s[2:3], exec, s[8:9]
; %bb.686:                              ;   in Loop: Header=BB346_281 Depth=1
	v_bfe_u32 v13, v0, 16, 1
	v_add3_u32 v56, v0, v13, s20
                                        ; implicit-def: $vgpr0
; %bb.687:                              ;   in Loop: Header=BB346_281 Depth=1
	s_andn2_saveexec_b64 s[8:9], s[2:3]
; %bb.688:                              ;   in Loop: Header=BB346_281 Depth=1
	v_or_b32_e32 v13, 0x10000, v0
	v_cmp_eq_u32_sdwa s[2:3], v0, v27 src0_sel:WORD_0 src1_sel:DWORD
	s_nop 1
	v_cndmask_b32_e64 v56, v13, v0, s[2:3]
; %bb.689:                              ;   in Loop: Header=BB346_281 Depth=1
	s_or_b64 exec, exec, s[8:9]
	v_lshlrev_b32_e32 v0, 16, v12
	v_mul_f32_e32 v0, v43, v0
	v_and_b32_e32 v12, 0x7f800000, v0
	v_cmp_ne_u32_e64 s[2:3], s17, v12
                                        ; implicit-def: $vgpr57
	s_and_saveexec_b64 s[8:9], s[2:3]
	s_xor_b64 s[2:3], exec, s[8:9]
; %bb.690:                              ;   in Loop: Header=BB346_281 Depth=1
	v_bfe_u32 v12, v0, 16, 1
	v_add3_u32 v57, v0, v12, s20
                                        ; implicit-def: $vgpr0
; %bb.691:                              ;   in Loop: Header=BB346_281 Depth=1
	s_andn2_saveexec_b64 s[8:9], s[2:3]
; %bb.692:                              ;   in Loop: Header=BB346_281 Depth=1
	v_or_b32_e32 v12, 0x10000, v0
	v_cmp_eq_u32_sdwa s[2:3], v0, v27 src0_sel:WORD_0 src1_sel:DWORD
	s_nop 1
	v_cndmask_b32_e64 v57, v12, v0, s[2:3]
; %bb.693:                              ;   in Loop: Header=BB346_281 Depth=1
	s_or_b64 exec, exec, s[8:9]
	v_lshlrev_b32_e32 v0, 16, v34
	v_mul_f32_e32 v0, v44, v0
	v_and_b32_e32 v12, 0x7f800000, v0
	v_cmp_ne_u32_e64 s[2:3], s17, v12
                                        ; implicit-def: $vgpr58
	s_and_saveexec_b64 s[8:9], s[2:3]
	s_xor_b64 s[2:3], exec, s[8:9]
; %bb.694:                              ;   in Loop: Header=BB346_281 Depth=1
	v_bfe_u32 v12, v0, 16, 1
	v_add3_u32 v58, v0, v12, s20
                                        ; implicit-def: $vgpr0
; %bb.695:                              ;   in Loop: Header=BB346_281 Depth=1
	s_andn2_saveexec_b64 s[8:9], s[2:3]
; %bb.696:                              ;   in Loop: Header=BB346_281 Depth=1
	v_or_b32_e32 v12, 0x10000, v0
	v_cmp_eq_u32_sdwa s[2:3], v0, v27 src0_sel:WORD_0 src1_sel:DWORD
	s_nop 1
	v_cndmask_b32_e64 v58, v12, v0, s[2:3]
; %bb.697:                              ;   in Loop: Header=BB346_281 Depth=1
	s_or_b64 exec, exec, s[8:9]
	v_lshlrev_b32_e32 v0, 16, v19
	v_mul_f32_e32 v0, v45, v0
	v_and_b32_e32 v12, 0x7f800000, v0
	v_cmp_ne_u32_e64 s[2:3], s17, v12
                                        ; implicit-def: $vgpr59
	s_and_saveexec_b64 s[8:9], s[2:3]
	s_xor_b64 s[2:3], exec, s[8:9]
; %bb.698:                              ;   in Loop: Header=BB346_281 Depth=1
	v_bfe_u32 v12, v0, 16, 1
	v_add3_u32 v59, v0, v12, s20
                                        ; implicit-def: $vgpr0
; %bb.699:                              ;   in Loop: Header=BB346_281 Depth=1
	s_andn2_saveexec_b64 s[8:9], s[2:3]
; %bb.700:                              ;   in Loop: Header=BB346_281 Depth=1
	v_or_b32_e32 v12, 0x10000, v0
	v_cmp_eq_u32_sdwa s[2:3], v0, v27 src0_sel:WORD_0 src1_sel:DWORD
	s_nop 1
	v_cndmask_b32_e64 v59, v12, v0, s[2:3]
; %bb.701:                              ;   in Loop: Header=BB346_281 Depth=1
	s_or_b64 exec, exec, s[8:9]
	v_lshlrev_b32_e32 v0, 16, v1
	v_mul_f32_e32 v0, v46, v0
	v_and_b32_e32 v1, 0x7f800000, v0
	v_cmp_ne_u32_e64 s[2:3], s17, v1
                                        ; implicit-def: $vgpr60
	s_and_saveexec_b64 s[8:9], s[2:3]
	s_xor_b64 s[2:3], exec, s[8:9]
; %bb.702:                              ;   in Loop: Header=BB346_281 Depth=1
	v_bfe_u32 v1, v0, 16, 1
	v_add3_u32 v60, v0, v1, s20
                                        ; implicit-def: $vgpr0
; %bb.703:                              ;   in Loop: Header=BB346_281 Depth=1
	s_andn2_saveexec_b64 s[8:9], s[2:3]
; %bb.704:                              ;   in Loop: Header=BB346_281 Depth=1
	v_or_b32_e32 v1, 0x10000, v0
	v_cmp_eq_u32_sdwa s[2:3], v0, v27 src0_sel:WORD_0 src1_sel:DWORD
	s_nop 1
	v_cndmask_b32_e64 v60, v1, v0, s[2:3]
; %bb.705:                              ;   in Loop: Header=BB346_281 Depth=1
	s_or_b64 exec, exec, s[8:9]
	v_lshlrev_b32_e32 v0, 16, v30
	v_mul_f32_e32 v0, v47, v0
	v_and_b32_e32 v1, 0x7f800000, v0
	v_cmp_ne_u32_e64 s[2:3], s17, v1
                                        ; implicit-def: $vgpr61
	s_and_saveexec_b64 s[8:9], s[2:3]
	s_xor_b64 s[2:3], exec, s[8:9]
; %bb.706:                              ;   in Loop: Header=BB346_281 Depth=1
	v_bfe_u32 v1, v0, 16, 1
	v_add3_u32 v61, v0, v1, s20
                                        ; implicit-def: $vgpr0
; %bb.707:                              ;   in Loop: Header=BB346_281 Depth=1
	s_andn2_saveexec_b64 s[8:9], s[2:3]
; %bb.708:                              ;   in Loop: Header=BB346_281 Depth=1
	v_or_b32_e32 v1, 0x10000, v0
	v_cmp_eq_u32_sdwa s[2:3], v0, v27 src0_sel:WORD_0 src1_sel:DWORD
	s_nop 1
	v_cndmask_b32_e64 v61, v1, v0, s[2:3]
; %bb.709:                              ;   in Loop: Header=BB346_281 Depth=1
	s_or_b64 exec, exec, s[8:9]
	flat_load_dwordx2 v[4:5], v[4:5] offset:3072
	s_waitcnt vmcnt(0) lgkmcnt(0)
	v_and_b32_e32 v0, 0xff, v4
	v_cvt_f32_fp8_sdwa v0, v0 src0_sel:BYTE_0
	s_nop 0
	v_mul_f32_e32 v0, v37, v0
	v_and_b32_e32 v1, 0x7f800000, v0
	v_cmp_ne_u32_e64 s[2:3], s17, v1
                                        ; implicit-def: $vgpr1
	s_and_saveexec_b64 s[8:9], s[2:3]
	s_xor_b64 s[2:3], exec, s[8:9]
; %bb.710:                              ;   in Loop: Header=BB346_281 Depth=1
	v_bfe_u32 v1, v0, 16, 1
	v_add3_u32 v1, v0, v1, s20
                                        ; implicit-def: $vgpr0
; %bb.711:                              ;   in Loop: Header=BB346_281 Depth=1
	s_andn2_saveexec_b64 s[8:9], s[2:3]
; %bb.712:                              ;   in Loop: Header=BB346_281 Depth=1
	v_or_b32_e32 v1, 0x10000, v0
	v_cmp_eq_u32_sdwa s[2:3], v0, v27 src0_sel:WORD_0 src1_sel:DWORD
	s_nop 1
	v_cndmask_b32_e64 v1, v1, v0, s[2:3]
; %bb.713:                              ;   in Loop: Header=BB346_281 Depth=1
	s_or_b64 exec, exec, s[8:9]
	v_bfe_u32 v0, v4, 8, 8
	v_cvt_f32_fp8_sdwa v0, v0 src0_sel:BYTE_0
	s_nop 0
	v_mul_f32_e32 v12, v37, v0
	v_and_b32_e32 v0, 0x7f800000, v12
	v_cmp_ne_u32_e64 s[2:3], s17, v0
                                        ; implicit-def: $vgpr0
	s_and_saveexec_b64 s[8:9], s[2:3]
	s_xor_b64 s[2:3], exec, s[8:9]
; %bb.714:                              ;   in Loop: Header=BB346_281 Depth=1
	v_bfe_u32 v0, v12, 16, 1
	v_add3_u32 v0, v12, v0, s20
                                        ; implicit-def: $vgpr12
; %bb.715:                              ;   in Loop: Header=BB346_281 Depth=1
	s_andn2_saveexec_b64 s[8:9], s[2:3]
; %bb.716:                              ;   in Loop: Header=BB346_281 Depth=1
	v_or_b32_e32 v0, 0x10000, v12
	v_cmp_eq_u32_sdwa s[2:3], v12, v27 src0_sel:WORD_0 src1_sel:DWORD
	s_nop 1
	v_cndmask_b32_e64 v0, v0, v12, s[2:3]
; %bb.717:                              ;   in Loop: Header=BB346_281 Depth=1
	s_or_b64 exec, exec, s[8:9]
	v_bfe_u32 v12, v4, 16, 8
	v_cvt_f32_fp8_sdwa v12, v12 src0_sel:BYTE_0
                                        ; implicit-def: $vgpr30
	s_nop 0
	v_mul_f32_e32 v12, v37, v12
	v_and_b32_e32 v13, 0x7f800000, v12
	v_cmp_ne_u32_e64 s[2:3], s17, v13
	s_and_saveexec_b64 s[8:9], s[2:3]
	s_xor_b64 s[2:3], exec, s[8:9]
; %bb.718:                              ;   in Loop: Header=BB346_281 Depth=1
	v_bfe_u32 v13, v12, 16, 1
	v_add3_u32 v30, v12, v13, s20
                                        ; implicit-def: $vgpr12
; %bb.719:                              ;   in Loop: Header=BB346_281 Depth=1
	s_andn2_saveexec_b64 s[8:9], s[2:3]
; %bb.720:                              ;   in Loop: Header=BB346_281 Depth=1
	v_or_b32_e32 v13, 0x10000, v12
	v_cmp_eq_u32_sdwa s[2:3], v12, v27 src0_sel:WORD_0 src1_sel:DWORD
	s_nop 1
	v_cndmask_b32_e64 v30, v13, v12, s[2:3]
; %bb.721:                              ;   in Loop: Header=BB346_281 Depth=1
	s_or_b64 exec, exec, s[8:9]
	v_lshrrev_b32_e32 v4, 24, v4
	v_cvt_f32_fp8_sdwa v4, v4 src0_sel:BYTE_0
	s_nop 0
	v_mul_f32_e32 v12, v37, v4
	v_and_b32_e32 v4, 0x7f800000, v12
	v_cmp_ne_u32_e64 s[2:3], s17, v4
                                        ; implicit-def: $vgpr4
	s_and_saveexec_b64 s[8:9], s[2:3]
	s_xor_b64 s[2:3], exec, s[8:9]
; %bb.722:                              ;   in Loop: Header=BB346_281 Depth=1
	v_bfe_u32 v4, v12, 16, 1
	v_add3_u32 v4, v12, v4, s20
                                        ; implicit-def: $vgpr12
; %bb.723:                              ;   in Loop: Header=BB346_281 Depth=1
	s_andn2_saveexec_b64 s[8:9], s[2:3]
; %bb.724:                              ;   in Loop: Header=BB346_281 Depth=1
	v_or_b32_e32 v4, 0x10000, v12
	v_cmp_eq_u32_sdwa s[2:3], v12, v27 src0_sel:WORD_0 src1_sel:DWORD
	s_nop 1
	v_cndmask_b32_e64 v4, v4, v12, s[2:3]
; %bb.725:                              ;   in Loop: Header=BB346_281 Depth=1
	s_or_b64 exec, exec, s[8:9]
	v_and_b32_e32 v12, 0xff, v5
	v_cvt_f32_fp8_sdwa v12, v12 src0_sel:BYTE_0
	s_nop 0
	v_mul_f32_e32 v13, v37, v12
	v_and_b32_e32 v12, 0x7f800000, v13
	v_cmp_ne_u32_e64 s[2:3], s17, v12
                                        ; implicit-def: $vgpr12
	s_and_saveexec_b64 s[8:9], s[2:3]
	s_xor_b64 s[2:3], exec, s[8:9]
; %bb.726:                              ;   in Loop: Header=BB346_281 Depth=1
	v_bfe_u32 v12, v13, 16, 1
	v_add3_u32 v12, v13, v12, s20
                                        ; implicit-def: $vgpr13
; %bb.727:                              ;   in Loop: Header=BB346_281 Depth=1
	s_andn2_saveexec_b64 s[8:9], s[2:3]
; %bb.728:                              ;   in Loop: Header=BB346_281 Depth=1
	v_or_b32_e32 v12, 0x10000, v13
	v_cmp_eq_u32_sdwa s[2:3], v13, v27 src0_sel:WORD_0 src1_sel:DWORD
	s_nop 1
	v_cndmask_b32_e64 v12, v12, v13, s[2:3]
; %bb.729:                              ;   in Loop: Header=BB346_281 Depth=1
	s_or_b64 exec, exec, s[8:9]
	v_bfe_u32 v13, v5, 8, 8
	v_cvt_f32_fp8_sdwa v13, v13 src0_sel:BYTE_0
	s_nop 0
	v_mul_f32_e32 v18, v37, v13
	v_and_b32_e32 v13, 0x7f800000, v18
	v_cmp_ne_u32_e64 s[2:3], s17, v13
                                        ; implicit-def: $vgpr13
	s_and_saveexec_b64 s[8:9], s[2:3]
	s_xor_b64 s[2:3], exec, s[8:9]
; %bb.730:                              ;   in Loop: Header=BB346_281 Depth=1
	v_bfe_u32 v13, v18, 16, 1
	v_add3_u32 v13, v18, v13, s20
                                        ; implicit-def: $vgpr18
; %bb.731:                              ;   in Loop: Header=BB346_281 Depth=1
	s_andn2_saveexec_b64 s[8:9], s[2:3]
; %bb.732:                              ;   in Loop: Header=BB346_281 Depth=1
	v_or_b32_e32 v13, 0x10000, v18
	v_cmp_eq_u32_sdwa s[2:3], v18, v27 src0_sel:WORD_0 src1_sel:DWORD
	s_nop 1
	v_cndmask_b32_e64 v13, v13, v18, s[2:3]
; %bb.733:                              ;   in Loop: Header=BB346_281 Depth=1
	s_or_b64 exec, exec, s[8:9]
	v_bfe_u32 v18, v5, 16, 8
	v_cvt_f32_fp8_sdwa v18, v18 src0_sel:BYTE_0
	s_nop 0
	v_mul_f32_e32 v19, v37, v18
	v_and_b32_e32 v18, 0x7f800000, v19
	v_cmp_ne_u32_e64 s[2:3], s17, v18
                                        ; implicit-def: $vgpr18
	s_and_saveexec_b64 s[8:9], s[2:3]
	s_xor_b64 s[2:3], exec, s[8:9]
; %bb.734:                              ;   in Loop: Header=BB346_281 Depth=1
	v_bfe_u32 v18, v19, 16, 1
	v_add3_u32 v18, v19, v18, s20
                                        ; implicit-def: $vgpr19
; %bb.735:                              ;   in Loop: Header=BB346_281 Depth=1
	s_andn2_saveexec_b64 s[8:9], s[2:3]
; %bb.736:                              ;   in Loop: Header=BB346_281 Depth=1
	v_or_b32_e32 v18, 0x10000, v19
	v_cmp_eq_u32_sdwa s[2:3], v19, v27 src0_sel:WORD_0 src1_sel:DWORD
	s_nop 1
	v_cndmask_b32_e64 v18, v18, v19, s[2:3]
; %bb.737:                              ;   in Loop: Header=BB346_281 Depth=1
	s_or_b64 exec, exec, s[8:9]
	v_lshrrev_b32_e32 v5, 24, v5
	v_cvt_f32_fp8_sdwa v5, v5 src0_sel:BYTE_0
	s_nop 0
	v_mul_f32_e32 v19, v37, v5
	v_and_b32_e32 v5, 0x7f800000, v19
	v_cmp_ne_u32_e64 s[2:3], s17, v5
                                        ; implicit-def: $vgpr5
	s_and_saveexec_b64 s[8:9], s[2:3]
	s_xor_b64 s[2:3], exec, s[8:9]
; %bb.738:                              ;   in Loop: Header=BB346_281 Depth=1
	v_bfe_u32 v5, v19, 16, 1
	v_add3_u32 v5, v19, v5, s20
                                        ; implicit-def: $vgpr19
; %bb.739:                              ;   in Loop: Header=BB346_281 Depth=1
	s_andn2_saveexec_b64 s[8:9], s[2:3]
; %bb.740:                              ;   in Loop: Header=BB346_281 Depth=1
	v_or_b32_e32 v5, 0x10000, v19
	v_cmp_eq_u32_sdwa s[2:3], v19, v27 src0_sel:WORD_0 src1_sel:DWORD
	s_nop 1
	v_cndmask_b32_e64 v5, v5, v19, s[2:3]
; %bb.741:                              ;   in Loop: Header=BB346_281 Depth=1
	s_or_b64 exec, exec, s[8:9]
	v_lshrrev_b32_e32 v19, 16, v13
	v_lshrrev_b32_e32 v34, 16, v12
	v_lshrrev_b32_e32 v12, 16, v4
	v_lshrrev_b32_e32 v13, 16, v30
	v_lshrrev_b32_e32 v0, 16, v0
	v_lshrrev_b32_e32 v4, 16, v1
	v_lshrrev_b32_e32 v1, 16, v18
	v_lshrrev_b32_e32 v30, 16, v5
	s_and_saveexec_b64 s[8:9], s[0:1]
	s_cbranch_execz .LBB346_743
; %bb.742:                              ;   in Loop: Header=BB346_281 Depth=1
	v_accvgpr_read_b32 v5, a27
	v_cmp_lt_i32_e64 s[2:3], v5, v32
	v_add_u32_e32 v5, -6, v39
	s_nop 0
	v_cndmask_b32_e64 v4, 0, v4, s[2:3]
	v_cmp_lt_i32_e64 s[2:3], v5, v32
	v_add_u32_e32 v5, -5, v39
	s_nop 0
	v_cndmask_b32_e64 v0, 0, v0, s[2:3]
	;; [unrolled: 4-line block ×6, first 2 shown]
	v_cmp_lt_i32_e64 s[2:3], v5, v32
	s_nop 1
	v_cndmask_b32_e64 v1, 0, v1, s[2:3]
	v_cmp_lt_i32_e64 s[2:3], v39, v32
	s_nop 1
	v_cndmask_b32_e64 v30, 0, v30, s[2:3]
.LBB346_743:                            ;   in Loop: Header=BB346_281 Depth=1
	s_or_b64 exec, exec, s[8:9]
	v_lshlrev_b32_e32 v4, 16, v4
	v_mul_f32_e32 v5, v40, v4
	v_and_b32_e32 v4, 0x7f800000, v5
	v_cmp_ne_u32_e64 s[2:3], s17, v4
                                        ; implicit-def: $vgpr4
	s_and_saveexec_b64 s[8:9], s[2:3]
	s_xor_b64 s[2:3], exec, s[8:9]
; %bb.744:                              ;   in Loop: Header=BB346_281 Depth=1
	v_bfe_u32 v4, v5, 16, 1
	v_add3_u32 v4, v5, v4, s20
                                        ; implicit-def: $vgpr5
; %bb.745:                              ;   in Loop: Header=BB346_281 Depth=1
	s_andn2_saveexec_b64 s[8:9], s[2:3]
; %bb.746:                              ;   in Loop: Header=BB346_281 Depth=1
	v_or_b32_e32 v4, 0x10000, v5
	v_cmp_eq_u32_sdwa s[2:3], v5, v27 src0_sel:WORD_0 src1_sel:DWORD
	s_nop 1
	v_cndmask_b32_e64 v4, v4, v5, s[2:3]
; %bb.747:                              ;   in Loop: Header=BB346_281 Depth=1
	s_or_b64 exec, exec, s[8:9]
	v_lshlrev_b32_e32 v0, 16, v0
	v_mul_f32_e32 v0, v41, v0
	v_and_b32_e32 v5, 0x7f800000, v0
	v_cmp_ne_u32_e64 s[2:3], s17, v5
                                        ; implicit-def: $vgpr5
	s_and_saveexec_b64 s[8:9], s[2:3]
	s_xor_b64 s[2:3], exec, s[8:9]
; %bb.748:                              ;   in Loop: Header=BB346_281 Depth=1
	v_bfe_u32 v5, v0, 16, 1
	v_add3_u32 v5, v0, v5, s20
                                        ; implicit-def: $vgpr0
; %bb.749:                              ;   in Loop: Header=BB346_281 Depth=1
	s_andn2_saveexec_b64 s[8:9], s[2:3]
; %bb.750:                              ;   in Loop: Header=BB346_281 Depth=1
	v_or_b32_e32 v5, 0x10000, v0
	v_cmp_eq_u32_sdwa s[2:3], v0, v27 src0_sel:WORD_0 src1_sel:DWORD
	s_nop 1
	v_cndmask_b32_e64 v5, v5, v0, s[2:3]
; %bb.751:                              ;   in Loop: Header=BB346_281 Depth=1
	s_or_b64 exec, exec, s[8:9]
	v_lshlrev_b32_e32 v0, 16, v13
	v_mul_f32_e32 v0, v42, v0
	v_and_b32_e32 v13, 0x7f800000, v0
	v_cmp_ne_u32_e64 s[2:3], s17, v13
                                        ; implicit-def: $vgpr62
	s_and_saveexec_b64 s[8:9], s[2:3]
	s_xor_b64 s[2:3], exec, s[8:9]
; %bb.752:                              ;   in Loop: Header=BB346_281 Depth=1
	v_bfe_u32 v13, v0, 16, 1
	v_add3_u32 v62, v0, v13, s20
                                        ; implicit-def: $vgpr0
; %bb.753:                              ;   in Loop: Header=BB346_281 Depth=1
	s_andn2_saveexec_b64 s[8:9], s[2:3]
; %bb.754:                              ;   in Loop: Header=BB346_281 Depth=1
	v_or_b32_e32 v13, 0x10000, v0
	v_cmp_eq_u32_sdwa s[2:3], v0, v27 src0_sel:WORD_0 src1_sel:DWORD
	s_nop 1
	v_cndmask_b32_e64 v62, v13, v0, s[2:3]
; %bb.755:                              ;   in Loop: Header=BB346_281 Depth=1
	s_or_b64 exec, exec, s[8:9]
	v_lshlrev_b32_e32 v0, 16, v12
	v_mul_f32_e32 v0, v43, v0
	v_and_b32_e32 v12, 0x7f800000, v0
	v_cmp_ne_u32_e64 s[2:3], s17, v12
                                        ; implicit-def: $vgpr63
	s_and_saveexec_b64 s[8:9], s[2:3]
	s_xor_b64 s[2:3], exec, s[8:9]
; %bb.756:                              ;   in Loop: Header=BB346_281 Depth=1
	v_bfe_u32 v12, v0, 16, 1
	v_add3_u32 v63, v0, v12, s20
                                        ; implicit-def: $vgpr0
; %bb.757:                              ;   in Loop: Header=BB346_281 Depth=1
	s_andn2_saveexec_b64 s[8:9], s[2:3]
; %bb.758:                              ;   in Loop: Header=BB346_281 Depth=1
	v_or_b32_e32 v12, 0x10000, v0
	v_cmp_eq_u32_sdwa s[2:3], v0, v27 src0_sel:WORD_0 src1_sel:DWORD
	s_nop 1
	v_cndmask_b32_e64 v63, v12, v0, s[2:3]
; %bb.759:                              ;   in Loop: Header=BB346_281 Depth=1
	s_or_b64 exec, exec, s[8:9]
	v_lshlrev_b32_e32 v0, 16, v34
	v_mul_f32_e32 v0, v44, v0
	v_and_b32_e32 v12, 0x7f800000, v0
	v_cmp_ne_u32_e64 s[2:3], s17, v12
                                        ; implicit-def: $vgpr55
	s_and_saveexec_b64 s[8:9], s[2:3]
	s_xor_b64 s[2:3], exec, s[8:9]
; %bb.760:                              ;   in Loop: Header=BB346_281 Depth=1
	v_bfe_u32 v12, v0, 16, 1
	v_add3_u32 v55, v0, v12, s20
                                        ; implicit-def: $vgpr0
; %bb.761:                              ;   in Loop: Header=BB346_281 Depth=1
	s_andn2_saveexec_b64 s[8:9], s[2:3]
; %bb.762:                              ;   in Loop: Header=BB346_281 Depth=1
	v_or_b32_e32 v12, 0x10000, v0
	v_cmp_eq_u32_sdwa s[2:3], v0, v27 src0_sel:WORD_0 src1_sel:DWORD
	s_nop 1
	v_cndmask_b32_e64 v55, v12, v0, s[2:3]
; %bb.763:                              ;   in Loop: Header=BB346_281 Depth=1
	s_or_b64 exec, exec, s[8:9]
	v_lshlrev_b32_e32 v0, 16, v19
	v_mul_f32_e32 v0, v45, v0
	v_and_b32_e32 v12, 0x7f800000, v0
	v_cmp_ne_u32_e64 s[2:3], s17, v12
                                        ; implicit-def: $vgpr35
	s_and_saveexec_b64 s[8:9], s[2:3]
	s_xor_b64 s[2:3], exec, s[8:9]
; %bb.764:                              ;   in Loop: Header=BB346_281 Depth=1
	v_bfe_u32 v12, v0, 16, 1
	v_add3_u32 v35, v0, v12, s20
                                        ; implicit-def: $vgpr0
; %bb.765:                              ;   in Loop: Header=BB346_281 Depth=1
	s_andn2_saveexec_b64 s[8:9], s[2:3]
; %bb.766:                              ;   in Loop: Header=BB346_281 Depth=1
	v_or_b32_e32 v12, 0x10000, v0
	v_cmp_eq_u32_sdwa s[2:3], v0, v27 src0_sel:WORD_0 src1_sel:DWORD
	s_nop 1
	v_cndmask_b32_e64 v35, v12, v0, s[2:3]
; %bb.767:                              ;   in Loop: Header=BB346_281 Depth=1
	s_or_b64 exec, exec, s[8:9]
	v_lshlrev_b32_e32 v0, 16, v1
	v_mul_f32_e32 v0, v46, v0
	v_and_b32_e32 v1, 0x7f800000, v0
	v_cmp_ne_u32_e64 s[2:3], s17, v1
                                        ; implicit-def: $vgpr36
	s_and_saveexec_b64 s[8:9], s[2:3]
	s_xor_b64 s[2:3], exec, s[8:9]
; %bb.768:                              ;   in Loop: Header=BB346_281 Depth=1
	v_bfe_u32 v1, v0, 16, 1
	v_add3_u32 v36, v0, v1, s20
                                        ; implicit-def: $vgpr0
; %bb.769:                              ;   in Loop: Header=BB346_281 Depth=1
	s_andn2_saveexec_b64 s[8:9], s[2:3]
; %bb.770:                              ;   in Loop: Header=BB346_281 Depth=1
	v_or_b32_e32 v1, 0x10000, v0
	v_cmp_eq_u32_sdwa s[2:3], v0, v27 src0_sel:WORD_0 src1_sel:DWORD
	s_nop 1
	v_cndmask_b32_e64 v36, v1, v0, s[2:3]
; %bb.771:                              ;   in Loop: Header=BB346_281 Depth=1
	s_or_b64 exec, exec, s[8:9]
	v_lshlrev_b32_e32 v0, 16, v30
	v_mul_f32_e32 v0, v47, v0
	v_and_b32_e32 v1, 0x7f800000, v0
	v_cmp_ne_u32_e64 s[2:3], s17, v1
                                        ; implicit-def: $vgpr30
	s_and_saveexec_b64 s[8:9], s[2:3]
	s_xor_b64 s[2:3], exec, s[8:9]
	s_cbranch_execnz .LBB346_774
; %bb.772:                              ;   in Loop: Header=BB346_281 Depth=1
	s_andn2_saveexec_b64 s[8:9], s[2:3]
	s_cbranch_execnz .LBB346_775
.LBB346_773:                            ;   in Loop: Header=BB346_281 Depth=1
	s_or_b64 exec, exec, s[8:9]
	s_and_saveexec_b64 s[8:9], vcc
	s_cbranch_execz .LBB346_280
	s_branch .LBB346_776
.LBB346_774:                            ;   in Loop: Header=BB346_281 Depth=1
	v_bfe_u32 v1, v0, 16, 1
	v_add3_u32 v30, v0, v1, s20
                                        ; implicit-def: $vgpr0
	s_andn2_saveexec_b64 s[8:9], s[2:3]
	s_cbranch_execz .LBB346_773
.LBB346_775:                            ;   in Loop: Header=BB346_281 Depth=1
	v_or_b32_e32 v1, 0x10000, v0
	v_cmp_eq_u32_sdwa s[2:3], v0, v27 src0_sel:WORD_0 src1_sel:DWORD
	s_nop 1
	v_cndmask_b32_e64 v30, v1, v0, s[2:3]
	s_or_b64 exec, exec, s[8:9]
	s_and_saveexec_b64 s[8:9], vcc
	s_cbranch_execz .LBB346_280
.LBB346_776:                            ;   in Loop: Header=BB346_281 Depth=1
	v_accvgpr_read_b32 v0, a18
	v_accvgpr_read_b32 v1, a19
	v_lshl_add_u64 v[0:1], v[2:3], 0, v[0:1]
	flat_load_dwordx2 v[2:3], v[0:1]
	s_nop 0
	scratch_load_dwordx2 v[0:1], off, s32 offset:240 ; 8-byte Folded Reload
	s_waitcnt vmcnt(0)
	flat_load_dword v0, v[0:1]
	s_waitcnt lgkmcnt(0)
	v_and_b32_e32 v1, 0xff, v2
	v_cvt_f32_fp8_sdwa v1, v1 src0_sel:BYTE_0
	s_waitcnt vmcnt(0)
	v_mul_f32_e32 v12, v0, v1
	v_and_b32_e32 v1, 0x7f800000, v12
	v_cmp_ne_u32_e64 s[2:3], s17, v1
                                        ; implicit-def: $vgpr1
	s_and_saveexec_b64 s[18:19], s[2:3]
	s_xor_b64 s[2:3], exec, s[18:19]
; %bb.777:                              ;   in Loop: Header=BB346_281 Depth=1
	v_bfe_u32 v1, v12, 16, 1
	v_add3_u32 v1, v12, v1, s20
                                        ; implicit-def: $vgpr12
; %bb.778:                              ;   in Loop: Header=BB346_281 Depth=1
	s_andn2_saveexec_b64 s[18:19], s[2:3]
; %bb.779:                              ;   in Loop: Header=BB346_281 Depth=1
	v_or_b32_e32 v1, 0x10000, v12
	v_cmp_eq_u32_sdwa s[2:3], v12, v27 src0_sel:WORD_0 src1_sel:DWORD
	s_nop 1
	v_cndmask_b32_e64 v1, v1, v12, s[2:3]
; %bb.780:                              ;   in Loop: Header=BB346_281 Depth=1
	s_or_b64 exec, exec, s[18:19]
	v_bfe_u32 v12, v2, 8, 8
	v_cvt_f32_fp8_sdwa v12, v12 src0_sel:BYTE_0
                                        ; implicit-def: $vgpr19
	s_nop 0
	v_mul_f32_e32 v12, v0, v12
	v_and_b32_e32 v13, 0x7f800000, v12
	v_cmp_ne_u32_e64 s[2:3], s17, v13
	s_and_saveexec_b64 s[18:19], s[2:3]
	s_xor_b64 s[2:3], exec, s[18:19]
; %bb.781:                              ;   in Loop: Header=BB346_281 Depth=1
	v_bfe_u32 v13, v12, 16, 1
	v_add3_u32 v19, v12, v13, s20
                                        ; implicit-def: $vgpr12
; %bb.782:                              ;   in Loop: Header=BB346_281 Depth=1
	s_andn2_saveexec_b64 s[18:19], s[2:3]
; %bb.783:                              ;   in Loop: Header=BB346_281 Depth=1
	v_or_b32_e32 v13, 0x10000, v12
	v_cmp_eq_u32_sdwa s[2:3], v12, v27 src0_sel:WORD_0 src1_sel:DWORD
	s_nop 1
	v_cndmask_b32_e64 v19, v13, v12, s[2:3]
; %bb.784:                              ;   in Loop: Header=BB346_281 Depth=1
	s_or_b64 exec, exec, s[18:19]
	v_bfe_u32 v12, v2, 16, 8
	v_cvt_f32_fp8_sdwa v12, v12 src0_sel:BYTE_0
                                        ; implicit-def: $vgpr38
	s_nop 0
	v_mul_f32_e32 v12, v0, v12
	v_and_b32_e32 v13, 0x7f800000, v12
	v_cmp_ne_u32_e64 s[2:3], s17, v13
	s_and_saveexec_b64 s[18:19], s[2:3]
	s_xor_b64 s[2:3], exec, s[18:19]
; %bb.785:                              ;   in Loop: Header=BB346_281 Depth=1
	v_bfe_u32 v13, v12, 16, 1
	v_add3_u32 v38, v12, v13, s20
                                        ; implicit-def: $vgpr12
; %bb.786:                              ;   in Loop: Header=BB346_281 Depth=1
	s_andn2_saveexec_b64 s[18:19], s[2:3]
; %bb.787:                              ;   in Loop: Header=BB346_281 Depth=1
	v_or_b32_e32 v13, 0x10000, v12
	v_cmp_eq_u32_sdwa s[2:3], v12, v27 src0_sel:WORD_0 src1_sel:DWORD
	s_nop 1
	v_cndmask_b32_e64 v38, v13, v12, s[2:3]
; %bb.788:                              ;   in Loop: Header=BB346_281 Depth=1
	s_or_b64 exec, exec, s[18:19]
	v_lshrrev_b32_e32 v2, 24, v2
	v_cvt_f32_fp8_sdwa v2, v2 src0_sel:BYTE_0
	s_nop 0
	v_mul_f32_e32 v12, v0, v2
	v_and_b32_e32 v2, 0x7f800000, v12
	v_cmp_ne_u32_e64 s[2:3], s17, v2
                                        ; implicit-def: $vgpr2
	s_and_saveexec_b64 s[18:19], s[2:3]
	s_xor_b64 s[2:3], exec, s[18:19]
; %bb.789:                              ;   in Loop: Header=BB346_281 Depth=1
	v_bfe_u32 v2, v12, 16, 1
	v_add3_u32 v2, v12, v2, s20
                                        ; implicit-def: $vgpr12
; %bb.790:                              ;   in Loop: Header=BB346_281 Depth=1
	s_andn2_saveexec_b64 s[18:19], s[2:3]
; %bb.791:                              ;   in Loop: Header=BB346_281 Depth=1
	v_or_b32_e32 v2, 0x10000, v12
	v_cmp_eq_u32_sdwa s[2:3], v12, v27 src0_sel:WORD_0 src1_sel:DWORD
	s_nop 1
	v_cndmask_b32_e64 v2, v2, v12, s[2:3]
; %bb.792:                              ;   in Loop: Header=BB346_281 Depth=1
	s_or_b64 exec, exec, s[18:19]
	v_and_b32_e32 v12, 0xff, v3
	v_cvt_f32_fp8_sdwa v12, v12 src0_sel:BYTE_0
	s_nop 0
	v_mul_f32_e32 v13, v0, v12
	v_and_b32_e32 v12, 0x7f800000, v13
	v_cmp_ne_u32_e64 s[2:3], s17, v12
                                        ; implicit-def: $vgpr12
	s_and_saveexec_b64 s[18:19], s[2:3]
	s_xor_b64 s[2:3], exec, s[18:19]
; %bb.793:                              ;   in Loop: Header=BB346_281 Depth=1
	v_bfe_u32 v12, v13, 16, 1
	v_add3_u32 v12, v13, v12, s20
                                        ; implicit-def: $vgpr13
; %bb.794:                              ;   in Loop: Header=BB346_281 Depth=1
	s_andn2_saveexec_b64 s[18:19], s[2:3]
; %bb.795:                              ;   in Loop: Header=BB346_281 Depth=1
	v_or_b32_e32 v12, 0x10000, v13
	v_cmp_eq_u32_sdwa s[2:3], v13, v27 src0_sel:WORD_0 src1_sel:DWORD
	s_nop 1
	v_cndmask_b32_e64 v12, v12, v13, s[2:3]
; %bb.796:                              ;   in Loop: Header=BB346_281 Depth=1
	s_or_b64 exec, exec, s[18:19]
	v_bfe_u32 v13, v3, 8, 8
	v_cvt_f32_fp8_sdwa v13, v13 src0_sel:BYTE_0
	s_nop 0
	v_mul_f32_e32 v18, v0, v13
	v_and_b32_e32 v13, 0x7f800000, v18
	v_cmp_ne_u32_e64 s[2:3], s17, v13
                                        ; implicit-def: $vgpr13
	s_and_saveexec_b64 s[18:19], s[2:3]
	s_xor_b64 s[2:3], exec, s[18:19]
; %bb.797:                              ;   in Loop: Header=BB346_281 Depth=1
	v_bfe_u32 v13, v18, 16, 1
	v_add3_u32 v13, v18, v13, s20
                                        ; implicit-def: $vgpr18
; %bb.798:                              ;   in Loop: Header=BB346_281 Depth=1
	s_andn2_saveexec_b64 s[18:19], s[2:3]
; %bb.799:                              ;   in Loop: Header=BB346_281 Depth=1
	v_or_b32_e32 v13, 0x10000, v18
	v_cmp_eq_u32_sdwa s[2:3], v18, v27 src0_sel:WORD_0 src1_sel:DWORD
	s_nop 1
	v_cndmask_b32_e64 v13, v13, v18, s[2:3]
; %bb.800:                              ;   in Loop: Header=BB346_281 Depth=1
	s_or_b64 exec, exec, s[18:19]
	v_bfe_u32 v18, v3, 16, 8
	v_cvt_f32_fp8_sdwa v18, v18 src0_sel:BYTE_0
                                        ; implicit-def: $vgpr23
	s_nop 0
	v_mul_f32_e32 v18, v0, v18
	v_and_b32_e32 v22, 0x7f800000, v18
	v_cmp_ne_u32_e64 s[2:3], s17, v22
	s_and_saveexec_b64 s[18:19], s[2:3]
	s_xor_b64 s[2:3], exec, s[18:19]
; %bb.801:                              ;   in Loop: Header=BB346_281 Depth=1
	v_bfe_u32 v22, v18, 16, 1
	v_add3_u32 v23, v18, v22, s20
                                        ; implicit-def: $vgpr18
; %bb.802:                              ;   in Loop: Header=BB346_281 Depth=1
	s_andn2_saveexec_b64 s[18:19], s[2:3]
; %bb.803:                              ;   in Loop: Header=BB346_281 Depth=1
	v_or_b32_e32 v22, 0x10000, v18
	v_cmp_eq_u32_sdwa s[2:3], v18, v27 src0_sel:WORD_0 src1_sel:DWORD
	s_nop 1
	v_cndmask_b32_e64 v23, v22, v18, s[2:3]
; %bb.804:                              ;   in Loop: Header=BB346_281 Depth=1
	s_or_b64 exec, exec, s[18:19]
	v_lshrrev_b32_e32 v3, 24, v3
	v_cvt_f32_fp8_sdwa v3, v3 src0_sel:BYTE_0
                                        ; implicit-def: $vgpr22
	s_nop 0
	v_mul_f32_e32 v0, v0, v3
	v_and_b32_e32 v3, 0x7f800000, v0
	v_cmp_ne_u32_e64 s[2:3], s17, v3
	s_and_saveexec_b64 s[18:19], s[2:3]
	s_xor_b64 s[2:3], exec, s[18:19]
; %bb.805:                              ;   in Loop: Header=BB346_281 Depth=1
	v_bfe_u32 v3, v0, 16, 1
	v_add3_u32 v22, v0, v3, s20
                                        ; implicit-def: $vgpr0
; %bb.806:                              ;   in Loop: Header=BB346_281 Depth=1
	s_andn2_saveexec_b64 s[18:19], s[2:3]
; %bb.807:                              ;   in Loop: Header=BB346_281 Depth=1
	v_or_b32_e32 v3, 0x10000, v0
	v_cmp_eq_u32_sdwa s[2:3], v0, v27 src0_sel:WORD_0 src1_sel:DWORD
	s_nop 1
	v_cndmask_b32_e64 v22, v3, v0, s[2:3]
; %bb.808:                              ;   in Loop: Header=BB346_281 Depth=1
	s_or_b64 exec, exec, s[18:19]
	v_lshrrev_b32_e32 v34, 16, v13
	v_lshrrev_b32_e32 v12, 16, v12
	;; [unrolled: 1-line block ×8, first 2 shown]
	s_and_saveexec_b64 s[2:3], s[0:1]
	s_cbranch_execz .LBB346_810
; %bb.809:                              ;   in Loop: Header=BB346_281 Depth=1
	v_accvgpr_read_b32 v19, a27
	v_cmp_lt_i32_e64 s[0:1], v19, v32
	v_add_u32_e32 v19, -6, v39
	s_nop 0
	v_cndmask_b32_e64 v1, 0, v1, s[0:1]
	v_cmp_lt_i32_e64 s[0:1], v19, v32
	v_add_u32_e32 v19, -5, v39
	s_nop 0
	v_cndmask_b32_e64 v0, 0, v0, s[0:1]
	v_cmp_lt_i32_e64 s[0:1], v19, v32
	v_add_u32_e32 v19, -4, v39
	s_nop 0
	v_cndmask_b32_e64 v18, 0, v18, s[0:1]
	v_cmp_lt_i32_e64 s[0:1], v19, v32
	v_add_u32_e32 v19, -3, v39
	s_nop 0
	v_cndmask_b32_e64 v13, 0, v13, s[0:1]
	v_cmp_lt_i32_e64 s[0:1], v19, v32
	v_add_u32_e32 v19, -2, v39
	s_nop 0
	v_cndmask_b32_e64 v12, 0, v12, s[0:1]
	v_cmp_lt_i32_e64 s[0:1], v19, v32
	v_add_u32_e32 v19, -1, v39
	s_nop 0
	v_cndmask_b32_e64 v34, 0, v34, s[0:1]
	v_cmp_lt_i32_e64 s[0:1], v19, v32
	s_nop 1
	v_cndmask_b32_e64 v3, 0, v3, s[0:1]
	v_cmp_lt_i32_e64 s[0:1], v39, v32
	s_nop 1
	v_cndmask_b32_e64 v2, 0, v2, s[0:1]
.LBB346_810:                            ;   in Loop: Header=BB346_281 Depth=1
	s_or_b64 exec, exec, s[2:3]
	v_lshlrev_b32_e32 v1, 16, v1
	v_mul_f32_e32 v19, v40, v1
	v_and_b32_e32 v1, 0x7f800000, v19
	v_cmp_ne_u32_e64 s[0:1], s17, v1
                                        ; implicit-def: $vgpr1
	s_and_saveexec_b64 s[2:3], s[0:1]
	s_xor_b64 s[0:1], exec, s[2:3]
; %bb.811:                              ;   in Loop: Header=BB346_281 Depth=1
	v_bfe_u32 v1, v19, 16, 1
	v_add3_u32 v1, v19, v1, s20
                                        ; implicit-def: $vgpr19
; %bb.812:                              ;   in Loop: Header=BB346_281 Depth=1
	s_andn2_saveexec_b64 s[2:3], s[0:1]
; %bb.813:                              ;   in Loop: Header=BB346_281 Depth=1
	v_or_b32_e32 v1, 0x10000, v19
	v_cmp_eq_u32_sdwa s[0:1], v19, v27 src0_sel:WORD_0 src1_sel:DWORD
	s_nop 1
	v_cndmask_b32_e64 v1, v1, v19, s[0:1]
; %bb.814:                              ;   in Loop: Header=BB346_281 Depth=1
	s_or_b64 exec, exec, s[2:3]
	v_lshlrev_b32_e32 v0, 16, v0
	v_mul_f32_e32 v19, v41, v0
	v_and_b32_e32 v0, 0x7f800000, v19
	v_cmp_ne_u32_e64 s[0:1], s17, v0
                                        ; implicit-def: $vgpr0
	s_and_saveexec_b64 s[2:3], s[0:1]
	s_xor_b64 s[0:1], exec, s[2:3]
; %bb.815:                              ;   in Loop: Header=BB346_281 Depth=1
	v_bfe_u32 v0, v19, 16, 1
	v_add3_u32 v0, v19, v0, s20
                                        ; implicit-def: $vgpr19
; %bb.816:                              ;   in Loop: Header=BB346_281 Depth=1
	s_andn2_saveexec_b64 s[2:3], s[0:1]
; %bb.817:                              ;   in Loop: Header=BB346_281 Depth=1
	v_or_b32_e32 v0, 0x10000, v19
	v_cmp_eq_u32_sdwa s[0:1], v19, v27 src0_sel:WORD_0 src1_sel:DWORD
	s_nop 1
	v_cndmask_b32_e64 v0, v0, v19, s[0:1]
; %bb.818:                              ;   in Loop: Header=BB346_281 Depth=1
	s_or_b64 exec, exec, s[2:3]
	v_lshlrev_b32_e32 v18, 16, v18
	v_mul_f32_e32 v18, v42, v18
	v_and_b32_e32 v19, 0x7f800000, v18
	v_cmp_ne_u32_e64 s[0:1], s17, v19
                                        ; implicit-def: $vgpr19
	s_and_saveexec_b64 s[2:3], s[0:1]
	s_xor_b64 s[0:1], exec, s[2:3]
; %bb.819:                              ;   in Loop: Header=BB346_281 Depth=1
	v_bfe_u32 v19, v18, 16, 1
	v_add3_u32 v19, v18, v19, s20
                                        ; implicit-def: $vgpr18
; %bb.820:                              ;   in Loop: Header=BB346_281 Depth=1
	s_andn2_saveexec_b64 s[2:3], s[0:1]
; %bb.821:                              ;   in Loop: Header=BB346_281 Depth=1
	v_or_b32_e32 v19, 0x10000, v18
	v_cmp_eq_u32_sdwa s[0:1], v18, v27 src0_sel:WORD_0 src1_sel:DWORD
	s_nop 1
	v_cndmask_b32_e64 v19, v19, v18, s[0:1]
; %bb.822:                              ;   in Loop: Header=BB346_281 Depth=1
	s_or_b64 exec, exec, s[2:3]
	v_lshlrev_b32_e32 v13, 16, v13
	v_mul_f32_e32 v18, v43, v13
	v_and_b32_e32 v13, 0x7f800000, v18
	v_cmp_ne_u32_e64 s[0:1], s17, v13
                                        ; implicit-def: $vgpr13
	s_and_saveexec_b64 s[2:3], s[0:1]
	s_xor_b64 s[0:1], exec, s[2:3]
; %bb.823:                              ;   in Loop: Header=BB346_281 Depth=1
	v_bfe_u32 v13, v18, 16, 1
	v_add3_u32 v13, v18, v13, s20
                                        ; implicit-def: $vgpr18
; %bb.824:                              ;   in Loop: Header=BB346_281 Depth=1
	s_andn2_saveexec_b64 s[2:3], s[0:1]
; %bb.825:                              ;   in Loop: Header=BB346_281 Depth=1
	v_or_b32_e32 v13, 0x10000, v18
	v_cmp_eq_u32_sdwa s[0:1], v18, v27 src0_sel:WORD_0 src1_sel:DWORD
	s_nop 1
	v_cndmask_b32_e64 v13, v13, v18, s[0:1]
; %bb.826:                              ;   in Loop: Header=BB346_281 Depth=1
	s_or_b64 exec, exec, s[2:3]
	v_lshlrev_b32_e32 v12, 16, v12
	v_mul_f32_e32 v18, v44, v12
	v_and_b32_e32 v12, 0x7f800000, v18
	v_cmp_ne_u32_e64 s[0:1], s17, v12
                                        ; implicit-def: $vgpr12
	s_and_saveexec_b64 s[2:3], s[0:1]
	s_xor_b64 s[0:1], exec, s[2:3]
; %bb.827:                              ;   in Loop: Header=BB346_281 Depth=1
	v_bfe_u32 v12, v18, 16, 1
	v_add3_u32 v12, v18, v12, s20
                                        ; implicit-def: $vgpr18
; %bb.828:                              ;   in Loop: Header=BB346_281 Depth=1
	s_andn2_saveexec_b64 s[2:3], s[0:1]
; %bb.829:                              ;   in Loop: Header=BB346_281 Depth=1
	v_or_b32_e32 v12, 0x10000, v18
	v_cmp_eq_u32_sdwa s[0:1], v18, v27 src0_sel:WORD_0 src1_sel:DWORD
	s_nop 1
	v_cndmask_b32_e64 v12, v12, v18, s[0:1]
; %bb.830:                              ;   in Loop: Header=BB346_281 Depth=1
	s_or_b64 exec, exec, s[2:3]
	v_lshlrev_b32_e32 v18, 16, v34
	v_mul_f32_e32 v22, v45, v18
	v_and_b32_e32 v18, 0x7f800000, v22
	v_cmp_ne_u32_e64 s[0:1], s17, v18
                                        ; implicit-def: $vgpr18
	s_and_saveexec_b64 s[2:3], s[0:1]
	s_xor_b64 s[0:1], exec, s[2:3]
; %bb.831:                              ;   in Loop: Header=BB346_281 Depth=1
	v_bfe_u32 v18, v22, 16, 1
	v_add3_u32 v18, v22, v18, s20
                                        ; implicit-def: $vgpr22
; %bb.832:                              ;   in Loop: Header=BB346_281 Depth=1
	s_andn2_saveexec_b64 s[2:3], s[0:1]
; %bb.833:                              ;   in Loop: Header=BB346_281 Depth=1
	v_or_b32_e32 v18, 0x10000, v22
	v_cmp_eq_u32_sdwa s[0:1], v22, v27 src0_sel:WORD_0 src1_sel:DWORD
	s_nop 1
	v_cndmask_b32_e64 v18, v18, v22, s[0:1]
; %bb.834:                              ;   in Loop: Header=BB346_281 Depth=1
	s_or_b64 exec, exec, s[2:3]
	v_lshlrev_b32_e32 v3, 16, v3
	v_mul_f32_e32 v22, v46, v3
	v_and_b32_e32 v3, 0x7f800000, v22
	v_cmp_ne_u32_e64 s[0:1], s17, v3
                                        ; implicit-def: $vgpr3
	s_and_saveexec_b64 s[2:3], s[0:1]
	s_xor_b64 s[0:1], exec, s[2:3]
; %bb.835:                              ;   in Loop: Header=BB346_281 Depth=1
	v_bfe_u32 v3, v22, 16, 1
	v_add3_u32 v3, v22, v3, s20
                                        ; implicit-def: $vgpr22
; %bb.836:                              ;   in Loop: Header=BB346_281 Depth=1
	s_andn2_saveexec_b64 s[2:3], s[0:1]
; %bb.837:                              ;   in Loop: Header=BB346_281 Depth=1
	v_or_b32_e32 v3, 0x10000, v22
	v_cmp_eq_u32_sdwa s[0:1], v22, v27 src0_sel:WORD_0 src1_sel:DWORD
	s_nop 1
	v_cndmask_b32_e64 v3, v3, v22, s[0:1]
; %bb.838:                              ;   in Loop: Header=BB346_281 Depth=1
	s_or_b64 exec, exec, s[2:3]
	v_lshlrev_b32_e32 v2, 16, v2
	v_mul_f32_e32 v2, v47, v2
	v_and_b32_e32 v22, 0x7f800000, v2
	v_cmp_ne_u32_e64 s[0:1], s17, v22
                                        ; implicit-def: $vgpr22
	s_and_saveexec_b64 s[2:3], s[0:1]
	s_xor_b64 s[0:1], exec, s[2:3]
; %bb.839:                              ;   in Loop: Header=BB346_281 Depth=1
	v_bfe_u32 v22, v2, 16, 1
	v_add3_u32 v22, v2, v22, s20
                                        ; implicit-def: $vgpr2
; %bb.840:                              ;   in Loop: Header=BB346_281 Depth=1
	s_andn2_saveexec_b64 s[2:3], s[0:1]
	s_cbranch_execz .LBB346_279
; %bb.841:                              ;   in Loop: Header=BB346_281 Depth=1
	v_or_b32_e32 v22, 0x10000, v2
	v_cmp_eq_u32_sdwa s[0:1], v2, v27 src0_sel:WORD_0 src1_sel:DWORD
	s_nop 1
	v_cndmask_b32_e64 v22, v22, v2, s[0:1]
	s_branch .LBB346_279
.LBB346_842:
	s_or_b64 exec, exec, s[6:7]
	v_accvgpr_read_b32 v27, a13
	v_accvgpr_read_b32 v18, a2
	;; [unrolled: 1-line block ×7, first 2 shown]
.LBB346_843:
	s_or_b64 exec, exec, s[4:5]
	ds_bpermute_b32 v0, v19, v20
	ds_bpermute_b32 v1, v19, v21
	;; [unrolled: 1-line block ×8, first 2 shown]
	s_waitcnt lgkmcnt(6)
	v_pk_add_f32 v[0:1], v[20:21], v[0:1]
	ds_bpermute_b32 v4, v22, v0
	ds_bpermute_b32 v5, v22, v1
	s_waitcnt lgkmcnt(6)
	v_pk_add_f32 v[2:3], v[16:17], v[2:3]
	s_waitcnt lgkmcnt(4)
	v_pk_add_f32 v[6:7], v[14:15], v[6:7]
	;; [unrolled: 2-line block ×3, first 2 shown]
	ds_bpermute_b32 v10, v22, v2
	ds_bpermute_b32 v11, v22, v3
	;; [unrolled: 1-line block ×6, first 2 shown]
	s_waitcnt lgkmcnt(6)
	v_pk_add_f32 v[8:9], v[0:1], v[4:5]
	v_and_b32_e32 v0, 0x3c0, v18
	s_waitcnt lgkmcnt(4)
	v_pk_add_f32 v[4:5], v[2:3], v[10:11]
	s_waitcnt lgkmcnt(2)
	v_pk_add_f32 v[2:3], v[6:7], v[12:13]
	;; [unrolled: 2-line block ×3, first 2 shown]
	v_cmp_eq_u32_e32 vcc, 64, v0
	s_barrier
	s_and_saveexec_b64 s[2:3], vcc
	s_cbranch_execz .LBB346_848
; %bb.844:
	v_cmp_eq_u32_e32 vcc, 0, v23
	s_and_saveexec_b64 s[0:1], vcc
	s_cbranch_execz .LBB346_846
; %bb.845:
	s_ashr_i32 s17, s16, 31
	s_lshl_b64 s[4:5], s[16:17], 2
	s_getpc_b64 s[6:7]
	s_add_u32 s6, s6, llvm.amdgcn.dynlds.offset.table@rel32@lo+4
	s_addc_u32 s7, s7, llvm.amdgcn.dynlds.offset.table@rel32@hi+12
	s_add_u32 s4, s4, s6
	s_addc_u32 s5, s5, s7
	s_load_dword s4, s[4:5], 0x0
	s_waitcnt lgkmcnt(0)
	v_lshl_add_u32 v0, v24, 2, s4
	ds_write2_b32 v0, v8, v9 offset1:16
	ds_write2_b32 v0, v4, v5 offset0:32 offset1:48
	ds_write2_b32 v0, v2, v3 offset0:64 offset1:80
	ds_write_b32 v0, v6 offset:384
.LBB346_846:
	s_or_b64 exec, exec, s[0:1]
	v_or_b32_e32 v0, 0x70, v24
	s_movk_i32 s0, 0x78
	v_cmp_gt_u32_e64 s[0:1], s0, v0
	s_and_b64 s[0:1], vcc, s[0:1]
	s_and_b64 exec, exec, s[0:1]
	s_cbranch_execz .LBB346_848
; %bb.847:
	s_ashr_i32 s17, s16, 31
	s_lshl_b64 s[0:1], s[16:17], 2
	s_getpc_b64 s[4:5]
	s_add_u32 s4, s4, llvm.amdgcn.dynlds.offset.table@rel32@lo+4
	s_addc_u32 s5, s5, llvm.amdgcn.dynlds.offset.table@rel32@hi+12
	s_add_u32 s0, s0, s4
	s_addc_u32 s1, s1, s5
	s_load_dword s0, s[0:1], 0x0
	s_waitcnt lgkmcnt(0)
	v_lshl_add_u32 v0, v24, 2, s0
	ds_write_b32 v0, v7 offset:448
.LBB346_848:
	s_or_b64 exec, exec, s[2:3]
	v_cmp_gt_u32_e32 vcc, 64, v18
	v_lshrrev_b32_e32 v12, 2, v18
	s_waitcnt lgkmcnt(0)
	s_barrier
	s_and_saveexec_b64 s[4:5], vcc
	s_cbranch_execz .LBB346_860
; %bb.849:
	v_cmp_eq_u32_e64 s[0:1], 0, v23
	s_and_saveexec_b64 s[2:3], s[0:1]
	s_cbranch_execnz .LBB346_898
; %bb.850:
	s_or_b64 exec, exec, s[2:3]
	s_and_saveexec_b64 s[2:3], s[0:1]
	s_cbranch_execnz .LBB346_899
.LBB346_851:
	s_or_b64 exec, exec, s[2:3]
	s_and_saveexec_b64 s[2:3], s[0:1]
	s_cbranch_execnz .LBB346_900
.LBB346_852:
	s_or_b64 exec, exec, s[2:3]
	s_and_saveexec_b64 s[2:3], s[0:1]
	s_cbranch_execnz .LBB346_901
.LBB346_853:
	s_or_b64 exec, exec, s[2:3]
	s_and_saveexec_b64 s[2:3], s[0:1]
	s_cbranch_execnz .LBB346_902
.LBB346_854:
	s_or_b64 exec, exec, s[2:3]
	s_and_saveexec_b64 s[2:3], s[0:1]
	s_cbranch_execnz .LBB346_903
.LBB346_855:
	s_or_b64 exec, exec, s[2:3]
	s_and_saveexec_b64 s[2:3], s[0:1]
	s_cbranch_execz .LBB346_857
.LBB346_856:
	s_ashr_i32 s17, s16, 31
	s_lshl_b64 s[6:7], s[16:17], 2
	s_getpc_b64 s[8:9]
	s_add_u32 s8, s8, llvm.amdgcn.dynlds.offset.table@rel32@lo+4
	s_addc_u32 s9, s9, llvm.amdgcn.dynlds.offset.table@rel32@hi+12
	s_add_u32 s6, s6, s8
	s_addc_u32 s7, s7, s9
	s_load_dword s6, s[6:7], 0x0
	s_waitcnt lgkmcnt(0)
	v_lshl_add_u32 v0, v12, 2, s6
	ds_read_b32 v0, v0 offset:384
	s_waitcnt lgkmcnt(0)
	v_add_f32_e32 v6, v6, v0
.LBB346_857:
	s_or_b64 exec, exec, s[2:3]
	v_or_b32_e32 v0, 0x70, v12
	s_movk_i32 s2, 0x78
	v_cmp_gt_u32_e64 s[2:3], s2, v0
	s_and_b64 s[2:3], s[0:1], s[2:3]
	s_and_saveexec_b64 s[0:1], s[2:3]
	s_cbranch_execz .LBB346_859
; %bb.858:
	s_ashr_i32 s17, s16, 31
	s_lshl_b64 s[2:3], s[16:17], 2
	s_getpc_b64 s[6:7]
	s_add_u32 s6, s6, llvm.amdgcn.dynlds.offset.table@rel32@lo+4
	s_addc_u32 s7, s7, llvm.amdgcn.dynlds.offset.table@rel32@hi+12
	s_add_u32 s2, s2, s6
	s_addc_u32 s3, s3, s7
	s_load_dword s2, s[2:3], 0x0
	s_waitcnt lgkmcnt(0)
	v_lshl_add_u32 v0, v12, 2, s2
	ds_read_b32 v0, v0 offset:448
	s_waitcnt lgkmcnt(0)
	v_add_f32_e32 v7, v7, v0
.LBB346_859:
	s_or_b64 exec, exec, s[0:1]
.LBB346_860:
	s_or_b64 exec, exec, s[4:5]
	s_barrier
	s_and_saveexec_b64 s[2:3], vcc
	s_cbranch_execz .LBB346_897
; %bb.861:
	scratch_load_dwordx2 v[0:1], off, s32 offset:252 ; 8-byte Folded Reload
	v_cmp_ne_u16_e64 s[0:1], s15, 0
	s_cmp_lg_u64 s[0:1], 0
	s_addc_u32 s4, s13, 0
	s_mul_i32 s0, s4, s10
	s_mul_i32 s0, s0, s11
	s_mulk_i32 s0, 0x78
	s_mul_i32 s4, s12, s4
	s_mul_i32 s6, s14, 0x78
	s_ashr_i32 s1, s0, 31
	s_ashr_i32 s5, s4, 31
	;; [unrolled: 1-line block ×3, first 2 shown]
	s_lshl_b64 s[0:1], s[0:1], 1
	s_lshl_b64 s[4:5], s[4:5], 1
	;; [unrolled: 1-line block ×3, first 2 shown]
	s_add_u32 s4, s6, s4
	s_addc_u32 s5, s7, s5
	s_add_u32 s0, s4, s0
	s_addc_u32 s1, s5, s1
	v_cmp_eq_u32_e32 vcc, 0, v23
	s_waitcnt vmcnt(0)
	v_lshl_add_u64 v[10:11], s[0:1], 0, v[0:1]
	s_and_saveexec_b64 s[4:5], vcc
	s_cbranch_execz .LBB346_891
; %bb.862:
	s_mov_b32 s0, 0x7f800000
	v_and_b32_e32 v0, 0x7f800000, v8
	v_cmp_ne_u32_e64 s[0:1], s0, v0
                                        ; implicit-def: $vgpr13
	s_and_saveexec_b64 s[6:7], s[0:1]
	s_xor_b64 s[0:1], exec, s[6:7]
; %bb.863:
	v_bfe_u32 v0, v8, 16, 1
	s_movk_i32 s6, 0x7fff
	v_add3_u32 v13, v8, v0, s6
; %bb.864:
	s_andn2_saveexec_b64 s[6:7], s[0:1]
; %bb.865:
	v_mov_b32_e32 v0, 0
	v_or_b32_e32 v1, 0x10000, v8
	v_cmp_eq_u32_sdwa s[0:1], v8, v0 src0_sel:WORD_0 src1_sel:DWORD
	s_nop 1
	v_cndmask_b32_e64 v13, v1, v8, s[0:1]
; %bb.866:
	s_or_b64 exec, exec, s[6:7]
	v_lshlrev_b32_e32 v0, 1, v12
	v_mov_b32_e32 v1, 0
	s_mov_b32 s0, 0x7f800000
	v_and_b32_e32 v8, 0x7f800000, v9
	v_lshl_add_u64 v[0:1], v[10:11], 0, v[0:1]
	v_cmp_ne_u32_e64 s[0:1], s0, v8
	flat_store_short_d16_hi v[0:1], v13
                                        ; implicit-def: $vgpr8
	s_and_saveexec_b64 s[6:7], s[0:1]
	s_xor_b64 s[0:1], exec, s[6:7]
; %bb.867:
	v_bfe_u32 v8, v9, 16, 1
	s_movk_i32 s6, 0x7fff
	v_add3_u32 v8, v9, v8, s6
; %bb.868:
	s_andn2_saveexec_b64 s[6:7], s[0:1]
; %bb.869:
	v_mov_b32_e32 v8, 0
	v_or_b32_e32 v13, 0x10000, v9
	v_cmp_eq_u32_sdwa s[0:1], v9, v8 src0_sel:WORD_0 src1_sel:DWORD
	s_nop 1
	v_cndmask_b32_e64 v8, v13, v9, s[0:1]
; %bb.870:
	s_or_b64 exec, exec, s[6:7]
	flat_store_short_d16_hi v[0:1], v8 offset:32
	s_mov_b32 s0, 0x7f800000
	v_and_b32_e32 v8, 0x7f800000, v4
	v_cmp_ne_u32_e64 s[0:1], s0, v8
                                        ; implicit-def: $vgpr8
	s_and_saveexec_b64 s[6:7], s[0:1]
	s_xor_b64 s[0:1], exec, s[6:7]
; %bb.871:
	v_bfe_u32 v8, v4, 16, 1
	s_movk_i32 s6, 0x7fff
	v_add3_u32 v8, v4, v8, s6
; %bb.872:
	s_andn2_saveexec_b64 s[6:7], s[0:1]
; %bb.873:
	v_mov_b32_e32 v8, 0
	v_or_b32_e32 v9, 0x10000, v4
	v_cmp_eq_u32_sdwa s[0:1], v4, v8 src0_sel:WORD_0 src1_sel:DWORD
	s_nop 1
	v_cndmask_b32_e64 v8, v9, v4, s[0:1]
; %bb.874:
	s_or_b64 exec, exec, s[6:7]
	s_mov_b32 s0, 0x7f800000
	v_and_b32_e32 v4, 0x7f800000, v5
	v_cmp_ne_u32_e64 s[0:1], s0, v4
	flat_store_short_d16_hi v[0:1], v8 offset:64
                                        ; implicit-def: $vgpr4
	s_and_saveexec_b64 s[6:7], s[0:1]
	s_xor_b64 s[0:1], exec, s[6:7]
; %bb.875:
	v_bfe_u32 v4, v5, 16, 1
	s_movk_i32 s6, 0x7fff
	v_add3_u32 v4, v5, v4, s6
; %bb.876:
	s_andn2_saveexec_b64 s[6:7], s[0:1]
; %bb.877:
	v_mov_b32_e32 v4, 0
	v_or_b32_e32 v8, 0x10000, v5
	v_cmp_eq_u32_sdwa s[0:1], v5, v4 src0_sel:WORD_0 src1_sel:DWORD
	s_nop 1
	v_cndmask_b32_e64 v4, v8, v5, s[0:1]
; %bb.878:
	s_or_b64 exec, exec, s[6:7]
	flat_store_short_d16_hi v[0:1], v4 offset:96
	s_mov_b32 s0, 0x7f800000
	v_and_b32_e32 v4, 0x7f800000, v2
	v_cmp_ne_u32_e64 s[0:1], s0, v4
                                        ; implicit-def: $vgpr4
	s_and_saveexec_b64 s[6:7], s[0:1]
	s_xor_b64 s[0:1], exec, s[6:7]
; %bb.879:
	v_bfe_u32 v4, v2, 16, 1
	s_movk_i32 s6, 0x7fff
	v_add3_u32 v4, v2, v4, s6
; %bb.880:
	s_andn2_saveexec_b64 s[6:7], s[0:1]
; %bb.881:
	v_mov_b32_e32 v4, 0
	v_or_b32_e32 v5, 0x10000, v2
	v_cmp_eq_u32_sdwa s[0:1], v2, v4 src0_sel:WORD_0 src1_sel:DWORD
	s_nop 1
	v_cndmask_b32_e64 v4, v5, v2, s[0:1]
; %bb.882:
	s_or_b64 exec, exec, s[6:7]
	s_mov_b32 s0, 0x7f800000
	v_and_b32_e32 v2, 0x7f800000, v3
	v_cmp_ne_u32_e64 s[0:1], s0, v2
	flat_store_short_d16_hi v[0:1], v4 offset:128
                                        ; implicit-def: $vgpr2
	s_and_saveexec_b64 s[6:7], s[0:1]
	s_xor_b64 s[0:1], exec, s[6:7]
; %bb.883:
	v_bfe_u32 v2, v3, 16, 1
	s_movk_i32 s6, 0x7fff
	v_add3_u32 v2, v3, v2, s6
; %bb.884:
	s_andn2_saveexec_b64 s[6:7], s[0:1]
; %bb.885:
	v_mov_b32_e32 v2, 0
	v_or_b32_e32 v4, 0x10000, v3
	v_cmp_eq_u32_sdwa s[0:1], v3, v2 src0_sel:WORD_0 src1_sel:DWORD
	s_nop 1
	v_cndmask_b32_e64 v2, v4, v3, s[0:1]
; %bb.886:
	s_or_b64 exec, exec, s[6:7]
	flat_store_short_d16_hi v[0:1], v2 offset:160
	s_mov_b32 s0, 0x7f800000
	v_and_b32_e32 v2, 0x7f800000, v6
	v_cmp_ne_u32_e64 s[0:1], s0, v2
                                        ; implicit-def: $vgpr2
	s_and_saveexec_b64 s[6:7], s[0:1]
	s_xor_b64 s[0:1], exec, s[6:7]
; %bb.887:
	v_bfe_u32 v2, v6, 16, 1
	s_movk_i32 s6, 0x7fff
	v_add3_u32 v2, v6, v2, s6
; %bb.888:
	s_andn2_saveexec_b64 s[6:7], s[0:1]
; %bb.889:
	v_mov_b32_e32 v2, 0
	v_or_b32_e32 v3, 0x10000, v6
	v_cmp_eq_u32_sdwa s[0:1], v6, v2 src0_sel:WORD_0 src1_sel:DWORD
	s_nop 1
	v_cndmask_b32_e64 v2, v3, v6, s[0:1]
; %bb.890:
	s_or_b64 exec, exec, s[6:7]
	flat_store_short_d16_hi v[0:1], v2 offset:192
.LBB346_891:
	s_or_b64 exec, exec, s[4:5]
	v_or_b32_e32 v0, 0x70, v12
	s_movk_i32 s0, 0x78
	v_cmp_gt_u32_e64 s[0:1], s0, v0
	s_and_b64 s[0:1], vcc, s[0:1]
	s_and_b64 exec, exec, s[0:1]
	s_cbranch_execz .LBB346_897
; %bb.892:
	s_mov_b32 s0, 0x7f800000
	v_and_b32_e32 v0, 0x7f800000, v7
	v_cmp_ne_u32_e32 vcc, s0, v0
                                        ; implicit-def: $vgpr8
	s_and_saveexec_b64 s[0:1], vcc
	s_xor_b64 s[0:1], exec, s[0:1]
; %bb.893:
	v_bfe_u32 v0, v7, 16, 1
	s_movk_i32 s4, 0x7fff
	v_add3_u32 v8, v7, v0, s4
                                        ; implicit-def: $vgpr0_vgpr1_vgpr2_vgpr3_vgpr4_vgpr5_vgpr6_vgpr7
; %bb.894:
	s_andn2_saveexec_b64 s[0:1], s[0:1]
; %bb.895:
	v_mov_b32_e32 v0, 0
	v_or_b32_e32 v1, 0x10000, v7
	v_cmp_eq_u32_sdwa vcc, v7, v0 src0_sel:WORD_0 src1_sel:DWORD
	s_nop 1
	v_cndmask_b32_e32 v8, v1, v7, vcc
; %bb.896:
	s_or_b64 exec, exec, s[0:1]
	v_lshlrev_b32_e32 v0, 1, v12
	v_mov_b32_e32 v1, 0
	v_lshl_add_u64 v[0:1], v[10:11], 0, v[0:1]
	flat_store_short_d16_hi v[0:1], v8 offset:224
.LBB346_897:
	s_or_b64 exec, exec, s[2:3]
	scratch_load_dword a63, off, s32        ; 4-byte Folded Reload
	scratch_load_dword a62, off, s32 offset:4 ; 4-byte Folded Reload
	scratch_load_dword a61, off, s32 offset:8 ; 4-byte Folded Reload
	;; [unrolled: 1-line block ×47, first 2 shown]
	s_waitcnt vmcnt(0) lgkmcnt(0)
	s_setpc_b64 s[30:31]
.LBB346_898:
	s_ashr_i32 s17, s16, 31
	s_lshl_b64 s[6:7], s[16:17], 2
	s_getpc_b64 s[8:9]
	s_add_u32 s8, s8, llvm.amdgcn.dynlds.offset.table@rel32@lo+4
	s_addc_u32 s9, s9, llvm.amdgcn.dynlds.offset.table@rel32@hi+12
	s_add_u32 s6, s6, s8
	s_addc_u32 s7, s7, s9
	s_load_dword s6, s[6:7], 0x0
	s_waitcnt lgkmcnt(0)
	v_lshl_add_u32 v0, v12, 2, s6
	ds_read_b32 v0, v0
	s_waitcnt lgkmcnt(0)
	v_add_f32_e32 v8, v8, v0
	s_or_b64 exec, exec, s[2:3]
	s_and_saveexec_b64 s[2:3], s[0:1]
	s_cbranch_execz .LBB346_851
.LBB346_899:
	s_ashr_i32 s17, s16, 31
	s_lshl_b64 s[6:7], s[16:17], 2
	s_getpc_b64 s[8:9]
	s_add_u32 s8, s8, llvm.amdgcn.dynlds.offset.table@rel32@lo+4
	s_addc_u32 s9, s9, llvm.amdgcn.dynlds.offset.table@rel32@hi+12
	s_add_u32 s6, s6, s8
	s_addc_u32 s7, s7, s9
	s_load_dword s6, s[6:7], 0x0
	s_waitcnt lgkmcnt(0)
	v_lshl_add_u32 v0, v12, 2, s6
	ds_read_b32 v0, v0 offset:64
	s_waitcnt lgkmcnt(0)
	v_add_f32_e32 v9, v9, v0
	s_or_b64 exec, exec, s[2:3]
	s_and_saveexec_b64 s[2:3], s[0:1]
	s_cbranch_execz .LBB346_852
.LBB346_900:
	s_ashr_i32 s17, s16, 31
	s_lshl_b64 s[6:7], s[16:17], 2
	s_getpc_b64 s[8:9]
	s_add_u32 s8, s8, llvm.amdgcn.dynlds.offset.table@rel32@lo+4
	s_addc_u32 s9, s9, llvm.amdgcn.dynlds.offset.table@rel32@hi+12
	s_add_u32 s6, s6, s8
	s_addc_u32 s7, s7, s9
	s_load_dword s6, s[6:7], 0x0
	s_waitcnt lgkmcnt(0)
	v_lshl_add_u32 v0, v12, 2, s6
	ds_read_b32 v0, v0 offset:128
	s_waitcnt lgkmcnt(0)
	v_add_f32_e32 v4, v4, v0
	s_or_b64 exec, exec, s[2:3]
	s_and_saveexec_b64 s[2:3], s[0:1]
	s_cbranch_execz .LBB346_853
.LBB346_901:
	s_ashr_i32 s17, s16, 31
	s_lshl_b64 s[6:7], s[16:17], 2
	s_getpc_b64 s[8:9]
	s_add_u32 s8, s8, llvm.amdgcn.dynlds.offset.table@rel32@lo+4
	s_addc_u32 s9, s9, llvm.amdgcn.dynlds.offset.table@rel32@hi+12
	s_add_u32 s6, s6, s8
	s_addc_u32 s7, s7, s9
	s_load_dword s6, s[6:7], 0x0
	s_waitcnt lgkmcnt(0)
	v_lshl_add_u32 v0, v12, 2, s6
	ds_read_b32 v0, v0 offset:192
	s_waitcnt lgkmcnt(0)
	v_add_f32_e32 v5, v5, v0
	s_or_b64 exec, exec, s[2:3]
	s_and_saveexec_b64 s[2:3], s[0:1]
	s_cbranch_execz .LBB346_854
.LBB346_902:
	s_ashr_i32 s17, s16, 31
	s_lshl_b64 s[6:7], s[16:17], 2
	s_getpc_b64 s[8:9]
	s_add_u32 s8, s8, llvm.amdgcn.dynlds.offset.table@rel32@lo+4
	s_addc_u32 s9, s9, llvm.amdgcn.dynlds.offset.table@rel32@hi+12
	s_add_u32 s6, s6, s8
	s_addc_u32 s7, s7, s9
	s_load_dword s6, s[6:7], 0x0
	s_waitcnt lgkmcnt(0)
	v_lshl_add_u32 v0, v12, 2, s6
	ds_read_b32 v0, v0 offset:256
	s_waitcnt lgkmcnt(0)
	v_add_f32_e32 v2, v2, v0
	s_or_b64 exec, exec, s[2:3]
	s_and_saveexec_b64 s[2:3], s[0:1]
	s_cbranch_execz .LBB346_855
.LBB346_903:
	s_ashr_i32 s17, s16, 31
	s_lshl_b64 s[6:7], s[16:17], 2
	s_getpc_b64 s[8:9]
	s_add_u32 s8, s8, llvm.amdgcn.dynlds.offset.table@rel32@lo+4
	s_addc_u32 s9, s9, llvm.amdgcn.dynlds.offset.table@rel32@hi+12
	s_add_u32 s6, s6, s8
	s_addc_u32 s7, s7, s9
	s_load_dword s6, s[6:7], 0x0
	s_waitcnt lgkmcnt(0)
	v_lshl_add_u32 v0, v12, 2, s6
	ds_read_b32 v0, v0 offset:320
	s_waitcnt lgkmcnt(0)
	v_add_f32_e32 v3, v3, v0
	s_or_b64 exec, exec, s[2:3]
	s_and_saveexec_b64 s[2:3], s[0:1]
	s_cbranch_execnz .LBB346_856
	s_branch .LBB346_857
.Lfunc_end346:
	.size	_ZN4vllm22paged_attention_kernelI14__hip_bfloat16hLi120ELi32ELi128ELNS_18Fp8KVCacheDataTypeE1ELb0ELi0EEEvPfS3_PT_PKS4_PKT0_SA_ifPKiSC_iPKfiiiSE_SE_iiiii, .Lfunc_end346-_ZN4vllm22paged_attention_kernelI14__hip_bfloat16hLi120ELi32ELi128ELNS_18Fp8KVCacheDataTypeE1ELb0ELi0EEEvPfS3_PT_PKS4_PKT0_SA_ifPKiSC_iPKfiiiSE_SE_iiiii
                                        ; -- End function
	.section	.AMDGPU.csdata,"",@progbits
; Function info:
; codeLenInByte = 31016
; NumSgprs: 39
; NumVgprs: 64
; NumAgprs: 64
; TotalNumVgprs: 128
; ScratchSize: 320
; MemoryBound: 0
	.section	.text._ZN4vllm25paged_attention_v1_kernelI14__hip_bfloat16hLi120ELi32ELi128ELNS_18Fp8KVCacheDataTypeE1ELb0EEEvPT_PKS3_PKT0_S9_ifPKiSB_iPKfiiiSD_SD_iiiii,"axG",@progbits,_ZN4vllm25paged_attention_v1_kernelI14__hip_bfloat16hLi120ELi32ELi128ELNS_18Fp8KVCacheDataTypeE1ELb0EEEvPT_PKS3_PKT0_S9_ifPKiSB_iPKfiiiSD_SD_iiiii,comdat
	.protected	_ZN4vllm25paged_attention_v1_kernelI14__hip_bfloat16hLi120ELi32ELi128ELNS_18Fp8KVCacheDataTypeE1ELb0EEEvPT_PKS3_PKT0_S9_ifPKiSB_iPKfiiiSD_SD_iiiii ; -- Begin function _ZN4vllm25paged_attention_v1_kernelI14__hip_bfloat16hLi120ELi32ELi128ELNS_18Fp8KVCacheDataTypeE1ELb0EEEvPT_PKS3_PKT0_S9_ifPKiSB_iPKfiiiSD_SD_iiiii
	.globl	_ZN4vllm25paged_attention_v1_kernelI14__hip_bfloat16hLi120ELi32ELi128ELNS_18Fp8KVCacheDataTypeE1ELb0EEEvPT_PKS3_PKT0_S9_ifPKiSB_iPKfiiiSD_SD_iiiii
	.p2align	8
	.type	_ZN4vllm25paged_attention_v1_kernelI14__hip_bfloat16hLi120ELi32ELi128ELNS_18Fp8KVCacheDataTypeE1ELb0EEEvPT_PKS3_PKT0_S9_ifPKiSB_iPKfiiiSD_SD_iiiii,@function
_ZN4vllm25paged_attention_v1_kernelI14__hip_bfloat16hLi120ELi32ELi128ELNS_18Fp8KVCacheDataTypeE1ELb0EEEvPT_PKS3_PKT0_S9_ifPKiSB_iPKfiiiSD_SD_iiiii: ; @_ZN4vllm25paged_attention_v1_kernelI14__hip_bfloat16hLi120ELi32ELi128ELNS_18Fp8KVCacheDataTypeE1ELb0EEEvPT_PKS3_PKT0_S9_ifPKiSB_iPKfiiiSD_SD_iiiii
; %bb.0:
	s_load_dwordx8 s[16:23], s[0:1], 0x0
	s_load_dwordx4 s[36:39], s[0:1], 0x20
	s_load_dwordx2 s[6:7], s[0:1], 0x30
	s_load_dword s5, s[0:1], 0x38
	s_load_dwordx2 s[10:11], s[0:1], 0x40
	s_load_dwordx8 s[24:31], s[0:1], 0x48
	s_add_u32 s8, s0, 0x80
	s_addc_u32 s9, s1, 0
	s_mov_b32 s12, s2
	s_mov_b32 s13, s3
	;; [unrolled: 1-line block ×4, first 2 shown]
	v_mov_b32_e32 v31, v0
	s_waitcnt lgkmcnt(0)
	v_mov_b32_e32 v0, s16
	v_mov_b32_e32 v1, s17
	;; [unrolled: 1-line block ×24, first 2 shown]
	s_mov_b32 s32, 0
	s_getpc_b64 s[0:1]
	s_add_u32 s0, s0, _ZN4vllm22paged_attention_kernelI14__hip_bfloat16hLi120ELi32ELi128ELNS_18Fp8KVCacheDataTypeE1ELb0ELi0EEEvPfS3_PT_PKS4_PKT0_SA_ifPKiSC_iPKfiiiSE_SE_iiiii@rel32@lo+4
	s_addc_u32 s1, s1, _ZN4vllm22paged_attention_kernelI14__hip_bfloat16hLi120ELi32ELi128ELNS_18Fp8KVCacheDataTypeE1ELb0ELi0EEEvPfS3_PT_PKS4_PKT0_SA_ifPKiSC_iPKfiiiSE_SE_iiiii@rel32@hi+12
	s_swappc_b64 s[30:31], s[0:1]
	s_endpgm
	.section	.rodata,"a",@progbits
	.p2align	6, 0x0
	.amdhsa_kernel _ZN4vllm25paged_attention_v1_kernelI14__hip_bfloat16hLi120ELi32ELi128ELNS_18Fp8KVCacheDataTypeE1ELb0EEEvPT_PKS3_PKT0_S9_ifPKiSB_iPKfiiiSD_SD_iiiii
		.amdhsa_group_segment_fixed_size 256
		.amdhsa_private_segment_fixed_size 320
		.amdhsa_kernarg_size 384
		.amdhsa_user_sgpr_count 2
		.amdhsa_user_sgpr_dispatch_ptr 0
		.amdhsa_user_sgpr_queue_ptr 0
		.amdhsa_user_sgpr_kernarg_segment_ptr 1
		.amdhsa_user_sgpr_dispatch_id 0
		.amdhsa_user_sgpr_kernarg_preload_length 0
		.amdhsa_user_sgpr_kernarg_preload_offset 0
		.amdhsa_user_sgpr_private_segment_size 0
		.amdhsa_uses_dynamic_stack 0
		.amdhsa_enable_private_segment 1
		.amdhsa_system_sgpr_workgroup_id_x 1
		.amdhsa_system_sgpr_workgroup_id_y 1
		.amdhsa_system_sgpr_workgroup_id_z 1
		.amdhsa_system_sgpr_workgroup_info 0
		.amdhsa_system_vgpr_workitem_id 0
		.amdhsa_next_free_vgpr 128
		.amdhsa_next_free_sgpr 40
		.amdhsa_accum_offset 64
		.amdhsa_reserve_vcc 1
		.amdhsa_float_round_mode_32 0
		.amdhsa_float_round_mode_16_64 0
		.amdhsa_float_denorm_mode_32 3
		.amdhsa_float_denorm_mode_16_64 3
		.amdhsa_dx10_clamp 1
		.amdhsa_ieee_mode 1
		.amdhsa_fp16_overflow 0
		.amdhsa_tg_split 0
		.amdhsa_exception_fp_ieee_invalid_op 0
		.amdhsa_exception_fp_denorm_src 0
		.amdhsa_exception_fp_ieee_div_zero 0
		.amdhsa_exception_fp_ieee_overflow 0
		.amdhsa_exception_fp_ieee_underflow 0
		.amdhsa_exception_fp_ieee_inexact 0
		.amdhsa_exception_int_div_zero 0
	.end_amdhsa_kernel
	.section	.text._ZN4vllm25paged_attention_v1_kernelI14__hip_bfloat16hLi120ELi32ELi128ELNS_18Fp8KVCacheDataTypeE1ELb0EEEvPT_PKS3_PKT0_S9_ifPKiSB_iPKfiiiSD_SD_iiiii,"axG",@progbits,_ZN4vllm25paged_attention_v1_kernelI14__hip_bfloat16hLi120ELi32ELi128ELNS_18Fp8KVCacheDataTypeE1ELb0EEEvPT_PKS3_PKT0_S9_ifPKiSB_iPKfiiiSD_SD_iiiii,comdat
.Lfunc_end347:
	.size	_ZN4vllm25paged_attention_v1_kernelI14__hip_bfloat16hLi120ELi32ELi128ELNS_18Fp8KVCacheDataTypeE1ELb0EEEvPT_PKS3_PKT0_S9_ifPKiSB_iPKfiiiSD_SD_iiiii, .Lfunc_end347-_ZN4vllm25paged_attention_v1_kernelI14__hip_bfloat16hLi120ELi32ELi128ELNS_18Fp8KVCacheDataTypeE1ELb0EEEvPT_PKS3_PKT0_S9_ifPKiSB_iPKfiiiSD_SD_iiiii
                                        ; -- End function
	.section	.AMDGPU.csdata,"",@progbits
; Kernel info:
; codeLenInByte = 212
; NumSgprs: 46
; NumVgprs: 64
; NumAgprs: 64
; TotalNumVgprs: 128
; ScratchSize: 320
; MemoryBound: 0
; FloatMode: 240
; IeeeMode: 1
; LDSByteSize: 256 bytes/workgroup (compile time only)
; SGPRBlocks: 5
; VGPRBlocks: 15
; NumSGPRsForWavesPerEU: 46
; NumVGPRsForWavesPerEU: 128
; AccumOffset: 64
; Occupancy: 4
; WaveLimiterHint : 1
; COMPUTE_PGM_RSRC2:SCRATCH_EN: 1
; COMPUTE_PGM_RSRC2:USER_SGPR: 2
; COMPUTE_PGM_RSRC2:TRAP_HANDLER: 0
; COMPUTE_PGM_RSRC2:TGID_X_EN: 1
; COMPUTE_PGM_RSRC2:TGID_Y_EN: 1
; COMPUTE_PGM_RSRC2:TGID_Z_EN: 1
; COMPUTE_PGM_RSRC2:TIDIG_COMP_CNT: 0
; COMPUTE_PGM_RSRC3_GFX90A:ACCUM_OFFSET: 15
; COMPUTE_PGM_RSRC3_GFX90A:TG_SPLIT: 0
	.text
	.p2align	2                               ; -- Begin function _ZN4vllm22paged_attention_kernelI14__hip_bfloat16hLi128ELi32ELi128ELNS_18Fp8KVCacheDataTypeE1ELb0ELi0EEEvPfS3_PT_PKS4_PKT0_SA_ifPKiSC_iPKfiiiSE_SE_iiiii
	.type	_ZN4vllm22paged_attention_kernelI14__hip_bfloat16hLi128ELi32ELi128ELNS_18Fp8KVCacheDataTypeE1ELb0ELi0EEEvPfS3_PT_PKS4_PKT0_SA_ifPKiSC_iPKfiiiSE_SE_iiiii,@function
_ZN4vllm22paged_attention_kernelI14__hip_bfloat16hLi128ELi32ELi128ELNS_18Fp8KVCacheDataTypeE1ELb0ELi0EEEvPfS3_PT_PKS4_PKT0_SA_ifPKiSC_iPKfiiiSE_SE_iiiii: ; @_ZN4vllm22paged_attention_kernelI14__hip_bfloat16hLi128ELi32ELi128ELNS_18Fp8KVCacheDataTypeE1ELb0ELi0EEEvPfS3_PT_PKS4_PKT0_SA_ifPKiSC_iPKfiiiSE_SE_iiiii
; %bb.0:
	s_waitcnt vmcnt(0) expcnt(0) lgkmcnt(0)
	scratch_store_dword off, v40, s32 offset:188 ; 4-byte Folded Spill
	scratch_store_dword off, v41, s32 offset:184 ; 4-byte Folded Spill
	;; [unrolled: 1-line block ×47, first 2 shown]
	scratch_store_dword off, a63, s32       ; 4-byte Folded Spill
	s_mov_b32 s10, s13
	s_ashr_i32 s11, s13, 31
	scratch_store_dwordx2 off, v[0:1], s32 offset:280 ; 8-byte Folded Spill
	v_lshl_add_u64 v[0:1], s[10:11], 2, v[12:13]
	flat_load_dword v29, v[0:1]
	v_sub_u32_e32 v0, 0, v8
	v_max_i32_e32 v0, v8, v0
	v_cvt_f32_u32_e32 v1, v0
	scratch_store_dword off, v9, s32 offset:272 ; 4-byte Folded Spill
	s_load_dword s0, s[8:9], 0x10
	s_load_dword s2, s[8:9], 0x0
	v_mov_b32_e32 v27, v7
	v_rcp_iflag_f32_e32 v1, v1
	v_sub_u32_e32 v7, 0, v0
	s_waitcnt lgkmcnt(0)
	s_lshr_b32 s0, s0, 16
	s_cmp_lg_u32 s0, 0
	v_mul_f32_e32 v1, 0x4f7ffffe, v1
	v_cvt_u32_f32_e32 v1, v1
	s_cselect_b64 s[0:1], -1, 0
	s_cmp_lg_u64 s[0:1], 0
	s_addc_u32 s11, s2, 0
	v_mul_lo_u32 v7, v7, v1
	v_mul_hi_u32 v7, v1, v7
	s_abs_i32 s0, s11
	v_add_u32_e32 v1, v1, v7
	v_mul_hi_u32 v1, s0, v1
	v_mul_lo_u32 v7, v1, v0
	v_sub_u32_e32 v7, s0, v7
	v_mov_b32_e32 v26, v6
	v_xor_b32_e32 v6, s11, v8
	v_add_u32_e32 v8, 1, v1
	v_cmp_ge_u32_e32 vcc, v7, v0
	v_ashrrev_i32_e32 v6, 31, v6
	v_mov_b32_e32 v25, v16
	v_cndmask_b32_e32 v1, v1, v8, vcc
	v_sub_u32_e32 v8, v7, v0
	v_cndmask_b32_e32 v7, v7, v8, vcc
	v_add_u32_e32 v8, 1, v1
	v_cmp_ge_u32_e32 vcc, v7, v0
	v_mov_b32_e32 v24, v15
	v_accvgpr_write_b32 a18, v20
	v_cndmask_b32_e32 v0, v1, v8, vcc
	v_xor_b32_e32 v0, v0, v6
	v_sub_u32_e32 v0, v0, v6
	v_sub_u32_e32 v1, 0, v0
	v_max_i32_e32 v1, v0, v1
	v_cvt_f32_u32_e32 v6, v1
	v_sub_u32_e32 v7, 0, v1
	s_abs_i32 s2, s12
	v_accvgpr_write_b32 a19, v21
	v_rcp_iflag_f32_e32 v6, v6
	v_accvgpr_write_b32 a4, v18
	s_mov_b32 s16, s15
	v_cmp_ne_u64_e32 vcc, 0, v[24:25]
	v_mul_f32_e32 v6, 0x4f7ffffe, v6
	v_cvt_u32_f32_e32 v6, v6
	v_mul_lo_u32 v7, v7, v6
	v_mul_hi_u32 v7, v6, v7
	v_add_u32_e32 v6, v6, v7
	v_mad_u64_u32 v[12:13], s[0:1], s2, v6, 0
	v_mov_b32_e32 v6, 0
	scratch_store_dword off, v6, s32 offset:268 ; 4-byte Folded Spill
	s_and_saveexec_b64 s[0:1], vcc
	s_cbranch_execz .LBB348_2
; %bb.1:
	s_ashr_i32 s13, s12, 31
	v_lshl_add_u64 v[6:7], s[12:13], 2, v[24:25]
	flat_load_dword v6, v[6:7]
	s_waitcnt vmcnt(0) lgkmcnt(0)
	scratch_store_dword off, v6, s32 offset:268 ; 4-byte Folded Spill
.LBB348_2:
	s_or_b64 exec, exec, s[0:1]
	v_and_b32_e32 v15, 0x3ff, v31
	s_ashr_i32 s3, s12, 31
	v_ashrrev_i32_e32 v6, 31, v0
	v_and_b32_e32 v0, 1, v15
	s_lshl_b32 s12, s12, 7
	v_cmp_gt_u32_e32 vcc, 32, v15
	v_lshlrev_b32_e32 v30, 3, v15
	s_and_saveexec_b64 s[0:1], vcc
	s_cbranch_execz .LBB348_4
; %bb.3:
	v_mul_lo_u32 v8, s10, v17
	v_ashrrev_i32_e32 v9, 31, v8
	v_lshl_add_u64 v[2:3], v[8:9], 1, v[2:3]
	s_ashr_i32 s13, s12, 31
	v_lshl_add_u64 v[2:3], s[12:13], 1, v[2:3]
	v_mov_b32_e32 v31, 0
	v_lshl_add_u64 v[2:3], v[2:3], 0, v[30:31]
	flat_load_dwordx2 v[2:3], v[2:3]
	v_lshlrev_b32_e32 v7, 2, v15
	v_and_b32_e32 v7, 0xff8, v7
	v_lshl_add_u32 v7, v0, 7, v7
	s_waitcnt vmcnt(0) lgkmcnt(0)
	ds_write_b64 v7, v[2:3]
.LBB348_4:
	s_or_b64 exec, exec, s[0:1]
	s_waitcnt vmcnt(0)
	v_add_u32_e32 v2, 31, v29
	v_ashrrev_i32_e32 v3, 31, v2
	v_lshrrev_b32_e32 v3, 27, v3
	v_add_u32_e32 v2, v2, v3
	v_mul_lo_u32 v3, v13, v1
	v_sub_u32_e32 v3, s2, v3
	v_ashrrev_i32_e32 v8, 5, v2
	v_xor_b32_e32 v2, s3, v6
	v_add_u32_e32 v6, 1, v13
	v_cmp_ge_u32_e32 vcc, v3, v1
	v_sub_u32_e32 v7, v3, v1
	v_lshrrev_b32_e32 v9, 6, v15
	v_cndmask_b32_e32 v6, v13, v6, vcc
	v_cndmask_b32_e32 v3, v3, v7, vcc
	v_add_u32_e32 v7, 1, v6
	v_cmp_ge_u32_e32 vcc, v3, v1
	v_mul_lo_u32 v32, s10, v14
	v_ashrrev_i32_e32 v33, 31, v32
	v_cndmask_b32_e32 v1, v6, v7, vcc
	v_xor_b32_e32 v1, v1, v2
	v_sub_u32_e32 v2, v1, v2
	v_cmp_lt_i32_e64 s[0:1], v9, v8
	v_accvgpr_write_b32 a5, v9
	v_cmp_ge_i32_e32 vcc, v9, v8
	v_mbcnt_lo_u32_b32 v1, -1, 0
	s_waitcnt lgkmcnt(0)
	s_barrier
	scratch_store_dword off, v8, s32 offset:192 ; 4-byte Folded Spill
                                        ; implicit-def: $sgpr4
                                        ; implicit-def: $vgpr8
                                        ; implicit-def: $vgpr9
	s_and_saveexec_b64 s[2:3], vcc
	s_xor_b64 s[2:3], exec, s[2:3]
; %bb.5:
	v_mbcnt_hi_u32_b32 v8, -1, v1
	v_and_b32_e32 v0, 64, v8
	v_add_u32_e32 v9, 64, v0
                                        ; implicit-def: $vgpr0
	s_mov_b32 s4, 0xff7fffff
                                        ; kill: killed $vgpr0
                                        ; implicit-def: $vgpr0
                                        ; kill: killed $vgpr0
                                        ; implicit-def: $agpr18
                                        ; implicit-def: $vgpr4
                                        ; implicit-def: $vgpr0
                                        ; implicit-def: $vgpr1
; %bb.6:
	s_or_saveexec_b64 s[6:7], s[2:3]
	s_load_dword s15, s[8:9], 0x14
	s_load_dword s13, s[8:9], 0x8
	v_mul_lo_u32 v36, v2, v19
	v_mov_b32_e32 v3, s4
	v_ashrrev_i32_e32 v37, 31, v36
	v_lshrrev_b32_e32 v28, 4, v15
	scratch_store_dword off, v15, s32 offset:276 ; 4-byte Folded Spill
	s_xor_b64 exec, exec, s[6:7]
	s_cbranch_execz .LBB348_268
; %bb.7:
	scratch_store_dwordx2 off, v[30:31], s32 offset:316 ; 8-byte Folded Spill
	scratch_store_dwordx2 off, v[26:27], s32 offset:324 ; 8-byte Folded Spill
	;; [unrolled: 1-line block ×3, first 2 shown]
	v_lshlrev_b32_e32 v2, 7, v0
	ds_read_b128 v[6:9], v2
	ds_read_b128 v[24:27], v2 offset:16
	v_mov_b32_e32 v22, v15
	ds_read_b128 v[14:17], v2 offset:32
	ds_read_b128 v[18:21], v2 offset:48
	v_mbcnt_hi_u32_b32 v1, -1, v1
	s_waitcnt lgkmcnt(0)
	v_lshlrev_b32_e32 v3, 16, v6
	scratch_store_dword off, v3, s32 offset:200 ; 4-byte Folded Spill
	v_and_b32_e32 v3, 0xffff0000, v6
	scratch_store_dword off, v3, s32 offset:204 ; 4-byte Folded Spill
	v_lshlrev_b32_e32 v3, 16, v7
	scratch_store_dword off, v3, s32 offset:208 ; 4-byte Folded Spill
	v_and_b32_e32 v3, 0xffff0000, v7
	scratch_store_dword off, v3, s32 offset:212 ; 4-byte Folded Spill
	;; [unrolled: 4-line block ×8, first 2 shown]
	v_lshlrev_b32_e32 v3, 16, v14
	scratch_store_dword off, v3, s32 offset:264 ; 4-byte Folded Spill
	v_and_b32_e32 v3, 0xffff0000, v14
	v_accvgpr_write_b32 a40, v3
	v_lshlrev_b32_e32 v3, 16, v15
	v_accvgpr_write_b32 a41, v3
	v_and_b32_e32 v3, 0xffff0000, v15
	v_accvgpr_write_b32 a42, v3
	v_lshlrev_b32_e32 v3, 16, v16
	v_accvgpr_write_b32 a43, v3
	;; [unrolled: 4-line block ×5, first 2 shown]
	v_and_b32_e32 v3, 0xffff0000, v19
	ds_read_b128 v[6:9], v2 offset:64
	ds_read_b128 v[12:15], v2 offset:80
	v_accvgpr_write_b32 a50, v3
	v_lshlrev_b32_e32 v3, 16, v20
	v_accvgpr_write_b32 a51, v3
	v_and_b32_e32 v3, 0xffff0000, v20
	v_accvgpr_write_b32 a52, v3
	v_lshlrev_b32_e32 v3, 16, v21
	v_accvgpr_write_b32 a53, v3
	v_and_b32_e32 v3, 0xffff0000, v21
	v_accvgpr_write_b32 a54, v3
	s_waitcnt lgkmcnt(1)
	v_lshlrev_b32_e32 v3, 16, v6
	v_accvgpr_write_b32 a55, v3
	v_and_b32_e32 v3, 0xffff0000, v6
	v_accvgpr_write_b32 a56, v3
	v_lshlrev_b32_e32 v3, 16, v7
	v_accvgpr_write_b32 a57, v3
	v_and_b32_e32 v3, 0xffff0000, v7
	v_accvgpr_write_b32 a58, v3
	v_lshlrev_b32_e32 v3, 16, v8
	v_accvgpr_write_b32 a59, v3
	v_and_b32_e32 v3, 0xffff0000, v8
	v_accvgpr_write_b32 a60, v3
	v_lshlrev_b32_e32 v3, 16, v9
	v_accvgpr_write_b32 a61, v3
	v_and_b32_e32 v3, 0xffff0000, v9
	v_accvgpr_write_b32 a62, v3
	s_waitcnt lgkmcnt(0)
	v_lshlrev_b32_e32 v3, 16, v12
	v_accvgpr_write_b32 a63, v3
	v_and_b32_e32 v3, 0xffff0000, v12
	v_accvgpr_write_b32 a0, v3
	v_lshlrev_b32_e32 v3, 16, v13
	v_accvgpr_write_b32 a1, v3
	v_and_b32_e32 v3, 0xffff0000, v13
	v_accvgpr_write_b32 a2, v3
	;; [unrolled: 4-line block ×3, first 2 shown]
	v_lshlrev_b32_e32 v3, 16, v15
	v_accvgpr_write_b32 a22, v3
	v_and_b32_e32 v3, 0xffff0000, v15
	ds_read_b128 v[6:9], v2 offset:96
	ds_read_b128 v[12:15], v2 offset:112
	v_accvgpr_write_b32 a21, v3
	v_cmp_eq_u32_e32 vcc, 0, v0
	s_ashr_i32 s17, s16, 31
	s_waitcnt lgkmcnt(1)
	v_lshlrev_b32_e32 v2, 16, v6
	v_accvgpr_write_b32 a13, v2
	v_and_b32_e32 v2, 0xffff0000, v6
	v_accvgpr_write_b32 a14, v2
	v_lshlrev_b32_e32 v2, 16, v7
	v_accvgpr_write_b32 a15, v2
	v_and_b32_e32 v2, 0xffff0000, v7
	v_accvgpr_write_b32 a12, v2
	;; [unrolled: 4-line block ×4, first 2 shown]
	s_waitcnt lgkmcnt(0)
	v_lshlrev_b32_e32 v2, 16, v12
	v_accvgpr_write_b32 a6, v2
	v_and_b32_e32 v2, 0xffff0000, v12
	v_accvgpr_write_b32 a7, v2
	v_lshlrev_b32_e32 v2, 16, v13
	v_accvgpr_write_b32 a3, v2
	v_and_b32_e32 v2, 0xffff0000, v13
	v_accvgpr_write_b32 a23, v2
	v_lshlrev_b32_e32 v2, 16, v14
	v_accvgpr_write_b32 a24, v2
	v_and_b32_e32 v2, 0xffff0000, v14
	v_accvgpr_write_b32 a25, v2
	v_lshlrev_b32_e32 v2, 16, v15
	v_accvgpr_write_b32 a26, v2
	v_and_b32_e32 v2, 0xffff0000, v15
	v_bfe_u32 v6, v22, 1, 5
	v_accvgpr_write_b32 a27, v2
	v_lshl_add_u64 v[2:3], v[4:5], 0, v[36:37]
	v_lshlrev_b32_e32 v4, 4, v6
	v_mov_b32_e32 v5, 0
	v_lshl_add_u64 v[2:3], v[2:3], 0, v[4:5]
	v_accvgpr_write_b32 a29, v3
	v_lshlrev_b32_e32 v4, 2, v0
	v_and_b32_e32 v0, 64, v1
	v_accvgpr_write_b32 a28, v2
	v_add_u32_e32 v2, 64, v0
	v_xor_b32_e32 v0, 1, v1
	v_cmp_lt_i32_e64 s[2:3], v0, v2
	scratch_store_dword off, v1, s32 offset:300 ; 4-byte Folded Spill
	s_lshl_b64 s[4:5], s[16:17], 2
	v_cndmask_b32_e64 v0, v1, v0, s[2:3]
	v_lshlrev_b32_e32 v0, 2, v0
	v_accvgpr_write_b32 a30, v0
	scratch_load_dword v0, off, s32 offset:268 ; 4-byte Folded Reload
	v_mov_b32_e32 v1, v5
	s_getpc_b64 s[8:9]
	s_add_u32 s8, s8, llvm.amdgcn.dynlds.offset.table@rel32@lo+4
	s_addc_u32 s9, s9, llvm.amdgcn.dynlds.offset.table@rel32@hi+12
	s_add_u32 s8, s4, s8
	v_accvgpr_read_b32 v31, a5
	s_addc_u32 s9, s5, s9
	v_lshl_or_b32 v54, v31, 5, v6
	s_mov_b64 s[18:19], 0
	s_mov_b32 s17, 0x7f800000
	s_movk_i32 s22, 0x7fff
	scratch_store_dwordx2 off, v[36:37], s32 offset:288 ; 8-byte Folded Spill
	scratch_store_dword off, v2, s32 offset:296 ; 4-byte Folded Spill
	scratch_store_dword off, v28, s32 offset:304 ; 4-byte Folded Spill
	scratch_store_dwordx2 off, v[32:33], s32 offset:308 ; 8-byte Folded Spill
	scratch_store_dwordx2 off, v[10:11], s32 offset:340 ; 8-byte Folded Spill
	s_waitcnt vmcnt(5)
	v_cmp_neq_f32_e64 s[2:3], 0, v0
	v_and_b32_e32 v0, 60, v28
	v_lshl_add_u64 v[0:1], v[32:33], 2, v[0:1]
	v_lshl_add_u64 v[14:15], v[10:11], 0, v[0:1]
	v_lshlrev_b32_e32 v0, 2, v6
	v_lshl_or_b32 v55, v31, 7, v0
	v_mov_b32_e32 v0, 0xff7fffff
	scratch_store_dword off, v0, s32 offset:196 ; 4-byte Folded Spill
	s_branch .LBB348_9
.LBB348_8:                              ;   in Loop: Header=BB348_9 Depth=1
	s_or_b64 exec, exec, s[20:21]
	scratch_load_dword v0, off, s32 offset:192 ; 4-byte Folded Reload
	v_add_u32_e32 v31, 2, v31
	v_lshl_add_u64 v[14:15], v[14:15], 0, 8
	v_add_u32_e32 v54, 64, v54
	v_add_u32_e32 v55, 0x100, v55
	s_waitcnt vmcnt(0)
	v_cmp_ge_i32_e64 s[4:5], v31, v0
	s_or_b64 s[18:19], s[4:5], s[18:19]
	s_andn2_b64 exec, exec, s[18:19]
	s_cbranch_execz .LBB348_267
.LBB348_9:                              ; =>This Inner Loop Header: Depth=1
	flat_load_dword v0, v[14:15]
	v_accvgpr_read_b32 v6, a28
	v_accvgpr_read_b32 v2, a4
	;; [unrolled: 1-line block ×3, first 2 shown]
                                        ; implicit-def: $vgpr9
	s_waitcnt vmcnt(0) lgkmcnt(0)
	v_mad_i64_i32 v[0:1], s[4:5], v0, v2, v[6:7]
	v_lshl_add_u64 v[16:17], v[0:1], 0, v[4:5]
	flat_load_dword v0, v[16:17]
	v_accvgpr_read_b32 v2, a18
	v_accvgpr_read_b32 v3, a19
	flat_load_dword v44, v[2:3]
	s_waitcnt vmcnt(0) lgkmcnt(0)
	v_and_b32_e32 v1, 0xff, v0
	v_cvt_f32_fp8_sdwa v1, v1 src0_sel:BYTE_0
	s_nop 0
	v_mul_f32_e32 v1, v44, v1
	v_and_b32_e32 v2, 0x7f800000, v1
	v_cmp_ne_u32_e64 s[4:5], s17, v2
	s_and_saveexec_b64 s[20:21], s[4:5]
	s_xor_b64 s[4:5], exec, s[20:21]
; %bb.10:                               ;   in Loop: Header=BB348_9 Depth=1
	v_bfe_u32 v2, v1, 16, 1
	v_add3_u32 v9, v1, v2, s22
                                        ; implicit-def: $vgpr1
; %bb.11:                               ;   in Loop: Header=BB348_9 Depth=1
	s_andn2_saveexec_b64 s[20:21], s[4:5]
; %bb.12:                               ;   in Loop: Header=BB348_9 Depth=1
	v_or_b32_e32 v2, 0x10000, v1
	v_cmp_eq_u32_sdwa s[4:5], v1, v5 src0_sel:WORD_0 src1_sel:DWORD
	s_nop 1
	v_cndmask_b32_e64 v9, v2, v1, s[4:5]
; %bb.13:                               ;   in Loop: Header=BB348_9 Depth=1
	s_or_b64 exec, exec, s[20:21]
	v_bfe_u32 v1, v0, 8, 8
	v_cvt_f32_fp8_sdwa v1, v1 src0_sel:BYTE_0
                                        ; implicit-def: $vgpr60
	s_nop 0
	v_mul_f32_e32 v1, v44, v1
	v_and_b32_e32 v2, 0x7f800000, v1
	v_cmp_ne_u32_e64 s[4:5], s17, v2
	s_and_saveexec_b64 s[20:21], s[4:5]
	s_xor_b64 s[4:5], exec, s[20:21]
; %bb.14:                               ;   in Loop: Header=BB348_9 Depth=1
	v_bfe_u32 v2, v1, 16, 1
	v_add3_u32 v60, v1, v2, s22
                                        ; implicit-def: $vgpr1
; %bb.15:                               ;   in Loop: Header=BB348_9 Depth=1
	s_andn2_saveexec_b64 s[20:21], s[4:5]
; %bb.16:                               ;   in Loop: Header=BB348_9 Depth=1
	v_or_b32_e32 v2, 0x10000, v1
	v_cmp_eq_u32_sdwa s[4:5], v1, v5 src0_sel:WORD_0 src1_sel:DWORD
	s_nop 1
	v_cndmask_b32_e64 v60, v2, v1, s[4:5]
; %bb.17:                               ;   in Loop: Header=BB348_9 Depth=1
	s_or_b64 exec, exec, s[20:21]
	v_bfe_u32 v1, v0, 16, 8
	v_cvt_f32_fp8_sdwa v1, v1 src0_sel:BYTE_0
                                        ; implicit-def: $vgpr61
	s_nop 0
	v_mul_f32_e32 v1, v44, v1
	v_and_b32_e32 v2, 0x7f800000, v1
	v_cmp_ne_u32_e64 s[4:5], s17, v2
	s_and_saveexec_b64 s[20:21], s[4:5]
	s_xor_b64 s[4:5], exec, s[20:21]
; %bb.18:                               ;   in Loop: Header=BB348_9 Depth=1
	v_bfe_u32 v2, v1, 16, 1
	v_add3_u32 v61, v1, v2, s22
                                        ; implicit-def: $vgpr1
; %bb.19:                               ;   in Loop: Header=BB348_9 Depth=1
	s_andn2_saveexec_b64 s[20:21], s[4:5]
; %bb.20:                               ;   in Loop: Header=BB348_9 Depth=1
	v_or_b32_e32 v2, 0x10000, v1
	v_cmp_eq_u32_sdwa s[4:5], v1, v5 src0_sel:WORD_0 src1_sel:DWORD
	s_nop 1
	v_cndmask_b32_e64 v61, v2, v1, s[4:5]
; %bb.21:                               ;   in Loop: Header=BB348_9 Depth=1
	s_or_b64 exec, exec, s[20:21]
	v_lshrrev_b32_e32 v0, 24, v0
	v_cvt_f32_fp8_sdwa v0, v0 src0_sel:BYTE_0
                                        ; implicit-def: $vgpr62
	s_nop 0
	v_mul_f32_e32 v0, v44, v0
	v_and_b32_e32 v1, 0x7f800000, v0
	v_cmp_ne_u32_e64 s[4:5], s17, v1
	s_and_saveexec_b64 s[20:21], s[4:5]
	s_xor_b64 s[4:5], exec, s[20:21]
; %bb.22:                               ;   in Loop: Header=BB348_9 Depth=1
	v_bfe_u32 v1, v0, 16, 1
	v_add3_u32 v62, v0, v1, s22
                                        ; implicit-def: $vgpr0
; %bb.23:                               ;   in Loop: Header=BB348_9 Depth=1
	s_andn2_saveexec_b64 s[20:21], s[4:5]
; %bb.24:                               ;   in Loop: Header=BB348_9 Depth=1
	v_or_b32_e32 v1, 0x10000, v0
	v_cmp_eq_u32_sdwa s[4:5], v0, v5 src0_sel:WORD_0 src1_sel:DWORD
	s_nop 1
	v_cndmask_b32_e64 v62, v1, v0, s[4:5]
; %bb.25:                               ;   in Loop: Header=BB348_9 Depth=1
	s_or_b64 exec, exec, s[20:21]
	flat_load_dword v0, v[16:17] offset:8
                                        ; implicit-def: $agpr31
	s_waitcnt vmcnt(0) lgkmcnt(0)
	v_and_b32_e32 v1, 0xff, v0
	v_cvt_f32_fp8_sdwa v1, v1 src0_sel:BYTE_0
	s_nop 0
	v_mul_f32_e32 v1, v44, v1
	v_and_b32_e32 v2, 0x7f800000, v1
	v_cmp_ne_u32_e64 s[4:5], s17, v2
	s_and_saveexec_b64 s[20:21], s[4:5]
	s_xor_b64 s[4:5], exec, s[20:21]
; %bb.26:                               ;   in Loop: Header=BB348_9 Depth=1
	v_bfe_u32 v2, v1, 16, 1
	v_add3_u32 v1, v1, v2, s22
	v_accvgpr_write_b32 a31, v1
                                        ; implicit-def: $vgpr1
; %bb.27:                               ;   in Loop: Header=BB348_9 Depth=1
	s_andn2_saveexec_b64 s[20:21], s[4:5]
; %bb.28:                               ;   in Loop: Header=BB348_9 Depth=1
	v_or_b32_e32 v2, 0x10000, v1
	v_cmp_eq_u32_sdwa s[4:5], v1, v5 src0_sel:WORD_0 src1_sel:DWORD
	s_nop 1
	v_cndmask_b32_e64 v1, v2, v1, s[4:5]
	v_accvgpr_write_b32 a31, v1
; %bb.29:                               ;   in Loop: Header=BB348_9 Depth=1
	s_or_b64 exec, exec, s[20:21]
	v_bfe_u32 v1, v0, 8, 8
	v_cvt_f32_fp8_sdwa v1, v1 src0_sel:BYTE_0
                                        ; implicit-def: $agpr20
	s_nop 0
	v_mul_f32_e32 v1, v44, v1
	v_and_b32_e32 v2, 0x7f800000, v1
	v_cmp_ne_u32_e64 s[4:5], s17, v2
	s_and_saveexec_b64 s[20:21], s[4:5]
	s_xor_b64 s[4:5], exec, s[20:21]
; %bb.30:                               ;   in Loop: Header=BB348_9 Depth=1
	v_bfe_u32 v2, v1, 16, 1
	v_add3_u32 v1, v1, v2, s22
	v_accvgpr_write_b32 a20, v1
                                        ; implicit-def: $vgpr1
; %bb.31:                               ;   in Loop: Header=BB348_9 Depth=1
	s_andn2_saveexec_b64 s[20:21], s[4:5]
; %bb.32:                               ;   in Loop: Header=BB348_9 Depth=1
	v_or_b32_e32 v2, 0x10000, v1
	v_cmp_eq_u32_sdwa s[4:5], v1, v5 src0_sel:WORD_0 src1_sel:DWORD
	s_nop 1
	v_cndmask_b32_e64 v1, v2, v1, s[4:5]
	v_accvgpr_write_b32 a20, v1
; %bb.33:                               ;   in Loop: Header=BB348_9 Depth=1
	s_or_b64 exec, exec, s[20:21]
	v_bfe_u32 v1, v0, 16, 8
	v_cvt_f32_fp8_sdwa v1, v1 src0_sel:BYTE_0
                                        ; implicit-def: $agpr32
	s_nop 0
	v_mul_f32_e32 v1, v44, v1
	v_and_b32_e32 v2, 0x7f800000, v1
	v_cmp_ne_u32_e64 s[4:5], s17, v2
	s_and_saveexec_b64 s[20:21], s[4:5]
	s_xor_b64 s[4:5], exec, s[20:21]
; %bb.34:                               ;   in Loop: Header=BB348_9 Depth=1
	v_bfe_u32 v2, v1, 16, 1
	v_add3_u32 v1, v1, v2, s22
	v_accvgpr_write_b32 a32, v1
                                        ; implicit-def: $vgpr1
; %bb.35:                               ;   in Loop: Header=BB348_9 Depth=1
	s_andn2_saveexec_b64 s[20:21], s[4:5]
; %bb.36:                               ;   in Loop: Header=BB348_9 Depth=1
	v_or_b32_e32 v2, 0x10000, v1
	v_cmp_eq_u32_sdwa s[4:5], v1, v5 src0_sel:WORD_0 src1_sel:DWORD
	s_nop 1
	v_cndmask_b32_e64 v1, v2, v1, s[4:5]
	v_accvgpr_write_b32 a32, v1
; %bb.37:                               ;   in Loop: Header=BB348_9 Depth=1
	s_or_b64 exec, exec, s[20:21]
	v_lshrrev_b32_e32 v0, 24, v0
	v_cvt_f32_fp8_sdwa v0, v0 src0_sel:BYTE_0
                                        ; implicit-def: $agpr33
	s_nop 0
	v_mul_f32_e32 v0, v44, v0
	v_and_b32_e32 v1, 0x7f800000, v0
	v_cmp_ne_u32_e64 s[4:5], s17, v1
	s_and_saveexec_b64 s[20:21], s[4:5]
	s_xor_b64 s[4:5], exec, s[20:21]
; %bb.38:                               ;   in Loop: Header=BB348_9 Depth=1
	v_bfe_u32 v1, v0, 16, 1
	v_add3_u32 v0, v0, v1, s22
	v_accvgpr_write_b32 a33, v0
                                        ; implicit-def: $vgpr0
; %bb.39:                               ;   in Loop: Header=BB348_9 Depth=1
	s_andn2_saveexec_b64 s[20:21], s[4:5]
; %bb.40:                               ;   in Loop: Header=BB348_9 Depth=1
	v_or_b32_e32 v1, 0x10000, v0
	v_cmp_eq_u32_sdwa s[4:5], v0, v5 src0_sel:WORD_0 src1_sel:DWORD
	s_nop 1
	v_cndmask_b32_e64 v0, v1, v0, s[4:5]
	v_accvgpr_write_b32 a33, v0
; %bb.41:                               ;   in Loop: Header=BB348_9 Depth=1
	s_or_b64 exec, exec, s[20:21]
	flat_load_dword v0, v[16:17] offset:512
                                        ; implicit-def: $agpr34
	s_waitcnt vmcnt(0) lgkmcnt(0)
	v_and_b32_e32 v1, 0xff, v0
	v_cvt_f32_fp8_sdwa v1, v1 src0_sel:BYTE_0
	s_nop 0
	v_mul_f32_e32 v1, v44, v1
	v_and_b32_e32 v2, 0x7f800000, v1
	v_cmp_ne_u32_e64 s[4:5], s17, v2
	s_and_saveexec_b64 s[20:21], s[4:5]
	s_xor_b64 s[4:5], exec, s[20:21]
; %bb.42:                               ;   in Loop: Header=BB348_9 Depth=1
	v_bfe_u32 v2, v1, 16, 1
	v_add3_u32 v1, v1, v2, s22
	v_accvgpr_write_b32 a34, v1
                                        ; implicit-def: $vgpr1
; %bb.43:                               ;   in Loop: Header=BB348_9 Depth=1
	s_andn2_saveexec_b64 s[20:21], s[4:5]
; %bb.44:                               ;   in Loop: Header=BB348_9 Depth=1
	v_or_b32_e32 v2, 0x10000, v1
	v_cmp_eq_u32_sdwa s[4:5], v1, v5 src0_sel:WORD_0 src1_sel:DWORD
	s_nop 1
	v_cndmask_b32_e64 v1, v2, v1, s[4:5]
	v_accvgpr_write_b32 a34, v1
; %bb.45:                               ;   in Loop: Header=BB348_9 Depth=1
	s_or_b64 exec, exec, s[20:21]
	v_bfe_u32 v1, v0, 8, 8
	v_cvt_f32_fp8_sdwa v1, v1 src0_sel:BYTE_0
                                        ; implicit-def: $agpr35
	s_nop 0
	v_mul_f32_e32 v1, v44, v1
	v_and_b32_e32 v2, 0x7f800000, v1
	v_cmp_ne_u32_e64 s[4:5], s17, v2
	s_and_saveexec_b64 s[20:21], s[4:5]
	s_xor_b64 s[4:5], exec, s[20:21]
; %bb.46:                               ;   in Loop: Header=BB348_9 Depth=1
	v_bfe_u32 v2, v1, 16, 1
	v_add3_u32 v1, v1, v2, s22
	v_accvgpr_write_b32 a35, v1
                                        ; implicit-def: $vgpr1
; %bb.47:                               ;   in Loop: Header=BB348_9 Depth=1
	s_andn2_saveexec_b64 s[20:21], s[4:5]
; %bb.48:                               ;   in Loop: Header=BB348_9 Depth=1
	v_or_b32_e32 v2, 0x10000, v1
	v_cmp_eq_u32_sdwa s[4:5], v1, v5 src0_sel:WORD_0 src1_sel:DWORD
	s_nop 1
	v_cndmask_b32_e64 v1, v2, v1, s[4:5]
	v_accvgpr_write_b32 a35, v1
; %bb.49:                               ;   in Loop: Header=BB348_9 Depth=1
	s_or_b64 exec, exec, s[20:21]
	v_bfe_u32 v1, v0, 16, 8
	v_cvt_f32_fp8_sdwa v1, v1 src0_sel:BYTE_0
                                        ; implicit-def: $agpr36
	s_nop 0
	v_mul_f32_e32 v1, v44, v1
	v_and_b32_e32 v2, 0x7f800000, v1
	v_cmp_ne_u32_e64 s[4:5], s17, v2
	s_and_saveexec_b64 s[20:21], s[4:5]
	s_xor_b64 s[4:5], exec, s[20:21]
; %bb.50:                               ;   in Loop: Header=BB348_9 Depth=1
	v_bfe_u32 v2, v1, 16, 1
	v_add3_u32 v1, v1, v2, s22
	v_accvgpr_write_b32 a36, v1
                                        ; implicit-def: $vgpr1
; %bb.51:                               ;   in Loop: Header=BB348_9 Depth=1
	s_andn2_saveexec_b64 s[20:21], s[4:5]
; %bb.52:                               ;   in Loop: Header=BB348_9 Depth=1
	v_or_b32_e32 v2, 0x10000, v1
	v_cmp_eq_u32_sdwa s[4:5], v1, v5 src0_sel:WORD_0 src1_sel:DWORD
	s_nop 1
	v_cndmask_b32_e64 v1, v2, v1, s[4:5]
	v_accvgpr_write_b32 a36, v1
; %bb.53:                               ;   in Loop: Header=BB348_9 Depth=1
	s_or_b64 exec, exec, s[20:21]
	v_lshrrev_b32_e32 v0, 24, v0
	v_cvt_f32_fp8_sdwa v0, v0 src0_sel:BYTE_0
                                        ; implicit-def: $agpr37
	s_nop 0
	v_mul_f32_e32 v0, v44, v0
	v_and_b32_e32 v1, 0x7f800000, v0
	v_cmp_ne_u32_e64 s[4:5], s17, v1
	s_and_saveexec_b64 s[20:21], s[4:5]
	s_xor_b64 s[4:5], exec, s[20:21]
; %bb.54:                               ;   in Loop: Header=BB348_9 Depth=1
	v_bfe_u32 v1, v0, 16, 1
	v_add3_u32 v0, v0, v1, s22
	v_accvgpr_write_b32 a37, v0
                                        ; implicit-def: $vgpr0
; %bb.55:                               ;   in Loop: Header=BB348_9 Depth=1
	s_andn2_saveexec_b64 s[20:21], s[4:5]
; %bb.56:                               ;   in Loop: Header=BB348_9 Depth=1
	v_or_b32_e32 v1, 0x10000, v0
	v_cmp_eq_u32_sdwa s[4:5], v0, v5 src0_sel:WORD_0 src1_sel:DWORD
	s_nop 1
	v_cndmask_b32_e64 v0, v1, v0, s[4:5]
	v_accvgpr_write_b32 a37, v0
; %bb.57:                               ;   in Loop: Header=BB348_9 Depth=1
	s_or_b64 exec, exec, s[20:21]
	flat_load_dword v0, v[16:17] offset:520
                                        ; implicit-def: $agpr38
	s_waitcnt vmcnt(0) lgkmcnt(0)
	v_and_b32_e32 v1, 0xff, v0
	v_cvt_f32_fp8_sdwa v1, v1 src0_sel:BYTE_0
	s_nop 0
	v_mul_f32_e32 v1, v44, v1
	v_and_b32_e32 v2, 0x7f800000, v1
	v_cmp_ne_u32_e64 s[4:5], s17, v2
	s_and_saveexec_b64 s[20:21], s[4:5]
	s_xor_b64 s[4:5], exec, s[20:21]
; %bb.58:                               ;   in Loop: Header=BB348_9 Depth=1
	v_bfe_u32 v2, v1, 16, 1
	v_add3_u32 v1, v1, v2, s22
	v_accvgpr_write_b32 a38, v1
                                        ; implicit-def: $vgpr1
; %bb.59:                               ;   in Loop: Header=BB348_9 Depth=1
	s_andn2_saveexec_b64 s[20:21], s[4:5]
; %bb.60:                               ;   in Loop: Header=BB348_9 Depth=1
	v_or_b32_e32 v2, 0x10000, v1
	v_cmp_eq_u32_sdwa s[4:5], v1, v5 src0_sel:WORD_0 src1_sel:DWORD
	s_nop 1
	v_cndmask_b32_e64 v1, v2, v1, s[4:5]
	v_accvgpr_write_b32 a38, v1
; %bb.61:                               ;   in Loop: Header=BB348_9 Depth=1
	s_or_b64 exec, exec, s[20:21]
	v_bfe_u32 v1, v0, 8, 8
	v_cvt_f32_fp8_sdwa v1, v1 src0_sel:BYTE_0
                                        ; implicit-def: $agpr39
	s_nop 0
	v_mul_f32_e32 v1, v44, v1
	v_and_b32_e32 v2, 0x7f800000, v1
	v_cmp_ne_u32_e64 s[4:5], s17, v2
	s_and_saveexec_b64 s[20:21], s[4:5]
	s_xor_b64 s[4:5], exec, s[20:21]
; %bb.62:                               ;   in Loop: Header=BB348_9 Depth=1
	v_bfe_u32 v2, v1, 16, 1
	v_add3_u32 v1, v1, v2, s22
	v_accvgpr_write_b32 a39, v1
                                        ; implicit-def: $vgpr1
; %bb.63:                               ;   in Loop: Header=BB348_9 Depth=1
	s_andn2_saveexec_b64 s[20:21], s[4:5]
; %bb.64:                               ;   in Loop: Header=BB348_9 Depth=1
	v_or_b32_e32 v2, 0x10000, v1
	v_cmp_eq_u32_sdwa s[4:5], v1, v5 src0_sel:WORD_0 src1_sel:DWORD
	s_nop 1
	v_cndmask_b32_e64 v1, v2, v1, s[4:5]
	v_accvgpr_write_b32 a39, v1
; %bb.65:                               ;   in Loop: Header=BB348_9 Depth=1
	s_or_b64 exec, exec, s[20:21]
	v_bfe_u32 v1, v0, 16, 8
	v_cvt_f32_fp8_sdwa v1, v1 src0_sel:BYTE_0
                                        ; implicit-def: $vgpr63
	s_nop 0
	v_mul_f32_e32 v1, v44, v1
	v_and_b32_e32 v2, 0x7f800000, v1
	v_cmp_ne_u32_e64 s[4:5], s17, v2
	s_and_saveexec_b64 s[20:21], s[4:5]
	s_xor_b64 s[4:5], exec, s[20:21]
; %bb.66:                               ;   in Loop: Header=BB348_9 Depth=1
	v_bfe_u32 v2, v1, 16, 1
	v_add3_u32 v63, v1, v2, s22
                                        ; implicit-def: $vgpr1
; %bb.67:                               ;   in Loop: Header=BB348_9 Depth=1
	s_andn2_saveexec_b64 s[20:21], s[4:5]
; %bb.68:                               ;   in Loop: Header=BB348_9 Depth=1
	v_or_b32_e32 v2, 0x10000, v1
	v_cmp_eq_u32_sdwa s[4:5], v1, v5 src0_sel:WORD_0 src1_sel:DWORD
	s_nop 1
	v_cndmask_b32_e64 v63, v2, v1, s[4:5]
; %bb.69:                               ;   in Loop: Header=BB348_9 Depth=1
	s_or_b64 exec, exec, s[20:21]
	v_lshrrev_b32_e32 v0, 24, v0
	v_cvt_f32_fp8_sdwa v0, v0 src0_sel:BYTE_0
	s_nop 0
	v_mul_f32_e32 v0, v44, v0
	v_and_b32_e32 v1, 0x7f800000, v0
	v_cmp_ne_u32_e64 s[4:5], s17, v1
                                        ; implicit-def: $vgpr1
	s_and_saveexec_b64 s[20:21], s[4:5]
	s_xor_b64 s[4:5], exec, s[20:21]
; %bb.70:                               ;   in Loop: Header=BB348_9 Depth=1
	v_bfe_u32 v1, v0, 16, 1
	v_add3_u32 v1, v0, v1, s22
                                        ; implicit-def: $vgpr0
; %bb.71:                               ;   in Loop: Header=BB348_9 Depth=1
	s_andn2_saveexec_b64 s[20:21], s[4:5]
; %bb.72:                               ;   in Loop: Header=BB348_9 Depth=1
	v_or_b32_e32 v1, 0x10000, v0
	v_cmp_eq_u32_sdwa s[4:5], v0, v5 src0_sel:WORD_0 src1_sel:DWORD
	s_nop 1
	v_cndmask_b32_e64 v1, v1, v0, s[4:5]
; %bb.73:                               ;   in Loop: Header=BB348_9 Depth=1
	s_or_b64 exec, exec, s[20:21]
	flat_load_dword v0, v[16:17] offset:1024
	s_waitcnt vmcnt(0) lgkmcnt(0)
	v_and_b32_e32 v2, 0xff, v0
	v_cvt_f32_fp8_sdwa v2, v2 src0_sel:BYTE_0
	s_nop 0
	v_mul_f32_e32 v3, v44, v2
	v_and_b32_e32 v2, 0x7f800000, v3
	v_cmp_ne_u32_e64 s[4:5], s17, v2
                                        ; implicit-def: $vgpr2
	s_and_saveexec_b64 s[20:21], s[4:5]
	s_xor_b64 s[4:5], exec, s[20:21]
; %bb.74:                               ;   in Loop: Header=BB348_9 Depth=1
	v_bfe_u32 v2, v3, 16, 1
	v_add3_u32 v2, v3, v2, s22
                                        ; implicit-def: $vgpr3
; %bb.75:                               ;   in Loop: Header=BB348_9 Depth=1
	s_andn2_saveexec_b64 s[20:21], s[4:5]
; %bb.76:                               ;   in Loop: Header=BB348_9 Depth=1
	v_or_b32_e32 v2, 0x10000, v3
	v_cmp_eq_u32_sdwa s[4:5], v3, v5 src0_sel:WORD_0 src1_sel:DWORD
	s_nop 1
	v_cndmask_b32_e64 v2, v2, v3, s[4:5]
; %bb.77:                               ;   in Loop: Header=BB348_9 Depth=1
	s_or_b64 exec, exec, s[20:21]
	v_bfe_u32 v3, v0, 8, 8
	v_cvt_f32_fp8_sdwa v3, v3 src0_sel:BYTE_0
	s_nop 0
	v_mul_f32_e32 v6, v44, v3
	v_and_b32_e32 v3, 0x7f800000, v6
	v_cmp_ne_u32_e64 s[4:5], s17, v3
                                        ; implicit-def: $vgpr3
	s_and_saveexec_b64 s[20:21], s[4:5]
	s_xor_b64 s[4:5], exec, s[20:21]
; %bb.78:                               ;   in Loop: Header=BB348_9 Depth=1
	v_bfe_u32 v3, v6, 16, 1
	v_add3_u32 v3, v6, v3, s22
                                        ; implicit-def: $vgpr6
; %bb.79:                               ;   in Loop: Header=BB348_9 Depth=1
	s_andn2_saveexec_b64 s[20:21], s[4:5]
; %bb.80:                               ;   in Loop: Header=BB348_9 Depth=1
	v_or_b32_e32 v3, 0x10000, v6
	v_cmp_eq_u32_sdwa s[4:5], v6, v5 src0_sel:WORD_0 src1_sel:DWORD
	s_nop 1
	v_cndmask_b32_e64 v3, v3, v6, s[4:5]
; %bb.81:                               ;   in Loop: Header=BB348_9 Depth=1
	s_or_b64 exec, exec, s[20:21]
	v_bfe_u32 v6, v0, 16, 8
	v_cvt_f32_fp8_sdwa v6, v6 src0_sel:BYTE_0
                                        ; implicit-def: $vgpr24
	s_nop 0
	v_mul_f32_e32 v6, v44, v6
	v_and_b32_e32 v7, 0x7f800000, v6
	v_cmp_ne_u32_e64 s[4:5], s17, v7
	s_and_saveexec_b64 s[20:21], s[4:5]
	s_xor_b64 s[4:5], exec, s[20:21]
; %bb.82:                               ;   in Loop: Header=BB348_9 Depth=1
	v_bfe_u32 v7, v6, 16, 1
	v_add3_u32 v24, v6, v7, s22
                                        ; implicit-def: $vgpr6
; %bb.83:                               ;   in Loop: Header=BB348_9 Depth=1
	s_andn2_saveexec_b64 s[20:21], s[4:5]
; %bb.84:                               ;   in Loop: Header=BB348_9 Depth=1
	v_or_b32_e32 v7, 0x10000, v6
	v_cmp_eq_u32_sdwa s[4:5], v6, v5 src0_sel:WORD_0 src1_sel:DWORD
	s_nop 1
	v_cndmask_b32_e64 v24, v7, v6, s[4:5]
; %bb.85:                               ;   in Loop: Header=BB348_9 Depth=1
	s_or_b64 exec, exec, s[20:21]
	v_lshrrev_b32_e32 v0, 24, v0
	v_cvt_f32_fp8_sdwa v0, v0 src0_sel:BYTE_0
                                        ; implicit-def: $vgpr23
	s_nop 0
	v_mul_f32_e32 v0, v44, v0
	v_and_b32_e32 v6, 0x7f800000, v0
	v_cmp_ne_u32_e64 s[4:5], s17, v6
	s_and_saveexec_b64 s[20:21], s[4:5]
	s_xor_b64 s[4:5], exec, s[20:21]
; %bb.86:                               ;   in Loop: Header=BB348_9 Depth=1
	v_bfe_u32 v6, v0, 16, 1
	v_add3_u32 v23, v0, v6, s22
                                        ; implicit-def: $vgpr0
; %bb.87:                               ;   in Loop: Header=BB348_9 Depth=1
	s_andn2_saveexec_b64 s[20:21], s[4:5]
; %bb.88:                               ;   in Loop: Header=BB348_9 Depth=1
	v_or_b32_e32 v6, 0x10000, v0
	v_cmp_eq_u32_sdwa s[4:5], v0, v5 src0_sel:WORD_0 src1_sel:DWORD
	s_nop 1
	v_cndmask_b32_e64 v23, v6, v0, s[4:5]
; %bb.89:                               ;   in Loop: Header=BB348_9 Depth=1
	s_or_b64 exec, exec, s[20:21]
	flat_load_dword v0, v[16:17] offset:1032
                                        ; implicit-def: $vgpr22
	s_waitcnt vmcnt(0) lgkmcnt(0)
	v_and_b32_e32 v6, 0xff, v0
	v_cvt_f32_fp8_sdwa v6, v6 src0_sel:BYTE_0
	s_nop 0
	v_mul_f32_e32 v6, v44, v6
	v_and_b32_e32 v7, 0x7f800000, v6
	v_cmp_ne_u32_e64 s[4:5], s17, v7
	s_and_saveexec_b64 s[20:21], s[4:5]
	s_xor_b64 s[4:5], exec, s[20:21]
; %bb.90:                               ;   in Loop: Header=BB348_9 Depth=1
	v_bfe_u32 v7, v6, 16, 1
	v_add3_u32 v22, v6, v7, s22
                                        ; implicit-def: $vgpr6
; %bb.91:                               ;   in Loop: Header=BB348_9 Depth=1
	s_andn2_saveexec_b64 s[20:21], s[4:5]
; %bb.92:                               ;   in Loop: Header=BB348_9 Depth=1
	v_or_b32_e32 v7, 0x10000, v6
	v_cmp_eq_u32_sdwa s[4:5], v6, v5 src0_sel:WORD_0 src1_sel:DWORD
	s_nop 1
	v_cndmask_b32_e64 v22, v7, v6, s[4:5]
; %bb.93:                               ;   in Loop: Header=BB348_9 Depth=1
	s_or_b64 exec, exec, s[20:21]
	v_bfe_u32 v6, v0, 8, 8
	v_cvt_f32_fp8_sdwa v6, v6 src0_sel:BYTE_0
	s_nop 0
	v_mul_f32_e32 v6, v44, v6
	v_and_b32_e32 v7, 0x7f800000, v6
	v_cmp_ne_u32_e64 s[4:5], s17, v7
                                        ; implicit-def: $vgpr7
	s_and_saveexec_b64 s[20:21], s[4:5]
	s_xor_b64 s[4:5], exec, s[20:21]
; %bb.94:                               ;   in Loop: Header=BB348_9 Depth=1
	v_bfe_u32 v7, v6, 16, 1
	v_add3_u32 v7, v6, v7, s22
                                        ; implicit-def: $vgpr6
; %bb.95:                               ;   in Loop: Header=BB348_9 Depth=1
	s_andn2_saveexec_b64 s[20:21], s[4:5]
; %bb.96:                               ;   in Loop: Header=BB348_9 Depth=1
	v_or_b32_e32 v7, 0x10000, v6
	v_cmp_eq_u32_sdwa s[4:5], v6, v5 src0_sel:WORD_0 src1_sel:DWORD
	s_nop 1
	v_cndmask_b32_e64 v7, v7, v6, s[4:5]
; %bb.97:                               ;   in Loop: Header=BB348_9 Depth=1
	s_or_b64 exec, exec, s[20:21]
	v_bfe_u32 v6, v0, 16, 8
	v_cvt_f32_fp8_sdwa v6, v6 src0_sel:BYTE_0
	s_nop 0
	v_mul_f32_e32 v8, v44, v6
	v_and_b32_e32 v6, 0x7f800000, v8
	v_cmp_ne_u32_e64 s[4:5], s17, v6
                                        ; implicit-def: $vgpr6
	s_and_saveexec_b64 s[20:21], s[4:5]
	s_xor_b64 s[4:5], exec, s[20:21]
; %bb.98:                               ;   in Loop: Header=BB348_9 Depth=1
	v_bfe_u32 v6, v8, 16, 1
	v_add3_u32 v6, v8, v6, s22
                                        ; implicit-def: $vgpr8
; %bb.99:                               ;   in Loop: Header=BB348_9 Depth=1
	s_andn2_saveexec_b64 s[20:21], s[4:5]
; %bb.100:                              ;   in Loop: Header=BB348_9 Depth=1
	v_or_b32_e32 v6, 0x10000, v8
	v_cmp_eq_u32_sdwa s[4:5], v8, v5 src0_sel:WORD_0 src1_sel:DWORD
	s_nop 1
	v_cndmask_b32_e64 v6, v6, v8, s[4:5]
; %bb.101:                              ;   in Loop: Header=BB348_9 Depth=1
	s_or_b64 exec, exec, s[20:21]
	v_lshrrev_b32_e32 v0, 24, v0
	v_cvt_f32_fp8_sdwa v0, v0 src0_sel:BYTE_0
                                        ; implicit-def: $vgpr26
	s_nop 0
	v_mul_f32_e32 v0, v44, v0
	v_and_b32_e32 v8, 0x7f800000, v0
	v_cmp_ne_u32_e64 s[4:5], s17, v8
	s_and_saveexec_b64 s[20:21], s[4:5]
	s_xor_b64 s[4:5], exec, s[20:21]
; %bb.102:                              ;   in Loop: Header=BB348_9 Depth=1
	v_bfe_u32 v8, v0, 16, 1
	v_add3_u32 v26, v0, v8, s22
                                        ; implicit-def: $vgpr0
; %bb.103:                              ;   in Loop: Header=BB348_9 Depth=1
	s_andn2_saveexec_b64 s[20:21], s[4:5]
; %bb.104:                              ;   in Loop: Header=BB348_9 Depth=1
	v_or_b32_e32 v8, 0x10000, v0
	v_cmp_eq_u32_sdwa s[4:5], v0, v5 src0_sel:WORD_0 src1_sel:DWORD
	s_nop 1
	v_cndmask_b32_e64 v26, v8, v0, s[4:5]
; %bb.105:                              ;   in Loop: Header=BB348_9 Depth=1
	s_or_b64 exec, exec, s[20:21]
	flat_load_dword v0, v[16:17] offset:1536
                                        ; implicit-def: $vgpr27
	s_waitcnt vmcnt(0) lgkmcnt(0)
	v_and_b32_e32 v8, 0xff, v0
	v_cvt_f32_fp8_sdwa v8, v8 src0_sel:BYTE_0
	s_nop 0
	v_mul_f32_e32 v8, v44, v8
	v_and_b32_e32 v10, 0x7f800000, v8
	v_cmp_ne_u32_e64 s[4:5], s17, v10
	s_and_saveexec_b64 s[20:21], s[4:5]
	s_xor_b64 s[4:5], exec, s[20:21]
; %bb.106:                              ;   in Loop: Header=BB348_9 Depth=1
	v_bfe_u32 v10, v8, 16, 1
	v_add3_u32 v27, v8, v10, s22
                                        ; implicit-def: $vgpr8
; %bb.107:                              ;   in Loop: Header=BB348_9 Depth=1
	s_andn2_saveexec_b64 s[20:21], s[4:5]
; %bb.108:                              ;   in Loop: Header=BB348_9 Depth=1
	v_or_b32_e32 v10, 0x10000, v8
	v_cmp_eq_u32_sdwa s[4:5], v8, v5 src0_sel:WORD_0 src1_sel:DWORD
	s_nop 1
	v_cndmask_b32_e64 v27, v10, v8, s[4:5]
; %bb.109:                              ;   in Loop: Header=BB348_9 Depth=1
	s_or_b64 exec, exec, s[20:21]
	v_bfe_u32 v8, v0, 8, 8
	v_cvt_f32_fp8_sdwa v8, v8 src0_sel:BYTE_0
	s_nop 0
	v_mul_f32_e32 v8, v44, v8
	v_and_b32_e32 v10, 0x7f800000, v8
	v_cmp_ne_u32_e64 s[4:5], s17, v10
                                        ; implicit-def: $vgpr10
	s_and_saveexec_b64 s[20:21], s[4:5]
	s_xor_b64 s[4:5], exec, s[20:21]
; %bb.110:                              ;   in Loop: Header=BB348_9 Depth=1
	v_bfe_u32 v10, v8, 16, 1
	v_add3_u32 v10, v8, v10, s22
                                        ; implicit-def: $vgpr8
; %bb.111:                              ;   in Loop: Header=BB348_9 Depth=1
	s_andn2_saveexec_b64 s[20:21], s[4:5]
; %bb.112:                              ;   in Loop: Header=BB348_9 Depth=1
	v_or_b32_e32 v10, 0x10000, v8
	v_cmp_eq_u32_sdwa s[4:5], v8, v5 src0_sel:WORD_0 src1_sel:DWORD
	s_nop 1
	v_cndmask_b32_e64 v10, v10, v8, s[4:5]
; %bb.113:                              ;   in Loop: Header=BB348_9 Depth=1
	s_or_b64 exec, exec, s[20:21]
	v_bfe_u32 v8, v0, 16, 8
	v_cvt_f32_fp8_sdwa v8, v8 src0_sel:BYTE_0
	s_nop 0
	v_mul_f32_e32 v8, v44, v8
	v_and_b32_e32 v11, 0x7f800000, v8
	v_cmp_ne_u32_e64 s[4:5], s17, v11
                                        ; implicit-def: $vgpr11
	s_and_saveexec_b64 s[20:21], s[4:5]
	s_xor_b64 s[4:5], exec, s[20:21]
; %bb.114:                              ;   in Loop: Header=BB348_9 Depth=1
	v_bfe_u32 v11, v8, 16, 1
	v_add3_u32 v11, v8, v11, s22
                                        ; implicit-def: $vgpr8
; %bb.115:                              ;   in Loop: Header=BB348_9 Depth=1
	s_andn2_saveexec_b64 s[20:21], s[4:5]
; %bb.116:                              ;   in Loop: Header=BB348_9 Depth=1
	v_or_b32_e32 v11, 0x10000, v8
	v_cmp_eq_u32_sdwa s[4:5], v8, v5 src0_sel:WORD_0 src1_sel:DWORD
	s_nop 1
	v_cndmask_b32_e64 v11, v11, v8, s[4:5]
; %bb.117:                              ;   in Loop: Header=BB348_9 Depth=1
	s_or_b64 exec, exec, s[20:21]
	v_lshrrev_b32_e32 v0, 24, v0
	v_cvt_f32_fp8_sdwa v0, v0 src0_sel:BYTE_0
                                        ; implicit-def: $vgpr25
	s_nop 0
	v_mul_f32_e32 v0, v44, v0
	v_and_b32_e32 v8, 0x7f800000, v0
	v_cmp_ne_u32_e64 s[4:5], s17, v8
	s_and_saveexec_b64 s[20:21], s[4:5]
	s_xor_b64 s[4:5], exec, s[20:21]
; %bb.118:                              ;   in Loop: Header=BB348_9 Depth=1
	v_bfe_u32 v8, v0, 16, 1
	v_add3_u32 v25, v0, v8, s22
                                        ; implicit-def: $vgpr0
; %bb.119:                              ;   in Loop: Header=BB348_9 Depth=1
	s_andn2_saveexec_b64 s[20:21], s[4:5]
; %bb.120:                              ;   in Loop: Header=BB348_9 Depth=1
	v_or_b32_e32 v8, 0x10000, v0
	v_cmp_eq_u32_sdwa s[4:5], v0, v5 src0_sel:WORD_0 src1_sel:DWORD
	s_nop 1
	v_cndmask_b32_e64 v25, v8, v0, s[4:5]
; %bb.121:                              ;   in Loop: Header=BB348_9 Depth=1
	s_or_b64 exec, exec, s[20:21]
	flat_load_dword v0, v[16:17] offset:1544
                                        ; implicit-def: $vgpr18
	s_waitcnt vmcnt(0) lgkmcnt(0)
	v_and_b32_e32 v8, 0xff, v0
	v_cvt_f32_fp8_sdwa v8, v8 src0_sel:BYTE_0
	s_nop 0
	v_mul_f32_e32 v8, v44, v8
	v_and_b32_e32 v12, 0x7f800000, v8
	v_cmp_ne_u32_e64 s[4:5], s17, v12
	s_and_saveexec_b64 s[20:21], s[4:5]
	s_xor_b64 s[4:5], exec, s[20:21]
; %bb.122:                              ;   in Loop: Header=BB348_9 Depth=1
	v_bfe_u32 v12, v8, 16, 1
	v_add3_u32 v18, v8, v12, s22
                                        ; implicit-def: $vgpr8
; %bb.123:                              ;   in Loop: Header=BB348_9 Depth=1
	s_andn2_saveexec_b64 s[20:21], s[4:5]
; %bb.124:                              ;   in Loop: Header=BB348_9 Depth=1
	v_or_b32_e32 v12, 0x10000, v8
	v_cmp_eq_u32_sdwa s[4:5], v8, v5 src0_sel:WORD_0 src1_sel:DWORD
	s_nop 1
	v_cndmask_b32_e64 v18, v12, v8, s[4:5]
; %bb.125:                              ;   in Loop: Header=BB348_9 Depth=1
	s_or_b64 exec, exec, s[20:21]
	v_bfe_u32 v8, v0, 8, 8
	v_cvt_f32_fp8_sdwa v8, v8 src0_sel:BYTE_0
                                        ; implicit-def: $vgpr19
	s_nop 0
	v_mul_f32_e32 v8, v44, v8
	v_and_b32_e32 v12, 0x7f800000, v8
	v_cmp_ne_u32_e64 s[4:5], s17, v12
	s_and_saveexec_b64 s[20:21], s[4:5]
	s_xor_b64 s[4:5], exec, s[20:21]
; %bb.126:                              ;   in Loop: Header=BB348_9 Depth=1
	v_bfe_u32 v12, v8, 16, 1
	v_add3_u32 v19, v8, v12, s22
                                        ; implicit-def: $vgpr8
; %bb.127:                              ;   in Loop: Header=BB348_9 Depth=1
	s_andn2_saveexec_b64 s[20:21], s[4:5]
; %bb.128:                              ;   in Loop: Header=BB348_9 Depth=1
	v_or_b32_e32 v12, 0x10000, v8
	v_cmp_eq_u32_sdwa s[4:5], v8, v5 src0_sel:WORD_0 src1_sel:DWORD
	s_nop 1
	v_cndmask_b32_e64 v19, v12, v8, s[4:5]
; %bb.129:                              ;   in Loop: Header=BB348_9 Depth=1
	s_or_b64 exec, exec, s[20:21]
	v_bfe_u32 v8, v0, 16, 8
	v_cvt_f32_fp8_sdwa v8, v8 src0_sel:BYTE_0
                                        ; implicit-def: $vgpr28
	s_nop 0
	v_mul_f32_e32 v8, v44, v8
	v_and_b32_e32 v12, 0x7f800000, v8
	v_cmp_ne_u32_e64 s[4:5], s17, v12
	s_and_saveexec_b64 s[20:21], s[4:5]
	s_xor_b64 s[4:5], exec, s[20:21]
; %bb.130:                              ;   in Loop: Header=BB348_9 Depth=1
	v_bfe_u32 v12, v8, 16, 1
	v_add3_u32 v28, v8, v12, s22
                                        ; implicit-def: $vgpr8
; %bb.131:                              ;   in Loop: Header=BB348_9 Depth=1
	s_andn2_saveexec_b64 s[20:21], s[4:5]
; %bb.132:                              ;   in Loop: Header=BB348_9 Depth=1
	v_or_b32_e32 v12, 0x10000, v8
	v_cmp_eq_u32_sdwa s[4:5], v8, v5 src0_sel:WORD_0 src1_sel:DWORD
	s_nop 1
	v_cndmask_b32_e64 v28, v12, v8, s[4:5]
; %bb.133:                              ;   in Loop: Header=BB348_9 Depth=1
	s_or_b64 exec, exec, s[20:21]
	v_lshrrev_b32_e32 v0, 24, v0
	v_cvt_f32_fp8_sdwa v0, v0 src0_sel:BYTE_0
                                        ; implicit-def: $vgpr30
	s_nop 0
	v_mul_f32_e32 v0, v44, v0
	v_and_b32_e32 v8, 0x7f800000, v0
	v_cmp_ne_u32_e64 s[4:5], s17, v8
	s_and_saveexec_b64 s[20:21], s[4:5]
	s_xor_b64 s[4:5], exec, s[20:21]
; %bb.134:                              ;   in Loop: Header=BB348_9 Depth=1
	v_bfe_u32 v8, v0, 16, 1
	v_add3_u32 v30, v0, v8, s22
                                        ; implicit-def: $vgpr0
; %bb.135:                              ;   in Loop: Header=BB348_9 Depth=1
	s_andn2_saveexec_b64 s[20:21], s[4:5]
; %bb.136:                              ;   in Loop: Header=BB348_9 Depth=1
	v_or_b32_e32 v8, 0x10000, v0
	v_cmp_eq_u32_sdwa s[4:5], v0, v5 src0_sel:WORD_0 src1_sel:DWORD
	s_nop 1
	v_cndmask_b32_e64 v30, v8, v0, s[4:5]
; %bb.137:                              ;   in Loop: Header=BB348_9 Depth=1
	s_or_b64 exec, exec, s[20:21]
	flat_load_dword v0, v[16:17] offset:2048
                                        ; implicit-def: $vgpr32
	s_waitcnt vmcnt(0) lgkmcnt(0)
	v_and_b32_e32 v8, 0xff, v0
	v_cvt_f32_fp8_sdwa v8, v8 src0_sel:BYTE_0
	s_nop 0
	v_mul_f32_e32 v8, v44, v8
	v_and_b32_e32 v12, 0x7f800000, v8
	v_cmp_ne_u32_e64 s[4:5], s17, v12
	s_and_saveexec_b64 s[20:21], s[4:5]
	s_xor_b64 s[4:5], exec, s[20:21]
; %bb.138:                              ;   in Loop: Header=BB348_9 Depth=1
	v_bfe_u32 v12, v8, 16, 1
	v_add3_u32 v32, v8, v12, s22
                                        ; implicit-def: $vgpr8
; %bb.139:                              ;   in Loop: Header=BB348_9 Depth=1
	s_andn2_saveexec_b64 s[20:21], s[4:5]
; %bb.140:                              ;   in Loop: Header=BB348_9 Depth=1
	v_or_b32_e32 v12, 0x10000, v8
	v_cmp_eq_u32_sdwa s[4:5], v8, v5 src0_sel:WORD_0 src1_sel:DWORD
	s_nop 1
	v_cndmask_b32_e64 v32, v12, v8, s[4:5]
; %bb.141:                              ;   in Loop: Header=BB348_9 Depth=1
	s_or_b64 exec, exec, s[20:21]
	v_bfe_u32 v8, v0, 8, 8
	v_cvt_f32_fp8_sdwa v8, v8 src0_sel:BYTE_0
                                        ; implicit-def: $vgpr33
	s_nop 0
	v_mul_f32_e32 v8, v44, v8
	v_and_b32_e32 v12, 0x7f800000, v8
	v_cmp_ne_u32_e64 s[4:5], s17, v12
	s_and_saveexec_b64 s[20:21], s[4:5]
	s_xor_b64 s[4:5], exec, s[20:21]
; %bb.142:                              ;   in Loop: Header=BB348_9 Depth=1
	v_bfe_u32 v12, v8, 16, 1
	v_add3_u32 v33, v8, v12, s22
                                        ; implicit-def: $vgpr8
; %bb.143:                              ;   in Loop: Header=BB348_9 Depth=1
	s_andn2_saveexec_b64 s[20:21], s[4:5]
; %bb.144:                              ;   in Loop: Header=BB348_9 Depth=1
	v_or_b32_e32 v12, 0x10000, v8
	v_cmp_eq_u32_sdwa s[4:5], v8, v5 src0_sel:WORD_0 src1_sel:DWORD
	s_nop 1
	v_cndmask_b32_e64 v33, v12, v8, s[4:5]
; %bb.145:                              ;   in Loop: Header=BB348_9 Depth=1
	s_or_b64 exec, exec, s[20:21]
	v_bfe_u32 v8, v0, 16, 8
	v_cvt_f32_fp8_sdwa v8, v8 src0_sel:BYTE_0
                                        ; implicit-def: $vgpr34
	s_nop 0
	v_mul_f32_e32 v8, v44, v8
	v_and_b32_e32 v12, 0x7f800000, v8
	v_cmp_ne_u32_e64 s[4:5], s17, v12
	s_and_saveexec_b64 s[20:21], s[4:5]
	s_xor_b64 s[4:5], exec, s[20:21]
; %bb.146:                              ;   in Loop: Header=BB348_9 Depth=1
	v_bfe_u32 v12, v8, 16, 1
	v_add3_u32 v34, v8, v12, s22
                                        ; implicit-def: $vgpr8
; %bb.147:                              ;   in Loop: Header=BB348_9 Depth=1
	s_andn2_saveexec_b64 s[20:21], s[4:5]
; %bb.148:                              ;   in Loop: Header=BB348_9 Depth=1
	v_or_b32_e32 v12, 0x10000, v8
	v_cmp_eq_u32_sdwa s[4:5], v8, v5 src0_sel:WORD_0 src1_sel:DWORD
	s_nop 1
	v_cndmask_b32_e64 v34, v12, v8, s[4:5]
; %bb.149:                              ;   in Loop: Header=BB348_9 Depth=1
	s_or_b64 exec, exec, s[20:21]
	v_lshrrev_b32_e32 v0, 24, v0
	v_cvt_f32_fp8_sdwa v0, v0 src0_sel:BYTE_0
                                        ; implicit-def: $vgpr35
	s_nop 0
	v_mul_f32_e32 v0, v44, v0
	v_and_b32_e32 v8, 0x7f800000, v0
	v_cmp_ne_u32_e64 s[4:5], s17, v8
	s_and_saveexec_b64 s[20:21], s[4:5]
	s_xor_b64 s[4:5], exec, s[20:21]
; %bb.150:                              ;   in Loop: Header=BB348_9 Depth=1
	v_bfe_u32 v8, v0, 16, 1
	v_add3_u32 v35, v0, v8, s22
                                        ; implicit-def: $vgpr0
; %bb.151:                              ;   in Loop: Header=BB348_9 Depth=1
	s_andn2_saveexec_b64 s[20:21], s[4:5]
; %bb.152:                              ;   in Loop: Header=BB348_9 Depth=1
	v_or_b32_e32 v8, 0x10000, v0
	v_cmp_eq_u32_sdwa s[4:5], v0, v5 src0_sel:WORD_0 src1_sel:DWORD
	s_nop 1
	v_cndmask_b32_e64 v35, v8, v0, s[4:5]
; %bb.153:                              ;   in Loop: Header=BB348_9 Depth=1
	s_or_b64 exec, exec, s[20:21]
	flat_load_dword v0, v[16:17] offset:2056
                                        ; implicit-def: $vgpr40
	s_waitcnt vmcnt(0) lgkmcnt(0)
	v_and_b32_e32 v8, 0xff, v0
	v_cvt_f32_fp8_sdwa v8, v8 src0_sel:BYTE_0
	s_nop 0
	v_mul_f32_e32 v8, v44, v8
	v_and_b32_e32 v12, 0x7f800000, v8
	v_cmp_ne_u32_e64 s[4:5], s17, v12
	s_and_saveexec_b64 s[20:21], s[4:5]
	s_xor_b64 s[4:5], exec, s[20:21]
; %bb.154:                              ;   in Loop: Header=BB348_9 Depth=1
	v_bfe_u32 v12, v8, 16, 1
	v_add3_u32 v40, v8, v12, s22
                                        ; implicit-def: $vgpr8
; %bb.155:                              ;   in Loop: Header=BB348_9 Depth=1
	s_andn2_saveexec_b64 s[20:21], s[4:5]
; %bb.156:                              ;   in Loop: Header=BB348_9 Depth=1
	v_or_b32_e32 v12, 0x10000, v8
	v_cmp_eq_u32_sdwa s[4:5], v8, v5 src0_sel:WORD_0 src1_sel:DWORD
	s_nop 1
	v_cndmask_b32_e64 v40, v12, v8, s[4:5]
; %bb.157:                              ;   in Loop: Header=BB348_9 Depth=1
	s_or_b64 exec, exec, s[20:21]
	v_bfe_u32 v8, v0, 8, 8
	v_cvt_f32_fp8_sdwa v8, v8 src0_sel:BYTE_0
                                        ; implicit-def: $vgpr37
	s_nop 0
	v_mul_f32_e32 v8, v44, v8
	v_and_b32_e32 v12, 0x7f800000, v8
	v_cmp_ne_u32_e64 s[4:5], s17, v12
	s_and_saveexec_b64 s[20:21], s[4:5]
	s_xor_b64 s[4:5], exec, s[20:21]
; %bb.158:                              ;   in Loop: Header=BB348_9 Depth=1
	v_bfe_u32 v12, v8, 16, 1
	v_add3_u32 v37, v8, v12, s22
                                        ; implicit-def: $vgpr8
; %bb.159:                              ;   in Loop: Header=BB348_9 Depth=1
	s_andn2_saveexec_b64 s[20:21], s[4:5]
; %bb.160:                              ;   in Loop: Header=BB348_9 Depth=1
	v_or_b32_e32 v12, 0x10000, v8
	v_cmp_eq_u32_sdwa s[4:5], v8, v5 src0_sel:WORD_0 src1_sel:DWORD
	s_nop 1
	v_cndmask_b32_e64 v37, v12, v8, s[4:5]
; %bb.161:                              ;   in Loop: Header=BB348_9 Depth=1
	s_or_b64 exec, exec, s[20:21]
	v_bfe_u32 v8, v0, 16, 8
	v_cvt_f32_fp8_sdwa v8, v8 src0_sel:BYTE_0
                                        ; implicit-def: $vgpr38
	s_nop 0
	v_mul_f32_e32 v8, v44, v8
	v_and_b32_e32 v12, 0x7f800000, v8
	v_cmp_ne_u32_e64 s[4:5], s17, v12
	s_and_saveexec_b64 s[20:21], s[4:5]
	s_xor_b64 s[4:5], exec, s[20:21]
; %bb.162:                              ;   in Loop: Header=BB348_9 Depth=1
	v_bfe_u32 v12, v8, 16, 1
	v_add3_u32 v38, v8, v12, s22
                                        ; implicit-def: $vgpr8
; %bb.163:                              ;   in Loop: Header=BB348_9 Depth=1
	s_andn2_saveexec_b64 s[20:21], s[4:5]
; %bb.164:                              ;   in Loop: Header=BB348_9 Depth=1
	v_or_b32_e32 v12, 0x10000, v8
	v_cmp_eq_u32_sdwa s[4:5], v8, v5 src0_sel:WORD_0 src1_sel:DWORD
	s_nop 1
	v_cndmask_b32_e64 v38, v12, v8, s[4:5]
; %bb.165:                              ;   in Loop: Header=BB348_9 Depth=1
	s_or_b64 exec, exec, s[20:21]
	v_lshrrev_b32_e32 v0, 24, v0
	v_cvt_f32_fp8_sdwa v0, v0 src0_sel:BYTE_0
                                        ; implicit-def: $vgpr39
	s_nop 0
	v_mul_f32_e32 v0, v44, v0
	v_and_b32_e32 v8, 0x7f800000, v0
	v_cmp_ne_u32_e64 s[4:5], s17, v8
	s_and_saveexec_b64 s[20:21], s[4:5]
	s_xor_b64 s[4:5], exec, s[20:21]
; %bb.166:                              ;   in Loop: Header=BB348_9 Depth=1
	v_bfe_u32 v8, v0, 16, 1
	v_add3_u32 v39, v0, v8, s22
                                        ; implicit-def: $vgpr0
; %bb.167:                              ;   in Loop: Header=BB348_9 Depth=1
	s_andn2_saveexec_b64 s[20:21], s[4:5]
; %bb.168:                              ;   in Loop: Header=BB348_9 Depth=1
	v_or_b32_e32 v8, 0x10000, v0
	v_cmp_eq_u32_sdwa s[4:5], v0, v5 src0_sel:WORD_0 src1_sel:DWORD
	s_nop 1
	v_cndmask_b32_e64 v39, v8, v0, s[4:5]
; %bb.169:                              ;   in Loop: Header=BB348_9 Depth=1
	s_or_b64 exec, exec, s[20:21]
	flat_load_dword v0, v[16:17] offset:2560
                                        ; implicit-def: $vgpr48
	s_waitcnt vmcnt(0) lgkmcnt(0)
	v_and_b32_e32 v8, 0xff, v0
	v_cvt_f32_fp8_sdwa v8, v8 src0_sel:BYTE_0
	s_nop 0
	v_mul_f32_e32 v8, v44, v8
	v_and_b32_e32 v12, 0x7f800000, v8
	v_cmp_ne_u32_e64 s[4:5], s17, v12
	s_and_saveexec_b64 s[20:21], s[4:5]
	s_xor_b64 s[4:5], exec, s[20:21]
; %bb.170:                              ;   in Loop: Header=BB348_9 Depth=1
	v_bfe_u32 v12, v8, 16, 1
	v_add3_u32 v48, v8, v12, s22
                                        ; implicit-def: $vgpr8
; %bb.171:                              ;   in Loop: Header=BB348_9 Depth=1
	s_andn2_saveexec_b64 s[20:21], s[4:5]
; %bb.172:                              ;   in Loop: Header=BB348_9 Depth=1
	v_or_b32_e32 v12, 0x10000, v8
	v_cmp_eq_u32_sdwa s[4:5], v8, v5 src0_sel:WORD_0 src1_sel:DWORD
	s_nop 1
	v_cndmask_b32_e64 v48, v12, v8, s[4:5]
; %bb.173:                              ;   in Loop: Header=BB348_9 Depth=1
	s_or_b64 exec, exec, s[20:21]
	v_bfe_u32 v8, v0, 8, 8
	v_cvt_f32_fp8_sdwa v8, v8 src0_sel:BYTE_0
                                        ; implicit-def: $vgpr49
	s_nop 0
	v_mul_f32_e32 v8, v44, v8
	v_and_b32_e32 v12, 0x7f800000, v8
	v_cmp_ne_u32_e64 s[4:5], s17, v12
	s_and_saveexec_b64 s[20:21], s[4:5]
	s_xor_b64 s[4:5], exec, s[20:21]
; %bb.174:                              ;   in Loop: Header=BB348_9 Depth=1
	v_bfe_u32 v12, v8, 16, 1
	v_add3_u32 v49, v8, v12, s22
                                        ; implicit-def: $vgpr8
; %bb.175:                              ;   in Loop: Header=BB348_9 Depth=1
	s_andn2_saveexec_b64 s[20:21], s[4:5]
; %bb.176:                              ;   in Loop: Header=BB348_9 Depth=1
	v_or_b32_e32 v12, 0x10000, v8
	v_cmp_eq_u32_sdwa s[4:5], v8, v5 src0_sel:WORD_0 src1_sel:DWORD
	s_nop 1
	v_cndmask_b32_e64 v49, v12, v8, s[4:5]
; %bb.177:                              ;   in Loop: Header=BB348_9 Depth=1
	s_or_b64 exec, exec, s[20:21]
	v_bfe_u32 v8, v0, 16, 8
	v_cvt_f32_fp8_sdwa v8, v8 src0_sel:BYTE_0
                                        ; implicit-def: $vgpr50
	s_nop 0
	v_mul_f32_e32 v8, v44, v8
	v_and_b32_e32 v12, 0x7f800000, v8
	v_cmp_ne_u32_e64 s[4:5], s17, v12
	s_and_saveexec_b64 s[20:21], s[4:5]
	s_xor_b64 s[4:5], exec, s[20:21]
; %bb.178:                              ;   in Loop: Header=BB348_9 Depth=1
	v_bfe_u32 v12, v8, 16, 1
	v_add3_u32 v50, v8, v12, s22
                                        ; implicit-def: $vgpr8
; %bb.179:                              ;   in Loop: Header=BB348_9 Depth=1
	s_andn2_saveexec_b64 s[20:21], s[4:5]
; %bb.180:                              ;   in Loop: Header=BB348_9 Depth=1
	v_or_b32_e32 v12, 0x10000, v8
	v_cmp_eq_u32_sdwa s[4:5], v8, v5 src0_sel:WORD_0 src1_sel:DWORD
	s_nop 1
	v_cndmask_b32_e64 v50, v12, v8, s[4:5]
; %bb.181:                              ;   in Loop: Header=BB348_9 Depth=1
	s_or_b64 exec, exec, s[20:21]
	v_lshrrev_b32_e32 v0, 24, v0
	v_cvt_f32_fp8_sdwa v0, v0 src0_sel:BYTE_0
                                        ; implicit-def: $vgpr51
	s_nop 0
	v_mul_f32_e32 v0, v44, v0
	v_and_b32_e32 v8, 0x7f800000, v0
	v_cmp_ne_u32_e64 s[4:5], s17, v8
	s_and_saveexec_b64 s[20:21], s[4:5]
	s_xor_b64 s[4:5], exec, s[20:21]
; %bb.182:                              ;   in Loop: Header=BB348_9 Depth=1
	v_bfe_u32 v8, v0, 16, 1
	v_add3_u32 v51, v0, v8, s22
                                        ; implicit-def: $vgpr0
; %bb.183:                              ;   in Loop: Header=BB348_9 Depth=1
	s_andn2_saveexec_b64 s[20:21], s[4:5]
; %bb.184:                              ;   in Loop: Header=BB348_9 Depth=1
	v_or_b32_e32 v8, 0x10000, v0
	v_cmp_eq_u32_sdwa s[4:5], v0, v5 src0_sel:WORD_0 src1_sel:DWORD
	s_nop 1
	v_cndmask_b32_e64 v51, v8, v0, s[4:5]
; %bb.185:                              ;   in Loop: Header=BB348_9 Depth=1
	s_or_b64 exec, exec, s[20:21]
	flat_load_dword v12, v[16:17] offset:2568
                                        ; implicit-def: $vgpr53
	s_waitcnt vmcnt(0) lgkmcnt(0)
	v_and_b32_e32 v0, 0xff, v12
	v_cvt_f32_fp8_sdwa v0, v0 src0_sel:BYTE_0
	s_nop 0
	v_mul_f32_e32 v0, v44, v0
	v_and_b32_e32 v8, 0x7f800000, v0
	v_cmp_ne_u32_e64 s[4:5], s17, v8
	s_and_saveexec_b64 s[20:21], s[4:5]
	s_xor_b64 s[4:5], exec, s[20:21]
; %bb.186:                              ;   in Loop: Header=BB348_9 Depth=1
	v_bfe_u32 v8, v0, 16, 1
	v_add3_u32 v53, v0, v8, s22
                                        ; implicit-def: $vgpr0
; %bb.187:                              ;   in Loop: Header=BB348_9 Depth=1
	s_andn2_saveexec_b64 s[20:21], s[4:5]
; %bb.188:                              ;   in Loop: Header=BB348_9 Depth=1
	v_or_b32_e32 v8, 0x10000, v0
	v_cmp_eq_u32_sdwa s[4:5], v0, v5 src0_sel:WORD_0 src1_sel:DWORD
	s_nop 1
	v_cndmask_b32_e64 v53, v8, v0, s[4:5]
; %bb.189:                              ;   in Loop: Header=BB348_9 Depth=1
	s_or_b64 exec, exec, s[20:21]
	v_bfe_u32 v0, v12, 8, 8
	v_cvt_f32_fp8_sdwa v0, v0 src0_sel:BYTE_0
	s_nop 0
	v_mul_f32_e32 v8, v44, v0
	v_and_b32_e32 v0, 0x7f800000, v8
	v_cmp_ne_u32_e64 s[4:5], s17, v0
                                        ; implicit-def: $vgpr0
	s_and_saveexec_b64 s[20:21], s[4:5]
	s_xor_b64 s[4:5], exec, s[20:21]
; %bb.190:                              ;   in Loop: Header=BB348_9 Depth=1
	v_bfe_u32 v0, v8, 16, 1
	v_add3_u32 v0, v8, v0, s22
                                        ; implicit-def: $vgpr8
; %bb.191:                              ;   in Loop: Header=BB348_9 Depth=1
	s_andn2_saveexec_b64 s[20:21], s[4:5]
; %bb.192:                              ;   in Loop: Header=BB348_9 Depth=1
	v_or_b32_e32 v0, 0x10000, v8
	v_cmp_eq_u32_sdwa s[4:5], v8, v5 src0_sel:WORD_0 src1_sel:DWORD
	s_nop 1
	v_cndmask_b32_e64 v0, v0, v8, s[4:5]
; %bb.193:                              ;   in Loop: Header=BB348_9 Depth=1
	s_or_b64 exec, exec, s[20:21]
	v_bfe_u32 v8, v12, 16, 8
	v_cvt_f32_fp8_sdwa v8, v8 src0_sel:BYTE_0
	s_nop 0
	v_mul_f32_e32 v13, v44, v8
	v_and_b32_e32 v8, 0x7f800000, v13
	v_cmp_ne_u32_e64 s[4:5], s17, v8
                                        ; implicit-def: $vgpr8
	s_and_saveexec_b64 s[20:21], s[4:5]
	s_xor_b64 s[4:5], exec, s[20:21]
; %bb.194:                              ;   in Loop: Header=BB348_9 Depth=1
	v_bfe_u32 v8, v13, 16, 1
	v_add3_u32 v8, v13, v8, s22
                                        ; implicit-def: $vgpr13
; %bb.195:                              ;   in Loop: Header=BB348_9 Depth=1
	s_andn2_saveexec_b64 s[20:21], s[4:5]
; %bb.196:                              ;   in Loop: Header=BB348_9 Depth=1
	v_or_b32_e32 v8, 0x10000, v13
	v_cmp_eq_u32_sdwa s[4:5], v13, v5 src0_sel:WORD_0 src1_sel:DWORD
	s_nop 1
	v_cndmask_b32_e64 v8, v8, v13, s[4:5]
; %bb.197:                              ;   in Loop: Header=BB348_9 Depth=1
	s_or_b64 exec, exec, s[20:21]
	v_lshrrev_b32_e32 v12, 24, v12
	v_cvt_f32_fp8_sdwa v12, v12 src0_sel:BYTE_0
	s_nop 0
	v_mul_f32_e32 v13, v44, v12
	v_and_b32_e32 v12, 0x7f800000, v13
	v_cmp_ne_u32_e64 s[4:5], s17, v12
                                        ; implicit-def: $vgpr12
	s_and_saveexec_b64 s[20:21], s[4:5]
	s_xor_b64 s[4:5], exec, s[20:21]
; %bb.198:                              ;   in Loop: Header=BB348_9 Depth=1
	v_bfe_u32 v12, v13, 16, 1
	v_add3_u32 v12, v13, v12, s22
                                        ; implicit-def: $vgpr13
; %bb.199:                              ;   in Loop: Header=BB348_9 Depth=1
	s_andn2_saveexec_b64 s[20:21], s[4:5]
; %bb.200:                              ;   in Loop: Header=BB348_9 Depth=1
	v_or_b32_e32 v12, 0x10000, v13
	v_cmp_eq_u32_sdwa s[4:5], v13, v5 src0_sel:WORD_0 src1_sel:DWORD
	s_nop 1
	v_cndmask_b32_e64 v12, v12, v13, s[4:5]
; %bb.201:                              ;   in Loop: Header=BB348_9 Depth=1
	s_or_b64 exec, exec, s[20:21]
	flat_load_dword v20, v[16:17] offset:3072
	s_waitcnt vmcnt(0) lgkmcnt(0)
	v_and_b32_e32 v13, 0xff, v20
	v_cvt_f32_fp8_sdwa v13, v13 src0_sel:BYTE_0
	s_nop 0
	v_mul_f32_e32 v21, v44, v13
	v_and_b32_e32 v13, 0x7f800000, v21
	v_cmp_ne_u32_e64 s[4:5], s17, v13
                                        ; implicit-def: $vgpr13
	s_and_saveexec_b64 s[20:21], s[4:5]
	s_xor_b64 s[4:5], exec, s[20:21]
; %bb.202:                              ;   in Loop: Header=BB348_9 Depth=1
	v_bfe_u32 v13, v21, 16, 1
	v_add3_u32 v13, v21, v13, s22
                                        ; implicit-def: $vgpr21
; %bb.203:                              ;   in Loop: Header=BB348_9 Depth=1
	s_andn2_saveexec_b64 s[20:21], s[4:5]
; %bb.204:                              ;   in Loop: Header=BB348_9 Depth=1
	v_or_b32_e32 v13, 0x10000, v21
	v_cmp_eq_u32_sdwa s[4:5], v21, v5 src0_sel:WORD_0 src1_sel:DWORD
	s_nop 1
	v_cndmask_b32_e64 v13, v13, v21, s[4:5]
; %bb.205:                              ;   in Loop: Header=BB348_9 Depth=1
	s_or_b64 exec, exec, s[20:21]
	v_bfe_u32 v21, v20, 8, 8
	v_cvt_f32_fp8_sdwa v21, v21 src0_sel:BYTE_0
                                        ; implicit-def: $vgpr52
	s_nop 0
	v_mul_f32_e32 v21, v44, v21
	v_and_b32_e32 v36, 0x7f800000, v21
	v_cmp_ne_u32_e64 s[4:5], s17, v36
	s_and_saveexec_b64 s[20:21], s[4:5]
	s_xor_b64 s[4:5], exec, s[20:21]
; %bb.206:                              ;   in Loop: Header=BB348_9 Depth=1
	v_bfe_u32 v36, v21, 16, 1
	v_add3_u32 v52, v21, v36, s22
                                        ; implicit-def: $vgpr21
; %bb.207:                              ;   in Loop: Header=BB348_9 Depth=1
	s_andn2_saveexec_b64 s[20:21], s[4:5]
; %bb.208:                              ;   in Loop: Header=BB348_9 Depth=1
	v_or_b32_e32 v36, 0x10000, v21
	v_cmp_eq_u32_sdwa s[4:5], v21, v5 src0_sel:WORD_0 src1_sel:DWORD
	s_nop 1
	v_cndmask_b32_e64 v52, v36, v21, s[4:5]
; %bb.209:                              ;   in Loop: Header=BB348_9 Depth=1
	s_or_b64 exec, exec, s[20:21]
	v_bfe_u32 v21, v20, 16, 8
	v_cvt_f32_fp8_sdwa v21, v21 src0_sel:BYTE_0
	s_nop 0
	v_mul_f32_e32 v36, v44, v21
	v_and_b32_e32 v21, 0x7f800000, v36
	v_cmp_ne_u32_e64 s[4:5], s17, v21
                                        ; implicit-def: $vgpr21
	s_and_saveexec_b64 s[20:21], s[4:5]
	s_xor_b64 s[4:5], exec, s[20:21]
; %bb.210:                              ;   in Loop: Header=BB348_9 Depth=1
	v_bfe_u32 v21, v36, 16, 1
	v_add3_u32 v21, v36, v21, s22
                                        ; implicit-def: $vgpr36
; %bb.211:                              ;   in Loop: Header=BB348_9 Depth=1
	s_andn2_saveexec_b64 s[20:21], s[4:5]
; %bb.212:                              ;   in Loop: Header=BB348_9 Depth=1
	v_or_b32_e32 v21, 0x10000, v36
	v_cmp_eq_u32_sdwa s[4:5], v36, v5 src0_sel:WORD_0 src1_sel:DWORD
	s_nop 1
	v_cndmask_b32_e64 v21, v21, v36, s[4:5]
; %bb.213:                              ;   in Loop: Header=BB348_9 Depth=1
	s_or_b64 exec, exec, s[20:21]
	v_lshrrev_b32_e32 v20, 24, v20
	v_cvt_f32_fp8_sdwa v20, v20 src0_sel:BYTE_0
	s_nop 0
	v_mul_f32_e32 v36, v44, v20
	v_and_b32_e32 v20, 0x7f800000, v36
	v_cmp_ne_u32_e64 s[4:5], s17, v20
                                        ; implicit-def: $vgpr20
	s_and_saveexec_b64 s[20:21], s[4:5]
	s_xor_b64 s[4:5], exec, s[20:21]
; %bb.214:                              ;   in Loop: Header=BB348_9 Depth=1
	v_bfe_u32 v20, v36, 16, 1
	v_add3_u32 v20, v36, v20, s22
                                        ; implicit-def: $vgpr36
; %bb.215:                              ;   in Loop: Header=BB348_9 Depth=1
	s_andn2_saveexec_b64 s[20:21], s[4:5]
; %bb.216:                              ;   in Loop: Header=BB348_9 Depth=1
	v_or_b32_e32 v20, 0x10000, v36
	v_cmp_eq_u32_sdwa s[4:5], v36, v5 src0_sel:WORD_0 src1_sel:DWORD
	s_nop 1
	v_cndmask_b32_e64 v20, v20, v36, s[4:5]
; %bb.217:                              ;   in Loop: Header=BB348_9 Depth=1
	s_or_b64 exec, exec, s[20:21]
	flat_load_dword v36, v[16:17] offset:3080
	s_waitcnt vmcnt(0) lgkmcnt(0)
	v_and_b32_e32 v41, 0xff, v36
	v_cvt_f32_fp8_sdwa v41, v41 src0_sel:BYTE_0
	s_nop 0
	v_mul_f32_e32 v42, v44, v41
	v_and_b32_e32 v41, 0x7f800000, v42
	v_cmp_ne_u32_e64 s[4:5], s17, v41
                                        ; implicit-def: $vgpr41
	s_and_saveexec_b64 s[20:21], s[4:5]
	s_xor_b64 s[4:5], exec, s[20:21]
; %bb.218:                              ;   in Loop: Header=BB348_9 Depth=1
	v_bfe_u32 v41, v42, 16, 1
	v_add3_u32 v41, v42, v41, s22
                                        ; implicit-def: $vgpr42
; %bb.219:                              ;   in Loop: Header=BB348_9 Depth=1
	s_andn2_saveexec_b64 s[20:21], s[4:5]
; %bb.220:                              ;   in Loop: Header=BB348_9 Depth=1
	v_or_b32_e32 v41, 0x10000, v42
	v_cmp_eq_u32_sdwa s[4:5], v42, v5 src0_sel:WORD_0 src1_sel:DWORD
	s_nop 1
	v_cndmask_b32_e64 v41, v41, v42, s[4:5]
; %bb.221:                              ;   in Loop: Header=BB348_9 Depth=1
	s_or_b64 exec, exec, s[20:21]
	v_bfe_u32 v42, v36, 8, 8
	v_cvt_f32_fp8_sdwa v42, v42 src0_sel:BYTE_0
	s_nop 0
	v_mul_f32_e32 v43, v44, v42
	v_and_b32_e32 v42, 0x7f800000, v43
	v_cmp_ne_u32_e64 s[4:5], s17, v42
                                        ; implicit-def: $vgpr42
	s_and_saveexec_b64 s[20:21], s[4:5]
	s_xor_b64 s[4:5], exec, s[20:21]
; %bb.222:                              ;   in Loop: Header=BB348_9 Depth=1
	v_bfe_u32 v42, v43, 16, 1
	v_add3_u32 v42, v43, v42, s22
                                        ; implicit-def: $vgpr43
; %bb.223:                              ;   in Loop: Header=BB348_9 Depth=1
	s_andn2_saveexec_b64 s[20:21], s[4:5]
; %bb.224:                              ;   in Loop: Header=BB348_9 Depth=1
	v_or_b32_e32 v42, 0x10000, v43
	v_cmp_eq_u32_sdwa s[4:5], v43, v5 src0_sel:WORD_0 src1_sel:DWORD
	s_nop 1
	v_cndmask_b32_e64 v42, v42, v43, s[4:5]
; %bb.225:                              ;   in Loop: Header=BB348_9 Depth=1
	s_or_b64 exec, exec, s[20:21]
	v_bfe_u32 v43, v36, 16, 8
	v_cvt_f32_fp8_sdwa v43, v43 src0_sel:BYTE_0
	s_nop 0
	v_mul_f32_e32 v45, v44, v43
	v_and_b32_e32 v43, 0x7f800000, v45
	v_cmp_ne_u32_e64 s[4:5], s17, v43
                                        ; implicit-def: $vgpr43
	s_and_saveexec_b64 s[20:21], s[4:5]
	s_xor_b64 s[4:5], exec, s[20:21]
; %bb.226:                              ;   in Loop: Header=BB348_9 Depth=1
	v_bfe_u32 v43, v45, 16, 1
	v_add3_u32 v43, v45, v43, s22
                                        ; implicit-def: $vgpr45
; %bb.227:                              ;   in Loop: Header=BB348_9 Depth=1
	s_andn2_saveexec_b64 s[20:21], s[4:5]
; %bb.228:                              ;   in Loop: Header=BB348_9 Depth=1
	v_or_b32_e32 v43, 0x10000, v45
	v_cmp_eq_u32_sdwa s[4:5], v45, v5 src0_sel:WORD_0 src1_sel:DWORD
	s_nop 1
	v_cndmask_b32_e64 v43, v43, v45, s[4:5]
; %bb.229:                              ;   in Loop: Header=BB348_9 Depth=1
	s_or_b64 exec, exec, s[20:21]
	v_lshrrev_b32_e32 v36, 24, v36
	v_cvt_f32_fp8_sdwa v36, v36 src0_sel:BYTE_0
	s_nop 0
	v_mul_f32_e32 v36, v44, v36
	v_and_b32_e32 v45, 0x7f800000, v36
	v_cmp_ne_u32_e64 s[4:5], s17, v45
                                        ; implicit-def: $vgpr45
	s_and_saveexec_b64 s[20:21], s[4:5]
	s_xor_b64 s[4:5], exec, s[20:21]
; %bb.230:                              ;   in Loop: Header=BB348_9 Depth=1
	v_bfe_u32 v45, v36, 16, 1
	v_add3_u32 v45, v36, v45, s22
                                        ; implicit-def: $vgpr36
; %bb.231:                              ;   in Loop: Header=BB348_9 Depth=1
	s_andn2_saveexec_b64 s[20:21], s[4:5]
; %bb.232:                              ;   in Loop: Header=BB348_9 Depth=1
	v_or_b32_e32 v45, 0x10000, v36
	v_cmp_eq_u32_sdwa s[4:5], v36, v5 src0_sel:WORD_0 src1_sel:DWORD
	s_nop 1
	v_cndmask_b32_e64 v45, v45, v36, s[4:5]
; %bb.233:                              ;   in Loop: Header=BB348_9 Depth=1
	s_or_b64 exec, exec, s[20:21]
	flat_load_dword v36, v[16:17] offset:3584
	s_waitcnt vmcnt(0) lgkmcnt(0)
	v_and_b32_e32 v46, 0xff, v36
	v_cvt_f32_fp8_sdwa v46, v46 src0_sel:BYTE_0
	s_nop 0
	v_mul_f32_e32 v47, v44, v46
	v_and_b32_e32 v46, 0x7f800000, v47
	v_cmp_ne_u32_e64 s[4:5], s17, v46
                                        ; implicit-def: $vgpr46
	s_and_saveexec_b64 s[20:21], s[4:5]
	s_xor_b64 s[4:5], exec, s[20:21]
; %bb.234:                              ;   in Loop: Header=BB348_9 Depth=1
	v_bfe_u32 v46, v47, 16, 1
	v_add3_u32 v46, v47, v46, s22
                                        ; implicit-def: $vgpr47
; %bb.235:                              ;   in Loop: Header=BB348_9 Depth=1
	s_andn2_saveexec_b64 s[20:21], s[4:5]
; %bb.236:                              ;   in Loop: Header=BB348_9 Depth=1
	v_or_b32_e32 v46, 0x10000, v47
	v_cmp_eq_u32_sdwa s[4:5], v47, v5 src0_sel:WORD_0 src1_sel:DWORD
	s_nop 1
	v_cndmask_b32_e64 v46, v46, v47, s[4:5]
; %bb.237:                              ;   in Loop: Header=BB348_9 Depth=1
	s_or_b64 exec, exec, s[20:21]
	v_bfe_u32 v47, v36, 8, 8
	v_cvt_f32_fp8_sdwa v47, v47 src0_sel:BYTE_0
	s_nop 0
	v_mul_f32_e32 v56, v44, v47
	v_and_b32_e32 v47, 0x7f800000, v56
	v_cmp_ne_u32_e64 s[4:5], s17, v47
                                        ; implicit-def: $vgpr47
	s_and_saveexec_b64 s[20:21], s[4:5]
	s_xor_b64 s[4:5], exec, s[20:21]
; %bb.238:                              ;   in Loop: Header=BB348_9 Depth=1
	v_bfe_u32 v47, v56, 16, 1
	v_add3_u32 v47, v56, v47, s22
                                        ; implicit-def: $vgpr56
; %bb.239:                              ;   in Loop: Header=BB348_9 Depth=1
	s_andn2_saveexec_b64 s[20:21], s[4:5]
; %bb.240:                              ;   in Loop: Header=BB348_9 Depth=1
	v_or_b32_e32 v47, 0x10000, v56
	v_cmp_eq_u32_sdwa s[4:5], v56, v5 src0_sel:WORD_0 src1_sel:DWORD
	s_nop 1
	v_cndmask_b32_e64 v47, v47, v56, s[4:5]
; %bb.241:                              ;   in Loop: Header=BB348_9 Depth=1
	s_or_b64 exec, exec, s[20:21]
	v_bfe_u32 v56, v36, 16, 8
	v_cvt_f32_fp8_sdwa v56, v56 src0_sel:BYTE_0
	s_nop 0
	v_mul_f32_e32 v57, v44, v56
	v_and_b32_e32 v56, 0x7f800000, v57
	v_cmp_ne_u32_e64 s[4:5], s17, v56
                                        ; implicit-def: $vgpr56
	s_and_saveexec_b64 s[20:21], s[4:5]
	s_xor_b64 s[4:5], exec, s[20:21]
; %bb.242:                              ;   in Loop: Header=BB348_9 Depth=1
	v_bfe_u32 v56, v57, 16, 1
	v_add3_u32 v56, v57, v56, s22
                                        ; implicit-def: $vgpr57
; %bb.243:                              ;   in Loop: Header=BB348_9 Depth=1
	s_andn2_saveexec_b64 s[20:21], s[4:5]
; %bb.244:                              ;   in Loop: Header=BB348_9 Depth=1
	v_or_b32_e32 v56, 0x10000, v57
	v_cmp_eq_u32_sdwa s[4:5], v57, v5 src0_sel:WORD_0 src1_sel:DWORD
	s_nop 1
	v_cndmask_b32_e64 v56, v56, v57, s[4:5]
; %bb.245:                              ;   in Loop: Header=BB348_9 Depth=1
	s_or_b64 exec, exec, s[20:21]
	v_lshrrev_b32_e32 v36, 24, v36
	v_cvt_f32_fp8_sdwa v36, v36 src0_sel:BYTE_0
	s_nop 0
	v_mul_f32_e32 v36, v44, v36
	v_and_b32_e32 v57, 0x7f800000, v36
	v_cmp_ne_u32_e64 s[4:5], s17, v57
                                        ; implicit-def: $vgpr57
	s_and_saveexec_b64 s[20:21], s[4:5]
	s_xor_b64 s[4:5], exec, s[20:21]
; %bb.246:                              ;   in Loop: Header=BB348_9 Depth=1
	v_bfe_u32 v57, v36, 16, 1
	v_add3_u32 v57, v36, v57, s22
                                        ; implicit-def: $vgpr36
; %bb.247:                              ;   in Loop: Header=BB348_9 Depth=1
	s_andn2_saveexec_b64 s[20:21], s[4:5]
; %bb.248:                              ;   in Loop: Header=BB348_9 Depth=1
	v_or_b32_e32 v57, 0x10000, v36
	v_cmp_eq_u32_sdwa s[4:5], v36, v5 src0_sel:WORD_0 src1_sel:DWORD
	s_nop 1
	v_cndmask_b32_e64 v57, v57, v36, s[4:5]
; %bb.249:                              ;   in Loop: Header=BB348_9 Depth=1
	s_or_b64 exec, exec, s[20:21]
	flat_load_dword v36, v[16:17] offset:3592
	s_waitcnt vmcnt(0) lgkmcnt(0)
	v_and_b32_e32 v16, 0xff, v36
	v_cvt_f32_fp8_sdwa v16, v16 src0_sel:BYTE_0
	s_nop 0
	v_mul_f32_e32 v17, v44, v16
	v_and_b32_e32 v16, 0x7f800000, v17
	v_cmp_ne_u32_e64 s[4:5], s17, v16
                                        ; implicit-def: $vgpr16
	s_and_saveexec_b64 s[20:21], s[4:5]
	s_xor_b64 s[4:5], exec, s[20:21]
; %bb.250:                              ;   in Loop: Header=BB348_9 Depth=1
	v_bfe_u32 v16, v17, 16, 1
	v_add3_u32 v16, v17, v16, s22
                                        ; implicit-def: $vgpr17
; %bb.251:                              ;   in Loop: Header=BB348_9 Depth=1
	s_andn2_saveexec_b64 s[20:21], s[4:5]
; %bb.252:                              ;   in Loop: Header=BB348_9 Depth=1
	v_or_b32_e32 v16, 0x10000, v17
	v_cmp_eq_u32_sdwa s[4:5], v17, v5 src0_sel:WORD_0 src1_sel:DWORD
	s_nop 1
	v_cndmask_b32_e64 v16, v16, v17, s[4:5]
; %bb.253:                              ;   in Loop: Header=BB348_9 Depth=1
	s_or_b64 exec, exec, s[20:21]
	v_bfe_u32 v17, v36, 8, 8
	v_cvt_f32_fp8_sdwa v17, v17 src0_sel:BYTE_0
	s_nop 0
	v_mul_f32_e32 v58, v44, v17
	v_and_b32_e32 v17, 0x7f800000, v58
	v_cmp_ne_u32_e64 s[4:5], s17, v17
                                        ; implicit-def: $vgpr17
	s_and_saveexec_b64 s[20:21], s[4:5]
	s_xor_b64 s[4:5], exec, s[20:21]
; %bb.254:                              ;   in Loop: Header=BB348_9 Depth=1
	v_bfe_u32 v17, v58, 16, 1
	v_add3_u32 v17, v58, v17, s22
                                        ; implicit-def: $vgpr58
; %bb.255:                              ;   in Loop: Header=BB348_9 Depth=1
	s_andn2_saveexec_b64 s[20:21], s[4:5]
; %bb.256:                              ;   in Loop: Header=BB348_9 Depth=1
	v_or_b32_e32 v17, 0x10000, v58
	v_cmp_eq_u32_sdwa s[4:5], v58, v5 src0_sel:WORD_0 src1_sel:DWORD
	s_nop 1
	v_cndmask_b32_e64 v17, v17, v58, s[4:5]
; %bb.257:                              ;   in Loop: Header=BB348_9 Depth=1
	s_or_b64 exec, exec, s[20:21]
	v_bfe_u32 v58, v36, 16, 8
	v_cvt_f32_fp8_sdwa v58, v58 src0_sel:BYTE_0
	s_nop 0
	v_mul_f32_e32 v59, v44, v58
	v_and_b32_e32 v58, 0x7f800000, v59
	v_cmp_ne_u32_e64 s[4:5], s17, v58
                                        ; implicit-def: $vgpr58
	s_and_saveexec_b64 s[20:21], s[4:5]
	s_xor_b64 s[4:5], exec, s[20:21]
; %bb.258:                              ;   in Loop: Header=BB348_9 Depth=1
	v_bfe_u32 v58, v59, 16, 1
	v_add3_u32 v58, v59, v58, s22
                                        ; implicit-def: $vgpr59
; %bb.259:                              ;   in Loop: Header=BB348_9 Depth=1
	s_andn2_saveexec_b64 s[20:21], s[4:5]
; %bb.260:                              ;   in Loop: Header=BB348_9 Depth=1
	v_or_b32_e32 v58, 0x10000, v59
	v_cmp_eq_u32_sdwa s[4:5], v59, v5 src0_sel:WORD_0 src1_sel:DWORD
	s_nop 1
	v_cndmask_b32_e64 v58, v58, v59, s[4:5]
; %bb.261:                              ;   in Loop: Header=BB348_9 Depth=1
	s_or_b64 exec, exec, s[20:21]
	v_lshrrev_b32_e32 v36, 24, v36
	v_cvt_f32_fp8_sdwa v36, v36 src0_sel:BYTE_0
	s_nop 0
	v_mul_f32_e32 v36, v44, v36
	v_and_b32_e32 v44, 0x7f800000, v36
	v_cmp_ne_u32_e64 s[4:5], s17, v44
                                        ; implicit-def: $vgpr44
	s_and_saveexec_b64 s[20:21], s[4:5]
	s_xor_b64 s[4:5], exec, s[20:21]
; %bb.262:                              ;   in Loop: Header=BB348_9 Depth=1
	v_bfe_u32 v44, v36, 16, 1
	v_add3_u32 v44, v36, v44, s22
                                        ; implicit-def: $vgpr36
; %bb.263:                              ;   in Loop: Header=BB348_9 Depth=1
	s_andn2_saveexec_b64 s[20:21], s[4:5]
; %bb.264:                              ;   in Loop: Header=BB348_9 Depth=1
	v_or_b32_e32 v44, 0x10000, v36
	v_cmp_eq_u32_sdwa s[4:5], v36, v5 src0_sel:WORD_0 src1_sel:DWORD
	s_nop 1
	v_cndmask_b32_e64 v44, v44, v36, s[4:5]
; %bb.265:                              ;   in Loop: Header=BB348_9 Depth=1
	s_or_b64 exec, exec, s[20:21]
	v_and_b32_e32 v59, 0xffff0000, v9
	scratch_load_dword v9, off, s32 offset:216 ; 4-byte Folded Reload
	v_accvgpr_read_b32 v36, a31
	v_and_b32_e32 v36, 0xffff0000, v36
	v_and_b32_e32 v60, 0xffff0000, v60
	;; [unrolled: 1-line block ×5, first 2 shown]
	s_waitcnt vmcnt(0)
	v_mul_f32_e32 v36, v9, v36
	scratch_load_dword v9, off, s32 offset:200 ; 4-byte Folded Reload
	s_waitcnt vmcnt(0)
	v_fmac_f32_e32 v36, v9, v59
	v_accvgpr_read_b32 v9, a20
	v_and_b32_e32 v59, 0xffff0000, v9
	scratch_load_dword v9, off, s32 offset:220 ; 4-byte Folded Reload
	s_waitcnt vmcnt(0)
	v_mul_f32_e32 v59, v9, v59
	scratch_load_dword v9, off, s32 offset:204 ; 4-byte Folded Reload
	s_waitcnt vmcnt(0)
	v_fmac_f32_e32 v59, v9, v60
	v_accvgpr_read_b32 v9, a32
	v_and_b32_e32 v60, 0xffff0000, v9
	scratch_load_dword v9, off, s32 offset:224 ; 4-byte Folded Reload
	s_waitcnt vmcnt(0)
	v_mul_f32_e32 v60, v9, v60
	scratch_load_dword v9, off, s32 offset:208 ; 4-byte Folded Reload
	s_waitcnt vmcnt(0)
	v_fmac_f32_e32 v60, v9, v61
	v_accvgpr_read_b32 v9, a33
	v_and_b32_e32 v61, 0xffff0000, v9
	v_and_b32_e32 v9, 0xffff0000, v62
	scratch_load_dword v62, off, s32 offset:228 ; 4-byte Folded Reload
	s_waitcnt vmcnt(0)
	v_mul_f32_e32 v61, v62, v61
	scratch_load_dword v62, off, s32 offset:212 ; 4-byte Folded Reload
	s_waitcnt vmcnt(0)
	v_fmac_f32_e32 v61, v62, v9
	scratch_load_dword v62, off, s32 offset:232 ; 4-byte Folded Reload
	v_accvgpr_read_b32 v9, a34
	v_and_b32_e32 v9, 0xffff0000, v9
	s_waitcnt vmcnt(0)
	v_fmac_f32_e32 v36, v62, v9
	scratch_load_dword v62, off, s32 offset:236 ; 4-byte Folded Reload
	v_accvgpr_read_b32 v9, a35
	v_and_b32_e32 v9, 0xffff0000, v9
	;; [unrolled: 5-line block ×6, first 2 shown]
	s_waitcnt vmcnt(0)
	v_fmac_f32_e32 v59, v62, v9
	scratch_load_dword v62, off, s32 offset:256 ; 4-byte Folded Reload
	v_and_b32_e32 v9, 0xffff0000, v63
	s_waitcnt vmcnt(0)
	v_fmac_f32_e32 v60, v62, v9
	scratch_load_dword v9, off, s32 offset:260 ; 4-byte Folded Reload
	s_waitcnt vmcnt(0)
	v_fmac_f32_e32 v61, v9, v1
	v_and_b32_e32 v1, 0xffff0000, v2
	scratch_load_dword v2, off, s32 offset:264 ; 4-byte Folded Reload
	s_waitcnt vmcnt(0)
	v_fmac_f32_e32 v36, v2, v1
	v_and_b32_e32 v1, 0xffff0000, v3
	v_accvgpr_read_b32 v2, a40
	v_fmac_f32_e32 v59, v2, v1
	v_and_b32_e32 v1, 0xffff0000, v24
	v_accvgpr_read_b32 v2, a41
	;; [unrolled: 3-line block ×28, first 2 shown]
	v_fmac_f32_e32 v36, v2, v1
	v_accvgpr_read_b32 v1, a17
	v_fmac_f32_e32 v59, v1, v0
	v_and_b32_e32 v0, 0xffff0000, v8
	v_accvgpr_read_b32 v1, a22
	v_fmac_f32_e32 v60, v1, v0
	v_and_b32_e32 v0, 0xffff0000, v12
	;; [unrolled: 3-line block ×18, first 2 shown]
	v_accvgpr_read_b32 v1, a27
	v_fmac_f32_e32 v61, v1, v0
	v_add_f32_e32 v0, v36, v59
	v_add_f32_e32 v0, v0, v60
	;; [unrolled: 1-line block ×3, first 2 shown]
	v_accvgpr_read_b32 v1, a30
	ds_bpermute_b32 v1, v1, v0
	s_and_saveexec_b64 s[20:21], vcc
	s_cbranch_execz .LBB348_8
; %bb.266:                              ;   in Loop: Header=BB348_9 Depth=1
	s_waitcnt lgkmcnt(0)
	v_add_f32_e32 v0, v0, v1
	scratch_load_dword v1, off, s32 offset:268 ; 4-byte Folded Reload
	scratch_load_dword v3, off, s32 offset:272 ; 4-byte Folded Reload
	v_sub_u32_e32 v2, 1, v29
	v_add_u32_e32 v2, v2, v54
	v_cvt_f32_i32_e32 v2, v2
	s_load_dword s4, s[8:9], 0x0
	s_waitcnt vmcnt(1)
	v_mul_f32_e32 v1, v1, v2
	v_cndmask_b32_e64 v1, 0, v1, s[2:3]
	s_waitcnt lgkmcnt(0)
	v_add_u32_e32 v2, s4, v55
	s_waitcnt vmcnt(0)
	v_fmac_f32_e32 v1, v0, v3
	v_cmp_lt_i32_e64 s[4:5], v54, v29
	s_nop 1
	v_cndmask_b32_e64 v0, 0, v1, s[4:5]
	ds_write_b32 v2, v0
	scratch_load_dword v2, off, s32 offset:196 ; 4-byte Folded Reload
	s_waitcnt vmcnt(0)
	v_max_f32_e32 v0, v2, v2
	v_max_f32_e32 v0, v0, v1
	v_cndmask_b32_e64 v2, v2, v0, s[4:5]
	scratch_store_dword off, v2, s32 offset:196 ; 4-byte Folded Spill
	s_branch .LBB348_8
.LBB348_267:
	s_or_b64 exec, exec, s[18:19]
	scratch_load_dword v15, off, s32 offset:276 ; 4-byte Folded Reload
	scratch_load_dwordx2 v[10:11], off, s32 offset:340 ; 8-byte Folded Reload
	scratch_load_dwordx2 v[22:23], off, s32 offset:332 ; 8-byte Folded Reload
	;; [unrolled: 1-line block ×5, first 2 shown]
	scratch_load_dword v28, off, s32 offset:304 ; 4-byte Folded Reload
	scratch_load_dwordx2 v[36:37], off, s32 offset:288 ; 8-byte Folded Reload
	scratch_load_dword v8, off, s32 offset:300 ; 4-byte Folded Reload
	scratch_load_dword v9, off, s32 offset:296 ; 4-byte Folded Reload
	;; [unrolled: 1-line block ×3, first 2 shown]
.LBB348_268:
	s_or_b64 exec, exec, s[6:7]
	s_waitcnt vmcnt(2)
	v_xor_b32_e32 v0, 32, v8
	s_waitcnt vmcnt(1)
	v_cmp_lt_i32_e32 vcc, v0, v9
	s_waitcnt vmcnt(0)
	v_max_f32_e32 v2, v3, v3
	v_xor_b32_e32 v4, 8, v8
	v_cndmask_b32_e32 v0, v8, v0, vcc
	s_waitcnt lgkmcnt(0)
	v_lshlrev_b32_e32 v1, 2, v0
	ds_bpermute_b32 v0, v1, v3
	v_xor_b32_e32 v3, 16, v8
	v_cmp_lt_i32_e32 vcc, v3, v9
	v_xor_b32_e32 v5, 4, v8
	v_xor_b32_e32 v6, 2, v8
	s_waitcnt lgkmcnt(0)
	v_max_f32_e32 v0, v0, v0
	v_max_f32_e32 v0, v2, v0
	v_cndmask_b32_e32 v2, v8, v3, vcc
	v_lshlrev_b32_e32 v2, 2, v2
	ds_bpermute_b32 v3, v2, v0
	v_cmp_lt_i32_e32 vcc, v4, v9
	v_and_b32_e32 v18, 63, v15
	s_lshr_b32 s15, s15, 16
	s_waitcnt lgkmcnt(0)
	v_max_f32_e32 v3, v3, v3
	v_max_f32_e32 v0, v0, v3
	v_cndmask_b32_e32 v3, v8, v4, vcc
	v_lshlrev_b32_e32 v3, 2, v3
	ds_bpermute_b32 v4, v3, v0
	v_cmp_lt_i32_e32 vcc, v5, v9
	s_waitcnt lgkmcnt(0)
	v_max_f32_e32 v4, v4, v4
	v_max_f32_e32 v0, v0, v4
	v_cndmask_b32_e32 v4, v8, v5, vcc
	v_lshlrev_b32_e32 v4, 2, v4
	ds_bpermute_b32 v5, v4, v0
	v_cmp_lt_i32_e32 vcc, v6, v9
	s_waitcnt lgkmcnt(0)
	v_max_f32_e32 v5, v5, v5
	v_max_f32_e32 v0, v0, v5
	v_cndmask_b32_e32 v5, v8, v6, vcc
	v_lshlrev_b32_e32 v19, 2, v5
	ds_bpermute_b32 v6, v19, v0
	v_accvgpr_read_b32 v5, a5
	v_cmp_eq_u32_e32 vcc, 0, v18
	v_lshlrev_b32_e32 v5, 2, v5
	s_and_saveexec_b64 s[2:3], vcc
	s_cbranch_execz .LBB348_270
; %bb.269:
	s_waitcnt lgkmcnt(0)
	v_max_f32_e32 v6, v6, v6
	v_max_f32_e32 v0, v0, v0
	;; [unrolled: 1-line block ×3, first 2 shown]
	ds_write_b32 v5, v0 offset:256
.LBB348_270:
	s_or_b64 exec, exec, s[2:3]
	v_cmp_gt_u32_e64 s[2:3], 2, v18
	v_mov_b32_e32 v0, 0xff7fffff
	s_waitcnt lgkmcnt(0)
	v_lshlrev_b32_e32 v6, 2, v18
	s_barrier
	s_and_saveexec_b64 s[4:5], s[2:3]
	s_cbranch_execz .LBB348_272
; %bb.271:
	ds_read_b32 v0, v6 offset:256
.LBB348_272:
	s_or_b64 exec, exec, s[4:5]
	v_xor_b32_e32 v7, 1, v8
	v_cmp_lt_i32_e64 s[4:5], v7, v9
	v_mov_b32_e32 v9, 0
	s_nop 0
	v_cndmask_b32_e64 v7, v8, v7, s[4:5]
	v_lshlrev_b32_e32 v25, 2, v7
	s_waitcnt lgkmcnt(0)
	ds_bpermute_b32 v7, v25, v0
	v_max_f32_e32 v0, v0, v0
	v_lshlrev_b32_e32 v8, 2, v8
	s_waitcnt lgkmcnt(0)
	v_max_f32_e32 v7, v7, v7
	v_max_f32_e32 v0, v0, v7
	v_and_b32_e32 v7, 0xffffff00, v8
	ds_bpermute_b32 v8, v7, v0
	scratch_load_dword v0, off, s32 offset:192 ; 4-byte Folded Reload
	s_waitcnt vmcnt(0)
	v_lshlrev_b32_e32 v0, 5, v0
	v_min_i32_e32 v0, v0, v29
	v_cmp_lt_i32_e64 s[4:5], v15, v0
	s_and_saveexec_b64 s[8:9], s[4:5]
	s_cbranch_execz .LBB348_276
; %bb.273:
	s_ashr_i32 s17, s16, 31
	s_lshl_b64 s[6:7], s[16:17], 2
	s_getpc_b64 s[18:19]
	s_add_u32 s18, s18, llvm.amdgcn.dynlds.offset.table@rel32@lo+4
	s_addc_u32 s19, s19, llvm.amdgcn.dynlds.offset.table@rel32@hi+12
	s_add_u32 s6, s6, s18
	s_addc_u32 s7, s7, s19
	s_load_dword s6, s[6:7], 0x0
	s_mov_b64 s[18:19], 0
	v_mov_b32_e32 v9, 0
	v_mov_b32_e32 v14, v15
	s_waitcnt lgkmcnt(0)
	v_lshl_add_u32 v13, v15, 2, s6
.LBB348_274:                            ; =>This Inner Loop Header: Depth=1
	ds_read_b32 v12, v13
	v_add_u32_e32 v14, 0x80, v14
	v_cmp_ge_i32_e64 s[6:7], v14, v0
	s_or_b64 s[18:19], s[6:7], s[18:19]
	s_waitcnt lgkmcnt(0)
	v_sub_f32_e32 v12, v12, v8
	v_mul_f32_e32 v12, 0x3fb8aa3b, v12
	v_exp_f32_e32 v12, v12
	ds_write_b32 v13, v12
	v_add_f32_e32 v9, v9, v12
	v_add_u32_e32 v13, 0x200, v13
	s_andn2_b64 exec, exec, s[18:19]
	s_cbranch_execnz .LBB348_274
; %bb.275:
	s_or_b64 exec, exec, s[18:19]
.LBB348_276:
	s_or_b64 exec, exec, s[8:9]
	ds_bpermute_b32 v1, v1, v9
	s_waitcnt lgkmcnt(0)
	v_add_f32_e32 v1, v9, v1
	ds_bpermute_b32 v2, v2, v1
	s_waitcnt lgkmcnt(0)
	v_add_f32_e32 v1, v1, v2
	;; [unrolled: 3-line block ×6, first 2 shown]
	s_and_saveexec_b64 s[6:7], vcc
	s_cbranch_execz .LBB348_278
; %bb.277:
	ds_write_b32 v5, v1 offset:264
.LBB348_278:
	s_or_b64 exec, exec, s[6:7]
	s_waitcnt lgkmcnt(0)
	s_barrier
	s_and_saveexec_b64 s[6:7], s[2:3]
	s_cbranch_execz .LBB348_280
; %bb.279:
	ds_read_b32 v1, v6 offset:264
.LBB348_280:
	s_or_b64 exec, exec, s[6:7]
	s_waitcnt lgkmcnt(0)
	ds_bpermute_b32 v2, v25, v1
	s_waitcnt lgkmcnt(0)
	v_add_f32_e32 v1, v1, v2
	ds_bpermute_b32 v1, v7, v1
	s_and_saveexec_b64 s[2:3], s[4:5]
	s_cbranch_execz .LBB348_293
; %bb.281:
	s_waitcnt lgkmcnt(0)
	v_add_f32_e32 v1, 0x358637bd, v1
	v_div_scale_f32 v2, s[4:5], v1, v1, 1.0
	v_rcp_f32_e32 v3, v2
	v_div_scale_f32 v4, vcc, 1.0, v1, 1.0
	s_movk_i32 s4, 0x7f
	v_fma_f32 v5, -v2, v3, 1.0
	v_fmac_f32_e32 v3, v5, v3
	v_mul_f32_e32 v5, v4, v3
	v_fma_f32 v6, -v2, v5, v4
	v_fmac_f32_e32 v5, v6, v3
	v_fma_f32 v2, -v2, v5, v4
	v_div_fmas_f32 v2, v2, v3, v5
	v_div_fixup_f32 v4, v2, v1, 1.0
	v_xad_u32 v2, v15, -1, v0
	v_cmp_lt_u32_e32 vcc, s4, v2
	s_mov_b64 s[6:7], -1
	v_mov_b32_e32 v1, v15
	s_and_saveexec_b64 s[4:5], vcc
	s_cbranch_execz .LBB348_290
; %bb.282:
	v_lshrrev_b32_e32 v1, 7, v2
	v_add_u32_e32 v3, -1, v1
	v_lshrrev_b32_e32 v2, 1, v3
	v_mov_b32_e32 v5, v4
	v_add_u32_e32 v2, 1, v2
	v_cmp_lt_u32_e32 vcc, 13, v3
	v_mov_b32_e32 v7, 0
	s_and_saveexec_b64 s[6:7], vcc
	s_cbranch_execz .LBB348_286
; %bb.283:
	s_ashr_i32 s17, s16, 31
	s_lshl_b64 s[8:9], s[16:17], 2
	s_getpc_b64 s[18:19]
	s_add_u32 s18, s18, llvm.amdgcn.dynlds.offset.table@rel32@lo+4
	s_addc_u32 s19, s19, llvm.amdgcn.dynlds.offset.table@rel32@hi+12
	s_add_u32 s8, s8, s18
	s_addc_u32 s9, s9, s19
	s_load_dword s8, s[8:9], 0x0
	v_and_b32_e32 v3, -8, v2
	s_mov_b32 s17, 0
	s_waitcnt lgkmcnt(0)
	v_lshl_add_u32 v6, v15, 2, s8
	s_mov_b64 s[8:9], 0
.LBB348_284:                            ; =>This Inner Loop Header: Depth=1
	ds_read2st64_b32 v[8:9], v6 offset1:2
	ds_read2st64_b32 v[16:17], v6 offset0:4 offset1:6
	ds_read2st64_b32 v[12:13], v6 offset0:8 offset1:10
	;; [unrolled: 1-line block ×3, first 2 shown]
	v_add_u32_e32 v3, -8, v3
	s_waitcnt lgkmcnt(3)
	v_pk_mul_f32 v[8:9], v[4:5], v[8:9]
	s_waitcnt lgkmcnt(2)
	v_pk_mul_f32 v[16:17], v[4:5], v[16:17]
	ds_write2st64_b32 v6, v8, v9 offset1:2
	ds_write2st64_b32 v6, v16, v17 offset0:4 offset1:6
	s_waitcnt lgkmcnt(3)
	v_pk_mul_f32 v[8:9], v[4:5], v[12:13]
	ds_read2st64_b32 v[12:13], v6 offset0:16 offset1:18
	ds_write2st64_b32 v6, v8, v9 offset0:8 offset1:10
	s_waitcnt lgkmcnt(4)
	v_pk_mul_f32 v[8:9], v[4:5], v[14:15]
	ds_write2st64_b32 v6, v8, v9 offset0:12 offset1:14
	ds_read2st64_b32 v[8:9], v6 offset0:20 offset1:22
	s_waitcnt lgkmcnt(3)
	v_pk_mul_f32 v[14:15], v[4:5], v[12:13]
	ds_read2st64_b32 v[12:13], v6 offset0:24 offset1:26
	ds_write2st64_b32 v6, v14, v15 offset0:16 offset1:18
	ds_read2st64_b32 v[14:15], v6 offset0:28 offset1:30
	s_waitcnt lgkmcnt(3)
	v_pk_mul_f32 v[8:9], v[4:5], v[8:9]
	ds_write2st64_b32 v6, v8, v9 offset0:20 offset1:22
	s_waitcnt lgkmcnt(3)
	v_pk_mul_f32 v[8:9], v[4:5], v[12:13]
	ds_write2st64_b32 v6, v8, v9 offset0:24 offset1:26
	s_waitcnt lgkmcnt(2)
	v_pk_mul_f32 v[8:9], v[4:5], v[14:15]
	s_add_i32 s17, s17, 16
	v_cmp_eq_u32_e32 vcc, 0, v3
	ds_write2st64_b32 v6, v8, v9 offset0:28 offset1:30
	v_add_u32_e32 v6, 0x2000, v6
	s_or_b64 s[8:9], vcc, s[8:9]
	v_mov_b32_e32 v7, s17
	s_andn2_b64 exec, exec, s[8:9]
	s_cbranch_execnz .LBB348_284
; %bb.285:
	s_or_b64 exec, exec, s[8:9]
	scratch_load_dword v15, off, s32 offset:276 ; 4-byte Folded Reload
.LBB348_286:
	s_or_b64 exec, exec, s[6:7]
	v_and_b32_e32 v2, 7, v2
	v_cmp_ne_u32_e32 vcc, 0, v2
	s_and_saveexec_b64 s[6:7], vcc
	s_cbranch_execz .LBB348_289
; %bb.287:
	s_ashr_i32 s17, s16, 31
	s_lshl_b64 s[8:9], s[16:17], 2
	s_getpc_b64 s[18:19]
	s_add_u32 s18, s18, llvm.amdgcn.dynlds.offset.table@rel32@lo+4
	s_addc_u32 s19, s19, llvm.amdgcn.dynlds.offset.table@rel32@hi+12
	s_add_u32 s8, s8, s18
	s_addc_u32 s9, s9, s19
	s_load_dword s8, s[8:9], 0x0
	v_lshlrev_b32_e32 v3, 9, v7
	s_waitcnt vmcnt(0)
	v_lshlrev_b32_e32 v6, 2, v15
	s_waitcnt lgkmcnt(0)
	v_add3_u32 v3, v3, v6, s8
	s_mov_b64 s[8:9], 0
.LBB348_288:                            ; =>This Inner Loop Header: Depth=1
	ds_read2st64_b32 v[6:7], v3 offset1:2
	v_add_u32_e32 v2, -1, v2
	v_cmp_eq_u32_e32 vcc, 0, v2
	s_or_b64 s[8:9], vcc, s[8:9]
	s_waitcnt lgkmcnt(0)
	v_pk_mul_f32 v[6:7], v[4:5], v[6:7]
	ds_write2st64_b32 v3, v6, v7 offset1:2
	v_add_u32_e32 v3, 0x400, v3
	s_andn2_b64 exec, exec, s[8:9]
	s_cbranch_execnz .LBB348_288
.LBB348_289:
	s_or_b64 exec, exec, s[6:7]
	v_add_u32_e32 v2, 1, v1
	v_and_b32_e32 v3, 0x3fffffe, v2
	v_cmp_ne_u32_e32 vcc, v2, v3
	s_waitcnt vmcnt(0)
	v_lshl_add_u32 v1, v3, 7, v15
	s_orn2_b64 s[6:7], vcc, exec
.LBB348_290:
	s_or_b64 exec, exec, s[4:5]
	s_and_b64 exec, exec, s[6:7]
	s_cbranch_execz .LBB348_293
; %bb.291:
	s_ashr_i32 s17, s16, 31
	s_lshl_b64 s[4:5], s[16:17], 2
	s_getpc_b64 s[6:7]
	s_add_u32 s6, s6, llvm.amdgcn.dynlds.offset.table@rel32@lo+4
	s_addc_u32 s7, s7, llvm.amdgcn.dynlds.offset.table@rel32@hi+12
	s_add_u32 s4, s4, s6
	s_addc_u32 s5, s5, s7
	s_load_dword s4, s[4:5], 0x0
	s_waitcnt lgkmcnt(0)
	v_lshl_add_u32 v2, v1, 2, s4
	s_mov_b64 s[4:5], 0
.LBB348_292:                            ; =>This Inner Loop Header: Depth=1
	ds_read_b32 v3, v2
	v_add_u32_e32 v1, 0x80, v1
	v_cmp_ge_i32_e32 vcc, v1, v0
	s_or_b64 s[4:5], vcc, s[4:5]
	s_waitcnt lgkmcnt(0)
	v_mul_f32_e32 v3, v4, v3
	ds_write_b32 v2, v3
	v_add_u32_e32 v2, 0x200, v2
	s_andn2_b64 exec, exec, s[4:5]
	s_cbranch_execnz .LBB348_292
.LBB348_293:
	s_or_b64 exec, exec, s[2:3]
	v_mov_b32_e32 v13, 0
	v_and_b32_e32 v24, 3, v15
	v_mov_b32_e32 v12, 0
	v_mov_b32_e32 v15, 0
	;; [unrolled: 1-line block ×7, first 2 shown]
	s_waitcnt lgkmcnt(0)
	s_barrier
	s_and_saveexec_b64 s[2:3], s[0:1]
	s_cbranch_execz .LBB348_857
; %bb.294:
	scratch_load_dword v3, off, s32 offset:192 ; 4-byte Folded Reload
	flat_load_dword v35, v[22:23]
	s_ashr_i32 s17, s16, 31
	s_lshl_b64 s[0:1], s[16:17], 2
	v_lshl_add_u64 v[0:1], v[26:27], 0, v[36:37]
	v_and_b32_e32 v22, 0x1f8, v30
	v_mov_b32_e32 v23, 0
	s_getpc_b64 s[4:5]
	s_add_u32 s4, s4, llvm.amdgcn.dynlds.offset.table@rel32@lo+4
	s_addc_u32 s5, s5, llvm.amdgcn.dynlds.offset.table@rel32@hi+12
	s_add_u32 s0, s0, s4
	v_lshl_add_u64 v[0:1], v[0:1], 0, v[22:23]
	s_addc_u32 s1, s1, s5
	v_accvgpr_write_b32 a13, v1
	v_and_b32_e32 v22, 60, v28
	s_load_dword s0, s[0:1], 0x0
	v_accvgpr_write_b32 a12, v0
	v_lshl_add_u64 v[0:1], v[32:33], 2, v[22:23]
	v_lshl_add_u64 v[10:11], v[10:11], 0, v[0:1]
	v_accvgpr_read_b32 v1, a5
	v_and_b32_e32 v2, 24, v30
	v_lshlrev_b32_e32 v0, 5, v1
	v_or3_b32 v22, v0, v2, 7
	v_lshlrev_b32_e32 v0, 5, v24
	v_lshl_or_b32 v0, v1, 7, v0
	v_accvgpr_write_b32 a8, v25
	v_accvgpr_write_b32 a7, v19
	;; [unrolled: 1-line block ×4, first 2 shown]
	s_waitcnt lgkmcnt(0)
	v_add_u32_e32 v27, s0, v0
	s_mov_b64 s[4:5], 0
	s_mov_b32 s8, 0x7f800000
	s_movk_i32 s9, 0x7fff
	v_mov_b32_e32 v20, 0
	v_mov_b32_e32 v21, 0
	;; [unrolled: 1-line block ×8, first 2 shown]
	s_waitcnt vmcnt(0)
	v_add_u32_e32 v3, -1, v3
	v_accvgpr_write_b32 a10, v3
	s_branch .LBB348_296
.LBB348_295:                            ;   in Loop: Header=BB348_296 Depth=1
	s_or_b64 exec, exec, s[0:1]
	v_accvgpr_read_b32 v19, a15
	v_and_b32_e32 v33, 0xffff0000, v19
	v_accvgpr_read_b32 v19, a11
	v_and_b32_e32 v32, 0xffff0000, v19
	;; [unrolled: 2-line block ×3, first 2 shown]
	v_and_b32_e32 v44, 0xffff0000, v25
	v_accvgpr_read_b32 v19, a19
	v_pk_add_f32 v[32:33], v[44:45], v[32:33]
	v_and_b32_e32 v45, 0xffff0000, v19
	v_accvgpr_read_b32 v19, a17
	v_and_b32_e32 v44, 0xffff0000, v19
	v_accvgpr_read_b32 v19, a18
	;; [unrolled: 2-line block ×3, first 2 shown]
	v_and_b32_e32 v24, 0xffff0000, v19
	v_pk_add_f32 v[24:25], v[24:25], v[44:45]
	v_add_f32_e32 v19, v32, v33
	v_add_f32_e32 v19, v19, v24
	v_accvgpr_read_b32 v24, a30
	v_accvgpr_read_b32 v26, a29
	v_add_f32_e32 v19, v19, v25
	v_and_b32_e32 v25, 0xffff0000, v24
	v_accvgpr_read_b32 v24, a28
	v_and_b32_e32 v33, 0xffff0000, v26
	v_accvgpr_read_b32 v26, a27
	v_and_b32_e32 v24, 0xffff0000, v24
	v_and_b32_e32 v32, 0xffff0000, v26
	v_accvgpr_read_b32 v26, a34
	v_pk_add_f32 v[24:25], v[32:33], v[24:25]
	v_and_b32_e32 v33, 0xffff0000, v26
	v_accvgpr_read_b32 v26, a32
	v_and_b32_e32 v32, 0xffff0000, v26
	v_accvgpr_read_b32 v26, a33
	;; [unrolled: 2-line block ×3, first 2 shown]
	v_and_b32_e32 v44, 0xffff0000, v26
	v_pk_add_f32 v[32:33], v[44:45], v[32:33]
	v_add_f32_e32 v24, v24, v25
	v_add_f32_e32 v24, v24, v32
	;; [unrolled: 1-line block ×3, first 2 shown]
	v_accvgpr_read_b32 v24, a38
	v_accvgpr_read_b32 v28, a37
	v_and_b32_e32 v25, 0xffff0000, v24
	v_accvgpr_read_b32 v24, a36
	v_and_b32_e32 v33, 0xffff0000, v28
	v_accvgpr_read_b32 v28, a35
	v_and_b32_e32 v24, 0xffff0000, v24
	v_and_b32_e32 v32, 0xffff0000, v28
	v_add_f32_e32 v20, v20, v19
	v_accvgpr_read_b32 v19, a42
	v_pk_add_f32 v[24:25], v[32:33], v[24:25]
	v_and_b32_e32 v33, 0xffff0000, v19
	v_accvgpr_read_b32 v19, a40
	v_and_b32_e32 v32, 0xffff0000, v19
	v_accvgpr_read_b32 v19, a41
	;; [unrolled: 2-line block ×3, first 2 shown]
	v_and_b32_e32 v44, 0xffff0000, v19
	v_pk_add_f32 v[32:33], v[44:45], v[32:33]
	v_add_f32_e32 v19, v24, v25
	v_add_f32_e32 v19, v19, v32
	;; [unrolled: 1-line block ×4, first 2 shown]
	v_and_b32_e32 v19, 0xffff0000, v8
	v_accvgpr_read_b32 v8, a45
	v_and_b32_e32 v25, 0xffff0000, v8
	v_accvgpr_read_b32 v8, a44
	;; [unrolled: 2-line block ×3, first 2 shown]
	v_and_b32_e32 v33, 0xffff0000, v30
	v_and_b32_e32 v32, 0xffff0000, v8
	;; [unrolled: 1-line block ×5, first 2 shown]
	v_pk_add_f32 v[24:25], v[32:33], v[24:25]
	v_pk_add_f32 v[6:7], v[6:7], v[18:19]
	v_add_f32_e32 v8, v24, v25
	v_add_f32_e32 v6, v8, v6
	v_add_f32_e32 v6, v6, v7
	v_and_b32_e32 v25, 0xffff0000, v38
	v_and_b32_e32 v24, 0xffff0000, v31
	v_and_b32_e32 v31, 0xffff0000, v37
	v_and_b32_e32 v30, 0xffff0000, v9
	v_add_f32_e32 v17, v17, v6
	v_and_b32_e32 v7, 0xffff0000, v57
	v_and_b32_e32 v6, 0xffff0000, v47
	v_and_b32_e32 v19, 0xffff0000, v56
	v_and_b32_e32 v18, 0xffff0000, v39
	v_pk_add_f32 v[8:9], v[30:31], v[24:25]
	v_pk_add_f32 v[6:7], v[18:19], v[6:7]
	v_add_f32_e32 v8, v8, v9
	v_add_f32_e32 v6, v8, v6
	v_add_f32_e32 v6, v6, v7
	v_and_b32_e32 v19, 0xffff0000, v61
	v_and_b32_e32 v18, 0xffff0000, v59
	v_and_b32_e32 v25, 0xffff0000, v60
	v_and_b32_e32 v24, 0xffff0000, v58
	v_add_f32_e32 v14, v14, v6
	v_and_b32_e32 v7, 0xffff0000, v50
	v_and_b32_e32 v6, 0xffff0000, v48
	v_and_b32_e32 v9, 0xffff0000, v49
	v_and_b32_e32 v8, 0xffff0000, v62
	;; [unrolled: 14-line block ×4, first 2 shown]
	v_pk_add_f32 v[2:3], v[2:3], v[6:7]
	v_pk_add_f32 v[0:1], v[0:1], v[4:5]
	v_add_f32_e32 v2, v2, v3
	v_add_f32_e32 v0, v2, v0
	;; [unrolled: 1-line block ×4, first 2 shown]
	scratch_load_dword v0, off, s32 offset:192 ; 4-byte Folded Reload
	v_accvgpr_read_b32 v1, a5
	v_add_u32_e32 v1, 2, v1
	v_add_f32_e32 v21, v21, v26
	v_lshl_add_u64 v[10:11], v[10:11], 0, 8
	v_add_u32_e32 v22, 64, v22
	v_accvgpr_write_b32 a5, v1
	v_add_u32_e32 v27, 0x100, v27
	s_waitcnt vmcnt(0)
	v_cmp_ge_i32_e32 vcc, v1, v0
	s_or_b64 s[4:5], vcc, s[4:5]
	s_andn2_b64 exec, exec, s[4:5]
	s_cbranch_execz .LBB348_856
.LBB348_296:                            ; =>This Inner Loop Header: Depth=1
	flat_load_dword v26, v[10:11]
	ds_read2_b64 v[6:9], v27 offset1:1
	ds_read2_b64 v[2:5], v27 offset0:2 offset1:3
                                        ; implicit-def: $vgpr25
	s_waitcnt lgkmcnt(0)
	v_and_b32_e32 v0, 0x7f800000, v6
	v_cmp_ne_u32_e32 vcc, s8, v0
	s_and_saveexec_b64 s[0:1], vcc
	s_xor_b64 s[0:1], exec, s[0:1]
; %bb.297:                              ;   in Loop: Header=BB348_296 Depth=1
	v_bfe_u32 v0, v6, 16, 1
	v_add3_u32 v25, v6, v0, s9
; %bb.298:                              ;   in Loop: Header=BB348_296 Depth=1
	s_andn2_saveexec_b64 s[0:1], s[0:1]
; %bb.299:                              ;   in Loop: Header=BB348_296 Depth=1
	v_or_b32_e32 v0, 0x10000, v6
	v_cmp_eq_u32_sdwa vcc, v6, v23 src0_sel:WORD_0 src1_sel:DWORD
	s_nop 1
	v_cndmask_b32_e32 v25, v0, v6, vcc
; %bb.300:                              ;   in Loop: Header=BB348_296 Depth=1
	s_or_b64 exec, exec, s[0:1]
	v_and_b32_e32 v0, 0x7f800000, v7
	v_cmp_ne_u32_e32 vcc, s8, v0
                                        ; implicit-def: $vgpr24
	s_and_saveexec_b64 s[0:1], vcc
	s_xor_b64 s[0:1], exec, s[0:1]
; %bb.301:                              ;   in Loop: Header=BB348_296 Depth=1
	v_bfe_u32 v0, v7, 16, 1
	v_add3_u32 v24, v7, v0, s9
; %bb.302:                              ;   in Loop: Header=BB348_296 Depth=1
	s_andn2_saveexec_b64 s[0:1], s[0:1]
; %bb.303:                              ;   in Loop: Header=BB348_296 Depth=1
	v_or_b32_e32 v0, 0x10000, v7
	v_cmp_eq_u32_sdwa vcc, v7, v23 src0_sel:WORD_0 src1_sel:DWORD
	s_nop 1
	v_cndmask_b32_e32 v24, v0, v7, vcc
; %bb.304:                              ;   in Loop: Header=BB348_296 Depth=1
	s_or_b64 exec, exec, s[0:1]
	v_and_b32_e32 v0, 0x7f800000, v8
	v_cmp_ne_u32_e32 vcc, s8, v0
                                        ; implicit-def: $vgpr19
	s_and_saveexec_b64 s[0:1], vcc
	s_xor_b64 s[0:1], exec, s[0:1]
; %bb.305:                              ;   in Loop: Header=BB348_296 Depth=1
	v_bfe_u32 v0, v8, 16, 1
	v_add3_u32 v19, v8, v0, s9
; %bb.306:                              ;   in Loop: Header=BB348_296 Depth=1
	s_andn2_saveexec_b64 s[0:1], s[0:1]
; %bb.307:                              ;   in Loop: Header=BB348_296 Depth=1
	v_or_b32_e32 v0, 0x10000, v8
	v_cmp_eq_u32_sdwa vcc, v8, v23 src0_sel:WORD_0 src1_sel:DWORD
	s_nop 1
	v_cndmask_b32_e32 v19, v0, v8, vcc
; %bb.308:                              ;   in Loop: Header=BB348_296 Depth=1
	s_or_b64 exec, exec, s[0:1]
	v_and_b32_e32 v0, 0x7f800000, v9
	v_cmp_ne_u32_e32 vcc, s8, v0
                                        ; implicit-def: $vgpr18
	s_and_saveexec_b64 s[0:1], vcc
	s_xor_b64 s[0:1], exec, s[0:1]
; %bb.309:                              ;   in Loop: Header=BB348_296 Depth=1
	v_bfe_u32 v0, v9, 16, 1
	v_add3_u32 v18, v9, v0, s9
                                        ; implicit-def: $vgpr6_vgpr7_vgpr8_vgpr9
; %bb.310:                              ;   in Loop: Header=BB348_296 Depth=1
	s_andn2_saveexec_b64 s[0:1], s[0:1]
; %bb.311:                              ;   in Loop: Header=BB348_296 Depth=1
	v_or_b32_e32 v0, 0x10000, v9
	v_cmp_eq_u32_sdwa vcc, v9, v23 src0_sel:WORD_0 src1_sel:DWORD
	s_nop 1
	v_cndmask_b32_e32 v18, v0, v9, vcc
; %bb.312:                              ;   in Loop: Header=BB348_296 Depth=1
	s_or_b64 exec, exec, s[0:1]
	v_and_b32_e32 v0, 0x7f800000, v2
	v_cmp_ne_u32_e32 vcc, s8, v0
                                        ; implicit-def: $vgpr7
	s_and_saveexec_b64 s[0:1], vcc
	s_xor_b64 s[0:1], exec, s[0:1]
; %bb.313:                              ;   in Loop: Header=BB348_296 Depth=1
	v_bfe_u32 v0, v2, 16, 1
	v_add3_u32 v7, v2, v0, s9
; %bb.314:                              ;   in Loop: Header=BB348_296 Depth=1
	s_andn2_saveexec_b64 s[0:1], s[0:1]
; %bb.315:                              ;   in Loop: Header=BB348_296 Depth=1
	v_or_b32_e32 v0, 0x10000, v2
	v_cmp_eq_u32_sdwa vcc, v2, v23 src0_sel:WORD_0 src1_sel:DWORD
	s_nop 1
	v_cndmask_b32_e32 v7, v0, v2, vcc
; %bb.316:                              ;   in Loop: Header=BB348_296 Depth=1
	s_or_b64 exec, exec, s[0:1]
	v_and_b32_e32 v0, 0x7f800000, v3
	v_cmp_ne_u32_e32 vcc, s8, v0
                                        ; implicit-def: $vgpr6
	s_and_saveexec_b64 s[0:1], vcc
	s_xor_b64 s[0:1], exec, s[0:1]
; %bb.317:                              ;   in Loop: Header=BB348_296 Depth=1
	v_bfe_u32 v0, v3, 16, 1
	v_add3_u32 v6, v3, v0, s9
; %bb.318:                              ;   in Loop: Header=BB348_296 Depth=1
	s_andn2_saveexec_b64 s[0:1], s[0:1]
; %bb.319:                              ;   in Loop: Header=BB348_296 Depth=1
	v_or_b32_e32 v0, 0x10000, v3
	v_cmp_eq_u32_sdwa vcc, v3, v23 src0_sel:WORD_0 src1_sel:DWORD
	s_nop 1
	v_cndmask_b32_e32 v6, v0, v3, vcc
; %bb.320:                              ;   in Loop: Header=BB348_296 Depth=1
	s_or_b64 exec, exec, s[0:1]
	v_and_b32_e32 v0, 0x7f800000, v4
	v_cmp_ne_u32_e32 vcc, s8, v0
                                        ; implicit-def: $vgpr1
	s_and_saveexec_b64 s[0:1], vcc
	s_xor_b64 s[0:1], exec, s[0:1]
; %bb.321:                              ;   in Loop: Header=BB348_296 Depth=1
	v_bfe_u32 v0, v4, 16, 1
	v_add3_u32 v1, v4, v0, s9
; %bb.322:                              ;   in Loop: Header=BB348_296 Depth=1
	s_andn2_saveexec_b64 s[0:1], s[0:1]
; %bb.323:                              ;   in Loop: Header=BB348_296 Depth=1
	v_or_b32_e32 v0, 0x10000, v4
	v_cmp_eq_u32_sdwa vcc, v4, v23 src0_sel:WORD_0 src1_sel:DWORD
	s_nop 1
	v_cndmask_b32_e32 v1, v0, v4, vcc
; %bb.324:                              ;   in Loop: Header=BB348_296 Depth=1
	s_or_b64 exec, exec, s[0:1]
	v_and_b32_e32 v0, 0x7f800000, v5
	v_cmp_ne_u32_e32 vcc, s8, v0
                                        ; implicit-def: $vgpr0
	s_and_saveexec_b64 s[0:1], vcc
	s_xor_b64 s[0:1], exec, s[0:1]
; %bb.325:                              ;   in Loop: Header=BB348_296 Depth=1
	v_bfe_u32 v0, v5, 16, 1
	v_add3_u32 v0, v5, v0, s9
                                        ; implicit-def: $vgpr2_vgpr3_vgpr4_vgpr5
; %bb.326:                              ;   in Loop: Header=BB348_296 Depth=1
	s_andn2_saveexec_b64 s[0:1], s[0:1]
; %bb.327:                              ;   in Loop: Header=BB348_296 Depth=1
	v_or_b32_e32 v0, 0x10000, v5
	v_cmp_eq_u32_sdwa vcc, v5, v23 src0_sel:WORD_0 src1_sel:DWORD
	s_nop 1
	v_cndmask_b32_e32 v0, v0, v5, vcc
; %bb.328:                              ;   in Loop: Header=BB348_296 Depth=1
	s_or_b64 exec, exec, s[0:1]
	v_accvgpr_read_b32 v4, a12
	v_accvgpr_read_b32 v2, a4
	v_accvgpr_read_b32 v5, a13
	s_waitcnt vmcnt(0)
	v_mad_i64_i32 v[2:3], s[0:1], v26, v2, v[4:5]
	flat_load_dwordx2 v[4:5], v[2:3]
	s_waitcnt vmcnt(0) lgkmcnt(0)
	v_and_b32_e32 v8, 0xff, v4
	v_cvt_f32_fp8_sdwa v8, v8 src0_sel:BYTE_0
	s_nop 0
	v_mul_f32_e32 v9, v35, v8
	v_and_b32_e32 v8, 0x7f800000, v9
	v_cmp_ne_u32_e32 vcc, s8, v8
                                        ; implicit-def: $vgpr8
	s_and_saveexec_b64 s[0:1], vcc
	s_xor_b64 s[0:1], exec, s[0:1]
; %bb.329:                              ;   in Loop: Header=BB348_296 Depth=1
	v_bfe_u32 v8, v9, 16, 1
	v_add3_u32 v8, v9, v8, s9
                                        ; implicit-def: $vgpr9
; %bb.330:                              ;   in Loop: Header=BB348_296 Depth=1
	s_andn2_saveexec_b64 s[0:1], s[0:1]
; %bb.331:                              ;   in Loop: Header=BB348_296 Depth=1
	v_or_b32_e32 v8, 0x10000, v9
	v_cmp_eq_u32_sdwa vcc, v9, v23 src0_sel:WORD_0 src1_sel:DWORD
	s_nop 1
	v_cndmask_b32_e32 v8, v8, v9, vcc
; %bb.332:                              ;   in Loop: Header=BB348_296 Depth=1
	s_or_b64 exec, exec, s[0:1]
	v_bfe_u32 v9, v4, 8, 8
	v_cvt_f32_fp8_sdwa v9, v9 src0_sel:BYTE_0
	s_nop 0
	v_mul_f32_e32 v26, v35, v9
	v_and_b32_e32 v9, 0x7f800000, v26
	v_cmp_ne_u32_e32 vcc, s8, v9
                                        ; implicit-def: $vgpr9
	s_and_saveexec_b64 s[0:1], vcc
	s_xor_b64 s[0:1], exec, s[0:1]
; %bb.333:                              ;   in Loop: Header=BB348_296 Depth=1
	v_bfe_u32 v9, v26, 16, 1
	v_add3_u32 v9, v26, v9, s9
                                        ; implicit-def: $vgpr26
; %bb.334:                              ;   in Loop: Header=BB348_296 Depth=1
	s_andn2_saveexec_b64 s[0:1], s[0:1]
; %bb.335:                              ;   in Loop: Header=BB348_296 Depth=1
	v_or_b32_e32 v9, 0x10000, v26
	v_cmp_eq_u32_sdwa vcc, v26, v23 src0_sel:WORD_0 src1_sel:DWORD
	s_nop 1
	v_cndmask_b32_e32 v9, v9, v26, vcc
; %bb.336:                              ;   in Loop: Header=BB348_296 Depth=1
	s_or_b64 exec, exec, s[0:1]
	v_bfe_u32 v26, v4, 16, 8
	v_cvt_f32_fp8_sdwa v26, v26 src0_sel:BYTE_0
	s_nop 0
	v_mul_f32_e32 v26, v35, v26
	v_and_b32_e32 v28, 0x7f800000, v26
	v_cmp_ne_u32_e32 vcc, s8, v28
                                        ; implicit-def: $vgpr28
	s_and_saveexec_b64 s[0:1], vcc
	s_xor_b64 s[0:1], exec, s[0:1]
; %bb.337:                              ;   in Loop: Header=BB348_296 Depth=1
	v_bfe_u32 v28, v26, 16, 1
	v_add3_u32 v28, v26, v28, s9
                                        ; implicit-def: $vgpr26
; %bb.338:                              ;   in Loop: Header=BB348_296 Depth=1
	s_andn2_saveexec_b64 s[0:1], s[0:1]
; %bb.339:                              ;   in Loop: Header=BB348_296 Depth=1
	v_or_b32_e32 v28, 0x10000, v26
	v_cmp_eq_u32_sdwa vcc, v26, v23 src0_sel:WORD_0 src1_sel:DWORD
	s_nop 1
	v_cndmask_b32_e32 v28, v28, v26, vcc
; %bb.340:                              ;   in Loop: Header=BB348_296 Depth=1
	s_or_b64 exec, exec, s[0:1]
	v_lshrrev_b32_e32 v4, 24, v4
	v_cvt_f32_fp8_sdwa v4, v4 src0_sel:BYTE_0
	s_nop 0
	v_mul_f32_e32 v26, v35, v4
	v_and_b32_e32 v4, 0x7f800000, v26
	v_cmp_ne_u32_e32 vcc, s8, v4
                                        ; implicit-def: $vgpr4
	s_and_saveexec_b64 s[0:1], vcc
	s_xor_b64 s[0:1], exec, s[0:1]
; %bb.341:                              ;   in Loop: Header=BB348_296 Depth=1
	v_bfe_u32 v4, v26, 16, 1
	v_add3_u32 v4, v26, v4, s9
                                        ; implicit-def: $vgpr26
; %bb.342:                              ;   in Loop: Header=BB348_296 Depth=1
	s_andn2_saveexec_b64 s[0:1], s[0:1]
; %bb.343:                              ;   in Loop: Header=BB348_296 Depth=1
	v_or_b32_e32 v4, 0x10000, v26
	v_cmp_eq_u32_sdwa vcc, v26, v23 src0_sel:WORD_0 src1_sel:DWORD
	s_nop 1
	v_cndmask_b32_e32 v4, v4, v26, vcc
; %bb.344:                              ;   in Loop: Header=BB348_296 Depth=1
	s_or_b64 exec, exec, s[0:1]
	v_and_b32_e32 v26, 0xff, v5
	v_cvt_f32_fp8_sdwa v26, v26 src0_sel:BYTE_0
	s_nop 0
	v_mul_f32_e32 v26, v35, v26
	v_and_b32_e32 v30, 0x7f800000, v26
	v_cmp_ne_u32_e32 vcc, s8, v30
                                        ; implicit-def: $vgpr30
	s_and_saveexec_b64 s[0:1], vcc
	s_xor_b64 s[0:1], exec, s[0:1]
; %bb.345:                              ;   in Loop: Header=BB348_296 Depth=1
	v_bfe_u32 v30, v26, 16, 1
	v_add3_u32 v30, v26, v30, s9
                                        ; implicit-def: $vgpr26
; %bb.346:                              ;   in Loop: Header=BB348_296 Depth=1
	s_andn2_saveexec_b64 s[0:1], s[0:1]
; %bb.347:                              ;   in Loop: Header=BB348_296 Depth=1
	v_or_b32_e32 v30, 0x10000, v26
	v_cmp_eq_u32_sdwa vcc, v26, v23 src0_sel:WORD_0 src1_sel:DWORD
	s_nop 1
	v_cndmask_b32_e32 v30, v30, v26, vcc
; %bb.348:                              ;   in Loop: Header=BB348_296 Depth=1
	s_or_b64 exec, exec, s[0:1]
	v_bfe_u32 v26, v5, 8, 8
	v_cvt_f32_fp8_sdwa v26, v26 src0_sel:BYTE_0
	s_nop 0
	v_mul_f32_e32 v31, v35, v26
	v_and_b32_e32 v26, 0x7f800000, v31
	v_cmp_ne_u32_e32 vcc, s8, v26
                                        ; implicit-def: $vgpr26
	s_and_saveexec_b64 s[0:1], vcc
	s_xor_b64 s[0:1], exec, s[0:1]
; %bb.349:                              ;   in Loop: Header=BB348_296 Depth=1
	v_bfe_u32 v26, v31, 16, 1
	v_add3_u32 v26, v31, v26, s9
                                        ; implicit-def: $vgpr31
; %bb.350:                              ;   in Loop: Header=BB348_296 Depth=1
	s_andn2_saveexec_b64 s[0:1], s[0:1]
; %bb.351:                              ;   in Loop: Header=BB348_296 Depth=1
	v_or_b32_e32 v26, 0x10000, v31
	v_cmp_eq_u32_sdwa vcc, v31, v23 src0_sel:WORD_0 src1_sel:DWORD
	s_nop 1
	v_cndmask_b32_e32 v26, v26, v31, vcc
; %bb.352:                              ;   in Loop: Header=BB348_296 Depth=1
	s_or_b64 exec, exec, s[0:1]
	v_bfe_u32 v31, v5, 16, 8
	v_cvt_f32_fp8_sdwa v31, v31 src0_sel:BYTE_0
	s_nop 0
	v_mul_f32_e32 v31, v35, v31
	v_and_b32_e32 v32, 0x7f800000, v31
	v_cmp_ne_u32_e32 vcc, s8, v32
                                        ; implicit-def: $vgpr32
	s_and_saveexec_b64 s[0:1], vcc
	s_xor_b64 s[0:1], exec, s[0:1]
; %bb.353:                              ;   in Loop: Header=BB348_296 Depth=1
	v_bfe_u32 v32, v31, 16, 1
	v_add3_u32 v32, v31, v32, s9
                                        ; implicit-def: $vgpr31
; %bb.354:                              ;   in Loop: Header=BB348_296 Depth=1
	s_andn2_saveexec_b64 s[0:1], s[0:1]
; %bb.355:                              ;   in Loop: Header=BB348_296 Depth=1
	v_or_b32_e32 v32, 0x10000, v31
	v_cmp_eq_u32_sdwa vcc, v31, v23 src0_sel:WORD_0 src1_sel:DWORD
	s_nop 1
	v_cndmask_b32_e32 v32, v32, v31, vcc
; %bb.356:                              ;   in Loop: Header=BB348_296 Depth=1
	s_or_b64 exec, exec, s[0:1]
	v_lshrrev_b32_e32 v5, 24, v5
	v_cvt_f32_fp8_sdwa v5, v5 src0_sel:BYTE_0
                                        ; implicit-def: $vgpr33
	s_nop 0
	v_mul_f32_e32 v5, v35, v5
	v_and_b32_e32 v31, 0x7f800000, v5
	v_cmp_ne_u32_e32 vcc, s8, v31
	s_and_saveexec_b64 s[0:1], vcc
	s_xor_b64 s[0:1], exec, s[0:1]
; %bb.357:                              ;   in Loop: Header=BB348_296 Depth=1
	v_bfe_u32 v31, v5, 16, 1
	v_add3_u32 v33, v5, v31, s9
                                        ; implicit-def: $vgpr5
; %bb.358:                              ;   in Loop: Header=BB348_296 Depth=1
	s_andn2_saveexec_b64 s[0:1], s[0:1]
; %bb.359:                              ;   in Loop: Header=BB348_296 Depth=1
	v_or_b32_e32 v31, 0x10000, v5
	v_cmp_eq_u32_sdwa vcc, v5, v23 src0_sel:WORD_0 src1_sel:DWORD
	s_nop 1
	v_cndmask_b32_e32 v33, v31, v5, vcc
; %bb.360:                              ;   in Loop: Header=BB348_296 Depth=1
	s_or_b64 exec, exec, s[0:1]
	v_accvgpr_read_b32 v5, a5
	v_accvgpr_read_b32 v31, a10
	v_cmp_eq_u32_e32 vcc, v31, v5
	v_add_u32_e32 v5, -7, v22
	v_accvgpr_write_b32 a20, v5
	v_lshrrev_b32_e32 v5, 16, v32
	v_add_u32_e32 v32, -6, v22
	v_accvgpr_write_b32 a26, v32
	v_add_u32_e32 v32, -5, v22
	v_accvgpr_write_b32 a25, v32
	;; [unrolled: 2-line block ×5, first 2 shown]
	v_add_u32_e32 v32, -1, v22
	v_lshrrev_b32_e32 v26, 16, v26
	v_lshrrev_b32_e32 v30, 16, v30
	;; [unrolled: 1-line block ×7, first 2 shown]
	v_accvgpr_write_b32 a21, v32
	s_and_saveexec_b64 s[6:7], vcc
	s_cbranch_execz .LBB348_362
; %bb.361:                              ;   in Loop: Header=BB348_296 Depth=1
	v_accvgpr_read_b32 v32, a20
	v_cmp_lt_i32_e64 s[0:1], v32, v29
	v_accvgpr_read_b32 v32, a26
	s_nop 0
	v_cndmask_b32_e64 v8, 0, v8, s[0:1]
	v_cmp_lt_i32_e64 s[0:1], v32, v29
	v_accvgpr_read_b32 v32, a25
	s_nop 0
	v_cndmask_b32_e64 v9, 0, v9, s[0:1]
	;; [unrolled: 4-line block ×6, first 2 shown]
	v_cmp_lt_i32_e64 s[0:1], v32, v29
	s_nop 1
	v_cndmask_b32_e64 v5, 0, v5, s[0:1]
	v_cmp_lt_i32_e64 s[0:1], v22, v29
	s_nop 1
	v_cndmask_b32_e64 v4, 0, v4, s[0:1]
.LBB348_362:                            ;   in Loop: Header=BB348_296 Depth=1
	s_or_b64 exec, exec, s[6:7]
	v_and_b32_e32 v55, 0xffff0000, v25
	v_lshlrev_b32_e32 v8, 16, v8
	v_mul_f32_e32 v8, v55, v8
	v_and_b32_e32 v25, 0x7f800000, v8
	v_cmp_ne_u32_e64 s[0:1], s8, v25
                                        ; implicit-def: $vgpr25
	s_and_saveexec_b64 s[6:7], s[0:1]
	s_xor_b64 s[0:1], exec, s[6:7]
; %bb.363:                              ;   in Loop: Header=BB348_296 Depth=1
	v_bfe_u32 v25, v8, 16, 1
	v_add3_u32 v25, v8, v25, s9
                                        ; implicit-def: $vgpr8
; %bb.364:                              ;   in Loop: Header=BB348_296 Depth=1
	s_andn2_saveexec_b64 s[6:7], s[0:1]
; %bb.365:                              ;   in Loop: Header=BB348_296 Depth=1
	v_or_b32_e32 v25, 0x10000, v8
	v_cmp_eq_u32_sdwa s[0:1], v8, v23 src0_sel:WORD_0 src1_sel:DWORD
	s_nop 1
	v_cndmask_b32_e64 v25, v25, v8, s[0:1]
; %bb.366:                              ;   in Loop: Header=BB348_296 Depth=1
	s_or_b64 exec, exec, s[6:7]
	v_and_b32_e32 v40, 0xffff0000, v24
	v_lshlrev_b32_e32 v8, 16, v9
	v_mul_f32_e32 v8, v40, v8
	v_and_b32_e32 v9, 0x7f800000, v8
	v_cmp_ne_u32_e64 s[0:1], s8, v9
                                        ; implicit-def: $agpr11
	s_and_saveexec_b64 s[6:7], s[0:1]
	s_xor_b64 s[0:1], exec, s[6:7]
; %bb.367:                              ;   in Loop: Header=BB348_296 Depth=1
	v_bfe_u32 v9, v8, 16, 1
	v_add3_u32 v8, v8, v9, s9
	v_accvgpr_write_b32 a11, v8
                                        ; implicit-def: $vgpr8
; %bb.368:                              ;   in Loop: Header=BB348_296 Depth=1
	s_andn2_saveexec_b64 s[6:7], s[0:1]
; %bb.369:                              ;   in Loop: Header=BB348_296 Depth=1
	v_or_b32_e32 v9, 0x10000, v8
	v_cmp_eq_u32_sdwa s[0:1], v8, v23 src0_sel:WORD_0 src1_sel:DWORD
	s_nop 1
	v_cndmask_b32_e64 v8, v9, v8, s[0:1]
	v_accvgpr_write_b32 a11, v8
; %bb.370:                              ;   in Loop: Header=BB348_296 Depth=1
	s_or_b64 exec, exec, s[6:7]
	v_and_b32_e32 v41, 0xffff0000, v19
	v_lshlrev_b32_e32 v8, 16, v28
	v_mul_f32_e32 v8, v41, v8
	v_and_b32_e32 v9, 0x7f800000, v8
	v_cmp_ne_u32_e64 s[0:1], s8, v9
                                        ; implicit-def: $agpr14
	s_and_saveexec_b64 s[6:7], s[0:1]
	s_xor_b64 s[0:1], exec, s[6:7]
; %bb.371:                              ;   in Loop: Header=BB348_296 Depth=1
	v_bfe_u32 v9, v8, 16, 1
	v_add3_u32 v8, v8, v9, s9
	v_accvgpr_write_b32 a14, v8
                                        ; implicit-def: $vgpr8
; %bb.372:                              ;   in Loop: Header=BB348_296 Depth=1
	s_andn2_saveexec_b64 s[6:7], s[0:1]
; %bb.373:                              ;   in Loop: Header=BB348_296 Depth=1
	v_or_b32_e32 v9, 0x10000, v8
	v_cmp_eq_u32_sdwa s[0:1], v8, v23 src0_sel:WORD_0 src1_sel:DWORD
	s_nop 1
	v_cndmask_b32_e64 v8, v9, v8, s[0:1]
	v_accvgpr_write_b32 a14, v8
; %bb.374:                              ;   in Loop: Header=BB348_296 Depth=1
	s_or_b64 exec, exec, s[6:7]
	v_and_b32_e32 v42, 0xffff0000, v18
	v_lshlrev_b32_e32 v8, 16, v31
	v_mul_f32_e32 v8, v42, v8
	v_and_b32_e32 v9, 0x7f800000, v8
	v_cmp_ne_u32_e64 s[0:1], s8, v9
                                        ; implicit-def: $agpr15
	s_and_saveexec_b64 s[6:7], s[0:1]
	s_xor_b64 s[0:1], exec, s[6:7]
; %bb.375:                              ;   in Loop: Header=BB348_296 Depth=1
	v_bfe_u32 v9, v8, 16, 1
	v_add3_u32 v8, v8, v9, s9
	v_accvgpr_write_b32 a15, v8
                                        ; implicit-def: $vgpr8
; %bb.376:                              ;   in Loop: Header=BB348_296 Depth=1
	s_andn2_saveexec_b64 s[6:7], s[0:1]
; %bb.377:                              ;   in Loop: Header=BB348_296 Depth=1
	v_or_b32_e32 v9, 0x10000, v8
	v_cmp_eq_u32_sdwa s[0:1], v8, v23 src0_sel:WORD_0 src1_sel:DWORD
	s_nop 1
	v_cndmask_b32_e64 v8, v9, v8, s[0:1]
	v_accvgpr_write_b32 a15, v8
; %bb.378:                              ;   in Loop: Header=BB348_296 Depth=1
	s_or_b64 exec, exec, s[6:7]
	v_and_b32_e32 v43, 0xffff0000, v7
	v_lshlrev_b32_e32 v7, 16, v30
	v_mul_f32_e32 v7, v43, v7
	v_and_b32_e32 v8, 0x7f800000, v7
	v_cmp_ne_u32_e64 s[0:1], s8, v8
                                        ; implicit-def: $agpr16
	s_and_saveexec_b64 s[6:7], s[0:1]
	s_xor_b64 s[0:1], exec, s[6:7]
; %bb.379:                              ;   in Loop: Header=BB348_296 Depth=1
	v_bfe_u32 v8, v7, 16, 1
	v_add3_u32 v7, v7, v8, s9
	v_accvgpr_write_b32 a16, v7
                                        ; implicit-def: $vgpr7
; %bb.380:                              ;   in Loop: Header=BB348_296 Depth=1
	s_andn2_saveexec_b64 s[6:7], s[0:1]
; %bb.381:                              ;   in Loop: Header=BB348_296 Depth=1
	v_or_b32_e32 v8, 0x10000, v7
	v_cmp_eq_u32_sdwa s[0:1], v7, v23 src0_sel:WORD_0 src1_sel:DWORD
	s_nop 1
	v_cndmask_b32_e64 v7, v8, v7, s[0:1]
	v_accvgpr_write_b32 a16, v7
; %bb.382:                              ;   in Loop: Header=BB348_296 Depth=1
	s_or_b64 exec, exec, s[6:7]
	v_and_b32_e32 v44, 0xffff0000, v6
	v_lshlrev_b32_e32 v6, 16, v26
	v_mul_f32_e32 v6, v44, v6
	v_and_b32_e32 v7, 0x7f800000, v6
	v_cmp_ne_u32_e64 s[0:1], s8, v7
                                        ; implicit-def: $agpr17
	s_and_saveexec_b64 s[6:7], s[0:1]
	s_xor_b64 s[0:1], exec, s[6:7]
; %bb.383:                              ;   in Loop: Header=BB348_296 Depth=1
	v_bfe_u32 v7, v6, 16, 1
	v_add3_u32 v6, v6, v7, s9
	v_accvgpr_write_b32 a17, v6
                                        ; implicit-def: $vgpr6
; %bb.384:                              ;   in Loop: Header=BB348_296 Depth=1
	s_andn2_saveexec_b64 s[6:7], s[0:1]
; %bb.385:                              ;   in Loop: Header=BB348_296 Depth=1
	v_or_b32_e32 v7, 0x10000, v6
	v_cmp_eq_u32_sdwa s[0:1], v6, v23 src0_sel:WORD_0 src1_sel:DWORD
	s_nop 1
	v_cndmask_b32_e64 v6, v7, v6, s[0:1]
	v_accvgpr_write_b32 a17, v6
; %bb.386:                              ;   in Loop: Header=BB348_296 Depth=1
	s_or_b64 exec, exec, s[6:7]
	v_and_b32_e32 v45, 0xffff0000, v1
	v_lshlrev_b32_e32 v1, 16, v5
	v_mul_f32_e32 v1, v45, v1
	v_and_b32_e32 v5, 0x7f800000, v1
	v_cmp_ne_u32_e64 s[0:1], s8, v5
                                        ; implicit-def: $agpr18
	s_and_saveexec_b64 s[6:7], s[0:1]
	s_xor_b64 s[0:1], exec, s[6:7]
; %bb.387:                              ;   in Loop: Header=BB348_296 Depth=1
	v_bfe_u32 v5, v1, 16, 1
	v_add3_u32 v1, v1, v5, s9
	v_accvgpr_write_b32 a18, v1
                                        ; implicit-def: $vgpr1
; %bb.388:                              ;   in Loop: Header=BB348_296 Depth=1
	s_andn2_saveexec_b64 s[6:7], s[0:1]
; %bb.389:                              ;   in Loop: Header=BB348_296 Depth=1
	v_or_b32_e32 v5, 0x10000, v1
	v_cmp_eq_u32_sdwa s[0:1], v1, v23 src0_sel:WORD_0 src1_sel:DWORD
	s_nop 1
	v_cndmask_b32_e64 v1, v5, v1, s[0:1]
	v_accvgpr_write_b32 a18, v1
; %bb.390:                              ;   in Loop: Header=BB348_296 Depth=1
	s_or_b64 exec, exec, s[6:7]
	v_and_b32_e32 v46, 0xffff0000, v0
	v_lshlrev_b32_e32 v0, 16, v4
	v_mul_f32_e32 v0, v46, v0
	v_and_b32_e32 v1, 0x7f800000, v0
	v_cmp_ne_u32_e64 s[0:1], s8, v1
                                        ; implicit-def: $agpr19
	s_and_saveexec_b64 s[6:7], s[0:1]
	s_xor_b64 s[0:1], exec, s[6:7]
; %bb.391:                              ;   in Loop: Header=BB348_296 Depth=1
	v_bfe_u32 v1, v0, 16, 1
	v_add3_u32 v0, v0, v1, s9
	v_accvgpr_write_b32 a19, v0
                                        ; implicit-def: $vgpr0
; %bb.392:                              ;   in Loop: Header=BB348_296 Depth=1
	s_andn2_saveexec_b64 s[6:7], s[0:1]
; %bb.393:                              ;   in Loop: Header=BB348_296 Depth=1
	v_or_b32_e32 v1, 0x10000, v0
	v_cmp_eq_u32_sdwa s[0:1], v0, v23 src0_sel:WORD_0 src1_sel:DWORD
	s_nop 1
	v_cndmask_b32_e64 v0, v1, v0, s[0:1]
	v_accvgpr_write_b32 a19, v0
; %bb.394:                              ;   in Loop: Header=BB348_296 Depth=1
	s_or_b64 exec, exec, s[6:7]
	flat_load_dwordx2 v[4:5], v[2:3] offset:512
	s_waitcnt vmcnt(0) lgkmcnt(0)
	v_and_b32_e32 v0, 0xff, v4
	v_cvt_f32_fp8_sdwa v0, v0 src0_sel:BYTE_0
	s_nop 0
	v_mul_f32_e32 v1, v35, v0
	v_and_b32_e32 v0, 0x7f800000, v1
	v_cmp_ne_u32_e64 s[0:1], s8, v0
                                        ; implicit-def: $vgpr0
	s_and_saveexec_b64 s[6:7], s[0:1]
	s_xor_b64 s[0:1], exec, s[6:7]
; %bb.395:                              ;   in Loop: Header=BB348_296 Depth=1
	v_bfe_u32 v0, v1, 16, 1
	v_add3_u32 v0, v1, v0, s9
                                        ; implicit-def: $vgpr1
; %bb.396:                              ;   in Loop: Header=BB348_296 Depth=1
	s_andn2_saveexec_b64 s[6:7], s[0:1]
; %bb.397:                              ;   in Loop: Header=BB348_296 Depth=1
	v_or_b32_e32 v0, 0x10000, v1
	v_cmp_eq_u32_sdwa s[0:1], v1, v23 src0_sel:WORD_0 src1_sel:DWORD
	s_nop 1
	v_cndmask_b32_e64 v0, v0, v1, s[0:1]
; %bb.398:                              ;   in Loop: Header=BB348_296 Depth=1
	s_or_b64 exec, exec, s[6:7]
	v_bfe_u32 v1, v4, 8, 8
	v_cvt_f32_fp8_sdwa v1, v1 src0_sel:BYTE_0
	s_nop 0
	v_mul_f32_e32 v6, v35, v1
	v_and_b32_e32 v1, 0x7f800000, v6
	v_cmp_ne_u32_e64 s[0:1], s8, v1
                                        ; implicit-def: $vgpr1
	s_and_saveexec_b64 s[6:7], s[0:1]
	s_xor_b64 s[0:1], exec, s[6:7]
; %bb.399:                              ;   in Loop: Header=BB348_296 Depth=1
	v_bfe_u32 v1, v6, 16, 1
	v_add3_u32 v1, v6, v1, s9
                                        ; implicit-def: $vgpr6
; %bb.400:                              ;   in Loop: Header=BB348_296 Depth=1
	s_andn2_saveexec_b64 s[6:7], s[0:1]
; %bb.401:                              ;   in Loop: Header=BB348_296 Depth=1
	v_or_b32_e32 v1, 0x10000, v6
	v_cmp_eq_u32_sdwa s[0:1], v6, v23 src0_sel:WORD_0 src1_sel:DWORD
	s_nop 1
	v_cndmask_b32_e64 v1, v1, v6, s[0:1]
; %bb.402:                              ;   in Loop: Header=BB348_296 Depth=1
	s_or_b64 exec, exec, s[6:7]
	v_bfe_u32 v6, v4, 16, 8
	v_cvt_f32_fp8_sdwa v6, v6 src0_sel:BYTE_0
	s_nop 0
	v_mul_f32_e32 v7, v35, v6
	v_and_b32_e32 v6, 0x7f800000, v7
	v_cmp_ne_u32_e64 s[0:1], s8, v6
                                        ; implicit-def: $vgpr6
	s_and_saveexec_b64 s[6:7], s[0:1]
	s_xor_b64 s[0:1], exec, s[6:7]
; %bb.403:                              ;   in Loop: Header=BB348_296 Depth=1
	v_bfe_u32 v6, v7, 16, 1
	v_add3_u32 v6, v7, v6, s9
                                        ; implicit-def: $vgpr7
; %bb.404:                              ;   in Loop: Header=BB348_296 Depth=1
	s_andn2_saveexec_b64 s[6:7], s[0:1]
; %bb.405:                              ;   in Loop: Header=BB348_296 Depth=1
	v_or_b32_e32 v6, 0x10000, v7
	v_cmp_eq_u32_sdwa s[0:1], v7, v23 src0_sel:WORD_0 src1_sel:DWORD
	s_nop 1
	v_cndmask_b32_e64 v6, v6, v7, s[0:1]
; %bb.406:                              ;   in Loop: Header=BB348_296 Depth=1
	s_or_b64 exec, exec, s[6:7]
	v_lshrrev_b32_e32 v4, 24, v4
	v_cvt_f32_fp8_sdwa v4, v4 src0_sel:BYTE_0
	s_nop 0
	v_mul_f32_e32 v4, v35, v4
	v_and_b32_e32 v7, 0x7f800000, v4
	v_cmp_ne_u32_e64 s[0:1], s8, v7
                                        ; implicit-def: $vgpr7
	s_and_saveexec_b64 s[6:7], s[0:1]
	s_xor_b64 s[0:1], exec, s[6:7]
; %bb.407:                              ;   in Loop: Header=BB348_296 Depth=1
	v_bfe_u32 v7, v4, 16, 1
	v_add3_u32 v7, v4, v7, s9
                                        ; implicit-def: $vgpr4
; %bb.408:                              ;   in Loop: Header=BB348_296 Depth=1
	s_andn2_saveexec_b64 s[6:7], s[0:1]
; %bb.409:                              ;   in Loop: Header=BB348_296 Depth=1
	v_or_b32_e32 v7, 0x10000, v4
	v_cmp_eq_u32_sdwa s[0:1], v4, v23 src0_sel:WORD_0 src1_sel:DWORD
	s_nop 1
	v_cndmask_b32_e64 v7, v7, v4, s[0:1]
; %bb.410:                              ;   in Loop: Header=BB348_296 Depth=1
	s_or_b64 exec, exec, s[6:7]
	v_and_b32_e32 v4, 0xff, v5
	v_cvt_f32_fp8_sdwa v4, v4 src0_sel:BYTE_0
	s_nop 0
	v_mul_f32_e32 v4, v35, v4
	v_and_b32_e32 v8, 0x7f800000, v4
	v_cmp_ne_u32_e64 s[0:1], s8, v8
                                        ; implicit-def: $vgpr8
	s_and_saveexec_b64 s[6:7], s[0:1]
	s_xor_b64 s[0:1], exec, s[6:7]
; %bb.411:                              ;   in Loop: Header=BB348_296 Depth=1
	v_bfe_u32 v8, v4, 16, 1
	v_add3_u32 v8, v4, v8, s9
                                        ; implicit-def: $vgpr4
; %bb.412:                              ;   in Loop: Header=BB348_296 Depth=1
	s_andn2_saveexec_b64 s[6:7], s[0:1]
; %bb.413:                              ;   in Loop: Header=BB348_296 Depth=1
	v_or_b32_e32 v8, 0x10000, v4
	v_cmp_eq_u32_sdwa s[0:1], v4, v23 src0_sel:WORD_0 src1_sel:DWORD
	s_nop 1
	v_cndmask_b32_e64 v8, v8, v4, s[0:1]
; %bb.414:                              ;   in Loop: Header=BB348_296 Depth=1
	s_or_b64 exec, exec, s[6:7]
	v_bfe_u32 v4, v5, 8, 8
	v_cvt_f32_fp8_sdwa v4, v4 src0_sel:BYTE_0
	s_nop 0
	v_mul_f32_e32 v9, v35, v4
	v_and_b32_e32 v4, 0x7f800000, v9
	v_cmp_ne_u32_e64 s[0:1], s8, v4
                                        ; implicit-def: $vgpr4
	s_and_saveexec_b64 s[6:7], s[0:1]
	s_xor_b64 s[0:1], exec, s[6:7]
; %bb.415:                              ;   in Loop: Header=BB348_296 Depth=1
	v_bfe_u32 v4, v9, 16, 1
	v_add3_u32 v4, v9, v4, s9
                                        ; implicit-def: $vgpr9
; %bb.416:                              ;   in Loop: Header=BB348_296 Depth=1
	s_andn2_saveexec_b64 s[6:7], s[0:1]
; %bb.417:                              ;   in Loop: Header=BB348_296 Depth=1
	v_or_b32_e32 v4, 0x10000, v9
	v_cmp_eq_u32_sdwa s[0:1], v9, v23 src0_sel:WORD_0 src1_sel:DWORD
	s_nop 1
	v_cndmask_b32_e64 v4, v4, v9, s[0:1]
; %bb.418:                              ;   in Loop: Header=BB348_296 Depth=1
	s_or_b64 exec, exec, s[6:7]
	v_bfe_u32 v9, v5, 16, 8
	v_cvt_f32_fp8_sdwa v9, v9 src0_sel:BYTE_0
	s_nop 0
	v_mul_f32_e32 v18, v35, v9
	v_and_b32_e32 v9, 0x7f800000, v18
	v_cmp_ne_u32_e64 s[0:1], s8, v9
                                        ; implicit-def: $vgpr9
	s_and_saveexec_b64 s[6:7], s[0:1]
	s_xor_b64 s[0:1], exec, s[6:7]
; %bb.419:                              ;   in Loop: Header=BB348_296 Depth=1
	v_bfe_u32 v9, v18, 16, 1
	v_add3_u32 v9, v18, v9, s9
                                        ; implicit-def: $vgpr18
; %bb.420:                              ;   in Loop: Header=BB348_296 Depth=1
	s_andn2_saveexec_b64 s[6:7], s[0:1]
; %bb.421:                              ;   in Loop: Header=BB348_296 Depth=1
	v_or_b32_e32 v9, 0x10000, v18
	v_cmp_eq_u32_sdwa s[0:1], v18, v23 src0_sel:WORD_0 src1_sel:DWORD
	s_nop 1
	v_cndmask_b32_e64 v9, v9, v18, s[0:1]
; %bb.422:                              ;   in Loop: Header=BB348_296 Depth=1
	s_or_b64 exec, exec, s[6:7]
	v_lshrrev_b32_e32 v5, 24, v5
	v_cvt_f32_fp8_sdwa v5, v5 src0_sel:BYTE_0
                                        ; implicit-def: $vgpr19
	s_nop 0
	v_mul_f32_e32 v5, v35, v5
	v_and_b32_e32 v18, 0x7f800000, v5
	v_cmp_ne_u32_e64 s[0:1], s8, v18
	s_and_saveexec_b64 s[6:7], s[0:1]
	s_xor_b64 s[0:1], exec, s[6:7]
; %bb.423:                              ;   in Loop: Header=BB348_296 Depth=1
	v_bfe_u32 v18, v5, 16, 1
	v_add3_u32 v19, v5, v18, s9
                                        ; implicit-def: $vgpr5
; %bb.424:                              ;   in Loop: Header=BB348_296 Depth=1
	s_andn2_saveexec_b64 s[6:7], s[0:1]
; %bb.425:                              ;   in Loop: Header=BB348_296 Depth=1
	v_or_b32_e32 v18, 0x10000, v5
	v_cmp_eq_u32_sdwa s[0:1], v5, v23 src0_sel:WORD_0 src1_sel:DWORD
	s_nop 1
	v_cndmask_b32_e64 v19, v18, v5, s[0:1]
; %bb.426:                              ;   in Loop: Header=BB348_296 Depth=1
	s_or_b64 exec, exec, s[6:7]
	v_lshrrev_b32_e32 v4, 16, v4
	v_lshrrev_b32_e32 v5, 16, v8
	v_lshrrev_b32_e32 v7, 16, v7
	v_lshrrev_b32_e32 v6, 16, v6
	v_lshrrev_b32_e32 v8, 16, v1
	v_lshrrev_b32_e32 v18, 16, v0
	v_lshrrev_b32_e32 v1, 16, v9
	v_lshrrev_b32_e32 v0, 16, v19
	s_and_saveexec_b64 s[6:7], vcc
	s_cbranch_execz .LBB348_428
; %bb.427:                              ;   in Loop: Header=BB348_296 Depth=1
	v_accvgpr_read_b32 v9, a20
	v_cmp_lt_i32_e64 s[0:1], v9, v29
	v_accvgpr_read_b32 v9, a26
	s_nop 0
	v_cndmask_b32_e64 v18, 0, v18, s[0:1]
	v_cmp_lt_i32_e64 s[0:1], v9, v29
	v_accvgpr_read_b32 v9, a25
	s_nop 0
	v_cndmask_b32_e64 v8, 0, v8, s[0:1]
	;; [unrolled: 4-line block ×6, first 2 shown]
	v_cmp_lt_i32_e64 s[0:1], v9, v29
	s_nop 1
	v_cndmask_b32_e64 v1, 0, v1, s[0:1]
	v_cmp_lt_i32_e64 s[0:1], v22, v29
	s_nop 1
	v_cndmask_b32_e64 v0, 0, v0, s[0:1]
.LBB348_428:                            ;   in Loop: Header=BB348_296 Depth=1
	s_or_b64 exec, exec, s[6:7]
	v_lshlrev_b32_e32 v9, 16, v18
	v_mul_f32_e32 v9, v55, v9
	v_and_b32_e32 v18, 0x7f800000, v9
	v_cmp_ne_u32_e64 s[0:1], s8, v18
                                        ; implicit-def: $agpr27
	s_and_saveexec_b64 s[6:7], s[0:1]
	s_xor_b64 s[0:1], exec, s[6:7]
; %bb.429:                              ;   in Loop: Header=BB348_296 Depth=1
	v_bfe_u32 v18, v9, 16, 1
	v_add3_u32 v9, v9, v18, s9
	v_accvgpr_write_b32 a27, v9
                                        ; implicit-def: $vgpr9
; %bb.430:                              ;   in Loop: Header=BB348_296 Depth=1
	s_andn2_saveexec_b64 s[6:7], s[0:1]
; %bb.431:                              ;   in Loop: Header=BB348_296 Depth=1
	v_or_b32_e32 v18, 0x10000, v9
	v_cmp_eq_u32_sdwa s[0:1], v9, v23 src0_sel:WORD_0 src1_sel:DWORD
	s_nop 1
	v_cndmask_b32_e64 v9, v18, v9, s[0:1]
	v_accvgpr_write_b32 a27, v9
; %bb.432:                              ;   in Loop: Header=BB348_296 Depth=1
	s_or_b64 exec, exec, s[6:7]
	v_lshlrev_b32_e32 v8, 16, v8
	v_mul_f32_e32 v8, v40, v8
	v_and_b32_e32 v9, 0x7f800000, v8
	v_cmp_ne_u32_e64 s[0:1], s8, v9
                                        ; implicit-def: $agpr28
	s_and_saveexec_b64 s[6:7], s[0:1]
	s_xor_b64 s[0:1], exec, s[6:7]
; %bb.433:                              ;   in Loop: Header=BB348_296 Depth=1
	v_bfe_u32 v9, v8, 16, 1
	v_add3_u32 v8, v8, v9, s9
	v_accvgpr_write_b32 a28, v8
                                        ; implicit-def: $vgpr8
; %bb.434:                              ;   in Loop: Header=BB348_296 Depth=1
	s_andn2_saveexec_b64 s[6:7], s[0:1]
; %bb.435:                              ;   in Loop: Header=BB348_296 Depth=1
	v_or_b32_e32 v9, 0x10000, v8
	v_cmp_eq_u32_sdwa s[0:1], v8, v23 src0_sel:WORD_0 src1_sel:DWORD
	s_nop 1
	v_cndmask_b32_e64 v8, v9, v8, s[0:1]
	v_accvgpr_write_b32 a28, v8
; %bb.436:                              ;   in Loop: Header=BB348_296 Depth=1
	s_or_b64 exec, exec, s[6:7]
	v_lshlrev_b32_e32 v6, 16, v6
	v_mul_f32_e32 v6, v41, v6
	v_and_b32_e32 v8, 0x7f800000, v6
	v_cmp_ne_u32_e64 s[0:1], s8, v8
                                        ; implicit-def: $agpr29
	s_and_saveexec_b64 s[6:7], s[0:1]
	s_xor_b64 s[0:1], exec, s[6:7]
; %bb.437:                              ;   in Loop: Header=BB348_296 Depth=1
	v_bfe_u32 v8, v6, 16, 1
	v_add3_u32 v6, v6, v8, s9
	v_accvgpr_write_b32 a29, v6
                                        ; implicit-def: $vgpr6
; %bb.438:                              ;   in Loop: Header=BB348_296 Depth=1
	s_andn2_saveexec_b64 s[6:7], s[0:1]
; %bb.439:                              ;   in Loop: Header=BB348_296 Depth=1
	v_or_b32_e32 v8, 0x10000, v6
	v_cmp_eq_u32_sdwa s[0:1], v6, v23 src0_sel:WORD_0 src1_sel:DWORD
	s_nop 1
	v_cndmask_b32_e64 v6, v8, v6, s[0:1]
	v_accvgpr_write_b32 a29, v6
; %bb.440:                              ;   in Loop: Header=BB348_296 Depth=1
	s_or_b64 exec, exec, s[6:7]
	v_lshlrev_b32_e32 v6, 16, v7
	v_mul_f32_e32 v6, v42, v6
	v_and_b32_e32 v7, 0x7f800000, v6
	v_cmp_ne_u32_e64 s[0:1], s8, v7
                                        ; implicit-def: $agpr30
	s_and_saveexec_b64 s[6:7], s[0:1]
	s_xor_b64 s[0:1], exec, s[6:7]
; %bb.441:                              ;   in Loop: Header=BB348_296 Depth=1
	v_bfe_u32 v7, v6, 16, 1
	v_add3_u32 v6, v6, v7, s9
	v_accvgpr_write_b32 a30, v6
                                        ; implicit-def: $vgpr6
; %bb.442:                              ;   in Loop: Header=BB348_296 Depth=1
	s_andn2_saveexec_b64 s[6:7], s[0:1]
; %bb.443:                              ;   in Loop: Header=BB348_296 Depth=1
	v_or_b32_e32 v7, 0x10000, v6
	v_cmp_eq_u32_sdwa s[0:1], v6, v23 src0_sel:WORD_0 src1_sel:DWORD
	s_nop 1
	v_cndmask_b32_e64 v6, v7, v6, s[0:1]
	v_accvgpr_write_b32 a30, v6
; %bb.444:                              ;   in Loop: Header=BB348_296 Depth=1
	s_or_b64 exec, exec, s[6:7]
	v_lshlrev_b32_e32 v5, 16, v5
	v_mul_f32_e32 v5, v43, v5
	v_and_b32_e32 v6, 0x7f800000, v5
	v_cmp_ne_u32_e64 s[0:1], s8, v6
                                        ; implicit-def: $agpr31
	s_and_saveexec_b64 s[6:7], s[0:1]
	s_xor_b64 s[0:1], exec, s[6:7]
; %bb.445:                              ;   in Loop: Header=BB348_296 Depth=1
	v_bfe_u32 v6, v5, 16, 1
	v_add3_u32 v5, v5, v6, s9
	v_accvgpr_write_b32 a31, v5
                                        ; implicit-def: $vgpr5
; %bb.446:                              ;   in Loop: Header=BB348_296 Depth=1
	s_andn2_saveexec_b64 s[6:7], s[0:1]
; %bb.447:                              ;   in Loop: Header=BB348_296 Depth=1
	v_or_b32_e32 v6, 0x10000, v5
	v_cmp_eq_u32_sdwa s[0:1], v5, v23 src0_sel:WORD_0 src1_sel:DWORD
	s_nop 1
	v_cndmask_b32_e64 v5, v6, v5, s[0:1]
	v_accvgpr_write_b32 a31, v5
; %bb.448:                              ;   in Loop: Header=BB348_296 Depth=1
	s_or_b64 exec, exec, s[6:7]
	v_lshlrev_b32_e32 v4, 16, v4
	v_mul_f32_e32 v4, v44, v4
	v_and_b32_e32 v5, 0x7f800000, v4
	v_cmp_ne_u32_e64 s[0:1], s8, v5
                                        ; implicit-def: $agpr32
	s_and_saveexec_b64 s[6:7], s[0:1]
	s_xor_b64 s[0:1], exec, s[6:7]
; %bb.449:                              ;   in Loop: Header=BB348_296 Depth=1
	v_bfe_u32 v5, v4, 16, 1
	v_add3_u32 v4, v4, v5, s9
	v_accvgpr_write_b32 a32, v4
                                        ; implicit-def: $vgpr4
; %bb.450:                              ;   in Loop: Header=BB348_296 Depth=1
	s_andn2_saveexec_b64 s[6:7], s[0:1]
; %bb.451:                              ;   in Loop: Header=BB348_296 Depth=1
	v_or_b32_e32 v5, 0x10000, v4
	v_cmp_eq_u32_sdwa s[0:1], v4, v23 src0_sel:WORD_0 src1_sel:DWORD
	s_nop 1
	v_cndmask_b32_e64 v4, v5, v4, s[0:1]
	v_accvgpr_write_b32 a32, v4
; %bb.452:                              ;   in Loop: Header=BB348_296 Depth=1
	s_or_b64 exec, exec, s[6:7]
	v_lshlrev_b32_e32 v1, 16, v1
	v_mul_f32_e32 v1, v45, v1
	v_and_b32_e32 v4, 0x7f800000, v1
	v_cmp_ne_u32_e64 s[0:1], s8, v4
                                        ; implicit-def: $agpr33
	s_and_saveexec_b64 s[6:7], s[0:1]
	s_xor_b64 s[0:1], exec, s[6:7]
; %bb.453:                              ;   in Loop: Header=BB348_296 Depth=1
	v_bfe_u32 v4, v1, 16, 1
	v_add3_u32 v1, v1, v4, s9
	v_accvgpr_write_b32 a33, v1
                                        ; implicit-def: $vgpr1
; %bb.454:                              ;   in Loop: Header=BB348_296 Depth=1
	s_andn2_saveexec_b64 s[6:7], s[0:1]
; %bb.455:                              ;   in Loop: Header=BB348_296 Depth=1
	v_or_b32_e32 v4, 0x10000, v1
	v_cmp_eq_u32_sdwa s[0:1], v1, v23 src0_sel:WORD_0 src1_sel:DWORD
	s_nop 1
	v_cndmask_b32_e64 v1, v4, v1, s[0:1]
	v_accvgpr_write_b32 a33, v1
; %bb.456:                              ;   in Loop: Header=BB348_296 Depth=1
	s_or_b64 exec, exec, s[6:7]
	v_lshlrev_b32_e32 v0, 16, v0
	v_mul_f32_e32 v0, v46, v0
	v_and_b32_e32 v1, 0x7f800000, v0
	v_cmp_ne_u32_e64 s[0:1], s8, v1
                                        ; implicit-def: $agpr34
	s_and_saveexec_b64 s[6:7], s[0:1]
	s_xor_b64 s[0:1], exec, s[6:7]
; %bb.457:                              ;   in Loop: Header=BB348_296 Depth=1
	v_bfe_u32 v1, v0, 16, 1
	v_add3_u32 v0, v0, v1, s9
	v_accvgpr_write_b32 a34, v0
                                        ; implicit-def: $vgpr0
; %bb.458:                              ;   in Loop: Header=BB348_296 Depth=1
	s_andn2_saveexec_b64 s[6:7], s[0:1]
; %bb.459:                              ;   in Loop: Header=BB348_296 Depth=1
	v_or_b32_e32 v1, 0x10000, v0
	v_cmp_eq_u32_sdwa s[0:1], v0, v23 src0_sel:WORD_0 src1_sel:DWORD
	s_nop 1
	v_cndmask_b32_e64 v0, v1, v0, s[0:1]
	v_accvgpr_write_b32 a34, v0
; %bb.460:                              ;   in Loop: Header=BB348_296 Depth=1
	s_or_b64 exec, exec, s[6:7]
	flat_load_dwordx2 v[4:5], v[2:3] offset:1024
	s_waitcnt vmcnt(0) lgkmcnt(0)
	v_and_b32_e32 v0, 0xff, v4
	v_cvt_f32_fp8_sdwa v0, v0 src0_sel:BYTE_0
	s_nop 0
	v_mul_f32_e32 v1, v35, v0
	v_and_b32_e32 v0, 0x7f800000, v1
	v_cmp_ne_u32_e64 s[0:1], s8, v0
                                        ; implicit-def: $vgpr0
	s_and_saveexec_b64 s[6:7], s[0:1]
	s_xor_b64 s[0:1], exec, s[6:7]
; %bb.461:                              ;   in Loop: Header=BB348_296 Depth=1
	v_bfe_u32 v0, v1, 16, 1
	v_add3_u32 v0, v1, v0, s9
                                        ; implicit-def: $vgpr1
; %bb.462:                              ;   in Loop: Header=BB348_296 Depth=1
	s_andn2_saveexec_b64 s[6:7], s[0:1]
; %bb.463:                              ;   in Loop: Header=BB348_296 Depth=1
	v_or_b32_e32 v0, 0x10000, v1
	v_cmp_eq_u32_sdwa s[0:1], v1, v23 src0_sel:WORD_0 src1_sel:DWORD
	s_nop 1
	v_cndmask_b32_e64 v0, v0, v1, s[0:1]
; %bb.464:                              ;   in Loop: Header=BB348_296 Depth=1
	s_or_b64 exec, exec, s[6:7]
	v_bfe_u32 v1, v4, 8, 8
	v_cvt_f32_fp8_sdwa v1, v1 src0_sel:BYTE_0
	s_nop 0
	v_mul_f32_e32 v6, v35, v1
	v_and_b32_e32 v1, 0x7f800000, v6
	v_cmp_ne_u32_e64 s[0:1], s8, v1
                                        ; implicit-def: $vgpr1
	s_and_saveexec_b64 s[6:7], s[0:1]
	s_xor_b64 s[0:1], exec, s[6:7]
; %bb.465:                              ;   in Loop: Header=BB348_296 Depth=1
	v_bfe_u32 v1, v6, 16, 1
	v_add3_u32 v1, v6, v1, s9
                                        ; implicit-def: $vgpr6
; %bb.466:                              ;   in Loop: Header=BB348_296 Depth=1
	s_andn2_saveexec_b64 s[6:7], s[0:1]
; %bb.467:                              ;   in Loop: Header=BB348_296 Depth=1
	v_or_b32_e32 v1, 0x10000, v6
	v_cmp_eq_u32_sdwa s[0:1], v6, v23 src0_sel:WORD_0 src1_sel:DWORD
	s_nop 1
	v_cndmask_b32_e64 v1, v1, v6, s[0:1]
; %bb.468:                              ;   in Loop: Header=BB348_296 Depth=1
	s_or_b64 exec, exec, s[6:7]
	v_bfe_u32 v6, v4, 16, 8
	v_cvt_f32_fp8_sdwa v6, v6 src0_sel:BYTE_0
	s_nop 0
	v_mul_f32_e32 v6, v35, v6
	v_and_b32_e32 v7, 0x7f800000, v6
	v_cmp_ne_u32_e64 s[0:1], s8, v7
                                        ; implicit-def: $vgpr7
	s_and_saveexec_b64 s[6:7], s[0:1]
	s_xor_b64 s[0:1], exec, s[6:7]
; %bb.469:                              ;   in Loop: Header=BB348_296 Depth=1
	v_bfe_u32 v7, v6, 16, 1
	v_add3_u32 v7, v6, v7, s9
                                        ; implicit-def: $vgpr6
; %bb.470:                              ;   in Loop: Header=BB348_296 Depth=1
	s_andn2_saveexec_b64 s[6:7], s[0:1]
; %bb.471:                              ;   in Loop: Header=BB348_296 Depth=1
	v_or_b32_e32 v7, 0x10000, v6
	v_cmp_eq_u32_sdwa s[0:1], v6, v23 src0_sel:WORD_0 src1_sel:DWORD
	s_nop 1
	v_cndmask_b32_e64 v7, v7, v6, s[0:1]
; %bb.472:                              ;   in Loop: Header=BB348_296 Depth=1
	s_or_b64 exec, exec, s[6:7]
	v_lshrrev_b32_e32 v4, 24, v4
	v_cvt_f32_fp8_sdwa v4, v4 src0_sel:BYTE_0
	s_nop 0
	v_mul_f32_e32 v6, v35, v4
	v_and_b32_e32 v4, 0x7f800000, v6
	v_cmp_ne_u32_e64 s[0:1], s8, v4
                                        ; implicit-def: $vgpr4
	s_and_saveexec_b64 s[6:7], s[0:1]
	s_xor_b64 s[0:1], exec, s[6:7]
; %bb.473:                              ;   in Loop: Header=BB348_296 Depth=1
	v_bfe_u32 v4, v6, 16, 1
	v_add3_u32 v4, v6, v4, s9
                                        ; implicit-def: $vgpr6
; %bb.474:                              ;   in Loop: Header=BB348_296 Depth=1
	s_andn2_saveexec_b64 s[6:7], s[0:1]
; %bb.475:                              ;   in Loop: Header=BB348_296 Depth=1
	v_or_b32_e32 v4, 0x10000, v6
	v_cmp_eq_u32_sdwa s[0:1], v6, v23 src0_sel:WORD_0 src1_sel:DWORD
	s_nop 1
	v_cndmask_b32_e64 v4, v4, v6, s[0:1]
; %bb.476:                              ;   in Loop: Header=BB348_296 Depth=1
	s_or_b64 exec, exec, s[6:7]
	v_and_b32_e32 v6, 0xff, v5
	v_cvt_f32_fp8_sdwa v6, v6 src0_sel:BYTE_0
	s_nop 0
	v_mul_f32_e32 v6, v35, v6
	v_and_b32_e32 v8, 0x7f800000, v6
	v_cmp_ne_u32_e64 s[0:1], s8, v8
                                        ; implicit-def: $vgpr8
	s_and_saveexec_b64 s[6:7], s[0:1]
	s_xor_b64 s[0:1], exec, s[6:7]
; %bb.477:                              ;   in Loop: Header=BB348_296 Depth=1
	v_bfe_u32 v8, v6, 16, 1
	v_add3_u32 v8, v6, v8, s9
                                        ; implicit-def: $vgpr6
; %bb.478:                              ;   in Loop: Header=BB348_296 Depth=1
	s_andn2_saveexec_b64 s[6:7], s[0:1]
; %bb.479:                              ;   in Loop: Header=BB348_296 Depth=1
	v_or_b32_e32 v8, 0x10000, v6
	v_cmp_eq_u32_sdwa s[0:1], v6, v23 src0_sel:WORD_0 src1_sel:DWORD
	s_nop 1
	v_cndmask_b32_e64 v8, v8, v6, s[0:1]
; %bb.480:                              ;   in Loop: Header=BB348_296 Depth=1
	s_or_b64 exec, exec, s[6:7]
	v_bfe_u32 v6, v5, 8, 8
	v_cvt_f32_fp8_sdwa v6, v6 src0_sel:BYTE_0
	s_nop 0
	v_mul_f32_e32 v9, v35, v6
	v_and_b32_e32 v6, 0x7f800000, v9
	v_cmp_ne_u32_e64 s[0:1], s8, v6
                                        ; implicit-def: $vgpr6
	s_and_saveexec_b64 s[6:7], s[0:1]
	s_xor_b64 s[0:1], exec, s[6:7]
; %bb.481:                              ;   in Loop: Header=BB348_296 Depth=1
	v_bfe_u32 v6, v9, 16, 1
	v_add3_u32 v6, v9, v6, s9
                                        ; implicit-def: $vgpr9
; %bb.482:                              ;   in Loop: Header=BB348_296 Depth=1
	s_andn2_saveexec_b64 s[6:7], s[0:1]
; %bb.483:                              ;   in Loop: Header=BB348_296 Depth=1
	v_or_b32_e32 v6, 0x10000, v9
	v_cmp_eq_u32_sdwa s[0:1], v9, v23 src0_sel:WORD_0 src1_sel:DWORD
	s_nop 1
	v_cndmask_b32_e64 v6, v6, v9, s[0:1]
; %bb.484:                              ;   in Loop: Header=BB348_296 Depth=1
	s_or_b64 exec, exec, s[6:7]
	v_bfe_u32 v9, v5, 16, 8
	v_cvt_f32_fp8_sdwa v9, v9 src0_sel:BYTE_0
	s_nop 0
	v_mul_f32_e32 v9, v35, v9
	v_and_b32_e32 v18, 0x7f800000, v9
	v_cmp_ne_u32_e64 s[0:1], s8, v18
                                        ; implicit-def: $vgpr18
	s_and_saveexec_b64 s[6:7], s[0:1]
	s_xor_b64 s[0:1], exec, s[6:7]
; %bb.485:                              ;   in Loop: Header=BB348_296 Depth=1
	v_bfe_u32 v18, v9, 16, 1
	v_add3_u32 v18, v9, v18, s9
                                        ; implicit-def: $vgpr9
; %bb.486:                              ;   in Loop: Header=BB348_296 Depth=1
	s_andn2_saveexec_b64 s[6:7], s[0:1]
; %bb.487:                              ;   in Loop: Header=BB348_296 Depth=1
	v_or_b32_e32 v18, 0x10000, v9
	v_cmp_eq_u32_sdwa s[0:1], v9, v23 src0_sel:WORD_0 src1_sel:DWORD
	s_nop 1
	v_cndmask_b32_e64 v18, v18, v9, s[0:1]
; %bb.488:                              ;   in Loop: Header=BB348_296 Depth=1
	s_or_b64 exec, exec, s[6:7]
	v_lshrrev_b32_e32 v5, 24, v5
	v_cvt_f32_fp8_sdwa v5, v5 src0_sel:BYTE_0
                                        ; implicit-def: $vgpr19
	s_nop 0
	v_mul_f32_e32 v5, v35, v5
	v_and_b32_e32 v9, 0x7f800000, v5
	v_cmp_ne_u32_e64 s[0:1], s8, v9
	s_and_saveexec_b64 s[6:7], s[0:1]
	s_xor_b64 s[0:1], exec, s[6:7]
; %bb.489:                              ;   in Loop: Header=BB348_296 Depth=1
	v_bfe_u32 v9, v5, 16, 1
	v_add3_u32 v19, v5, v9, s9
                                        ; implicit-def: $vgpr5
; %bb.490:                              ;   in Loop: Header=BB348_296 Depth=1
	s_andn2_saveexec_b64 s[6:7], s[0:1]
; %bb.491:                              ;   in Loop: Header=BB348_296 Depth=1
	v_or_b32_e32 v9, 0x10000, v5
	v_cmp_eq_u32_sdwa s[0:1], v5, v23 src0_sel:WORD_0 src1_sel:DWORD
	s_nop 1
	v_cndmask_b32_e64 v19, v9, v5, s[0:1]
; %bb.492:                              ;   in Loop: Header=BB348_296 Depth=1
	s_or_b64 exec, exec, s[6:7]
	v_lshrrev_b32_e32 v6, 16, v6
	v_lshrrev_b32_e32 v8, 16, v8
	;; [unrolled: 1-line block ×8, first 2 shown]
	s_and_saveexec_b64 s[6:7], vcc
	s_cbranch_execz .LBB348_494
; %bb.493:                              ;   in Loop: Header=BB348_296 Depth=1
	v_accvgpr_read_b32 v18, a20
	v_cmp_lt_i32_e64 s[0:1], v18, v29
	v_accvgpr_read_b32 v18, a26
	s_nop 0
	v_cndmask_b32_e64 v0, 0, v0, s[0:1]
	v_cmp_lt_i32_e64 s[0:1], v18, v29
	v_accvgpr_read_b32 v18, a25
	s_nop 0
	v_cndmask_b32_e64 v1, 0, v1, s[0:1]
	;; [unrolled: 4-line block ×6, first 2 shown]
	v_cmp_lt_i32_e64 s[0:1], v18, v29
	s_nop 1
	v_cndmask_b32_e64 v5, 0, v5, s[0:1]
	v_cmp_lt_i32_e64 s[0:1], v22, v29
	s_nop 1
	v_cndmask_b32_e64 v4, 0, v4, s[0:1]
.LBB348_494:                            ;   in Loop: Header=BB348_296 Depth=1
	s_or_b64 exec, exec, s[6:7]
	v_lshlrev_b32_e32 v0, 16, v0
	v_mul_f32_e32 v0, v55, v0
	v_and_b32_e32 v18, 0x7f800000, v0
	v_cmp_ne_u32_e64 s[0:1], s8, v18
                                        ; implicit-def: $agpr35
	s_and_saveexec_b64 s[6:7], s[0:1]
	s_xor_b64 s[0:1], exec, s[6:7]
; %bb.495:                              ;   in Loop: Header=BB348_296 Depth=1
	v_bfe_u32 v18, v0, 16, 1
	v_add3_u32 v0, v0, v18, s9
	v_accvgpr_write_b32 a35, v0
                                        ; implicit-def: $vgpr0
; %bb.496:                              ;   in Loop: Header=BB348_296 Depth=1
	s_andn2_saveexec_b64 s[6:7], s[0:1]
; %bb.497:                              ;   in Loop: Header=BB348_296 Depth=1
	v_or_b32_e32 v18, 0x10000, v0
	v_cmp_eq_u32_sdwa s[0:1], v0, v23 src0_sel:WORD_0 src1_sel:DWORD
	s_nop 1
	v_cndmask_b32_e64 v0, v18, v0, s[0:1]
	v_accvgpr_write_b32 a35, v0
; %bb.498:                              ;   in Loop: Header=BB348_296 Depth=1
	s_or_b64 exec, exec, s[6:7]
	v_lshlrev_b32_e32 v0, 16, v1
	v_mul_f32_e32 v0, v40, v0
	v_and_b32_e32 v1, 0x7f800000, v0
	v_cmp_ne_u32_e64 s[0:1], s8, v1
                                        ; implicit-def: $agpr36
	s_and_saveexec_b64 s[6:7], s[0:1]
	s_xor_b64 s[0:1], exec, s[6:7]
; %bb.499:                              ;   in Loop: Header=BB348_296 Depth=1
	v_bfe_u32 v1, v0, 16, 1
	v_add3_u32 v0, v0, v1, s9
	v_accvgpr_write_b32 a36, v0
                                        ; implicit-def: $vgpr0
; %bb.500:                              ;   in Loop: Header=BB348_296 Depth=1
	s_andn2_saveexec_b64 s[6:7], s[0:1]
; %bb.501:                              ;   in Loop: Header=BB348_296 Depth=1
	v_or_b32_e32 v1, 0x10000, v0
	v_cmp_eq_u32_sdwa s[0:1], v0, v23 src0_sel:WORD_0 src1_sel:DWORD
	s_nop 1
	v_cndmask_b32_e64 v0, v1, v0, s[0:1]
	v_accvgpr_write_b32 a36, v0
; %bb.502:                              ;   in Loop: Header=BB348_296 Depth=1
	s_or_b64 exec, exec, s[6:7]
	v_lshlrev_b32_e32 v0, 16, v7
	v_mul_f32_e32 v0, v41, v0
	v_and_b32_e32 v1, 0x7f800000, v0
	v_cmp_ne_u32_e64 s[0:1], s8, v1
                                        ; implicit-def: $agpr37
	s_and_saveexec_b64 s[6:7], s[0:1]
	s_xor_b64 s[0:1], exec, s[6:7]
; %bb.503:                              ;   in Loop: Header=BB348_296 Depth=1
	v_bfe_u32 v1, v0, 16, 1
	v_add3_u32 v0, v0, v1, s9
	v_accvgpr_write_b32 a37, v0
                                        ; implicit-def: $vgpr0
; %bb.504:                              ;   in Loop: Header=BB348_296 Depth=1
	s_andn2_saveexec_b64 s[6:7], s[0:1]
; %bb.505:                              ;   in Loop: Header=BB348_296 Depth=1
	v_or_b32_e32 v1, 0x10000, v0
	v_cmp_eq_u32_sdwa s[0:1], v0, v23 src0_sel:WORD_0 src1_sel:DWORD
	s_nop 1
	v_cndmask_b32_e64 v0, v1, v0, s[0:1]
	v_accvgpr_write_b32 a37, v0
; %bb.506:                              ;   in Loop: Header=BB348_296 Depth=1
	s_or_b64 exec, exec, s[6:7]
	v_lshlrev_b32_e32 v0, 16, v9
	v_mul_f32_e32 v0, v42, v0
	v_and_b32_e32 v1, 0x7f800000, v0
	v_cmp_ne_u32_e64 s[0:1], s8, v1
                                        ; implicit-def: $agpr38
	s_and_saveexec_b64 s[6:7], s[0:1]
	s_xor_b64 s[0:1], exec, s[6:7]
; %bb.507:                              ;   in Loop: Header=BB348_296 Depth=1
	v_bfe_u32 v1, v0, 16, 1
	v_add3_u32 v0, v0, v1, s9
	v_accvgpr_write_b32 a38, v0
                                        ; implicit-def: $vgpr0
; %bb.508:                              ;   in Loop: Header=BB348_296 Depth=1
	s_andn2_saveexec_b64 s[6:7], s[0:1]
; %bb.509:                              ;   in Loop: Header=BB348_296 Depth=1
	v_or_b32_e32 v1, 0x10000, v0
	v_cmp_eq_u32_sdwa s[0:1], v0, v23 src0_sel:WORD_0 src1_sel:DWORD
	s_nop 1
	v_cndmask_b32_e64 v0, v1, v0, s[0:1]
	v_accvgpr_write_b32 a38, v0
; %bb.510:                              ;   in Loop: Header=BB348_296 Depth=1
	s_or_b64 exec, exec, s[6:7]
	v_lshlrev_b32_e32 v0, 16, v8
	v_mul_f32_e32 v0, v43, v0
	v_and_b32_e32 v1, 0x7f800000, v0
	v_cmp_ne_u32_e64 s[0:1], s8, v1
                                        ; implicit-def: $agpr39
	s_and_saveexec_b64 s[6:7], s[0:1]
	s_xor_b64 s[0:1], exec, s[6:7]
; %bb.511:                              ;   in Loop: Header=BB348_296 Depth=1
	v_bfe_u32 v1, v0, 16, 1
	v_add3_u32 v0, v0, v1, s9
	v_accvgpr_write_b32 a39, v0
                                        ; implicit-def: $vgpr0
; %bb.512:                              ;   in Loop: Header=BB348_296 Depth=1
	s_andn2_saveexec_b64 s[6:7], s[0:1]
; %bb.513:                              ;   in Loop: Header=BB348_296 Depth=1
	v_or_b32_e32 v1, 0x10000, v0
	v_cmp_eq_u32_sdwa s[0:1], v0, v23 src0_sel:WORD_0 src1_sel:DWORD
	s_nop 1
	v_cndmask_b32_e64 v0, v1, v0, s[0:1]
	v_accvgpr_write_b32 a39, v0
; %bb.514:                              ;   in Loop: Header=BB348_296 Depth=1
	s_or_b64 exec, exec, s[6:7]
	v_lshlrev_b32_e32 v0, 16, v6
	v_mul_f32_e32 v0, v44, v0
	v_and_b32_e32 v1, 0x7f800000, v0
	v_cmp_ne_u32_e64 s[0:1], s8, v1
                                        ; implicit-def: $agpr40
	s_and_saveexec_b64 s[6:7], s[0:1]
	s_xor_b64 s[0:1], exec, s[6:7]
; %bb.515:                              ;   in Loop: Header=BB348_296 Depth=1
	v_bfe_u32 v1, v0, 16, 1
	v_add3_u32 v0, v0, v1, s9
	v_accvgpr_write_b32 a40, v0
                                        ; implicit-def: $vgpr0
; %bb.516:                              ;   in Loop: Header=BB348_296 Depth=1
	s_andn2_saveexec_b64 s[6:7], s[0:1]
; %bb.517:                              ;   in Loop: Header=BB348_296 Depth=1
	v_or_b32_e32 v1, 0x10000, v0
	v_cmp_eq_u32_sdwa s[0:1], v0, v23 src0_sel:WORD_0 src1_sel:DWORD
	s_nop 1
	v_cndmask_b32_e64 v0, v1, v0, s[0:1]
	v_accvgpr_write_b32 a40, v0
; %bb.518:                              ;   in Loop: Header=BB348_296 Depth=1
	s_or_b64 exec, exec, s[6:7]
	v_lshlrev_b32_e32 v0, 16, v5
	v_mul_f32_e32 v0, v45, v0
	v_and_b32_e32 v1, 0x7f800000, v0
	v_cmp_ne_u32_e64 s[0:1], s8, v1
                                        ; implicit-def: $agpr41
	s_and_saveexec_b64 s[6:7], s[0:1]
	s_xor_b64 s[0:1], exec, s[6:7]
; %bb.519:                              ;   in Loop: Header=BB348_296 Depth=1
	v_bfe_u32 v1, v0, 16, 1
	v_add3_u32 v0, v0, v1, s9
	v_accvgpr_write_b32 a41, v0
                                        ; implicit-def: $vgpr0
; %bb.520:                              ;   in Loop: Header=BB348_296 Depth=1
	s_andn2_saveexec_b64 s[6:7], s[0:1]
; %bb.521:                              ;   in Loop: Header=BB348_296 Depth=1
	v_or_b32_e32 v1, 0x10000, v0
	v_cmp_eq_u32_sdwa s[0:1], v0, v23 src0_sel:WORD_0 src1_sel:DWORD
	s_nop 1
	v_cndmask_b32_e64 v0, v1, v0, s[0:1]
	v_accvgpr_write_b32 a41, v0
; %bb.522:                              ;   in Loop: Header=BB348_296 Depth=1
	s_or_b64 exec, exec, s[6:7]
	v_lshlrev_b32_e32 v0, 16, v4
	v_mul_f32_e32 v0, v46, v0
	v_and_b32_e32 v1, 0x7f800000, v0
	v_cmp_ne_u32_e64 s[0:1], s8, v1
                                        ; implicit-def: $agpr42
	s_and_saveexec_b64 s[6:7], s[0:1]
	s_xor_b64 s[0:1], exec, s[6:7]
; %bb.523:                              ;   in Loop: Header=BB348_296 Depth=1
	v_bfe_u32 v1, v0, 16, 1
	v_add3_u32 v0, v0, v1, s9
	v_accvgpr_write_b32 a42, v0
                                        ; implicit-def: $vgpr0
; %bb.524:                              ;   in Loop: Header=BB348_296 Depth=1
	s_andn2_saveexec_b64 s[6:7], s[0:1]
; %bb.525:                              ;   in Loop: Header=BB348_296 Depth=1
	v_or_b32_e32 v1, 0x10000, v0
	v_cmp_eq_u32_sdwa s[0:1], v0, v23 src0_sel:WORD_0 src1_sel:DWORD
	s_nop 1
	v_cndmask_b32_e64 v0, v1, v0, s[0:1]
	v_accvgpr_write_b32 a42, v0
; %bb.526:                              ;   in Loop: Header=BB348_296 Depth=1
	s_or_b64 exec, exec, s[6:7]
	flat_load_dwordx2 v[4:5], v[2:3] offset:1536
                                        ; implicit-def: $vgpr6
	s_waitcnt vmcnt(0) lgkmcnt(0)
	v_and_b32_e32 v0, 0xff, v4
	v_cvt_f32_fp8_sdwa v0, v0 src0_sel:BYTE_0
	s_nop 0
	v_mul_f32_e32 v0, v35, v0
	v_and_b32_e32 v1, 0x7f800000, v0
	v_cmp_ne_u32_e64 s[0:1], s8, v1
	s_and_saveexec_b64 s[6:7], s[0:1]
	s_xor_b64 s[0:1], exec, s[6:7]
; %bb.527:                              ;   in Loop: Header=BB348_296 Depth=1
	v_bfe_u32 v1, v0, 16, 1
	v_add3_u32 v6, v0, v1, s9
                                        ; implicit-def: $vgpr0
; %bb.528:                              ;   in Loop: Header=BB348_296 Depth=1
	s_andn2_saveexec_b64 s[6:7], s[0:1]
; %bb.529:                              ;   in Loop: Header=BB348_296 Depth=1
	v_or_b32_e32 v1, 0x10000, v0
	v_cmp_eq_u32_sdwa s[0:1], v0, v23 src0_sel:WORD_0 src1_sel:DWORD
	s_nop 1
	v_cndmask_b32_e64 v6, v1, v0, s[0:1]
; %bb.530:                              ;   in Loop: Header=BB348_296 Depth=1
	s_or_b64 exec, exec, s[6:7]
	v_bfe_u32 v0, v4, 8, 8
	v_cvt_f32_fp8_sdwa v0, v0 src0_sel:BYTE_0
	s_nop 0
	v_mul_f32_e32 v0, v35, v0
	v_and_b32_e32 v1, 0x7f800000, v0
	v_cmp_ne_u32_e64 s[0:1], s8, v1
                                        ; implicit-def: $vgpr1
	s_and_saveexec_b64 s[6:7], s[0:1]
	s_xor_b64 s[0:1], exec, s[6:7]
; %bb.531:                              ;   in Loop: Header=BB348_296 Depth=1
	v_bfe_u32 v1, v0, 16, 1
	v_add3_u32 v1, v0, v1, s9
                                        ; implicit-def: $vgpr0
; %bb.532:                              ;   in Loop: Header=BB348_296 Depth=1
	s_andn2_saveexec_b64 s[6:7], s[0:1]
; %bb.533:                              ;   in Loop: Header=BB348_296 Depth=1
	v_or_b32_e32 v1, 0x10000, v0
	v_cmp_eq_u32_sdwa s[0:1], v0, v23 src0_sel:WORD_0 src1_sel:DWORD
	s_nop 1
	v_cndmask_b32_e64 v1, v1, v0, s[0:1]
; %bb.534:                              ;   in Loop: Header=BB348_296 Depth=1
	s_or_b64 exec, exec, s[6:7]
	v_bfe_u32 v0, v4, 16, 8
	v_cvt_f32_fp8_sdwa v0, v0 src0_sel:BYTE_0
	s_nop 0
	v_mul_f32_e32 v7, v35, v0
	v_and_b32_e32 v0, 0x7f800000, v7
	v_cmp_ne_u32_e64 s[0:1], s8, v0
                                        ; implicit-def: $vgpr0
	s_and_saveexec_b64 s[6:7], s[0:1]
	s_xor_b64 s[0:1], exec, s[6:7]
; %bb.535:                              ;   in Loop: Header=BB348_296 Depth=1
	v_bfe_u32 v0, v7, 16, 1
	v_add3_u32 v0, v7, v0, s9
                                        ; implicit-def: $vgpr7
; %bb.536:                              ;   in Loop: Header=BB348_296 Depth=1
	s_andn2_saveexec_b64 s[6:7], s[0:1]
; %bb.537:                              ;   in Loop: Header=BB348_296 Depth=1
	v_or_b32_e32 v0, 0x10000, v7
	v_cmp_eq_u32_sdwa s[0:1], v7, v23 src0_sel:WORD_0 src1_sel:DWORD
	s_nop 1
	v_cndmask_b32_e64 v0, v0, v7, s[0:1]
; %bb.538:                              ;   in Loop: Header=BB348_296 Depth=1
	s_or_b64 exec, exec, s[6:7]
	v_lshrrev_b32_e32 v4, 24, v4
	v_cvt_f32_fp8_sdwa v4, v4 src0_sel:BYTE_0
	s_nop 0
	v_mul_f32_e32 v7, v35, v4
	v_and_b32_e32 v4, 0x7f800000, v7
	v_cmp_ne_u32_e64 s[0:1], s8, v4
                                        ; implicit-def: $vgpr4
	s_and_saveexec_b64 s[6:7], s[0:1]
	s_xor_b64 s[0:1], exec, s[6:7]
; %bb.539:                              ;   in Loop: Header=BB348_296 Depth=1
	v_bfe_u32 v4, v7, 16, 1
	v_add3_u32 v4, v7, v4, s9
                                        ; implicit-def: $vgpr7
; %bb.540:                              ;   in Loop: Header=BB348_296 Depth=1
	s_andn2_saveexec_b64 s[6:7], s[0:1]
; %bb.541:                              ;   in Loop: Header=BB348_296 Depth=1
	v_or_b32_e32 v4, 0x10000, v7
	v_cmp_eq_u32_sdwa s[0:1], v7, v23 src0_sel:WORD_0 src1_sel:DWORD
	s_nop 1
	v_cndmask_b32_e64 v4, v4, v7, s[0:1]
; %bb.542:                              ;   in Loop: Header=BB348_296 Depth=1
	s_or_b64 exec, exec, s[6:7]
	v_and_b32_e32 v7, 0xff, v5
	v_cvt_f32_fp8_sdwa v7, v7 src0_sel:BYTE_0
	s_nop 0
	v_mul_f32_e32 v7, v35, v7
	v_and_b32_e32 v8, 0x7f800000, v7
	v_cmp_ne_u32_e64 s[0:1], s8, v8
                                        ; implicit-def: $vgpr8
	s_and_saveexec_b64 s[6:7], s[0:1]
	s_xor_b64 s[0:1], exec, s[6:7]
; %bb.543:                              ;   in Loop: Header=BB348_296 Depth=1
	v_bfe_u32 v8, v7, 16, 1
	v_add3_u32 v8, v7, v8, s9
                                        ; implicit-def: $vgpr7
; %bb.544:                              ;   in Loop: Header=BB348_296 Depth=1
	s_andn2_saveexec_b64 s[6:7], s[0:1]
; %bb.545:                              ;   in Loop: Header=BB348_296 Depth=1
	v_or_b32_e32 v8, 0x10000, v7
	v_cmp_eq_u32_sdwa s[0:1], v7, v23 src0_sel:WORD_0 src1_sel:DWORD
	s_nop 1
	v_cndmask_b32_e64 v8, v8, v7, s[0:1]
; %bb.546:                              ;   in Loop: Header=BB348_296 Depth=1
	s_or_b64 exec, exec, s[6:7]
	v_bfe_u32 v7, v5, 8, 8
	v_cvt_f32_fp8_sdwa v7, v7 src0_sel:BYTE_0
	s_nop 0
	v_mul_f32_e32 v9, v35, v7
	v_and_b32_e32 v7, 0x7f800000, v9
	v_cmp_ne_u32_e64 s[0:1], s8, v7
                                        ; implicit-def: $vgpr7
	s_and_saveexec_b64 s[6:7], s[0:1]
	s_xor_b64 s[0:1], exec, s[6:7]
; %bb.547:                              ;   in Loop: Header=BB348_296 Depth=1
	v_bfe_u32 v7, v9, 16, 1
	v_add3_u32 v7, v9, v7, s9
                                        ; implicit-def: $vgpr9
; %bb.548:                              ;   in Loop: Header=BB348_296 Depth=1
	s_andn2_saveexec_b64 s[6:7], s[0:1]
; %bb.549:                              ;   in Loop: Header=BB348_296 Depth=1
	v_or_b32_e32 v7, 0x10000, v9
	v_cmp_eq_u32_sdwa s[0:1], v9, v23 src0_sel:WORD_0 src1_sel:DWORD
	s_nop 1
	v_cndmask_b32_e64 v7, v7, v9, s[0:1]
; %bb.550:                              ;   in Loop: Header=BB348_296 Depth=1
	s_or_b64 exec, exec, s[6:7]
	v_bfe_u32 v9, v5, 16, 8
	v_cvt_f32_fp8_sdwa v9, v9 src0_sel:BYTE_0
	s_nop 0
	v_mul_f32_e32 v9, v35, v9
	v_and_b32_e32 v18, 0x7f800000, v9
	v_cmp_ne_u32_e64 s[0:1], s8, v18
                                        ; implicit-def: $vgpr18
	s_and_saveexec_b64 s[6:7], s[0:1]
	s_xor_b64 s[0:1], exec, s[6:7]
; %bb.551:                              ;   in Loop: Header=BB348_296 Depth=1
	v_bfe_u32 v18, v9, 16, 1
	v_add3_u32 v18, v9, v18, s9
                                        ; implicit-def: $vgpr9
; %bb.552:                              ;   in Loop: Header=BB348_296 Depth=1
	s_andn2_saveexec_b64 s[6:7], s[0:1]
; %bb.553:                              ;   in Loop: Header=BB348_296 Depth=1
	v_or_b32_e32 v18, 0x10000, v9
	v_cmp_eq_u32_sdwa s[0:1], v9, v23 src0_sel:WORD_0 src1_sel:DWORD
	s_nop 1
	v_cndmask_b32_e64 v18, v18, v9, s[0:1]
; %bb.554:                              ;   in Loop: Header=BB348_296 Depth=1
	s_or_b64 exec, exec, s[6:7]
	v_lshrrev_b32_e32 v5, 24, v5
	v_cvt_f32_fp8_sdwa v5, v5 src0_sel:BYTE_0
                                        ; implicit-def: $vgpr19
	s_nop 0
	v_mul_f32_e32 v5, v35, v5
	v_and_b32_e32 v9, 0x7f800000, v5
	v_cmp_ne_u32_e64 s[0:1], s8, v9
	s_and_saveexec_b64 s[6:7], s[0:1]
	s_xor_b64 s[0:1], exec, s[6:7]
; %bb.555:                              ;   in Loop: Header=BB348_296 Depth=1
	v_bfe_u32 v9, v5, 16, 1
	v_add3_u32 v19, v5, v9, s9
                                        ; implicit-def: $vgpr5
; %bb.556:                              ;   in Loop: Header=BB348_296 Depth=1
	s_andn2_saveexec_b64 s[6:7], s[0:1]
; %bb.557:                              ;   in Loop: Header=BB348_296 Depth=1
	v_or_b32_e32 v9, 0x10000, v5
	v_cmp_eq_u32_sdwa s[0:1], v5, v23 src0_sel:WORD_0 src1_sel:DWORD
	s_nop 1
	v_cndmask_b32_e64 v19, v9, v5, s[0:1]
; %bb.558:                              ;   in Loop: Header=BB348_296 Depth=1
	s_or_b64 exec, exec, s[6:7]
	v_lshrrev_b32_e32 v7, 16, v7
	v_lshrrev_b32_e32 v8, 16, v8
	;; [unrolled: 1-line block ×8, first 2 shown]
	s_and_saveexec_b64 s[6:7], vcc
	s_cbranch_execz .LBB348_560
; %bb.559:                              ;   in Loop: Header=BB348_296 Depth=1
	v_accvgpr_read_b32 v18, a20
	v_cmp_lt_i32_e64 s[0:1], v18, v29
	v_accvgpr_read_b32 v18, a26
	s_nop 0
	v_cndmask_b32_e64 v6, 0, v6, s[0:1]
	v_cmp_lt_i32_e64 s[0:1], v18, v29
	v_accvgpr_read_b32 v18, a25
	s_nop 0
	v_cndmask_b32_e64 v1, 0, v1, s[0:1]
	;; [unrolled: 4-line block ×6, first 2 shown]
	v_cmp_lt_i32_e64 s[0:1], v18, v29
	s_nop 1
	v_cndmask_b32_e64 v5, 0, v5, s[0:1]
	v_cmp_lt_i32_e64 s[0:1], v22, v29
	s_nop 1
	v_cndmask_b32_e64 v4, 0, v4, s[0:1]
.LBB348_560:                            ;   in Loop: Header=BB348_296 Depth=1
	s_or_b64 exec, exec, s[6:7]
	v_lshlrev_b32_e32 v6, 16, v6
	v_mul_f32_e32 v6, v55, v6
	v_and_b32_e32 v18, 0x7f800000, v6
	v_cmp_ne_u32_e64 s[0:1], s8, v18
                                        ; implicit-def: $agpr43
	s_and_saveexec_b64 s[6:7], s[0:1]
	s_xor_b64 s[0:1], exec, s[6:7]
; %bb.561:                              ;   in Loop: Header=BB348_296 Depth=1
	v_bfe_u32 v18, v6, 16, 1
	v_add3_u32 v6, v6, v18, s9
	v_accvgpr_write_b32 a43, v6
                                        ; implicit-def: $vgpr6
; %bb.562:                              ;   in Loop: Header=BB348_296 Depth=1
	s_andn2_saveexec_b64 s[6:7], s[0:1]
; %bb.563:                              ;   in Loop: Header=BB348_296 Depth=1
	v_or_b32_e32 v18, 0x10000, v6
	v_cmp_eq_u32_sdwa s[0:1], v6, v23 src0_sel:WORD_0 src1_sel:DWORD
	s_nop 1
	v_cndmask_b32_e64 v6, v18, v6, s[0:1]
	v_accvgpr_write_b32 a43, v6
; %bb.564:                              ;   in Loop: Header=BB348_296 Depth=1
	s_or_b64 exec, exec, s[6:7]
	v_lshlrev_b32_e32 v1, 16, v1
	v_mul_f32_e32 v1, v40, v1
	v_and_b32_e32 v6, 0x7f800000, v1
	v_cmp_ne_u32_e64 s[0:1], s8, v6
                                        ; implicit-def: $agpr44
	s_and_saveexec_b64 s[6:7], s[0:1]
	s_xor_b64 s[0:1], exec, s[6:7]
; %bb.565:                              ;   in Loop: Header=BB348_296 Depth=1
	v_bfe_u32 v6, v1, 16, 1
	v_add3_u32 v1, v1, v6, s9
	v_accvgpr_write_b32 a44, v1
                                        ; implicit-def: $vgpr1
; %bb.566:                              ;   in Loop: Header=BB348_296 Depth=1
	s_andn2_saveexec_b64 s[6:7], s[0:1]
; %bb.567:                              ;   in Loop: Header=BB348_296 Depth=1
	v_or_b32_e32 v6, 0x10000, v1
	v_cmp_eq_u32_sdwa s[0:1], v1, v23 src0_sel:WORD_0 src1_sel:DWORD
	s_nop 1
	v_cndmask_b32_e64 v1, v6, v1, s[0:1]
	v_accvgpr_write_b32 a44, v1
; %bb.568:                              ;   in Loop: Header=BB348_296 Depth=1
	s_or_b64 exec, exec, s[6:7]
	v_lshlrev_b32_e32 v0, 16, v0
	v_mul_f32_e32 v0, v41, v0
	v_and_b32_e32 v1, 0x7f800000, v0
	v_cmp_ne_u32_e64 s[0:1], s8, v1
                                        ; implicit-def: $vgpr30
	s_and_saveexec_b64 s[6:7], s[0:1]
	s_xor_b64 s[0:1], exec, s[6:7]
; %bb.569:                              ;   in Loop: Header=BB348_296 Depth=1
	v_bfe_u32 v1, v0, 16, 1
	v_add3_u32 v30, v0, v1, s9
                                        ; implicit-def: $vgpr0
; %bb.570:                              ;   in Loop: Header=BB348_296 Depth=1
	s_andn2_saveexec_b64 s[6:7], s[0:1]
; %bb.571:                              ;   in Loop: Header=BB348_296 Depth=1
	v_or_b32_e32 v1, 0x10000, v0
	v_cmp_eq_u32_sdwa s[0:1], v0, v23 src0_sel:WORD_0 src1_sel:DWORD
	s_nop 1
	v_cndmask_b32_e64 v30, v1, v0, s[0:1]
; %bb.572:                              ;   in Loop: Header=BB348_296 Depth=1
	s_or_b64 exec, exec, s[6:7]
	v_lshlrev_b32_e32 v0, 16, v9
	v_mul_f32_e32 v0, v42, v0
	v_and_b32_e32 v1, 0x7f800000, v0
	v_cmp_ne_u32_e64 s[0:1], s8, v1
                                        ; implicit-def: $agpr45
	s_and_saveexec_b64 s[6:7], s[0:1]
	s_xor_b64 s[0:1], exec, s[6:7]
; %bb.573:                              ;   in Loop: Header=BB348_296 Depth=1
	v_bfe_u32 v1, v0, 16, 1
	v_add3_u32 v0, v0, v1, s9
	v_accvgpr_write_b32 a45, v0
                                        ; implicit-def: $vgpr0
; %bb.574:                              ;   in Loop: Header=BB348_296 Depth=1
	s_andn2_saveexec_b64 s[6:7], s[0:1]
; %bb.575:                              ;   in Loop: Header=BB348_296 Depth=1
	v_or_b32_e32 v1, 0x10000, v0
	v_cmp_eq_u32_sdwa s[0:1], v0, v23 src0_sel:WORD_0 src1_sel:DWORD
	s_nop 1
	v_cndmask_b32_e64 v0, v1, v0, s[0:1]
	v_accvgpr_write_b32 a45, v0
; %bb.576:                              ;   in Loop: Header=BB348_296 Depth=1
	s_or_b64 exec, exec, s[6:7]
	v_lshlrev_b32_e32 v0, 16, v8
	v_mul_f32_e32 v0, v43, v0
	v_and_b32_e32 v1, 0x7f800000, v0
	v_cmp_ne_u32_e64 s[0:1], s8, v1
                                        ; implicit-def: $vgpr6
	s_and_saveexec_b64 s[6:7], s[0:1]
	s_xor_b64 s[0:1], exec, s[6:7]
; %bb.577:                              ;   in Loop: Header=BB348_296 Depth=1
	v_bfe_u32 v1, v0, 16, 1
	v_add3_u32 v6, v0, v1, s9
                                        ; implicit-def: $vgpr0
; %bb.578:                              ;   in Loop: Header=BB348_296 Depth=1
	s_andn2_saveexec_b64 s[6:7], s[0:1]
; %bb.579:                              ;   in Loop: Header=BB348_296 Depth=1
	v_or_b32_e32 v1, 0x10000, v0
	v_cmp_eq_u32_sdwa s[0:1], v0, v23 src0_sel:WORD_0 src1_sel:DWORD
	s_nop 1
	v_cndmask_b32_e64 v6, v1, v0, s[0:1]
; %bb.580:                              ;   in Loop: Header=BB348_296 Depth=1
	s_or_b64 exec, exec, s[6:7]
	v_lshlrev_b32_e32 v0, 16, v7
	v_mul_f32_e32 v0, v44, v0
	v_and_b32_e32 v1, 0x7f800000, v0
	v_cmp_ne_u32_e64 s[0:1], s8, v1
                                        ; implicit-def: $vgpr18
	s_and_saveexec_b64 s[6:7], s[0:1]
	s_xor_b64 s[0:1], exec, s[6:7]
; %bb.581:                              ;   in Loop: Header=BB348_296 Depth=1
	v_bfe_u32 v1, v0, 16, 1
	v_add3_u32 v18, v0, v1, s9
                                        ; implicit-def: $vgpr0
; %bb.582:                              ;   in Loop: Header=BB348_296 Depth=1
	s_andn2_saveexec_b64 s[6:7], s[0:1]
; %bb.583:                              ;   in Loop: Header=BB348_296 Depth=1
	v_or_b32_e32 v1, 0x10000, v0
	v_cmp_eq_u32_sdwa s[0:1], v0, v23 src0_sel:WORD_0 src1_sel:DWORD
	s_nop 1
	v_cndmask_b32_e64 v18, v1, v0, s[0:1]
; %bb.584:                              ;   in Loop: Header=BB348_296 Depth=1
	s_or_b64 exec, exec, s[6:7]
	v_lshlrev_b32_e32 v0, 16, v5
	v_mul_f32_e32 v0, v45, v0
	v_and_b32_e32 v1, 0x7f800000, v0
	v_cmp_ne_u32_e64 s[0:1], s8, v1
                                        ; implicit-def: $vgpr7
	s_and_saveexec_b64 s[6:7], s[0:1]
	s_xor_b64 s[0:1], exec, s[6:7]
; %bb.585:                              ;   in Loop: Header=BB348_296 Depth=1
	v_bfe_u32 v1, v0, 16, 1
	v_add3_u32 v7, v0, v1, s9
                                        ; implicit-def: $vgpr0
; %bb.586:                              ;   in Loop: Header=BB348_296 Depth=1
	s_andn2_saveexec_b64 s[6:7], s[0:1]
; %bb.587:                              ;   in Loop: Header=BB348_296 Depth=1
	v_or_b32_e32 v1, 0x10000, v0
	v_cmp_eq_u32_sdwa s[0:1], v0, v23 src0_sel:WORD_0 src1_sel:DWORD
	s_nop 1
	v_cndmask_b32_e64 v7, v1, v0, s[0:1]
; %bb.588:                              ;   in Loop: Header=BB348_296 Depth=1
	s_or_b64 exec, exec, s[6:7]
	v_lshlrev_b32_e32 v0, 16, v4
	v_mul_f32_e32 v0, v46, v0
	v_and_b32_e32 v1, 0x7f800000, v0
	v_cmp_ne_u32_e64 s[0:1], s8, v1
                                        ; implicit-def: $vgpr8
	s_and_saveexec_b64 s[6:7], s[0:1]
	s_xor_b64 s[0:1], exec, s[6:7]
; %bb.589:                              ;   in Loop: Header=BB348_296 Depth=1
	v_bfe_u32 v1, v0, 16, 1
	v_add3_u32 v8, v0, v1, s9
                                        ; implicit-def: $vgpr0
; %bb.590:                              ;   in Loop: Header=BB348_296 Depth=1
	s_andn2_saveexec_b64 s[6:7], s[0:1]
; %bb.591:                              ;   in Loop: Header=BB348_296 Depth=1
	v_or_b32_e32 v1, 0x10000, v0
	v_cmp_eq_u32_sdwa s[0:1], v0, v23 src0_sel:WORD_0 src1_sel:DWORD
	s_nop 1
	v_cndmask_b32_e64 v8, v1, v0, s[0:1]
; %bb.592:                              ;   in Loop: Header=BB348_296 Depth=1
	s_or_b64 exec, exec, s[6:7]
	flat_load_dwordx2 v[4:5], v[2:3] offset:2048
                                        ; implicit-def: $vgpr9
	s_waitcnt vmcnt(0) lgkmcnt(0)
	v_and_b32_e32 v0, 0xff, v4
	v_cvt_f32_fp8_sdwa v0, v0 src0_sel:BYTE_0
	s_nop 0
	v_mul_f32_e32 v0, v35, v0
	v_and_b32_e32 v1, 0x7f800000, v0
	v_cmp_ne_u32_e64 s[0:1], s8, v1
	s_and_saveexec_b64 s[6:7], s[0:1]
	s_xor_b64 s[0:1], exec, s[6:7]
; %bb.593:                              ;   in Loop: Header=BB348_296 Depth=1
	v_bfe_u32 v1, v0, 16, 1
	v_add3_u32 v9, v0, v1, s9
                                        ; implicit-def: $vgpr0
; %bb.594:                              ;   in Loop: Header=BB348_296 Depth=1
	s_andn2_saveexec_b64 s[6:7], s[0:1]
; %bb.595:                              ;   in Loop: Header=BB348_296 Depth=1
	v_or_b32_e32 v1, 0x10000, v0
	v_cmp_eq_u32_sdwa s[0:1], v0, v23 src0_sel:WORD_0 src1_sel:DWORD
	s_nop 1
	v_cndmask_b32_e64 v9, v1, v0, s[0:1]
; %bb.596:                              ;   in Loop: Header=BB348_296 Depth=1
	s_or_b64 exec, exec, s[6:7]
	v_bfe_u32 v0, v4, 8, 8
	v_cvt_f32_fp8_sdwa v0, v0 src0_sel:BYTE_0
	s_nop 0
	v_mul_f32_e32 v0, v35, v0
	v_and_b32_e32 v1, 0x7f800000, v0
	v_cmp_ne_u32_e64 s[0:1], s8, v1
                                        ; implicit-def: $vgpr1
	s_and_saveexec_b64 s[6:7], s[0:1]
	s_xor_b64 s[0:1], exec, s[6:7]
; %bb.597:                              ;   in Loop: Header=BB348_296 Depth=1
	v_bfe_u32 v1, v0, 16, 1
	v_add3_u32 v1, v0, v1, s9
                                        ; implicit-def: $vgpr0
; %bb.598:                              ;   in Loop: Header=BB348_296 Depth=1
	s_andn2_saveexec_b64 s[6:7], s[0:1]
; %bb.599:                              ;   in Loop: Header=BB348_296 Depth=1
	v_or_b32_e32 v1, 0x10000, v0
	v_cmp_eq_u32_sdwa s[0:1], v0, v23 src0_sel:WORD_0 src1_sel:DWORD
	s_nop 1
	v_cndmask_b32_e64 v1, v1, v0, s[0:1]
; %bb.600:                              ;   in Loop: Header=BB348_296 Depth=1
	s_or_b64 exec, exec, s[6:7]
	v_bfe_u32 v0, v4, 16, 8
	v_cvt_f32_fp8_sdwa v0, v0 src0_sel:BYTE_0
	s_nop 0
	v_mul_f32_e32 v19, v35, v0
	v_and_b32_e32 v0, 0x7f800000, v19
	v_cmp_ne_u32_e64 s[0:1], s8, v0
                                        ; implicit-def: $vgpr0
	s_and_saveexec_b64 s[6:7], s[0:1]
	s_xor_b64 s[0:1], exec, s[6:7]
; %bb.601:                              ;   in Loop: Header=BB348_296 Depth=1
	v_bfe_u32 v0, v19, 16, 1
	v_add3_u32 v0, v19, v0, s9
                                        ; implicit-def: $vgpr19
; %bb.602:                              ;   in Loop: Header=BB348_296 Depth=1
	s_andn2_saveexec_b64 s[6:7], s[0:1]
; %bb.603:                              ;   in Loop: Header=BB348_296 Depth=1
	v_or_b32_e32 v0, 0x10000, v19
	v_cmp_eq_u32_sdwa s[0:1], v19, v23 src0_sel:WORD_0 src1_sel:DWORD
	s_nop 1
	v_cndmask_b32_e64 v0, v0, v19, s[0:1]
; %bb.604:                              ;   in Loop: Header=BB348_296 Depth=1
	s_or_b64 exec, exec, s[6:7]
	v_lshrrev_b32_e32 v4, 24, v4
	v_cvt_f32_fp8_sdwa v4, v4 src0_sel:BYTE_0
	s_nop 0
	v_mul_f32_e32 v19, v35, v4
	v_and_b32_e32 v4, 0x7f800000, v19
	v_cmp_ne_u32_e64 s[0:1], s8, v4
                                        ; implicit-def: $vgpr4
	s_and_saveexec_b64 s[6:7], s[0:1]
	s_xor_b64 s[0:1], exec, s[6:7]
; %bb.605:                              ;   in Loop: Header=BB348_296 Depth=1
	v_bfe_u32 v4, v19, 16, 1
	v_add3_u32 v4, v19, v4, s9
                                        ; implicit-def: $vgpr19
; %bb.606:                              ;   in Loop: Header=BB348_296 Depth=1
	s_andn2_saveexec_b64 s[6:7], s[0:1]
; %bb.607:                              ;   in Loop: Header=BB348_296 Depth=1
	v_or_b32_e32 v4, 0x10000, v19
	v_cmp_eq_u32_sdwa s[0:1], v19, v23 src0_sel:WORD_0 src1_sel:DWORD
	s_nop 1
	v_cndmask_b32_e64 v4, v4, v19, s[0:1]
; %bb.608:                              ;   in Loop: Header=BB348_296 Depth=1
	s_or_b64 exec, exec, s[6:7]
	v_and_b32_e32 v19, 0xff, v5
	v_cvt_f32_fp8_sdwa v19, v19 src0_sel:BYTE_0
                                        ; implicit-def: $vgpr28
	s_nop 0
	v_mul_f32_e32 v19, v35, v19
	v_and_b32_e32 v24, 0x7f800000, v19
	v_cmp_ne_u32_e64 s[0:1], s8, v24
	s_and_saveexec_b64 s[6:7], s[0:1]
	s_xor_b64 s[0:1], exec, s[6:7]
; %bb.609:                              ;   in Loop: Header=BB348_296 Depth=1
	v_bfe_u32 v24, v19, 16, 1
	v_add3_u32 v28, v19, v24, s9
                                        ; implicit-def: $vgpr19
; %bb.610:                              ;   in Loop: Header=BB348_296 Depth=1
	s_andn2_saveexec_b64 s[6:7], s[0:1]
; %bb.611:                              ;   in Loop: Header=BB348_296 Depth=1
	v_or_b32_e32 v24, 0x10000, v19
	v_cmp_eq_u32_sdwa s[0:1], v19, v23 src0_sel:WORD_0 src1_sel:DWORD
	s_nop 1
	v_cndmask_b32_e64 v28, v24, v19, s[0:1]
; %bb.612:                              ;   in Loop: Header=BB348_296 Depth=1
	s_or_b64 exec, exec, s[6:7]
	v_bfe_u32 v19, v5, 8, 8
	v_cvt_f32_fp8_sdwa v19, v19 src0_sel:BYTE_0
	s_nop 0
	v_mul_f32_e32 v26, v35, v19
	v_and_b32_e32 v19, 0x7f800000, v26
	v_cmp_ne_u32_e64 s[0:1], s8, v19
                                        ; implicit-def: $vgpr19
	s_and_saveexec_b64 s[6:7], s[0:1]
	s_xor_b64 s[0:1], exec, s[6:7]
; %bb.613:                              ;   in Loop: Header=BB348_296 Depth=1
	v_bfe_u32 v19, v26, 16, 1
	v_add3_u32 v19, v26, v19, s9
                                        ; implicit-def: $vgpr26
; %bb.614:                              ;   in Loop: Header=BB348_296 Depth=1
	s_andn2_saveexec_b64 s[6:7], s[0:1]
; %bb.615:                              ;   in Loop: Header=BB348_296 Depth=1
	v_or_b32_e32 v19, 0x10000, v26
	v_cmp_eq_u32_sdwa s[0:1], v26, v23 src0_sel:WORD_0 src1_sel:DWORD
	s_nop 1
	v_cndmask_b32_e64 v19, v19, v26, s[0:1]
; %bb.616:                              ;   in Loop: Header=BB348_296 Depth=1
	s_or_b64 exec, exec, s[6:7]
	v_bfe_u32 v24, v5, 16, 8
	v_cvt_f32_fp8_sdwa v24, v24 src0_sel:BYTE_0
                                        ; implicit-def: $vgpr31
	s_nop 0
	v_mul_f32_e32 v26, v35, v24
	v_and_b32_e32 v24, 0x7f800000, v26
	v_cmp_ne_u32_e64 s[0:1], s8, v24
	s_and_saveexec_b64 s[6:7], s[0:1]
	s_xor_b64 s[0:1], exec, s[6:7]
; %bb.617:                              ;   in Loop: Header=BB348_296 Depth=1
	v_bfe_u32 v24, v26, 16, 1
	v_add3_u32 v31, v26, v24, s9
                                        ; implicit-def: $vgpr26
; %bb.618:                              ;   in Loop: Header=BB348_296 Depth=1
	s_andn2_saveexec_b64 s[6:7], s[0:1]
; %bb.619:                              ;   in Loop: Header=BB348_296 Depth=1
	v_or_b32_e32 v24, 0x10000, v26
	v_cmp_eq_u32_sdwa s[0:1], v26, v23 src0_sel:WORD_0 src1_sel:DWORD
	s_nop 1
	v_cndmask_b32_e64 v31, v24, v26, s[0:1]
; %bb.620:                              ;   in Loop: Header=BB348_296 Depth=1
	s_or_b64 exec, exec, s[6:7]
	v_lshrrev_b32_e32 v5, 24, v5
	v_cvt_f32_fp8_sdwa v5, v5 src0_sel:BYTE_0
                                        ; implicit-def: $vgpr33
	s_nop 0
	v_mul_f32_e32 v5, v35, v5
	v_and_b32_e32 v24, 0x7f800000, v5
	v_cmp_ne_u32_e64 s[0:1], s8, v24
	s_and_saveexec_b64 s[6:7], s[0:1]
	s_xor_b64 s[0:1], exec, s[6:7]
; %bb.621:                              ;   in Loop: Header=BB348_296 Depth=1
	v_bfe_u32 v24, v5, 16, 1
	v_add3_u32 v33, v5, v24, s9
                                        ; implicit-def: $vgpr5
; %bb.622:                              ;   in Loop: Header=BB348_296 Depth=1
	s_andn2_saveexec_b64 s[6:7], s[0:1]
; %bb.623:                              ;   in Loop: Header=BB348_296 Depth=1
	v_or_b32_e32 v24, 0x10000, v5
	v_cmp_eq_u32_sdwa s[0:1], v5, v23 src0_sel:WORD_0 src1_sel:DWORD
	s_nop 1
	v_cndmask_b32_e64 v33, v24, v5, s[0:1]
; %bb.624:                              ;   in Loop: Header=BB348_296 Depth=1
	s_or_b64 exec, exec, s[6:7]
	v_lshrrev_b32_e32 v19, 16, v19
	v_lshrrev_b32_e32 v28, 16, v28
	;; [unrolled: 1-line block ×8, first 2 shown]
	s_and_saveexec_b64 s[6:7], vcc
	s_cbranch_execz .LBB348_626
; %bb.625:                              ;   in Loop: Header=BB348_296 Depth=1
	v_accvgpr_read_b32 v24, a20
	v_cmp_lt_i32_e64 s[0:1], v24, v29
	v_accvgpr_read_b32 v24, a26
	s_nop 0
	v_cndmask_b32_e64 v9, 0, v9, s[0:1]
	v_cmp_lt_i32_e64 s[0:1], v24, v29
	v_accvgpr_read_b32 v24, a25
	s_nop 0
	v_cndmask_b32_e64 v1, 0, v1, s[0:1]
	;; [unrolled: 4-line block ×6, first 2 shown]
	v_cmp_lt_i32_e64 s[0:1], v24, v29
	s_nop 1
	v_cndmask_b32_e64 v5, 0, v5, s[0:1]
	v_cmp_lt_i32_e64 s[0:1], v22, v29
	s_nop 1
	v_cndmask_b32_e64 v4, 0, v4, s[0:1]
.LBB348_626:                            ;   in Loop: Header=BB348_296 Depth=1
	s_or_b64 exec, exec, s[6:7]
	v_lshlrev_b32_e32 v9, 16, v9
	v_mul_f32_e32 v26, v55, v9
	v_and_b32_e32 v9, 0x7f800000, v26
	v_cmp_ne_u32_e64 s[0:1], s8, v9
                                        ; implicit-def: $vgpr9
	s_and_saveexec_b64 s[6:7], s[0:1]
	s_xor_b64 s[0:1], exec, s[6:7]
; %bb.627:                              ;   in Loop: Header=BB348_296 Depth=1
	v_bfe_u32 v9, v26, 16, 1
	v_add3_u32 v9, v26, v9, s9
                                        ; implicit-def: $vgpr26
; %bb.628:                              ;   in Loop: Header=BB348_296 Depth=1
	s_andn2_saveexec_b64 s[6:7], s[0:1]
; %bb.629:                              ;   in Loop: Header=BB348_296 Depth=1
	v_or_b32_e32 v9, 0x10000, v26
	v_cmp_eq_u32_sdwa s[0:1], v26, v23 src0_sel:WORD_0 src1_sel:DWORD
	s_nop 1
	v_cndmask_b32_e64 v9, v9, v26, s[0:1]
; %bb.630:                              ;   in Loop: Header=BB348_296 Depth=1
	s_or_b64 exec, exec, s[6:7]
	v_lshlrev_b32_e32 v1, 16, v1
	v_mul_f32_e32 v1, v40, v1
	v_and_b32_e32 v24, 0x7f800000, v1
	v_cmp_ne_u32_e64 s[0:1], s8, v24
                                        ; implicit-def: $vgpr31
	s_and_saveexec_b64 s[6:7], s[0:1]
	s_xor_b64 s[0:1], exec, s[6:7]
; %bb.631:                              ;   in Loop: Header=BB348_296 Depth=1
	v_bfe_u32 v24, v1, 16, 1
	v_add3_u32 v31, v1, v24, s9
                                        ; implicit-def: $vgpr1
; %bb.632:                              ;   in Loop: Header=BB348_296 Depth=1
	s_andn2_saveexec_b64 s[6:7], s[0:1]
; %bb.633:                              ;   in Loop: Header=BB348_296 Depth=1
	v_or_b32_e32 v24, 0x10000, v1
	v_cmp_eq_u32_sdwa s[0:1], v1, v23 src0_sel:WORD_0 src1_sel:DWORD
	s_nop 1
	v_cndmask_b32_e64 v31, v24, v1, s[0:1]
; %bb.634:                              ;   in Loop: Header=BB348_296 Depth=1
	s_or_b64 exec, exec, s[6:7]
	v_lshlrev_b32_e32 v0, 16, v0
	v_mul_f32_e32 v0, v41, v0
	v_and_b32_e32 v1, 0x7f800000, v0
	v_cmp_ne_u32_e64 s[0:1], s8, v1
                                        ; implicit-def: $vgpr37
	s_and_saveexec_b64 s[6:7], s[0:1]
	s_xor_b64 s[0:1], exec, s[6:7]
; %bb.635:                              ;   in Loop: Header=BB348_296 Depth=1
	v_bfe_u32 v1, v0, 16, 1
	v_add3_u32 v37, v0, v1, s9
                                        ; implicit-def: $vgpr0
; %bb.636:                              ;   in Loop: Header=BB348_296 Depth=1
	s_andn2_saveexec_b64 s[6:7], s[0:1]
; %bb.637:                              ;   in Loop: Header=BB348_296 Depth=1
	v_or_b32_e32 v1, 0x10000, v0
	v_cmp_eq_u32_sdwa s[0:1], v0, v23 src0_sel:WORD_0 src1_sel:DWORD
	s_nop 1
	v_cndmask_b32_e64 v37, v1, v0, s[0:1]
; %bb.638:                              ;   in Loop: Header=BB348_296 Depth=1
	s_or_b64 exec, exec, s[6:7]
	v_lshlrev_b32_e32 v0, 16, v32
	v_mul_f32_e32 v0, v42, v0
	v_and_b32_e32 v1, 0x7f800000, v0
	v_cmp_ne_u32_e64 s[0:1], s8, v1
                                        ; implicit-def: $vgpr38
	s_and_saveexec_b64 s[6:7], s[0:1]
	s_xor_b64 s[0:1], exec, s[6:7]
; %bb.639:                              ;   in Loop: Header=BB348_296 Depth=1
	v_bfe_u32 v1, v0, 16, 1
	v_add3_u32 v38, v0, v1, s9
                                        ; implicit-def: $vgpr0
; %bb.640:                              ;   in Loop: Header=BB348_296 Depth=1
	s_andn2_saveexec_b64 s[6:7], s[0:1]
; %bb.641:                              ;   in Loop: Header=BB348_296 Depth=1
	v_or_b32_e32 v1, 0x10000, v0
	v_cmp_eq_u32_sdwa s[0:1], v0, v23 src0_sel:WORD_0 src1_sel:DWORD
	s_nop 1
	v_cndmask_b32_e64 v38, v1, v0, s[0:1]
; %bb.642:                              ;   in Loop: Header=BB348_296 Depth=1
	s_or_b64 exec, exec, s[6:7]
	v_lshlrev_b32_e32 v0, 16, v28
	v_mul_f32_e32 v0, v43, v0
	v_and_b32_e32 v1, 0x7f800000, v0
	v_cmp_ne_u32_e64 s[0:1], s8, v1
                                        ; implicit-def: $vgpr39
	s_and_saveexec_b64 s[6:7], s[0:1]
	s_xor_b64 s[0:1], exec, s[6:7]
; %bb.643:                              ;   in Loop: Header=BB348_296 Depth=1
	v_bfe_u32 v1, v0, 16, 1
	v_add3_u32 v39, v0, v1, s9
                                        ; implicit-def: $vgpr0
; %bb.644:                              ;   in Loop: Header=BB348_296 Depth=1
	s_andn2_saveexec_b64 s[6:7], s[0:1]
; %bb.645:                              ;   in Loop: Header=BB348_296 Depth=1
	v_or_b32_e32 v1, 0x10000, v0
	v_cmp_eq_u32_sdwa s[0:1], v0, v23 src0_sel:WORD_0 src1_sel:DWORD
	s_nop 1
	v_cndmask_b32_e64 v39, v1, v0, s[0:1]
; %bb.646:                              ;   in Loop: Header=BB348_296 Depth=1
	s_or_b64 exec, exec, s[6:7]
	v_lshlrev_b32_e32 v0, 16, v19
	v_mul_f32_e32 v0, v44, v0
	v_and_b32_e32 v1, 0x7f800000, v0
	v_cmp_ne_u32_e64 s[0:1], s8, v1
                                        ; implicit-def: $vgpr47
	s_and_saveexec_b64 s[6:7], s[0:1]
	s_xor_b64 s[0:1], exec, s[6:7]
; %bb.647:                              ;   in Loop: Header=BB348_296 Depth=1
	v_bfe_u32 v1, v0, 16, 1
	v_add3_u32 v47, v0, v1, s9
                                        ; implicit-def: $vgpr0
; %bb.648:                              ;   in Loop: Header=BB348_296 Depth=1
	s_andn2_saveexec_b64 s[6:7], s[0:1]
; %bb.649:                              ;   in Loop: Header=BB348_296 Depth=1
	v_or_b32_e32 v1, 0x10000, v0
	v_cmp_eq_u32_sdwa s[0:1], v0, v23 src0_sel:WORD_0 src1_sel:DWORD
	s_nop 1
	v_cndmask_b32_e64 v47, v1, v0, s[0:1]
; %bb.650:                              ;   in Loop: Header=BB348_296 Depth=1
	s_or_b64 exec, exec, s[6:7]
	v_lshlrev_b32_e32 v0, 16, v5
	v_mul_f32_e32 v0, v45, v0
	v_and_b32_e32 v1, 0x7f800000, v0
	v_cmp_ne_u32_e64 s[0:1], s8, v1
                                        ; implicit-def: $vgpr56
	s_and_saveexec_b64 s[6:7], s[0:1]
	s_xor_b64 s[0:1], exec, s[6:7]
; %bb.651:                              ;   in Loop: Header=BB348_296 Depth=1
	v_bfe_u32 v1, v0, 16, 1
	v_add3_u32 v56, v0, v1, s9
                                        ; implicit-def: $vgpr0
; %bb.652:                              ;   in Loop: Header=BB348_296 Depth=1
	s_andn2_saveexec_b64 s[6:7], s[0:1]
; %bb.653:                              ;   in Loop: Header=BB348_296 Depth=1
	v_or_b32_e32 v1, 0x10000, v0
	v_cmp_eq_u32_sdwa s[0:1], v0, v23 src0_sel:WORD_0 src1_sel:DWORD
	s_nop 1
	v_cndmask_b32_e64 v56, v1, v0, s[0:1]
; %bb.654:                              ;   in Loop: Header=BB348_296 Depth=1
	s_or_b64 exec, exec, s[6:7]
	v_lshlrev_b32_e32 v0, 16, v4
	v_mul_f32_e32 v0, v46, v0
	v_and_b32_e32 v1, 0x7f800000, v0
	v_cmp_ne_u32_e64 s[0:1], s8, v1
                                        ; implicit-def: $vgpr57
	s_and_saveexec_b64 s[6:7], s[0:1]
	s_xor_b64 s[0:1], exec, s[6:7]
; %bb.655:                              ;   in Loop: Header=BB348_296 Depth=1
	v_bfe_u32 v1, v0, 16, 1
	v_add3_u32 v57, v0, v1, s9
                                        ; implicit-def: $vgpr0
; %bb.656:                              ;   in Loop: Header=BB348_296 Depth=1
	s_andn2_saveexec_b64 s[6:7], s[0:1]
; %bb.657:                              ;   in Loop: Header=BB348_296 Depth=1
	v_or_b32_e32 v1, 0x10000, v0
	v_cmp_eq_u32_sdwa s[0:1], v0, v23 src0_sel:WORD_0 src1_sel:DWORD
	s_nop 1
	v_cndmask_b32_e64 v57, v1, v0, s[0:1]
; %bb.658:                              ;   in Loop: Header=BB348_296 Depth=1
	s_or_b64 exec, exec, s[6:7]
	flat_load_dwordx2 v[4:5], v[2:3] offset:2560
                                        ; implicit-def: $vgpr19
	s_waitcnt vmcnt(0) lgkmcnt(0)
	v_and_b32_e32 v0, 0xff, v4
	v_cvt_f32_fp8_sdwa v0, v0 src0_sel:BYTE_0
	s_nop 0
	v_mul_f32_e32 v0, v35, v0
	v_and_b32_e32 v1, 0x7f800000, v0
	v_cmp_ne_u32_e64 s[0:1], s8, v1
	s_and_saveexec_b64 s[6:7], s[0:1]
	s_xor_b64 s[0:1], exec, s[6:7]
; %bb.659:                              ;   in Loop: Header=BB348_296 Depth=1
	v_bfe_u32 v1, v0, 16, 1
	v_add3_u32 v19, v0, v1, s9
                                        ; implicit-def: $vgpr0
; %bb.660:                              ;   in Loop: Header=BB348_296 Depth=1
	s_andn2_saveexec_b64 s[6:7], s[0:1]
; %bb.661:                              ;   in Loop: Header=BB348_296 Depth=1
	v_or_b32_e32 v1, 0x10000, v0
	v_cmp_eq_u32_sdwa s[0:1], v0, v23 src0_sel:WORD_0 src1_sel:DWORD
	s_nop 1
	v_cndmask_b32_e64 v19, v1, v0, s[0:1]
; %bb.662:                              ;   in Loop: Header=BB348_296 Depth=1
	s_or_b64 exec, exec, s[6:7]
	v_bfe_u32 v0, v4, 8, 8
	v_cvt_f32_fp8_sdwa v0, v0 src0_sel:BYTE_0
	s_nop 0
	v_mul_f32_e32 v0, v35, v0
	v_and_b32_e32 v1, 0x7f800000, v0
	v_cmp_ne_u32_e64 s[0:1], s8, v1
                                        ; implicit-def: $vgpr1
	s_and_saveexec_b64 s[6:7], s[0:1]
	s_xor_b64 s[0:1], exec, s[6:7]
; %bb.663:                              ;   in Loop: Header=BB348_296 Depth=1
	v_bfe_u32 v1, v0, 16, 1
	v_add3_u32 v1, v0, v1, s9
                                        ; implicit-def: $vgpr0
; %bb.664:                              ;   in Loop: Header=BB348_296 Depth=1
	s_andn2_saveexec_b64 s[6:7], s[0:1]
; %bb.665:                              ;   in Loop: Header=BB348_296 Depth=1
	v_or_b32_e32 v1, 0x10000, v0
	v_cmp_eq_u32_sdwa s[0:1], v0, v23 src0_sel:WORD_0 src1_sel:DWORD
	s_nop 1
	v_cndmask_b32_e64 v1, v1, v0, s[0:1]
; %bb.666:                              ;   in Loop: Header=BB348_296 Depth=1
	s_or_b64 exec, exec, s[6:7]
	v_bfe_u32 v0, v4, 16, 8
	v_cvt_f32_fp8_sdwa v0, v0 src0_sel:BYTE_0
	s_nop 0
	v_mul_f32_e32 v26, v35, v0
	v_and_b32_e32 v0, 0x7f800000, v26
	v_cmp_ne_u32_e64 s[0:1], s8, v0
                                        ; implicit-def: $vgpr0
	s_and_saveexec_b64 s[6:7], s[0:1]
	s_xor_b64 s[0:1], exec, s[6:7]
; %bb.667:                              ;   in Loop: Header=BB348_296 Depth=1
	v_bfe_u32 v0, v26, 16, 1
	v_add3_u32 v0, v26, v0, s9
                                        ; implicit-def: $vgpr26
; %bb.668:                              ;   in Loop: Header=BB348_296 Depth=1
	s_andn2_saveexec_b64 s[6:7], s[0:1]
; %bb.669:                              ;   in Loop: Header=BB348_296 Depth=1
	v_or_b32_e32 v0, 0x10000, v26
	v_cmp_eq_u32_sdwa s[0:1], v26, v23 src0_sel:WORD_0 src1_sel:DWORD
	s_nop 1
	v_cndmask_b32_e64 v0, v0, v26, s[0:1]
; %bb.670:                              ;   in Loop: Header=BB348_296 Depth=1
	s_or_b64 exec, exec, s[6:7]
	v_lshrrev_b32_e32 v4, 24, v4
	v_cvt_f32_fp8_sdwa v4, v4 src0_sel:BYTE_0
	s_nop 0
	v_mul_f32_e32 v26, v35, v4
	v_and_b32_e32 v4, 0x7f800000, v26
	v_cmp_ne_u32_e64 s[0:1], s8, v4
                                        ; implicit-def: $vgpr4
	s_and_saveexec_b64 s[6:7], s[0:1]
	s_xor_b64 s[0:1], exec, s[6:7]
; %bb.671:                              ;   in Loop: Header=BB348_296 Depth=1
	v_bfe_u32 v4, v26, 16, 1
	v_add3_u32 v4, v26, v4, s9
                                        ; implicit-def: $vgpr26
; %bb.672:                              ;   in Loop: Header=BB348_296 Depth=1
	s_andn2_saveexec_b64 s[6:7], s[0:1]
; %bb.673:                              ;   in Loop: Header=BB348_296 Depth=1
	v_or_b32_e32 v4, 0x10000, v26
	v_cmp_eq_u32_sdwa s[0:1], v26, v23 src0_sel:WORD_0 src1_sel:DWORD
	s_nop 1
	v_cndmask_b32_e64 v4, v4, v26, s[0:1]
; %bb.674:                              ;   in Loop: Header=BB348_296 Depth=1
	s_or_b64 exec, exec, s[6:7]
	v_and_b32_e32 v24, 0xff, v5
	v_cvt_f32_fp8_sdwa v24, v24 src0_sel:BYTE_0
                                        ; implicit-def: $vgpr28
	s_nop 0
	v_mul_f32_e32 v26, v35, v24
	v_and_b32_e32 v24, 0x7f800000, v26
	v_cmp_ne_u32_e64 s[0:1], s8, v24
	s_and_saveexec_b64 s[6:7], s[0:1]
	s_xor_b64 s[0:1], exec, s[6:7]
; %bb.675:                              ;   in Loop: Header=BB348_296 Depth=1
	v_bfe_u32 v24, v26, 16, 1
	v_add3_u32 v28, v26, v24, s9
                                        ; implicit-def: $vgpr26
; %bb.676:                              ;   in Loop: Header=BB348_296 Depth=1
	s_andn2_saveexec_b64 s[6:7], s[0:1]
; %bb.677:                              ;   in Loop: Header=BB348_296 Depth=1
	v_or_b32_e32 v24, 0x10000, v26
	v_cmp_eq_u32_sdwa s[0:1], v26, v23 src0_sel:WORD_0 src1_sel:DWORD
	s_nop 1
	v_cndmask_b32_e64 v28, v24, v26, s[0:1]
; %bb.678:                              ;   in Loop: Header=BB348_296 Depth=1
	s_or_b64 exec, exec, s[6:7]
	v_bfe_u32 v24, v5, 8, 8
	v_cvt_f32_fp8_sdwa v24, v24 src0_sel:BYTE_0
                                        ; implicit-def: $vgpr32
	s_nop 0
	v_mul_f32_e32 v26, v35, v24
	v_and_b32_e32 v24, 0x7f800000, v26
	v_cmp_ne_u32_e64 s[0:1], s8, v24
	s_and_saveexec_b64 s[6:7], s[0:1]
	s_xor_b64 s[0:1], exec, s[6:7]
; %bb.679:                              ;   in Loop: Header=BB348_296 Depth=1
	v_bfe_u32 v24, v26, 16, 1
	v_add3_u32 v32, v26, v24, s9
                                        ; implicit-def: $vgpr26
; %bb.680:                              ;   in Loop: Header=BB348_296 Depth=1
	s_andn2_saveexec_b64 s[6:7], s[0:1]
; %bb.681:                              ;   in Loop: Header=BB348_296 Depth=1
	v_or_b32_e32 v24, 0x10000, v26
	v_cmp_eq_u32_sdwa s[0:1], v26, v23 src0_sel:WORD_0 src1_sel:DWORD
	s_nop 1
	v_cndmask_b32_e64 v32, v24, v26, s[0:1]
; %bb.682:                              ;   in Loop: Header=BB348_296 Depth=1
	s_or_b64 exec, exec, s[6:7]
	v_bfe_u32 v24, v5, 16, 8
	v_cvt_f32_fp8_sdwa v24, v24 src0_sel:BYTE_0
                                        ; implicit-def: $vgpr36
	s_nop 0
	v_mul_f32_e32 v26, v35, v24
	v_and_b32_e32 v24, 0x7f800000, v26
	v_cmp_ne_u32_e64 s[0:1], s8, v24
	s_and_saveexec_b64 s[6:7], s[0:1]
	s_xor_b64 s[0:1], exec, s[6:7]
; %bb.683:                              ;   in Loop: Header=BB348_296 Depth=1
	v_bfe_u32 v24, v26, 16, 1
	v_add3_u32 v36, v26, v24, s9
                                        ; implicit-def: $vgpr26
; %bb.684:                              ;   in Loop: Header=BB348_296 Depth=1
	s_andn2_saveexec_b64 s[6:7], s[0:1]
; %bb.685:                              ;   in Loop: Header=BB348_296 Depth=1
	v_or_b32_e32 v24, 0x10000, v26
	v_cmp_eq_u32_sdwa s[0:1], v26, v23 src0_sel:WORD_0 src1_sel:DWORD
	s_nop 1
	v_cndmask_b32_e64 v36, v24, v26, s[0:1]
; %bb.686:                              ;   in Loop: Header=BB348_296 Depth=1
	s_or_b64 exec, exec, s[6:7]
	v_lshrrev_b32_e32 v5, 24, v5
	v_cvt_f32_fp8_sdwa v5, v5 src0_sel:BYTE_0
                                        ; implicit-def: $vgpr33
	s_nop 0
	v_mul_f32_e32 v5, v35, v5
	v_and_b32_e32 v24, 0x7f800000, v5
	v_cmp_ne_u32_e64 s[0:1], s8, v24
	s_and_saveexec_b64 s[6:7], s[0:1]
	s_xor_b64 s[0:1], exec, s[6:7]
; %bb.687:                              ;   in Loop: Header=BB348_296 Depth=1
	v_bfe_u32 v24, v5, 16, 1
	v_add3_u32 v33, v5, v24, s9
                                        ; implicit-def: $vgpr5
; %bb.688:                              ;   in Loop: Header=BB348_296 Depth=1
	s_andn2_saveexec_b64 s[6:7], s[0:1]
; %bb.689:                              ;   in Loop: Header=BB348_296 Depth=1
	v_or_b32_e32 v24, 0x10000, v5
	v_cmp_eq_u32_sdwa s[0:1], v5, v23 src0_sel:WORD_0 src1_sel:DWORD
	s_nop 1
	v_cndmask_b32_e64 v33, v24, v5, s[0:1]
; %bb.690:                              ;   in Loop: Header=BB348_296 Depth=1
	s_or_b64 exec, exec, s[6:7]
	v_lshrrev_b32_e32 v34, 16, v32
	v_lshrrev_b32_e32 v28, 16, v28
	;; [unrolled: 1-line block ×8, first 2 shown]
	s_and_saveexec_b64 s[6:7], vcc
	s_cbranch_execz .LBB348_692
; %bb.691:                              ;   in Loop: Header=BB348_296 Depth=1
	v_accvgpr_read_b32 v24, a20
	v_cmp_lt_i32_e64 s[0:1], v24, v29
	v_accvgpr_read_b32 v24, a26
	s_nop 0
	v_cndmask_b32_e64 v19, 0, v19, s[0:1]
	v_cmp_lt_i32_e64 s[0:1], v24, v29
	v_accvgpr_read_b32 v24, a25
	s_nop 0
	v_cndmask_b32_e64 v1, 0, v1, s[0:1]
	;; [unrolled: 4-line block ×6, first 2 shown]
	v_cmp_lt_i32_e64 s[0:1], v24, v29
	s_nop 1
	v_cndmask_b32_e64 v5, 0, v5, s[0:1]
	v_cmp_lt_i32_e64 s[0:1], v22, v29
	s_nop 1
	v_cndmask_b32_e64 v4, 0, v4, s[0:1]
.LBB348_692:                            ;   in Loop: Header=BB348_296 Depth=1
	s_or_b64 exec, exec, s[6:7]
	v_lshlrev_b32_e32 v19, 16, v19
	v_mul_f32_e32 v19, v55, v19
	v_and_b32_e32 v24, 0x7f800000, v19
	v_cmp_ne_u32_e64 s[0:1], s8, v24
                                        ; implicit-def: $vgpr58
	s_and_saveexec_b64 s[6:7], s[0:1]
	s_xor_b64 s[0:1], exec, s[6:7]
; %bb.693:                              ;   in Loop: Header=BB348_296 Depth=1
	v_bfe_u32 v24, v19, 16, 1
	v_add3_u32 v58, v19, v24, s9
                                        ; implicit-def: $vgpr19
; %bb.694:                              ;   in Loop: Header=BB348_296 Depth=1
	s_andn2_saveexec_b64 s[6:7], s[0:1]
; %bb.695:                              ;   in Loop: Header=BB348_296 Depth=1
	v_or_b32_e32 v24, 0x10000, v19
	v_cmp_eq_u32_sdwa s[0:1], v19, v23 src0_sel:WORD_0 src1_sel:DWORD
	s_nop 1
	v_cndmask_b32_e64 v58, v24, v19, s[0:1]
; %bb.696:                              ;   in Loop: Header=BB348_296 Depth=1
	s_or_b64 exec, exec, s[6:7]
	v_lshlrev_b32_e32 v1, 16, v1
	v_mul_f32_e32 v1, v40, v1
	v_and_b32_e32 v19, 0x7f800000, v1
	v_cmp_ne_u32_e64 s[0:1], s8, v19
                                        ; implicit-def: $vgpr59
	s_and_saveexec_b64 s[6:7], s[0:1]
	s_xor_b64 s[0:1], exec, s[6:7]
; %bb.697:                              ;   in Loop: Header=BB348_296 Depth=1
	v_bfe_u32 v19, v1, 16, 1
	v_add3_u32 v59, v1, v19, s9
                                        ; implicit-def: $vgpr1
; %bb.698:                              ;   in Loop: Header=BB348_296 Depth=1
	s_andn2_saveexec_b64 s[6:7], s[0:1]
; %bb.699:                              ;   in Loop: Header=BB348_296 Depth=1
	v_or_b32_e32 v19, 0x10000, v1
	v_cmp_eq_u32_sdwa s[0:1], v1, v23 src0_sel:WORD_0 src1_sel:DWORD
	s_nop 1
	v_cndmask_b32_e64 v59, v19, v1, s[0:1]
; %bb.700:                              ;   in Loop: Header=BB348_296 Depth=1
	s_or_b64 exec, exec, s[6:7]
	v_lshlrev_b32_e32 v0, 16, v0
	v_mul_f32_e32 v0, v41, v0
	v_and_b32_e32 v1, 0x7f800000, v0
	v_cmp_ne_u32_e64 s[0:1], s8, v1
                                        ; implicit-def: $vgpr60
	s_and_saveexec_b64 s[6:7], s[0:1]
	s_xor_b64 s[0:1], exec, s[6:7]
; %bb.701:                              ;   in Loop: Header=BB348_296 Depth=1
	v_bfe_u32 v1, v0, 16, 1
	v_add3_u32 v60, v0, v1, s9
                                        ; implicit-def: $vgpr0
; %bb.702:                              ;   in Loop: Header=BB348_296 Depth=1
	s_andn2_saveexec_b64 s[6:7], s[0:1]
; %bb.703:                              ;   in Loop: Header=BB348_296 Depth=1
	v_or_b32_e32 v1, 0x10000, v0
	v_cmp_eq_u32_sdwa s[0:1], v0, v23 src0_sel:WORD_0 src1_sel:DWORD
	s_nop 1
	v_cndmask_b32_e64 v60, v1, v0, s[0:1]
; %bb.704:                              ;   in Loop: Header=BB348_296 Depth=1
	s_or_b64 exec, exec, s[6:7]
	v_lshlrev_b32_e32 v0, 16, v32
	v_mul_f32_e32 v0, v42, v0
	v_and_b32_e32 v1, 0x7f800000, v0
	v_cmp_ne_u32_e64 s[0:1], s8, v1
                                        ; implicit-def: $vgpr61
	s_and_saveexec_b64 s[6:7], s[0:1]
	s_xor_b64 s[0:1], exec, s[6:7]
; %bb.705:                              ;   in Loop: Header=BB348_296 Depth=1
	v_bfe_u32 v1, v0, 16, 1
	v_add3_u32 v61, v0, v1, s9
                                        ; implicit-def: $vgpr0
; %bb.706:                              ;   in Loop: Header=BB348_296 Depth=1
	s_andn2_saveexec_b64 s[6:7], s[0:1]
; %bb.707:                              ;   in Loop: Header=BB348_296 Depth=1
	v_or_b32_e32 v1, 0x10000, v0
	v_cmp_eq_u32_sdwa s[0:1], v0, v23 src0_sel:WORD_0 src1_sel:DWORD
	s_nop 1
	v_cndmask_b32_e64 v61, v1, v0, s[0:1]
; %bb.708:                              ;   in Loop: Header=BB348_296 Depth=1
	s_or_b64 exec, exec, s[6:7]
	v_lshlrev_b32_e32 v0, 16, v28
	v_mul_f32_e32 v0, v43, v0
	v_and_b32_e32 v1, 0x7f800000, v0
	v_cmp_ne_u32_e64 s[0:1], s8, v1
                                        ; implicit-def: $vgpr62
	s_and_saveexec_b64 s[6:7], s[0:1]
	s_xor_b64 s[0:1], exec, s[6:7]
; %bb.709:                              ;   in Loop: Header=BB348_296 Depth=1
	v_bfe_u32 v1, v0, 16, 1
	v_add3_u32 v62, v0, v1, s9
                                        ; implicit-def: $vgpr0
; %bb.710:                              ;   in Loop: Header=BB348_296 Depth=1
	s_andn2_saveexec_b64 s[6:7], s[0:1]
; %bb.711:                              ;   in Loop: Header=BB348_296 Depth=1
	v_or_b32_e32 v1, 0x10000, v0
	v_cmp_eq_u32_sdwa s[0:1], v0, v23 src0_sel:WORD_0 src1_sel:DWORD
	s_nop 1
	v_cndmask_b32_e64 v62, v1, v0, s[0:1]
; %bb.712:                              ;   in Loop: Header=BB348_296 Depth=1
	s_or_b64 exec, exec, s[6:7]
	v_lshlrev_b32_e32 v0, 16, v34
	v_mul_f32_e32 v0, v44, v0
	v_and_b32_e32 v1, 0x7f800000, v0
	v_cmp_ne_u32_e64 s[0:1], s8, v1
                                        ; implicit-def: $vgpr48
	s_and_saveexec_b64 s[6:7], s[0:1]
	s_xor_b64 s[0:1], exec, s[6:7]
; %bb.713:                              ;   in Loop: Header=BB348_296 Depth=1
	v_bfe_u32 v1, v0, 16, 1
	v_add3_u32 v48, v0, v1, s9
                                        ; implicit-def: $vgpr0
; %bb.714:                              ;   in Loop: Header=BB348_296 Depth=1
	s_andn2_saveexec_b64 s[6:7], s[0:1]
; %bb.715:                              ;   in Loop: Header=BB348_296 Depth=1
	v_or_b32_e32 v1, 0x10000, v0
	v_cmp_eq_u32_sdwa s[0:1], v0, v23 src0_sel:WORD_0 src1_sel:DWORD
	s_nop 1
	v_cndmask_b32_e64 v48, v1, v0, s[0:1]
; %bb.716:                              ;   in Loop: Header=BB348_296 Depth=1
	s_or_b64 exec, exec, s[6:7]
	v_lshlrev_b32_e32 v0, 16, v5
	v_mul_f32_e32 v0, v45, v0
	v_and_b32_e32 v1, 0x7f800000, v0
	v_cmp_ne_u32_e64 s[0:1], s8, v1
                                        ; implicit-def: $vgpr49
	s_and_saveexec_b64 s[6:7], s[0:1]
	s_xor_b64 s[0:1], exec, s[6:7]
; %bb.717:                              ;   in Loop: Header=BB348_296 Depth=1
	v_bfe_u32 v1, v0, 16, 1
	v_add3_u32 v49, v0, v1, s9
                                        ; implicit-def: $vgpr0
; %bb.718:                              ;   in Loop: Header=BB348_296 Depth=1
	s_andn2_saveexec_b64 s[6:7], s[0:1]
; %bb.719:                              ;   in Loop: Header=BB348_296 Depth=1
	v_or_b32_e32 v1, 0x10000, v0
	v_cmp_eq_u32_sdwa s[0:1], v0, v23 src0_sel:WORD_0 src1_sel:DWORD
	s_nop 1
	v_cndmask_b32_e64 v49, v1, v0, s[0:1]
; %bb.720:                              ;   in Loop: Header=BB348_296 Depth=1
	s_or_b64 exec, exec, s[6:7]
	v_lshlrev_b32_e32 v0, 16, v4
	v_mul_f32_e32 v0, v46, v0
	v_and_b32_e32 v1, 0x7f800000, v0
	v_cmp_ne_u32_e64 s[0:1], s8, v1
                                        ; implicit-def: $vgpr50
	s_and_saveexec_b64 s[6:7], s[0:1]
	s_xor_b64 s[0:1], exec, s[6:7]
; %bb.721:                              ;   in Loop: Header=BB348_296 Depth=1
	v_bfe_u32 v1, v0, 16, 1
	v_add3_u32 v50, v0, v1, s9
                                        ; implicit-def: $vgpr0
; %bb.722:                              ;   in Loop: Header=BB348_296 Depth=1
	s_andn2_saveexec_b64 s[6:7], s[0:1]
; %bb.723:                              ;   in Loop: Header=BB348_296 Depth=1
	v_or_b32_e32 v1, 0x10000, v0
	v_cmp_eq_u32_sdwa s[0:1], v0, v23 src0_sel:WORD_0 src1_sel:DWORD
	s_nop 1
	v_cndmask_b32_e64 v50, v1, v0, s[0:1]
; %bb.724:                              ;   in Loop: Header=BB348_296 Depth=1
	s_or_b64 exec, exec, s[6:7]
	flat_load_dwordx2 v[4:5], v[2:3] offset:3072
                                        ; implicit-def: $vgpr19
	s_waitcnt vmcnt(0) lgkmcnt(0)
	v_and_b32_e32 v0, 0xff, v4
	v_cvt_f32_fp8_sdwa v0, v0 src0_sel:BYTE_0
	s_nop 0
	v_mul_f32_e32 v0, v35, v0
	v_and_b32_e32 v1, 0x7f800000, v0
	v_cmp_ne_u32_e64 s[0:1], s8, v1
	s_and_saveexec_b64 s[6:7], s[0:1]
	s_xor_b64 s[0:1], exec, s[6:7]
; %bb.725:                              ;   in Loop: Header=BB348_296 Depth=1
	v_bfe_u32 v1, v0, 16, 1
	v_add3_u32 v19, v0, v1, s9
                                        ; implicit-def: $vgpr0
; %bb.726:                              ;   in Loop: Header=BB348_296 Depth=1
	s_andn2_saveexec_b64 s[6:7], s[0:1]
; %bb.727:                              ;   in Loop: Header=BB348_296 Depth=1
	v_or_b32_e32 v1, 0x10000, v0
	v_cmp_eq_u32_sdwa s[0:1], v0, v23 src0_sel:WORD_0 src1_sel:DWORD
	s_nop 1
	v_cndmask_b32_e64 v19, v1, v0, s[0:1]
; %bb.728:                              ;   in Loop: Header=BB348_296 Depth=1
	s_or_b64 exec, exec, s[6:7]
	v_bfe_u32 v0, v4, 8, 8
	v_cvt_f32_fp8_sdwa v0, v0 src0_sel:BYTE_0
	s_nop 0
	v_mul_f32_e32 v0, v35, v0
	v_and_b32_e32 v1, 0x7f800000, v0
	v_cmp_ne_u32_e64 s[0:1], s8, v1
                                        ; implicit-def: $vgpr1
	s_and_saveexec_b64 s[6:7], s[0:1]
	s_xor_b64 s[0:1], exec, s[6:7]
; %bb.729:                              ;   in Loop: Header=BB348_296 Depth=1
	v_bfe_u32 v1, v0, 16, 1
	v_add3_u32 v1, v0, v1, s9
                                        ; implicit-def: $vgpr0
; %bb.730:                              ;   in Loop: Header=BB348_296 Depth=1
	s_andn2_saveexec_b64 s[6:7], s[0:1]
; %bb.731:                              ;   in Loop: Header=BB348_296 Depth=1
	v_or_b32_e32 v1, 0x10000, v0
	v_cmp_eq_u32_sdwa s[0:1], v0, v23 src0_sel:WORD_0 src1_sel:DWORD
	s_nop 1
	v_cndmask_b32_e64 v1, v1, v0, s[0:1]
; %bb.732:                              ;   in Loop: Header=BB348_296 Depth=1
	s_or_b64 exec, exec, s[6:7]
	v_bfe_u32 v0, v4, 16, 8
	v_cvt_f32_fp8_sdwa v0, v0 src0_sel:BYTE_0
	s_nop 0
	v_mul_f32_e32 v26, v35, v0
	v_and_b32_e32 v0, 0x7f800000, v26
	v_cmp_ne_u32_e64 s[0:1], s8, v0
                                        ; implicit-def: $vgpr0
	s_and_saveexec_b64 s[6:7], s[0:1]
	s_xor_b64 s[0:1], exec, s[6:7]
; %bb.733:                              ;   in Loop: Header=BB348_296 Depth=1
	v_bfe_u32 v0, v26, 16, 1
	v_add3_u32 v0, v26, v0, s9
                                        ; implicit-def: $vgpr26
; %bb.734:                              ;   in Loop: Header=BB348_296 Depth=1
	s_andn2_saveexec_b64 s[6:7], s[0:1]
; %bb.735:                              ;   in Loop: Header=BB348_296 Depth=1
	v_or_b32_e32 v0, 0x10000, v26
	v_cmp_eq_u32_sdwa s[0:1], v26, v23 src0_sel:WORD_0 src1_sel:DWORD
	s_nop 1
	v_cndmask_b32_e64 v0, v0, v26, s[0:1]
; %bb.736:                              ;   in Loop: Header=BB348_296 Depth=1
	s_or_b64 exec, exec, s[6:7]
	v_lshrrev_b32_e32 v4, 24, v4
	v_cvt_f32_fp8_sdwa v4, v4 src0_sel:BYTE_0
	s_nop 0
	v_mul_f32_e32 v26, v35, v4
	v_and_b32_e32 v4, 0x7f800000, v26
	v_cmp_ne_u32_e64 s[0:1], s8, v4
                                        ; implicit-def: $vgpr4
	s_and_saveexec_b64 s[6:7], s[0:1]
	s_xor_b64 s[0:1], exec, s[6:7]
; %bb.737:                              ;   in Loop: Header=BB348_296 Depth=1
	v_bfe_u32 v4, v26, 16, 1
	v_add3_u32 v4, v26, v4, s9
                                        ; implicit-def: $vgpr26
; %bb.738:                              ;   in Loop: Header=BB348_296 Depth=1
	s_andn2_saveexec_b64 s[6:7], s[0:1]
; %bb.739:                              ;   in Loop: Header=BB348_296 Depth=1
	v_or_b32_e32 v4, 0x10000, v26
	v_cmp_eq_u32_sdwa s[0:1], v26, v23 src0_sel:WORD_0 src1_sel:DWORD
	s_nop 1
	v_cndmask_b32_e64 v4, v4, v26, s[0:1]
; %bb.740:                              ;   in Loop: Header=BB348_296 Depth=1
	s_or_b64 exec, exec, s[6:7]
	v_and_b32_e32 v24, 0xff, v5
	v_cvt_f32_fp8_sdwa v24, v24 src0_sel:BYTE_0
                                        ; implicit-def: $vgpr28
	s_nop 0
	v_mul_f32_e32 v26, v35, v24
	v_and_b32_e32 v24, 0x7f800000, v26
	v_cmp_ne_u32_e64 s[0:1], s8, v24
	s_and_saveexec_b64 s[6:7], s[0:1]
	s_xor_b64 s[0:1], exec, s[6:7]
; %bb.741:                              ;   in Loop: Header=BB348_296 Depth=1
	v_bfe_u32 v24, v26, 16, 1
	v_add3_u32 v28, v26, v24, s9
                                        ; implicit-def: $vgpr26
; %bb.742:                              ;   in Loop: Header=BB348_296 Depth=1
	s_andn2_saveexec_b64 s[6:7], s[0:1]
; %bb.743:                              ;   in Loop: Header=BB348_296 Depth=1
	v_or_b32_e32 v24, 0x10000, v26
	v_cmp_eq_u32_sdwa s[0:1], v26, v23 src0_sel:WORD_0 src1_sel:DWORD
	s_nop 1
	v_cndmask_b32_e64 v28, v24, v26, s[0:1]
; %bb.744:                              ;   in Loop: Header=BB348_296 Depth=1
	s_or_b64 exec, exec, s[6:7]
	v_bfe_u32 v24, v5, 8, 8
	v_cvt_f32_fp8_sdwa v24, v24 src0_sel:BYTE_0
                                        ; implicit-def: $vgpr32
	s_nop 0
	v_mul_f32_e32 v26, v35, v24
	v_and_b32_e32 v24, 0x7f800000, v26
	v_cmp_ne_u32_e64 s[0:1], s8, v24
	s_and_saveexec_b64 s[6:7], s[0:1]
	s_xor_b64 s[0:1], exec, s[6:7]
; %bb.745:                              ;   in Loop: Header=BB348_296 Depth=1
	v_bfe_u32 v24, v26, 16, 1
	v_add3_u32 v32, v26, v24, s9
                                        ; implicit-def: $vgpr26
; %bb.746:                              ;   in Loop: Header=BB348_296 Depth=1
	s_andn2_saveexec_b64 s[6:7], s[0:1]
; %bb.747:                              ;   in Loop: Header=BB348_296 Depth=1
	v_or_b32_e32 v24, 0x10000, v26
	v_cmp_eq_u32_sdwa s[0:1], v26, v23 src0_sel:WORD_0 src1_sel:DWORD
	s_nop 1
	v_cndmask_b32_e64 v32, v24, v26, s[0:1]
; %bb.748:                              ;   in Loop: Header=BB348_296 Depth=1
	s_or_b64 exec, exec, s[6:7]
	v_bfe_u32 v24, v5, 16, 8
	v_cvt_f32_fp8_sdwa v24, v24 src0_sel:BYTE_0
                                        ; implicit-def: $vgpr34
	s_nop 0
	v_mul_f32_e32 v26, v35, v24
	v_and_b32_e32 v24, 0x7f800000, v26
	v_cmp_ne_u32_e64 s[0:1], s8, v24
	s_and_saveexec_b64 s[6:7], s[0:1]
	s_xor_b64 s[0:1], exec, s[6:7]
; %bb.749:                              ;   in Loop: Header=BB348_296 Depth=1
	v_bfe_u32 v24, v26, 16, 1
	v_add3_u32 v34, v26, v24, s9
                                        ; implicit-def: $vgpr26
; %bb.750:                              ;   in Loop: Header=BB348_296 Depth=1
	s_andn2_saveexec_b64 s[6:7], s[0:1]
; %bb.751:                              ;   in Loop: Header=BB348_296 Depth=1
	v_or_b32_e32 v24, 0x10000, v26
	v_cmp_eq_u32_sdwa s[0:1], v26, v23 src0_sel:WORD_0 src1_sel:DWORD
	s_nop 1
	v_cndmask_b32_e64 v34, v24, v26, s[0:1]
; %bb.752:                              ;   in Loop: Header=BB348_296 Depth=1
	s_or_b64 exec, exec, s[6:7]
	v_lshrrev_b32_e32 v5, 24, v5
	v_cvt_f32_fp8_sdwa v5, v5 src0_sel:BYTE_0
	s_nop 0
	v_mul_f32_e32 v26, v35, v5
	v_and_b32_e32 v5, 0x7f800000, v26
	v_cmp_ne_u32_e64 s[0:1], s8, v5
                                        ; implicit-def: $vgpr5
	s_and_saveexec_b64 s[6:7], s[0:1]
	s_xor_b64 s[0:1], exec, s[6:7]
; %bb.753:                              ;   in Loop: Header=BB348_296 Depth=1
	v_bfe_u32 v5, v26, 16, 1
	v_add3_u32 v5, v26, v5, s9
                                        ; implicit-def: $vgpr26
; %bb.754:                              ;   in Loop: Header=BB348_296 Depth=1
	s_andn2_saveexec_b64 s[6:7], s[0:1]
; %bb.755:                              ;   in Loop: Header=BB348_296 Depth=1
	v_or_b32_e32 v5, 0x10000, v26
	v_cmp_eq_u32_sdwa s[0:1], v26, v23 src0_sel:WORD_0 src1_sel:DWORD
	s_nop 1
	v_cndmask_b32_e64 v5, v5, v26, s[0:1]
; %bb.756:                              ;   in Loop: Header=BB348_296 Depth=1
	s_or_b64 exec, exec, s[6:7]
	v_lshrrev_b32_e32 v54, 16, v32
	v_lshrrev_b32_e32 v28, 16, v28
	;; [unrolled: 1-line block ×8, first 2 shown]
	s_and_saveexec_b64 s[6:7], vcc
	s_cbranch_execz .LBB348_758
; %bb.757:                              ;   in Loop: Header=BB348_296 Depth=1
	v_accvgpr_read_b32 v5, a20
	v_cmp_lt_i32_e64 s[0:1], v5, v29
	v_accvgpr_read_b32 v5, a26
	s_nop 0
	v_cndmask_b32_e64 v4, 0, v4, s[0:1]
	v_cmp_lt_i32_e64 s[0:1], v5, v29
	v_accvgpr_read_b32 v5, a25
	s_nop 0
	v_cndmask_b32_e64 v1, 0, v1, s[0:1]
	;; [unrolled: 4-line block ×6, first 2 shown]
	v_cmp_lt_i32_e64 s[0:1], v5, v29
	s_nop 1
	v_cndmask_b32_e64 v19, 0, v19, s[0:1]
	v_cmp_lt_i32_e64 s[0:1], v22, v29
	s_nop 1
	v_cndmask_b32_e64 v34, 0, v34, s[0:1]
.LBB348_758:                            ;   in Loop: Header=BB348_296 Depth=1
	s_or_b64 exec, exec, s[6:7]
	v_lshlrev_b32_e32 v4, 16, v4
	v_mul_f32_e32 v5, v55, v4
	v_and_b32_e32 v4, 0x7f800000, v5
	v_cmp_ne_u32_e64 s[0:1], s8, v4
                                        ; implicit-def: $vgpr4
	s_and_saveexec_b64 s[6:7], s[0:1]
	s_xor_b64 s[0:1], exec, s[6:7]
; %bb.759:                              ;   in Loop: Header=BB348_296 Depth=1
	v_bfe_u32 v4, v5, 16, 1
	v_add3_u32 v4, v5, v4, s9
                                        ; implicit-def: $vgpr5
; %bb.760:                              ;   in Loop: Header=BB348_296 Depth=1
	s_andn2_saveexec_b64 s[6:7], s[0:1]
; %bb.761:                              ;   in Loop: Header=BB348_296 Depth=1
	v_or_b32_e32 v4, 0x10000, v5
	v_cmp_eq_u32_sdwa s[0:1], v5, v23 src0_sel:WORD_0 src1_sel:DWORD
	s_nop 1
	v_cndmask_b32_e64 v4, v4, v5, s[0:1]
; %bb.762:                              ;   in Loop: Header=BB348_296 Depth=1
	s_or_b64 exec, exec, s[6:7]
	v_lshlrev_b32_e32 v1, 16, v1
	v_mul_f32_e32 v1, v40, v1
	v_and_b32_e32 v5, 0x7f800000, v1
	v_cmp_ne_u32_e64 s[0:1], s8, v5
                                        ; implicit-def: $vgpr5
	s_and_saveexec_b64 s[6:7], s[0:1]
	s_xor_b64 s[0:1], exec, s[6:7]
; %bb.763:                              ;   in Loop: Header=BB348_296 Depth=1
	v_bfe_u32 v5, v1, 16, 1
	v_add3_u32 v5, v1, v5, s9
                                        ; implicit-def: $vgpr1
; %bb.764:                              ;   in Loop: Header=BB348_296 Depth=1
	s_andn2_saveexec_b64 s[6:7], s[0:1]
; %bb.765:                              ;   in Loop: Header=BB348_296 Depth=1
	v_or_b32_e32 v5, 0x10000, v1
	v_cmp_eq_u32_sdwa s[0:1], v1, v23 src0_sel:WORD_0 src1_sel:DWORD
	s_nop 1
	v_cndmask_b32_e64 v5, v5, v1, s[0:1]
; %bb.766:                              ;   in Loop: Header=BB348_296 Depth=1
	s_or_b64 exec, exec, s[6:7]
	v_lshlrev_b32_e32 v0, 16, v0
	v_mul_f32_e32 v0, v41, v0
	v_and_b32_e32 v1, 0x7f800000, v0
	v_cmp_ne_u32_e64 s[0:1], s8, v1
                                        ; implicit-def: $vgpr51
	s_and_saveexec_b64 s[6:7], s[0:1]
	s_xor_b64 s[0:1], exec, s[6:7]
; %bb.767:                              ;   in Loop: Header=BB348_296 Depth=1
	v_bfe_u32 v1, v0, 16, 1
	v_add3_u32 v51, v0, v1, s9
                                        ; implicit-def: $vgpr0
; %bb.768:                              ;   in Loop: Header=BB348_296 Depth=1
	s_andn2_saveexec_b64 s[6:7], s[0:1]
; %bb.769:                              ;   in Loop: Header=BB348_296 Depth=1
	v_or_b32_e32 v1, 0x10000, v0
	v_cmp_eq_u32_sdwa s[0:1], v0, v23 src0_sel:WORD_0 src1_sel:DWORD
	s_nop 1
	v_cndmask_b32_e64 v51, v1, v0, s[0:1]
; %bb.770:                              ;   in Loop: Header=BB348_296 Depth=1
	s_or_b64 exec, exec, s[6:7]
	v_lshlrev_b32_e32 v0, 16, v32
	v_mul_f32_e32 v0, v42, v0
	v_and_b32_e32 v1, 0x7f800000, v0
	v_cmp_ne_u32_e64 s[0:1], s8, v1
                                        ; implicit-def: $vgpr52
	s_and_saveexec_b64 s[6:7], s[0:1]
	s_xor_b64 s[0:1], exec, s[6:7]
; %bb.771:                              ;   in Loop: Header=BB348_296 Depth=1
	v_bfe_u32 v1, v0, 16, 1
	v_add3_u32 v52, v0, v1, s9
                                        ; implicit-def: $vgpr0
; %bb.772:                              ;   in Loop: Header=BB348_296 Depth=1
	s_andn2_saveexec_b64 s[6:7], s[0:1]
; %bb.773:                              ;   in Loop: Header=BB348_296 Depth=1
	v_or_b32_e32 v1, 0x10000, v0
	v_cmp_eq_u32_sdwa s[0:1], v0, v23 src0_sel:WORD_0 src1_sel:DWORD
	s_nop 1
	v_cndmask_b32_e64 v52, v1, v0, s[0:1]
; %bb.774:                              ;   in Loop: Header=BB348_296 Depth=1
	s_or_b64 exec, exec, s[6:7]
	v_lshlrev_b32_e32 v0, 16, v28
	v_mul_f32_e32 v0, v43, v0
	v_and_b32_e32 v1, 0x7f800000, v0
	v_cmp_ne_u32_e64 s[0:1], s8, v1
                                        ; implicit-def: $vgpr53
	s_and_saveexec_b64 s[6:7], s[0:1]
	s_xor_b64 s[0:1], exec, s[6:7]
; %bb.775:                              ;   in Loop: Header=BB348_296 Depth=1
	v_bfe_u32 v1, v0, 16, 1
	v_add3_u32 v53, v0, v1, s9
                                        ; implicit-def: $vgpr0
; %bb.776:                              ;   in Loop: Header=BB348_296 Depth=1
	s_andn2_saveexec_b64 s[6:7], s[0:1]
; %bb.777:                              ;   in Loop: Header=BB348_296 Depth=1
	v_or_b32_e32 v1, 0x10000, v0
	v_cmp_eq_u32_sdwa s[0:1], v0, v23 src0_sel:WORD_0 src1_sel:DWORD
	s_nop 1
	v_cndmask_b32_e64 v53, v1, v0, s[0:1]
; %bb.778:                              ;   in Loop: Header=BB348_296 Depth=1
	s_or_b64 exec, exec, s[6:7]
	v_lshlrev_b32_e32 v0, 16, v54
	v_mul_f32_e32 v0, v44, v0
	v_and_b32_e32 v1, 0x7f800000, v0
	v_cmp_ne_u32_e64 s[0:1], s8, v1
                                        ; implicit-def: $vgpr54
	s_and_saveexec_b64 s[6:7], s[0:1]
	s_xor_b64 s[0:1], exec, s[6:7]
; %bb.779:                              ;   in Loop: Header=BB348_296 Depth=1
	v_bfe_u32 v1, v0, 16, 1
	v_add3_u32 v54, v0, v1, s9
                                        ; implicit-def: $vgpr0
; %bb.780:                              ;   in Loop: Header=BB348_296 Depth=1
	s_andn2_saveexec_b64 s[6:7], s[0:1]
; %bb.781:                              ;   in Loop: Header=BB348_296 Depth=1
	v_or_b32_e32 v1, 0x10000, v0
	v_cmp_eq_u32_sdwa s[0:1], v0, v23 src0_sel:WORD_0 src1_sel:DWORD
	s_nop 1
	v_cndmask_b32_e64 v54, v1, v0, s[0:1]
; %bb.782:                              ;   in Loop: Header=BB348_296 Depth=1
	s_or_b64 exec, exec, s[6:7]
	v_lshlrev_b32_e32 v0, 16, v19
	v_mul_f32_e32 v0, v45, v0
	v_and_b32_e32 v1, 0x7f800000, v0
	v_cmp_ne_u32_e64 s[0:1], s8, v1
                                        ; implicit-def: $vgpr63
	s_and_saveexec_b64 s[6:7], s[0:1]
	s_xor_b64 s[0:1], exec, s[6:7]
; %bb.783:                              ;   in Loop: Header=BB348_296 Depth=1
	v_bfe_u32 v1, v0, 16, 1
	v_add3_u32 v63, v0, v1, s9
                                        ; implicit-def: $vgpr0
; %bb.784:                              ;   in Loop: Header=BB348_296 Depth=1
	s_andn2_saveexec_b64 s[6:7], s[0:1]
; %bb.785:                              ;   in Loop: Header=BB348_296 Depth=1
	v_or_b32_e32 v1, 0x10000, v0
	v_cmp_eq_u32_sdwa s[0:1], v0, v23 src0_sel:WORD_0 src1_sel:DWORD
	s_nop 1
	v_cndmask_b32_e64 v63, v1, v0, s[0:1]
; %bb.786:                              ;   in Loop: Header=BB348_296 Depth=1
	s_or_b64 exec, exec, s[6:7]
	v_lshlrev_b32_e32 v0, 16, v34
	v_mul_f32_e32 v0, v46, v0
	v_and_b32_e32 v1, 0x7f800000, v0
	v_cmp_ne_u32_e64 s[0:1], s8, v1
                                        ; implicit-def: $vgpr34
	s_and_saveexec_b64 s[6:7], s[0:1]
	s_xor_b64 s[0:1], exec, s[6:7]
; %bb.787:                              ;   in Loop: Header=BB348_296 Depth=1
	v_bfe_u32 v1, v0, 16, 1
	v_add3_u32 v34, v0, v1, s9
                                        ; implicit-def: $vgpr0
; %bb.788:                              ;   in Loop: Header=BB348_296 Depth=1
	s_andn2_saveexec_b64 s[6:7], s[0:1]
; %bb.789:                              ;   in Loop: Header=BB348_296 Depth=1
	v_or_b32_e32 v1, 0x10000, v0
	v_cmp_eq_u32_sdwa s[0:1], v0, v23 src0_sel:WORD_0 src1_sel:DWORD
	s_nop 1
	v_cndmask_b32_e64 v34, v1, v0, s[0:1]
; %bb.790:                              ;   in Loop: Header=BB348_296 Depth=1
	s_or_b64 exec, exec, s[6:7]
	flat_load_dwordx2 v[2:3], v[2:3] offset:3584
                                        ; implicit-def: $vgpr19
	s_waitcnt vmcnt(0) lgkmcnt(0)
	v_and_b32_e32 v0, 0xff, v2
	v_cvt_f32_fp8_sdwa v0, v0 src0_sel:BYTE_0
	s_nop 0
	v_mul_f32_e32 v0, v35, v0
	v_and_b32_e32 v1, 0x7f800000, v0
	v_cmp_ne_u32_e64 s[0:1], s8, v1
	s_and_saveexec_b64 s[6:7], s[0:1]
	s_xor_b64 s[0:1], exec, s[6:7]
; %bb.791:                              ;   in Loop: Header=BB348_296 Depth=1
	v_bfe_u32 v1, v0, 16, 1
	v_add3_u32 v19, v0, v1, s9
                                        ; implicit-def: $vgpr0
; %bb.792:                              ;   in Loop: Header=BB348_296 Depth=1
	s_andn2_saveexec_b64 s[6:7], s[0:1]
; %bb.793:                              ;   in Loop: Header=BB348_296 Depth=1
	v_or_b32_e32 v1, 0x10000, v0
	v_cmp_eq_u32_sdwa s[0:1], v0, v23 src0_sel:WORD_0 src1_sel:DWORD
	s_nop 1
	v_cndmask_b32_e64 v19, v1, v0, s[0:1]
; %bb.794:                              ;   in Loop: Header=BB348_296 Depth=1
	s_or_b64 exec, exec, s[6:7]
	v_bfe_u32 v0, v2, 8, 8
	v_cvt_f32_fp8_sdwa v0, v0 src0_sel:BYTE_0
	s_nop 0
	v_mul_f32_e32 v0, v35, v0
	v_and_b32_e32 v1, 0x7f800000, v0
	v_cmp_ne_u32_e64 s[0:1], s8, v1
                                        ; implicit-def: $vgpr1
	s_and_saveexec_b64 s[6:7], s[0:1]
	s_xor_b64 s[0:1], exec, s[6:7]
; %bb.795:                              ;   in Loop: Header=BB348_296 Depth=1
	v_bfe_u32 v1, v0, 16, 1
	v_add3_u32 v1, v0, v1, s9
                                        ; implicit-def: $vgpr0
; %bb.796:                              ;   in Loop: Header=BB348_296 Depth=1
	s_andn2_saveexec_b64 s[6:7], s[0:1]
; %bb.797:                              ;   in Loop: Header=BB348_296 Depth=1
	v_or_b32_e32 v1, 0x10000, v0
	v_cmp_eq_u32_sdwa s[0:1], v0, v23 src0_sel:WORD_0 src1_sel:DWORD
	s_nop 1
	v_cndmask_b32_e64 v1, v1, v0, s[0:1]
; %bb.798:                              ;   in Loop: Header=BB348_296 Depth=1
	s_or_b64 exec, exec, s[6:7]
	v_bfe_u32 v0, v2, 16, 8
	v_cvt_f32_fp8_sdwa v0, v0 src0_sel:BYTE_0
                                        ; implicit-def: $vgpr28
	s_nop 0
	v_mul_f32_e32 v0, v35, v0
	v_and_b32_e32 v24, 0x7f800000, v0
	v_cmp_ne_u32_e64 s[0:1], s8, v24
	s_and_saveexec_b64 s[6:7], s[0:1]
	s_xor_b64 s[0:1], exec, s[6:7]
; %bb.799:                              ;   in Loop: Header=BB348_296 Depth=1
	v_bfe_u32 v24, v0, 16, 1
	v_add3_u32 v28, v0, v24, s9
                                        ; implicit-def: $vgpr0
; %bb.800:                              ;   in Loop: Header=BB348_296 Depth=1
	s_andn2_saveexec_b64 s[6:7], s[0:1]
; %bb.801:                              ;   in Loop: Header=BB348_296 Depth=1
	v_or_b32_e32 v24, 0x10000, v0
	v_cmp_eq_u32_sdwa s[0:1], v0, v23 src0_sel:WORD_0 src1_sel:DWORD
	s_nop 1
	v_cndmask_b32_e64 v28, v24, v0, s[0:1]
; %bb.802:                              ;   in Loop: Header=BB348_296 Depth=1
	s_or_b64 exec, exec, s[6:7]
	v_lshrrev_b32_e32 v0, 24, v2
	v_cvt_f32_fp8_sdwa v0, v0 src0_sel:BYTE_0
	s_nop 0
	v_mul_f32_e32 v0, v35, v0
	v_and_b32_e32 v2, 0x7f800000, v0
	v_cmp_ne_u32_e64 s[0:1], s8, v2
                                        ; implicit-def: $vgpr2
	s_and_saveexec_b64 s[6:7], s[0:1]
	s_xor_b64 s[0:1], exec, s[6:7]
; %bb.803:                              ;   in Loop: Header=BB348_296 Depth=1
	v_bfe_u32 v2, v0, 16, 1
	v_add3_u32 v2, v0, v2, s9
                                        ; implicit-def: $vgpr0
; %bb.804:                              ;   in Loop: Header=BB348_296 Depth=1
	s_andn2_saveexec_b64 s[6:7], s[0:1]
; %bb.805:                              ;   in Loop: Header=BB348_296 Depth=1
	v_or_b32_e32 v2, 0x10000, v0
	v_cmp_eq_u32_sdwa s[0:1], v0, v23 src0_sel:WORD_0 src1_sel:DWORD
	s_nop 1
	v_cndmask_b32_e64 v2, v2, v0, s[0:1]
; %bb.806:                              ;   in Loop: Header=BB348_296 Depth=1
	s_or_b64 exec, exec, s[6:7]
	v_and_b32_e32 v0, 0xff, v3
	v_cvt_f32_fp8_sdwa v0, v0 src0_sel:BYTE_0
                                        ; implicit-def: $vgpr32
	s_nop 0
	v_mul_f32_e32 v0, v35, v0
	v_and_b32_e32 v24, 0x7f800000, v0
	v_cmp_ne_u32_e64 s[0:1], s8, v24
	s_and_saveexec_b64 s[6:7], s[0:1]
	s_xor_b64 s[0:1], exec, s[6:7]
; %bb.807:                              ;   in Loop: Header=BB348_296 Depth=1
	v_bfe_u32 v24, v0, 16, 1
	v_add3_u32 v32, v0, v24, s9
                                        ; implicit-def: $vgpr0
; %bb.808:                              ;   in Loop: Header=BB348_296 Depth=1
	s_andn2_saveexec_b64 s[6:7], s[0:1]
; %bb.809:                              ;   in Loop: Header=BB348_296 Depth=1
	v_or_b32_e32 v24, 0x10000, v0
	v_cmp_eq_u32_sdwa s[0:1], v0, v23 src0_sel:WORD_0 src1_sel:DWORD
	s_nop 1
	v_cndmask_b32_e64 v32, v24, v0, s[0:1]
; %bb.810:                              ;   in Loop: Header=BB348_296 Depth=1
	s_or_b64 exec, exec, s[6:7]
	v_bfe_u32 v0, v3, 8, 8
	v_cvt_f32_fp8_sdwa v0, v0 src0_sel:BYTE_0
	s_nop 0
	v_mul_f32_e32 v26, v35, v0
	v_and_b32_e32 v0, 0x7f800000, v26
	v_cmp_ne_u32_e64 s[0:1], s8, v0
                                        ; implicit-def: $vgpr0
	s_and_saveexec_b64 s[6:7], s[0:1]
	s_xor_b64 s[0:1], exec, s[6:7]
; %bb.811:                              ;   in Loop: Header=BB348_296 Depth=1
	v_bfe_u32 v0, v26, 16, 1
	v_add3_u32 v0, v26, v0, s9
                                        ; implicit-def: $vgpr26
; %bb.812:                              ;   in Loop: Header=BB348_296 Depth=1
	s_andn2_saveexec_b64 s[6:7], s[0:1]
; %bb.813:                              ;   in Loop: Header=BB348_296 Depth=1
	v_or_b32_e32 v0, 0x10000, v26
	v_cmp_eq_u32_sdwa s[0:1], v26, v23 src0_sel:WORD_0 src1_sel:DWORD
	s_nop 1
	v_cndmask_b32_e64 v0, v0, v26, s[0:1]
; %bb.814:                              ;   in Loop: Header=BB348_296 Depth=1
	s_or_b64 exec, exec, s[6:7]
	v_bfe_u32 v24, v3, 16, 8
	v_cvt_f32_fp8_sdwa v24, v24 src0_sel:BYTE_0
                                        ; implicit-def: $vgpr33
	s_nop 0
	v_mul_f32_e32 v26, v35, v24
	v_and_b32_e32 v24, 0x7f800000, v26
	v_cmp_ne_u32_e64 s[0:1], s8, v24
	s_and_saveexec_b64 s[6:7], s[0:1]
	s_xor_b64 s[0:1], exec, s[6:7]
; %bb.815:                              ;   in Loop: Header=BB348_296 Depth=1
	v_bfe_u32 v24, v26, 16, 1
	v_add3_u32 v33, v26, v24, s9
                                        ; implicit-def: $vgpr26
; %bb.816:                              ;   in Loop: Header=BB348_296 Depth=1
	s_andn2_saveexec_b64 s[6:7], s[0:1]
; %bb.817:                              ;   in Loop: Header=BB348_296 Depth=1
	v_or_b32_e32 v24, 0x10000, v26
	v_cmp_eq_u32_sdwa s[0:1], v26, v23 src0_sel:WORD_0 src1_sel:DWORD
	s_nop 1
	v_cndmask_b32_e64 v33, v24, v26, s[0:1]
; %bb.818:                              ;   in Loop: Header=BB348_296 Depth=1
	s_or_b64 exec, exec, s[6:7]
	v_lshrrev_b32_e32 v3, 24, v3
	v_cvt_f32_fp8_sdwa v3, v3 src0_sel:BYTE_0
                                        ; implicit-def: $vgpr26
	s_nop 0
	v_mul_f32_e32 v3, v35, v3
	v_and_b32_e32 v24, 0x7f800000, v3
	v_cmp_ne_u32_e64 s[0:1], s8, v24
	s_and_saveexec_b64 s[6:7], s[0:1]
	s_xor_b64 s[0:1], exec, s[6:7]
; %bb.819:                              ;   in Loop: Header=BB348_296 Depth=1
	v_bfe_u32 v24, v3, 16, 1
	v_add3_u32 v26, v3, v24, s9
                                        ; implicit-def: $vgpr3
; %bb.820:                              ;   in Loop: Header=BB348_296 Depth=1
	s_andn2_saveexec_b64 s[6:7], s[0:1]
; %bb.821:                              ;   in Loop: Header=BB348_296 Depth=1
	v_or_b32_e32 v24, 0x10000, v3
	v_cmp_eq_u32_sdwa s[0:1], v3, v23 src0_sel:WORD_0 src1_sel:DWORD
	s_nop 1
	v_cndmask_b32_e64 v26, v24, v3, s[0:1]
; %bb.822:                              ;   in Loop: Header=BB348_296 Depth=1
	s_or_b64 exec, exec, s[6:7]
	v_lshrrev_b32_e32 v0, 16, v0
	v_lshrrev_b32_e32 v32, 16, v32
	;; [unrolled: 1-line block ×8, first 2 shown]
	s_and_saveexec_b64 s[0:1], vcc
	s_cbranch_execz .LBB348_824
; %bb.823:                              ;   in Loop: Header=BB348_296 Depth=1
	v_accvgpr_read_b32 v24, a20
	v_cmp_lt_i32_e32 vcc, v24, v29
	v_accvgpr_read_b32 v24, a26
	s_nop 0
	v_cndmask_b32_e32 v2, 0, v2, vcc
	v_cmp_lt_i32_e32 vcc, v24, v29
	v_accvgpr_read_b32 v24, a25
	s_nop 0
	v_cndmask_b32_e32 v3, 0, v3, vcc
	;; [unrolled: 4-line block ×6, first 2 shown]
	v_cmp_lt_i32_e32 vcc, v24, v29
	s_nop 1
	v_cndmask_b32_e32 v1, 0, v1, vcc
	v_cmp_lt_i32_e32 vcc, v22, v29
	s_nop 1
	v_cndmask_b32_e32 v19, 0, v19, vcc
.LBB348_824:                            ;   in Loop: Header=BB348_296 Depth=1
	s_or_b64 exec, exec, s[0:1]
	v_lshlrev_b32_e32 v2, 16, v2
	v_mul_f32_e32 v26, v55, v2
	v_and_b32_e32 v2, 0x7f800000, v26
	v_cmp_ne_u32_e32 vcc, s8, v2
                                        ; implicit-def: $vgpr2
	s_and_saveexec_b64 s[0:1], vcc
	s_xor_b64 s[0:1], exec, s[0:1]
; %bb.825:                              ;   in Loop: Header=BB348_296 Depth=1
	v_bfe_u32 v2, v26, 16, 1
	v_add3_u32 v2, v26, v2, s9
                                        ; implicit-def: $vgpr26
; %bb.826:                              ;   in Loop: Header=BB348_296 Depth=1
	s_andn2_saveexec_b64 s[0:1], s[0:1]
; %bb.827:                              ;   in Loop: Header=BB348_296 Depth=1
	v_or_b32_e32 v2, 0x10000, v26
	v_cmp_eq_u32_sdwa vcc, v26, v23 src0_sel:WORD_0 src1_sel:DWORD
	s_nop 1
	v_cndmask_b32_e32 v2, v2, v26, vcc
; %bb.828:                              ;   in Loop: Header=BB348_296 Depth=1
	s_or_b64 exec, exec, s[0:1]
	v_lshlrev_b32_e32 v3, 16, v3
	v_mul_f32_e32 v26, v40, v3
	v_and_b32_e32 v3, 0x7f800000, v26
	v_cmp_ne_u32_e32 vcc, s8, v3
                                        ; implicit-def: $vgpr3
	s_and_saveexec_b64 s[0:1], vcc
	s_xor_b64 s[0:1], exec, s[0:1]
; %bb.829:                              ;   in Loop: Header=BB348_296 Depth=1
	v_bfe_u32 v3, v26, 16, 1
	v_add3_u32 v3, v26, v3, s9
                                        ; implicit-def: $vgpr26
; %bb.830:                              ;   in Loop: Header=BB348_296 Depth=1
	s_andn2_saveexec_b64 s[0:1], s[0:1]
; %bb.831:                              ;   in Loop: Header=BB348_296 Depth=1
	v_or_b32_e32 v3, 0x10000, v26
	v_cmp_eq_u32_sdwa vcc, v26, v23 src0_sel:WORD_0 src1_sel:DWORD
	s_nop 1
	v_cndmask_b32_e32 v3, v3, v26, vcc
; %bb.832:                              ;   in Loop: Header=BB348_296 Depth=1
	s_or_b64 exec, exec, s[0:1]
	v_lshlrev_b32_e32 v24, 16, v28
	v_mul_f32_e32 v26, v41, v24
	v_and_b32_e32 v24, 0x7f800000, v26
	v_cmp_ne_u32_e32 vcc, s8, v24
                                        ; implicit-def: $vgpr55
	s_and_saveexec_b64 s[0:1], vcc
	s_xor_b64 s[0:1], exec, s[0:1]
; %bb.833:                              ;   in Loop: Header=BB348_296 Depth=1
	v_bfe_u32 v24, v26, 16, 1
	v_add3_u32 v55, v26, v24, s9
                                        ; implicit-def: $vgpr26
; %bb.834:                              ;   in Loop: Header=BB348_296 Depth=1
	s_andn2_saveexec_b64 s[0:1], s[0:1]
; %bb.835:                              ;   in Loop: Header=BB348_296 Depth=1
	v_or_b32_e32 v24, 0x10000, v26
	v_cmp_eq_u32_sdwa vcc, v26, v23 src0_sel:WORD_0 src1_sel:DWORD
	s_nop 1
	v_cndmask_b32_e32 v55, v24, v26, vcc
; %bb.836:                              ;   in Loop: Header=BB348_296 Depth=1
	s_or_b64 exec, exec, s[0:1]
	v_lshlrev_b32_e32 v24, 16, v36
	v_mul_f32_e32 v26, v42, v24
	v_and_b32_e32 v24, 0x7f800000, v26
	v_cmp_ne_u32_e32 vcc, s8, v24
                                        ; implicit-def: $vgpr40
	s_and_saveexec_b64 s[0:1], vcc
	s_xor_b64 s[0:1], exec, s[0:1]
; %bb.837:                              ;   in Loop: Header=BB348_296 Depth=1
	v_bfe_u32 v24, v26, 16, 1
	v_add3_u32 v40, v26, v24, s9
                                        ; implicit-def: $vgpr26
; %bb.838:                              ;   in Loop: Header=BB348_296 Depth=1
	s_andn2_saveexec_b64 s[0:1], s[0:1]
; %bb.839:                              ;   in Loop: Header=BB348_296 Depth=1
	v_or_b32_e32 v24, 0x10000, v26
	v_cmp_eq_u32_sdwa vcc, v26, v23 src0_sel:WORD_0 src1_sel:DWORD
	s_nop 1
	v_cndmask_b32_e32 v40, v24, v26, vcc
; %bb.840:                              ;   in Loop: Header=BB348_296 Depth=1
	s_or_b64 exec, exec, s[0:1]
	v_lshlrev_b32_e32 v24, 16, v32
	v_mul_f32_e32 v26, v43, v24
	v_and_b32_e32 v24, 0x7f800000, v26
	v_cmp_ne_u32_e32 vcc, s8, v24
                                        ; implicit-def: $vgpr41
	s_and_saveexec_b64 s[0:1], vcc
	s_xor_b64 s[0:1], exec, s[0:1]
; %bb.841:                              ;   in Loop: Header=BB348_296 Depth=1
	v_bfe_u32 v24, v26, 16, 1
	v_add3_u32 v41, v26, v24, s9
                                        ; implicit-def: $vgpr26
; %bb.842:                              ;   in Loop: Header=BB348_296 Depth=1
	s_andn2_saveexec_b64 s[0:1], s[0:1]
; %bb.843:                              ;   in Loop: Header=BB348_296 Depth=1
	v_or_b32_e32 v24, 0x10000, v26
	v_cmp_eq_u32_sdwa vcc, v26, v23 src0_sel:WORD_0 src1_sel:DWORD
	s_nop 1
	v_cndmask_b32_e32 v41, v24, v26, vcc
; %bb.844:                              ;   in Loop: Header=BB348_296 Depth=1
	s_or_b64 exec, exec, s[0:1]
	v_lshlrev_b32_e32 v0, 16, v0
	v_mul_f32_e32 v0, v44, v0
	v_and_b32_e32 v24, 0x7f800000, v0
	v_cmp_ne_u32_e32 vcc, s8, v24
                                        ; implicit-def: $vgpr42
	s_and_saveexec_b64 s[0:1], vcc
	s_xor_b64 s[0:1], exec, s[0:1]
; %bb.845:                              ;   in Loop: Header=BB348_296 Depth=1
	v_bfe_u32 v24, v0, 16, 1
	v_add3_u32 v42, v0, v24, s9
                                        ; implicit-def: $vgpr0
; %bb.846:                              ;   in Loop: Header=BB348_296 Depth=1
	s_andn2_saveexec_b64 s[0:1], s[0:1]
; %bb.847:                              ;   in Loop: Header=BB348_296 Depth=1
	v_or_b32_e32 v24, 0x10000, v0
	v_cmp_eq_u32_sdwa vcc, v0, v23 src0_sel:WORD_0 src1_sel:DWORD
	s_nop 1
	v_cndmask_b32_e32 v42, v24, v0, vcc
; %bb.848:                              ;   in Loop: Header=BB348_296 Depth=1
	s_or_b64 exec, exec, s[0:1]
	v_lshlrev_b32_e32 v0, 16, v1
	v_mul_f32_e32 v1, v45, v0
	v_and_b32_e32 v0, 0x7f800000, v1
	v_cmp_ne_u32_e32 vcc, s8, v0
                                        ; implicit-def: $vgpr0
	s_and_saveexec_b64 s[0:1], vcc
	s_xor_b64 s[0:1], exec, s[0:1]
; %bb.849:                              ;   in Loop: Header=BB348_296 Depth=1
	v_bfe_u32 v0, v1, 16, 1
	v_add3_u32 v0, v1, v0, s9
                                        ; implicit-def: $vgpr1
; %bb.850:                              ;   in Loop: Header=BB348_296 Depth=1
	s_andn2_saveexec_b64 s[0:1], s[0:1]
; %bb.851:                              ;   in Loop: Header=BB348_296 Depth=1
	v_or_b32_e32 v0, 0x10000, v1
	v_cmp_eq_u32_sdwa vcc, v1, v23 src0_sel:WORD_0 src1_sel:DWORD
	s_nop 1
	v_cndmask_b32_e32 v0, v0, v1, vcc
; %bb.852:                              ;   in Loop: Header=BB348_296 Depth=1
	s_or_b64 exec, exec, s[0:1]
	v_lshlrev_b32_e32 v1, 16, v19
	v_mul_f32_e32 v19, v46, v1
	v_and_b32_e32 v1, 0x7f800000, v19
	v_cmp_ne_u32_e32 vcc, s8, v1
                                        ; implicit-def: $vgpr1
	s_and_saveexec_b64 s[0:1], vcc
	s_xor_b64 s[0:1], exec, s[0:1]
; %bb.853:                              ;   in Loop: Header=BB348_296 Depth=1
	v_bfe_u32 v1, v19, 16, 1
	v_add3_u32 v1, v19, v1, s9
                                        ; implicit-def: $vgpr19
; %bb.854:                              ;   in Loop: Header=BB348_296 Depth=1
	s_andn2_saveexec_b64 s[0:1], s[0:1]
	s_cbranch_execz .LBB348_295
; %bb.855:                              ;   in Loop: Header=BB348_296 Depth=1
	v_or_b32_e32 v1, 0x10000, v19
	v_cmp_eq_u32_sdwa vcc, v19, v23 src0_sel:WORD_0 src1_sel:DWORD
	s_nop 1
	v_cndmask_b32_e32 v1, v1, v19, vcc
	s_branch .LBB348_295
.LBB348_856:
	s_or_b64 exec, exec, s[4:5]
	v_accvgpr_read_b32 v18, a6
	v_accvgpr_read_b32 v19, a7
	v_accvgpr_read_b32 v25, a8
	v_accvgpr_read_b32 v24, a9
.LBB348_857:
	s_or_b64 exec, exec, s[2:3]
	ds_bpermute_b32 v0, v19, v20
	ds_bpermute_b32 v1, v19, v21
	;; [unrolled: 1-line block ×8, first 2 shown]
	s_waitcnt lgkmcnt(6)
	v_pk_add_f32 v[0:1], v[20:21], v[0:1]
	s_waitcnt lgkmcnt(4)
	v_pk_add_f32 v[2:3], v[16:17], v[2:3]
	;; [unrolled: 2-line block ×3, first 2 shown]
	ds_bpermute_b32 v4, v25, v0
	s_waitcnt lgkmcnt(1)
	v_pk_add_f32 v[12:13], v[12:13], v[8:9]
	ds_bpermute_b32 v5, v25, v1
	ds_bpermute_b32 v10, v25, v2
	;; [unrolled: 1-line block ×7, first 2 shown]
	s_waitcnt lgkmcnt(6)
	v_pk_add_f32 v[8:9], v[0:1], v[4:5]
	s_waitcnt lgkmcnt(4)
	v_pk_add_f32 v[4:5], v[2:3], v[10:11]
	;; [unrolled: 2-line block ×4, first 2 shown]
	s_barrier
	scratch_load_dword v12, off, s32 offset:276 ; 4-byte Folded Reload
	s_waitcnt vmcnt(0)
	v_and_b32_e32 v0, 0x3c3, v12
	v_cmp_eq_u32_e32 vcc, 64, v0
	s_and_saveexec_b64 s[0:1], vcc
	s_cbranch_execz .LBB348_859
; %bb.858:
	s_ashr_i32 s17, s16, 31
	s_lshl_b64 s[2:3], s[16:17], 2
	s_getpc_b64 s[4:5]
	s_add_u32 s4, s4, llvm.amdgcn.dynlds.offset.table@rel32@lo+4
	s_addc_u32 s5, s5, llvm.amdgcn.dynlds.offset.table@rel32@hi+12
	s_add_u32 s2, s2, s4
	s_addc_u32 s3, s3, s5
	s_load_dword s2, s[2:3], 0x0
	s_waitcnt lgkmcnt(0)
	v_add_u32_e32 v0, s2, v18
	ds_write2_b32 v0, v8, v9 offset1:16
	ds_write2_b32 v0, v4, v5 offset0:32 offset1:48
	ds_write2_b32 v0, v2, v3 offset0:64 offset1:80
	;; [unrolled: 1-line block ×3, first 2 shown]
.LBB348_859:
	s_or_b64 exec, exec, s[0:1]
	v_cmp_gt_u32_e32 vcc, 64, v12
	s_waitcnt lgkmcnt(0)
	s_barrier
	s_and_saveexec_b64 s[2:3], vcc
	s_cbranch_execz .LBB348_870
; %bb.860:
	v_cmp_eq_u32_e64 s[0:1], 0, v24
	v_lshrrev_b32_e32 v0, 2, v12
	s_and_saveexec_b64 s[4:5], s[0:1]
	s_cbranch_execnz .LBB348_906
; %bb.861:
	s_or_b64 exec, exec, s[4:5]
	s_and_saveexec_b64 s[4:5], s[0:1]
	s_cbranch_execnz .LBB348_907
.LBB348_862:
	s_or_b64 exec, exec, s[4:5]
	s_and_saveexec_b64 s[4:5], s[0:1]
	s_cbranch_execnz .LBB348_908
.LBB348_863:
	s_or_b64 exec, exec, s[4:5]
	s_and_saveexec_b64 s[4:5], s[0:1]
	s_cbranch_execnz .LBB348_909
.LBB348_864:
	s_or_b64 exec, exec, s[4:5]
	s_and_saveexec_b64 s[4:5], s[0:1]
	s_cbranch_execnz .LBB348_910
.LBB348_865:
	s_or_b64 exec, exec, s[4:5]
	s_and_saveexec_b64 s[4:5], s[0:1]
	s_cbranch_execnz .LBB348_911
.LBB348_866:
	s_or_b64 exec, exec, s[4:5]
	s_and_saveexec_b64 s[4:5], s[0:1]
	s_cbranch_execnz .LBB348_912
.LBB348_867:
	s_or_b64 exec, exec, s[4:5]
	s_and_saveexec_b64 s[4:5], s[0:1]
	s_cbranch_execz .LBB348_869
.LBB348_868:
	s_ashr_i32 s17, s16, 31
	s_lshl_b64 s[0:1], s[16:17], 2
	s_getpc_b64 s[6:7]
	s_add_u32 s6, s6, llvm.amdgcn.dynlds.offset.table@rel32@lo+4
	s_addc_u32 s7, s7, llvm.amdgcn.dynlds.offset.table@rel32@hi+12
	s_add_u32 s0, s0, s6
	s_addc_u32 s1, s1, s7
	s_load_dword s0, s[0:1], 0x0
	s_waitcnt lgkmcnt(0)
	v_lshl_add_u32 v0, v0, 2, s0
	ds_read_b32 v0, v0 offset:448
	s_waitcnt lgkmcnt(0)
	v_add_f32_e32 v7, v7, v0
.LBB348_869:
	s_or_b64 exec, exec, s[4:5]
.LBB348_870:
	s_or_b64 exec, exec, s[2:3]
	s_barrier
	s_and_saveexec_b64 s[0:1], vcc
	s_cbranch_execz .LBB348_905
; %bb.871:
	v_cmp_eq_u32_e32 vcc, 0, v24
	s_and_b64 exec, exec, vcc
	s_cbranch_execz .LBB348_905
; %bb.872:
	s_mov_b32 s2, 0x7f800000
	v_and_b32_e32 v0, 0x7f800000, v8
	v_cmp_ne_u32_e32 vcc, s2, v0
                                        ; implicit-def: $vgpr0
	s_and_saveexec_b64 s[2:3], vcc
	s_xor_b64 s[2:3], exec, s[2:3]
; %bb.873:
	v_bfe_u32 v0, v8, 16, 1
	s_movk_i32 s4, 0x7fff
	v_add3_u32 v0, v8, v0, s4
; %bb.874:
	s_andn2_saveexec_b64 s[2:3], s[2:3]
; %bb.875:
	v_mov_b32_e32 v0, 0
	v_or_b32_e32 v1, 0x10000, v8
	v_cmp_eq_u32_sdwa vcc, v8, v0 src0_sel:WORD_0 src1_sel:DWORD
	s_nop 1
	v_cndmask_b32_e32 v0, v1, v8, vcc
; %bb.876:
	s_or_b64 exec, exec, s[2:3]
	scratch_load_dwordx2 v[10:11], off, s32 offset:280 ; 8-byte Folded Reload
	v_cmp_ne_u16_e64 s[2:3], s15, 0
	s_cmp_lg_u64 s[2:3], 0
	s_addc_u32 s4, s13, 0
	s_mul_i32 s2, s10, s4
	s_mul_i32 s2, s2, s11
	s_lshl_b32 s2, s2, 7
	s_mul_i32 s4, s12, s4
	s_lshl_b32 s6, s14, 7
	s_ashr_i32 s3, s2, 31
	s_ashr_i32 s5, s4, 31
	;; [unrolled: 1-line block ×3, first 2 shown]
	s_lshl_b64 s[2:3], s[2:3], 1
	s_lshl_b64 s[4:5], s[4:5], 1
	;; [unrolled: 1-line block ×3, first 2 shown]
	s_add_u32 s4, s6, s4
	s_addc_u32 s5, s7, s5
	s_add_u32 s2, s4, s2
	s_addc_u32 s3, s5, s3
	v_lshrrev_b32_e32 v1, 1, v12
	v_and_b32_e32 v12, 0x1fe, v1
	v_mov_b32_e32 v13, 0
	s_waitcnt vmcnt(0)
	v_lshl_add_u64 v[10:11], s[2:3], 0, v[10:11]
	v_lshl_add_u64 v[10:11], v[10:11], 0, v[12:13]
	flat_store_short_d16_hi v[10:11], v0
	s_mov_b32 s2, 0x7f800000
	v_and_b32_e32 v0, 0x7f800000, v9
	v_cmp_ne_u32_e32 vcc, s2, v0
                                        ; implicit-def: $vgpr0
	s_and_saveexec_b64 s[2:3], vcc
	s_xor_b64 s[2:3], exec, s[2:3]
; %bb.877:
	v_bfe_u32 v0, v9, 16, 1
	s_movk_i32 s4, 0x7fff
	v_add3_u32 v0, v9, v0, s4
; %bb.878:
	s_andn2_saveexec_b64 s[2:3], s[2:3]
; %bb.879:
	v_mov_b32_e32 v0, 0
	v_or_b32_e32 v1, 0x10000, v9
	v_cmp_eq_u32_sdwa vcc, v9, v0 src0_sel:WORD_0 src1_sel:DWORD
	s_nop 1
	v_cndmask_b32_e32 v0, v1, v9, vcc
; %bb.880:
	s_or_b64 exec, exec, s[2:3]
	flat_store_short_d16_hi v[10:11], v0 offset:32
	s_mov_b32 s2, 0x7f800000
	v_and_b32_e32 v0, 0x7f800000, v4
	v_cmp_ne_u32_e32 vcc, s2, v0
                                        ; implicit-def: $vgpr0
	s_and_saveexec_b64 s[2:3], vcc
	s_xor_b64 s[2:3], exec, s[2:3]
; %bb.881:
	v_bfe_u32 v0, v4, 16, 1
	s_movk_i32 s4, 0x7fff
	v_add3_u32 v0, v4, v0, s4
; %bb.882:
	s_andn2_saveexec_b64 s[2:3], s[2:3]
; %bb.883:
	v_mov_b32_e32 v0, 0
	v_or_b32_e32 v1, 0x10000, v4
	v_cmp_eq_u32_sdwa vcc, v4, v0 src0_sel:WORD_0 src1_sel:DWORD
	s_nop 1
	v_cndmask_b32_e32 v0, v1, v4, vcc
; %bb.884:
	s_or_b64 exec, exec, s[2:3]
	flat_store_short_d16_hi v[10:11], v0 offset:64
	;; [unrolled: 21-line block ×6, first 2 shown]
	s_mov_b32 s2, 0x7f800000
	v_and_b32_e32 v0, 0x7f800000, v7
	v_cmp_ne_u32_e32 vcc, s2, v0
                                        ; implicit-def: $vgpr8
	s_and_saveexec_b64 s[2:3], vcc
	s_xor_b64 s[2:3], exec, s[2:3]
; %bb.901:
	v_bfe_u32 v0, v7, 16, 1
	s_movk_i32 s4, 0x7fff
	v_add3_u32 v8, v7, v0, s4
                                        ; implicit-def: $vgpr0_vgpr1_vgpr2_vgpr3_vgpr4_vgpr5_vgpr6_vgpr7
; %bb.902:
	s_andn2_saveexec_b64 s[2:3], s[2:3]
; %bb.903:
	v_mov_b32_e32 v0, 0
	v_or_b32_e32 v1, 0x10000, v7
	v_cmp_eq_u32_sdwa vcc, v7, v0 src0_sel:WORD_0 src1_sel:DWORD
	s_nop 1
	v_cndmask_b32_e32 v8, v1, v7, vcc
; %bb.904:
	s_or_b64 exec, exec, s[2:3]
	flat_store_short_d16_hi v[10:11], v8 offset:224
.LBB348_905:
	s_or_b64 exec, exec, s[0:1]
	scratch_load_dword a63, off, s32        ; 4-byte Folded Reload
	scratch_load_dword a62, off, s32 offset:4 ; 4-byte Folded Reload
	scratch_load_dword a61, off, s32 offset:8 ; 4-byte Folded Reload
	;; [unrolled: 1-line block ×47, first 2 shown]
	s_waitcnt vmcnt(0) lgkmcnt(0)
	s_setpc_b64 s[30:31]
.LBB348_906:
	s_ashr_i32 s17, s16, 31
	s_lshl_b64 s[6:7], s[16:17], 2
	s_getpc_b64 s[8:9]
	s_add_u32 s8, s8, llvm.amdgcn.dynlds.offset.table@rel32@lo+4
	s_addc_u32 s9, s9, llvm.amdgcn.dynlds.offset.table@rel32@hi+12
	s_add_u32 s6, s6, s8
	s_addc_u32 s7, s7, s9
	s_load_dword s6, s[6:7], 0x0
	s_waitcnt lgkmcnt(0)
	v_lshl_add_u32 v1, v0, 2, s6
	ds_read_b32 v1, v1
	s_waitcnt lgkmcnt(0)
	v_add_f32_e32 v8, v8, v1
	s_or_b64 exec, exec, s[4:5]
	s_and_saveexec_b64 s[4:5], s[0:1]
	s_cbranch_execz .LBB348_862
.LBB348_907:
	s_ashr_i32 s17, s16, 31
	s_lshl_b64 s[6:7], s[16:17], 2
	s_getpc_b64 s[8:9]
	s_add_u32 s8, s8, llvm.amdgcn.dynlds.offset.table@rel32@lo+4
	s_addc_u32 s9, s9, llvm.amdgcn.dynlds.offset.table@rel32@hi+12
	s_add_u32 s6, s6, s8
	s_addc_u32 s7, s7, s9
	s_load_dword s6, s[6:7], 0x0
	s_waitcnt lgkmcnt(0)
	v_lshl_add_u32 v1, v0, 2, s6
	ds_read_b32 v1, v1 offset:64
	s_waitcnt lgkmcnt(0)
	v_add_f32_e32 v9, v9, v1
	s_or_b64 exec, exec, s[4:5]
	s_and_saveexec_b64 s[4:5], s[0:1]
	s_cbranch_execz .LBB348_863
.LBB348_908:
	s_ashr_i32 s17, s16, 31
	s_lshl_b64 s[6:7], s[16:17], 2
	s_getpc_b64 s[8:9]
	s_add_u32 s8, s8, llvm.amdgcn.dynlds.offset.table@rel32@lo+4
	s_addc_u32 s9, s9, llvm.amdgcn.dynlds.offset.table@rel32@hi+12
	s_add_u32 s6, s6, s8
	s_addc_u32 s7, s7, s9
	s_load_dword s6, s[6:7], 0x0
	s_waitcnt lgkmcnt(0)
	v_lshl_add_u32 v1, v0, 2, s6
	ds_read_b32 v1, v1 offset:128
	s_waitcnt lgkmcnt(0)
	v_add_f32_e32 v4, v4, v1
	s_or_b64 exec, exec, s[4:5]
	s_and_saveexec_b64 s[4:5], s[0:1]
	s_cbranch_execz .LBB348_864
.LBB348_909:
	s_ashr_i32 s17, s16, 31
	s_lshl_b64 s[6:7], s[16:17], 2
	s_getpc_b64 s[8:9]
	s_add_u32 s8, s8, llvm.amdgcn.dynlds.offset.table@rel32@lo+4
	s_addc_u32 s9, s9, llvm.amdgcn.dynlds.offset.table@rel32@hi+12
	s_add_u32 s6, s6, s8
	s_addc_u32 s7, s7, s9
	s_load_dword s6, s[6:7], 0x0
	s_waitcnt lgkmcnt(0)
	v_lshl_add_u32 v1, v0, 2, s6
	ds_read_b32 v1, v1 offset:192
	s_waitcnt lgkmcnt(0)
	v_add_f32_e32 v5, v5, v1
	s_or_b64 exec, exec, s[4:5]
	s_and_saveexec_b64 s[4:5], s[0:1]
	s_cbranch_execz .LBB348_865
.LBB348_910:
	s_ashr_i32 s17, s16, 31
	s_lshl_b64 s[6:7], s[16:17], 2
	s_getpc_b64 s[8:9]
	s_add_u32 s8, s8, llvm.amdgcn.dynlds.offset.table@rel32@lo+4
	s_addc_u32 s9, s9, llvm.amdgcn.dynlds.offset.table@rel32@hi+12
	s_add_u32 s6, s6, s8
	s_addc_u32 s7, s7, s9
	s_load_dword s6, s[6:7], 0x0
	s_waitcnt lgkmcnt(0)
	v_lshl_add_u32 v1, v0, 2, s6
	ds_read_b32 v1, v1 offset:256
	s_waitcnt lgkmcnt(0)
	v_add_f32_e32 v2, v2, v1
	s_or_b64 exec, exec, s[4:5]
	s_and_saveexec_b64 s[4:5], s[0:1]
	s_cbranch_execz .LBB348_866
.LBB348_911:
	s_ashr_i32 s17, s16, 31
	s_lshl_b64 s[6:7], s[16:17], 2
	s_getpc_b64 s[8:9]
	s_add_u32 s8, s8, llvm.amdgcn.dynlds.offset.table@rel32@lo+4
	s_addc_u32 s9, s9, llvm.amdgcn.dynlds.offset.table@rel32@hi+12
	s_add_u32 s6, s6, s8
	s_addc_u32 s7, s7, s9
	s_load_dword s6, s[6:7], 0x0
	s_waitcnt lgkmcnt(0)
	v_lshl_add_u32 v1, v0, 2, s6
	ds_read_b32 v1, v1 offset:320
	s_waitcnt lgkmcnt(0)
	v_add_f32_e32 v3, v3, v1
	s_or_b64 exec, exec, s[4:5]
	s_and_saveexec_b64 s[4:5], s[0:1]
	s_cbranch_execz .LBB348_867
.LBB348_912:
	s_ashr_i32 s17, s16, 31
	s_lshl_b64 s[6:7], s[16:17], 2
	s_getpc_b64 s[8:9]
	s_add_u32 s8, s8, llvm.amdgcn.dynlds.offset.table@rel32@lo+4
	s_addc_u32 s9, s9, llvm.amdgcn.dynlds.offset.table@rel32@hi+12
	s_add_u32 s6, s6, s8
	s_addc_u32 s7, s7, s9
	s_load_dword s6, s[6:7], 0x0
	s_waitcnt lgkmcnt(0)
	v_lshl_add_u32 v1, v0, 2, s6
	ds_read_b32 v1, v1 offset:384
	s_waitcnt lgkmcnt(0)
	v_add_f32_e32 v6, v6, v1
	s_or_b64 exec, exec, s[4:5]
	s_and_saveexec_b64 s[4:5], s[0:1]
	s_cbranch_execnz .LBB348_868
	s_branch .LBB348_869
.Lfunc_end348:
	.size	_ZN4vllm22paged_attention_kernelI14__hip_bfloat16hLi128ELi32ELi128ELNS_18Fp8KVCacheDataTypeE1ELb0ELi0EEEvPfS3_PT_PKS4_PKT0_SA_ifPKiSC_iPKfiiiSE_SE_iiiii, .Lfunc_end348-_ZN4vllm22paged_attention_kernelI14__hip_bfloat16hLi128ELi32ELi128ELNS_18Fp8KVCacheDataTypeE1ELb0ELi0EEEvPfS3_PT_PKS4_PKT0_SA_ifPKiSC_iPKfiiiSE_SE_iiiii
                                        ; -- End function
	.section	.AMDGPU.csdata,"",@progbits
; Function info:
; codeLenInByte = 31224
; NumSgprs: 39
; NumVgprs: 64
; NumAgprs: 64
; TotalNumVgprs: 128
; ScratchSize: 352
; MemoryBound: 0
	.section	.text._ZN4vllm25paged_attention_v1_kernelI14__hip_bfloat16hLi128ELi32ELi128ELNS_18Fp8KVCacheDataTypeE1ELb0EEEvPT_PKS3_PKT0_S9_ifPKiSB_iPKfiiiSD_SD_iiiii,"axG",@progbits,_ZN4vllm25paged_attention_v1_kernelI14__hip_bfloat16hLi128ELi32ELi128ELNS_18Fp8KVCacheDataTypeE1ELb0EEEvPT_PKS3_PKT0_S9_ifPKiSB_iPKfiiiSD_SD_iiiii,comdat
	.protected	_ZN4vllm25paged_attention_v1_kernelI14__hip_bfloat16hLi128ELi32ELi128ELNS_18Fp8KVCacheDataTypeE1ELb0EEEvPT_PKS3_PKT0_S9_ifPKiSB_iPKfiiiSD_SD_iiiii ; -- Begin function _ZN4vllm25paged_attention_v1_kernelI14__hip_bfloat16hLi128ELi32ELi128ELNS_18Fp8KVCacheDataTypeE1ELb0EEEvPT_PKS3_PKT0_S9_ifPKiSB_iPKfiiiSD_SD_iiiii
	.globl	_ZN4vllm25paged_attention_v1_kernelI14__hip_bfloat16hLi128ELi32ELi128ELNS_18Fp8KVCacheDataTypeE1ELb0EEEvPT_PKS3_PKT0_S9_ifPKiSB_iPKfiiiSD_SD_iiiii
	.p2align	8
	.type	_ZN4vllm25paged_attention_v1_kernelI14__hip_bfloat16hLi128ELi32ELi128ELNS_18Fp8KVCacheDataTypeE1ELb0EEEvPT_PKS3_PKT0_S9_ifPKiSB_iPKfiiiSD_SD_iiiii,@function
_ZN4vllm25paged_attention_v1_kernelI14__hip_bfloat16hLi128ELi32ELi128ELNS_18Fp8KVCacheDataTypeE1ELb0EEEvPT_PKS3_PKT0_S9_ifPKiSB_iPKfiiiSD_SD_iiiii: ; @_ZN4vllm25paged_attention_v1_kernelI14__hip_bfloat16hLi128ELi32ELi128ELNS_18Fp8KVCacheDataTypeE1ELb0EEEvPT_PKS3_PKT0_S9_ifPKiSB_iPKfiiiSD_SD_iiiii
; %bb.0:
	s_load_dwordx8 s[16:23], s[0:1], 0x0
	s_load_dwordx4 s[36:39], s[0:1], 0x20
	s_load_dwordx2 s[6:7], s[0:1], 0x30
	s_load_dword s5, s[0:1], 0x38
	s_load_dwordx2 s[10:11], s[0:1], 0x40
	s_load_dwordx8 s[24:31], s[0:1], 0x48
	s_add_u32 s8, s0, 0x80
	s_addc_u32 s9, s1, 0
	s_mov_b32 s12, s2
	s_mov_b32 s13, s3
	;; [unrolled: 1-line block ×4, first 2 shown]
	v_mov_b32_e32 v31, v0
	s_waitcnt lgkmcnt(0)
	v_mov_b32_e32 v0, s16
	v_mov_b32_e32 v1, s17
	;; [unrolled: 1-line block ×24, first 2 shown]
	s_mov_b32 s32, 0
	s_getpc_b64 s[0:1]
	s_add_u32 s0, s0, _ZN4vllm22paged_attention_kernelI14__hip_bfloat16hLi128ELi32ELi128ELNS_18Fp8KVCacheDataTypeE1ELb0ELi0EEEvPfS3_PT_PKS4_PKT0_SA_ifPKiSC_iPKfiiiSE_SE_iiiii@rel32@lo+4
	s_addc_u32 s1, s1, _ZN4vllm22paged_attention_kernelI14__hip_bfloat16hLi128ELi32ELi128ELNS_18Fp8KVCacheDataTypeE1ELb0ELi0EEEvPfS3_PT_PKS4_PKT0_SA_ifPKiSC_iPKfiiiSE_SE_iiiii@rel32@hi+12
	s_swappc_b64 s[30:31], s[0:1]
	s_endpgm
	.section	.rodata,"a",@progbits
	.p2align	6, 0x0
	.amdhsa_kernel _ZN4vllm25paged_attention_v1_kernelI14__hip_bfloat16hLi128ELi32ELi128ELNS_18Fp8KVCacheDataTypeE1ELb0EEEvPT_PKS3_PKT0_S9_ifPKiSB_iPKfiiiSD_SD_iiiii
		.amdhsa_group_segment_fixed_size 272
		.amdhsa_private_segment_fixed_size 352
		.amdhsa_kernarg_size 384
		.amdhsa_user_sgpr_count 2
		.amdhsa_user_sgpr_dispatch_ptr 0
		.amdhsa_user_sgpr_queue_ptr 0
		.amdhsa_user_sgpr_kernarg_segment_ptr 1
		.amdhsa_user_sgpr_dispatch_id 0
		.amdhsa_user_sgpr_kernarg_preload_length 0
		.amdhsa_user_sgpr_kernarg_preload_offset 0
		.amdhsa_user_sgpr_private_segment_size 0
		.amdhsa_uses_dynamic_stack 0
		.amdhsa_enable_private_segment 1
		.amdhsa_system_sgpr_workgroup_id_x 1
		.amdhsa_system_sgpr_workgroup_id_y 1
		.amdhsa_system_sgpr_workgroup_id_z 1
		.amdhsa_system_sgpr_workgroup_info 0
		.amdhsa_system_vgpr_workitem_id 0
		.amdhsa_next_free_vgpr 128
		.amdhsa_next_free_sgpr 40
		.amdhsa_accum_offset 64
		.amdhsa_reserve_vcc 1
		.amdhsa_float_round_mode_32 0
		.amdhsa_float_round_mode_16_64 0
		.amdhsa_float_denorm_mode_32 3
		.amdhsa_float_denorm_mode_16_64 3
		.amdhsa_dx10_clamp 1
		.amdhsa_ieee_mode 1
		.amdhsa_fp16_overflow 0
		.amdhsa_tg_split 0
		.amdhsa_exception_fp_ieee_invalid_op 0
		.amdhsa_exception_fp_denorm_src 0
		.amdhsa_exception_fp_ieee_div_zero 0
		.amdhsa_exception_fp_ieee_overflow 0
		.amdhsa_exception_fp_ieee_underflow 0
		.amdhsa_exception_fp_ieee_inexact 0
		.amdhsa_exception_int_div_zero 0
	.end_amdhsa_kernel
	.section	.text._ZN4vllm25paged_attention_v1_kernelI14__hip_bfloat16hLi128ELi32ELi128ELNS_18Fp8KVCacheDataTypeE1ELb0EEEvPT_PKS3_PKT0_S9_ifPKiSB_iPKfiiiSD_SD_iiiii,"axG",@progbits,_ZN4vllm25paged_attention_v1_kernelI14__hip_bfloat16hLi128ELi32ELi128ELNS_18Fp8KVCacheDataTypeE1ELb0EEEvPT_PKS3_PKT0_S9_ifPKiSB_iPKfiiiSD_SD_iiiii,comdat
.Lfunc_end349:
	.size	_ZN4vllm25paged_attention_v1_kernelI14__hip_bfloat16hLi128ELi32ELi128ELNS_18Fp8KVCacheDataTypeE1ELb0EEEvPT_PKS3_PKT0_S9_ifPKiSB_iPKfiiiSD_SD_iiiii, .Lfunc_end349-_ZN4vllm25paged_attention_v1_kernelI14__hip_bfloat16hLi128ELi32ELi128ELNS_18Fp8KVCacheDataTypeE1ELb0EEEvPT_PKS3_PKT0_S9_ifPKiSB_iPKfiiiSD_SD_iiiii
                                        ; -- End function
	.section	.AMDGPU.csdata,"",@progbits
; Kernel info:
; codeLenInByte = 212
; NumSgprs: 46
; NumVgprs: 64
; NumAgprs: 64
; TotalNumVgprs: 128
; ScratchSize: 352
; MemoryBound: 0
; FloatMode: 240
; IeeeMode: 1
; LDSByteSize: 272 bytes/workgroup (compile time only)
; SGPRBlocks: 5
; VGPRBlocks: 15
; NumSGPRsForWavesPerEU: 46
; NumVGPRsForWavesPerEU: 128
; AccumOffset: 64
; Occupancy: 4
; WaveLimiterHint : 1
; COMPUTE_PGM_RSRC2:SCRATCH_EN: 1
; COMPUTE_PGM_RSRC2:USER_SGPR: 2
; COMPUTE_PGM_RSRC2:TRAP_HANDLER: 0
; COMPUTE_PGM_RSRC2:TGID_X_EN: 1
; COMPUTE_PGM_RSRC2:TGID_Y_EN: 1
; COMPUTE_PGM_RSRC2:TGID_Z_EN: 1
; COMPUTE_PGM_RSRC2:TIDIG_COMP_CNT: 0
; COMPUTE_PGM_RSRC3_GFX90A:ACCUM_OFFSET: 15
; COMPUTE_PGM_RSRC3_GFX90A:TG_SPLIT: 0
	.text
	.p2align	2                               ; -- Begin function _ZN4vllm22paged_attention_kernelI14__hip_bfloat16hLi192ELi32ELi128ELNS_18Fp8KVCacheDataTypeE1ELb0ELi0EEEvPfS3_PT_PKS4_PKT0_SA_ifPKiSC_iPKfiiiSE_SE_iiiii
	.type	_ZN4vllm22paged_attention_kernelI14__hip_bfloat16hLi192ELi32ELi128ELNS_18Fp8KVCacheDataTypeE1ELb0ELi0EEEvPfS3_PT_PKS4_PKT0_SA_ifPKiSC_iPKfiiiSE_SE_iiiii,@function
_ZN4vllm22paged_attention_kernelI14__hip_bfloat16hLi192ELi32ELi128ELNS_18Fp8KVCacheDataTypeE1ELb0ELi0EEEvPfS3_PT_PKS4_PKT0_SA_ifPKiSC_iPKfiiiSE_SE_iiiii: ; @_ZN4vllm22paged_attention_kernelI14__hip_bfloat16hLi192ELi32ELi128ELNS_18Fp8KVCacheDataTypeE1ELb0ELi0EEEvPfS3_PT_PKS4_PKT0_SA_ifPKiSC_iPKfiiiSE_SE_iiiii
; %bb.0:
	s_waitcnt vmcnt(0) expcnt(0) lgkmcnt(0)
	s_or_saveexec_b64 s[0:1], -1
	scratch_store_dword off, v63, s32 offset:632 ; 4-byte Folded Spill
	s_mov_b64 exec, s[0:1]
	scratch_store_dword off, v40, s32 offset:184 ; 4-byte Folded Spill
	scratch_store_dword off, v41, s32 offset:180 ; 4-byte Folded Spill
	;; [unrolled: 1-line block ×46, first 2 shown]
	scratch_store_dword off, a63, s32       ; 4-byte Folded Spill
	v_writelane_b32 v63, s30, 0
	s_nop 1
	v_writelane_b32 v63, s31, 1
	s_mov_b32 s10, s13
	s_ashr_i32 s11, s13, 31
	scratch_store_dwordx2 off, v[0:1], s32 offset:576 ; 8-byte Folded Spill
	v_lshl_add_u64 v[0:1], s[10:11], 2, v[12:13]
	flat_load_dword v39, v[0:1]
	v_sub_u32_e32 v0, 0, v8
	v_max_i32_e32 v0, v8, v0
	v_cvt_f32_u32_e32 v1, v0
	scratch_store_dwordx2 off, v[18:19], s32 offset:192 ; 8-byte Folded Spill
	scratch_store_dword off, v9, s32 offset:556 ; 4-byte Folded Spill
	s_load_dword s0, s[8:9], 0x10
	s_load_dword s2, s[8:9], 0x0
	v_rcp_iflag_f32_e32 v1, v1
	v_mov_b32_e32 v35, v7
	v_sub_u32_e32 v7, 0, v0
	s_waitcnt lgkmcnt(0)
	s_lshr_b32 s0, s0, 16
	v_mul_f32_e32 v1, 0x4f7ffffe, v1
	v_cvt_u32_f32_e32 v1, v1
	s_cmp_lg_u32 s0, 0
	s_cselect_b64 s[0:1], -1, 0
	s_cmp_lg_u64 s[0:1], 0
	v_mul_lo_u32 v7, v7, v1
	s_addc_u32 s11, s2, 0
	v_mul_hi_u32 v7, v1, v7
	s_abs_i32 s0, s11
	v_add_u32_e32 v1, v1, v7
	v_mul_hi_u32 v1, s0, v1
	v_mul_lo_u32 v7, v1, v0
	v_sub_u32_e32 v7, s0, v7
	v_mov_b32_e32 v34, v6
	v_xor_b32_e32 v6, s11, v8
	v_add_u32_e32 v8, 1, v1
	v_cmp_ge_u32_e32 vcc, v7, v0
	v_ashrrev_i32_e32 v6, 31, v6
	v_mov_b32_e32 v25, v16
	v_cndmask_b32_e32 v1, v1, v8, vcc
	v_sub_u32_e32 v8, v7, v0
	v_cndmask_b32_e32 v7, v7, v8, vcc
	v_add_u32_e32 v8, 1, v1
	v_cmp_ge_u32_e32 vcc, v7, v0
	v_mov_b32_e32 v24, v15
	v_accvgpr_write_b32 a18, v20
	v_cndmask_b32_e32 v0, v1, v8, vcc
	v_xor_b32_e32 v0, v0, v6
	v_sub_u32_e32 v0, v0, v6
	v_sub_u32_e32 v1, 0, v0
	v_max_i32_e32 v1, v0, v1
	v_cvt_f32_u32_e32 v6, v1
	v_sub_u32_e32 v7, 0, v1
	s_abs_i32 s2, s12
	v_accvgpr_write_b32 a19, v21
	v_rcp_iflag_f32_e32 v6, v6
	v_mov_b32_e32 v33, v11
	v_mov_b32_e32 v32, v10
	s_mov_b32 s16, s15
	v_mul_f32_e32 v6, 0x4f7ffffe, v6
	v_cvt_u32_f32_e32 v6, v6
	v_cmp_ne_u64_e32 vcc, 0, v[24:25]
	v_mul_lo_u32 v7, v7, v6
	v_mul_hi_u32 v7, v6, v7
	v_add_u32_e32 v6, v6, v7
	v_mad_u64_u32 v[12:13], s[0:1], s2, v6, 0
	v_mov_b32_e32 v6, 0
	scratch_store_dword off, v6, s32 offset:552 ; 4-byte Folded Spill
	s_and_saveexec_b64 s[0:1], vcc
	s_cbranch_execz .LBB350_2
; %bb.1:
	s_ashr_i32 s13, s12, 31
	v_lshl_add_u64 v[6:7], s[12:13], 2, v[24:25]
	flat_load_dword v6, v[6:7]
	s_waitcnt vmcnt(0) lgkmcnt(0)
	scratch_store_dword off, v6, s32 offset:552 ; 4-byte Folded Spill
.LBB350_2:
	s_or_b64 exec, exec, s[0:1]
	v_and_b32_e32 v24, 0x3ff, v31
	s_ashr_i32 s3, s12, 31
	v_ashrrev_i32_e32 v6, 31, v0
	v_and_b32_e32 v0, 1, v24
	s_movk_i32 s4, 0xc0
	s_mulk_i32 s12, 0xc0
	v_cmp_gt_u32_e32 vcc, 48, v24
	v_lshlrev_b32_e32 v36, 3, v24
	s_and_saveexec_b64 s[0:1], vcc
	s_cbranch_execz .LBB350_4
; %bb.3:
	v_mul_lo_u32 v8, s10, v17
	v_ashrrev_i32_e32 v9, 31, v8
	v_lshl_add_u64 v[2:3], v[8:9], 1, v[2:3]
	s_ashr_i32 s13, s12, 31
	v_lshl_add_u64 v[2:3], s[12:13], 1, v[2:3]
	v_mov_b32_e32 v37, 0
	v_lshl_add_u64 v[2:3], v[2:3], 0, v[36:37]
	flat_load_dwordx2 v[2:3], v[2:3]
	v_lshlrev_b32_e32 v7, 2, v24
	v_and_b32_e32 v7, 0xff8, v7
	v_mad_u32_u24 v7, v0, s4, v7
	s_waitcnt vmcnt(0) lgkmcnt(0)
	ds_write_b64 v7, v[2:3]
.LBB350_4:
	s_or_b64 exec, exec, s[0:1]
	s_waitcnt vmcnt(0)
	v_add_u32_e32 v2, 31, v39
	v_ashrrev_i32_e32 v3, 31, v2
	v_lshrrev_b32_e32 v3, 27, v3
	v_add_u32_e32 v2, v2, v3
	v_mul_lo_u32 v3, v13, v1
	v_sub_u32_e32 v3, s2, v3
	v_ashrrev_i32_e32 v8, 5, v2
	v_xor_b32_e32 v2, s3, v6
	v_add_u32_e32 v6, 1, v13
	v_cmp_ge_u32_e32 vcc, v3, v1
	v_sub_u32_e32 v7, v3, v1
	v_lshrrev_b32_e32 v9, 6, v24
	v_cndmask_b32_e32 v6, v13, v6, vcc
	v_cndmask_b32_e32 v3, v3, v7, vcc
	v_add_u32_e32 v7, 1, v6
	v_cmp_ge_u32_e32 vcc, v3, v1
	v_mul_lo_u32 v48, s10, v14
	v_ashrrev_i32_e32 v49, 31, v48
	v_cndmask_b32_e32 v1, v6, v7, vcc
	v_xor_b32_e32 v1, v1, v2
	v_sub_u32_e32 v2, v1, v2
	v_cmp_lt_i32_e64 s[0:1], v9, v8
	v_accvgpr_write_b32 a5, v9
	v_cmp_ge_i32_e32 vcc, v9, v8
	v_mbcnt_lo_u32_b32 v1, -1, 0
	s_waitcnt lgkmcnt(0)
	s_barrier
	scratch_store_dword off, v8, s32 offset:188 ; 4-byte Folded Spill
                                        ; implicit-def: $sgpr4
                                        ; implicit-def: $vgpr8
                                        ; implicit-def: $vgpr9
	s_and_saveexec_b64 s[2:3], vcc
	s_xor_b64 s[2:3], exec, s[2:3]
; %bb.5:
	v_mbcnt_hi_u32_b32 v8, -1, v1
	v_and_b32_e32 v0, 64, v8
	v_add_u32_e32 v9, 64, v0
                                        ; implicit-def: $vgpr0
	s_mov_b32 s4, 0xff7fffff
                                        ; kill: killed $vgpr0
                                        ; implicit-def: $vgpr0
                                        ; kill: killed $vgpr0
                                        ; implicit-def: $agpr18
                                        ; implicit-def: $vgpr4
                                        ; implicit-def: $vgpr0
                                        ; implicit-def: $vgpr1
; %bb.6:
	s_or_saveexec_b64 s[6:7], s[2:3]
	s_load_dword s15, s[8:9], 0x14
	s_load_dword s13, s[8:9], 0x8
	v_mul_lo_u32 v2, v2, v19
	v_ashrrev_i32_e32 v3, 31, v2
	v_mov_b32_e32 v6, s4
	scratch_store_dwordx2 off, v[2:3], s32 offset:568 ; 8-byte Folded Spill
	v_lshrrev_b32_e32 v2, 4, v24
	scratch_store_dword off, v2, s32 offset:564 ; 4-byte Folded Spill
	scratch_store_dword off, v24, s32 offset:560 ; 4-byte Folded Spill
	s_xor_b64 exec, exec, s[6:7]
	s_cbranch_execz .LBB350_396
; %bb.7:
	scratch_store_dwordx2 off, v[36:37], s32 offset:600 ; 8-byte Folded Spill
	scratch_store_dwordx2 off, v[34:35], s32 offset:608 ; 8-byte Folded Spill
	;; [unrolled: 1-line block ×3, first 2 shown]
	v_mul_u32_u24_e32 v2, 0xc0, v0
	ds_read_b128 v[6:9], v2
	ds_read_b128 v[10:13], v2 offset:16
	ds_read_b128 v[14:17], v2 offset:32
	;; [unrolled: 1-line block ×3, first 2 shown]
	v_mbcnt_hi_u32_b32 v1, -1, v1
	s_waitcnt lgkmcnt(0)
	v_lshlrev_b32_e32 v3, 16, v6
	scratch_store_dword off, v3, s32 offset:204 ; 4-byte Folded Spill
	v_and_b32_e32 v3, 0xffff0000, v6
	scratch_store_dword off, v3, s32 offset:208 ; 4-byte Folded Spill
	v_lshlrev_b32_e32 v3, 16, v7
	scratch_store_dword off, v3, s32 offset:212 ; 4-byte Folded Spill
	v_and_b32_e32 v3, 0xffff0000, v7
	scratch_store_dword off, v3, s32 offset:216 ; 4-byte Folded Spill
	;; [unrolled: 4-line block ×13, first 2 shown]
	v_lshlrev_b32_e32 v3, 16, v19
	scratch_store_dword off, v3, s32 offset:328 ; 4-byte Folded Spill
	v_and_b32_e32 v3, 0xffff0000, v19
	ds_read_b128 v[6:9], v2 offset:64
	ds_read_b128 v[10:13], v2 offset:80
	scratch_store_dword off, v3, s32 offset:332 ; 4-byte Folded Spill
	v_lshlrev_b32_e32 v3, 16, v20
	scratch_store_dword off, v3, s32 offset:336 ; 4-byte Folded Spill
	v_and_b32_e32 v3, 0xffff0000, v20
	scratch_store_dword off, v3, s32 offset:340 ; 4-byte Folded Spill
	v_lshlrev_b32_e32 v3, 16, v21
	scratch_store_dword off, v3, s32 offset:344 ; 4-byte Folded Spill
	v_and_b32_e32 v3, 0xffff0000, v21
	scratch_store_dword off, v3, s32 offset:348 ; 4-byte Folded Spill
	s_waitcnt lgkmcnt(1)
	v_lshlrev_b32_e32 v3, 16, v6
	scratch_store_dword off, v3, s32 offset:352 ; 4-byte Folded Spill
	v_and_b32_e32 v3, 0xffff0000, v6
	scratch_store_dword off, v3, s32 offset:356 ; 4-byte Folded Spill
	v_lshlrev_b32_e32 v3, 16, v7
	scratch_store_dword off, v3, s32 offset:360 ; 4-byte Folded Spill
	v_and_b32_e32 v3, 0xffff0000, v7
	scratch_store_dword off, v3, s32 offset:364 ; 4-byte Folded Spill
	v_lshlrev_b32_e32 v3, 16, v8
	scratch_store_dword off, v3, s32 offset:368 ; 4-byte Folded Spill
	v_and_b32_e32 v3, 0xffff0000, v8
	scratch_store_dword off, v3, s32 offset:372 ; 4-byte Folded Spill
	v_lshlrev_b32_e32 v3, 16, v9
	scratch_store_dword off, v3, s32 offset:376 ; 4-byte Folded Spill
	v_and_b32_e32 v3, 0xffff0000, v9
	scratch_store_dword off, v3, s32 offset:380 ; 4-byte Folded Spill
	s_waitcnt lgkmcnt(0)
	v_lshlrev_b32_e32 v3, 16, v10
	scratch_store_dword off, v3, s32 offset:384 ; 4-byte Folded Spill
	v_and_b32_e32 v3, 0xffff0000, v10
	scratch_store_dword off, v3, s32 offset:388 ; 4-byte Folded Spill
	v_lshlrev_b32_e32 v3, 16, v11
	scratch_store_dword off, v3, s32 offset:392 ; 4-byte Folded Spill
	v_and_b32_e32 v3, 0xffff0000, v11
	scratch_store_dword off, v3, s32 offset:396 ; 4-byte Folded Spill
	;; [unrolled: 4-line block ×4, first 2 shown]
	ds_read_b128 v[6:9], v2 offset:96
	ds_read_b128 v[10:13], v2 offset:112
	v_cmp_eq_u32_e64 s[2:3], 0, v0
	s_ashr_i32 s17, s16, 31
	s_lshl_b64 s[8:9], s[16:17], 2
	s_waitcnt lgkmcnt(1)
	v_lshlrev_b32_e32 v3, 16, v6
	scratch_store_dword off, v3, s32 offset:416 ; 4-byte Folded Spill
	v_and_b32_e32 v3, 0xffff0000, v6
	scratch_store_dword off, v3, s32 offset:420 ; 4-byte Folded Spill
	v_lshlrev_b32_e32 v3, 16, v7
	scratch_store_dword off, v3, s32 offset:424 ; 4-byte Folded Spill
	v_and_b32_e32 v3, 0xffff0000, v7
	scratch_store_dword off, v3, s32 offset:428 ; 4-byte Folded Spill
	;; [unrolled: 4-line block ×4, first 2 shown]
	s_waitcnt lgkmcnt(0)
	v_lshlrev_b32_e32 v3, 16, v10
	scratch_store_dword off, v3, s32 offset:448 ; 4-byte Folded Spill
	v_and_b32_e32 v3, 0xffff0000, v10
	scratch_store_dword off, v3, s32 offset:452 ; 4-byte Folded Spill
	v_lshlrev_b32_e32 v3, 16, v11
	scratch_store_dword off, v3, s32 offset:456 ; 4-byte Folded Spill
	v_and_b32_e32 v3, 0xffff0000, v11
	scratch_store_dword off, v3, s32 offset:460 ; 4-byte Folded Spill
	;; [unrolled: 4-line block ×4, first 2 shown]
	ds_read_b128 v[6:9], v2 offset:128
	ds_read_b128 v[10:13], v2 offset:144
	s_getpc_b64 s[18:19]
	s_add_u32 s18, s18, llvm.amdgcn.dynlds.offset.table@rel32@lo+4
	s_addc_u32 s19, s19, llvm.amdgcn.dynlds.offset.table@rel32@hi+12
	s_add_u32 s8, s8, s18
	s_addc_u32 s9, s9, s19
	s_waitcnt lgkmcnt(1)
	v_lshlrev_b32_e32 v3, 16, v6
	scratch_store_dword off, v3, s32 offset:480 ; 4-byte Folded Spill
	v_and_b32_e32 v3, 0xffff0000, v6
	scratch_store_dword off, v3, s32 offset:484 ; 4-byte Folded Spill
	v_lshlrev_b32_e32 v3, 16, v7
	scratch_store_dword off, v3, s32 offset:488 ; 4-byte Folded Spill
	v_and_b32_e32 v3, 0xffff0000, v7
	scratch_store_dword off, v3, s32 offset:492 ; 4-byte Folded Spill
	;; [unrolled: 4-line block ×4, first 2 shown]
	s_waitcnt lgkmcnt(0)
	v_lshlrev_b32_e32 v3, 16, v10
	scratch_store_dword off, v3, s32 offset:512 ; 4-byte Folded Spill
	v_and_b32_e32 v3, 0xffff0000, v10
	scratch_store_dword off, v3, s32 offset:516 ; 4-byte Folded Spill
	v_lshlrev_b32_e32 v3, 16, v11
	scratch_store_dword off, v3, s32 offset:520 ; 4-byte Folded Spill
	v_and_b32_e32 v3, 0xffff0000, v11
	scratch_store_dword off, v3, s32 offset:524 ; 4-byte Folded Spill
	v_lshlrev_b32_e32 v3, 16, v12
	scratch_store_dword off, v3, s32 offset:528 ; 4-byte Folded Spill
	v_and_b32_e32 v3, 0xffff0000, v12
	scratch_store_dword off, v3, s32 offset:532 ; 4-byte Folded Spill
	v_lshlrev_b32_e32 v3, 16, v13
	scratch_store_dword off, v3, s32 offset:536 ; 4-byte Folded Spill
	v_and_b32_e32 v3, 0xffff0000, v13
	scratch_store_dword off, v3, s32 offset:540 ; 4-byte Folded Spill
	ds_read_b128 v[6:9], v2 offset:160
	ds_read_b128 v[10:13], v2 offset:176
	scratch_store_dword off, v1, s32 offset:588 ; 4-byte Folded Spill
	scratch_store_dwordx2 off, v[48:49], s32 offset:592 ; 8-byte Folded Spill
	s_mov_b64 s[18:19], 0
	s_waitcnt lgkmcnt(1)
	v_lshlrev_b32_e32 v2, 16, v6
	scratch_store_dword off, v2, s32 offset:544 ; 4-byte Folded Spill
	v_and_b32_e32 v2, 0xffff0000, v6
	scratch_store_dword off, v2, s32 offset:548 ; 4-byte Folded Spill
	v_lshlrev_b32_e32 v2, 16, v7
	v_accvgpr_write_b32 a46, v2
	v_and_b32_e32 v2, 0xffff0000, v7
	v_accvgpr_write_b32 a47, v2
	v_lshlrev_b32_e32 v2, 16, v8
	v_accvgpr_write_b32 a48, v2
	v_and_b32_e32 v2, 0xffff0000, v8
	v_accvgpr_write_b32 a49, v2
	;; [unrolled: 4-line block ×3, first 2 shown]
	s_waitcnt lgkmcnt(0)
	v_lshlrev_b32_e32 v2, 16, v10
	v_accvgpr_write_b32 a0, v2
	v_and_b32_e32 v2, 0xffff0000, v10
	v_accvgpr_write_b32 a1, v2
	v_lshlrev_b32_e32 v2, 16, v11
	v_accvgpr_write_b32 a52, v2
	v_and_b32_e32 v2, 0xffff0000, v11
	v_accvgpr_write_b32 a53, v2
	;; [unrolled: 4-line block ×4, first 2 shown]
	scratch_load_dwordx2 v[2:3], off, s32 offset:568 ; 8-byte Folded Reload
	v_bfe_u32 v6, v24, 1, 5
	s_mov_b32 s17, 0x7f800000
	s_movk_i32 s30, 0x7fff
	s_mov_b64 s[20:21], 0x1000
	s_mov_b64 s[22:23], 0x1200
	;; [unrolled: 1-line block ×4, first 2 shown]
	scratch_store_dwordx2 off, v[32:33], s32 offset:624 ; 8-byte Folded Spill
	s_waitcnt vmcnt(1)
	v_lshl_add_u64 v[2:3], v[4:5], 0, v[2:3]
	v_lshlrev_b32_e32 v4, 4, v6
	v_mov_b32_e32 v5, 0
	v_lshl_add_u64 v[2:3], v[2:3], 0, v[4:5]
	v_accvgpr_write_b32 a59, v3
	v_lshlrev_b32_e32 v4, 2, v0
	v_and_b32_e32 v0, 64, v1
	v_accvgpr_write_b32 a58, v2
	v_add_u32_e32 v2, 64, v0
	v_xor_b32_e32 v0, 1, v1
	v_cmp_lt_i32_e32 vcc, v0, v2
	scratch_store_dword off, v2, s32 offset:584 ; 4-byte Folded Spill
	s_nop 0
	v_cndmask_b32_e32 v0, v1, v0, vcc
	v_lshlrev_b32_e32 v0, 2, v0
	v_accvgpr_write_b32 a60, v0
	scratch_load_dword v0, off, s32 offset:552 ; 4-byte Folded Reload
	v_mov_b32_e32 v1, v5
	s_waitcnt vmcnt(0)
	v_cmp_neq_f32_e64 s[4:5], 0, v0
	scratch_load_dword v0, off, s32 offset:564 ; 4-byte Folded Reload
	s_waitcnt vmcnt(0)
	v_and_b32_e32 v0, 60, v0
	v_lshl_add_u64 v[0:1], v[48:49], 2, v[0:1]
	v_lshl_add_u64 v[14:15], v[32:33], 0, v[0:1]
	v_accvgpr_read_b32 v49, a5
	v_lshlrev_b32_e32 v0, 2, v6
	v_lshl_or_b32 v24, v49, 5, v6
	v_lshl_or_b32 v25, v49, 7, v0
	v_mov_b32_e32 v0, 0xff7fffff
	scratch_store_dword off, v0, s32 offset:200 ; 4-byte Folded Spill
	s_branch .LBB350_9
.LBB350_8:                              ;   in Loop: Header=BB350_9 Depth=1
	s_or_b64 exec, exec, s[28:29]
	scratch_load_dword v0, off, s32 offset:188 ; 4-byte Folded Reload
	v_add_u32_e32 v49, 2, v49
	v_lshl_add_u64 v[14:15], v[14:15], 0, 8
	v_add_u32_e32 v24, 64, v24
	v_add_u32_e32 v25, 0x100, v25
	s_waitcnt vmcnt(0)
	v_cmp_ge_i32_e32 vcc, v49, v0
	s_or_b64 s[18:19], vcc, s[18:19]
	s_andn2_b64 exec, exec, s[18:19]
	s_cbranch_execz .LBB350_395
.LBB350_9:                              ; =>This Inner Loop Header: Depth=1
	flat_load_dword v0, v[14:15]
	scratch_load_dwordx2 v[2:3], off, s32 offset:192 ; 8-byte Folded Reload
	v_accvgpr_read_b32 v6, a58
	v_accvgpr_read_b32 v7, a59
                                        ; implicit-def: $vgpr8
	s_waitcnt vmcnt(0) lgkmcnt(0)
	v_mad_i64_i32 v[0:1], s[28:29], v0, v2, v[6:7]
	v_lshl_add_u64 v[16:17], v[0:1], 0, v[4:5]
	flat_load_dword v0, v[16:17]
	v_accvgpr_read_b32 v2, a18
	v_accvgpr_read_b32 v3, a19
	flat_load_dword v34, v[2:3]
	s_waitcnt vmcnt(0) lgkmcnt(0)
	v_and_b32_e32 v1, 0xff, v0
	v_cvt_f32_fp8_sdwa v1, v1 src0_sel:BYTE_0
	s_nop 0
	v_mul_f32_e32 v1, v34, v1
	v_and_b32_e32 v2, 0x7f800000, v1
	v_cmp_ne_u32_e32 vcc, s17, v2
	s_and_saveexec_b64 s[28:29], vcc
	s_xor_b64 s[28:29], exec, s[28:29]
; %bb.10:                               ;   in Loop: Header=BB350_9 Depth=1
	v_bfe_u32 v2, v1, 16, 1
	v_add3_u32 v8, v1, v2, s30
                                        ; implicit-def: $vgpr1
; %bb.11:                               ;   in Loop: Header=BB350_9 Depth=1
	s_andn2_saveexec_b64 s[28:29], s[28:29]
; %bb.12:                               ;   in Loop: Header=BB350_9 Depth=1
	v_or_b32_e32 v2, 0x10000, v1
	v_cmp_eq_u32_sdwa vcc, v1, v5 src0_sel:WORD_0 src1_sel:DWORD
	s_nop 1
	v_cndmask_b32_e32 v8, v2, v1, vcc
; %bb.13:                               ;   in Loop: Header=BB350_9 Depth=1
	s_or_b64 exec, exec, s[28:29]
	v_bfe_u32 v1, v0, 8, 8
	v_cvt_f32_fp8_sdwa v1, v1 src0_sel:BYTE_0
                                        ; implicit-def: $vgpr12
	s_nop 0
	v_mul_f32_e32 v1, v34, v1
	v_and_b32_e32 v2, 0x7f800000, v1
	v_cmp_ne_u32_e32 vcc, s17, v2
	s_and_saveexec_b64 s[28:29], vcc
	s_xor_b64 s[28:29], exec, s[28:29]
; %bb.14:                               ;   in Loop: Header=BB350_9 Depth=1
	v_bfe_u32 v2, v1, 16, 1
	v_add3_u32 v12, v1, v2, s30
                                        ; implicit-def: $vgpr1
; %bb.15:                               ;   in Loop: Header=BB350_9 Depth=1
	s_andn2_saveexec_b64 s[28:29], s[28:29]
; %bb.16:                               ;   in Loop: Header=BB350_9 Depth=1
	v_or_b32_e32 v2, 0x10000, v1
	v_cmp_eq_u32_sdwa vcc, v1, v5 src0_sel:WORD_0 src1_sel:DWORD
	s_nop 1
	v_cndmask_b32_e32 v12, v2, v1, vcc
; %bb.17:                               ;   in Loop: Header=BB350_9 Depth=1
	s_or_b64 exec, exec, s[28:29]
	v_bfe_u32 v1, v0, 16, 8
	v_cvt_f32_fp8_sdwa v1, v1 src0_sel:BYTE_0
                                        ; implicit-def: $agpr61
	s_nop 0
	v_mul_f32_e32 v1, v34, v1
	v_and_b32_e32 v2, 0x7f800000, v1
	v_cmp_ne_u32_e32 vcc, s17, v2
	s_and_saveexec_b64 s[28:29], vcc
	s_xor_b64 s[28:29], exec, s[28:29]
; %bb.18:                               ;   in Loop: Header=BB350_9 Depth=1
	v_bfe_u32 v2, v1, 16, 1
	v_add3_u32 v1, v1, v2, s30
	v_accvgpr_write_b32 a61, v1
                                        ; implicit-def: $vgpr1
; %bb.19:                               ;   in Loop: Header=BB350_9 Depth=1
	s_andn2_saveexec_b64 s[28:29], s[28:29]
; %bb.20:                               ;   in Loop: Header=BB350_9 Depth=1
	v_or_b32_e32 v2, 0x10000, v1
	v_cmp_eq_u32_sdwa vcc, v1, v5 src0_sel:WORD_0 src1_sel:DWORD
	s_nop 1
	v_cndmask_b32_e32 v1, v2, v1, vcc
	v_accvgpr_write_b32 a61, v1
; %bb.21:                               ;   in Loop: Header=BB350_9 Depth=1
	s_or_b64 exec, exec, s[28:29]
	v_lshrrev_b32_e32 v0, 24, v0
	v_cvt_f32_fp8_sdwa v0, v0 src0_sel:BYTE_0
                                        ; implicit-def: $agpr62
	s_nop 0
	v_mul_f32_e32 v0, v34, v0
	v_and_b32_e32 v1, 0x7f800000, v0
	v_cmp_ne_u32_e32 vcc, s17, v1
	s_and_saveexec_b64 s[28:29], vcc
	s_xor_b64 s[28:29], exec, s[28:29]
; %bb.22:                               ;   in Loop: Header=BB350_9 Depth=1
	v_bfe_u32 v1, v0, 16, 1
	v_add3_u32 v0, v0, v1, s30
	v_accvgpr_write_b32 a62, v0
                                        ; implicit-def: $vgpr0
; %bb.23:                               ;   in Loop: Header=BB350_9 Depth=1
	s_andn2_saveexec_b64 s[28:29], s[28:29]
; %bb.24:                               ;   in Loop: Header=BB350_9 Depth=1
	v_or_b32_e32 v1, 0x10000, v0
	v_cmp_eq_u32_sdwa vcc, v0, v5 src0_sel:WORD_0 src1_sel:DWORD
	s_nop 1
	v_cndmask_b32_e32 v0, v1, v0, vcc
	v_accvgpr_write_b32 a62, v0
; %bb.25:                               ;   in Loop: Header=BB350_9 Depth=1
	s_or_b64 exec, exec, s[28:29]
	flat_load_dword v0, v[16:17] offset:8
                                        ; implicit-def: $vgpr19
	s_waitcnt vmcnt(0) lgkmcnt(0)
	v_and_b32_e32 v1, 0xff, v0
	v_cvt_f32_fp8_sdwa v1, v1 src0_sel:BYTE_0
	s_nop 0
	v_mul_f32_e32 v1, v34, v1
	v_and_b32_e32 v2, 0x7f800000, v1
	v_cmp_ne_u32_e32 vcc, s17, v2
	s_and_saveexec_b64 s[28:29], vcc
	s_xor_b64 s[28:29], exec, s[28:29]
; %bb.26:                               ;   in Loop: Header=BB350_9 Depth=1
	v_bfe_u32 v2, v1, 16, 1
	v_add3_u32 v19, v1, v2, s30
                                        ; implicit-def: $vgpr1
; %bb.27:                               ;   in Loop: Header=BB350_9 Depth=1
	s_andn2_saveexec_b64 s[28:29], s[28:29]
; %bb.28:                               ;   in Loop: Header=BB350_9 Depth=1
	v_or_b32_e32 v2, 0x10000, v1
	v_cmp_eq_u32_sdwa vcc, v1, v5 src0_sel:WORD_0 src1_sel:DWORD
	s_nop 1
	v_cndmask_b32_e32 v19, v2, v1, vcc
; %bb.29:                               ;   in Loop: Header=BB350_9 Depth=1
	s_or_b64 exec, exec, s[28:29]
	v_bfe_u32 v1, v0, 8, 8
	v_cvt_f32_fp8_sdwa v1, v1 src0_sel:BYTE_0
                                        ; implicit-def: $agpr63
	s_nop 0
	v_mul_f32_e32 v1, v34, v1
	v_and_b32_e32 v2, 0x7f800000, v1
	v_cmp_ne_u32_e32 vcc, s17, v2
	s_and_saveexec_b64 s[28:29], vcc
	s_xor_b64 s[28:29], exec, s[28:29]
; %bb.30:                               ;   in Loop: Header=BB350_9 Depth=1
	v_bfe_u32 v2, v1, 16, 1
	v_add3_u32 v1, v1, v2, s30
	v_accvgpr_write_b32 a63, v1
                                        ; implicit-def: $vgpr1
; %bb.31:                               ;   in Loop: Header=BB350_9 Depth=1
	s_andn2_saveexec_b64 s[28:29], s[28:29]
; %bb.32:                               ;   in Loop: Header=BB350_9 Depth=1
	v_or_b32_e32 v2, 0x10000, v1
	v_cmp_eq_u32_sdwa vcc, v1, v5 src0_sel:WORD_0 src1_sel:DWORD
	s_nop 1
	v_cndmask_b32_e32 v1, v2, v1, vcc
	v_accvgpr_write_b32 a63, v1
; %bb.33:                               ;   in Loop: Header=BB350_9 Depth=1
	s_or_b64 exec, exec, s[28:29]
	v_bfe_u32 v1, v0, 16, 8
	v_cvt_f32_fp8_sdwa v1, v1 src0_sel:BYTE_0
                                        ; implicit-def: $agpr2
	s_nop 0
	v_mul_f32_e32 v1, v34, v1
	v_and_b32_e32 v2, 0x7f800000, v1
	v_cmp_ne_u32_e32 vcc, s17, v2
	s_and_saveexec_b64 s[28:29], vcc
	s_xor_b64 s[28:29], exec, s[28:29]
; %bb.34:                               ;   in Loop: Header=BB350_9 Depth=1
	v_bfe_u32 v2, v1, 16, 1
	v_add3_u32 v1, v1, v2, s30
	v_accvgpr_write_b32 a2, v1
                                        ; implicit-def: $vgpr1
; %bb.35:                               ;   in Loop: Header=BB350_9 Depth=1
	s_andn2_saveexec_b64 s[28:29], s[28:29]
; %bb.36:                               ;   in Loop: Header=BB350_9 Depth=1
	v_or_b32_e32 v2, 0x10000, v1
	v_cmp_eq_u32_sdwa vcc, v1, v5 src0_sel:WORD_0 src1_sel:DWORD
	s_nop 1
	v_cndmask_b32_e32 v1, v2, v1, vcc
	v_accvgpr_write_b32 a2, v1
; %bb.37:                               ;   in Loop: Header=BB350_9 Depth=1
	s_or_b64 exec, exec, s[28:29]
	v_lshrrev_b32_e32 v0, 24, v0
	v_cvt_f32_fp8_sdwa v0, v0 src0_sel:BYTE_0
                                        ; implicit-def: $agpr32
	s_nop 0
	v_mul_f32_e32 v0, v34, v0
	v_and_b32_e32 v1, 0x7f800000, v0
	v_cmp_ne_u32_e32 vcc, s17, v1
	s_and_saveexec_b64 s[28:29], vcc
	s_xor_b64 s[28:29], exec, s[28:29]
; %bb.38:                               ;   in Loop: Header=BB350_9 Depth=1
	v_bfe_u32 v1, v0, 16, 1
	v_add3_u32 v0, v0, v1, s30
	v_accvgpr_write_b32 a32, v0
                                        ; implicit-def: $vgpr0
; %bb.39:                               ;   in Loop: Header=BB350_9 Depth=1
	s_andn2_saveexec_b64 s[28:29], s[28:29]
; %bb.40:                               ;   in Loop: Header=BB350_9 Depth=1
	v_or_b32_e32 v1, 0x10000, v0
	v_cmp_eq_u32_sdwa vcc, v0, v5 src0_sel:WORD_0 src1_sel:DWORD
	s_nop 1
	v_cndmask_b32_e32 v0, v1, v0, vcc
	v_accvgpr_write_b32 a32, v0
; %bb.41:                               ;   in Loop: Header=BB350_9 Depth=1
	s_or_b64 exec, exec, s[28:29]
	flat_load_dword v0, v[16:17] offset:512
                                        ; implicit-def: $agpr21
	s_waitcnt vmcnt(0) lgkmcnt(0)
	v_and_b32_e32 v1, 0xff, v0
	v_cvt_f32_fp8_sdwa v1, v1 src0_sel:BYTE_0
	s_nop 0
	v_mul_f32_e32 v1, v34, v1
	v_and_b32_e32 v2, 0x7f800000, v1
	v_cmp_ne_u32_e32 vcc, s17, v2
	s_and_saveexec_b64 s[28:29], vcc
	s_xor_b64 s[28:29], exec, s[28:29]
; %bb.42:                               ;   in Loop: Header=BB350_9 Depth=1
	v_bfe_u32 v2, v1, 16, 1
	v_add3_u32 v1, v1, v2, s30
	v_accvgpr_write_b32 a21, v1
                                        ; implicit-def: $vgpr1
; %bb.43:                               ;   in Loop: Header=BB350_9 Depth=1
	s_andn2_saveexec_b64 s[28:29], s[28:29]
; %bb.44:                               ;   in Loop: Header=BB350_9 Depth=1
	v_or_b32_e32 v2, 0x10000, v1
	v_cmp_eq_u32_sdwa vcc, v1, v5 src0_sel:WORD_0 src1_sel:DWORD
	s_nop 1
	v_cndmask_b32_e32 v1, v2, v1, vcc
	v_accvgpr_write_b32 a21, v1
; %bb.45:                               ;   in Loop: Header=BB350_9 Depth=1
	s_or_b64 exec, exec, s[28:29]
	v_bfe_u32 v1, v0, 8, 8
	v_cvt_f32_fp8_sdwa v1, v1 src0_sel:BYTE_0
                                        ; implicit-def: $agpr14
	s_nop 0
	v_mul_f32_e32 v1, v34, v1
	v_and_b32_e32 v2, 0x7f800000, v1
	v_cmp_ne_u32_e32 vcc, s17, v2
	s_and_saveexec_b64 s[28:29], vcc
	s_xor_b64 s[28:29], exec, s[28:29]
; %bb.46:                               ;   in Loop: Header=BB350_9 Depth=1
	v_bfe_u32 v2, v1, 16, 1
	v_add3_u32 v1, v1, v2, s30
	v_accvgpr_write_b32 a14, v1
                                        ; implicit-def: $vgpr1
; %bb.47:                               ;   in Loop: Header=BB350_9 Depth=1
	s_andn2_saveexec_b64 s[28:29], s[28:29]
; %bb.48:                               ;   in Loop: Header=BB350_9 Depth=1
	v_or_b32_e32 v2, 0x10000, v1
	v_cmp_eq_u32_sdwa vcc, v1, v5 src0_sel:WORD_0 src1_sel:DWORD
	s_nop 1
	v_cndmask_b32_e32 v1, v2, v1, vcc
	v_accvgpr_write_b32 a14, v1
; %bb.49:                               ;   in Loop: Header=BB350_9 Depth=1
	s_or_b64 exec, exec, s[28:29]
	v_bfe_u32 v1, v0, 16, 8
	v_cvt_f32_fp8_sdwa v1, v1 src0_sel:BYTE_0
                                        ; implicit-def: $agpr15
	s_nop 0
	v_mul_f32_e32 v1, v34, v1
	v_and_b32_e32 v2, 0x7f800000, v1
	v_cmp_ne_u32_e32 vcc, s17, v2
	s_and_saveexec_b64 s[28:29], vcc
	s_xor_b64 s[28:29], exec, s[28:29]
; %bb.50:                               ;   in Loop: Header=BB350_9 Depth=1
	v_bfe_u32 v2, v1, 16, 1
	v_add3_u32 v1, v1, v2, s30
	v_accvgpr_write_b32 a15, v1
                                        ; implicit-def: $vgpr1
; %bb.51:                               ;   in Loop: Header=BB350_9 Depth=1
	s_andn2_saveexec_b64 s[28:29], s[28:29]
; %bb.52:                               ;   in Loop: Header=BB350_9 Depth=1
	v_or_b32_e32 v2, 0x10000, v1
	v_cmp_eq_u32_sdwa vcc, v1, v5 src0_sel:WORD_0 src1_sel:DWORD
	s_nop 1
	v_cndmask_b32_e32 v1, v2, v1, vcc
	v_accvgpr_write_b32 a15, v1
; %bb.53:                               ;   in Loop: Header=BB350_9 Depth=1
	s_or_b64 exec, exec, s[28:29]
	v_lshrrev_b32_e32 v0, 24, v0
	v_cvt_f32_fp8_sdwa v0, v0 src0_sel:BYTE_0
                                        ; implicit-def: $agpr4
	s_nop 0
	v_mul_f32_e32 v0, v34, v0
	v_and_b32_e32 v1, 0x7f800000, v0
	v_cmp_ne_u32_e32 vcc, s17, v1
	s_and_saveexec_b64 s[28:29], vcc
	s_xor_b64 s[28:29], exec, s[28:29]
; %bb.54:                               ;   in Loop: Header=BB350_9 Depth=1
	v_bfe_u32 v1, v0, 16, 1
	v_add3_u32 v0, v0, v1, s30
	v_accvgpr_write_b32 a4, v0
                                        ; implicit-def: $vgpr0
; %bb.55:                               ;   in Loop: Header=BB350_9 Depth=1
	s_andn2_saveexec_b64 s[28:29], s[28:29]
; %bb.56:                               ;   in Loop: Header=BB350_9 Depth=1
	v_or_b32_e32 v1, 0x10000, v0
	v_cmp_eq_u32_sdwa vcc, v0, v5 src0_sel:WORD_0 src1_sel:DWORD
	s_nop 1
	v_cndmask_b32_e32 v0, v1, v0, vcc
	v_accvgpr_write_b32 a4, v0
; %bb.57:                               ;   in Loop: Header=BB350_9 Depth=1
	s_or_b64 exec, exec, s[28:29]
	flat_load_dword v0, v[16:17] offset:520
                                        ; implicit-def: $agpr13
	s_waitcnt vmcnt(0) lgkmcnt(0)
	v_and_b32_e32 v1, 0xff, v0
	v_cvt_f32_fp8_sdwa v1, v1 src0_sel:BYTE_0
	s_nop 0
	v_mul_f32_e32 v1, v34, v1
	v_and_b32_e32 v2, 0x7f800000, v1
	v_cmp_ne_u32_e32 vcc, s17, v2
	s_and_saveexec_b64 s[28:29], vcc
	s_xor_b64 s[28:29], exec, s[28:29]
; %bb.58:                               ;   in Loop: Header=BB350_9 Depth=1
	v_bfe_u32 v2, v1, 16, 1
	v_add3_u32 v1, v1, v2, s30
	v_accvgpr_write_b32 a13, v1
                                        ; implicit-def: $vgpr1
; %bb.59:                               ;   in Loop: Header=BB350_9 Depth=1
	s_andn2_saveexec_b64 s[28:29], s[28:29]
; %bb.60:                               ;   in Loop: Header=BB350_9 Depth=1
	v_or_b32_e32 v2, 0x10000, v1
	v_cmp_eq_u32_sdwa vcc, v1, v5 src0_sel:WORD_0 src1_sel:DWORD
	s_nop 1
	v_cndmask_b32_e32 v1, v2, v1, vcc
	v_accvgpr_write_b32 a13, v1
; %bb.61:                               ;   in Loop: Header=BB350_9 Depth=1
	s_or_b64 exec, exec, s[28:29]
	v_bfe_u32 v1, v0, 8, 8
	v_cvt_f32_fp8_sdwa v1, v1 src0_sel:BYTE_0
                                        ; implicit-def: $agpr16
	s_nop 0
	v_mul_f32_e32 v1, v34, v1
	v_and_b32_e32 v2, 0x7f800000, v1
	v_cmp_ne_u32_e32 vcc, s17, v2
	s_and_saveexec_b64 s[28:29], vcc
	s_xor_b64 s[28:29], exec, s[28:29]
; %bb.62:                               ;   in Loop: Header=BB350_9 Depth=1
	v_bfe_u32 v2, v1, 16, 1
	v_add3_u32 v1, v1, v2, s30
	v_accvgpr_write_b32 a16, v1
                                        ; implicit-def: $vgpr1
; %bb.63:                               ;   in Loop: Header=BB350_9 Depth=1
	s_andn2_saveexec_b64 s[28:29], s[28:29]
; %bb.64:                               ;   in Loop: Header=BB350_9 Depth=1
	v_or_b32_e32 v2, 0x10000, v1
	v_cmp_eq_u32_sdwa vcc, v1, v5 src0_sel:WORD_0 src1_sel:DWORD
	s_nop 1
	v_cndmask_b32_e32 v1, v2, v1, vcc
	v_accvgpr_write_b32 a16, v1
; %bb.65:                               ;   in Loop: Header=BB350_9 Depth=1
	s_or_b64 exec, exec, s[28:29]
	v_bfe_u32 v1, v0, 16, 8
	v_cvt_f32_fp8_sdwa v1, v1 src0_sel:BYTE_0
                                        ; implicit-def: $agpr17
	s_nop 0
	v_mul_f32_e32 v1, v34, v1
	v_and_b32_e32 v2, 0x7f800000, v1
	v_cmp_ne_u32_e32 vcc, s17, v2
	s_and_saveexec_b64 s[28:29], vcc
	s_xor_b64 s[28:29], exec, s[28:29]
; %bb.66:                               ;   in Loop: Header=BB350_9 Depth=1
	v_bfe_u32 v2, v1, 16, 1
	v_add3_u32 v1, v1, v2, s30
	v_accvgpr_write_b32 a17, v1
                                        ; implicit-def: $vgpr1
; %bb.67:                               ;   in Loop: Header=BB350_9 Depth=1
	s_andn2_saveexec_b64 s[28:29], s[28:29]
; %bb.68:                               ;   in Loop: Header=BB350_9 Depth=1
	v_or_b32_e32 v2, 0x10000, v1
	v_cmp_eq_u32_sdwa vcc, v1, v5 src0_sel:WORD_0 src1_sel:DWORD
	s_nop 1
	v_cndmask_b32_e32 v1, v2, v1, vcc
	v_accvgpr_write_b32 a17, v1
; %bb.69:                               ;   in Loop: Header=BB350_9 Depth=1
	s_or_b64 exec, exec, s[28:29]
	v_lshrrev_b32_e32 v0, 24, v0
	v_cvt_f32_fp8_sdwa v0, v0 src0_sel:BYTE_0
                                        ; implicit-def: $agpr12
	s_nop 0
	v_mul_f32_e32 v0, v34, v0
	v_and_b32_e32 v1, 0x7f800000, v0
	v_cmp_ne_u32_e32 vcc, s17, v1
	s_and_saveexec_b64 s[28:29], vcc
	s_xor_b64 s[28:29], exec, s[28:29]
; %bb.70:                               ;   in Loop: Header=BB350_9 Depth=1
	v_bfe_u32 v1, v0, 16, 1
	v_add3_u32 v0, v0, v1, s30
	v_accvgpr_write_b32 a12, v0
                                        ; implicit-def: $vgpr0
; %bb.71:                               ;   in Loop: Header=BB350_9 Depth=1
	s_andn2_saveexec_b64 s[28:29], s[28:29]
; %bb.72:                               ;   in Loop: Header=BB350_9 Depth=1
	v_or_b32_e32 v1, 0x10000, v0
	v_cmp_eq_u32_sdwa vcc, v0, v5 src0_sel:WORD_0 src1_sel:DWORD
	s_nop 1
	v_cndmask_b32_e32 v0, v1, v0, vcc
	v_accvgpr_write_b32 a12, v0
; %bb.73:                               ;   in Loop: Header=BB350_9 Depth=1
	s_or_b64 exec, exec, s[28:29]
	flat_load_dword v0, v[16:17] offset:1024
                                        ; implicit-def: $agpr10
	s_waitcnt vmcnt(0) lgkmcnt(0)
	v_and_b32_e32 v1, 0xff, v0
	v_cvt_f32_fp8_sdwa v1, v1 src0_sel:BYTE_0
	s_nop 0
	v_mul_f32_e32 v1, v34, v1
	v_and_b32_e32 v2, 0x7f800000, v1
	v_cmp_ne_u32_e32 vcc, s17, v2
	s_and_saveexec_b64 s[28:29], vcc
	s_xor_b64 s[28:29], exec, s[28:29]
; %bb.74:                               ;   in Loop: Header=BB350_9 Depth=1
	v_bfe_u32 v2, v1, 16, 1
	v_add3_u32 v1, v1, v2, s30
	v_accvgpr_write_b32 a10, v1
                                        ; implicit-def: $vgpr1
; %bb.75:                               ;   in Loop: Header=BB350_9 Depth=1
	s_andn2_saveexec_b64 s[28:29], s[28:29]
; %bb.76:                               ;   in Loop: Header=BB350_9 Depth=1
	v_or_b32_e32 v2, 0x10000, v1
	v_cmp_eq_u32_sdwa vcc, v1, v5 src0_sel:WORD_0 src1_sel:DWORD
	s_nop 1
	v_cndmask_b32_e32 v1, v2, v1, vcc
	v_accvgpr_write_b32 a10, v1
; %bb.77:                               ;   in Loop: Header=BB350_9 Depth=1
	s_or_b64 exec, exec, s[28:29]
	v_bfe_u32 v1, v0, 8, 8
	v_cvt_f32_fp8_sdwa v1, v1 src0_sel:BYTE_0
                                        ; implicit-def: $agpr11
	s_nop 0
	v_mul_f32_e32 v1, v34, v1
	v_and_b32_e32 v2, 0x7f800000, v1
	v_cmp_ne_u32_e32 vcc, s17, v2
	s_and_saveexec_b64 s[28:29], vcc
	s_xor_b64 s[28:29], exec, s[28:29]
; %bb.78:                               ;   in Loop: Header=BB350_9 Depth=1
	v_bfe_u32 v2, v1, 16, 1
	v_add3_u32 v1, v1, v2, s30
	v_accvgpr_write_b32 a11, v1
                                        ; implicit-def: $vgpr1
; %bb.79:                               ;   in Loop: Header=BB350_9 Depth=1
	s_andn2_saveexec_b64 s[28:29], s[28:29]
; %bb.80:                               ;   in Loop: Header=BB350_9 Depth=1
	v_or_b32_e32 v2, 0x10000, v1
	v_cmp_eq_u32_sdwa vcc, v1, v5 src0_sel:WORD_0 src1_sel:DWORD
	s_nop 1
	v_cndmask_b32_e32 v1, v2, v1, vcc
	v_accvgpr_write_b32 a11, v1
; %bb.81:                               ;   in Loop: Header=BB350_9 Depth=1
	s_or_b64 exec, exec, s[28:29]
	v_bfe_u32 v1, v0, 16, 8
	v_cvt_f32_fp8_sdwa v1, v1 src0_sel:BYTE_0
                                        ; implicit-def: $agpr8
	s_nop 0
	v_mul_f32_e32 v1, v34, v1
	v_and_b32_e32 v2, 0x7f800000, v1
	v_cmp_ne_u32_e32 vcc, s17, v2
	s_and_saveexec_b64 s[28:29], vcc
	s_xor_b64 s[28:29], exec, s[28:29]
; %bb.82:                               ;   in Loop: Header=BB350_9 Depth=1
	v_bfe_u32 v2, v1, 16, 1
	v_add3_u32 v1, v1, v2, s30
	v_accvgpr_write_b32 a8, v1
                                        ; implicit-def: $vgpr1
; %bb.83:                               ;   in Loop: Header=BB350_9 Depth=1
	s_andn2_saveexec_b64 s[28:29], s[28:29]
; %bb.84:                               ;   in Loop: Header=BB350_9 Depth=1
	v_or_b32_e32 v2, 0x10000, v1
	v_cmp_eq_u32_sdwa vcc, v1, v5 src0_sel:WORD_0 src1_sel:DWORD
	s_nop 1
	v_cndmask_b32_e32 v1, v2, v1, vcc
	v_accvgpr_write_b32 a8, v1
; %bb.85:                               ;   in Loop: Header=BB350_9 Depth=1
	s_or_b64 exec, exec, s[28:29]
	v_lshrrev_b32_e32 v0, 24, v0
	v_cvt_f32_fp8_sdwa v0, v0 src0_sel:BYTE_0
                                        ; implicit-def: $agpr9
	s_nop 0
	v_mul_f32_e32 v0, v34, v0
	v_and_b32_e32 v1, 0x7f800000, v0
	v_cmp_ne_u32_e32 vcc, s17, v1
	s_and_saveexec_b64 s[28:29], vcc
	s_xor_b64 s[28:29], exec, s[28:29]
; %bb.86:                               ;   in Loop: Header=BB350_9 Depth=1
	v_bfe_u32 v1, v0, 16, 1
	v_add3_u32 v0, v0, v1, s30
	v_accvgpr_write_b32 a9, v0
                                        ; implicit-def: $vgpr0
; %bb.87:                               ;   in Loop: Header=BB350_9 Depth=1
	s_andn2_saveexec_b64 s[28:29], s[28:29]
; %bb.88:                               ;   in Loop: Header=BB350_9 Depth=1
	v_or_b32_e32 v1, 0x10000, v0
	v_cmp_eq_u32_sdwa vcc, v0, v5 src0_sel:WORD_0 src1_sel:DWORD
	s_nop 1
	v_cndmask_b32_e32 v0, v1, v0, vcc
	v_accvgpr_write_b32 a9, v0
; %bb.89:                               ;   in Loop: Header=BB350_9 Depth=1
	s_or_b64 exec, exec, s[28:29]
	flat_load_dword v0, v[16:17] offset:1032
                                        ; implicit-def: $agpr6
	s_waitcnt vmcnt(0) lgkmcnt(0)
	v_and_b32_e32 v1, 0xff, v0
	v_cvt_f32_fp8_sdwa v1, v1 src0_sel:BYTE_0
	s_nop 0
	v_mul_f32_e32 v1, v34, v1
	v_and_b32_e32 v2, 0x7f800000, v1
	v_cmp_ne_u32_e32 vcc, s17, v2
	s_and_saveexec_b64 s[28:29], vcc
	s_xor_b64 s[28:29], exec, s[28:29]
; %bb.90:                               ;   in Loop: Header=BB350_9 Depth=1
	v_bfe_u32 v2, v1, 16, 1
	v_add3_u32 v1, v1, v2, s30
	v_accvgpr_write_b32 a6, v1
                                        ; implicit-def: $vgpr1
; %bb.91:                               ;   in Loop: Header=BB350_9 Depth=1
	s_andn2_saveexec_b64 s[28:29], s[28:29]
; %bb.92:                               ;   in Loop: Header=BB350_9 Depth=1
	v_or_b32_e32 v2, 0x10000, v1
	v_cmp_eq_u32_sdwa vcc, v1, v5 src0_sel:WORD_0 src1_sel:DWORD
	s_nop 1
	v_cndmask_b32_e32 v1, v2, v1, vcc
	v_accvgpr_write_b32 a6, v1
; %bb.93:                               ;   in Loop: Header=BB350_9 Depth=1
	s_or_b64 exec, exec, s[28:29]
	v_bfe_u32 v1, v0, 8, 8
	v_cvt_f32_fp8_sdwa v1, v1 src0_sel:BYTE_0
                                        ; implicit-def: $agpr7
	s_nop 0
	v_mul_f32_e32 v1, v34, v1
	v_and_b32_e32 v2, 0x7f800000, v1
	v_cmp_ne_u32_e32 vcc, s17, v2
	s_and_saveexec_b64 s[28:29], vcc
	s_xor_b64 s[28:29], exec, s[28:29]
; %bb.94:                               ;   in Loop: Header=BB350_9 Depth=1
	v_bfe_u32 v2, v1, 16, 1
	v_add3_u32 v1, v1, v2, s30
	v_accvgpr_write_b32 a7, v1
                                        ; implicit-def: $vgpr1
; %bb.95:                               ;   in Loop: Header=BB350_9 Depth=1
	s_andn2_saveexec_b64 s[28:29], s[28:29]
; %bb.96:                               ;   in Loop: Header=BB350_9 Depth=1
	v_or_b32_e32 v2, 0x10000, v1
	v_cmp_eq_u32_sdwa vcc, v1, v5 src0_sel:WORD_0 src1_sel:DWORD
	s_nop 1
	v_cndmask_b32_e32 v1, v2, v1, vcc
	v_accvgpr_write_b32 a7, v1
; %bb.97:                               ;   in Loop: Header=BB350_9 Depth=1
	s_or_b64 exec, exec, s[28:29]
	v_bfe_u32 v1, v0, 16, 8
	v_cvt_f32_fp8_sdwa v1, v1 src0_sel:BYTE_0
                                        ; implicit-def: $agpr3
	s_nop 0
	v_mul_f32_e32 v1, v34, v1
	v_and_b32_e32 v2, 0x7f800000, v1
	v_cmp_ne_u32_e32 vcc, s17, v2
	s_and_saveexec_b64 s[28:29], vcc
	s_xor_b64 s[28:29], exec, s[28:29]
; %bb.98:                               ;   in Loop: Header=BB350_9 Depth=1
	v_bfe_u32 v2, v1, 16, 1
	v_add3_u32 v1, v1, v2, s30
	v_accvgpr_write_b32 a3, v1
                                        ; implicit-def: $vgpr1
; %bb.99:                               ;   in Loop: Header=BB350_9 Depth=1
	s_andn2_saveexec_b64 s[28:29], s[28:29]
; %bb.100:                              ;   in Loop: Header=BB350_9 Depth=1
	v_or_b32_e32 v2, 0x10000, v1
	v_cmp_eq_u32_sdwa vcc, v1, v5 src0_sel:WORD_0 src1_sel:DWORD
	s_nop 1
	v_cndmask_b32_e32 v1, v2, v1, vcc
	v_accvgpr_write_b32 a3, v1
; %bb.101:                              ;   in Loop: Header=BB350_9 Depth=1
	s_or_b64 exec, exec, s[28:29]
	v_lshrrev_b32_e32 v0, 24, v0
	v_cvt_f32_fp8_sdwa v0, v0 src0_sel:BYTE_0
                                        ; implicit-def: $agpr22
	s_nop 0
	v_mul_f32_e32 v0, v34, v0
	v_and_b32_e32 v1, 0x7f800000, v0
	v_cmp_ne_u32_e32 vcc, s17, v1
	s_and_saveexec_b64 s[28:29], vcc
	s_xor_b64 s[28:29], exec, s[28:29]
; %bb.102:                              ;   in Loop: Header=BB350_9 Depth=1
	v_bfe_u32 v1, v0, 16, 1
	v_add3_u32 v0, v0, v1, s30
	v_accvgpr_write_b32 a22, v0
                                        ; implicit-def: $vgpr0
; %bb.103:                              ;   in Loop: Header=BB350_9 Depth=1
	s_andn2_saveexec_b64 s[28:29], s[28:29]
; %bb.104:                              ;   in Loop: Header=BB350_9 Depth=1
	v_or_b32_e32 v1, 0x10000, v0
	v_cmp_eq_u32_sdwa vcc, v0, v5 src0_sel:WORD_0 src1_sel:DWORD
	s_nop 1
	v_cndmask_b32_e32 v0, v1, v0, vcc
	v_accvgpr_write_b32 a22, v0
; %bb.105:                              ;   in Loop: Header=BB350_9 Depth=1
	s_or_b64 exec, exec, s[28:29]
	flat_load_dword v0, v[16:17] offset:1536
                                        ; implicit-def: $agpr23
	s_waitcnt vmcnt(0) lgkmcnt(0)
	v_and_b32_e32 v1, 0xff, v0
	v_cvt_f32_fp8_sdwa v1, v1 src0_sel:BYTE_0
	s_nop 0
	v_mul_f32_e32 v1, v34, v1
	v_and_b32_e32 v2, 0x7f800000, v1
	v_cmp_ne_u32_e32 vcc, s17, v2
	s_and_saveexec_b64 s[28:29], vcc
	s_xor_b64 s[28:29], exec, s[28:29]
; %bb.106:                              ;   in Loop: Header=BB350_9 Depth=1
	v_bfe_u32 v2, v1, 16, 1
	v_add3_u32 v1, v1, v2, s30
	v_accvgpr_write_b32 a23, v1
                                        ; implicit-def: $vgpr1
; %bb.107:                              ;   in Loop: Header=BB350_9 Depth=1
	s_andn2_saveexec_b64 s[28:29], s[28:29]
; %bb.108:                              ;   in Loop: Header=BB350_9 Depth=1
	v_or_b32_e32 v2, 0x10000, v1
	v_cmp_eq_u32_sdwa vcc, v1, v5 src0_sel:WORD_0 src1_sel:DWORD
	s_nop 1
	v_cndmask_b32_e32 v1, v2, v1, vcc
	v_accvgpr_write_b32 a23, v1
; %bb.109:                              ;   in Loop: Header=BB350_9 Depth=1
	s_or_b64 exec, exec, s[28:29]
	v_bfe_u32 v1, v0, 8, 8
	v_cvt_f32_fp8_sdwa v1, v1 src0_sel:BYTE_0
                                        ; implicit-def: $agpr24
	s_nop 0
	v_mul_f32_e32 v1, v34, v1
	v_and_b32_e32 v2, 0x7f800000, v1
	v_cmp_ne_u32_e32 vcc, s17, v2
	s_and_saveexec_b64 s[28:29], vcc
	s_xor_b64 s[28:29], exec, s[28:29]
; %bb.110:                              ;   in Loop: Header=BB350_9 Depth=1
	v_bfe_u32 v2, v1, 16, 1
	v_add3_u32 v1, v1, v2, s30
	v_accvgpr_write_b32 a24, v1
                                        ; implicit-def: $vgpr1
; %bb.111:                              ;   in Loop: Header=BB350_9 Depth=1
	s_andn2_saveexec_b64 s[28:29], s[28:29]
; %bb.112:                              ;   in Loop: Header=BB350_9 Depth=1
	v_or_b32_e32 v2, 0x10000, v1
	v_cmp_eq_u32_sdwa vcc, v1, v5 src0_sel:WORD_0 src1_sel:DWORD
	s_nop 1
	v_cndmask_b32_e32 v1, v2, v1, vcc
	v_accvgpr_write_b32 a24, v1
; %bb.113:                              ;   in Loop: Header=BB350_9 Depth=1
	s_or_b64 exec, exec, s[28:29]
	v_bfe_u32 v1, v0, 16, 8
	v_cvt_f32_fp8_sdwa v1, v1 src0_sel:BYTE_0
                                        ; implicit-def: $agpr25
	s_nop 0
	v_mul_f32_e32 v1, v34, v1
	v_and_b32_e32 v2, 0x7f800000, v1
	v_cmp_ne_u32_e32 vcc, s17, v2
	s_and_saveexec_b64 s[28:29], vcc
	s_xor_b64 s[28:29], exec, s[28:29]
; %bb.114:                              ;   in Loop: Header=BB350_9 Depth=1
	v_bfe_u32 v2, v1, 16, 1
	v_add3_u32 v1, v1, v2, s30
	v_accvgpr_write_b32 a25, v1
                                        ; implicit-def: $vgpr1
; %bb.115:                              ;   in Loop: Header=BB350_9 Depth=1
	s_andn2_saveexec_b64 s[28:29], s[28:29]
; %bb.116:                              ;   in Loop: Header=BB350_9 Depth=1
	v_or_b32_e32 v2, 0x10000, v1
	v_cmp_eq_u32_sdwa vcc, v1, v5 src0_sel:WORD_0 src1_sel:DWORD
	s_nop 1
	v_cndmask_b32_e32 v1, v2, v1, vcc
	v_accvgpr_write_b32 a25, v1
; %bb.117:                              ;   in Loop: Header=BB350_9 Depth=1
	s_or_b64 exec, exec, s[28:29]
	v_lshrrev_b32_e32 v0, 24, v0
	v_cvt_f32_fp8_sdwa v0, v0 src0_sel:BYTE_0
                                        ; implicit-def: $agpr26
	s_nop 0
	v_mul_f32_e32 v0, v34, v0
	v_and_b32_e32 v1, 0x7f800000, v0
	v_cmp_ne_u32_e32 vcc, s17, v1
	s_and_saveexec_b64 s[28:29], vcc
	s_xor_b64 s[28:29], exec, s[28:29]
; %bb.118:                              ;   in Loop: Header=BB350_9 Depth=1
	v_bfe_u32 v1, v0, 16, 1
	v_add3_u32 v0, v0, v1, s30
	v_accvgpr_write_b32 a26, v0
                                        ; implicit-def: $vgpr0
; %bb.119:                              ;   in Loop: Header=BB350_9 Depth=1
	s_andn2_saveexec_b64 s[28:29], s[28:29]
; %bb.120:                              ;   in Loop: Header=BB350_9 Depth=1
	v_or_b32_e32 v1, 0x10000, v0
	v_cmp_eq_u32_sdwa vcc, v0, v5 src0_sel:WORD_0 src1_sel:DWORD
	s_nop 1
	v_cndmask_b32_e32 v0, v1, v0, vcc
	v_accvgpr_write_b32 a26, v0
; %bb.121:                              ;   in Loop: Header=BB350_9 Depth=1
	s_or_b64 exec, exec, s[28:29]
	flat_load_dword v0, v[16:17] offset:1544
                                        ; implicit-def: $agpr27
	s_waitcnt vmcnt(0) lgkmcnt(0)
	v_and_b32_e32 v1, 0xff, v0
	v_cvt_f32_fp8_sdwa v1, v1 src0_sel:BYTE_0
	s_nop 0
	v_mul_f32_e32 v1, v34, v1
	v_and_b32_e32 v2, 0x7f800000, v1
	v_cmp_ne_u32_e32 vcc, s17, v2
	s_and_saveexec_b64 s[28:29], vcc
	s_xor_b64 s[28:29], exec, s[28:29]
; %bb.122:                              ;   in Loop: Header=BB350_9 Depth=1
	v_bfe_u32 v2, v1, 16, 1
	v_add3_u32 v1, v1, v2, s30
	v_accvgpr_write_b32 a27, v1
                                        ; implicit-def: $vgpr1
; %bb.123:                              ;   in Loop: Header=BB350_9 Depth=1
	s_andn2_saveexec_b64 s[28:29], s[28:29]
; %bb.124:                              ;   in Loop: Header=BB350_9 Depth=1
	v_or_b32_e32 v2, 0x10000, v1
	v_cmp_eq_u32_sdwa vcc, v1, v5 src0_sel:WORD_0 src1_sel:DWORD
	s_nop 1
	v_cndmask_b32_e32 v1, v2, v1, vcc
	v_accvgpr_write_b32 a27, v1
; %bb.125:                              ;   in Loop: Header=BB350_9 Depth=1
	s_or_b64 exec, exec, s[28:29]
	v_bfe_u32 v1, v0, 8, 8
	v_cvt_f32_fp8_sdwa v1, v1 src0_sel:BYTE_0
                                        ; implicit-def: $agpr28
	s_nop 0
	v_mul_f32_e32 v1, v34, v1
	v_and_b32_e32 v2, 0x7f800000, v1
	v_cmp_ne_u32_e32 vcc, s17, v2
	s_and_saveexec_b64 s[28:29], vcc
	s_xor_b64 s[28:29], exec, s[28:29]
; %bb.126:                              ;   in Loop: Header=BB350_9 Depth=1
	v_bfe_u32 v2, v1, 16, 1
	v_add3_u32 v1, v1, v2, s30
	v_accvgpr_write_b32 a28, v1
                                        ; implicit-def: $vgpr1
; %bb.127:                              ;   in Loop: Header=BB350_9 Depth=1
	s_andn2_saveexec_b64 s[28:29], s[28:29]
; %bb.128:                              ;   in Loop: Header=BB350_9 Depth=1
	v_or_b32_e32 v2, 0x10000, v1
	v_cmp_eq_u32_sdwa vcc, v1, v5 src0_sel:WORD_0 src1_sel:DWORD
	s_nop 1
	v_cndmask_b32_e32 v1, v2, v1, vcc
	v_accvgpr_write_b32 a28, v1
; %bb.129:                              ;   in Loop: Header=BB350_9 Depth=1
	s_or_b64 exec, exec, s[28:29]
	v_bfe_u32 v1, v0, 16, 8
	v_cvt_f32_fp8_sdwa v1, v1 src0_sel:BYTE_0
                                        ; implicit-def: $agpr29
	s_nop 0
	v_mul_f32_e32 v1, v34, v1
	v_and_b32_e32 v2, 0x7f800000, v1
	v_cmp_ne_u32_e32 vcc, s17, v2
	s_and_saveexec_b64 s[28:29], vcc
	s_xor_b64 s[28:29], exec, s[28:29]
; %bb.130:                              ;   in Loop: Header=BB350_9 Depth=1
	v_bfe_u32 v2, v1, 16, 1
	v_add3_u32 v1, v1, v2, s30
	v_accvgpr_write_b32 a29, v1
                                        ; implicit-def: $vgpr1
; %bb.131:                              ;   in Loop: Header=BB350_9 Depth=1
	s_andn2_saveexec_b64 s[28:29], s[28:29]
; %bb.132:                              ;   in Loop: Header=BB350_9 Depth=1
	v_or_b32_e32 v2, 0x10000, v1
	v_cmp_eq_u32_sdwa vcc, v1, v5 src0_sel:WORD_0 src1_sel:DWORD
	s_nop 1
	v_cndmask_b32_e32 v1, v2, v1, vcc
	v_accvgpr_write_b32 a29, v1
; %bb.133:                              ;   in Loop: Header=BB350_9 Depth=1
	s_or_b64 exec, exec, s[28:29]
	v_lshrrev_b32_e32 v0, 24, v0
	v_cvt_f32_fp8_sdwa v0, v0 src0_sel:BYTE_0
                                        ; implicit-def: $agpr30
	s_nop 0
	v_mul_f32_e32 v0, v34, v0
	v_and_b32_e32 v1, 0x7f800000, v0
	v_cmp_ne_u32_e32 vcc, s17, v1
	s_and_saveexec_b64 s[28:29], vcc
	s_xor_b64 s[28:29], exec, s[28:29]
; %bb.134:                              ;   in Loop: Header=BB350_9 Depth=1
	v_bfe_u32 v1, v0, 16, 1
	v_add3_u32 v0, v0, v1, s30
	v_accvgpr_write_b32 a30, v0
                                        ; implicit-def: $vgpr0
; %bb.135:                              ;   in Loop: Header=BB350_9 Depth=1
	s_andn2_saveexec_b64 s[28:29], s[28:29]
; %bb.136:                              ;   in Loop: Header=BB350_9 Depth=1
	v_or_b32_e32 v1, 0x10000, v0
	v_cmp_eq_u32_sdwa vcc, v0, v5 src0_sel:WORD_0 src1_sel:DWORD
	s_nop 1
	v_cndmask_b32_e32 v0, v1, v0, vcc
	v_accvgpr_write_b32 a30, v0
; %bb.137:                              ;   in Loop: Header=BB350_9 Depth=1
	s_or_b64 exec, exec, s[28:29]
	flat_load_dword v0, v[16:17] offset:2048
                                        ; implicit-def: $agpr31
	s_waitcnt vmcnt(0) lgkmcnt(0)
	v_and_b32_e32 v1, 0xff, v0
	v_cvt_f32_fp8_sdwa v1, v1 src0_sel:BYTE_0
	s_nop 0
	v_mul_f32_e32 v1, v34, v1
	v_and_b32_e32 v2, 0x7f800000, v1
	v_cmp_ne_u32_e32 vcc, s17, v2
	s_and_saveexec_b64 s[28:29], vcc
	s_xor_b64 s[28:29], exec, s[28:29]
; %bb.138:                              ;   in Loop: Header=BB350_9 Depth=1
	v_bfe_u32 v2, v1, 16, 1
	v_add3_u32 v1, v1, v2, s30
	v_accvgpr_write_b32 a31, v1
                                        ; implicit-def: $vgpr1
; %bb.139:                              ;   in Loop: Header=BB350_9 Depth=1
	s_andn2_saveexec_b64 s[28:29], s[28:29]
; %bb.140:                              ;   in Loop: Header=BB350_9 Depth=1
	v_or_b32_e32 v2, 0x10000, v1
	v_cmp_eq_u32_sdwa vcc, v1, v5 src0_sel:WORD_0 src1_sel:DWORD
	s_nop 1
	v_cndmask_b32_e32 v1, v2, v1, vcc
	v_accvgpr_write_b32 a31, v1
; %bb.141:                              ;   in Loop: Header=BB350_9 Depth=1
	s_or_b64 exec, exec, s[28:29]
	v_bfe_u32 v1, v0, 8, 8
	v_cvt_f32_fp8_sdwa v1, v1 src0_sel:BYTE_0
                                        ; implicit-def: $agpr33
	s_nop 0
	v_mul_f32_e32 v1, v34, v1
	v_and_b32_e32 v2, 0x7f800000, v1
	v_cmp_ne_u32_e32 vcc, s17, v2
	s_and_saveexec_b64 s[28:29], vcc
	s_xor_b64 s[28:29], exec, s[28:29]
; %bb.142:                              ;   in Loop: Header=BB350_9 Depth=1
	v_bfe_u32 v2, v1, 16, 1
	v_add3_u32 v1, v1, v2, s30
	v_accvgpr_write_b32 a33, v1
                                        ; implicit-def: $vgpr1
; %bb.143:                              ;   in Loop: Header=BB350_9 Depth=1
	s_andn2_saveexec_b64 s[28:29], s[28:29]
; %bb.144:                              ;   in Loop: Header=BB350_9 Depth=1
	v_or_b32_e32 v2, 0x10000, v1
	v_cmp_eq_u32_sdwa vcc, v1, v5 src0_sel:WORD_0 src1_sel:DWORD
	s_nop 1
	v_cndmask_b32_e32 v1, v2, v1, vcc
	v_accvgpr_write_b32 a33, v1
; %bb.145:                              ;   in Loop: Header=BB350_9 Depth=1
	s_or_b64 exec, exec, s[28:29]
	v_bfe_u32 v1, v0, 16, 8
	v_cvt_f32_fp8_sdwa v1, v1 src0_sel:BYTE_0
                                        ; implicit-def: $agpr34
	s_nop 0
	v_mul_f32_e32 v1, v34, v1
	v_and_b32_e32 v2, 0x7f800000, v1
	v_cmp_ne_u32_e32 vcc, s17, v2
	s_and_saveexec_b64 s[28:29], vcc
	s_xor_b64 s[28:29], exec, s[28:29]
; %bb.146:                              ;   in Loop: Header=BB350_9 Depth=1
	v_bfe_u32 v2, v1, 16, 1
	v_add3_u32 v1, v1, v2, s30
	v_accvgpr_write_b32 a34, v1
                                        ; implicit-def: $vgpr1
; %bb.147:                              ;   in Loop: Header=BB350_9 Depth=1
	s_andn2_saveexec_b64 s[28:29], s[28:29]
; %bb.148:                              ;   in Loop: Header=BB350_9 Depth=1
	v_or_b32_e32 v2, 0x10000, v1
	v_cmp_eq_u32_sdwa vcc, v1, v5 src0_sel:WORD_0 src1_sel:DWORD
	s_nop 1
	v_cndmask_b32_e32 v1, v2, v1, vcc
	v_accvgpr_write_b32 a34, v1
; %bb.149:                              ;   in Loop: Header=BB350_9 Depth=1
	s_or_b64 exec, exec, s[28:29]
	v_lshrrev_b32_e32 v0, 24, v0
	v_cvt_f32_fp8_sdwa v0, v0 src0_sel:BYTE_0
                                        ; implicit-def: $agpr35
	s_nop 0
	v_mul_f32_e32 v0, v34, v0
	v_and_b32_e32 v1, 0x7f800000, v0
	v_cmp_ne_u32_e32 vcc, s17, v1
	s_and_saveexec_b64 s[28:29], vcc
	s_xor_b64 s[28:29], exec, s[28:29]
; %bb.150:                              ;   in Loop: Header=BB350_9 Depth=1
	v_bfe_u32 v1, v0, 16, 1
	v_add3_u32 v0, v0, v1, s30
	v_accvgpr_write_b32 a35, v0
                                        ; implicit-def: $vgpr0
; %bb.151:                              ;   in Loop: Header=BB350_9 Depth=1
	s_andn2_saveexec_b64 s[28:29], s[28:29]
; %bb.152:                              ;   in Loop: Header=BB350_9 Depth=1
	v_or_b32_e32 v1, 0x10000, v0
	v_cmp_eq_u32_sdwa vcc, v0, v5 src0_sel:WORD_0 src1_sel:DWORD
	s_nop 1
	v_cndmask_b32_e32 v0, v1, v0, vcc
	v_accvgpr_write_b32 a35, v0
; %bb.153:                              ;   in Loop: Header=BB350_9 Depth=1
	s_or_b64 exec, exec, s[28:29]
	flat_load_dword v0, v[16:17] offset:2056
                                        ; implicit-def: $agpr20
	s_waitcnt vmcnt(0) lgkmcnt(0)
	v_and_b32_e32 v1, 0xff, v0
	v_cvt_f32_fp8_sdwa v1, v1 src0_sel:BYTE_0
	s_nop 0
	v_mul_f32_e32 v1, v34, v1
	v_and_b32_e32 v2, 0x7f800000, v1
	v_cmp_ne_u32_e32 vcc, s17, v2
	s_and_saveexec_b64 s[28:29], vcc
	s_xor_b64 s[28:29], exec, s[28:29]
; %bb.154:                              ;   in Loop: Header=BB350_9 Depth=1
	v_bfe_u32 v2, v1, 16, 1
	v_add3_u32 v1, v1, v2, s30
	v_accvgpr_write_b32 a20, v1
                                        ; implicit-def: $vgpr1
; %bb.155:                              ;   in Loop: Header=BB350_9 Depth=1
	s_andn2_saveexec_b64 s[28:29], s[28:29]
; %bb.156:                              ;   in Loop: Header=BB350_9 Depth=1
	v_or_b32_e32 v2, 0x10000, v1
	v_cmp_eq_u32_sdwa vcc, v1, v5 src0_sel:WORD_0 src1_sel:DWORD
	s_nop 1
	v_cndmask_b32_e32 v1, v2, v1, vcc
	v_accvgpr_write_b32 a20, v1
; %bb.157:                              ;   in Loop: Header=BB350_9 Depth=1
	s_or_b64 exec, exec, s[28:29]
	v_bfe_u32 v1, v0, 8, 8
	v_cvt_f32_fp8_sdwa v1, v1 src0_sel:BYTE_0
                                        ; implicit-def: $agpr36
	s_nop 0
	v_mul_f32_e32 v1, v34, v1
	v_and_b32_e32 v2, 0x7f800000, v1
	v_cmp_ne_u32_e32 vcc, s17, v2
	s_and_saveexec_b64 s[28:29], vcc
	s_xor_b64 s[28:29], exec, s[28:29]
; %bb.158:                              ;   in Loop: Header=BB350_9 Depth=1
	v_bfe_u32 v2, v1, 16, 1
	v_add3_u32 v1, v1, v2, s30
	v_accvgpr_write_b32 a36, v1
                                        ; implicit-def: $vgpr1
; %bb.159:                              ;   in Loop: Header=BB350_9 Depth=1
	s_andn2_saveexec_b64 s[28:29], s[28:29]
; %bb.160:                              ;   in Loop: Header=BB350_9 Depth=1
	v_or_b32_e32 v2, 0x10000, v1
	v_cmp_eq_u32_sdwa vcc, v1, v5 src0_sel:WORD_0 src1_sel:DWORD
	s_nop 1
	v_cndmask_b32_e32 v1, v2, v1, vcc
	v_accvgpr_write_b32 a36, v1
; %bb.161:                              ;   in Loop: Header=BB350_9 Depth=1
	s_or_b64 exec, exec, s[28:29]
	v_bfe_u32 v1, v0, 16, 8
	v_cvt_f32_fp8_sdwa v1, v1 src0_sel:BYTE_0
                                        ; implicit-def: $agpr37
	s_nop 0
	v_mul_f32_e32 v1, v34, v1
	v_and_b32_e32 v2, 0x7f800000, v1
	v_cmp_ne_u32_e32 vcc, s17, v2
	s_and_saveexec_b64 s[28:29], vcc
	s_xor_b64 s[28:29], exec, s[28:29]
; %bb.162:                              ;   in Loop: Header=BB350_9 Depth=1
	v_bfe_u32 v2, v1, 16, 1
	v_add3_u32 v1, v1, v2, s30
	v_accvgpr_write_b32 a37, v1
                                        ; implicit-def: $vgpr1
; %bb.163:                              ;   in Loop: Header=BB350_9 Depth=1
	s_andn2_saveexec_b64 s[28:29], s[28:29]
; %bb.164:                              ;   in Loop: Header=BB350_9 Depth=1
	v_or_b32_e32 v2, 0x10000, v1
	v_cmp_eq_u32_sdwa vcc, v1, v5 src0_sel:WORD_0 src1_sel:DWORD
	s_nop 1
	v_cndmask_b32_e32 v1, v2, v1, vcc
	v_accvgpr_write_b32 a37, v1
; %bb.165:                              ;   in Loop: Header=BB350_9 Depth=1
	s_or_b64 exec, exec, s[28:29]
	v_lshrrev_b32_e32 v0, 24, v0
	v_cvt_f32_fp8_sdwa v0, v0 src0_sel:BYTE_0
                                        ; implicit-def: $agpr38
	s_nop 0
	v_mul_f32_e32 v0, v34, v0
	v_and_b32_e32 v1, 0x7f800000, v0
	v_cmp_ne_u32_e32 vcc, s17, v1
	s_and_saveexec_b64 s[28:29], vcc
	s_xor_b64 s[28:29], exec, s[28:29]
; %bb.166:                              ;   in Loop: Header=BB350_9 Depth=1
	v_bfe_u32 v1, v0, 16, 1
	v_add3_u32 v0, v0, v1, s30
	v_accvgpr_write_b32 a38, v0
                                        ; implicit-def: $vgpr0
; %bb.167:                              ;   in Loop: Header=BB350_9 Depth=1
	s_andn2_saveexec_b64 s[28:29], s[28:29]
; %bb.168:                              ;   in Loop: Header=BB350_9 Depth=1
	v_or_b32_e32 v1, 0x10000, v0
	v_cmp_eq_u32_sdwa vcc, v0, v5 src0_sel:WORD_0 src1_sel:DWORD
	s_nop 1
	v_cndmask_b32_e32 v0, v1, v0, vcc
	v_accvgpr_write_b32 a38, v0
; %bb.169:                              ;   in Loop: Header=BB350_9 Depth=1
	s_or_b64 exec, exec, s[28:29]
	flat_load_dword v0, v[16:17] offset:2560
                                        ; implicit-def: $agpr39
	s_waitcnt vmcnt(0) lgkmcnt(0)
	v_and_b32_e32 v1, 0xff, v0
	v_cvt_f32_fp8_sdwa v1, v1 src0_sel:BYTE_0
	s_nop 0
	v_mul_f32_e32 v1, v34, v1
	v_and_b32_e32 v2, 0x7f800000, v1
	v_cmp_ne_u32_e32 vcc, s17, v2
	s_and_saveexec_b64 s[28:29], vcc
	s_xor_b64 s[28:29], exec, s[28:29]
; %bb.170:                              ;   in Loop: Header=BB350_9 Depth=1
	v_bfe_u32 v2, v1, 16, 1
	v_add3_u32 v1, v1, v2, s30
	v_accvgpr_write_b32 a39, v1
                                        ; implicit-def: $vgpr1
; %bb.171:                              ;   in Loop: Header=BB350_9 Depth=1
	s_andn2_saveexec_b64 s[28:29], s[28:29]
; %bb.172:                              ;   in Loop: Header=BB350_9 Depth=1
	v_or_b32_e32 v2, 0x10000, v1
	v_cmp_eq_u32_sdwa vcc, v1, v5 src0_sel:WORD_0 src1_sel:DWORD
	s_nop 1
	v_cndmask_b32_e32 v1, v2, v1, vcc
	v_accvgpr_write_b32 a39, v1
; %bb.173:                              ;   in Loop: Header=BB350_9 Depth=1
	s_or_b64 exec, exec, s[28:29]
	v_bfe_u32 v1, v0, 8, 8
	v_cvt_f32_fp8_sdwa v1, v1 src0_sel:BYTE_0
                                        ; implicit-def: $agpr40
	s_nop 0
	v_mul_f32_e32 v1, v34, v1
	v_and_b32_e32 v2, 0x7f800000, v1
	v_cmp_ne_u32_e32 vcc, s17, v2
	s_and_saveexec_b64 s[28:29], vcc
	s_xor_b64 s[28:29], exec, s[28:29]
; %bb.174:                              ;   in Loop: Header=BB350_9 Depth=1
	v_bfe_u32 v2, v1, 16, 1
	v_add3_u32 v1, v1, v2, s30
	v_accvgpr_write_b32 a40, v1
                                        ; implicit-def: $vgpr1
; %bb.175:                              ;   in Loop: Header=BB350_9 Depth=1
	s_andn2_saveexec_b64 s[28:29], s[28:29]
; %bb.176:                              ;   in Loop: Header=BB350_9 Depth=1
	v_or_b32_e32 v2, 0x10000, v1
	v_cmp_eq_u32_sdwa vcc, v1, v5 src0_sel:WORD_0 src1_sel:DWORD
	s_nop 1
	v_cndmask_b32_e32 v1, v2, v1, vcc
	v_accvgpr_write_b32 a40, v1
; %bb.177:                              ;   in Loop: Header=BB350_9 Depth=1
	s_or_b64 exec, exec, s[28:29]
	v_bfe_u32 v1, v0, 16, 8
	v_cvt_f32_fp8_sdwa v1, v1 src0_sel:BYTE_0
                                        ; implicit-def: $agpr41
	s_nop 0
	v_mul_f32_e32 v1, v34, v1
	v_and_b32_e32 v2, 0x7f800000, v1
	v_cmp_ne_u32_e32 vcc, s17, v2
	s_and_saveexec_b64 s[28:29], vcc
	s_xor_b64 s[28:29], exec, s[28:29]
; %bb.178:                              ;   in Loop: Header=BB350_9 Depth=1
	v_bfe_u32 v2, v1, 16, 1
	v_add3_u32 v1, v1, v2, s30
	v_accvgpr_write_b32 a41, v1
                                        ; implicit-def: $vgpr1
; %bb.179:                              ;   in Loop: Header=BB350_9 Depth=1
	s_andn2_saveexec_b64 s[28:29], s[28:29]
; %bb.180:                              ;   in Loop: Header=BB350_9 Depth=1
	v_or_b32_e32 v2, 0x10000, v1
	v_cmp_eq_u32_sdwa vcc, v1, v5 src0_sel:WORD_0 src1_sel:DWORD
	s_nop 1
	v_cndmask_b32_e32 v1, v2, v1, vcc
	v_accvgpr_write_b32 a41, v1
; %bb.181:                              ;   in Loop: Header=BB350_9 Depth=1
	s_or_b64 exec, exec, s[28:29]
	v_lshrrev_b32_e32 v0, 24, v0
	v_cvt_f32_fp8_sdwa v0, v0 src0_sel:BYTE_0
                                        ; implicit-def: $agpr42
	s_nop 0
	v_mul_f32_e32 v0, v34, v0
	v_and_b32_e32 v1, 0x7f800000, v0
	v_cmp_ne_u32_e32 vcc, s17, v1
	s_and_saveexec_b64 s[28:29], vcc
	s_xor_b64 s[28:29], exec, s[28:29]
; %bb.182:                              ;   in Loop: Header=BB350_9 Depth=1
	v_bfe_u32 v1, v0, 16, 1
	v_add3_u32 v0, v0, v1, s30
	v_accvgpr_write_b32 a42, v0
                                        ; implicit-def: $vgpr0
; %bb.183:                              ;   in Loop: Header=BB350_9 Depth=1
	s_andn2_saveexec_b64 s[28:29], s[28:29]
; %bb.184:                              ;   in Loop: Header=BB350_9 Depth=1
	v_or_b32_e32 v1, 0x10000, v0
	v_cmp_eq_u32_sdwa vcc, v0, v5 src0_sel:WORD_0 src1_sel:DWORD
	s_nop 1
	v_cndmask_b32_e32 v0, v1, v0, vcc
	v_accvgpr_write_b32 a42, v0
; %bb.185:                              ;   in Loop: Header=BB350_9 Depth=1
	s_or_b64 exec, exec, s[28:29]
	flat_load_dword v0, v[16:17] offset:2568
                                        ; implicit-def: $agpr43
	s_waitcnt vmcnt(0) lgkmcnt(0)
	v_and_b32_e32 v1, 0xff, v0
	v_cvt_f32_fp8_sdwa v1, v1 src0_sel:BYTE_0
	s_nop 0
	v_mul_f32_e32 v1, v34, v1
	v_and_b32_e32 v2, 0x7f800000, v1
	v_cmp_ne_u32_e32 vcc, s17, v2
	s_and_saveexec_b64 s[28:29], vcc
	s_xor_b64 s[28:29], exec, s[28:29]
; %bb.186:                              ;   in Loop: Header=BB350_9 Depth=1
	v_bfe_u32 v2, v1, 16, 1
	v_add3_u32 v1, v1, v2, s30
	v_accvgpr_write_b32 a43, v1
                                        ; implicit-def: $vgpr1
; %bb.187:                              ;   in Loop: Header=BB350_9 Depth=1
	s_andn2_saveexec_b64 s[28:29], s[28:29]
; %bb.188:                              ;   in Loop: Header=BB350_9 Depth=1
	v_or_b32_e32 v2, 0x10000, v1
	v_cmp_eq_u32_sdwa vcc, v1, v5 src0_sel:WORD_0 src1_sel:DWORD
	s_nop 1
	v_cndmask_b32_e32 v1, v2, v1, vcc
	v_accvgpr_write_b32 a43, v1
; %bb.189:                              ;   in Loop: Header=BB350_9 Depth=1
	s_or_b64 exec, exec, s[28:29]
	v_bfe_u32 v1, v0, 8, 8
	v_cvt_f32_fp8_sdwa v1, v1 src0_sel:BYTE_0
                                        ; implicit-def: $agpr44
	s_nop 0
	v_mul_f32_e32 v1, v34, v1
	v_and_b32_e32 v2, 0x7f800000, v1
	v_cmp_ne_u32_e32 vcc, s17, v2
	s_and_saveexec_b64 s[28:29], vcc
	s_xor_b64 s[28:29], exec, s[28:29]
; %bb.190:                              ;   in Loop: Header=BB350_9 Depth=1
	v_bfe_u32 v2, v1, 16, 1
	v_add3_u32 v1, v1, v2, s30
	v_accvgpr_write_b32 a44, v1
                                        ; implicit-def: $vgpr1
; %bb.191:                              ;   in Loop: Header=BB350_9 Depth=1
	s_andn2_saveexec_b64 s[28:29], s[28:29]
; %bb.192:                              ;   in Loop: Header=BB350_9 Depth=1
	v_or_b32_e32 v2, 0x10000, v1
	v_cmp_eq_u32_sdwa vcc, v1, v5 src0_sel:WORD_0 src1_sel:DWORD
	s_nop 1
	v_cndmask_b32_e32 v1, v2, v1, vcc
	v_accvgpr_write_b32 a44, v1
; %bb.193:                              ;   in Loop: Header=BB350_9 Depth=1
	s_or_b64 exec, exec, s[28:29]
	v_bfe_u32 v1, v0, 16, 8
	v_cvt_f32_fp8_sdwa v1, v1 src0_sel:BYTE_0
                                        ; implicit-def: $agpr45
	s_nop 0
	v_mul_f32_e32 v1, v34, v1
	v_and_b32_e32 v2, 0x7f800000, v1
	v_cmp_ne_u32_e32 vcc, s17, v2
	s_and_saveexec_b64 s[28:29], vcc
	s_xor_b64 s[28:29], exec, s[28:29]
; %bb.194:                              ;   in Loop: Header=BB350_9 Depth=1
	v_bfe_u32 v2, v1, 16, 1
	v_add3_u32 v1, v1, v2, s30
	v_accvgpr_write_b32 a45, v1
                                        ; implicit-def: $vgpr1
; %bb.195:                              ;   in Loop: Header=BB350_9 Depth=1
	s_andn2_saveexec_b64 s[28:29], s[28:29]
; %bb.196:                              ;   in Loop: Header=BB350_9 Depth=1
	v_or_b32_e32 v2, 0x10000, v1
	v_cmp_eq_u32_sdwa vcc, v1, v5 src0_sel:WORD_0 src1_sel:DWORD
	s_nop 1
	v_cndmask_b32_e32 v1, v2, v1, vcc
	v_accvgpr_write_b32 a45, v1
; %bb.197:                              ;   in Loop: Header=BB350_9 Depth=1
	s_or_b64 exec, exec, s[28:29]
	v_lshrrev_b32_e32 v0, 24, v0
	v_cvt_f32_fp8_sdwa v0, v0 src0_sel:BYTE_0
                                        ; implicit-def: $vgpr13
	s_nop 0
	v_mul_f32_e32 v0, v34, v0
	v_and_b32_e32 v1, 0x7f800000, v0
	v_cmp_ne_u32_e32 vcc, s17, v1
	s_and_saveexec_b64 s[28:29], vcc
	s_xor_b64 s[28:29], exec, s[28:29]
; %bb.198:                              ;   in Loop: Header=BB350_9 Depth=1
	v_bfe_u32 v1, v0, 16, 1
	v_add3_u32 v13, v0, v1, s30
                                        ; implicit-def: $vgpr0
; %bb.199:                              ;   in Loop: Header=BB350_9 Depth=1
	s_andn2_saveexec_b64 s[28:29], s[28:29]
; %bb.200:                              ;   in Loop: Header=BB350_9 Depth=1
	v_or_b32_e32 v1, 0x10000, v0
	v_cmp_eq_u32_sdwa vcc, v0, v5 src0_sel:WORD_0 src1_sel:DWORD
	s_nop 1
	v_cndmask_b32_e32 v13, v1, v0, vcc
; %bb.201:                              ;   in Loop: Header=BB350_9 Depth=1
	s_or_b64 exec, exec, s[28:29]
	flat_load_dword v0, v[16:17] offset:3072
                                        ; implicit-def: $vgpr18
	s_waitcnt vmcnt(0) lgkmcnt(0)
	v_and_b32_e32 v1, 0xff, v0
	v_cvt_f32_fp8_sdwa v1, v1 src0_sel:BYTE_0
	s_nop 0
	v_mul_f32_e32 v1, v34, v1
	v_and_b32_e32 v2, 0x7f800000, v1
	v_cmp_ne_u32_e32 vcc, s17, v2
	s_and_saveexec_b64 s[28:29], vcc
	s_xor_b64 s[28:29], exec, s[28:29]
; %bb.202:                              ;   in Loop: Header=BB350_9 Depth=1
	v_bfe_u32 v2, v1, 16, 1
	v_add3_u32 v18, v1, v2, s30
                                        ; implicit-def: $vgpr1
; %bb.203:                              ;   in Loop: Header=BB350_9 Depth=1
	s_andn2_saveexec_b64 s[28:29], s[28:29]
; %bb.204:                              ;   in Loop: Header=BB350_9 Depth=1
	v_or_b32_e32 v2, 0x10000, v1
	v_cmp_eq_u32_sdwa vcc, v1, v5 src0_sel:WORD_0 src1_sel:DWORD
	s_nop 1
	v_cndmask_b32_e32 v18, v2, v1, vcc
; %bb.205:                              ;   in Loop: Header=BB350_9 Depth=1
	s_or_b64 exec, exec, s[28:29]
	v_bfe_u32 v1, v0, 8, 8
	v_cvt_f32_fp8_sdwa v1, v1 src0_sel:BYTE_0
                                        ; implicit-def: $vgpr21
	s_nop 0
	v_mul_f32_e32 v1, v34, v1
	v_and_b32_e32 v2, 0x7f800000, v1
	v_cmp_ne_u32_e32 vcc, s17, v2
	s_and_saveexec_b64 s[28:29], vcc
	s_xor_b64 s[28:29], exec, s[28:29]
; %bb.206:                              ;   in Loop: Header=BB350_9 Depth=1
	v_bfe_u32 v2, v1, 16, 1
	v_add3_u32 v21, v1, v2, s30
                                        ; implicit-def: $vgpr1
; %bb.207:                              ;   in Loop: Header=BB350_9 Depth=1
	s_andn2_saveexec_b64 s[28:29], s[28:29]
; %bb.208:                              ;   in Loop: Header=BB350_9 Depth=1
	v_or_b32_e32 v2, 0x10000, v1
	v_cmp_eq_u32_sdwa vcc, v1, v5 src0_sel:WORD_0 src1_sel:DWORD
	s_nop 1
	v_cndmask_b32_e32 v21, v2, v1, vcc
; %bb.209:                              ;   in Loop: Header=BB350_9 Depth=1
	s_or_b64 exec, exec, s[28:29]
	v_bfe_u32 v1, v0, 16, 8
	v_cvt_f32_fp8_sdwa v1, v1 src0_sel:BYTE_0
                                        ; implicit-def: $vgpr20
	s_nop 0
	v_mul_f32_e32 v1, v34, v1
	v_and_b32_e32 v2, 0x7f800000, v1
	v_cmp_ne_u32_e32 vcc, s17, v2
	s_and_saveexec_b64 s[28:29], vcc
	s_xor_b64 s[28:29], exec, s[28:29]
; %bb.210:                              ;   in Loop: Header=BB350_9 Depth=1
	v_bfe_u32 v2, v1, 16, 1
	v_add3_u32 v20, v1, v2, s30
                                        ; implicit-def: $vgpr1
; %bb.211:                              ;   in Loop: Header=BB350_9 Depth=1
	s_andn2_saveexec_b64 s[28:29], s[28:29]
; %bb.212:                              ;   in Loop: Header=BB350_9 Depth=1
	v_or_b32_e32 v2, 0x10000, v1
	v_cmp_eq_u32_sdwa vcc, v1, v5 src0_sel:WORD_0 src1_sel:DWORD
	s_nop 1
	v_cndmask_b32_e32 v20, v2, v1, vcc
; %bb.213:                              ;   in Loop: Header=BB350_9 Depth=1
	s_or_b64 exec, exec, s[28:29]
	v_lshrrev_b32_e32 v0, 24, v0
	v_cvt_f32_fp8_sdwa v0, v0 src0_sel:BYTE_0
                                        ; implicit-def: $vgpr27
	s_nop 0
	v_mul_f32_e32 v0, v34, v0
	v_and_b32_e32 v1, 0x7f800000, v0
	v_cmp_ne_u32_e32 vcc, s17, v1
	s_and_saveexec_b64 s[28:29], vcc
	s_xor_b64 s[28:29], exec, s[28:29]
; %bb.214:                              ;   in Loop: Header=BB350_9 Depth=1
	v_bfe_u32 v1, v0, 16, 1
	v_add3_u32 v27, v0, v1, s30
                                        ; implicit-def: $vgpr0
; %bb.215:                              ;   in Loop: Header=BB350_9 Depth=1
	s_andn2_saveexec_b64 s[28:29], s[28:29]
; %bb.216:                              ;   in Loop: Header=BB350_9 Depth=1
	v_or_b32_e32 v1, 0x10000, v0
	v_cmp_eq_u32_sdwa vcc, v0, v5 src0_sel:WORD_0 src1_sel:DWORD
	s_nop 1
	v_cndmask_b32_e32 v27, v1, v0, vcc
; %bb.217:                              ;   in Loop: Header=BB350_9 Depth=1
	s_or_b64 exec, exec, s[28:29]
	flat_load_dword v0, v[16:17] offset:3080
                                        ; implicit-def: $vgpr29
	s_waitcnt vmcnt(0) lgkmcnt(0)
	v_and_b32_e32 v1, 0xff, v0
	v_cvt_f32_fp8_sdwa v1, v1 src0_sel:BYTE_0
	s_nop 0
	v_mul_f32_e32 v1, v34, v1
	v_and_b32_e32 v2, 0x7f800000, v1
	v_cmp_ne_u32_e32 vcc, s17, v2
	s_and_saveexec_b64 s[28:29], vcc
	s_xor_b64 s[28:29], exec, s[28:29]
; %bb.218:                              ;   in Loop: Header=BB350_9 Depth=1
	v_bfe_u32 v2, v1, 16, 1
	v_add3_u32 v29, v1, v2, s30
                                        ; implicit-def: $vgpr1
; %bb.219:                              ;   in Loop: Header=BB350_9 Depth=1
	s_andn2_saveexec_b64 s[28:29], s[28:29]
; %bb.220:                              ;   in Loop: Header=BB350_9 Depth=1
	v_or_b32_e32 v2, 0x10000, v1
	v_cmp_eq_u32_sdwa vcc, v1, v5 src0_sel:WORD_0 src1_sel:DWORD
	s_nop 1
	v_cndmask_b32_e32 v29, v2, v1, vcc
; %bb.221:                              ;   in Loop: Header=BB350_9 Depth=1
	s_or_b64 exec, exec, s[28:29]
	v_bfe_u32 v1, v0, 8, 8
	v_cvt_f32_fp8_sdwa v1, v1 src0_sel:BYTE_0
                                        ; implicit-def: $vgpr32
	s_nop 0
	v_mul_f32_e32 v1, v34, v1
	v_and_b32_e32 v2, 0x7f800000, v1
	v_cmp_ne_u32_e32 vcc, s17, v2
	s_and_saveexec_b64 s[28:29], vcc
	s_xor_b64 s[28:29], exec, s[28:29]
; %bb.222:                              ;   in Loop: Header=BB350_9 Depth=1
	v_bfe_u32 v2, v1, 16, 1
	v_add3_u32 v32, v1, v2, s30
                                        ; implicit-def: $vgpr1
; %bb.223:                              ;   in Loop: Header=BB350_9 Depth=1
	s_andn2_saveexec_b64 s[28:29], s[28:29]
; %bb.224:                              ;   in Loop: Header=BB350_9 Depth=1
	v_or_b32_e32 v2, 0x10000, v1
	v_cmp_eq_u32_sdwa vcc, v1, v5 src0_sel:WORD_0 src1_sel:DWORD
	s_nop 1
	v_cndmask_b32_e32 v32, v2, v1, vcc
; %bb.225:                              ;   in Loop: Header=BB350_9 Depth=1
	s_or_b64 exec, exec, s[28:29]
	v_bfe_u32 v1, v0, 16, 8
	v_cvt_f32_fp8_sdwa v1, v1 src0_sel:BYTE_0
                                        ; implicit-def: $vgpr33
	s_nop 0
	v_mul_f32_e32 v1, v34, v1
	v_and_b32_e32 v2, 0x7f800000, v1
	v_cmp_ne_u32_e32 vcc, s17, v2
	s_and_saveexec_b64 s[28:29], vcc
	s_xor_b64 s[28:29], exec, s[28:29]
; %bb.226:                              ;   in Loop: Header=BB350_9 Depth=1
	v_bfe_u32 v2, v1, 16, 1
	v_add3_u32 v33, v1, v2, s30
                                        ; implicit-def: $vgpr1
; %bb.227:                              ;   in Loop: Header=BB350_9 Depth=1
	s_andn2_saveexec_b64 s[28:29], s[28:29]
; %bb.228:                              ;   in Loop: Header=BB350_9 Depth=1
	v_or_b32_e32 v2, 0x10000, v1
	v_cmp_eq_u32_sdwa vcc, v1, v5 src0_sel:WORD_0 src1_sel:DWORD
	s_nop 1
	v_cndmask_b32_e32 v33, v2, v1, vcc
; %bb.229:                              ;   in Loop: Header=BB350_9 Depth=1
	s_or_b64 exec, exec, s[28:29]
	v_lshrrev_b32_e32 v0, 24, v0
	v_cvt_f32_fp8_sdwa v0, v0 src0_sel:BYTE_0
                                        ; implicit-def: $vgpr36
	s_nop 0
	v_mul_f32_e32 v0, v34, v0
	v_and_b32_e32 v1, 0x7f800000, v0
	v_cmp_ne_u32_e32 vcc, s17, v1
	s_and_saveexec_b64 s[28:29], vcc
	s_xor_b64 s[28:29], exec, s[28:29]
; %bb.230:                              ;   in Loop: Header=BB350_9 Depth=1
	v_bfe_u32 v1, v0, 16, 1
	v_add3_u32 v36, v0, v1, s30
                                        ; implicit-def: $vgpr0
; %bb.231:                              ;   in Loop: Header=BB350_9 Depth=1
	s_andn2_saveexec_b64 s[28:29], s[28:29]
; %bb.232:                              ;   in Loop: Header=BB350_9 Depth=1
	v_or_b32_e32 v1, 0x10000, v0
	v_cmp_eq_u32_sdwa vcc, v0, v5 src0_sel:WORD_0 src1_sel:DWORD
	s_nop 1
	v_cndmask_b32_e32 v36, v1, v0, vcc
; %bb.233:                              ;   in Loop: Header=BB350_9 Depth=1
	s_or_b64 exec, exec, s[28:29]
	flat_load_dword v0, v[16:17] offset:3584
                                        ; implicit-def: $vgpr37
	s_waitcnt vmcnt(0) lgkmcnt(0)
	v_and_b32_e32 v1, 0xff, v0
	v_cvt_f32_fp8_sdwa v1, v1 src0_sel:BYTE_0
	s_nop 0
	v_mul_f32_e32 v1, v34, v1
	v_and_b32_e32 v2, 0x7f800000, v1
	v_cmp_ne_u32_e32 vcc, s17, v2
	s_and_saveexec_b64 s[28:29], vcc
	s_xor_b64 s[28:29], exec, s[28:29]
; %bb.234:                              ;   in Loop: Header=BB350_9 Depth=1
	v_bfe_u32 v2, v1, 16, 1
	v_add3_u32 v37, v1, v2, s30
                                        ; implicit-def: $vgpr1
; %bb.235:                              ;   in Loop: Header=BB350_9 Depth=1
	s_andn2_saveexec_b64 s[28:29], s[28:29]
; %bb.236:                              ;   in Loop: Header=BB350_9 Depth=1
	v_or_b32_e32 v2, 0x10000, v1
	v_cmp_eq_u32_sdwa vcc, v1, v5 src0_sel:WORD_0 src1_sel:DWORD
	s_nop 1
	v_cndmask_b32_e32 v37, v2, v1, vcc
; %bb.237:                              ;   in Loop: Header=BB350_9 Depth=1
	s_or_b64 exec, exec, s[28:29]
	v_bfe_u32 v1, v0, 8, 8
	v_cvt_f32_fp8_sdwa v1, v1 src0_sel:BYTE_0
                                        ; implicit-def: $vgpr38
	s_nop 0
	v_mul_f32_e32 v1, v34, v1
	v_and_b32_e32 v2, 0x7f800000, v1
	v_cmp_ne_u32_e32 vcc, s17, v2
	s_and_saveexec_b64 s[28:29], vcc
	s_xor_b64 s[28:29], exec, s[28:29]
; %bb.238:                              ;   in Loop: Header=BB350_9 Depth=1
	v_bfe_u32 v2, v1, 16, 1
	v_add3_u32 v38, v1, v2, s30
                                        ; implicit-def: $vgpr1
; %bb.239:                              ;   in Loop: Header=BB350_9 Depth=1
	s_andn2_saveexec_b64 s[28:29], s[28:29]
; %bb.240:                              ;   in Loop: Header=BB350_9 Depth=1
	v_or_b32_e32 v2, 0x10000, v1
	v_cmp_eq_u32_sdwa vcc, v1, v5 src0_sel:WORD_0 src1_sel:DWORD
	s_nop 1
	v_cndmask_b32_e32 v38, v2, v1, vcc
; %bb.241:                              ;   in Loop: Header=BB350_9 Depth=1
	s_or_b64 exec, exec, s[28:29]
	v_bfe_u32 v1, v0, 16, 8
	v_cvt_f32_fp8_sdwa v1, v1 src0_sel:BYTE_0
                                        ; implicit-def: $vgpr48
	s_nop 0
	v_mul_f32_e32 v1, v34, v1
	v_and_b32_e32 v2, 0x7f800000, v1
	v_cmp_ne_u32_e32 vcc, s17, v2
	s_and_saveexec_b64 s[28:29], vcc
	s_xor_b64 s[28:29], exec, s[28:29]
; %bb.242:                              ;   in Loop: Header=BB350_9 Depth=1
	v_bfe_u32 v2, v1, 16, 1
	v_add3_u32 v48, v1, v2, s30
                                        ; implicit-def: $vgpr1
; %bb.243:                              ;   in Loop: Header=BB350_9 Depth=1
	s_andn2_saveexec_b64 s[28:29], s[28:29]
; %bb.244:                              ;   in Loop: Header=BB350_9 Depth=1
	v_or_b32_e32 v2, 0x10000, v1
	v_cmp_eq_u32_sdwa vcc, v1, v5 src0_sel:WORD_0 src1_sel:DWORD
	s_nop 1
	v_cndmask_b32_e32 v48, v2, v1, vcc
; %bb.245:                              ;   in Loop: Header=BB350_9 Depth=1
	s_or_b64 exec, exec, s[28:29]
	v_lshrrev_b32_e32 v0, 24, v0
	v_cvt_f32_fp8_sdwa v0, v0 src0_sel:BYTE_0
                                        ; implicit-def: $vgpr50
	s_nop 0
	v_mul_f32_e32 v0, v34, v0
	v_and_b32_e32 v1, 0x7f800000, v0
	v_cmp_ne_u32_e32 vcc, s17, v1
	s_and_saveexec_b64 s[28:29], vcc
	s_xor_b64 s[28:29], exec, s[28:29]
; %bb.246:                              ;   in Loop: Header=BB350_9 Depth=1
	v_bfe_u32 v1, v0, 16, 1
	v_add3_u32 v50, v0, v1, s30
                                        ; implicit-def: $vgpr0
; %bb.247:                              ;   in Loop: Header=BB350_9 Depth=1
	s_andn2_saveexec_b64 s[28:29], s[28:29]
; %bb.248:                              ;   in Loop: Header=BB350_9 Depth=1
	v_or_b32_e32 v1, 0x10000, v0
	v_cmp_eq_u32_sdwa vcc, v0, v5 src0_sel:WORD_0 src1_sel:DWORD
	s_nop 1
	v_cndmask_b32_e32 v50, v1, v0, vcc
; %bb.249:                              ;   in Loop: Header=BB350_9 Depth=1
	s_or_b64 exec, exec, s[28:29]
	flat_load_dword v0, v[16:17] offset:3592
                                        ; implicit-def: $vgpr51
	s_waitcnt vmcnt(0) lgkmcnt(0)
	v_and_b32_e32 v1, 0xff, v0
	v_cvt_f32_fp8_sdwa v1, v1 src0_sel:BYTE_0
	s_nop 0
	v_mul_f32_e32 v1, v34, v1
	v_and_b32_e32 v2, 0x7f800000, v1
	v_cmp_ne_u32_e32 vcc, s17, v2
	s_and_saveexec_b64 s[28:29], vcc
	s_xor_b64 s[28:29], exec, s[28:29]
; %bb.250:                              ;   in Loop: Header=BB350_9 Depth=1
	v_bfe_u32 v2, v1, 16, 1
	v_add3_u32 v51, v1, v2, s30
                                        ; implicit-def: $vgpr1
; %bb.251:                              ;   in Loop: Header=BB350_9 Depth=1
	s_andn2_saveexec_b64 s[28:29], s[28:29]
; %bb.252:                              ;   in Loop: Header=BB350_9 Depth=1
	v_or_b32_e32 v2, 0x10000, v1
	v_cmp_eq_u32_sdwa vcc, v1, v5 src0_sel:WORD_0 src1_sel:DWORD
	s_nop 1
	v_cndmask_b32_e32 v51, v2, v1, vcc
; %bb.253:                              ;   in Loop: Header=BB350_9 Depth=1
	s_or_b64 exec, exec, s[28:29]
	v_bfe_u32 v1, v0, 8, 8
	v_cvt_f32_fp8_sdwa v1, v1 src0_sel:BYTE_0
                                        ; implicit-def: $vgpr52
	s_nop 0
	v_mul_f32_e32 v1, v34, v1
	v_and_b32_e32 v2, 0x7f800000, v1
	v_cmp_ne_u32_e32 vcc, s17, v2
	s_and_saveexec_b64 s[28:29], vcc
	s_xor_b64 s[28:29], exec, s[28:29]
; %bb.254:                              ;   in Loop: Header=BB350_9 Depth=1
	v_bfe_u32 v2, v1, 16, 1
	v_add3_u32 v52, v1, v2, s30
                                        ; implicit-def: $vgpr1
; %bb.255:                              ;   in Loop: Header=BB350_9 Depth=1
	s_andn2_saveexec_b64 s[28:29], s[28:29]
; %bb.256:                              ;   in Loop: Header=BB350_9 Depth=1
	v_or_b32_e32 v2, 0x10000, v1
	v_cmp_eq_u32_sdwa vcc, v1, v5 src0_sel:WORD_0 src1_sel:DWORD
	s_nop 1
	v_cndmask_b32_e32 v52, v2, v1, vcc
; %bb.257:                              ;   in Loop: Header=BB350_9 Depth=1
	s_or_b64 exec, exec, s[28:29]
	v_bfe_u32 v1, v0, 16, 8
	v_cvt_f32_fp8_sdwa v1, v1 src0_sel:BYTE_0
                                        ; implicit-def: $vgpr53
	s_nop 0
	v_mul_f32_e32 v1, v34, v1
	v_and_b32_e32 v2, 0x7f800000, v1
	v_cmp_ne_u32_e32 vcc, s17, v2
	s_and_saveexec_b64 s[28:29], vcc
	s_xor_b64 s[28:29], exec, s[28:29]
; %bb.258:                              ;   in Loop: Header=BB350_9 Depth=1
	v_bfe_u32 v2, v1, 16, 1
	v_add3_u32 v53, v1, v2, s30
                                        ; implicit-def: $vgpr1
; %bb.259:                              ;   in Loop: Header=BB350_9 Depth=1
	s_andn2_saveexec_b64 s[28:29], s[28:29]
; %bb.260:                              ;   in Loop: Header=BB350_9 Depth=1
	v_or_b32_e32 v2, 0x10000, v1
	v_cmp_eq_u32_sdwa vcc, v1, v5 src0_sel:WORD_0 src1_sel:DWORD
	s_nop 1
	v_cndmask_b32_e32 v53, v2, v1, vcc
; %bb.261:                              ;   in Loop: Header=BB350_9 Depth=1
	s_or_b64 exec, exec, s[28:29]
	v_lshrrev_b32_e32 v0, 24, v0
	v_cvt_f32_fp8_sdwa v0, v0 src0_sel:BYTE_0
                                        ; implicit-def: $vgpr54
	s_nop 0
	v_mul_f32_e32 v0, v34, v0
	v_and_b32_e32 v1, 0x7f800000, v0
	v_cmp_ne_u32_e32 vcc, s17, v1
	s_and_saveexec_b64 s[28:29], vcc
	s_xor_b64 s[28:29], exec, s[28:29]
; %bb.262:                              ;   in Loop: Header=BB350_9 Depth=1
	v_bfe_u32 v1, v0, 16, 1
	v_add3_u32 v54, v0, v1, s30
                                        ; implicit-def: $vgpr0
; %bb.263:                              ;   in Loop: Header=BB350_9 Depth=1
	s_andn2_saveexec_b64 s[28:29], s[28:29]
; %bb.264:                              ;   in Loop: Header=BB350_9 Depth=1
	v_or_b32_e32 v1, 0x10000, v0
	v_cmp_eq_u32_sdwa vcc, v0, v5 src0_sel:WORD_0 src1_sel:DWORD
	s_nop 1
	v_cndmask_b32_e32 v54, v1, v0, vcc
; %bb.265:                              ;   in Loop: Header=BB350_9 Depth=1
	s_or_b64 exec, exec, s[28:29]
	v_add_co_u32_e32 v0, vcc, 0x1000, v16
                                        ; implicit-def: $vgpr55
	s_nop 1
	v_addc_co_u32_e32 v1, vcc, 0, v17, vcc
	flat_load_dword v0, v[0:1]
	s_waitcnt vmcnt(0) lgkmcnt(0)
	v_and_b32_e32 v1, 0xff, v0
	v_cvt_f32_fp8_sdwa v1, v1 src0_sel:BYTE_0
	s_nop 0
	v_mul_f32_e32 v1, v34, v1
	v_and_b32_e32 v2, 0x7f800000, v1
	v_cmp_ne_u32_e32 vcc, s17, v2
	s_and_saveexec_b64 s[28:29], vcc
	s_xor_b64 s[28:29], exec, s[28:29]
; %bb.266:                              ;   in Loop: Header=BB350_9 Depth=1
	v_bfe_u32 v2, v1, 16, 1
	v_add3_u32 v55, v1, v2, s30
                                        ; implicit-def: $vgpr1
; %bb.267:                              ;   in Loop: Header=BB350_9 Depth=1
	s_andn2_saveexec_b64 s[28:29], s[28:29]
; %bb.268:                              ;   in Loop: Header=BB350_9 Depth=1
	v_or_b32_e32 v2, 0x10000, v1
	v_cmp_eq_u32_sdwa vcc, v1, v5 src0_sel:WORD_0 src1_sel:DWORD
	s_nop 1
	v_cndmask_b32_e32 v55, v2, v1, vcc
; %bb.269:                              ;   in Loop: Header=BB350_9 Depth=1
	s_or_b64 exec, exec, s[28:29]
	v_bfe_u32 v1, v0, 8, 8
	v_cvt_f32_fp8_sdwa v1, v1 src0_sel:BYTE_0
                                        ; implicit-def: $vgpr40
	s_nop 0
	v_mul_f32_e32 v1, v34, v1
	v_and_b32_e32 v2, 0x7f800000, v1
	v_cmp_ne_u32_e32 vcc, s17, v2
	s_and_saveexec_b64 s[28:29], vcc
	s_xor_b64 s[28:29], exec, s[28:29]
; %bb.270:                              ;   in Loop: Header=BB350_9 Depth=1
	v_bfe_u32 v2, v1, 16, 1
	v_add3_u32 v40, v1, v2, s30
                                        ; implicit-def: $vgpr1
; %bb.271:                              ;   in Loop: Header=BB350_9 Depth=1
	s_andn2_saveexec_b64 s[28:29], s[28:29]
; %bb.272:                              ;   in Loop: Header=BB350_9 Depth=1
	v_or_b32_e32 v2, 0x10000, v1
	v_cmp_eq_u32_sdwa vcc, v1, v5 src0_sel:WORD_0 src1_sel:DWORD
	s_nop 1
	v_cndmask_b32_e32 v40, v2, v1, vcc
; %bb.273:                              ;   in Loop: Header=BB350_9 Depth=1
	s_or_b64 exec, exec, s[28:29]
	v_bfe_u32 v1, v0, 16, 8
	v_cvt_f32_fp8_sdwa v1, v1 src0_sel:BYTE_0
                                        ; implicit-def: $vgpr41
	s_nop 0
	v_mul_f32_e32 v1, v34, v1
	v_and_b32_e32 v2, 0x7f800000, v1
	v_cmp_ne_u32_e32 vcc, s17, v2
	s_and_saveexec_b64 s[28:29], vcc
	s_xor_b64 s[28:29], exec, s[28:29]
; %bb.274:                              ;   in Loop: Header=BB350_9 Depth=1
	v_bfe_u32 v2, v1, 16, 1
	v_add3_u32 v41, v1, v2, s30
                                        ; implicit-def: $vgpr1
; %bb.275:                              ;   in Loop: Header=BB350_9 Depth=1
	s_andn2_saveexec_b64 s[28:29], s[28:29]
; %bb.276:                              ;   in Loop: Header=BB350_9 Depth=1
	v_or_b32_e32 v2, 0x10000, v1
	v_cmp_eq_u32_sdwa vcc, v1, v5 src0_sel:WORD_0 src1_sel:DWORD
	s_nop 1
	v_cndmask_b32_e32 v41, v2, v1, vcc
; %bb.277:                              ;   in Loop: Header=BB350_9 Depth=1
	s_or_b64 exec, exec, s[28:29]
	v_lshrrev_b32_e32 v0, 24, v0
	v_cvt_f32_fp8_sdwa v0, v0 src0_sel:BYTE_0
                                        ; implicit-def: $vgpr42
	s_nop 0
	v_mul_f32_e32 v0, v34, v0
	v_and_b32_e32 v1, 0x7f800000, v0
	v_cmp_ne_u32_e32 vcc, s17, v1
	s_and_saveexec_b64 s[28:29], vcc
	s_xor_b64 s[28:29], exec, s[28:29]
; %bb.278:                              ;   in Loop: Header=BB350_9 Depth=1
	v_bfe_u32 v1, v0, 16, 1
	v_add3_u32 v42, v0, v1, s30
                                        ; implicit-def: $vgpr0
; %bb.279:                              ;   in Loop: Header=BB350_9 Depth=1
	s_andn2_saveexec_b64 s[28:29], s[28:29]
; %bb.280:                              ;   in Loop: Header=BB350_9 Depth=1
	v_or_b32_e32 v1, 0x10000, v0
	v_cmp_eq_u32_sdwa vcc, v0, v5 src0_sel:WORD_0 src1_sel:DWORD
	s_nop 1
	v_cndmask_b32_e32 v42, v1, v0, vcc
; %bb.281:                              ;   in Loop: Header=BB350_9 Depth=1
	s_or_b64 exec, exec, s[28:29]
	v_lshl_add_u64 v[0:1], v[16:17], 0, s[20:21]
	flat_load_dword v0, v[0:1] offset:8
                                        ; implicit-def: $vgpr26
	s_waitcnt vmcnt(0) lgkmcnt(0)
	v_and_b32_e32 v1, 0xff, v0
	v_cvt_f32_fp8_sdwa v1, v1 src0_sel:BYTE_0
	s_nop 0
	v_mul_f32_e32 v1, v34, v1
	v_and_b32_e32 v2, 0x7f800000, v1
	v_cmp_ne_u32_e32 vcc, s17, v2
	s_and_saveexec_b64 s[28:29], vcc
	s_xor_b64 s[28:29], exec, s[28:29]
; %bb.282:                              ;   in Loop: Header=BB350_9 Depth=1
	v_bfe_u32 v2, v1, 16, 1
	v_add3_u32 v26, v1, v2, s30
                                        ; implicit-def: $vgpr1
; %bb.283:                              ;   in Loop: Header=BB350_9 Depth=1
	s_andn2_saveexec_b64 s[28:29], s[28:29]
; %bb.284:                              ;   in Loop: Header=BB350_9 Depth=1
	v_or_b32_e32 v2, 0x10000, v1
	v_cmp_eq_u32_sdwa vcc, v1, v5 src0_sel:WORD_0 src1_sel:DWORD
	s_nop 1
	v_cndmask_b32_e32 v26, v2, v1, vcc
; %bb.285:                              ;   in Loop: Header=BB350_9 Depth=1
	s_or_b64 exec, exec, s[28:29]
	v_bfe_u32 v1, v0, 8, 8
	v_cvt_f32_fp8_sdwa v1, v1 src0_sel:BYTE_0
                                        ; implicit-def: $vgpr43
	s_nop 0
	v_mul_f32_e32 v1, v34, v1
	v_and_b32_e32 v2, 0x7f800000, v1
	v_cmp_ne_u32_e32 vcc, s17, v2
	s_and_saveexec_b64 s[28:29], vcc
	s_xor_b64 s[28:29], exec, s[28:29]
; %bb.286:                              ;   in Loop: Header=BB350_9 Depth=1
	v_bfe_u32 v2, v1, 16, 1
	v_add3_u32 v43, v1, v2, s30
                                        ; implicit-def: $vgpr1
; %bb.287:                              ;   in Loop: Header=BB350_9 Depth=1
	s_andn2_saveexec_b64 s[28:29], s[28:29]
; %bb.288:                              ;   in Loop: Header=BB350_9 Depth=1
	v_or_b32_e32 v2, 0x10000, v1
	v_cmp_eq_u32_sdwa vcc, v1, v5 src0_sel:WORD_0 src1_sel:DWORD
	s_nop 1
	v_cndmask_b32_e32 v43, v2, v1, vcc
; %bb.289:                              ;   in Loop: Header=BB350_9 Depth=1
	s_or_b64 exec, exec, s[28:29]
	v_bfe_u32 v1, v0, 16, 8
	v_cvt_f32_fp8_sdwa v1, v1 src0_sel:BYTE_0
                                        ; implicit-def: $vgpr44
	s_nop 0
	v_mul_f32_e32 v1, v34, v1
	v_and_b32_e32 v2, 0x7f800000, v1
	v_cmp_ne_u32_e32 vcc, s17, v2
	s_and_saveexec_b64 s[28:29], vcc
	s_xor_b64 s[28:29], exec, s[28:29]
; %bb.290:                              ;   in Loop: Header=BB350_9 Depth=1
	v_bfe_u32 v2, v1, 16, 1
	v_add3_u32 v44, v1, v2, s30
                                        ; implicit-def: $vgpr1
; %bb.291:                              ;   in Loop: Header=BB350_9 Depth=1
	s_andn2_saveexec_b64 s[28:29], s[28:29]
; %bb.292:                              ;   in Loop: Header=BB350_9 Depth=1
	v_or_b32_e32 v2, 0x10000, v1
	v_cmp_eq_u32_sdwa vcc, v1, v5 src0_sel:WORD_0 src1_sel:DWORD
	s_nop 1
	v_cndmask_b32_e32 v44, v2, v1, vcc
; %bb.293:                              ;   in Loop: Header=BB350_9 Depth=1
	s_or_b64 exec, exec, s[28:29]
	v_lshrrev_b32_e32 v0, 24, v0
	v_cvt_f32_fp8_sdwa v0, v0 src0_sel:BYTE_0
                                        ; implicit-def: $vgpr45
	s_nop 0
	v_mul_f32_e32 v0, v34, v0
	v_and_b32_e32 v1, 0x7f800000, v0
	v_cmp_ne_u32_e32 vcc, s17, v1
	s_and_saveexec_b64 s[28:29], vcc
	s_xor_b64 s[28:29], exec, s[28:29]
; %bb.294:                              ;   in Loop: Header=BB350_9 Depth=1
	v_bfe_u32 v1, v0, 16, 1
	v_add3_u32 v45, v0, v1, s30
                                        ; implicit-def: $vgpr0
; %bb.295:                              ;   in Loop: Header=BB350_9 Depth=1
	s_andn2_saveexec_b64 s[28:29], s[28:29]
; %bb.296:                              ;   in Loop: Header=BB350_9 Depth=1
	v_or_b32_e32 v1, 0x10000, v0
	v_cmp_eq_u32_sdwa vcc, v0, v5 src0_sel:WORD_0 src1_sel:DWORD
	s_nop 1
	v_cndmask_b32_e32 v45, v1, v0, vcc
; %bb.297:                              ;   in Loop: Header=BB350_9 Depth=1
	s_or_b64 exec, exec, s[28:29]
	v_add_co_u32_e32 v0, vcc, 0x1000, v16
                                        ; implicit-def: $vgpr46
	s_nop 1
	v_addc_co_u32_e32 v1, vcc, 0, v17, vcc
	flat_load_dword v0, v[0:1] offset:512
	s_waitcnt vmcnt(0) lgkmcnt(0)
	v_and_b32_e32 v1, 0xff, v0
	v_cvt_f32_fp8_sdwa v1, v1 src0_sel:BYTE_0
	s_nop 0
	v_mul_f32_e32 v1, v34, v1
	v_and_b32_e32 v2, 0x7f800000, v1
	v_cmp_ne_u32_e32 vcc, s17, v2
	s_and_saveexec_b64 s[28:29], vcc
	s_xor_b64 s[28:29], exec, s[28:29]
; %bb.298:                              ;   in Loop: Header=BB350_9 Depth=1
	v_bfe_u32 v2, v1, 16, 1
	v_add3_u32 v46, v1, v2, s30
                                        ; implicit-def: $vgpr1
; %bb.299:                              ;   in Loop: Header=BB350_9 Depth=1
	s_andn2_saveexec_b64 s[28:29], s[28:29]
; %bb.300:                              ;   in Loop: Header=BB350_9 Depth=1
	v_or_b32_e32 v2, 0x10000, v1
	v_cmp_eq_u32_sdwa vcc, v1, v5 src0_sel:WORD_0 src1_sel:DWORD
	s_nop 1
	v_cndmask_b32_e32 v46, v2, v1, vcc
; %bb.301:                              ;   in Loop: Header=BB350_9 Depth=1
	s_or_b64 exec, exec, s[28:29]
	v_bfe_u32 v1, v0, 8, 8
	v_cvt_f32_fp8_sdwa v1, v1 src0_sel:BYTE_0
                                        ; implicit-def: $vgpr47
	s_nop 0
	v_mul_f32_e32 v1, v34, v1
	v_and_b32_e32 v2, 0x7f800000, v1
	v_cmp_ne_u32_e32 vcc, s17, v2
	s_and_saveexec_b64 s[28:29], vcc
	s_xor_b64 s[28:29], exec, s[28:29]
; %bb.302:                              ;   in Loop: Header=BB350_9 Depth=1
	v_bfe_u32 v2, v1, 16, 1
	v_add3_u32 v47, v1, v2, s30
                                        ; implicit-def: $vgpr1
; %bb.303:                              ;   in Loop: Header=BB350_9 Depth=1
	s_andn2_saveexec_b64 s[28:29], s[28:29]
; %bb.304:                              ;   in Loop: Header=BB350_9 Depth=1
	v_or_b32_e32 v2, 0x10000, v1
	v_cmp_eq_u32_sdwa vcc, v1, v5 src0_sel:WORD_0 src1_sel:DWORD
	s_nop 1
	v_cndmask_b32_e32 v47, v2, v1, vcc
; %bb.305:                              ;   in Loop: Header=BB350_9 Depth=1
	s_or_b64 exec, exec, s[28:29]
	v_bfe_u32 v1, v0, 16, 8
	v_cvt_f32_fp8_sdwa v1, v1 src0_sel:BYTE_0
                                        ; implicit-def: $vgpr56
	s_nop 0
	v_mul_f32_e32 v1, v34, v1
	v_and_b32_e32 v2, 0x7f800000, v1
	v_cmp_ne_u32_e32 vcc, s17, v2
	s_and_saveexec_b64 s[28:29], vcc
	s_xor_b64 s[28:29], exec, s[28:29]
; %bb.306:                              ;   in Loop: Header=BB350_9 Depth=1
	v_bfe_u32 v2, v1, 16, 1
	v_add3_u32 v56, v1, v2, s30
                                        ; implicit-def: $vgpr1
; %bb.307:                              ;   in Loop: Header=BB350_9 Depth=1
	s_andn2_saveexec_b64 s[28:29], s[28:29]
; %bb.308:                              ;   in Loop: Header=BB350_9 Depth=1
	v_or_b32_e32 v2, 0x10000, v1
	v_cmp_eq_u32_sdwa vcc, v1, v5 src0_sel:WORD_0 src1_sel:DWORD
	s_nop 1
	v_cndmask_b32_e32 v56, v2, v1, vcc
; %bb.309:                              ;   in Loop: Header=BB350_9 Depth=1
	s_or_b64 exec, exec, s[28:29]
	v_lshrrev_b32_e32 v0, 24, v0
	v_cvt_f32_fp8_sdwa v0, v0 src0_sel:BYTE_0
                                        ; implicit-def: $vgpr57
	s_nop 0
	v_mul_f32_e32 v0, v34, v0
	v_and_b32_e32 v1, 0x7f800000, v0
	v_cmp_ne_u32_e32 vcc, s17, v1
	s_and_saveexec_b64 s[28:29], vcc
	s_xor_b64 s[28:29], exec, s[28:29]
; %bb.310:                              ;   in Loop: Header=BB350_9 Depth=1
	v_bfe_u32 v1, v0, 16, 1
	v_add3_u32 v57, v0, v1, s30
                                        ; implicit-def: $vgpr0
; %bb.311:                              ;   in Loop: Header=BB350_9 Depth=1
	s_andn2_saveexec_b64 s[28:29], s[28:29]
; %bb.312:                              ;   in Loop: Header=BB350_9 Depth=1
	v_or_b32_e32 v1, 0x10000, v0
	v_cmp_eq_u32_sdwa vcc, v0, v5 src0_sel:WORD_0 src1_sel:DWORD
	s_nop 1
	v_cndmask_b32_e32 v57, v1, v0, vcc
; %bb.313:                              ;   in Loop: Header=BB350_9 Depth=1
	s_or_b64 exec, exec, s[28:29]
	v_lshl_add_u64 v[0:1], v[16:17], 0, s[22:23]
	flat_load_dword v0, v[0:1] offset:8
                                        ; implicit-def: $vgpr58
	s_waitcnt vmcnt(0) lgkmcnt(0)
	v_and_b32_e32 v1, 0xff, v0
	v_cvt_f32_fp8_sdwa v1, v1 src0_sel:BYTE_0
	s_nop 0
	v_mul_f32_e32 v1, v34, v1
	v_and_b32_e32 v2, 0x7f800000, v1
	v_cmp_ne_u32_e32 vcc, s17, v2
	s_and_saveexec_b64 s[28:29], vcc
	s_xor_b64 s[28:29], exec, s[28:29]
; %bb.314:                              ;   in Loop: Header=BB350_9 Depth=1
	v_bfe_u32 v2, v1, 16, 1
	v_add3_u32 v58, v1, v2, s30
                                        ; implicit-def: $vgpr1
; %bb.315:                              ;   in Loop: Header=BB350_9 Depth=1
	s_andn2_saveexec_b64 s[28:29], s[28:29]
; %bb.316:                              ;   in Loop: Header=BB350_9 Depth=1
	v_or_b32_e32 v2, 0x10000, v1
	v_cmp_eq_u32_sdwa vcc, v1, v5 src0_sel:WORD_0 src1_sel:DWORD
	s_nop 1
	v_cndmask_b32_e32 v58, v2, v1, vcc
; %bb.317:                              ;   in Loop: Header=BB350_9 Depth=1
	s_or_b64 exec, exec, s[28:29]
	v_bfe_u32 v1, v0, 8, 8
	v_cvt_f32_fp8_sdwa v1, v1 src0_sel:BYTE_0
                                        ; implicit-def: $vgpr59
	s_nop 0
	v_mul_f32_e32 v1, v34, v1
	v_and_b32_e32 v2, 0x7f800000, v1
	v_cmp_ne_u32_e32 vcc, s17, v2
	s_and_saveexec_b64 s[28:29], vcc
	s_xor_b64 s[28:29], exec, s[28:29]
; %bb.318:                              ;   in Loop: Header=BB350_9 Depth=1
	v_bfe_u32 v2, v1, 16, 1
	v_add3_u32 v59, v1, v2, s30
                                        ; implicit-def: $vgpr1
; %bb.319:                              ;   in Loop: Header=BB350_9 Depth=1
	s_andn2_saveexec_b64 s[28:29], s[28:29]
; %bb.320:                              ;   in Loop: Header=BB350_9 Depth=1
	v_or_b32_e32 v2, 0x10000, v1
	v_cmp_eq_u32_sdwa vcc, v1, v5 src0_sel:WORD_0 src1_sel:DWORD
	s_nop 1
	v_cndmask_b32_e32 v59, v2, v1, vcc
; %bb.321:                              ;   in Loop: Header=BB350_9 Depth=1
	s_or_b64 exec, exec, s[28:29]
	v_bfe_u32 v1, v0, 16, 8
	v_cvt_f32_fp8_sdwa v1, v1 src0_sel:BYTE_0
                                        ; implicit-def: $vgpr60
	s_nop 0
	v_mul_f32_e32 v1, v34, v1
	v_and_b32_e32 v2, 0x7f800000, v1
	v_cmp_ne_u32_e32 vcc, s17, v2
	s_and_saveexec_b64 s[28:29], vcc
	s_xor_b64 s[28:29], exec, s[28:29]
; %bb.322:                              ;   in Loop: Header=BB350_9 Depth=1
	v_bfe_u32 v2, v1, 16, 1
	v_add3_u32 v60, v1, v2, s30
                                        ; implicit-def: $vgpr1
; %bb.323:                              ;   in Loop: Header=BB350_9 Depth=1
	s_andn2_saveexec_b64 s[28:29], s[28:29]
; %bb.324:                              ;   in Loop: Header=BB350_9 Depth=1
	v_or_b32_e32 v2, 0x10000, v1
	v_cmp_eq_u32_sdwa vcc, v1, v5 src0_sel:WORD_0 src1_sel:DWORD
	s_nop 1
	v_cndmask_b32_e32 v60, v2, v1, vcc
; %bb.325:                              ;   in Loop: Header=BB350_9 Depth=1
	s_or_b64 exec, exec, s[28:29]
	v_lshrrev_b32_e32 v0, 24, v0
	v_cvt_f32_fp8_sdwa v0, v0 src0_sel:BYTE_0
                                        ; implicit-def: $vgpr61
	s_nop 0
	v_mul_f32_e32 v0, v34, v0
	v_and_b32_e32 v1, 0x7f800000, v0
	v_cmp_ne_u32_e32 vcc, s17, v1
	s_and_saveexec_b64 s[28:29], vcc
	s_xor_b64 s[28:29], exec, s[28:29]
; %bb.326:                              ;   in Loop: Header=BB350_9 Depth=1
	v_bfe_u32 v1, v0, 16, 1
	v_add3_u32 v61, v0, v1, s30
                                        ; implicit-def: $vgpr0
; %bb.327:                              ;   in Loop: Header=BB350_9 Depth=1
	s_andn2_saveexec_b64 s[28:29], s[28:29]
; %bb.328:                              ;   in Loop: Header=BB350_9 Depth=1
	v_or_b32_e32 v1, 0x10000, v0
	v_cmp_eq_u32_sdwa vcc, v0, v5 src0_sel:WORD_0 src1_sel:DWORD
	s_nop 1
	v_cndmask_b32_e32 v61, v1, v0, vcc
; %bb.329:                              ;   in Loop: Header=BB350_9 Depth=1
	s_or_b64 exec, exec, s[28:29]
	v_add_co_u32_e32 v0, vcc, 0x1000, v16
                                        ; implicit-def: $vgpr62
	s_nop 1
	v_addc_co_u32_e32 v1, vcc, 0, v17, vcc
	flat_load_dword v1, v[0:1] offset:1024
	s_waitcnt vmcnt(0) lgkmcnt(0)
	v_and_b32_e32 v0, 0xff, v1
	v_cvt_f32_fp8_sdwa v0, v0 src0_sel:BYTE_0
	s_nop 0
	v_mul_f32_e32 v0, v34, v0
	v_and_b32_e32 v2, 0x7f800000, v0
	v_cmp_ne_u32_e32 vcc, s17, v2
	s_and_saveexec_b64 s[28:29], vcc
	s_xor_b64 s[28:29], exec, s[28:29]
; %bb.330:                              ;   in Loop: Header=BB350_9 Depth=1
	v_bfe_u32 v2, v0, 16, 1
	v_add3_u32 v62, v0, v2, s30
                                        ; implicit-def: $vgpr0
; %bb.331:                              ;   in Loop: Header=BB350_9 Depth=1
	s_andn2_saveexec_b64 s[28:29], s[28:29]
; %bb.332:                              ;   in Loop: Header=BB350_9 Depth=1
	v_or_b32_e32 v2, 0x10000, v0
	v_cmp_eq_u32_sdwa vcc, v0, v5 src0_sel:WORD_0 src1_sel:DWORD
	s_nop 1
	v_cndmask_b32_e32 v62, v2, v0, vcc
; %bb.333:                              ;   in Loop: Header=BB350_9 Depth=1
	s_or_b64 exec, exec, s[28:29]
	v_bfe_u32 v0, v1, 8, 8
	v_cvt_f32_fp8_sdwa v0, v0 src0_sel:BYTE_0
	s_nop 0
	v_mul_f32_e32 v2, v34, v0
	v_and_b32_e32 v0, 0x7f800000, v2
	v_cmp_ne_u32_e32 vcc, s17, v0
                                        ; implicit-def: $vgpr0
	s_and_saveexec_b64 s[28:29], vcc
	s_xor_b64 s[28:29], exec, s[28:29]
; %bb.334:                              ;   in Loop: Header=BB350_9 Depth=1
	v_bfe_u32 v0, v2, 16, 1
	v_add3_u32 v0, v2, v0, s30
                                        ; implicit-def: $vgpr2
; %bb.335:                              ;   in Loop: Header=BB350_9 Depth=1
	s_andn2_saveexec_b64 s[28:29], s[28:29]
; %bb.336:                              ;   in Loop: Header=BB350_9 Depth=1
	v_or_b32_e32 v0, 0x10000, v2
	v_cmp_eq_u32_sdwa vcc, v2, v5 src0_sel:WORD_0 src1_sel:DWORD
	s_nop 1
	v_cndmask_b32_e32 v0, v0, v2, vcc
; %bb.337:                              ;   in Loop: Header=BB350_9 Depth=1
	s_or_b64 exec, exec, s[28:29]
	v_bfe_u32 v2, v1, 16, 8
	v_cvt_f32_fp8_sdwa v2, v2 src0_sel:BYTE_0
	s_nop 0
	v_mul_f32_e32 v3, v34, v2
	v_and_b32_e32 v2, 0x7f800000, v3
	v_cmp_ne_u32_e32 vcc, s17, v2
                                        ; implicit-def: $vgpr2
	s_and_saveexec_b64 s[28:29], vcc
	s_xor_b64 s[28:29], exec, s[28:29]
; %bb.338:                              ;   in Loop: Header=BB350_9 Depth=1
	v_bfe_u32 v2, v3, 16, 1
	v_add3_u32 v2, v3, v2, s30
                                        ; implicit-def: $vgpr3
; %bb.339:                              ;   in Loop: Header=BB350_9 Depth=1
	s_andn2_saveexec_b64 s[28:29], s[28:29]
; %bb.340:                              ;   in Loop: Header=BB350_9 Depth=1
	v_or_b32_e32 v2, 0x10000, v3
	v_cmp_eq_u32_sdwa vcc, v3, v5 src0_sel:WORD_0 src1_sel:DWORD
	s_nop 1
	v_cndmask_b32_e32 v2, v2, v3, vcc
; %bb.341:                              ;   in Loop: Header=BB350_9 Depth=1
	s_or_b64 exec, exec, s[28:29]
	v_lshrrev_b32_e32 v1, 24, v1
	v_cvt_f32_fp8_sdwa v1, v1 src0_sel:BYTE_0
	s_nop 0
	v_mul_f32_e32 v1, v34, v1
	v_and_b32_e32 v3, 0x7f800000, v1
	v_cmp_ne_u32_e32 vcc, s17, v3
                                        ; implicit-def: $vgpr3
	s_and_saveexec_b64 s[28:29], vcc
	s_xor_b64 s[28:29], exec, s[28:29]
; %bb.342:                              ;   in Loop: Header=BB350_9 Depth=1
	v_bfe_u32 v3, v1, 16, 1
	v_add3_u32 v3, v1, v3, s30
                                        ; implicit-def: $vgpr1
; %bb.343:                              ;   in Loop: Header=BB350_9 Depth=1
	s_andn2_saveexec_b64 s[28:29], s[28:29]
; %bb.344:                              ;   in Loop: Header=BB350_9 Depth=1
	v_or_b32_e32 v3, 0x10000, v1
	v_cmp_eq_u32_sdwa vcc, v1, v5 src0_sel:WORD_0 src1_sel:DWORD
	s_nop 1
	v_cndmask_b32_e32 v3, v3, v1, vcc
; %bb.345:                              ;   in Loop: Header=BB350_9 Depth=1
	s_or_b64 exec, exec, s[28:29]
	v_lshl_add_u64 v[6:7], v[16:17], 0, s[24:25]
	flat_load_dword v1, v[6:7] offset:8
                                        ; implicit-def: $vgpr28
	s_waitcnt vmcnt(0) lgkmcnt(0)
	v_and_b32_e32 v6, 0xff, v1
	v_cvt_f32_fp8_sdwa v6, v6 src0_sel:BYTE_0
	s_nop 0
	v_mul_f32_e32 v6, v34, v6
	v_and_b32_e32 v7, 0x7f800000, v6
	v_cmp_ne_u32_e32 vcc, s17, v7
	s_and_saveexec_b64 s[28:29], vcc
	s_xor_b64 s[28:29], exec, s[28:29]
; %bb.346:                              ;   in Loop: Header=BB350_9 Depth=1
	v_bfe_u32 v7, v6, 16, 1
	v_add3_u32 v28, v6, v7, s30
                                        ; implicit-def: $vgpr6
; %bb.347:                              ;   in Loop: Header=BB350_9 Depth=1
	s_andn2_saveexec_b64 s[28:29], s[28:29]
; %bb.348:                              ;   in Loop: Header=BB350_9 Depth=1
	v_or_b32_e32 v7, 0x10000, v6
	v_cmp_eq_u32_sdwa vcc, v6, v5 src0_sel:WORD_0 src1_sel:DWORD
	s_nop 1
	v_cndmask_b32_e32 v28, v7, v6, vcc
; %bb.349:                              ;   in Loop: Header=BB350_9 Depth=1
	s_or_b64 exec, exec, s[28:29]
	v_bfe_u32 v6, v1, 8, 8
	v_cvt_f32_fp8_sdwa v6, v6 src0_sel:BYTE_0
                                        ; implicit-def: $vgpr23
	s_nop 0
	v_mul_f32_e32 v6, v34, v6
	v_and_b32_e32 v7, 0x7f800000, v6
	v_cmp_ne_u32_e32 vcc, s17, v7
	s_and_saveexec_b64 s[28:29], vcc
	s_xor_b64 s[28:29], exec, s[28:29]
; %bb.350:                              ;   in Loop: Header=BB350_9 Depth=1
	v_bfe_u32 v7, v6, 16, 1
	v_add3_u32 v23, v6, v7, s30
                                        ; implicit-def: $vgpr6
; %bb.351:                              ;   in Loop: Header=BB350_9 Depth=1
	s_andn2_saveexec_b64 s[28:29], s[28:29]
; %bb.352:                              ;   in Loop: Header=BB350_9 Depth=1
	v_or_b32_e32 v7, 0x10000, v6
	v_cmp_eq_u32_sdwa vcc, v6, v5 src0_sel:WORD_0 src1_sel:DWORD
	s_nop 1
	v_cndmask_b32_e32 v23, v7, v6, vcc
; %bb.353:                              ;   in Loop: Header=BB350_9 Depth=1
	s_or_b64 exec, exec, s[28:29]
	v_bfe_u32 v6, v1, 16, 8
	v_cvt_f32_fp8_sdwa v6, v6 src0_sel:BYTE_0
                                        ; implicit-def: $vgpr22
	s_nop 0
	v_mul_f32_e32 v6, v34, v6
	v_and_b32_e32 v7, 0x7f800000, v6
	v_cmp_ne_u32_e32 vcc, s17, v7
	s_and_saveexec_b64 s[28:29], vcc
	s_xor_b64 s[28:29], exec, s[28:29]
; %bb.354:                              ;   in Loop: Header=BB350_9 Depth=1
	v_bfe_u32 v7, v6, 16, 1
	v_add3_u32 v22, v6, v7, s30
                                        ; implicit-def: $vgpr6
; %bb.355:                              ;   in Loop: Header=BB350_9 Depth=1
	s_andn2_saveexec_b64 s[28:29], s[28:29]
; %bb.356:                              ;   in Loop: Header=BB350_9 Depth=1
	v_or_b32_e32 v7, 0x10000, v6
	v_cmp_eq_u32_sdwa vcc, v6, v5 src0_sel:WORD_0 src1_sel:DWORD
	s_nop 1
	v_cndmask_b32_e32 v22, v7, v6, vcc
; %bb.357:                              ;   in Loop: Header=BB350_9 Depth=1
	s_or_b64 exec, exec, s[28:29]
	v_lshrrev_b32_e32 v1, 24, v1
	v_cvt_f32_fp8_sdwa v1, v1 src0_sel:BYTE_0
                                        ; implicit-def: $vgpr7
	s_nop 0
	v_mul_f32_e32 v1, v34, v1
	v_and_b32_e32 v6, 0x7f800000, v1
	v_cmp_ne_u32_e32 vcc, s17, v6
	s_and_saveexec_b64 s[28:29], vcc
	s_xor_b64 s[28:29], exec, s[28:29]
; %bb.358:                              ;   in Loop: Header=BB350_9 Depth=1
	v_bfe_u32 v6, v1, 16, 1
	v_add3_u32 v7, v1, v6, s30
                                        ; implicit-def: $vgpr1
; %bb.359:                              ;   in Loop: Header=BB350_9 Depth=1
	s_andn2_saveexec_b64 s[28:29], s[28:29]
; %bb.360:                              ;   in Loop: Header=BB350_9 Depth=1
	v_or_b32_e32 v6, 0x10000, v1
	v_cmp_eq_u32_sdwa vcc, v1, v5 src0_sel:WORD_0 src1_sel:DWORD
	s_nop 1
	v_cndmask_b32_e32 v7, v6, v1, vcc
; %bb.361:                              ;   in Loop: Header=BB350_9 Depth=1
	s_or_b64 exec, exec, s[28:29]
	v_add_co_u32_e32 v10, vcc, 0x1000, v16
	s_nop 1
	v_addc_co_u32_e32 v11, vcc, 0, v17, vcc
	flat_load_dword v1, v[10:11] offset:1536
	s_waitcnt vmcnt(0) lgkmcnt(0)
	v_and_b32_e32 v6, 0xff, v1
	v_cvt_f32_fp8_sdwa v6, v6 src0_sel:BYTE_0
	s_nop 0
	v_mul_f32_e32 v9, v34, v6
	v_and_b32_e32 v6, 0x7f800000, v9
	v_cmp_ne_u32_e32 vcc, s17, v6
                                        ; implicit-def: $vgpr6
	s_and_saveexec_b64 s[28:29], vcc
	s_xor_b64 s[28:29], exec, s[28:29]
; %bb.362:                              ;   in Loop: Header=BB350_9 Depth=1
	v_bfe_u32 v6, v9, 16, 1
	v_add3_u32 v6, v9, v6, s30
                                        ; implicit-def: $vgpr9
; %bb.363:                              ;   in Loop: Header=BB350_9 Depth=1
	s_andn2_saveexec_b64 s[28:29], s[28:29]
; %bb.364:                              ;   in Loop: Header=BB350_9 Depth=1
	v_or_b32_e32 v6, 0x10000, v9
	v_cmp_eq_u32_sdwa vcc, v9, v5 src0_sel:WORD_0 src1_sel:DWORD
	s_nop 1
	v_cndmask_b32_e32 v6, v6, v9, vcc
; %bb.365:                              ;   in Loop: Header=BB350_9 Depth=1
	s_or_b64 exec, exec, s[28:29]
	v_bfe_u32 v9, v1, 8, 8
	v_cvt_f32_fp8_sdwa v9, v9 src0_sel:BYTE_0
                                        ; implicit-def: $vgpr30
	s_nop 0
	v_mul_f32_e32 v9, v34, v9
	v_and_b32_e32 v10, 0x7f800000, v9
	v_cmp_ne_u32_e32 vcc, s17, v10
	s_and_saveexec_b64 s[28:29], vcc
	s_xor_b64 s[28:29], exec, s[28:29]
; %bb.366:                              ;   in Loop: Header=BB350_9 Depth=1
	v_bfe_u32 v10, v9, 16, 1
	v_add3_u32 v30, v9, v10, s30
                                        ; implicit-def: $vgpr9
; %bb.367:                              ;   in Loop: Header=BB350_9 Depth=1
	s_andn2_saveexec_b64 s[28:29], s[28:29]
; %bb.368:                              ;   in Loop: Header=BB350_9 Depth=1
	v_or_b32_e32 v10, 0x10000, v9
	v_cmp_eq_u32_sdwa vcc, v9, v5 src0_sel:WORD_0 src1_sel:DWORD
	s_nop 1
	v_cndmask_b32_e32 v30, v10, v9, vcc
; %bb.369:                              ;   in Loop: Header=BB350_9 Depth=1
	s_or_b64 exec, exec, s[28:29]
	v_bfe_u32 v9, v1, 16, 8
	v_cvt_f32_fp8_sdwa v9, v9 src0_sel:BYTE_0
                                        ; implicit-def: $vgpr31
	s_nop 0
	v_mul_f32_e32 v9, v34, v9
	v_and_b32_e32 v10, 0x7f800000, v9
	v_cmp_ne_u32_e32 vcc, s17, v10
	s_and_saveexec_b64 s[28:29], vcc
	s_xor_b64 s[28:29], exec, s[28:29]
; %bb.370:                              ;   in Loop: Header=BB350_9 Depth=1
	v_bfe_u32 v10, v9, 16, 1
	v_add3_u32 v31, v9, v10, s30
                                        ; implicit-def: $vgpr9
; %bb.371:                              ;   in Loop: Header=BB350_9 Depth=1
	s_andn2_saveexec_b64 s[28:29], s[28:29]
; %bb.372:                              ;   in Loop: Header=BB350_9 Depth=1
	v_or_b32_e32 v10, 0x10000, v9
	v_cmp_eq_u32_sdwa vcc, v9, v5 src0_sel:WORD_0 src1_sel:DWORD
	s_nop 1
	v_cndmask_b32_e32 v31, v10, v9, vcc
; %bb.373:                              ;   in Loop: Header=BB350_9 Depth=1
	s_or_b64 exec, exec, s[28:29]
	v_lshrrev_b32_e32 v1, 24, v1
	v_cvt_f32_fp8_sdwa v1, v1 src0_sel:BYTE_0
                                        ; implicit-def: $vgpr10
	s_nop 0
	v_mul_f32_e32 v1, v34, v1
	v_and_b32_e32 v9, 0x7f800000, v1
	v_cmp_ne_u32_e32 vcc, s17, v9
	s_and_saveexec_b64 s[28:29], vcc
	s_xor_b64 s[28:29], exec, s[28:29]
; %bb.374:                              ;   in Loop: Header=BB350_9 Depth=1
	v_bfe_u32 v9, v1, 16, 1
	v_add3_u32 v10, v1, v9, s30
                                        ; implicit-def: $vgpr1
; %bb.375:                              ;   in Loop: Header=BB350_9 Depth=1
	s_andn2_saveexec_b64 s[28:29], s[28:29]
; %bb.376:                              ;   in Loop: Header=BB350_9 Depth=1
	v_or_b32_e32 v9, 0x10000, v1
	v_cmp_eq_u32_sdwa vcc, v1, v5 src0_sel:WORD_0 src1_sel:DWORD
	s_nop 1
	v_cndmask_b32_e32 v10, v9, v1, vcc
; %bb.377:                              ;   in Loop: Header=BB350_9 Depth=1
	s_or_b64 exec, exec, s[28:29]
	v_lshl_add_u64 v[16:17], v[16:17], 0, s[26:27]
	flat_load_dword v1, v[16:17] offset:8
                                        ; implicit-def: $vgpr16
	s_waitcnt vmcnt(0) lgkmcnt(0)
	v_and_b32_e32 v9, 0xff, v1
	v_cvt_f32_fp8_sdwa v9, v9 src0_sel:BYTE_0
	s_nop 0
	v_mul_f32_e32 v9, v34, v9
	v_and_b32_e32 v11, 0x7f800000, v9
	v_cmp_ne_u32_e32 vcc, s17, v11
	s_and_saveexec_b64 s[28:29], vcc
	s_xor_b64 s[28:29], exec, s[28:29]
; %bb.378:                              ;   in Loop: Header=BB350_9 Depth=1
	v_bfe_u32 v11, v9, 16, 1
	v_add3_u32 v16, v9, v11, s30
                                        ; implicit-def: $vgpr9
; %bb.379:                              ;   in Loop: Header=BB350_9 Depth=1
	s_andn2_saveexec_b64 s[28:29], s[28:29]
; %bb.380:                              ;   in Loop: Header=BB350_9 Depth=1
	v_or_b32_e32 v11, 0x10000, v9
	v_cmp_eq_u32_sdwa vcc, v9, v5 src0_sel:WORD_0 src1_sel:DWORD
	s_nop 1
	v_cndmask_b32_e32 v16, v11, v9, vcc
; %bb.381:                              ;   in Loop: Header=BB350_9 Depth=1
	s_or_b64 exec, exec, s[28:29]
	v_bfe_u32 v9, v1, 8, 8
	v_cvt_f32_fp8_sdwa v9, v9 src0_sel:BYTE_0
                                        ; implicit-def: $vgpr17
	s_nop 0
	v_mul_f32_e32 v9, v34, v9
	v_and_b32_e32 v11, 0x7f800000, v9
	v_cmp_ne_u32_e32 vcc, s17, v11
	s_and_saveexec_b64 s[28:29], vcc
	s_xor_b64 s[28:29], exec, s[28:29]
; %bb.382:                              ;   in Loop: Header=BB350_9 Depth=1
	v_bfe_u32 v11, v9, 16, 1
	v_add3_u32 v17, v9, v11, s30
                                        ; implicit-def: $vgpr9
; %bb.383:                              ;   in Loop: Header=BB350_9 Depth=1
	s_andn2_saveexec_b64 s[28:29], s[28:29]
; %bb.384:                              ;   in Loop: Header=BB350_9 Depth=1
	v_or_b32_e32 v11, 0x10000, v9
	v_cmp_eq_u32_sdwa vcc, v9, v5 src0_sel:WORD_0 src1_sel:DWORD
	s_nop 1
	v_cndmask_b32_e32 v17, v11, v9, vcc
; %bb.385:                              ;   in Loop: Header=BB350_9 Depth=1
	s_or_b64 exec, exec, s[28:29]
	v_bfe_u32 v9, v1, 16, 8
	v_cvt_f32_fp8_sdwa v9, v9 src0_sel:BYTE_0
	s_nop 0
	v_mul_f32_e32 v9, v34, v9
	v_and_b32_e32 v11, 0x7f800000, v9
	v_cmp_ne_u32_e32 vcc, s17, v11
                                        ; implicit-def: $vgpr11
	s_and_saveexec_b64 s[28:29], vcc
	s_xor_b64 s[28:29], exec, s[28:29]
; %bb.386:                              ;   in Loop: Header=BB350_9 Depth=1
	v_bfe_u32 v11, v9, 16, 1
	v_add3_u32 v11, v9, v11, s30
                                        ; implicit-def: $vgpr9
; %bb.387:                              ;   in Loop: Header=BB350_9 Depth=1
	s_andn2_saveexec_b64 s[28:29], s[28:29]
; %bb.388:                              ;   in Loop: Header=BB350_9 Depth=1
	v_or_b32_e32 v11, 0x10000, v9
	v_cmp_eq_u32_sdwa vcc, v9, v5 src0_sel:WORD_0 src1_sel:DWORD
	s_nop 1
	v_cndmask_b32_e32 v11, v11, v9, vcc
; %bb.389:                              ;   in Loop: Header=BB350_9 Depth=1
	s_or_b64 exec, exec, s[28:29]
	v_lshrrev_b32_e32 v1, 24, v1
	v_cvt_f32_fp8_sdwa v1, v1 src0_sel:BYTE_0
	s_nop 0
	v_mul_f32_e32 v1, v34, v1
	v_and_b32_e32 v9, 0x7f800000, v1
	v_cmp_ne_u32_e32 vcc, s17, v9
                                        ; implicit-def: $vgpr34
	s_and_saveexec_b64 s[28:29], vcc
	s_xor_b64 s[28:29], exec, s[28:29]
; %bb.390:                              ;   in Loop: Header=BB350_9 Depth=1
	v_bfe_u32 v9, v1, 16, 1
	v_add3_u32 v34, v1, v9, s30
                                        ; implicit-def: $vgpr1
; %bb.391:                              ;   in Loop: Header=BB350_9 Depth=1
	s_andn2_saveexec_b64 s[28:29], s[28:29]
; %bb.392:                              ;   in Loop: Header=BB350_9 Depth=1
	v_or_b32_e32 v9, 0x10000, v1
	v_cmp_eq_u32_sdwa vcc, v1, v5 src0_sel:WORD_0 src1_sel:DWORD
	s_nop 1
	v_cndmask_b32_e32 v34, v9, v1, vcc
; %bb.393:                              ;   in Loop: Header=BB350_9 Depth=1
	s_or_b64 exec, exec, s[28:29]
	v_and_b32_e32 v9, 0xffff0000, v8
	scratch_load_dword v8, off, s32 offset:220 ; 4-byte Folded Reload
	v_and_b32_e32 v1, 0xffff0000, v19
	v_and_b32_e32 v0, 0xffff0000, v0
	s_waitcnt vmcnt(0)
	v_mul_f32_e32 v35, v8, v1
	scratch_load_dword v1, off, s32 offset:204 ; 4-byte Folded Reload
	scratch_load_dword v8, off, s32 offset:224 ; 4-byte Folded Reload
	s_waitcnt vmcnt(1)
	v_fmac_f32_e32 v35, v1, v9
	v_accvgpr_read_b32 v1, a63
	v_and_b32_e32 v1, 0xffff0000, v1
	s_waitcnt vmcnt(0)
	v_mul_f32_e32 v19, v8, v1
	scratch_load_dword v1, off, s32 offset:208 ; 4-byte Folded Reload
	v_and_b32_e32 v9, 0xffff0000, v12
	scratch_load_dword v12, off, s32 offset:232 ; 4-byte Folded Reload
	v_accvgpr_read_b32 v8, a61
	v_and_b32_e32 v8, 0xffff0000, v8
	s_waitcnt vmcnt(1)
	v_fmac_f32_e32 v19, v1, v9
	scratch_load_dword v9, off, s32 offset:228 ; 4-byte Folded Reload
	v_accvgpr_read_b32 v1, a2
	v_and_b32_e32 v1, 0xffff0000, v1
	s_waitcnt vmcnt(0)
	v_mul_f32_e32 v9, v9, v1
	scratch_load_dword v1, off, s32 offset:212 ; 4-byte Folded Reload
	s_waitcnt vmcnt(0)
	v_fmac_f32_e32 v9, v1, v8
	v_accvgpr_read_b32 v1, a32
	v_and_b32_e32 v1, 0xffff0000, v1
	v_mul_f32_e32 v1, v12, v1
	scratch_load_dword v12, off, s32 offset:216 ; 4-byte Folded Reload
	v_accvgpr_read_b32 v8, a62
	v_and_b32_e32 v8, 0xffff0000, v8
	s_waitcnt vmcnt(0)
	v_fmac_f32_e32 v1, v12, v8
	scratch_load_dword v12, off, s32 offset:240 ; 4-byte Folded Reload
	v_accvgpr_read_b32 v8, a21
	v_and_b32_e32 v8, 0xffff0000, v8
	s_waitcnt vmcnt(0)
	v_fmac_f32_e32 v35, v12, v8
	;; [unrolled: 5-line block ×40, first 2 shown]
	scratch_load_dword v12, off, s32 offset:412 ; 4-byte Folded Reload
	v_and_b32_e32 v8, 0xffff0000, v13
	s_waitcnt vmcnt(0)
	v_fmac_f32_e32 v1, v12, v8
	scratch_load_dword v12, off, s32 offset:416 ; 4-byte Folded Reload
	v_and_b32_e32 v8, 0xffff0000, v18
	s_waitcnt vmcnt(0)
	v_fmac_f32_e32 v35, v12, v8
	;; [unrolled: 4-line block ×34, first 2 shown]
	scratch_load_dword v8, off, s32 offset:548 ; 4-byte Folded Reload
	s_waitcnt vmcnt(0)
	v_fmac_f32_e32 v19, v8, v0
	v_and_b32_e32 v0, 0xffff0000, v2
	v_accvgpr_read_b32 v2, a46
	v_fmac_f32_e32 v9, v2, v0
	v_and_b32_e32 v0, 0xffff0000, v3
	v_accvgpr_read_b32 v2, a47
	;; [unrolled: 3-line block ×14, first 2 shown]
	v_fmac_f32_e32 v1, v2, v0
	v_add_f32_e32 v0, v35, v19
	v_add_f32_e32 v0, v0, v9
	;; [unrolled: 1-line block ×3, first 2 shown]
	v_accvgpr_read_b32 v1, a60
	ds_bpermute_b32 v1, v1, v0
	s_and_saveexec_b64 s[28:29], s[2:3]
	s_cbranch_execz .LBB350_8
; %bb.394:                              ;   in Loop: Header=BB350_9 Depth=1
	s_waitcnt lgkmcnt(0)
	v_add_f32_e32 v0, v0, v1
	scratch_load_dword v1, off, s32 offset:552 ; 4-byte Folded Reload
	scratch_load_dword v3, off, s32 offset:556 ; 4-byte Folded Reload
	v_sub_u32_e32 v2, 1, v39
	v_add_u32_e32 v2, v2, v24
	v_cvt_f32_i32_e32 v2, v2
	s_load_dword vcc_lo, s[8:9], 0x0
	s_waitcnt vmcnt(1)
	v_mul_f32_e32 v1, v1, v2
	v_cndmask_b32_e64 v1, 0, v1, s[4:5]
	s_waitcnt lgkmcnt(0)
	v_add_u32_e32 v2, vcc_lo, v25
	s_waitcnt vmcnt(0)
	v_fmac_f32_e32 v1, v0, v3
	v_cmp_lt_i32_e32 vcc, v24, v39
	s_nop 1
	v_cndmask_b32_e32 v0, 0, v1, vcc
	ds_write_b32 v2, v0
	scratch_load_dword v2, off, s32 offset:200 ; 4-byte Folded Reload
	s_waitcnt vmcnt(0)
	v_max_f32_e32 v0, v2, v2
	v_max_f32_e32 v0, v0, v1
	v_cndmask_b32_e32 v2, v2, v0, vcc
	scratch_store_dword off, v2, s32 offset:200 ; 4-byte Folded Spill
	s_branch .LBB350_8
.LBB350_395:
	s_or_b64 exec, exec, s[18:19]
	scratch_load_dword v24, off, s32 offset:560 ; 4-byte Folded Reload
	scratch_load_dwordx2 v[32:33], off, s32 offset:624 ; 8-byte Folded Reload
	scratch_load_dwordx2 v[22:23], off, s32 offset:616 ; 8-byte Folded Reload
	;; [unrolled: 1-line block ×5, first 2 shown]
	scratch_load_dword v8, off, s32 offset:588 ; 4-byte Folded Reload
	scratch_load_dword v9, off, s32 offset:584 ; 4-byte Folded Reload
	;; [unrolled: 1-line block ×3, first 2 shown]
.LBB350_396:
	s_or_b64 exec, exec, s[6:7]
	s_waitcnt vmcnt(2)
	v_xor_b32_e32 v0, 32, v8
	s_waitcnt vmcnt(1)
	v_cmp_lt_i32_e32 vcc, v0, v9
	v_xor_b32_e32 v3, 16, v8
	s_waitcnt vmcnt(0)
	v_max_f32_e32 v2, v6, v6
	v_cndmask_b32_e32 v0, v8, v0, vcc
	s_waitcnt lgkmcnt(0)
	v_lshlrev_b32_e32 v1, 2, v0
	ds_bpermute_b32 v0, v1, v6
	v_cmp_lt_i32_e32 vcc, v3, v9
	v_xor_b32_e32 v4, 8, v8
	v_xor_b32_e32 v5, 4, v8
	;; [unrolled: 1-line block ×3, first 2 shown]
	s_waitcnt lgkmcnt(0)
	v_max_f32_e32 v0, v0, v0
	v_max_f32_e32 v0, v2, v0
	v_cndmask_b32_e32 v2, v8, v3, vcc
	v_lshlrev_b32_e32 v2, 2, v2
	ds_bpermute_b32 v3, v2, v0
	v_cmp_lt_i32_e32 vcc, v4, v9
	v_and_b32_e32 v28, 63, v24
	s_lshr_b32 s15, s15, 16
	s_waitcnt lgkmcnt(0)
	v_max_f32_e32 v3, v3, v3
	v_max_f32_e32 v0, v0, v3
	v_cndmask_b32_e32 v3, v8, v4, vcc
	v_lshlrev_b32_e32 v3, 2, v3
	ds_bpermute_b32 v4, v3, v0
	v_cmp_lt_i32_e32 vcc, v5, v9
	s_waitcnt lgkmcnt(0)
	v_max_f32_e32 v4, v4, v4
	v_max_f32_e32 v0, v0, v4
	v_cndmask_b32_e32 v4, v8, v5, vcc
	v_lshlrev_b32_e32 v4, 2, v4
	ds_bpermute_b32 v5, v4, v0
	v_cmp_lt_i32_e32 vcc, v6, v9
	s_waitcnt lgkmcnt(0)
	v_max_f32_e32 v5, v5, v5
	v_max_f32_e32 v0, v0, v5
	v_cndmask_b32_e32 v5, v8, v6, vcc
	v_lshlrev_b32_e32 v31, 2, v5
	ds_bpermute_b32 v6, v31, v0
	v_accvgpr_read_b32 v5, a5
	v_cmp_eq_u32_e32 vcc, 0, v28
	v_lshlrev_b32_e32 v5, 2, v5
	s_and_saveexec_b64 s[2:3], vcc
	s_cbranch_execz .LBB350_398
; %bb.397:
	s_waitcnt lgkmcnt(0)
	v_max_f32_e32 v6, v6, v6
	v_max_f32_e32 v0, v0, v0
	;; [unrolled: 1-line block ×3, first 2 shown]
	ds_write_b32 v5, v0 offset:384
.LBB350_398:
	s_or_b64 exec, exec, s[2:3]
	v_cmp_gt_u32_e64 s[2:3], 2, v28
	v_mov_b32_e32 v0, 0xff7fffff
	s_waitcnt lgkmcnt(0)
	v_lshlrev_b32_e32 v6, 2, v28
	s_barrier
	s_and_saveexec_b64 s[4:5], s[2:3]
	s_cbranch_execz .LBB350_400
; %bb.399:
	ds_read_b32 v0, v6 offset:384
.LBB350_400:
	s_or_b64 exec, exec, s[4:5]
	v_xor_b32_e32 v7, 1, v8
	v_cmp_lt_i32_e64 s[4:5], v7, v9
	v_mov_b32_e32 v9, 0
	s_nop 0
	v_cndmask_b32_e64 v7, v8, v7, s[4:5]
	v_lshlrev_b32_e32 v29, 2, v7
	s_waitcnt lgkmcnt(0)
	ds_bpermute_b32 v7, v29, v0
	v_max_f32_e32 v0, v0, v0
	v_lshlrev_b32_e32 v8, 2, v8
	s_waitcnt lgkmcnt(0)
	v_max_f32_e32 v7, v7, v7
	v_max_f32_e32 v0, v0, v7
	v_and_b32_e32 v7, 0xffffff00, v8
	ds_bpermute_b32 v8, v7, v0
	scratch_load_dword v0, off, s32 offset:188 ; 4-byte Folded Reload
	s_waitcnt vmcnt(0)
	v_lshlrev_b32_e32 v0, 5, v0
	v_min_i32_e32 v0, v0, v39
	v_cmp_lt_i32_e64 s[4:5], v24, v0
	s_and_saveexec_b64 s[8:9], s[4:5]
	s_cbranch_execz .LBB350_404
; %bb.401:
	s_ashr_i32 s17, s16, 31
	s_lshl_b64 s[6:7], s[16:17], 2
	s_getpc_b64 s[18:19]
	s_add_u32 s18, s18, llvm.amdgcn.dynlds.offset.table@rel32@lo+4
	s_addc_u32 s19, s19, llvm.amdgcn.dynlds.offset.table@rel32@hi+12
	s_add_u32 s6, s6, s18
	s_addc_u32 s7, s7, s19
	s_load_dword s6, s[6:7], 0x0
	s_mov_b64 s[18:19], 0
	v_mov_b32_e32 v9, 0
	v_mov_b32_e32 v11, v24
	s_waitcnt lgkmcnt(0)
	v_lshl_add_u32 v10, v24, 2, s6
.LBB350_402:                            ; =>This Inner Loop Header: Depth=1
	ds_read_b32 v12, v10
	v_add_u32_e32 v11, 0x80, v11
	v_cmp_ge_i32_e64 s[6:7], v11, v0
	s_or_b64 s[18:19], s[6:7], s[18:19]
	s_waitcnt lgkmcnt(0)
	v_sub_f32_e32 v12, v12, v8
	v_mul_f32_e32 v12, 0x3fb8aa3b, v12
	v_exp_f32_e32 v12, v12
	ds_write_b32 v10, v12
	v_add_f32_e32 v9, v9, v12
	v_add_u32_e32 v10, 0x200, v10
	s_andn2_b64 exec, exec, s[18:19]
	s_cbranch_execnz .LBB350_402
; %bb.403:
	s_or_b64 exec, exec, s[18:19]
.LBB350_404:
	s_or_b64 exec, exec, s[8:9]
	ds_bpermute_b32 v1, v1, v9
	s_waitcnt lgkmcnt(0)
	v_add_f32_e32 v1, v9, v1
	ds_bpermute_b32 v2, v2, v1
	s_waitcnt lgkmcnt(0)
	v_add_f32_e32 v1, v1, v2
	;; [unrolled: 3-line block ×6, first 2 shown]
	s_and_saveexec_b64 s[6:7], vcc
	s_cbranch_execz .LBB350_406
; %bb.405:
	ds_write_b32 v5, v1 offset:392
.LBB350_406:
	s_or_b64 exec, exec, s[6:7]
	s_waitcnt lgkmcnt(0)
	s_barrier
	s_and_saveexec_b64 s[6:7], s[2:3]
	s_cbranch_execz .LBB350_408
; %bb.407:
	ds_read_b32 v1, v6 offset:392
.LBB350_408:
	s_or_b64 exec, exec, s[6:7]
	s_waitcnt lgkmcnt(0)
	ds_bpermute_b32 v2, v29, v1
	s_waitcnt lgkmcnt(0)
	v_add_f32_e32 v1, v1, v2
	ds_bpermute_b32 v1, v7, v1
	s_and_saveexec_b64 s[2:3], s[4:5]
	s_cbranch_execz .LBB350_421
; %bb.409:
	s_waitcnt lgkmcnt(0)
	v_add_f32_e32 v1, 0x358637bd, v1
	v_div_scale_f32 v2, s[4:5], v1, v1, 1.0
	v_rcp_f32_e32 v3, v2
	v_div_scale_f32 v4, vcc, 1.0, v1, 1.0
	s_movk_i32 s4, 0x7f
	v_fma_f32 v5, -v2, v3, 1.0
	v_fmac_f32_e32 v3, v5, v3
	v_mul_f32_e32 v5, v4, v3
	v_fma_f32 v6, -v2, v5, v4
	v_fmac_f32_e32 v5, v6, v3
	v_fma_f32 v2, -v2, v5, v4
	v_div_fmas_f32 v2, v2, v3, v5
	v_div_fixup_f32 v4, v2, v1, 1.0
	v_xad_u32 v2, v24, -1, v0
	v_cmp_lt_u32_e32 vcc, s4, v2
	s_mov_b64 s[6:7], -1
	v_mov_b32_e32 v1, v24
	s_and_saveexec_b64 s[4:5], vcc
	s_cbranch_execz .LBB350_418
; %bb.410:
	v_lshrrev_b32_e32 v1, 7, v2
	v_add_u32_e32 v3, -1, v1
	v_lshrrev_b32_e32 v2, 1, v3
	v_mov_b32_e32 v5, v4
	v_add_u32_e32 v2, 1, v2
	v_cmp_lt_u32_e32 vcc, 13, v3
	v_mov_b32_e32 v7, 0
	s_and_saveexec_b64 s[6:7], vcc
	s_cbranch_execz .LBB350_414
; %bb.411:
	s_ashr_i32 s17, s16, 31
	s_lshl_b64 s[8:9], s[16:17], 2
	s_getpc_b64 s[18:19]
	s_add_u32 s18, s18, llvm.amdgcn.dynlds.offset.table@rel32@lo+4
	s_addc_u32 s19, s19, llvm.amdgcn.dynlds.offset.table@rel32@hi+12
	s_add_u32 s8, s8, s18
	s_addc_u32 s9, s9, s19
	s_load_dword s8, s[8:9], 0x0
	v_and_b32_e32 v3, -8, v2
	s_mov_b32 s17, 0
	s_waitcnt lgkmcnt(0)
	v_lshl_add_u32 v6, v24, 2, s8
	s_mov_b64 s[8:9], 0
.LBB350_412:                            ; =>This Inner Loop Header: Depth=1
	ds_read2st64_b32 v[8:9], v6 offset1:2
	ds_read2st64_b32 v[10:11], v6 offset0:4 offset1:6
	ds_read2st64_b32 v[12:13], v6 offset0:8 offset1:10
	;; [unrolled: 1-line block ×3, first 2 shown]
	v_add_u32_e32 v3, -8, v3
	s_waitcnt lgkmcnt(3)
	v_pk_mul_f32 v[8:9], v[4:5], v[8:9]
	s_waitcnt lgkmcnt(2)
	v_pk_mul_f32 v[10:11], v[4:5], v[10:11]
	ds_write2st64_b32 v6, v8, v9 offset1:2
	ds_write2st64_b32 v6, v10, v11 offset0:4 offset1:6
	ds_read2st64_b32 v[10:11], v6 offset0:16 offset1:18
	s_waitcnt lgkmcnt(4)
	v_pk_mul_f32 v[8:9], v[4:5], v[12:13]
	ds_write2st64_b32 v6, v8, v9 offset0:8 offset1:10
	s_waitcnt lgkmcnt(4)
	v_pk_mul_f32 v[8:9], v[4:5], v[14:15]
	ds_write2st64_b32 v6, v8, v9 offset0:12 offset1:14
	ds_read2st64_b32 v[8:9], v6 offset0:20 offset1:22
	s_waitcnt lgkmcnt(3)
	v_pk_mul_f32 v[10:11], v[4:5], v[10:11]
	ds_read2st64_b32 v[12:13], v6 offset0:24 offset1:26
	ds_write2st64_b32 v6, v10, v11 offset0:16 offset1:18
	ds_read2st64_b32 v[10:11], v6 offset0:28 offset1:30
	s_waitcnt lgkmcnt(3)
	v_pk_mul_f32 v[8:9], v[4:5], v[8:9]
	ds_write2st64_b32 v6, v8, v9 offset0:20 offset1:22
	s_waitcnt lgkmcnt(3)
	v_pk_mul_f32 v[8:9], v[4:5], v[12:13]
	ds_write2st64_b32 v6, v8, v9 offset0:24 offset1:26
	s_waitcnt lgkmcnt(2)
	v_pk_mul_f32 v[8:9], v[4:5], v[10:11]
	s_add_i32 s17, s17, 16
	v_cmp_eq_u32_e32 vcc, 0, v3
	ds_write2st64_b32 v6, v8, v9 offset0:28 offset1:30
	v_add_u32_e32 v6, 0x2000, v6
	s_or_b64 s[8:9], vcc, s[8:9]
	v_mov_b32_e32 v7, s17
	s_andn2_b64 exec, exec, s[8:9]
	s_cbranch_execnz .LBB350_412
; %bb.413:
	s_or_b64 exec, exec, s[8:9]
.LBB350_414:
	s_or_b64 exec, exec, s[6:7]
	v_and_b32_e32 v2, 7, v2
	v_cmp_ne_u32_e32 vcc, 0, v2
	s_and_saveexec_b64 s[6:7], vcc
	s_cbranch_execz .LBB350_417
; %bb.415:
	s_ashr_i32 s17, s16, 31
	s_lshl_b64 s[8:9], s[16:17], 2
	s_getpc_b64 s[18:19]
	s_add_u32 s18, s18, llvm.amdgcn.dynlds.offset.table@rel32@lo+4
	s_addc_u32 s19, s19, llvm.amdgcn.dynlds.offset.table@rel32@hi+12
	s_add_u32 s8, s8, s18
	s_addc_u32 s9, s9, s19
	s_load_dword s8, s[8:9], 0x0
	v_lshlrev_b32_e32 v3, 9, v7
	v_lshlrev_b32_e32 v6, 2, v24
	s_waitcnt lgkmcnt(0)
	v_add3_u32 v3, v3, v6, s8
	s_mov_b64 s[8:9], 0
.LBB350_416:                            ; =>This Inner Loop Header: Depth=1
	ds_read2st64_b32 v[6:7], v3 offset1:2
	v_add_u32_e32 v2, -1, v2
	v_cmp_eq_u32_e32 vcc, 0, v2
	s_or_b64 s[8:9], vcc, s[8:9]
	s_waitcnt lgkmcnt(0)
	v_pk_mul_f32 v[6:7], v[4:5], v[6:7]
	ds_write2st64_b32 v3, v6, v7 offset1:2
	v_add_u32_e32 v3, 0x400, v3
	s_andn2_b64 exec, exec, s[8:9]
	s_cbranch_execnz .LBB350_416
.LBB350_417:
	s_or_b64 exec, exec, s[6:7]
	v_add_u32_e32 v2, 1, v1
	v_and_b32_e32 v3, 0x3fffffe, v2
	v_cmp_ne_u32_e32 vcc, v2, v3
	v_lshl_add_u32 v1, v3, 7, v24
	s_orn2_b64 s[6:7], vcc, exec
.LBB350_418:
	s_or_b64 exec, exec, s[4:5]
	s_and_b64 exec, exec, s[6:7]
	s_cbranch_execz .LBB350_421
; %bb.419:
	s_ashr_i32 s17, s16, 31
	s_lshl_b64 s[4:5], s[16:17], 2
	s_getpc_b64 s[6:7]
	s_add_u32 s6, s6, llvm.amdgcn.dynlds.offset.table@rel32@lo+4
	s_addc_u32 s7, s7, llvm.amdgcn.dynlds.offset.table@rel32@hi+12
	s_add_u32 s4, s4, s6
	s_addc_u32 s5, s5, s7
	s_load_dword s4, s[4:5], 0x0
	s_waitcnt lgkmcnt(0)
	v_lshl_add_u32 v2, v1, 2, s4
	s_mov_b64 s[4:5], 0
.LBB350_420:                            ; =>This Inner Loop Header: Depth=1
	ds_read_b32 v3, v2
	v_add_u32_e32 v1, 0x80, v1
	v_cmp_ge_i32_e32 vcc, v1, v0
	s_or_b64 s[4:5], vcc, s[4:5]
	s_waitcnt lgkmcnt(0)
	v_mul_f32_e32 v3, v4, v3
	ds_write_b32 v2, v3
	v_add_u32_e32 v2, 0x200, v2
	s_andn2_b64 exec, exec, s[4:5]
	s_cbranch_execnz .LBB350_420
.LBB350_421:
	s_or_b64 exec, exec, s[2:3]
	v_mov_b32_e32 v26, 0
	v_and_b32_e32 v30, 3, v24
	v_mov_b32_e32 v27, 0
	v_mov_b32_e32 v24, 0
	;; [unrolled: 1-line block ×11, first 2 shown]
	s_waitcnt lgkmcnt(0)
	s_barrier
	s_and_saveexec_b64 s[2:3], s[0:1]
	s_cbranch_execz .LBB350_1249
; %bb.422:
	scratch_store_dword off, v29, s32 offset:276 ; 4-byte Folded Spill
	scratch_store_dword off, v31, s32 offset:272 ; 4-byte Folded Spill
	;; [unrolled: 1-line block ×3, first 2 shown]
	scratch_load_dwordx2 v[0:1], off, s32 offset:568 ; 8-byte Folded Reload
	v_and_b32_e32 v28, 0x1f8, v36
	v_mov_b32_e32 v29, 0
	flat_load_dword v19, v[22:23]
	s_ashr_i32 s17, s16, 31
	s_lshl_b64 s[0:1], s[16:17], 2
	s_getpc_b64 s[4:5]
	s_add_u32 s4, s4, llvm.amdgcn.dynlds.offset.table@rel32@lo+4
	s_addc_u32 s5, s5, llvm.amdgcn.dynlds.offset.table@rel32@hi+12
	s_add_u32 s0, s0, s4
	s_addc_u32 s1, s1, s5
	s_load_dword s0, s[0:1], 0x0
	v_and_b32_e32 v2, 24, v36
	s_mov_b64 s[4:5], 0
	s_mov_b32 s8, 0x7f800000
	s_movk_i32 s9, 0x7fff
	v_mov_b32_e32 v13, v29
	v_mov_b32_e32 v12, v29
	;; [unrolled: 1-line block ×12, first 2 shown]
	scratch_store_dword off, v30, s32 offset:284 ; 4-byte Folded Spill
	s_waitcnt vmcnt(0)
	v_lshl_add_u64 v[0:1], v[34:35], 0, v[0:1]
	scratch_store_dwordx2 off, v[0:1], s32 offset:232 ; 8-byte Folded Spill
	scratch_load_dword v0, off, s32 offset:188 ; 4-byte Folded Reload
	v_mov_b32_e32 v1, v29
	s_waitcnt vmcnt(0)
	v_add_u32_e32 v0, -1, v0
	scratch_store_dword off, v0, s32 offset:228 ; 4-byte Folded Spill
	v_or_b32_e32 v0, 0x1000, v28
	scratch_store_dwordx2 off, v[0:1], s32 offset:240 ; 8-byte Folded Spill
	v_or_b32_e32 v0, 0x1200, v28
	scratch_store_dwordx2 off, v[0:1], s32 offset:248 ; 8-byte Folded Spill
	;; [unrolled: 2-line block ×4, first 2 shown]
	scratch_load_dword v0, off, s32 offset:564 ; 4-byte Folded Reload
	s_waitcnt vmcnt(0)
	v_and_b32_e32 v0, 60, v0
	v_lshl_add_u64 v[0:1], v[48:49], 2, v[0:1]
	v_lshl_add_u64 v[10:11], v[32:33], 0, v[0:1]
	v_accvgpr_read_b32 v1, a5
	v_lshlrev_b32_e32 v0, 5, v1
	v_or3_b32 v55, v0, v2, 7
	v_lshlrev_b32_e32 v0, 5, v30
	v_lshl_or_b32 v0, v1, 7, v0
	s_waitcnt lgkmcnt(0)
	v_add_u32_e32 v40, s0, v0
	s_branch .LBB350_424
.LBB350_423:                            ;   in Loop: Header=BB350_424 Depth=1
	s_or_b64 exec, exec, s[0:1]
	v_and_b32_e32 v5, 0xffff0000, v5
	v_and_b32_e32 v4, 0xffff0000, v4
	v_add_f32_e32 v4, v4, v5
	v_and_b32_e32 v5, 0xffff0000, v45
	v_and_b32_e32 v30, 0xffff0000, v43
	v_add_f32_e32 v5, v30, v5
	v_add_f32_e32 v4, v4, v5
	v_and_b32_e32 v5, 0xffff0000, v54
	v_and_b32_e32 v30, 0xffff0000, v46
	v_add_f32_e32 v5, v30, v5
	v_add_f32_e32 v4, v4, v5
	v_and_b32_e32 v5, 0xffff0000, v48
	v_and_b32_e32 v22, 0xffff0000, v22
	v_add_f32_e32 v5, v5, v22
	v_add_f32_e32 v4, v4, v5
	v_add_f32_e32 v12, v12, v4
	v_and_b32_e32 v4, 0xffff0000, v58
	v_and_b32_e32 v5, 0xffff0000, v57
	v_add_f32_e32 v4, v5, v4
	v_and_b32_e32 v5, 0xffff0000, v60
	v_and_b32_e32 v22, 0xffff0000, v59
	v_add_f32_e32 v5, v22, v5
	v_add_f32_e32 v4, v4, v5
	v_and_b32_e32 v5, 0xffff0000, v44
	v_and_b32_e32 v22, 0xffff0000, v61
	v_add_f32_e32 v5, v22, v5
	v_add_f32_e32 v4, v4, v5
	v_and_b32_e32 v5, 0xffff0000, v6
	v_and_b32_e32 v6, 0xffff0000, v7
	v_add_f32_e32 v5, v5, v6
	v_add_f32_e32 v4, v4, v5
	v_add_f32_e32 v15, v15, v4
	;; [unrolled: 16-line block ×3, first 2 shown]
	v_accvgpr_read_b32 v4, a22
	v_accvgpr_read_b32 v5, a13
	v_and_b32_e32 v4, 0xffff0000, v4
	v_and_b32_e32 v5, 0xffff0000, v5
	v_add_f32_e32 v4, v5, v4
	v_accvgpr_read_b32 v5, a24
	v_accvgpr_read_b32 v6, a23
	v_and_b32_e32 v5, 0xffff0000, v5
	v_and_b32_e32 v6, 0xffff0000, v6
	v_add_f32_e32 v5, v6, v5
	v_add_f32_e32 v4, v4, v5
	v_accvgpr_read_b32 v5, a26
	v_accvgpr_read_b32 v6, a25
	v_and_b32_e32 v5, 0xffff0000, v5
	v_and_b32_e32 v6, 0xffff0000, v6
	v_add_f32_e32 v5, v6, v5
	v_add_f32_e32 v4, v4, v5
	v_accvgpr_read_b32 v5, a27
	v_and_b32_e32 v5, 0xffff0000, v5
	v_and_b32_e32 v6, 0xffff0000, v37
	v_add_f32_e32 v5, v5, v6
	v_add_f32_e32 v4, v4, v5
	v_add_f32_e32 v17, v17, v4
	v_accvgpr_read_b32 v4, a16
	v_accvgpr_read_b32 v5, a15
	v_and_b32_e32 v4, 0xffff0000, v4
	v_and_b32_e32 v5, 0xffff0000, v5
	v_add_f32_e32 v4, v5, v4
	v_accvgpr_read_b32 v5, a18
	v_accvgpr_read_b32 v6, a17
	v_and_b32_e32 v5, 0xffff0000, v5
	v_and_b32_e32 v6, 0xffff0000, v6
	v_add_f32_e32 v5, v6, v5
	v_add_f32_e32 v4, v4, v5
	v_accvgpr_read_b32 v5, a20
	v_accvgpr_read_b32 v6, a19
	v_and_b32_e32 v5, 0xffff0000, v5
	v_and_b32_e32 v6, 0xffff0000, v6
	v_add_f32_e32 v5, v6, v5
	v_add_f32_e32 v4, v4, v5
	v_accvgpr_read_b32 v5, a21
	v_accvgpr_read_b32 v6, a4
	v_and_b32_e32 v5, 0xffff0000, v5
	v_and_b32_e32 v6, 0xffff0000, v6
	v_add_f32_e32 v5, v5, v6
	v_add_f32_e32 v4, v4, v5
	v_add_f32_e32 v16, v16, v4
	v_accvgpr_read_b32 v4, a1
	v_accvgpr_read_b32 v5, a0
	v_and_b32_e32 v4, 0xffff0000, v4
	v_and_b32_e32 v5, 0xffff0000, v5
	v_add_f32_e32 v4, v5, v4
	v_accvgpr_read_b32 v5, a3
	v_accvgpr_read_b32 v6, a2
	v_and_b32_e32 v5, 0xffff0000, v5
	v_and_b32_e32 v6, 0xffff0000, v6
	v_add_f32_e32 v5, v6, v5
	v_add_f32_e32 v4, v4, v5
	v_accvgpr_read_b32 v5, a10
	v_accvgpr_read_b32 v6, a12
	v_and_b32_e32 v5, 0xffff0000, v5
	v_and_b32_e32 v6, 0xffff0000, v6
	v_add_f32_e32 v5, v6, v5
	v_add_f32_e32 v4, v4, v5
	v_accvgpr_read_b32 v5, a11
	;; [unrolled: 24-line block ×3, first 2 shown]
	v_accvgpr_read_b32 v6, a6
	v_and_b32_e32 v5, 0xffff0000, v5
	v_and_b32_e32 v6, 0xffff0000, v6
	v_add_f32_e32 v5, v5, v6
	v_add_f32_e32 v4, v4, v5
	v_accvgpr_read_b32 v6, a55
	v_accvgpr_read_b32 v7, a54
	v_accvgpr_read_b32 v8, a53
	v_accvgpr_read_b32 v9, a52
	v_add_f32_e32 v20, v20, v4
	v_accvgpr_read_b32 v4, a57
	v_accvgpr_read_b32 v5, a56
	v_and_b32_e32 v6, 0xffff0000, v6
	v_and_b32_e32 v7, 0xffff0000, v7
	v_and_b32_e32 v8, 0xffff0000, v8
	v_and_b32_e32 v9, 0xffff0000, v9
	v_and_b32_e32 v4, 0xffff0000, v4
	v_and_b32_e32 v5, 0xffff0000, v5
	v_accvgpr_read_b32 v18, a58
	v_accvgpr_read_b32 v22, a59
	v_add_f32_e32 v8, v9, v8
	v_add_f32_e32 v6, v7, v6
	v_and_b32_e32 v18, 0xffff0000, v18
	v_and_b32_e32 v22, 0xffff0000, v22
	v_add_f32_e32 v6, v8, v6
	v_add_f32_e32 v4, v5, v4
	v_add_f32_e32 v4, v6, v4
	v_add_f32_e32 v5, v18, v22
	v_add_f32_e32 v4, v4, v5
	v_accvgpr_read_b32 v6, a47
	v_accvgpr_read_b32 v7, a46
	v_accvgpr_read_b32 v8, a45
	v_accvgpr_read_b32 v9, a44
	v_add_f32_e32 v25, v25, v4
	v_accvgpr_read_b32 v4, a49
	v_accvgpr_read_b32 v5, a48
	v_and_b32_e32 v6, 0xffff0000, v6
	v_and_b32_e32 v7, 0xffff0000, v7
	v_and_b32_e32 v8, 0xffff0000, v8
	v_and_b32_e32 v9, 0xffff0000, v9
	v_and_b32_e32 v4, 0xffff0000, v4
	v_and_b32_e32 v5, 0xffff0000, v5
	v_accvgpr_read_b32 v18, a50
	v_accvgpr_read_b32 v22, a51
	v_add_f32_e32 v8, v9, v8
	v_add_f32_e32 v6, v7, v6
	v_and_b32_e32 v18, 0xffff0000, v18
	v_and_b32_e32 v22, 0xffff0000, v22
	v_add_f32_e32 v6, v8, v6
	v_add_f32_e32 v4, v5, v4
	v_add_f32_e32 v4, v6, v4
	;; [unrolled: 24-line block ×3, first 2 shown]
	v_add_f32_e32 v5, v18, v22
	v_add_f32_e32 v4, v4, v5
	;; [unrolled: 1-line block ×3, first 2 shown]
	scratch_load_dword v4, off, s32 offset:220 ; 4-byte Folded Reload
	scratch_load_dword v18, off, s32 offset:224 ; 4-byte Folded Reload
	;; [unrolled: 1-line block ×7, first 2 shown]
	v_accvgpr_read_b32 v22, a28
	v_and_b32_e32 v22, 0xffff0000, v22
	v_and_b32_e32 v1, 0xffff0000, v1
	;; [unrolled: 1-line block ×3, first 2 shown]
	v_lshl_add_u64 v[10:11], v[10:11], 0, 8
	v_add_u32_e32 v55, 64, v55
	v_add_u32_e32 v40, 0x100, v40
	s_waitcnt vmcnt(6)
	v_and_b32_e32 v4, 0xffff0000, v4
	s_waitcnt vmcnt(5)
	v_and_b32_e32 v18, 0xffff0000, v18
	;; [unrolled: 2-line block ×7, first 2 shown]
	v_add_f32_e32 v8, v9, v8
	v_add_f32_e32 v6, v7, v6
	;; [unrolled: 1-line block ×7, first 2 shown]
	v_and_b32_e32 v6, 0xffff0000, v0
	v_and_b32_e32 v0, 0xffff0000, v3
	;; [unrolled: 1-line block ×3, first 2 shown]
	v_add_f32_e32 v26, v26, v4
	v_and_b32_e32 v5, 0xffff0000, v23
	v_and_b32_e32 v4, 0xffff0000, v38
	;; [unrolled: 1-line block ×3, first 2 shown]
	v_pk_add_f32 v[0:1], v[2:3], v[0:1]
	v_pk_add_f32 v[2:3], v[6:7], v[4:5]
	v_add_f32_e32 v0, v0, v1
	v_add_f32_e32 v0, v0, v2
	;; [unrolled: 1-line block ×4, first 2 shown]
	scratch_load_dword v0, off, s32 offset:188 ; 4-byte Folded Reload
	v_accvgpr_read_b32 v1, a5
	v_add_u32_e32 v1, 2, v1
	v_accvgpr_write_b32 a5, v1
	s_waitcnt vmcnt(0)
	v_cmp_ge_i32_e32 vcc, v1, v0
	s_or_b64 s[4:5], vcc, s[4:5]
	s_andn2_b64 exec, exec, s[4:5]
	s_cbranch_execz .LBB350_1248
.LBB350_424:                            ; =>This Inner Loop Header: Depth=1
	flat_load_dword v31, v[10:11]
	ds_read2_b64 v[6:9], v40 offset1:1
	ds_read2_b64 v[2:5], v40 offset0:2 offset1:3
                                        ; implicit-def: $vgpr30
	s_waitcnt lgkmcnt(0)
	v_and_b32_e32 v0, 0x7f800000, v6
	v_cmp_ne_u32_e32 vcc, s8, v0
	s_and_saveexec_b64 s[0:1], vcc
	s_xor_b64 s[0:1], exec, s[0:1]
; %bb.425:                              ;   in Loop: Header=BB350_424 Depth=1
	v_bfe_u32 v0, v6, 16, 1
	v_add3_u32 v30, v6, v0, s9
; %bb.426:                              ;   in Loop: Header=BB350_424 Depth=1
	s_andn2_saveexec_b64 s[0:1], s[0:1]
; %bb.427:                              ;   in Loop: Header=BB350_424 Depth=1
	v_or_b32_e32 v0, 0x10000, v6
	v_cmp_eq_u32_sdwa vcc, v6, v29 src0_sel:WORD_0 src1_sel:DWORD
	s_nop 1
	v_cndmask_b32_e32 v30, v0, v6, vcc
; %bb.428:                              ;   in Loop: Header=BB350_424 Depth=1
	s_or_b64 exec, exec, s[0:1]
	v_and_b32_e32 v0, 0x7f800000, v7
	v_cmp_ne_u32_e32 vcc, s8, v0
                                        ; implicit-def: $vgpr23
	s_and_saveexec_b64 s[0:1], vcc
	s_xor_b64 s[0:1], exec, s[0:1]
; %bb.429:                              ;   in Loop: Header=BB350_424 Depth=1
	v_bfe_u32 v0, v7, 16, 1
	v_add3_u32 v23, v7, v0, s9
; %bb.430:                              ;   in Loop: Header=BB350_424 Depth=1
	s_andn2_saveexec_b64 s[0:1], s[0:1]
; %bb.431:                              ;   in Loop: Header=BB350_424 Depth=1
	v_or_b32_e32 v0, 0x10000, v7
	v_cmp_eq_u32_sdwa vcc, v7, v29 src0_sel:WORD_0 src1_sel:DWORD
	s_nop 1
	v_cndmask_b32_e32 v23, v0, v7, vcc
; %bb.432:                              ;   in Loop: Header=BB350_424 Depth=1
	s_or_b64 exec, exec, s[0:1]
	v_and_b32_e32 v0, 0x7f800000, v8
	v_cmp_ne_u32_e32 vcc, s8, v0
                                        ; implicit-def: $vgpr22
	s_and_saveexec_b64 s[0:1], vcc
	s_xor_b64 s[0:1], exec, s[0:1]
; %bb.433:                              ;   in Loop: Header=BB350_424 Depth=1
	v_bfe_u32 v0, v8, 16, 1
	v_add3_u32 v22, v8, v0, s9
; %bb.434:                              ;   in Loop: Header=BB350_424 Depth=1
	s_andn2_saveexec_b64 s[0:1], s[0:1]
; %bb.435:                              ;   in Loop: Header=BB350_424 Depth=1
	v_or_b32_e32 v0, 0x10000, v8
	v_cmp_eq_u32_sdwa vcc, v8, v29 src0_sel:WORD_0 src1_sel:DWORD
	s_nop 1
	v_cndmask_b32_e32 v22, v0, v8, vcc
; %bb.436:                              ;   in Loop: Header=BB350_424 Depth=1
	s_or_b64 exec, exec, s[0:1]
	v_and_b32_e32 v0, 0x7f800000, v9
	v_cmp_ne_u32_e32 vcc, s8, v0
                                        ; implicit-def: $vgpr1
	s_and_saveexec_b64 s[0:1], vcc
	s_xor_b64 s[0:1], exec, s[0:1]
; %bb.437:                              ;   in Loop: Header=BB350_424 Depth=1
	v_bfe_u32 v0, v9, 16, 1
	v_add3_u32 v1, v9, v0, s9
                                        ; implicit-def: $vgpr6_vgpr7_vgpr8_vgpr9
; %bb.438:                              ;   in Loop: Header=BB350_424 Depth=1
	s_andn2_saveexec_b64 s[0:1], s[0:1]
; %bb.439:                              ;   in Loop: Header=BB350_424 Depth=1
	v_or_b32_e32 v0, 0x10000, v9
	v_cmp_eq_u32_sdwa vcc, v9, v29 src0_sel:WORD_0 src1_sel:DWORD
	s_nop 1
	v_cndmask_b32_e32 v1, v0, v9, vcc
; %bb.440:                              ;   in Loop: Header=BB350_424 Depth=1
	s_or_b64 exec, exec, s[0:1]
	v_and_b32_e32 v0, 0x7f800000, v2
	v_cmp_ne_u32_e32 vcc, s8, v0
                                        ; implicit-def: $vgpr0
	s_and_saveexec_b64 s[0:1], vcc
	s_xor_b64 s[0:1], exec, s[0:1]
; %bb.441:                              ;   in Loop: Header=BB350_424 Depth=1
	v_bfe_u32 v0, v2, 16, 1
	v_add3_u32 v0, v2, v0, s9
; %bb.442:                              ;   in Loop: Header=BB350_424 Depth=1
	s_andn2_saveexec_b64 s[0:1], s[0:1]
; %bb.443:                              ;   in Loop: Header=BB350_424 Depth=1
	v_or_b32_e32 v0, 0x10000, v2
	v_cmp_eq_u32_sdwa vcc, v2, v29 src0_sel:WORD_0 src1_sel:DWORD
	s_nop 1
	v_cndmask_b32_e32 v0, v0, v2, vcc
; %bb.444:                              ;   in Loop: Header=BB350_424 Depth=1
	s_or_b64 exec, exec, s[0:1]
	v_and_b32_e32 v2, 0x7f800000, v3
	v_cmp_ne_u32_e32 vcc, s8, v2
                                        ; implicit-def: $vgpr18
	s_and_saveexec_b64 s[0:1], vcc
	s_xor_b64 s[0:1], exec, s[0:1]
; %bb.445:                              ;   in Loop: Header=BB350_424 Depth=1
	v_bfe_u32 v2, v3, 16, 1
	v_add3_u32 v18, v3, v2, s9
; %bb.446:                              ;   in Loop: Header=BB350_424 Depth=1
	s_andn2_saveexec_b64 s[0:1], s[0:1]
; %bb.447:                              ;   in Loop: Header=BB350_424 Depth=1
	v_or_b32_e32 v2, 0x10000, v3
	v_cmp_eq_u32_sdwa vcc, v3, v29 src0_sel:WORD_0 src1_sel:DWORD
	s_nop 1
	v_cndmask_b32_e32 v18, v2, v3, vcc
; %bb.448:                              ;   in Loop: Header=BB350_424 Depth=1
	s_or_b64 exec, exec, s[0:1]
	v_and_b32_e32 v2, 0x7f800000, v4
	v_cmp_ne_u32_e32 vcc, s8, v2
                                        ; implicit-def: $vgpr9
	s_and_saveexec_b64 s[0:1], vcc
	s_xor_b64 s[0:1], exec, s[0:1]
; %bb.449:                              ;   in Loop: Header=BB350_424 Depth=1
	v_bfe_u32 v2, v4, 16, 1
	v_add3_u32 v9, v4, v2, s9
; %bb.450:                              ;   in Loop: Header=BB350_424 Depth=1
	s_andn2_saveexec_b64 s[0:1], s[0:1]
; %bb.451:                              ;   in Loop: Header=BB350_424 Depth=1
	v_or_b32_e32 v2, 0x10000, v4
	v_cmp_eq_u32_sdwa vcc, v4, v29 src0_sel:WORD_0 src1_sel:DWORD
	s_nop 1
	v_cndmask_b32_e32 v9, v2, v4, vcc
; %bb.452:                              ;   in Loop: Header=BB350_424 Depth=1
	s_or_b64 exec, exec, s[0:1]
	v_and_b32_e32 v2, 0x7f800000, v5
	v_cmp_ne_u32_e32 vcc, s8, v2
                                        ; implicit-def: $vgpr8
	s_and_saveexec_b64 s[0:1], vcc
	s_xor_b64 s[0:1], exec, s[0:1]
; %bb.453:                              ;   in Loop: Header=BB350_424 Depth=1
	v_bfe_u32 v2, v5, 16, 1
	v_add3_u32 v8, v5, v2, s9
                                        ; implicit-def: $vgpr2_vgpr3_vgpr4_vgpr5
; %bb.454:                              ;   in Loop: Header=BB350_424 Depth=1
	s_andn2_saveexec_b64 s[0:1], s[0:1]
; %bb.455:                              ;   in Loop: Header=BB350_424 Depth=1
	v_or_b32_e32 v2, 0x10000, v5
	v_cmp_eq_u32_sdwa vcc, v5, v29 src0_sel:WORD_0 src1_sel:DWORD
	s_nop 1
	v_cndmask_b32_e32 v8, v2, v5, vcc
; %bb.456:                              ;   in Loop: Header=BB350_424 Depth=1
	s_or_b64 exec, exec, s[0:1]
	scratch_load_dwordx2 v[4:5], off, s32 offset:232 ; 8-byte Folded Reload
	scratch_load_dwordx2 v[2:3], off, s32 offset:192 ; 8-byte Folded Reload
	s_waitcnt vmcnt(0)
	v_mad_i64_i32 v[2:3], s[0:1], v31, v2, v[4:5]
	v_lshl_add_u64 v[4:5], v[2:3], 0, v[28:29]
	flat_load_dwordx2 v[6:7], v[4:5]
	s_waitcnt vmcnt(0) lgkmcnt(0)
	v_and_b32_e32 v31, 0xff, v6
	v_cvt_f32_fp8_sdwa v31, v31 src0_sel:BYTE_0
	s_nop 0
	v_mul_f32_e32 v32, v19, v31
	v_and_b32_e32 v31, 0x7f800000, v32
	v_cmp_ne_u32_e32 vcc, s8, v31
                                        ; implicit-def: $vgpr31
	s_and_saveexec_b64 s[0:1], vcc
	s_xor_b64 s[0:1], exec, s[0:1]
; %bb.457:                              ;   in Loop: Header=BB350_424 Depth=1
	v_bfe_u32 v31, v32, 16, 1
	v_add3_u32 v31, v32, v31, s9
                                        ; implicit-def: $vgpr32
; %bb.458:                              ;   in Loop: Header=BB350_424 Depth=1
	s_andn2_saveexec_b64 s[0:1], s[0:1]
; %bb.459:                              ;   in Loop: Header=BB350_424 Depth=1
	v_or_b32_e32 v31, 0x10000, v32
	v_cmp_eq_u32_sdwa vcc, v32, v29 src0_sel:WORD_0 src1_sel:DWORD
	s_nop 1
	v_cndmask_b32_e32 v31, v31, v32, vcc
; %bb.460:                              ;   in Loop: Header=BB350_424 Depth=1
	s_or_b64 exec, exec, s[0:1]
	v_bfe_u32 v32, v6, 8, 8
	v_cvt_f32_fp8_sdwa v32, v32 src0_sel:BYTE_0
	s_nop 0
	v_mul_f32_e32 v33, v19, v32
	v_and_b32_e32 v32, 0x7f800000, v33
	v_cmp_ne_u32_e32 vcc, s8, v32
                                        ; implicit-def: $vgpr32
	s_and_saveexec_b64 s[0:1], vcc
	s_xor_b64 s[0:1], exec, s[0:1]
; %bb.461:                              ;   in Loop: Header=BB350_424 Depth=1
	v_bfe_u32 v32, v33, 16, 1
	v_add3_u32 v32, v33, v32, s9
                                        ; implicit-def: $vgpr33
; %bb.462:                              ;   in Loop: Header=BB350_424 Depth=1
	s_andn2_saveexec_b64 s[0:1], s[0:1]
; %bb.463:                              ;   in Loop: Header=BB350_424 Depth=1
	v_or_b32_e32 v32, 0x10000, v33
	v_cmp_eq_u32_sdwa vcc, v33, v29 src0_sel:WORD_0 src1_sel:DWORD
	s_nop 1
	v_cndmask_b32_e32 v32, v32, v33, vcc
; %bb.464:                              ;   in Loop: Header=BB350_424 Depth=1
	s_or_b64 exec, exec, s[0:1]
	v_bfe_u32 v33, v6, 16, 8
	v_cvt_f32_fp8_sdwa v33, v33 src0_sel:BYTE_0
	s_nop 0
	v_mul_f32_e32 v33, v19, v33
	v_and_b32_e32 v34, 0x7f800000, v33
	v_cmp_ne_u32_e32 vcc, s8, v34
                                        ; implicit-def: $vgpr34
	s_and_saveexec_b64 s[0:1], vcc
	s_xor_b64 s[0:1], exec, s[0:1]
; %bb.465:                              ;   in Loop: Header=BB350_424 Depth=1
	v_bfe_u32 v34, v33, 16, 1
	v_add3_u32 v34, v33, v34, s9
                                        ; implicit-def: $vgpr33
; %bb.466:                              ;   in Loop: Header=BB350_424 Depth=1
	s_andn2_saveexec_b64 s[0:1], s[0:1]
; %bb.467:                              ;   in Loop: Header=BB350_424 Depth=1
	v_or_b32_e32 v34, 0x10000, v33
	v_cmp_eq_u32_sdwa vcc, v33, v29 src0_sel:WORD_0 src1_sel:DWORD
	s_nop 1
	v_cndmask_b32_e32 v34, v34, v33, vcc
; %bb.468:                              ;   in Loop: Header=BB350_424 Depth=1
	s_or_b64 exec, exec, s[0:1]
	v_lshrrev_b32_e32 v6, 24, v6
	v_cvt_f32_fp8_sdwa v6, v6 src0_sel:BYTE_0
	s_nop 0
	v_mul_f32_e32 v33, v19, v6
	v_and_b32_e32 v6, 0x7f800000, v33
	v_cmp_ne_u32_e32 vcc, s8, v6
                                        ; implicit-def: $vgpr6
	s_and_saveexec_b64 s[0:1], vcc
	s_xor_b64 s[0:1], exec, s[0:1]
; %bb.469:                              ;   in Loop: Header=BB350_424 Depth=1
	v_bfe_u32 v6, v33, 16, 1
	v_add3_u32 v6, v33, v6, s9
                                        ; implicit-def: $vgpr33
; %bb.470:                              ;   in Loop: Header=BB350_424 Depth=1
	s_andn2_saveexec_b64 s[0:1], s[0:1]
; %bb.471:                              ;   in Loop: Header=BB350_424 Depth=1
	v_or_b32_e32 v6, 0x10000, v33
	v_cmp_eq_u32_sdwa vcc, v33, v29 src0_sel:WORD_0 src1_sel:DWORD
	s_nop 1
	v_cndmask_b32_e32 v6, v6, v33, vcc
; %bb.472:                              ;   in Loop: Header=BB350_424 Depth=1
	s_or_b64 exec, exec, s[0:1]
	v_and_b32_e32 v33, 0xff, v7
	v_cvt_f32_fp8_sdwa v33, v33 src0_sel:BYTE_0
	s_nop 0
	v_mul_f32_e32 v33, v19, v33
	v_and_b32_e32 v35, 0x7f800000, v33
	v_cmp_ne_u32_e32 vcc, s8, v35
                                        ; implicit-def: $vgpr35
	s_and_saveexec_b64 s[0:1], vcc
	s_xor_b64 s[0:1], exec, s[0:1]
; %bb.473:                              ;   in Loop: Header=BB350_424 Depth=1
	v_bfe_u32 v35, v33, 16, 1
	v_add3_u32 v35, v33, v35, s9
                                        ; implicit-def: $vgpr33
; %bb.474:                              ;   in Loop: Header=BB350_424 Depth=1
	s_andn2_saveexec_b64 s[0:1], s[0:1]
; %bb.475:                              ;   in Loop: Header=BB350_424 Depth=1
	v_or_b32_e32 v35, 0x10000, v33
	v_cmp_eq_u32_sdwa vcc, v33, v29 src0_sel:WORD_0 src1_sel:DWORD
	s_nop 1
	v_cndmask_b32_e32 v35, v35, v33, vcc
; %bb.476:                              ;   in Loop: Header=BB350_424 Depth=1
	s_or_b64 exec, exec, s[0:1]
	v_bfe_u32 v33, v7, 8, 8
	v_cvt_f32_fp8_sdwa v33, v33 src0_sel:BYTE_0
	s_nop 0
	v_mul_f32_e32 v36, v19, v33
	v_and_b32_e32 v33, 0x7f800000, v36
	v_cmp_ne_u32_e32 vcc, s8, v33
                                        ; implicit-def: $vgpr33
	s_and_saveexec_b64 s[0:1], vcc
	s_xor_b64 s[0:1], exec, s[0:1]
; %bb.477:                              ;   in Loop: Header=BB350_424 Depth=1
	v_bfe_u32 v33, v36, 16, 1
	v_add3_u32 v33, v36, v33, s9
                                        ; implicit-def: $vgpr36
; %bb.478:                              ;   in Loop: Header=BB350_424 Depth=1
	s_andn2_saveexec_b64 s[0:1], s[0:1]
; %bb.479:                              ;   in Loop: Header=BB350_424 Depth=1
	v_or_b32_e32 v33, 0x10000, v36
	v_cmp_eq_u32_sdwa vcc, v36, v29 src0_sel:WORD_0 src1_sel:DWORD
	s_nop 1
	v_cndmask_b32_e32 v33, v33, v36, vcc
; %bb.480:                              ;   in Loop: Header=BB350_424 Depth=1
	s_or_b64 exec, exec, s[0:1]
	v_bfe_u32 v36, v7, 16, 8
	v_cvt_f32_fp8_sdwa v36, v36 src0_sel:BYTE_0
	s_nop 0
	v_mul_f32_e32 v36, v19, v36
	v_and_b32_e32 v37, 0x7f800000, v36
	v_cmp_ne_u32_e32 vcc, s8, v37
                                        ; implicit-def: $vgpr37
	s_and_saveexec_b64 s[0:1], vcc
	s_xor_b64 s[0:1], exec, s[0:1]
; %bb.481:                              ;   in Loop: Header=BB350_424 Depth=1
	v_bfe_u32 v37, v36, 16, 1
	v_add3_u32 v37, v36, v37, s9
                                        ; implicit-def: $vgpr36
; %bb.482:                              ;   in Loop: Header=BB350_424 Depth=1
	s_andn2_saveexec_b64 s[0:1], s[0:1]
; %bb.483:                              ;   in Loop: Header=BB350_424 Depth=1
	v_or_b32_e32 v37, 0x10000, v36
	v_cmp_eq_u32_sdwa vcc, v36, v29 src0_sel:WORD_0 src1_sel:DWORD
	s_nop 1
	v_cndmask_b32_e32 v37, v37, v36, vcc
; %bb.484:                              ;   in Loop: Header=BB350_424 Depth=1
	s_or_b64 exec, exec, s[0:1]
	v_lshrrev_b32_e32 v7, 24, v7
	v_cvt_f32_fp8_sdwa v7, v7 src0_sel:BYTE_0
                                        ; implicit-def: $vgpr38
	s_nop 0
	v_mul_f32_e32 v7, v19, v7
	v_and_b32_e32 v36, 0x7f800000, v7
	v_cmp_ne_u32_e32 vcc, s8, v36
	s_and_saveexec_b64 s[0:1], vcc
	s_xor_b64 s[0:1], exec, s[0:1]
; %bb.485:                              ;   in Loop: Header=BB350_424 Depth=1
	v_bfe_u32 v36, v7, 16, 1
	v_add3_u32 v38, v7, v36, s9
                                        ; implicit-def: $vgpr7
; %bb.486:                              ;   in Loop: Header=BB350_424 Depth=1
	s_andn2_saveexec_b64 s[0:1], s[0:1]
; %bb.487:                              ;   in Loop: Header=BB350_424 Depth=1
	v_or_b32_e32 v36, 0x10000, v7
	v_cmp_eq_u32_sdwa vcc, v7, v29 src0_sel:WORD_0 src1_sel:DWORD
	s_nop 1
	v_cndmask_b32_e32 v38, v36, v7, vcc
; %bb.488:                              ;   in Loop: Header=BB350_424 Depth=1
	s_or_b64 exec, exec, s[0:1]
	scratch_load_dword v36, off, s32 offset:228 ; 4-byte Folded Reload
	v_accvgpr_read_b32 v7, a5
	v_lshrrev_b32_e32 v33, 16, v33
	v_lshrrev_b32_e32 v35, 16, v35
	v_lshrrev_b32_e32 v34, 16, v34
	v_lshrrev_b32_e32 v32, 16, v32
	v_lshrrev_b32_e32 v31, 16, v31
	s_waitcnt vmcnt(0)
	v_cmp_eq_u32_e32 vcc, v36, v7
	v_add_u32_e32 v7, -7, v55
	v_accvgpr_write_b32 a29, v7
	v_lshrrev_b32_e32 v7, 16, v37
	v_add_u32_e32 v37, -6, v55
	v_accvgpr_write_b32 a35, v37
	v_add_u32_e32 v37, -5, v55
	v_accvgpr_write_b32 a34, v37
	v_add_u32_e32 v37, -4, v55
	v_accvgpr_write_b32 a33, v37
	v_add_u32_e32 v37, -3, v55
	v_accvgpr_write_b32 a32, v37
	v_add_u32_e32 v37, -2, v55
	v_accvgpr_write_b32 a31, v37
	v_add_u32_e32 v37, -1, v55
	v_lshrrev_b32_e32 v36, 16, v6
	v_lshrrev_b32_e32 v6, 16, v38
	v_accvgpr_write_b32 a30, v37
	s_and_saveexec_b64 s[6:7], vcc
	s_cbranch_execz .LBB350_490
; %bb.489:                              ;   in Loop: Header=BB350_424 Depth=1
	v_accvgpr_read_b32 v37, a29
	v_cmp_lt_i32_e64 s[0:1], v37, v39
	v_accvgpr_read_b32 v37, a35
	s_nop 0
	v_cndmask_b32_e64 v31, 0, v31, s[0:1]
	v_cmp_lt_i32_e64 s[0:1], v37, v39
	v_accvgpr_read_b32 v37, a34
	s_nop 0
	v_cndmask_b32_e64 v32, 0, v32, s[0:1]
	;; [unrolled: 4-line block ×6, first 2 shown]
	v_cmp_lt_i32_e64 s[0:1], v37, v39
	s_nop 1
	v_cndmask_b32_e64 v7, 0, v7, s[0:1]
	v_cmp_lt_i32_e64 s[0:1], v55, v39
	s_nop 1
	v_cndmask_b32_e64 v6, 0, v6, s[0:1]
.LBB350_490:                            ;   in Loop: Header=BB350_424 Depth=1
	s_or_b64 exec, exec, s[6:7]
	v_and_b32_e32 v62, 0xffff0000, v30
	v_lshlrev_b32_e32 v30, 16, v31
	v_mul_f32_e32 v30, v62, v30
	v_and_b32_e32 v31, 0x7f800000, v30
	v_cmp_ne_u32_e64 s[0:1], s8, v31
                                        ; implicit-def: $vgpr31
                                        ; kill: killed $vgpr31
	s_and_saveexec_b64 s[6:7], s[0:1]
	s_xor_b64 s[0:1], exec, s[6:7]
	s_cbranch_execz .LBB350_492
; %bb.491:                              ;   in Loop: Header=BB350_424 Depth=1
	v_bfe_u32 v31, v30, 16, 1
	v_add3_u32 v30, v30, v31, s9
	scratch_store_dword off, v30, s32 offset:200 ; 4-byte Folded Spill
                                        ; implicit-def: $vgpr30
.LBB350_492:                            ;   in Loop: Header=BB350_424 Depth=1
	s_andn2_saveexec_b64 s[6:7], s[0:1]
	s_cbranch_execz .LBB350_494
; %bb.493:                              ;   in Loop: Header=BB350_424 Depth=1
	v_or_b32_e32 v31, 0x10000, v30
	v_cmp_eq_u32_sdwa s[0:1], v30, v29 src0_sel:WORD_0 src1_sel:DWORD
	s_nop 1
	v_cndmask_b32_e64 v30, v31, v30, s[0:1]
	scratch_store_dword off, v30, s32 offset:200 ; 4-byte Folded Spill
.LBB350_494:                            ;   in Loop: Header=BB350_424 Depth=1
	s_or_b64 exec, exec, s[6:7]
	v_and_b32_e32 v50, 0xffff0000, v23
	v_lshlrev_b32_e32 v23, 16, v32
	v_mul_f32_e32 v23, v50, v23
	v_and_b32_e32 v30, 0x7f800000, v23
	v_cmp_ne_u32_e64 s[0:1], s8, v30
                                        ; implicit-def: $vgpr30
                                        ; kill: killed $vgpr30
	s_and_saveexec_b64 s[6:7], s[0:1]
	s_xor_b64 s[0:1], exec, s[6:7]
	s_cbranch_execz .LBB350_496
; %bb.495:                              ;   in Loop: Header=BB350_424 Depth=1
	v_bfe_u32 v30, v23, 16, 1
	v_add3_u32 v23, v23, v30, s9
	scratch_store_dword off, v23, s32 offset:204 ; 4-byte Folded Spill
                                        ; implicit-def: $vgpr23
.LBB350_496:                            ;   in Loop: Header=BB350_424 Depth=1
	s_andn2_saveexec_b64 s[6:7], s[0:1]
	s_cbranch_execz .LBB350_498
; %bb.497:                              ;   in Loop: Header=BB350_424 Depth=1
	v_or_b32_e32 v30, 0x10000, v23
	v_cmp_eq_u32_sdwa s[0:1], v23, v29 src0_sel:WORD_0 src1_sel:DWORD
	s_nop 1
	v_cndmask_b32_e64 v23, v30, v23, s[0:1]
	scratch_store_dword off, v23, s32 offset:204 ; 4-byte Folded Spill
.LBB350_498:                            ;   in Loop: Header=BB350_424 Depth=1
	s_or_b64 exec, exec, s[6:7]
	v_and_b32_e32 v51, 0xffff0000, v22
	v_lshlrev_b32_e32 v22, 16, v34
	v_mul_f32_e32 v22, v51, v22
	v_and_b32_e32 v23, 0x7f800000, v22
	v_cmp_ne_u32_e64 s[0:1], s8, v23
                                        ; implicit-def: $vgpr23
                                        ; kill: killed $vgpr23
	s_and_saveexec_b64 s[6:7], s[0:1]
	s_xor_b64 s[0:1], exec, s[6:7]
	s_cbranch_execz .LBB350_500
; %bb.499:                              ;   in Loop: Header=BB350_424 Depth=1
	v_bfe_u32 v23, v22, 16, 1
	v_add3_u32 v22, v22, v23, s9
	scratch_store_dword off, v22, s32 offset:208 ; 4-byte Folded Spill
                                        ; implicit-def: $vgpr22
.LBB350_500:                            ;   in Loop: Header=BB350_424 Depth=1
	s_andn2_saveexec_b64 s[6:7], s[0:1]
	s_cbranch_execz .LBB350_502
; %bb.501:                              ;   in Loop: Header=BB350_424 Depth=1
	v_or_b32_e32 v23, 0x10000, v22
	v_cmp_eq_u32_sdwa s[0:1], v22, v29 src0_sel:WORD_0 src1_sel:DWORD
	s_nop 1
	v_cndmask_b32_e64 v22, v23, v22, s[0:1]
	scratch_store_dword off, v22, s32 offset:208 ; 4-byte Folded Spill
.LBB350_502:                            ;   in Loop: Header=BB350_424 Depth=1
	s_or_b64 exec, exec, s[6:7]
	v_and_b32_e32 v1, 0xffff0000, v1
	v_lshlrev_b32_e32 v22, 16, v36
	v_mul_f32_e32 v22, v1, v22
	v_and_b32_e32 v23, 0x7f800000, v22
	v_cmp_ne_u32_e64 s[0:1], s8, v23
                                        ; implicit-def: $vgpr23
                                        ; kill: killed $vgpr23
	s_and_saveexec_b64 s[6:7], s[0:1]
	s_xor_b64 s[0:1], exec, s[6:7]
	s_cbranch_execz .LBB350_504
; %bb.503:                              ;   in Loop: Header=BB350_424 Depth=1
	v_bfe_u32 v23, v22, 16, 1
	v_add3_u32 v22, v22, v23, s9
	scratch_store_dword off, v22, s32 offset:212 ; 4-byte Folded Spill
                                        ; implicit-def: $vgpr22
.LBB350_504:                            ;   in Loop: Header=BB350_424 Depth=1
	;; [unrolled: 26-line block ×3, first 2 shown]
	s_andn2_saveexec_b64 s[6:7], s[0:1]
	s_cbranch_execz .LBB350_510
; %bb.509:                              ;   in Loop: Header=BB350_424 Depth=1
	v_or_b32_e32 v23, 0x10000, v22
	v_cmp_eq_u32_sdwa s[0:1], v22, v29 src0_sel:WORD_0 src1_sel:DWORD
	s_nop 1
	v_cndmask_b32_e64 v22, v23, v22, s[0:1]
	scratch_store_dword off, v22, s32 offset:216 ; 4-byte Folded Spill
.LBB350_510:                            ;   in Loop: Header=BB350_424 Depth=1
	s_or_b64 exec, exec, s[6:7]
	v_and_b32_e32 v38, 0xffff0000, v18
	v_lshlrev_b32_e32 v18, 16, v33
	v_mul_f32_e32 v18, v38, v18
	v_and_b32_e32 v22, 0x7f800000, v18
	v_cmp_ne_u32_e64 s[0:1], s8, v22
                                        ; implicit-def: $vgpr22
                                        ; kill: killed $vgpr22
	s_and_saveexec_b64 s[6:7], s[0:1]
	s_xor_b64 s[0:1], exec, s[6:7]
	s_cbranch_execz .LBB350_512
; %bb.511:                              ;   in Loop: Header=BB350_424 Depth=1
	v_bfe_u32 v22, v18, 16, 1
	v_add3_u32 v18, v18, v22, s9
	scratch_store_dword off, v18, s32 offset:220 ; 4-byte Folded Spill
                                        ; implicit-def: $vgpr18
.LBB350_512:                            ;   in Loop: Header=BB350_424 Depth=1
	s_andn2_saveexec_b64 s[6:7], s[0:1]
	s_cbranch_execz .LBB350_514
; %bb.513:                              ;   in Loop: Header=BB350_424 Depth=1
	v_or_b32_e32 v22, 0x10000, v18
	v_cmp_eq_u32_sdwa s[0:1], v18, v29 src0_sel:WORD_0 src1_sel:DWORD
	s_nop 1
	v_cndmask_b32_e64 v18, v22, v18, s[0:1]
	scratch_store_dword off, v18, s32 offset:220 ; 4-byte Folded Spill
.LBB350_514:                            ;   in Loop: Header=BB350_424 Depth=1
	s_or_b64 exec, exec, s[6:7]
	v_and_b32_e32 v52, 0xffff0000, v9
	v_lshlrev_b32_e32 v7, 16, v7
	v_mul_f32_e32 v7, v52, v7
	v_and_b32_e32 v9, 0x7f800000, v7
	v_cmp_ne_u32_e64 s[0:1], s8, v9
                                        ; implicit-def: $vgpr9
                                        ; kill: killed $vgpr9
	s_and_saveexec_b64 s[6:7], s[0:1]
	s_xor_b64 s[0:1], exec, s[6:7]
	s_cbranch_execz .LBB350_516
; %bb.515:                              ;   in Loop: Header=BB350_424 Depth=1
	v_bfe_u32 v9, v7, 16, 1
	v_add3_u32 v7, v7, v9, s9
	scratch_store_dword off, v7, s32 offset:224 ; 4-byte Folded Spill
                                        ; implicit-def: $vgpr7
.LBB350_516:                            ;   in Loop: Header=BB350_424 Depth=1
	s_andn2_saveexec_b64 s[6:7], s[0:1]
	s_cbranch_execz .LBB350_518
; %bb.517:                              ;   in Loop: Header=BB350_424 Depth=1
	v_or_b32_e32 v9, 0x10000, v7
	v_cmp_eq_u32_sdwa s[0:1], v7, v29 src0_sel:WORD_0 src1_sel:DWORD
	s_nop 1
	v_cndmask_b32_e64 v7, v9, v7, s[0:1]
	scratch_store_dword off, v7, s32 offset:224 ; 4-byte Folded Spill
.LBB350_518:                            ;   in Loop: Header=BB350_424 Depth=1
	s_or_b64 exec, exec, s[6:7]
	v_and_b32_e32 v53, 0xffff0000, v8
	v_lshlrev_b32_e32 v6, 16, v6
	v_mul_f32_e32 v6, v53, v6
	v_and_b32_e32 v7, 0x7f800000, v6
	v_cmp_ne_u32_e64 s[0:1], s8, v7
                                        ; implicit-def: $agpr28
	s_and_saveexec_b64 s[6:7], s[0:1]
	s_xor_b64 s[0:1], exec, s[6:7]
; %bb.519:                              ;   in Loop: Header=BB350_424 Depth=1
	v_bfe_u32 v7, v6, 16, 1
	v_add3_u32 v6, v6, v7, s9
	v_accvgpr_write_b32 a28, v6
                                        ; implicit-def: $vgpr6
; %bb.520:                              ;   in Loop: Header=BB350_424 Depth=1
	s_andn2_saveexec_b64 s[6:7], s[0:1]
; %bb.521:                              ;   in Loop: Header=BB350_424 Depth=1
	v_or_b32_e32 v7, 0x10000, v6
	v_cmp_eq_u32_sdwa s[0:1], v6, v29 src0_sel:WORD_0 src1_sel:DWORD
	s_nop 1
	v_cndmask_b32_e64 v6, v7, v6, s[0:1]
	v_accvgpr_write_b32 a28, v6
; %bb.522:                              ;   in Loop: Header=BB350_424 Depth=1
	s_or_b64 exec, exec, s[6:7]
	flat_load_dwordx2 v[6:7], v[4:5] offset:512
	s_waitcnt vmcnt(0) lgkmcnt(0)
	v_and_b32_e32 v8, 0xff, v6
	v_cvt_f32_fp8_sdwa v8, v8 src0_sel:BYTE_0
	s_nop 0
	v_mul_f32_e32 v9, v19, v8
	v_and_b32_e32 v8, 0x7f800000, v9
	v_cmp_ne_u32_e64 s[0:1], s8, v8
                                        ; implicit-def: $vgpr8
	s_and_saveexec_b64 s[6:7], s[0:1]
	s_xor_b64 s[0:1], exec, s[6:7]
; %bb.523:                              ;   in Loop: Header=BB350_424 Depth=1
	v_bfe_u32 v8, v9, 16, 1
	v_add3_u32 v8, v9, v8, s9
                                        ; implicit-def: $vgpr9
; %bb.524:                              ;   in Loop: Header=BB350_424 Depth=1
	s_andn2_saveexec_b64 s[6:7], s[0:1]
; %bb.525:                              ;   in Loop: Header=BB350_424 Depth=1
	v_or_b32_e32 v8, 0x10000, v9
	v_cmp_eq_u32_sdwa s[0:1], v9, v29 src0_sel:WORD_0 src1_sel:DWORD
	s_nop 1
	v_cndmask_b32_e64 v8, v8, v9, s[0:1]
; %bb.526:                              ;   in Loop: Header=BB350_424 Depth=1
	s_or_b64 exec, exec, s[6:7]
	v_bfe_u32 v9, v6, 8, 8
	v_cvt_f32_fp8_sdwa v9, v9 src0_sel:BYTE_0
	s_nop 0
	v_mul_f32_e32 v18, v19, v9
	v_and_b32_e32 v9, 0x7f800000, v18
	v_cmp_ne_u32_e64 s[0:1], s8, v9
                                        ; implicit-def: $vgpr9
	s_and_saveexec_b64 s[6:7], s[0:1]
	s_xor_b64 s[0:1], exec, s[6:7]
; %bb.527:                              ;   in Loop: Header=BB350_424 Depth=1
	v_bfe_u32 v9, v18, 16, 1
	v_add3_u32 v9, v18, v9, s9
                                        ; implicit-def: $vgpr18
; %bb.528:                              ;   in Loop: Header=BB350_424 Depth=1
	s_andn2_saveexec_b64 s[6:7], s[0:1]
; %bb.529:                              ;   in Loop: Header=BB350_424 Depth=1
	v_or_b32_e32 v9, 0x10000, v18
	v_cmp_eq_u32_sdwa s[0:1], v18, v29 src0_sel:WORD_0 src1_sel:DWORD
	s_nop 1
	v_cndmask_b32_e64 v9, v9, v18, s[0:1]
; %bb.530:                              ;   in Loop: Header=BB350_424 Depth=1
	s_or_b64 exec, exec, s[6:7]
	v_bfe_u32 v18, v6, 16, 8
	v_cvt_f32_fp8_sdwa v18, v18 src0_sel:BYTE_0
	s_nop 0
	v_mul_f32_e32 v18, v19, v18
	v_and_b32_e32 v22, 0x7f800000, v18
	v_cmp_ne_u32_e64 s[0:1], s8, v22
                                        ; implicit-def: $vgpr22
	s_and_saveexec_b64 s[6:7], s[0:1]
	s_xor_b64 s[0:1], exec, s[6:7]
; %bb.531:                              ;   in Loop: Header=BB350_424 Depth=1
	v_bfe_u32 v22, v18, 16, 1
	v_add3_u32 v22, v18, v22, s9
                                        ; implicit-def: $vgpr18
; %bb.532:                              ;   in Loop: Header=BB350_424 Depth=1
	s_andn2_saveexec_b64 s[6:7], s[0:1]
; %bb.533:                              ;   in Loop: Header=BB350_424 Depth=1
	v_or_b32_e32 v22, 0x10000, v18
	v_cmp_eq_u32_sdwa s[0:1], v18, v29 src0_sel:WORD_0 src1_sel:DWORD
	s_nop 1
	v_cndmask_b32_e64 v22, v22, v18, s[0:1]
; %bb.534:                              ;   in Loop: Header=BB350_424 Depth=1
	s_or_b64 exec, exec, s[6:7]
	v_lshrrev_b32_e32 v6, 24, v6
	v_cvt_f32_fp8_sdwa v6, v6 src0_sel:BYTE_0
	s_nop 0
	v_mul_f32_e32 v18, v19, v6
	v_and_b32_e32 v6, 0x7f800000, v18
	v_cmp_ne_u32_e64 s[0:1], s8, v6
                                        ; implicit-def: $vgpr6
	s_and_saveexec_b64 s[6:7], s[0:1]
	s_xor_b64 s[0:1], exec, s[6:7]
; %bb.535:                              ;   in Loop: Header=BB350_424 Depth=1
	v_bfe_u32 v6, v18, 16, 1
	v_add3_u32 v6, v18, v6, s9
                                        ; implicit-def: $vgpr18
; %bb.536:                              ;   in Loop: Header=BB350_424 Depth=1
	s_andn2_saveexec_b64 s[6:7], s[0:1]
; %bb.537:                              ;   in Loop: Header=BB350_424 Depth=1
	v_or_b32_e32 v6, 0x10000, v18
	v_cmp_eq_u32_sdwa s[0:1], v18, v29 src0_sel:WORD_0 src1_sel:DWORD
	s_nop 1
	v_cndmask_b32_e64 v6, v6, v18, s[0:1]
; %bb.538:                              ;   in Loop: Header=BB350_424 Depth=1
	s_or_b64 exec, exec, s[6:7]
	v_and_b32_e32 v18, 0xff, v7
	v_cvt_f32_fp8_sdwa v18, v18 src0_sel:BYTE_0
	s_nop 0
	v_mul_f32_e32 v18, v19, v18
	v_and_b32_e32 v23, 0x7f800000, v18
	v_cmp_ne_u32_e64 s[0:1], s8, v23
                                        ; implicit-def: $vgpr23
	s_and_saveexec_b64 s[6:7], s[0:1]
	s_xor_b64 s[0:1], exec, s[6:7]
; %bb.539:                              ;   in Loop: Header=BB350_424 Depth=1
	v_bfe_u32 v23, v18, 16, 1
	v_add3_u32 v23, v18, v23, s9
                                        ; implicit-def: $vgpr18
; %bb.540:                              ;   in Loop: Header=BB350_424 Depth=1
	s_andn2_saveexec_b64 s[6:7], s[0:1]
; %bb.541:                              ;   in Loop: Header=BB350_424 Depth=1
	v_or_b32_e32 v23, 0x10000, v18
	v_cmp_eq_u32_sdwa s[0:1], v18, v29 src0_sel:WORD_0 src1_sel:DWORD
	s_nop 1
	v_cndmask_b32_e64 v23, v23, v18, s[0:1]
; %bb.542:                              ;   in Loop: Header=BB350_424 Depth=1
	s_or_b64 exec, exec, s[6:7]
	v_bfe_u32 v18, v7, 8, 8
	v_cvt_f32_fp8_sdwa v18, v18 src0_sel:BYTE_0
	s_nop 0
	v_mul_f32_e32 v30, v19, v18
	v_and_b32_e32 v18, 0x7f800000, v30
	v_cmp_ne_u32_e64 s[0:1], s8, v18
                                        ; implicit-def: $vgpr18
	s_and_saveexec_b64 s[6:7], s[0:1]
	s_xor_b64 s[0:1], exec, s[6:7]
; %bb.543:                              ;   in Loop: Header=BB350_424 Depth=1
	v_bfe_u32 v18, v30, 16, 1
	v_add3_u32 v18, v30, v18, s9
                                        ; implicit-def: $vgpr30
; %bb.544:                              ;   in Loop: Header=BB350_424 Depth=1
	s_andn2_saveexec_b64 s[6:7], s[0:1]
; %bb.545:                              ;   in Loop: Header=BB350_424 Depth=1
	v_or_b32_e32 v18, 0x10000, v30
	v_cmp_eq_u32_sdwa s[0:1], v30, v29 src0_sel:WORD_0 src1_sel:DWORD
	s_nop 1
	v_cndmask_b32_e64 v18, v18, v30, s[0:1]
; %bb.546:                              ;   in Loop: Header=BB350_424 Depth=1
	s_or_b64 exec, exec, s[6:7]
	v_bfe_u32 v30, v7, 16, 8
	v_cvt_f32_fp8_sdwa v30, v30 src0_sel:BYTE_0
	s_nop 0
	v_mul_f32_e32 v30, v19, v30
	v_and_b32_e32 v31, 0x7f800000, v30
	v_cmp_ne_u32_e64 s[0:1], s8, v31
                                        ; implicit-def: $vgpr31
	s_and_saveexec_b64 s[6:7], s[0:1]
	s_xor_b64 s[0:1], exec, s[6:7]
; %bb.547:                              ;   in Loop: Header=BB350_424 Depth=1
	v_bfe_u32 v31, v30, 16, 1
	v_add3_u32 v31, v30, v31, s9
                                        ; implicit-def: $vgpr30
; %bb.548:                              ;   in Loop: Header=BB350_424 Depth=1
	s_andn2_saveexec_b64 s[6:7], s[0:1]
; %bb.549:                              ;   in Loop: Header=BB350_424 Depth=1
	v_or_b32_e32 v31, 0x10000, v30
	v_cmp_eq_u32_sdwa s[0:1], v30, v29 src0_sel:WORD_0 src1_sel:DWORD
	s_nop 1
	v_cndmask_b32_e64 v31, v31, v30, s[0:1]
; %bb.550:                              ;   in Loop: Header=BB350_424 Depth=1
	s_or_b64 exec, exec, s[6:7]
	v_lshrrev_b32_e32 v7, 24, v7
	v_cvt_f32_fp8_sdwa v7, v7 src0_sel:BYTE_0
                                        ; implicit-def: $vgpr32
	s_nop 0
	v_mul_f32_e32 v7, v19, v7
	v_and_b32_e32 v30, 0x7f800000, v7
	v_cmp_ne_u32_e64 s[0:1], s8, v30
	s_and_saveexec_b64 s[6:7], s[0:1]
	s_xor_b64 s[0:1], exec, s[6:7]
; %bb.551:                              ;   in Loop: Header=BB350_424 Depth=1
	v_bfe_u32 v30, v7, 16, 1
	v_add3_u32 v32, v7, v30, s9
                                        ; implicit-def: $vgpr7
; %bb.552:                              ;   in Loop: Header=BB350_424 Depth=1
	s_andn2_saveexec_b64 s[6:7], s[0:1]
; %bb.553:                              ;   in Loop: Header=BB350_424 Depth=1
	v_or_b32_e32 v30, 0x10000, v7
	v_cmp_eq_u32_sdwa s[0:1], v7, v29 src0_sel:WORD_0 src1_sel:DWORD
	s_nop 1
	v_cndmask_b32_e64 v32, v30, v7, s[0:1]
; %bb.554:                              ;   in Loop: Header=BB350_424 Depth=1
	s_or_b64 exec, exec, s[6:7]
	v_lshrrev_b32_e32 v18, 16, v18
	v_lshrrev_b32_e32 v23, 16, v23
	;; [unrolled: 1-line block ×8, first 2 shown]
	s_and_saveexec_b64 s[6:7], vcc
	s_cbranch_execz .LBB350_556
; %bb.555:                              ;   in Loop: Header=BB350_424 Depth=1
	v_accvgpr_read_b32 v31, a29
	v_cmp_lt_i32_e64 s[0:1], v31, v39
	v_accvgpr_read_b32 v31, a35
	s_nop 0
	v_cndmask_b32_e64 v8, 0, v8, s[0:1]
	v_cmp_lt_i32_e64 s[0:1], v31, v39
	v_accvgpr_read_b32 v31, a34
	s_nop 0
	v_cndmask_b32_e64 v9, 0, v9, s[0:1]
	;; [unrolled: 4-line block ×6, first 2 shown]
	v_cmp_lt_i32_e64 s[0:1], v31, v39
	s_nop 1
	v_cndmask_b32_e64 v7, 0, v7, s[0:1]
	v_cmp_lt_i32_e64 s[0:1], v55, v39
	s_nop 1
	v_cndmask_b32_e64 v6, 0, v6, s[0:1]
.LBB350_556:                            ;   in Loop: Header=BB350_424 Depth=1
	s_or_b64 exec, exec, s[6:7]
	v_lshlrev_b32_e32 v8, 16, v8
	v_mul_f32_e32 v8, v62, v8
	v_and_b32_e32 v31, 0x7f800000, v8
	v_cmp_ne_u32_e64 s[0:1], s8, v31
                                        ; implicit-def: $agpr36
	s_and_saveexec_b64 s[6:7], s[0:1]
	s_xor_b64 s[0:1], exec, s[6:7]
; %bb.557:                              ;   in Loop: Header=BB350_424 Depth=1
	v_bfe_u32 v31, v8, 16, 1
	v_add3_u32 v8, v8, v31, s9
	v_accvgpr_write_b32 a36, v8
                                        ; implicit-def: $vgpr8
; %bb.558:                              ;   in Loop: Header=BB350_424 Depth=1
	s_andn2_saveexec_b64 s[6:7], s[0:1]
; %bb.559:                              ;   in Loop: Header=BB350_424 Depth=1
	v_or_b32_e32 v31, 0x10000, v8
	v_cmp_eq_u32_sdwa s[0:1], v8, v29 src0_sel:WORD_0 src1_sel:DWORD
	s_nop 1
	v_cndmask_b32_e64 v8, v31, v8, s[0:1]
	v_accvgpr_write_b32 a36, v8
; %bb.560:                              ;   in Loop: Header=BB350_424 Depth=1
	s_or_b64 exec, exec, s[6:7]
	v_lshlrev_b32_e32 v8, 16, v9
	v_mul_f32_e32 v8, v50, v8
	v_and_b32_e32 v9, 0x7f800000, v8
	v_cmp_ne_u32_e64 s[0:1], s8, v9
                                        ; implicit-def: $agpr37
	s_and_saveexec_b64 s[6:7], s[0:1]
	s_xor_b64 s[0:1], exec, s[6:7]
; %bb.561:                              ;   in Loop: Header=BB350_424 Depth=1
	v_bfe_u32 v9, v8, 16, 1
	v_add3_u32 v8, v8, v9, s9
	v_accvgpr_write_b32 a37, v8
                                        ; implicit-def: $vgpr8
; %bb.562:                              ;   in Loop: Header=BB350_424 Depth=1
	s_andn2_saveexec_b64 s[6:7], s[0:1]
; %bb.563:                              ;   in Loop: Header=BB350_424 Depth=1
	v_or_b32_e32 v9, 0x10000, v8
	v_cmp_eq_u32_sdwa s[0:1], v8, v29 src0_sel:WORD_0 src1_sel:DWORD
	s_nop 1
	v_cndmask_b32_e64 v8, v9, v8, s[0:1]
	v_accvgpr_write_b32 a37, v8
; %bb.564:                              ;   in Loop: Header=BB350_424 Depth=1
	s_or_b64 exec, exec, s[6:7]
	v_lshlrev_b32_e32 v8, 16, v22
	v_mul_f32_e32 v8, v51, v8
	v_and_b32_e32 v9, 0x7f800000, v8
	v_cmp_ne_u32_e64 s[0:1], s8, v9
                                        ; implicit-def: $agpr38
	s_and_saveexec_b64 s[6:7], s[0:1]
	s_xor_b64 s[0:1], exec, s[6:7]
; %bb.565:                              ;   in Loop: Header=BB350_424 Depth=1
	v_bfe_u32 v9, v8, 16, 1
	v_add3_u32 v8, v8, v9, s9
	v_accvgpr_write_b32 a38, v8
                                        ; implicit-def: $vgpr8
; %bb.566:                              ;   in Loop: Header=BB350_424 Depth=1
	s_andn2_saveexec_b64 s[6:7], s[0:1]
; %bb.567:                              ;   in Loop: Header=BB350_424 Depth=1
	v_or_b32_e32 v9, 0x10000, v8
	v_cmp_eq_u32_sdwa s[0:1], v8, v29 src0_sel:WORD_0 src1_sel:DWORD
	s_nop 1
	v_cndmask_b32_e64 v8, v9, v8, s[0:1]
	v_accvgpr_write_b32 a38, v8
; %bb.568:                              ;   in Loop: Header=BB350_424 Depth=1
	s_or_b64 exec, exec, s[6:7]
	v_lshlrev_b32_e32 v8, 16, v30
	v_mul_f32_e32 v8, v1, v8
	v_and_b32_e32 v9, 0x7f800000, v8
	v_cmp_ne_u32_e64 s[0:1], s8, v9
                                        ; implicit-def: $agpr39
	s_and_saveexec_b64 s[6:7], s[0:1]
	s_xor_b64 s[0:1], exec, s[6:7]
; %bb.569:                              ;   in Loop: Header=BB350_424 Depth=1
	v_bfe_u32 v9, v8, 16, 1
	v_add3_u32 v8, v8, v9, s9
	v_accvgpr_write_b32 a39, v8
                                        ; implicit-def: $vgpr8
; %bb.570:                              ;   in Loop: Header=BB350_424 Depth=1
	s_andn2_saveexec_b64 s[6:7], s[0:1]
; %bb.571:                              ;   in Loop: Header=BB350_424 Depth=1
	v_or_b32_e32 v9, 0x10000, v8
	v_cmp_eq_u32_sdwa s[0:1], v8, v29 src0_sel:WORD_0 src1_sel:DWORD
	s_nop 1
	v_cndmask_b32_e64 v8, v9, v8, s[0:1]
	v_accvgpr_write_b32 a39, v8
; %bb.572:                              ;   in Loop: Header=BB350_424 Depth=1
	s_or_b64 exec, exec, s[6:7]
	v_lshlrev_b32_e32 v8, 16, v23
	v_mul_f32_e32 v8, v0, v8
	v_and_b32_e32 v9, 0x7f800000, v8
	v_cmp_ne_u32_e64 s[0:1], s8, v9
                                        ; implicit-def: $agpr40
	s_and_saveexec_b64 s[6:7], s[0:1]
	s_xor_b64 s[0:1], exec, s[6:7]
; %bb.573:                              ;   in Loop: Header=BB350_424 Depth=1
	v_bfe_u32 v9, v8, 16, 1
	v_add3_u32 v8, v8, v9, s9
	v_accvgpr_write_b32 a40, v8
                                        ; implicit-def: $vgpr8
; %bb.574:                              ;   in Loop: Header=BB350_424 Depth=1
	s_andn2_saveexec_b64 s[6:7], s[0:1]
; %bb.575:                              ;   in Loop: Header=BB350_424 Depth=1
	v_or_b32_e32 v9, 0x10000, v8
	v_cmp_eq_u32_sdwa s[0:1], v8, v29 src0_sel:WORD_0 src1_sel:DWORD
	s_nop 1
	v_cndmask_b32_e64 v8, v9, v8, s[0:1]
	v_accvgpr_write_b32 a40, v8
; %bb.576:                              ;   in Loop: Header=BB350_424 Depth=1
	s_or_b64 exec, exec, s[6:7]
	v_lshlrev_b32_e32 v8, 16, v18
	v_mul_f32_e32 v8, v38, v8
	v_and_b32_e32 v9, 0x7f800000, v8
	v_cmp_ne_u32_e64 s[0:1], s8, v9
                                        ; implicit-def: $agpr41
	s_and_saveexec_b64 s[6:7], s[0:1]
	s_xor_b64 s[0:1], exec, s[6:7]
; %bb.577:                              ;   in Loop: Header=BB350_424 Depth=1
	v_bfe_u32 v9, v8, 16, 1
	v_add3_u32 v8, v8, v9, s9
	v_accvgpr_write_b32 a41, v8
                                        ; implicit-def: $vgpr8
; %bb.578:                              ;   in Loop: Header=BB350_424 Depth=1
	s_andn2_saveexec_b64 s[6:7], s[0:1]
; %bb.579:                              ;   in Loop: Header=BB350_424 Depth=1
	v_or_b32_e32 v9, 0x10000, v8
	v_cmp_eq_u32_sdwa s[0:1], v8, v29 src0_sel:WORD_0 src1_sel:DWORD
	s_nop 1
	v_cndmask_b32_e64 v8, v9, v8, s[0:1]
	v_accvgpr_write_b32 a41, v8
; %bb.580:                              ;   in Loop: Header=BB350_424 Depth=1
	s_or_b64 exec, exec, s[6:7]
	v_lshlrev_b32_e32 v7, 16, v7
	v_mul_f32_e32 v7, v52, v7
	v_and_b32_e32 v8, 0x7f800000, v7
	v_cmp_ne_u32_e64 s[0:1], s8, v8
                                        ; implicit-def: $agpr42
	s_and_saveexec_b64 s[6:7], s[0:1]
	s_xor_b64 s[0:1], exec, s[6:7]
; %bb.581:                              ;   in Loop: Header=BB350_424 Depth=1
	v_bfe_u32 v8, v7, 16, 1
	v_add3_u32 v7, v7, v8, s9
	v_accvgpr_write_b32 a42, v7
                                        ; implicit-def: $vgpr7
; %bb.582:                              ;   in Loop: Header=BB350_424 Depth=1
	s_andn2_saveexec_b64 s[6:7], s[0:1]
; %bb.583:                              ;   in Loop: Header=BB350_424 Depth=1
	v_or_b32_e32 v8, 0x10000, v7
	v_cmp_eq_u32_sdwa s[0:1], v7, v29 src0_sel:WORD_0 src1_sel:DWORD
	s_nop 1
	v_cndmask_b32_e64 v7, v8, v7, s[0:1]
	v_accvgpr_write_b32 a42, v7
; %bb.584:                              ;   in Loop: Header=BB350_424 Depth=1
	s_or_b64 exec, exec, s[6:7]
	v_lshlrev_b32_e32 v6, 16, v6
	v_mul_f32_e32 v6, v53, v6
	v_and_b32_e32 v7, 0x7f800000, v6
	v_cmp_ne_u32_e64 s[0:1], s8, v7
                                        ; implicit-def: $agpr43
	s_and_saveexec_b64 s[6:7], s[0:1]
	s_xor_b64 s[0:1], exec, s[6:7]
; %bb.585:                              ;   in Loop: Header=BB350_424 Depth=1
	v_bfe_u32 v7, v6, 16, 1
	v_add3_u32 v6, v6, v7, s9
	v_accvgpr_write_b32 a43, v6
                                        ; implicit-def: $vgpr6
; %bb.586:                              ;   in Loop: Header=BB350_424 Depth=1
	s_andn2_saveexec_b64 s[6:7], s[0:1]
; %bb.587:                              ;   in Loop: Header=BB350_424 Depth=1
	v_or_b32_e32 v7, 0x10000, v6
	v_cmp_eq_u32_sdwa s[0:1], v6, v29 src0_sel:WORD_0 src1_sel:DWORD
	s_nop 1
	v_cndmask_b32_e64 v6, v7, v6, s[0:1]
	v_accvgpr_write_b32 a43, v6
; %bb.588:                              ;   in Loop: Header=BB350_424 Depth=1
	s_or_b64 exec, exec, s[6:7]
	flat_load_dwordx2 v[6:7], v[4:5] offset:1024
	s_waitcnt vmcnt(0) lgkmcnt(0)
	v_and_b32_e32 v8, 0xff, v6
	v_cvt_f32_fp8_sdwa v8, v8 src0_sel:BYTE_0
	s_nop 0
	v_mul_f32_e32 v9, v19, v8
	v_and_b32_e32 v8, 0x7f800000, v9
	v_cmp_ne_u32_e64 s[0:1], s8, v8
                                        ; implicit-def: $vgpr8
	s_and_saveexec_b64 s[6:7], s[0:1]
	s_xor_b64 s[0:1], exec, s[6:7]
; %bb.589:                              ;   in Loop: Header=BB350_424 Depth=1
	v_bfe_u32 v8, v9, 16, 1
	v_add3_u32 v8, v9, v8, s9
                                        ; implicit-def: $vgpr9
; %bb.590:                              ;   in Loop: Header=BB350_424 Depth=1
	s_andn2_saveexec_b64 s[6:7], s[0:1]
; %bb.591:                              ;   in Loop: Header=BB350_424 Depth=1
	v_or_b32_e32 v8, 0x10000, v9
	v_cmp_eq_u32_sdwa s[0:1], v9, v29 src0_sel:WORD_0 src1_sel:DWORD
	s_nop 1
	v_cndmask_b32_e64 v8, v8, v9, s[0:1]
; %bb.592:                              ;   in Loop: Header=BB350_424 Depth=1
	s_or_b64 exec, exec, s[6:7]
	v_bfe_u32 v9, v6, 8, 8
	v_cvt_f32_fp8_sdwa v9, v9 src0_sel:BYTE_0
	s_nop 0
	v_mul_f32_e32 v18, v19, v9
	v_and_b32_e32 v9, 0x7f800000, v18
	v_cmp_ne_u32_e64 s[0:1], s8, v9
                                        ; implicit-def: $vgpr9
	s_and_saveexec_b64 s[6:7], s[0:1]
	s_xor_b64 s[0:1], exec, s[6:7]
; %bb.593:                              ;   in Loop: Header=BB350_424 Depth=1
	v_bfe_u32 v9, v18, 16, 1
	v_add3_u32 v9, v18, v9, s9
                                        ; implicit-def: $vgpr18
; %bb.594:                              ;   in Loop: Header=BB350_424 Depth=1
	s_andn2_saveexec_b64 s[6:7], s[0:1]
; %bb.595:                              ;   in Loop: Header=BB350_424 Depth=1
	v_or_b32_e32 v9, 0x10000, v18
	v_cmp_eq_u32_sdwa s[0:1], v18, v29 src0_sel:WORD_0 src1_sel:DWORD
	s_nop 1
	v_cndmask_b32_e64 v9, v9, v18, s[0:1]
; %bb.596:                              ;   in Loop: Header=BB350_424 Depth=1
	s_or_b64 exec, exec, s[6:7]
	v_bfe_u32 v18, v6, 16, 8
	v_cvt_f32_fp8_sdwa v18, v18 src0_sel:BYTE_0
	s_nop 0
	v_mul_f32_e32 v18, v19, v18
	v_and_b32_e32 v22, 0x7f800000, v18
	v_cmp_ne_u32_e64 s[0:1], s8, v22
                                        ; implicit-def: $vgpr22
	s_and_saveexec_b64 s[6:7], s[0:1]
	s_xor_b64 s[0:1], exec, s[6:7]
; %bb.597:                              ;   in Loop: Header=BB350_424 Depth=1
	v_bfe_u32 v22, v18, 16, 1
	v_add3_u32 v22, v18, v22, s9
                                        ; implicit-def: $vgpr18
; %bb.598:                              ;   in Loop: Header=BB350_424 Depth=1
	s_andn2_saveexec_b64 s[6:7], s[0:1]
; %bb.599:                              ;   in Loop: Header=BB350_424 Depth=1
	v_or_b32_e32 v22, 0x10000, v18
	v_cmp_eq_u32_sdwa s[0:1], v18, v29 src0_sel:WORD_0 src1_sel:DWORD
	s_nop 1
	v_cndmask_b32_e64 v22, v22, v18, s[0:1]
; %bb.600:                              ;   in Loop: Header=BB350_424 Depth=1
	s_or_b64 exec, exec, s[6:7]
	v_lshrrev_b32_e32 v6, 24, v6
	v_cvt_f32_fp8_sdwa v6, v6 src0_sel:BYTE_0
	s_nop 0
	v_mul_f32_e32 v18, v19, v6
	v_and_b32_e32 v6, 0x7f800000, v18
	v_cmp_ne_u32_e64 s[0:1], s8, v6
                                        ; implicit-def: $vgpr6
	s_and_saveexec_b64 s[6:7], s[0:1]
	s_xor_b64 s[0:1], exec, s[6:7]
; %bb.601:                              ;   in Loop: Header=BB350_424 Depth=1
	v_bfe_u32 v6, v18, 16, 1
	v_add3_u32 v6, v18, v6, s9
                                        ; implicit-def: $vgpr18
; %bb.602:                              ;   in Loop: Header=BB350_424 Depth=1
	s_andn2_saveexec_b64 s[6:7], s[0:1]
; %bb.603:                              ;   in Loop: Header=BB350_424 Depth=1
	v_or_b32_e32 v6, 0x10000, v18
	v_cmp_eq_u32_sdwa s[0:1], v18, v29 src0_sel:WORD_0 src1_sel:DWORD
	s_nop 1
	v_cndmask_b32_e64 v6, v6, v18, s[0:1]
; %bb.604:                              ;   in Loop: Header=BB350_424 Depth=1
	s_or_b64 exec, exec, s[6:7]
	v_and_b32_e32 v18, 0xff, v7
	v_cvt_f32_fp8_sdwa v18, v18 src0_sel:BYTE_0
	s_nop 0
	v_mul_f32_e32 v18, v19, v18
	v_and_b32_e32 v23, 0x7f800000, v18
	v_cmp_ne_u32_e64 s[0:1], s8, v23
                                        ; implicit-def: $vgpr23
	s_and_saveexec_b64 s[6:7], s[0:1]
	s_xor_b64 s[0:1], exec, s[6:7]
; %bb.605:                              ;   in Loop: Header=BB350_424 Depth=1
	v_bfe_u32 v23, v18, 16, 1
	v_add3_u32 v23, v18, v23, s9
                                        ; implicit-def: $vgpr18
; %bb.606:                              ;   in Loop: Header=BB350_424 Depth=1
	s_andn2_saveexec_b64 s[6:7], s[0:1]
; %bb.607:                              ;   in Loop: Header=BB350_424 Depth=1
	v_or_b32_e32 v23, 0x10000, v18
	v_cmp_eq_u32_sdwa s[0:1], v18, v29 src0_sel:WORD_0 src1_sel:DWORD
	s_nop 1
	v_cndmask_b32_e64 v23, v23, v18, s[0:1]
; %bb.608:                              ;   in Loop: Header=BB350_424 Depth=1
	s_or_b64 exec, exec, s[6:7]
	v_bfe_u32 v18, v7, 8, 8
	v_cvt_f32_fp8_sdwa v18, v18 src0_sel:BYTE_0
	s_nop 0
	v_mul_f32_e32 v30, v19, v18
	v_and_b32_e32 v18, 0x7f800000, v30
	v_cmp_ne_u32_e64 s[0:1], s8, v18
                                        ; implicit-def: $vgpr18
	s_and_saveexec_b64 s[6:7], s[0:1]
	s_xor_b64 s[0:1], exec, s[6:7]
; %bb.609:                              ;   in Loop: Header=BB350_424 Depth=1
	v_bfe_u32 v18, v30, 16, 1
	v_add3_u32 v18, v30, v18, s9
                                        ; implicit-def: $vgpr30
; %bb.610:                              ;   in Loop: Header=BB350_424 Depth=1
	s_andn2_saveexec_b64 s[6:7], s[0:1]
; %bb.611:                              ;   in Loop: Header=BB350_424 Depth=1
	v_or_b32_e32 v18, 0x10000, v30
	v_cmp_eq_u32_sdwa s[0:1], v30, v29 src0_sel:WORD_0 src1_sel:DWORD
	s_nop 1
	v_cndmask_b32_e64 v18, v18, v30, s[0:1]
; %bb.612:                              ;   in Loop: Header=BB350_424 Depth=1
	s_or_b64 exec, exec, s[6:7]
	v_bfe_u32 v30, v7, 16, 8
	v_cvt_f32_fp8_sdwa v30, v30 src0_sel:BYTE_0
	s_nop 0
	v_mul_f32_e32 v30, v19, v30
	v_and_b32_e32 v31, 0x7f800000, v30
	v_cmp_ne_u32_e64 s[0:1], s8, v31
                                        ; implicit-def: $vgpr31
	s_and_saveexec_b64 s[6:7], s[0:1]
	s_xor_b64 s[0:1], exec, s[6:7]
; %bb.613:                              ;   in Loop: Header=BB350_424 Depth=1
	v_bfe_u32 v31, v30, 16, 1
	v_add3_u32 v31, v30, v31, s9
                                        ; implicit-def: $vgpr30
; %bb.614:                              ;   in Loop: Header=BB350_424 Depth=1
	s_andn2_saveexec_b64 s[6:7], s[0:1]
; %bb.615:                              ;   in Loop: Header=BB350_424 Depth=1
	v_or_b32_e32 v31, 0x10000, v30
	v_cmp_eq_u32_sdwa s[0:1], v30, v29 src0_sel:WORD_0 src1_sel:DWORD
	s_nop 1
	v_cndmask_b32_e64 v31, v31, v30, s[0:1]
; %bb.616:                              ;   in Loop: Header=BB350_424 Depth=1
	s_or_b64 exec, exec, s[6:7]
	v_lshrrev_b32_e32 v7, 24, v7
	v_cvt_f32_fp8_sdwa v7, v7 src0_sel:BYTE_0
                                        ; implicit-def: $vgpr32
	s_nop 0
	v_mul_f32_e32 v7, v19, v7
	v_and_b32_e32 v30, 0x7f800000, v7
	v_cmp_ne_u32_e64 s[0:1], s8, v30
	s_and_saveexec_b64 s[6:7], s[0:1]
	s_xor_b64 s[0:1], exec, s[6:7]
; %bb.617:                              ;   in Loop: Header=BB350_424 Depth=1
	v_bfe_u32 v30, v7, 16, 1
	v_add3_u32 v32, v7, v30, s9
                                        ; implicit-def: $vgpr7
; %bb.618:                              ;   in Loop: Header=BB350_424 Depth=1
	s_andn2_saveexec_b64 s[6:7], s[0:1]
; %bb.619:                              ;   in Loop: Header=BB350_424 Depth=1
	v_or_b32_e32 v30, 0x10000, v7
	v_cmp_eq_u32_sdwa s[0:1], v7, v29 src0_sel:WORD_0 src1_sel:DWORD
	s_nop 1
	v_cndmask_b32_e64 v32, v30, v7, s[0:1]
; %bb.620:                              ;   in Loop: Header=BB350_424 Depth=1
	s_or_b64 exec, exec, s[6:7]
	v_lshrrev_b32_e32 v18, 16, v18
	v_lshrrev_b32_e32 v23, 16, v23
	;; [unrolled: 1-line block ×8, first 2 shown]
	s_and_saveexec_b64 s[6:7], vcc
	s_cbranch_execz .LBB350_622
; %bb.621:                              ;   in Loop: Header=BB350_424 Depth=1
	v_accvgpr_read_b32 v31, a29
	v_cmp_lt_i32_e64 s[0:1], v31, v39
	v_accvgpr_read_b32 v31, a35
	s_nop 0
	v_cndmask_b32_e64 v8, 0, v8, s[0:1]
	v_cmp_lt_i32_e64 s[0:1], v31, v39
	v_accvgpr_read_b32 v31, a34
	s_nop 0
	v_cndmask_b32_e64 v9, 0, v9, s[0:1]
	;; [unrolled: 4-line block ×6, first 2 shown]
	v_cmp_lt_i32_e64 s[0:1], v31, v39
	s_nop 1
	v_cndmask_b32_e64 v7, 0, v7, s[0:1]
	v_cmp_lt_i32_e64 s[0:1], v55, v39
	s_nop 1
	v_cndmask_b32_e64 v6, 0, v6, s[0:1]
.LBB350_622:                            ;   in Loop: Header=BB350_424 Depth=1
	s_or_b64 exec, exec, s[6:7]
	v_lshlrev_b32_e32 v8, 16, v8
	v_mul_f32_e32 v8, v62, v8
	v_and_b32_e32 v31, 0x7f800000, v8
	v_cmp_ne_u32_e64 s[0:1], s8, v31
                                        ; implicit-def: $agpr44
	s_and_saveexec_b64 s[6:7], s[0:1]
	s_xor_b64 s[0:1], exec, s[6:7]
; %bb.623:                              ;   in Loop: Header=BB350_424 Depth=1
	v_bfe_u32 v31, v8, 16, 1
	v_add3_u32 v8, v8, v31, s9
	v_accvgpr_write_b32 a44, v8
                                        ; implicit-def: $vgpr8
; %bb.624:                              ;   in Loop: Header=BB350_424 Depth=1
	s_andn2_saveexec_b64 s[6:7], s[0:1]
; %bb.625:                              ;   in Loop: Header=BB350_424 Depth=1
	v_or_b32_e32 v31, 0x10000, v8
	v_cmp_eq_u32_sdwa s[0:1], v8, v29 src0_sel:WORD_0 src1_sel:DWORD
	s_nop 1
	v_cndmask_b32_e64 v8, v31, v8, s[0:1]
	v_accvgpr_write_b32 a44, v8
; %bb.626:                              ;   in Loop: Header=BB350_424 Depth=1
	s_or_b64 exec, exec, s[6:7]
	v_lshlrev_b32_e32 v8, 16, v9
	v_mul_f32_e32 v8, v50, v8
	v_and_b32_e32 v9, 0x7f800000, v8
	v_cmp_ne_u32_e64 s[0:1], s8, v9
                                        ; implicit-def: $agpr45
	s_and_saveexec_b64 s[6:7], s[0:1]
	s_xor_b64 s[0:1], exec, s[6:7]
; %bb.627:                              ;   in Loop: Header=BB350_424 Depth=1
	v_bfe_u32 v9, v8, 16, 1
	v_add3_u32 v8, v8, v9, s9
	v_accvgpr_write_b32 a45, v8
                                        ; implicit-def: $vgpr8
; %bb.628:                              ;   in Loop: Header=BB350_424 Depth=1
	s_andn2_saveexec_b64 s[6:7], s[0:1]
; %bb.629:                              ;   in Loop: Header=BB350_424 Depth=1
	v_or_b32_e32 v9, 0x10000, v8
	v_cmp_eq_u32_sdwa s[0:1], v8, v29 src0_sel:WORD_0 src1_sel:DWORD
	s_nop 1
	v_cndmask_b32_e64 v8, v9, v8, s[0:1]
	v_accvgpr_write_b32 a45, v8
; %bb.630:                              ;   in Loop: Header=BB350_424 Depth=1
	s_or_b64 exec, exec, s[6:7]
	v_lshlrev_b32_e32 v8, 16, v22
	v_mul_f32_e32 v8, v51, v8
	v_and_b32_e32 v9, 0x7f800000, v8
	v_cmp_ne_u32_e64 s[0:1], s8, v9
                                        ; implicit-def: $agpr46
	s_and_saveexec_b64 s[6:7], s[0:1]
	s_xor_b64 s[0:1], exec, s[6:7]
; %bb.631:                              ;   in Loop: Header=BB350_424 Depth=1
	v_bfe_u32 v9, v8, 16, 1
	v_add3_u32 v8, v8, v9, s9
	v_accvgpr_write_b32 a46, v8
                                        ; implicit-def: $vgpr8
; %bb.632:                              ;   in Loop: Header=BB350_424 Depth=1
	s_andn2_saveexec_b64 s[6:7], s[0:1]
; %bb.633:                              ;   in Loop: Header=BB350_424 Depth=1
	v_or_b32_e32 v9, 0x10000, v8
	v_cmp_eq_u32_sdwa s[0:1], v8, v29 src0_sel:WORD_0 src1_sel:DWORD
	s_nop 1
	v_cndmask_b32_e64 v8, v9, v8, s[0:1]
	v_accvgpr_write_b32 a46, v8
; %bb.634:                              ;   in Loop: Header=BB350_424 Depth=1
	s_or_b64 exec, exec, s[6:7]
	v_lshlrev_b32_e32 v8, 16, v30
	v_mul_f32_e32 v8, v1, v8
	v_and_b32_e32 v9, 0x7f800000, v8
	v_cmp_ne_u32_e64 s[0:1], s8, v9
                                        ; implicit-def: $agpr47
	s_and_saveexec_b64 s[6:7], s[0:1]
	s_xor_b64 s[0:1], exec, s[6:7]
; %bb.635:                              ;   in Loop: Header=BB350_424 Depth=1
	v_bfe_u32 v9, v8, 16, 1
	v_add3_u32 v8, v8, v9, s9
	v_accvgpr_write_b32 a47, v8
                                        ; implicit-def: $vgpr8
; %bb.636:                              ;   in Loop: Header=BB350_424 Depth=1
	s_andn2_saveexec_b64 s[6:7], s[0:1]
; %bb.637:                              ;   in Loop: Header=BB350_424 Depth=1
	v_or_b32_e32 v9, 0x10000, v8
	v_cmp_eq_u32_sdwa s[0:1], v8, v29 src0_sel:WORD_0 src1_sel:DWORD
	s_nop 1
	v_cndmask_b32_e64 v8, v9, v8, s[0:1]
	v_accvgpr_write_b32 a47, v8
; %bb.638:                              ;   in Loop: Header=BB350_424 Depth=1
	s_or_b64 exec, exec, s[6:7]
	v_lshlrev_b32_e32 v8, 16, v23
	v_mul_f32_e32 v8, v0, v8
	v_and_b32_e32 v9, 0x7f800000, v8
	v_cmp_ne_u32_e64 s[0:1], s8, v9
                                        ; implicit-def: $agpr48
	s_and_saveexec_b64 s[6:7], s[0:1]
	s_xor_b64 s[0:1], exec, s[6:7]
; %bb.639:                              ;   in Loop: Header=BB350_424 Depth=1
	v_bfe_u32 v9, v8, 16, 1
	v_add3_u32 v8, v8, v9, s9
	v_accvgpr_write_b32 a48, v8
                                        ; implicit-def: $vgpr8
; %bb.640:                              ;   in Loop: Header=BB350_424 Depth=1
	s_andn2_saveexec_b64 s[6:7], s[0:1]
; %bb.641:                              ;   in Loop: Header=BB350_424 Depth=1
	v_or_b32_e32 v9, 0x10000, v8
	v_cmp_eq_u32_sdwa s[0:1], v8, v29 src0_sel:WORD_0 src1_sel:DWORD
	s_nop 1
	v_cndmask_b32_e64 v8, v9, v8, s[0:1]
	v_accvgpr_write_b32 a48, v8
; %bb.642:                              ;   in Loop: Header=BB350_424 Depth=1
	s_or_b64 exec, exec, s[6:7]
	v_lshlrev_b32_e32 v8, 16, v18
	v_mul_f32_e32 v8, v38, v8
	v_and_b32_e32 v9, 0x7f800000, v8
	v_cmp_ne_u32_e64 s[0:1], s8, v9
                                        ; implicit-def: $agpr49
	s_and_saveexec_b64 s[6:7], s[0:1]
	s_xor_b64 s[0:1], exec, s[6:7]
; %bb.643:                              ;   in Loop: Header=BB350_424 Depth=1
	v_bfe_u32 v9, v8, 16, 1
	v_add3_u32 v8, v8, v9, s9
	v_accvgpr_write_b32 a49, v8
                                        ; implicit-def: $vgpr8
; %bb.644:                              ;   in Loop: Header=BB350_424 Depth=1
	s_andn2_saveexec_b64 s[6:7], s[0:1]
; %bb.645:                              ;   in Loop: Header=BB350_424 Depth=1
	v_or_b32_e32 v9, 0x10000, v8
	v_cmp_eq_u32_sdwa s[0:1], v8, v29 src0_sel:WORD_0 src1_sel:DWORD
	s_nop 1
	v_cndmask_b32_e64 v8, v9, v8, s[0:1]
	v_accvgpr_write_b32 a49, v8
; %bb.646:                              ;   in Loop: Header=BB350_424 Depth=1
	s_or_b64 exec, exec, s[6:7]
	v_lshlrev_b32_e32 v7, 16, v7
	v_mul_f32_e32 v7, v52, v7
	v_and_b32_e32 v8, 0x7f800000, v7
	v_cmp_ne_u32_e64 s[0:1], s8, v8
                                        ; implicit-def: $agpr50
	s_and_saveexec_b64 s[6:7], s[0:1]
	s_xor_b64 s[0:1], exec, s[6:7]
; %bb.647:                              ;   in Loop: Header=BB350_424 Depth=1
	v_bfe_u32 v8, v7, 16, 1
	v_add3_u32 v7, v7, v8, s9
	v_accvgpr_write_b32 a50, v7
                                        ; implicit-def: $vgpr7
; %bb.648:                              ;   in Loop: Header=BB350_424 Depth=1
	s_andn2_saveexec_b64 s[6:7], s[0:1]
; %bb.649:                              ;   in Loop: Header=BB350_424 Depth=1
	v_or_b32_e32 v8, 0x10000, v7
	v_cmp_eq_u32_sdwa s[0:1], v7, v29 src0_sel:WORD_0 src1_sel:DWORD
	s_nop 1
	v_cndmask_b32_e64 v7, v8, v7, s[0:1]
	v_accvgpr_write_b32 a50, v7
; %bb.650:                              ;   in Loop: Header=BB350_424 Depth=1
	s_or_b64 exec, exec, s[6:7]
	v_lshlrev_b32_e32 v6, 16, v6
	v_mul_f32_e32 v6, v53, v6
	v_and_b32_e32 v7, 0x7f800000, v6
	v_cmp_ne_u32_e64 s[0:1], s8, v7
                                        ; implicit-def: $agpr51
	s_and_saveexec_b64 s[6:7], s[0:1]
	s_xor_b64 s[0:1], exec, s[6:7]
; %bb.651:                              ;   in Loop: Header=BB350_424 Depth=1
	v_bfe_u32 v7, v6, 16, 1
	v_add3_u32 v6, v6, v7, s9
	v_accvgpr_write_b32 a51, v6
                                        ; implicit-def: $vgpr6
; %bb.652:                              ;   in Loop: Header=BB350_424 Depth=1
	s_andn2_saveexec_b64 s[6:7], s[0:1]
; %bb.653:                              ;   in Loop: Header=BB350_424 Depth=1
	v_or_b32_e32 v7, 0x10000, v6
	v_cmp_eq_u32_sdwa s[0:1], v6, v29 src0_sel:WORD_0 src1_sel:DWORD
	s_nop 1
	v_cndmask_b32_e64 v6, v7, v6, s[0:1]
	v_accvgpr_write_b32 a51, v6
; %bb.654:                              ;   in Loop: Header=BB350_424 Depth=1
	s_or_b64 exec, exec, s[6:7]
	flat_load_dwordx2 v[6:7], v[4:5] offset:1536
	s_waitcnt vmcnt(0) lgkmcnt(0)
	v_and_b32_e32 v8, 0xff, v6
	v_cvt_f32_fp8_sdwa v8, v8 src0_sel:BYTE_0
	s_nop 0
	v_mul_f32_e32 v9, v19, v8
	v_and_b32_e32 v8, 0x7f800000, v9
	v_cmp_ne_u32_e64 s[0:1], s8, v8
                                        ; implicit-def: $vgpr8
	s_and_saveexec_b64 s[6:7], s[0:1]
	s_xor_b64 s[0:1], exec, s[6:7]
; %bb.655:                              ;   in Loop: Header=BB350_424 Depth=1
	v_bfe_u32 v8, v9, 16, 1
	v_add3_u32 v8, v9, v8, s9
                                        ; implicit-def: $vgpr9
; %bb.656:                              ;   in Loop: Header=BB350_424 Depth=1
	s_andn2_saveexec_b64 s[6:7], s[0:1]
; %bb.657:                              ;   in Loop: Header=BB350_424 Depth=1
	v_or_b32_e32 v8, 0x10000, v9
	v_cmp_eq_u32_sdwa s[0:1], v9, v29 src0_sel:WORD_0 src1_sel:DWORD
	s_nop 1
	v_cndmask_b32_e64 v8, v8, v9, s[0:1]
; %bb.658:                              ;   in Loop: Header=BB350_424 Depth=1
	s_or_b64 exec, exec, s[6:7]
	v_bfe_u32 v9, v6, 8, 8
	v_cvt_f32_fp8_sdwa v9, v9 src0_sel:BYTE_0
	s_nop 0
	v_mul_f32_e32 v18, v19, v9
	v_and_b32_e32 v9, 0x7f800000, v18
	v_cmp_ne_u32_e64 s[0:1], s8, v9
                                        ; implicit-def: $vgpr9
	s_and_saveexec_b64 s[6:7], s[0:1]
	s_xor_b64 s[0:1], exec, s[6:7]
; %bb.659:                              ;   in Loop: Header=BB350_424 Depth=1
	v_bfe_u32 v9, v18, 16, 1
	v_add3_u32 v9, v18, v9, s9
                                        ; implicit-def: $vgpr18
; %bb.660:                              ;   in Loop: Header=BB350_424 Depth=1
	s_andn2_saveexec_b64 s[6:7], s[0:1]
; %bb.661:                              ;   in Loop: Header=BB350_424 Depth=1
	v_or_b32_e32 v9, 0x10000, v18
	v_cmp_eq_u32_sdwa s[0:1], v18, v29 src0_sel:WORD_0 src1_sel:DWORD
	s_nop 1
	v_cndmask_b32_e64 v9, v9, v18, s[0:1]
; %bb.662:                              ;   in Loop: Header=BB350_424 Depth=1
	s_or_b64 exec, exec, s[6:7]
	v_bfe_u32 v18, v6, 16, 8
	v_cvt_f32_fp8_sdwa v18, v18 src0_sel:BYTE_0
	s_nop 0
	v_mul_f32_e32 v18, v19, v18
	v_and_b32_e32 v22, 0x7f800000, v18
	v_cmp_ne_u32_e64 s[0:1], s8, v22
                                        ; implicit-def: $vgpr22
	s_and_saveexec_b64 s[6:7], s[0:1]
	s_xor_b64 s[0:1], exec, s[6:7]
; %bb.663:                              ;   in Loop: Header=BB350_424 Depth=1
	v_bfe_u32 v22, v18, 16, 1
	v_add3_u32 v22, v18, v22, s9
                                        ; implicit-def: $vgpr18
; %bb.664:                              ;   in Loop: Header=BB350_424 Depth=1
	s_andn2_saveexec_b64 s[6:7], s[0:1]
; %bb.665:                              ;   in Loop: Header=BB350_424 Depth=1
	v_or_b32_e32 v22, 0x10000, v18
	v_cmp_eq_u32_sdwa s[0:1], v18, v29 src0_sel:WORD_0 src1_sel:DWORD
	s_nop 1
	v_cndmask_b32_e64 v22, v22, v18, s[0:1]
; %bb.666:                              ;   in Loop: Header=BB350_424 Depth=1
	s_or_b64 exec, exec, s[6:7]
	v_lshrrev_b32_e32 v6, 24, v6
	v_cvt_f32_fp8_sdwa v6, v6 src0_sel:BYTE_0
	s_nop 0
	v_mul_f32_e32 v18, v19, v6
	v_and_b32_e32 v6, 0x7f800000, v18
	v_cmp_ne_u32_e64 s[0:1], s8, v6
                                        ; implicit-def: $vgpr6
	s_and_saveexec_b64 s[6:7], s[0:1]
	s_xor_b64 s[0:1], exec, s[6:7]
; %bb.667:                              ;   in Loop: Header=BB350_424 Depth=1
	v_bfe_u32 v6, v18, 16, 1
	v_add3_u32 v6, v18, v6, s9
                                        ; implicit-def: $vgpr18
; %bb.668:                              ;   in Loop: Header=BB350_424 Depth=1
	s_andn2_saveexec_b64 s[6:7], s[0:1]
; %bb.669:                              ;   in Loop: Header=BB350_424 Depth=1
	v_or_b32_e32 v6, 0x10000, v18
	v_cmp_eq_u32_sdwa s[0:1], v18, v29 src0_sel:WORD_0 src1_sel:DWORD
	s_nop 1
	v_cndmask_b32_e64 v6, v6, v18, s[0:1]
; %bb.670:                              ;   in Loop: Header=BB350_424 Depth=1
	s_or_b64 exec, exec, s[6:7]
	v_and_b32_e32 v18, 0xff, v7
	v_cvt_f32_fp8_sdwa v18, v18 src0_sel:BYTE_0
	s_nop 0
	v_mul_f32_e32 v18, v19, v18
	v_and_b32_e32 v23, 0x7f800000, v18
	v_cmp_ne_u32_e64 s[0:1], s8, v23
                                        ; implicit-def: $vgpr23
	s_and_saveexec_b64 s[6:7], s[0:1]
	s_xor_b64 s[0:1], exec, s[6:7]
; %bb.671:                              ;   in Loop: Header=BB350_424 Depth=1
	v_bfe_u32 v23, v18, 16, 1
	v_add3_u32 v23, v18, v23, s9
                                        ; implicit-def: $vgpr18
; %bb.672:                              ;   in Loop: Header=BB350_424 Depth=1
	s_andn2_saveexec_b64 s[6:7], s[0:1]
; %bb.673:                              ;   in Loop: Header=BB350_424 Depth=1
	v_or_b32_e32 v23, 0x10000, v18
	v_cmp_eq_u32_sdwa s[0:1], v18, v29 src0_sel:WORD_0 src1_sel:DWORD
	s_nop 1
	v_cndmask_b32_e64 v23, v23, v18, s[0:1]
; %bb.674:                              ;   in Loop: Header=BB350_424 Depth=1
	s_or_b64 exec, exec, s[6:7]
	v_bfe_u32 v18, v7, 8, 8
	v_cvt_f32_fp8_sdwa v18, v18 src0_sel:BYTE_0
	s_nop 0
	v_mul_f32_e32 v30, v19, v18
	v_and_b32_e32 v18, 0x7f800000, v30
	v_cmp_ne_u32_e64 s[0:1], s8, v18
                                        ; implicit-def: $vgpr18
	s_and_saveexec_b64 s[6:7], s[0:1]
	s_xor_b64 s[0:1], exec, s[6:7]
; %bb.675:                              ;   in Loop: Header=BB350_424 Depth=1
	v_bfe_u32 v18, v30, 16, 1
	v_add3_u32 v18, v30, v18, s9
                                        ; implicit-def: $vgpr30
; %bb.676:                              ;   in Loop: Header=BB350_424 Depth=1
	s_andn2_saveexec_b64 s[6:7], s[0:1]
; %bb.677:                              ;   in Loop: Header=BB350_424 Depth=1
	v_or_b32_e32 v18, 0x10000, v30
	v_cmp_eq_u32_sdwa s[0:1], v30, v29 src0_sel:WORD_0 src1_sel:DWORD
	s_nop 1
	v_cndmask_b32_e64 v18, v18, v30, s[0:1]
; %bb.678:                              ;   in Loop: Header=BB350_424 Depth=1
	s_or_b64 exec, exec, s[6:7]
	v_bfe_u32 v30, v7, 16, 8
	v_cvt_f32_fp8_sdwa v30, v30 src0_sel:BYTE_0
	s_nop 0
	v_mul_f32_e32 v30, v19, v30
	v_and_b32_e32 v31, 0x7f800000, v30
	v_cmp_ne_u32_e64 s[0:1], s8, v31
                                        ; implicit-def: $vgpr31
	s_and_saveexec_b64 s[6:7], s[0:1]
	s_xor_b64 s[0:1], exec, s[6:7]
; %bb.679:                              ;   in Loop: Header=BB350_424 Depth=1
	v_bfe_u32 v31, v30, 16, 1
	v_add3_u32 v31, v30, v31, s9
                                        ; implicit-def: $vgpr30
; %bb.680:                              ;   in Loop: Header=BB350_424 Depth=1
	s_andn2_saveexec_b64 s[6:7], s[0:1]
; %bb.681:                              ;   in Loop: Header=BB350_424 Depth=1
	v_or_b32_e32 v31, 0x10000, v30
	v_cmp_eq_u32_sdwa s[0:1], v30, v29 src0_sel:WORD_0 src1_sel:DWORD
	s_nop 1
	v_cndmask_b32_e64 v31, v31, v30, s[0:1]
; %bb.682:                              ;   in Loop: Header=BB350_424 Depth=1
	s_or_b64 exec, exec, s[6:7]
	v_lshrrev_b32_e32 v7, 24, v7
	v_cvt_f32_fp8_sdwa v7, v7 src0_sel:BYTE_0
                                        ; implicit-def: $vgpr32
	s_nop 0
	v_mul_f32_e32 v7, v19, v7
	v_and_b32_e32 v30, 0x7f800000, v7
	v_cmp_ne_u32_e64 s[0:1], s8, v30
	s_and_saveexec_b64 s[6:7], s[0:1]
	s_xor_b64 s[0:1], exec, s[6:7]
; %bb.683:                              ;   in Loop: Header=BB350_424 Depth=1
	v_bfe_u32 v30, v7, 16, 1
	v_add3_u32 v32, v7, v30, s9
                                        ; implicit-def: $vgpr7
; %bb.684:                              ;   in Loop: Header=BB350_424 Depth=1
	s_andn2_saveexec_b64 s[6:7], s[0:1]
; %bb.685:                              ;   in Loop: Header=BB350_424 Depth=1
	v_or_b32_e32 v30, 0x10000, v7
	v_cmp_eq_u32_sdwa s[0:1], v7, v29 src0_sel:WORD_0 src1_sel:DWORD
	s_nop 1
	v_cndmask_b32_e64 v32, v30, v7, s[0:1]
; %bb.686:                              ;   in Loop: Header=BB350_424 Depth=1
	s_or_b64 exec, exec, s[6:7]
	v_lshrrev_b32_e32 v18, 16, v18
	v_lshrrev_b32_e32 v23, 16, v23
	v_lshrrev_b32_e32 v30, 16, v6
	v_lshrrev_b32_e32 v22, 16, v22
	v_lshrrev_b32_e32 v9, 16, v9
	v_lshrrev_b32_e32 v8, 16, v8
	v_lshrrev_b32_e32 v7, 16, v31
	v_lshrrev_b32_e32 v6, 16, v32
	s_and_saveexec_b64 s[6:7], vcc
	s_cbranch_execz .LBB350_688
; %bb.687:                              ;   in Loop: Header=BB350_424 Depth=1
	v_accvgpr_read_b32 v31, a29
	v_cmp_lt_i32_e64 s[0:1], v31, v39
	v_accvgpr_read_b32 v31, a35
	s_nop 0
	v_cndmask_b32_e64 v8, 0, v8, s[0:1]
	v_cmp_lt_i32_e64 s[0:1], v31, v39
	v_accvgpr_read_b32 v31, a34
	s_nop 0
	v_cndmask_b32_e64 v9, 0, v9, s[0:1]
	;; [unrolled: 4-line block ×6, first 2 shown]
	v_cmp_lt_i32_e64 s[0:1], v31, v39
	s_nop 1
	v_cndmask_b32_e64 v7, 0, v7, s[0:1]
	v_cmp_lt_i32_e64 s[0:1], v55, v39
	s_nop 1
	v_cndmask_b32_e64 v6, 0, v6, s[0:1]
.LBB350_688:                            ;   in Loop: Header=BB350_424 Depth=1
	s_or_b64 exec, exec, s[6:7]
	v_lshlrev_b32_e32 v8, 16, v8
	v_mul_f32_e32 v8, v62, v8
	v_and_b32_e32 v31, 0x7f800000, v8
	v_cmp_ne_u32_e64 s[0:1], s8, v31
                                        ; implicit-def: $agpr52
	s_and_saveexec_b64 s[6:7], s[0:1]
	s_xor_b64 s[0:1], exec, s[6:7]
; %bb.689:                              ;   in Loop: Header=BB350_424 Depth=1
	v_bfe_u32 v31, v8, 16, 1
	v_add3_u32 v8, v8, v31, s9
	v_accvgpr_write_b32 a52, v8
                                        ; implicit-def: $vgpr8
; %bb.690:                              ;   in Loop: Header=BB350_424 Depth=1
	s_andn2_saveexec_b64 s[6:7], s[0:1]
; %bb.691:                              ;   in Loop: Header=BB350_424 Depth=1
	v_or_b32_e32 v31, 0x10000, v8
	v_cmp_eq_u32_sdwa s[0:1], v8, v29 src0_sel:WORD_0 src1_sel:DWORD
	s_nop 1
	v_cndmask_b32_e64 v8, v31, v8, s[0:1]
	v_accvgpr_write_b32 a52, v8
; %bb.692:                              ;   in Loop: Header=BB350_424 Depth=1
	s_or_b64 exec, exec, s[6:7]
	v_lshlrev_b32_e32 v8, 16, v9
	v_mul_f32_e32 v8, v50, v8
	v_and_b32_e32 v9, 0x7f800000, v8
	v_cmp_ne_u32_e64 s[0:1], s8, v9
                                        ; implicit-def: $agpr53
	s_and_saveexec_b64 s[6:7], s[0:1]
	s_xor_b64 s[0:1], exec, s[6:7]
; %bb.693:                              ;   in Loop: Header=BB350_424 Depth=1
	v_bfe_u32 v9, v8, 16, 1
	v_add3_u32 v8, v8, v9, s9
	v_accvgpr_write_b32 a53, v8
                                        ; implicit-def: $vgpr8
; %bb.694:                              ;   in Loop: Header=BB350_424 Depth=1
	s_andn2_saveexec_b64 s[6:7], s[0:1]
; %bb.695:                              ;   in Loop: Header=BB350_424 Depth=1
	v_or_b32_e32 v9, 0x10000, v8
	v_cmp_eq_u32_sdwa s[0:1], v8, v29 src0_sel:WORD_0 src1_sel:DWORD
	s_nop 1
	v_cndmask_b32_e64 v8, v9, v8, s[0:1]
	v_accvgpr_write_b32 a53, v8
; %bb.696:                              ;   in Loop: Header=BB350_424 Depth=1
	s_or_b64 exec, exec, s[6:7]
	v_lshlrev_b32_e32 v8, 16, v22
	v_mul_f32_e32 v8, v51, v8
	v_and_b32_e32 v9, 0x7f800000, v8
	v_cmp_ne_u32_e64 s[0:1], s8, v9
                                        ; implicit-def: $agpr54
	s_and_saveexec_b64 s[6:7], s[0:1]
	s_xor_b64 s[0:1], exec, s[6:7]
; %bb.697:                              ;   in Loop: Header=BB350_424 Depth=1
	v_bfe_u32 v9, v8, 16, 1
	v_add3_u32 v8, v8, v9, s9
	v_accvgpr_write_b32 a54, v8
                                        ; implicit-def: $vgpr8
; %bb.698:                              ;   in Loop: Header=BB350_424 Depth=1
	s_andn2_saveexec_b64 s[6:7], s[0:1]
; %bb.699:                              ;   in Loop: Header=BB350_424 Depth=1
	v_or_b32_e32 v9, 0x10000, v8
	v_cmp_eq_u32_sdwa s[0:1], v8, v29 src0_sel:WORD_0 src1_sel:DWORD
	s_nop 1
	v_cndmask_b32_e64 v8, v9, v8, s[0:1]
	v_accvgpr_write_b32 a54, v8
; %bb.700:                              ;   in Loop: Header=BB350_424 Depth=1
	s_or_b64 exec, exec, s[6:7]
	v_lshlrev_b32_e32 v8, 16, v30
	v_mul_f32_e32 v8, v1, v8
	v_and_b32_e32 v9, 0x7f800000, v8
	v_cmp_ne_u32_e64 s[0:1], s8, v9
                                        ; implicit-def: $agpr55
	s_and_saveexec_b64 s[6:7], s[0:1]
	s_xor_b64 s[0:1], exec, s[6:7]
; %bb.701:                              ;   in Loop: Header=BB350_424 Depth=1
	v_bfe_u32 v9, v8, 16, 1
	v_add3_u32 v8, v8, v9, s9
	v_accvgpr_write_b32 a55, v8
                                        ; implicit-def: $vgpr8
; %bb.702:                              ;   in Loop: Header=BB350_424 Depth=1
	s_andn2_saveexec_b64 s[6:7], s[0:1]
; %bb.703:                              ;   in Loop: Header=BB350_424 Depth=1
	v_or_b32_e32 v9, 0x10000, v8
	v_cmp_eq_u32_sdwa s[0:1], v8, v29 src0_sel:WORD_0 src1_sel:DWORD
	s_nop 1
	v_cndmask_b32_e64 v8, v9, v8, s[0:1]
	v_accvgpr_write_b32 a55, v8
; %bb.704:                              ;   in Loop: Header=BB350_424 Depth=1
	s_or_b64 exec, exec, s[6:7]
	v_lshlrev_b32_e32 v8, 16, v23
	v_mul_f32_e32 v8, v0, v8
	v_and_b32_e32 v9, 0x7f800000, v8
	v_cmp_ne_u32_e64 s[0:1], s8, v9
                                        ; implicit-def: $agpr56
	s_and_saveexec_b64 s[6:7], s[0:1]
	s_xor_b64 s[0:1], exec, s[6:7]
; %bb.705:                              ;   in Loop: Header=BB350_424 Depth=1
	v_bfe_u32 v9, v8, 16, 1
	v_add3_u32 v8, v8, v9, s9
	v_accvgpr_write_b32 a56, v8
                                        ; implicit-def: $vgpr8
; %bb.706:                              ;   in Loop: Header=BB350_424 Depth=1
	s_andn2_saveexec_b64 s[6:7], s[0:1]
; %bb.707:                              ;   in Loop: Header=BB350_424 Depth=1
	v_or_b32_e32 v9, 0x10000, v8
	v_cmp_eq_u32_sdwa s[0:1], v8, v29 src0_sel:WORD_0 src1_sel:DWORD
	s_nop 1
	v_cndmask_b32_e64 v8, v9, v8, s[0:1]
	v_accvgpr_write_b32 a56, v8
; %bb.708:                              ;   in Loop: Header=BB350_424 Depth=1
	s_or_b64 exec, exec, s[6:7]
	v_lshlrev_b32_e32 v8, 16, v18
	v_mul_f32_e32 v8, v38, v8
	v_and_b32_e32 v9, 0x7f800000, v8
	v_cmp_ne_u32_e64 s[0:1], s8, v9
                                        ; implicit-def: $agpr57
	s_and_saveexec_b64 s[6:7], s[0:1]
	s_xor_b64 s[0:1], exec, s[6:7]
; %bb.709:                              ;   in Loop: Header=BB350_424 Depth=1
	v_bfe_u32 v9, v8, 16, 1
	v_add3_u32 v8, v8, v9, s9
	v_accvgpr_write_b32 a57, v8
                                        ; implicit-def: $vgpr8
; %bb.710:                              ;   in Loop: Header=BB350_424 Depth=1
	s_andn2_saveexec_b64 s[6:7], s[0:1]
; %bb.711:                              ;   in Loop: Header=BB350_424 Depth=1
	v_or_b32_e32 v9, 0x10000, v8
	v_cmp_eq_u32_sdwa s[0:1], v8, v29 src0_sel:WORD_0 src1_sel:DWORD
	s_nop 1
	v_cndmask_b32_e64 v8, v9, v8, s[0:1]
	v_accvgpr_write_b32 a57, v8
; %bb.712:                              ;   in Loop: Header=BB350_424 Depth=1
	s_or_b64 exec, exec, s[6:7]
	v_lshlrev_b32_e32 v7, 16, v7
	v_mul_f32_e32 v7, v52, v7
	v_and_b32_e32 v8, 0x7f800000, v7
	v_cmp_ne_u32_e64 s[0:1], s8, v8
                                        ; implicit-def: $agpr58
	s_and_saveexec_b64 s[6:7], s[0:1]
	s_xor_b64 s[0:1], exec, s[6:7]
; %bb.713:                              ;   in Loop: Header=BB350_424 Depth=1
	v_bfe_u32 v8, v7, 16, 1
	v_add3_u32 v7, v7, v8, s9
	v_accvgpr_write_b32 a58, v7
                                        ; implicit-def: $vgpr7
; %bb.714:                              ;   in Loop: Header=BB350_424 Depth=1
	s_andn2_saveexec_b64 s[6:7], s[0:1]
; %bb.715:                              ;   in Loop: Header=BB350_424 Depth=1
	v_or_b32_e32 v8, 0x10000, v7
	v_cmp_eq_u32_sdwa s[0:1], v7, v29 src0_sel:WORD_0 src1_sel:DWORD
	s_nop 1
	v_cndmask_b32_e64 v7, v8, v7, s[0:1]
	v_accvgpr_write_b32 a58, v7
; %bb.716:                              ;   in Loop: Header=BB350_424 Depth=1
	s_or_b64 exec, exec, s[6:7]
	v_lshlrev_b32_e32 v6, 16, v6
	v_mul_f32_e32 v6, v53, v6
	v_and_b32_e32 v7, 0x7f800000, v6
	v_cmp_ne_u32_e64 s[0:1], s8, v7
                                        ; implicit-def: $agpr59
	s_and_saveexec_b64 s[6:7], s[0:1]
	s_xor_b64 s[0:1], exec, s[6:7]
; %bb.717:                              ;   in Loop: Header=BB350_424 Depth=1
	v_bfe_u32 v7, v6, 16, 1
	v_add3_u32 v6, v6, v7, s9
	v_accvgpr_write_b32 a59, v6
                                        ; implicit-def: $vgpr6
; %bb.718:                              ;   in Loop: Header=BB350_424 Depth=1
	s_andn2_saveexec_b64 s[6:7], s[0:1]
; %bb.719:                              ;   in Loop: Header=BB350_424 Depth=1
	v_or_b32_e32 v7, 0x10000, v6
	v_cmp_eq_u32_sdwa s[0:1], v6, v29 src0_sel:WORD_0 src1_sel:DWORD
	s_nop 1
	v_cndmask_b32_e64 v6, v7, v6, s[0:1]
	v_accvgpr_write_b32 a59, v6
; %bb.720:                              ;   in Loop: Header=BB350_424 Depth=1
	s_or_b64 exec, exec, s[6:7]
	flat_load_dwordx2 v[6:7], v[4:5] offset:2048
	s_waitcnt vmcnt(0) lgkmcnt(0)
	v_and_b32_e32 v8, 0xff, v6
	v_cvt_f32_fp8_sdwa v8, v8 src0_sel:BYTE_0
	s_nop 0
	v_mul_f32_e32 v9, v19, v8
	v_and_b32_e32 v8, 0x7f800000, v9
	v_cmp_ne_u32_e64 s[0:1], s8, v8
                                        ; implicit-def: $vgpr8
	s_and_saveexec_b64 s[6:7], s[0:1]
	s_xor_b64 s[0:1], exec, s[6:7]
; %bb.721:                              ;   in Loop: Header=BB350_424 Depth=1
	v_bfe_u32 v8, v9, 16, 1
	v_add3_u32 v8, v9, v8, s9
                                        ; implicit-def: $vgpr9
; %bb.722:                              ;   in Loop: Header=BB350_424 Depth=1
	s_andn2_saveexec_b64 s[6:7], s[0:1]
; %bb.723:                              ;   in Loop: Header=BB350_424 Depth=1
	v_or_b32_e32 v8, 0x10000, v9
	v_cmp_eq_u32_sdwa s[0:1], v9, v29 src0_sel:WORD_0 src1_sel:DWORD
	s_nop 1
	v_cndmask_b32_e64 v8, v8, v9, s[0:1]
; %bb.724:                              ;   in Loop: Header=BB350_424 Depth=1
	s_or_b64 exec, exec, s[6:7]
	v_bfe_u32 v9, v6, 8, 8
	v_cvt_f32_fp8_sdwa v9, v9 src0_sel:BYTE_0
	s_nop 0
	v_mul_f32_e32 v18, v19, v9
	v_and_b32_e32 v9, 0x7f800000, v18
	v_cmp_ne_u32_e64 s[0:1], s8, v9
                                        ; implicit-def: $vgpr9
	s_and_saveexec_b64 s[6:7], s[0:1]
	s_xor_b64 s[0:1], exec, s[6:7]
; %bb.725:                              ;   in Loop: Header=BB350_424 Depth=1
	v_bfe_u32 v9, v18, 16, 1
	v_add3_u32 v9, v18, v9, s9
                                        ; implicit-def: $vgpr18
; %bb.726:                              ;   in Loop: Header=BB350_424 Depth=1
	s_andn2_saveexec_b64 s[6:7], s[0:1]
; %bb.727:                              ;   in Loop: Header=BB350_424 Depth=1
	v_or_b32_e32 v9, 0x10000, v18
	v_cmp_eq_u32_sdwa s[0:1], v18, v29 src0_sel:WORD_0 src1_sel:DWORD
	s_nop 1
	v_cndmask_b32_e64 v9, v9, v18, s[0:1]
; %bb.728:                              ;   in Loop: Header=BB350_424 Depth=1
	s_or_b64 exec, exec, s[6:7]
	v_bfe_u32 v18, v6, 16, 8
	v_cvt_f32_fp8_sdwa v18, v18 src0_sel:BYTE_0
	s_nop 0
	v_mul_f32_e32 v18, v19, v18
	v_and_b32_e32 v22, 0x7f800000, v18
	v_cmp_ne_u32_e64 s[0:1], s8, v22
                                        ; implicit-def: $vgpr22
	s_and_saveexec_b64 s[6:7], s[0:1]
	s_xor_b64 s[0:1], exec, s[6:7]
; %bb.729:                              ;   in Loop: Header=BB350_424 Depth=1
	v_bfe_u32 v22, v18, 16, 1
	v_add3_u32 v22, v18, v22, s9
                                        ; implicit-def: $vgpr18
; %bb.730:                              ;   in Loop: Header=BB350_424 Depth=1
	s_andn2_saveexec_b64 s[6:7], s[0:1]
; %bb.731:                              ;   in Loop: Header=BB350_424 Depth=1
	v_or_b32_e32 v22, 0x10000, v18
	v_cmp_eq_u32_sdwa s[0:1], v18, v29 src0_sel:WORD_0 src1_sel:DWORD
	s_nop 1
	v_cndmask_b32_e64 v22, v22, v18, s[0:1]
; %bb.732:                              ;   in Loop: Header=BB350_424 Depth=1
	s_or_b64 exec, exec, s[6:7]
	v_lshrrev_b32_e32 v6, 24, v6
	v_cvt_f32_fp8_sdwa v6, v6 src0_sel:BYTE_0
	s_nop 0
	v_mul_f32_e32 v18, v19, v6
	v_and_b32_e32 v6, 0x7f800000, v18
	v_cmp_ne_u32_e64 s[0:1], s8, v6
                                        ; implicit-def: $vgpr6
	s_and_saveexec_b64 s[6:7], s[0:1]
	s_xor_b64 s[0:1], exec, s[6:7]
; %bb.733:                              ;   in Loop: Header=BB350_424 Depth=1
	v_bfe_u32 v6, v18, 16, 1
	v_add3_u32 v6, v18, v6, s9
                                        ; implicit-def: $vgpr18
; %bb.734:                              ;   in Loop: Header=BB350_424 Depth=1
	s_andn2_saveexec_b64 s[6:7], s[0:1]
; %bb.735:                              ;   in Loop: Header=BB350_424 Depth=1
	v_or_b32_e32 v6, 0x10000, v18
	v_cmp_eq_u32_sdwa s[0:1], v18, v29 src0_sel:WORD_0 src1_sel:DWORD
	s_nop 1
	v_cndmask_b32_e64 v6, v6, v18, s[0:1]
; %bb.736:                              ;   in Loop: Header=BB350_424 Depth=1
	s_or_b64 exec, exec, s[6:7]
	v_and_b32_e32 v18, 0xff, v7
	v_cvt_f32_fp8_sdwa v18, v18 src0_sel:BYTE_0
	s_nop 0
	v_mul_f32_e32 v18, v19, v18
	v_and_b32_e32 v23, 0x7f800000, v18
	v_cmp_ne_u32_e64 s[0:1], s8, v23
                                        ; implicit-def: $vgpr23
	s_and_saveexec_b64 s[6:7], s[0:1]
	s_xor_b64 s[0:1], exec, s[6:7]
; %bb.737:                              ;   in Loop: Header=BB350_424 Depth=1
	v_bfe_u32 v23, v18, 16, 1
	v_add3_u32 v23, v18, v23, s9
                                        ; implicit-def: $vgpr18
; %bb.738:                              ;   in Loop: Header=BB350_424 Depth=1
	s_andn2_saveexec_b64 s[6:7], s[0:1]
; %bb.739:                              ;   in Loop: Header=BB350_424 Depth=1
	v_or_b32_e32 v23, 0x10000, v18
	v_cmp_eq_u32_sdwa s[0:1], v18, v29 src0_sel:WORD_0 src1_sel:DWORD
	s_nop 1
	v_cndmask_b32_e64 v23, v23, v18, s[0:1]
; %bb.740:                              ;   in Loop: Header=BB350_424 Depth=1
	s_or_b64 exec, exec, s[6:7]
	v_bfe_u32 v18, v7, 8, 8
	v_cvt_f32_fp8_sdwa v18, v18 src0_sel:BYTE_0
	s_nop 0
	v_mul_f32_e32 v30, v19, v18
	v_and_b32_e32 v18, 0x7f800000, v30
	v_cmp_ne_u32_e64 s[0:1], s8, v18
                                        ; implicit-def: $vgpr18
	s_and_saveexec_b64 s[6:7], s[0:1]
	s_xor_b64 s[0:1], exec, s[6:7]
; %bb.741:                              ;   in Loop: Header=BB350_424 Depth=1
	v_bfe_u32 v18, v30, 16, 1
	v_add3_u32 v18, v30, v18, s9
                                        ; implicit-def: $vgpr30
; %bb.742:                              ;   in Loop: Header=BB350_424 Depth=1
	s_andn2_saveexec_b64 s[6:7], s[0:1]
; %bb.743:                              ;   in Loop: Header=BB350_424 Depth=1
	v_or_b32_e32 v18, 0x10000, v30
	v_cmp_eq_u32_sdwa s[0:1], v30, v29 src0_sel:WORD_0 src1_sel:DWORD
	s_nop 1
	v_cndmask_b32_e64 v18, v18, v30, s[0:1]
; %bb.744:                              ;   in Loop: Header=BB350_424 Depth=1
	s_or_b64 exec, exec, s[6:7]
	v_bfe_u32 v30, v7, 16, 8
	v_cvt_f32_fp8_sdwa v30, v30 src0_sel:BYTE_0
	s_nop 0
	v_mul_f32_e32 v30, v19, v30
	v_and_b32_e32 v31, 0x7f800000, v30
	v_cmp_ne_u32_e64 s[0:1], s8, v31
                                        ; implicit-def: $vgpr31
	s_and_saveexec_b64 s[6:7], s[0:1]
	s_xor_b64 s[0:1], exec, s[6:7]
; %bb.745:                              ;   in Loop: Header=BB350_424 Depth=1
	v_bfe_u32 v31, v30, 16, 1
	v_add3_u32 v31, v30, v31, s9
                                        ; implicit-def: $vgpr30
; %bb.746:                              ;   in Loop: Header=BB350_424 Depth=1
	s_andn2_saveexec_b64 s[6:7], s[0:1]
; %bb.747:                              ;   in Loop: Header=BB350_424 Depth=1
	v_or_b32_e32 v31, 0x10000, v30
	v_cmp_eq_u32_sdwa s[0:1], v30, v29 src0_sel:WORD_0 src1_sel:DWORD
	s_nop 1
	v_cndmask_b32_e64 v31, v31, v30, s[0:1]
; %bb.748:                              ;   in Loop: Header=BB350_424 Depth=1
	s_or_b64 exec, exec, s[6:7]
	v_lshrrev_b32_e32 v7, 24, v7
	v_cvt_f32_fp8_sdwa v7, v7 src0_sel:BYTE_0
                                        ; implicit-def: $vgpr32
	s_nop 0
	v_mul_f32_e32 v7, v19, v7
	v_and_b32_e32 v30, 0x7f800000, v7
	v_cmp_ne_u32_e64 s[0:1], s8, v30
	s_and_saveexec_b64 s[6:7], s[0:1]
	s_xor_b64 s[0:1], exec, s[6:7]
; %bb.749:                              ;   in Loop: Header=BB350_424 Depth=1
	v_bfe_u32 v30, v7, 16, 1
	v_add3_u32 v32, v7, v30, s9
                                        ; implicit-def: $vgpr7
; %bb.750:                              ;   in Loop: Header=BB350_424 Depth=1
	s_andn2_saveexec_b64 s[6:7], s[0:1]
; %bb.751:                              ;   in Loop: Header=BB350_424 Depth=1
	v_or_b32_e32 v30, 0x10000, v7
	v_cmp_eq_u32_sdwa s[0:1], v7, v29 src0_sel:WORD_0 src1_sel:DWORD
	s_nop 1
	v_cndmask_b32_e64 v32, v30, v7, s[0:1]
; %bb.752:                              ;   in Loop: Header=BB350_424 Depth=1
	s_or_b64 exec, exec, s[6:7]
	v_lshrrev_b32_e32 v18, 16, v18
	v_lshrrev_b32_e32 v23, 16, v23
	;; [unrolled: 1-line block ×8, first 2 shown]
	s_and_saveexec_b64 s[6:7], vcc
	s_cbranch_execz .LBB350_754
; %bb.753:                              ;   in Loop: Header=BB350_424 Depth=1
	v_accvgpr_read_b32 v31, a29
	v_cmp_lt_i32_e64 s[0:1], v31, v39
	v_accvgpr_read_b32 v31, a35
	s_nop 0
	v_cndmask_b32_e64 v8, 0, v8, s[0:1]
	v_cmp_lt_i32_e64 s[0:1], v31, v39
	v_accvgpr_read_b32 v31, a34
	s_nop 0
	v_cndmask_b32_e64 v9, 0, v9, s[0:1]
	;; [unrolled: 4-line block ×6, first 2 shown]
	v_cmp_lt_i32_e64 s[0:1], v31, v39
	s_nop 1
	v_cndmask_b32_e64 v7, 0, v7, s[0:1]
	v_cmp_lt_i32_e64 s[0:1], v55, v39
	s_nop 1
	v_cndmask_b32_e64 v6, 0, v6, s[0:1]
.LBB350_754:                            ;   in Loop: Header=BB350_424 Depth=1
	s_or_b64 exec, exec, s[6:7]
	v_lshlrev_b32_e32 v8, 16, v8
	v_mul_f32_e32 v8, v62, v8
	v_and_b32_e32 v31, 0x7f800000, v8
	v_cmp_ne_u32_e64 s[0:1], s8, v31
                                        ; implicit-def: $agpr60
	s_and_saveexec_b64 s[6:7], s[0:1]
	s_xor_b64 s[0:1], exec, s[6:7]
; %bb.755:                              ;   in Loop: Header=BB350_424 Depth=1
	v_bfe_u32 v31, v8, 16, 1
	v_add3_u32 v8, v8, v31, s9
	v_accvgpr_write_b32 a60, v8
                                        ; implicit-def: $vgpr8
; %bb.756:                              ;   in Loop: Header=BB350_424 Depth=1
	s_andn2_saveexec_b64 s[6:7], s[0:1]
; %bb.757:                              ;   in Loop: Header=BB350_424 Depth=1
	v_or_b32_e32 v31, 0x10000, v8
	v_cmp_eq_u32_sdwa s[0:1], v8, v29 src0_sel:WORD_0 src1_sel:DWORD
	s_nop 1
	v_cndmask_b32_e64 v8, v31, v8, s[0:1]
	v_accvgpr_write_b32 a60, v8
; %bb.758:                              ;   in Loop: Header=BB350_424 Depth=1
	s_or_b64 exec, exec, s[6:7]
	v_lshlrev_b32_e32 v8, 16, v9
	v_mul_f32_e32 v8, v50, v8
	v_and_b32_e32 v9, 0x7f800000, v8
	v_cmp_ne_u32_e64 s[0:1], s8, v9
                                        ; implicit-def: $agpr61
	s_and_saveexec_b64 s[6:7], s[0:1]
	s_xor_b64 s[0:1], exec, s[6:7]
; %bb.759:                              ;   in Loop: Header=BB350_424 Depth=1
	v_bfe_u32 v9, v8, 16, 1
	v_add3_u32 v8, v8, v9, s9
	v_accvgpr_write_b32 a61, v8
                                        ; implicit-def: $vgpr8
; %bb.760:                              ;   in Loop: Header=BB350_424 Depth=1
	s_andn2_saveexec_b64 s[6:7], s[0:1]
; %bb.761:                              ;   in Loop: Header=BB350_424 Depth=1
	v_or_b32_e32 v9, 0x10000, v8
	v_cmp_eq_u32_sdwa s[0:1], v8, v29 src0_sel:WORD_0 src1_sel:DWORD
	s_nop 1
	v_cndmask_b32_e64 v8, v9, v8, s[0:1]
	v_accvgpr_write_b32 a61, v8
; %bb.762:                              ;   in Loop: Header=BB350_424 Depth=1
	s_or_b64 exec, exec, s[6:7]
	v_lshlrev_b32_e32 v8, 16, v22
	v_mul_f32_e32 v8, v51, v8
	v_and_b32_e32 v9, 0x7f800000, v8
	v_cmp_ne_u32_e64 s[0:1], s8, v9
                                        ; implicit-def: $agpr62
	s_and_saveexec_b64 s[6:7], s[0:1]
	s_xor_b64 s[0:1], exec, s[6:7]
; %bb.763:                              ;   in Loop: Header=BB350_424 Depth=1
	v_bfe_u32 v9, v8, 16, 1
	v_add3_u32 v8, v8, v9, s9
	v_accvgpr_write_b32 a62, v8
                                        ; implicit-def: $vgpr8
; %bb.764:                              ;   in Loop: Header=BB350_424 Depth=1
	s_andn2_saveexec_b64 s[6:7], s[0:1]
; %bb.765:                              ;   in Loop: Header=BB350_424 Depth=1
	v_or_b32_e32 v9, 0x10000, v8
	v_cmp_eq_u32_sdwa s[0:1], v8, v29 src0_sel:WORD_0 src1_sel:DWORD
	s_nop 1
	v_cndmask_b32_e64 v8, v9, v8, s[0:1]
	v_accvgpr_write_b32 a62, v8
; %bb.766:                              ;   in Loop: Header=BB350_424 Depth=1
	s_or_b64 exec, exec, s[6:7]
	v_lshlrev_b32_e32 v8, 16, v30
	v_mul_f32_e32 v8, v1, v8
	v_and_b32_e32 v9, 0x7f800000, v8
	v_cmp_ne_u32_e64 s[0:1], s8, v9
                                        ; implicit-def: $agpr63
	s_and_saveexec_b64 s[6:7], s[0:1]
	s_xor_b64 s[0:1], exec, s[6:7]
; %bb.767:                              ;   in Loop: Header=BB350_424 Depth=1
	v_bfe_u32 v9, v8, 16, 1
	v_add3_u32 v8, v8, v9, s9
	v_accvgpr_write_b32 a63, v8
                                        ; implicit-def: $vgpr8
; %bb.768:                              ;   in Loop: Header=BB350_424 Depth=1
	s_andn2_saveexec_b64 s[6:7], s[0:1]
; %bb.769:                              ;   in Loop: Header=BB350_424 Depth=1
	v_or_b32_e32 v9, 0x10000, v8
	v_cmp_eq_u32_sdwa s[0:1], v8, v29 src0_sel:WORD_0 src1_sel:DWORD
	s_nop 1
	v_cndmask_b32_e64 v8, v9, v8, s[0:1]
	v_accvgpr_write_b32 a63, v8
; %bb.770:                              ;   in Loop: Header=BB350_424 Depth=1
	s_or_b64 exec, exec, s[6:7]
	v_lshlrev_b32_e32 v8, 16, v23
	v_mul_f32_e32 v8, v0, v8
	v_and_b32_e32 v9, 0x7f800000, v8
	v_cmp_ne_u32_e64 s[0:1], s8, v9
                                        ; implicit-def: $agpr8
	s_and_saveexec_b64 s[6:7], s[0:1]
	s_xor_b64 s[0:1], exec, s[6:7]
; %bb.771:                              ;   in Loop: Header=BB350_424 Depth=1
	v_bfe_u32 v9, v8, 16, 1
	v_add3_u32 v8, v8, v9, s9
	v_accvgpr_write_b32 a8, v8
                                        ; implicit-def: $vgpr8
; %bb.772:                              ;   in Loop: Header=BB350_424 Depth=1
	s_andn2_saveexec_b64 s[6:7], s[0:1]
; %bb.773:                              ;   in Loop: Header=BB350_424 Depth=1
	v_or_b32_e32 v9, 0x10000, v8
	v_cmp_eq_u32_sdwa s[0:1], v8, v29 src0_sel:WORD_0 src1_sel:DWORD
	s_nop 1
	v_cndmask_b32_e64 v8, v9, v8, s[0:1]
	v_accvgpr_write_b32 a8, v8
; %bb.774:                              ;   in Loop: Header=BB350_424 Depth=1
	s_or_b64 exec, exec, s[6:7]
	v_lshlrev_b32_e32 v8, 16, v18
	v_mul_f32_e32 v8, v38, v8
	v_and_b32_e32 v9, 0x7f800000, v8
	v_cmp_ne_u32_e64 s[0:1], s8, v9
                                        ; implicit-def: $agpr9
	s_and_saveexec_b64 s[6:7], s[0:1]
	s_xor_b64 s[0:1], exec, s[6:7]
; %bb.775:                              ;   in Loop: Header=BB350_424 Depth=1
	v_bfe_u32 v9, v8, 16, 1
	v_add3_u32 v8, v8, v9, s9
	v_accvgpr_write_b32 a9, v8
                                        ; implicit-def: $vgpr8
; %bb.776:                              ;   in Loop: Header=BB350_424 Depth=1
	s_andn2_saveexec_b64 s[6:7], s[0:1]
; %bb.777:                              ;   in Loop: Header=BB350_424 Depth=1
	v_or_b32_e32 v9, 0x10000, v8
	v_cmp_eq_u32_sdwa s[0:1], v8, v29 src0_sel:WORD_0 src1_sel:DWORD
	s_nop 1
	v_cndmask_b32_e64 v8, v9, v8, s[0:1]
	v_accvgpr_write_b32 a9, v8
; %bb.778:                              ;   in Loop: Header=BB350_424 Depth=1
	s_or_b64 exec, exec, s[6:7]
	v_lshlrev_b32_e32 v7, 16, v7
	v_mul_f32_e32 v7, v52, v7
	v_and_b32_e32 v8, 0x7f800000, v7
	v_cmp_ne_u32_e64 s[0:1], s8, v8
                                        ; implicit-def: $agpr7
	s_and_saveexec_b64 s[6:7], s[0:1]
	s_xor_b64 s[0:1], exec, s[6:7]
; %bb.779:                              ;   in Loop: Header=BB350_424 Depth=1
	v_bfe_u32 v8, v7, 16, 1
	v_add3_u32 v7, v7, v8, s9
	v_accvgpr_write_b32 a7, v7
                                        ; implicit-def: $vgpr7
; %bb.780:                              ;   in Loop: Header=BB350_424 Depth=1
	s_andn2_saveexec_b64 s[6:7], s[0:1]
; %bb.781:                              ;   in Loop: Header=BB350_424 Depth=1
	v_or_b32_e32 v8, 0x10000, v7
	v_cmp_eq_u32_sdwa s[0:1], v7, v29 src0_sel:WORD_0 src1_sel:DWORD
	s_nop 1
	v_cndmask_b32_e64 v7, v8, v7, s[0:1]
	v_accvgpr_write_b32 a7, v7
; %bb.782:                              ;   in Loop: Header=BB350_424 Depth=1
	s_or_b64 exec, exec, s[6:7]
	v_lshlrev_b32_e32 v6, 16, v6
	v_mul_f32_e32 v6, v53, v6
	v_and_b32_e32 v7, 0x7f800000, v6
	v_cmp_ne_u32_e64 s[0:1], s8, v7
                                        ; implicit-def: $agpr6
	s_and_saveexec_b64 s[6:7], s[0:1]
	s_xor_b64 s[0:1], exec, s[6:7]
; %bb.783:                              ;   in Loop: Header=BB350_424 Depth=1
	v_bfe_u32 v7, v6, 16, 1
	v_add3_u32 v6, v6, v7, s9
	v_accvgpr_write_b32 a6, v6
                                        ; implicit-def: $vgpr6
; %bb.784:                              ;   in Loop: Header=BB350_424 Depth=1
	s_andn2_saveexec_b64 s[6:7], s[0:1]
; %bb.785:                              ;   in Loop: Header=BB350_424 Depth=1
	v_or_b32_e32 v7, 0x10000, v6
	v_cmp_eq_u32_sdwa s[0:1], v6, v29 src0_sel:WORD_0 src1_sel:DWORD
	s_nop 1
	v_cndmask_b32_e64 v6, v7, v6, s[0:1]
	v_accvgpr_write_b32 a6, v6
; %bb.786:                              ;   in Loop: Header=BB350_424 Depth=1
	s_or_b64 exec, exec, s[6:7]
	flat_load_dwordx2 v[6:7], v[4:5] offset:2560
	s_waitcnt vmcnt(0) lgkmcnt(0)
	v_and_b32_e32 v8, 0xff, v6
	v_cvt_f32_fp8_sdwa v8, v8 src0_sel:BYTE_0
	s_nop 0
	v_mul_f32_e32 v9, v19, v8
	v_and_b32_e32 v8, 0x7f800000, v9
	v_cmp_ne_u32_e64 s[0:1], s8, v8
                                        ; implicit-def: $vgpr8
	s_and_saveexec_b64 s[6:7], s[0:1]
	s_xor_b64 s[0:1], exec, s[6:7]
; %bb.787:                              ;   in Loop: Header=BB350_424 Depth=1
	v_bfe_u32 v8, v9, 16, 1
	v_add3_u32 v8, v9, v8, s9
                                        ; implicit-def: $vgpr9
; %bb.788:                              ;   in Loop: Header=BB350_424 Depth=1
	s_andn2_saveexec_b64 s[6:7], s[0:1]
; %bb.789:                              ;   in Loop: Header=BB350_424 Depth=1
	v_or_b32_e32 v8, 0x10000, v9
	v_cmp_eq_u32_sdwa s[0:1], v9, v29 src0_sel:WORD_0 src1_sel:DWORD
	s_nop 1
	v_cndmask_b32_e64 v8, v8, v9, s[0:1]
; %bb.790:                              ;   in Loop: Header=BB350_424 Depth=1
	s_or_b64 exec, exec, s[6:7]
	v_bfe_u32 v9, v6, 8, 8
	v_cvt_f32_fp8_sdwa v9, v9 src0_sel:BYTE_0
	s_nop 0
	v_mul_f32_e32 v18, v19, v9
	v_and_b32_e32 v9, 0x7f800000, v18
	v_cmp_ne_u32_e64 s[0:1], s8, v9
                                        ; implicit-def: $vgpr9
	s_and_saveexec_b64 s[6:7], s[0:1]
	s_xor_b64 s[0:1], exec, s[6:7]
; %bb.791:                              ;   in Loop: Header=BB350_424 Depth=1
	v_bfe_u32 v9, v18, 16, 1
	v_add3_u32 v9, v18, v9, s9
                                        ; implicit-def: $vgpr18
; %bb.792:                              ;   in Loop: Header=BB350_424 Depth=1
	s_andn2_saveexec_b64 s[6:7], s[0:1]
; %bb.793:                              ;   in Loop: Header=BB350_424 Depth=1
	v_or_b32_e32 v9, 0x10000, v18
	v_cmp_eq_u32_sdwa s[0:1], v18, v29 src0_sel:WORD_0 src1_sel:DWORD
	s_nop 1
	v_cndmask_b32_e64 v9, v9, v18, s[0:1]
; %bb.794:                              ;   in Loop: Header=BB350_424 Depth=1
	s_or_b64 exec, exec, s[6:7]
	v_bfe_u32 v18, v6, 16, 8
	v_cvt_f32_fp8_sdwa v18, v18 src0_sel:BYTE_0
	s_nop 0
	v_mul_f32_e32 v18, v19, v18
	v_and_b32_e32 v22, 0x7f800000, v18
	v_cmp_ne_u32_e64 s[0:1], s8, v22
                                        ; implicit-def: $vgpr22
	s_and_saveexec_b64 s[6:7], s[0:1]
	s_xor_b64 s[0:1], exec, s[6:7]
; %bb.795:                              ;   in Loop: Header=BB350_424 Depth=1
	v_bfe_u32 v22, v18, 16, 1
	v_add3_u32 v22, v18, v22, s9
                                        ; implicit-def: $vgpr18
; %bb.796:                              ;   in Loop: Header=BB350_424 Depth=1
	s_andn2_saveexec_b64 s[6:7], s[0:1]
; %bb.797:                              ;   in Loop: Header=BB350_424 Depth=1
	v_or_b32_e32 v22, 0x10000, v18
	v_cmp_eq_u32_sdwa s[0:1], v18, v29 src0_sel:WORD_0 src1_sel:DWORD
	s_nop 1
	v_cndmask_b32_e64 v22, v22, v18, s[0:1]
; %bb.798:                              ;   in Loop: Header=BB350_424 Depth=1
	s_or_b64 exec, exec, s[6:7]
	v_lshrrev_b32_e32 v6, 24, v6
	v_cvt_f32_fp8_sdwa v6, v6 src0_sel:BYTE_0
	s_nop 0
	v_mul_f32_e32 v18, v19, v6
	v_and_b32_e32 v6, 0x7f800000, v18
	v_cmp_ne_u32_e64 s[0:1], s8, v6
                                        ; implicit-def: $vgpr6
	s_and_saveexec_b64 s[6:7], s[0:1]
	s_xor_b64 s[0:1], exec, s[6:7]
; %bb.799:                              ;   in Loop: Header=BB350_424 Depth=1
	v_bfe_u32 v6, v18, 16, 1
	v_add3_u32 v6, v18, v6, s9
                                        ; implicit-def: $vgpr18
; %bb.800:                              ;   in Loop: Header=BB350_424 Depth=1
	s_andn2_saveexec_b64 s[6:7], s[0:1]
; %bb.801:                              ;   in Loop: Header=BB350_424 Depth=1
	v_or_b32_e32 v6, 0x10000, v18
	v_cmp_eq_u32_sdwa s[0:1], v18, v29 src0_sel:WORD_0 src1_sel:DWORD
	s_nop 1
	v_cndmask_b32_e64 v6, v6, v18, s[0:1]
; %bb.802:                              ;   in Loop: Header=BB350_424 Depth=1
	s_or_b64 exec, exec, s[6:7]
	v_and_b32_e32 v18, 0xff, v7
	v_cvt_f32_fp8_sdwa v18, v18 src0_sel:BYTE_0
	s_nop 0
	v_mul_f32_e32 v18, v19, v18
	v_and_b32_e32 v23, 0x7f800000, v18
	v_cmp_ne_u32_e64 s[0:1], s8, v23
                                        ; implicit-def: $vgpr23
	s_and_saveexec_b64 s[6:7], s[0:1]
	s_xor_b64 s[0:1], exec, s[6:7]
; %bb.803:                              ;   in Loop: Header=BB350_424 Depth=1
	v_bfe_u32 v23, v18, 16, 1
	v_add3_u32 v23, v18, v23, s9
                                        ; implicit-def: $vgpr18
; %bb.804:                              ;   in Loop: Header=BB350_424 Depth=1
	s_andn2_saveexec_b64 s[6:7], s[0:1]
; %bb.805:                              ;   in Loop: Header=BB350_424 Depth=1
	v_or_b32_e32 v23, 0x10000, v18
	v_cmp_eq_u32_sdwa s[0:1], v18, v29 src0_sel:WORD_0 src1_sel:DWORD
	s_nop 1
	v_cndmask_b32_e64 v23, v23, v18, s[0:1]
; %bb.806:                              ;   in Loop: Header=BB350_424 Depth=1
	s_or_b64 exec, exec, s[6:7]
	v_bfe_u32 v18, v7, 8, 8
	v_cvt_f32_fp8_sdwa v18, v18 src0_sel:BYTE_0
	s_nop 0
	v_mul_f32_e32 v30, v19, v18
	v_and_b32_e32 v18, 0x7f800000, v30
	v_cmp_ne_u32_e64 s[0:1], s8, v18
                                        ; implicit-def: $vgpr18
	s_and_saveexec_b64 s[6:7], s[0:1]
	s_xor_b64 s[0:1], exec, s[6:7]
; %bb.807:                              ;   in Loop: Header=BB350_424 Depth=1
	v_bfe_u32 v18, v30, 16, 1
	v_add3_u32 v18, v30, v18, s9
                                        ; implicit-def: $vgpr30
; %bb.808:                              ;   in Loop: Header=BB350_424 Depth=1
	s_andn2_saveexec_b64 s[6:7], s[0:1]
; %bb.809:                              ;   in Loop: Header=BB350_424 Depth=1
	v_or_b32_e32 v18, 0x10000, v30
	v_cmp_eq_u32_sdwa s[0:1], v30, v29 src0_sel:WORD_0 src1_sel:DWORD
	s_nop 1
	v_cndmask_b32_e64 v18, v18, v30, s[0:1]
; %bb.810:                              ;   in Loop: Header=BB350_424 Depth=1
	s_or_b64 exec, exec, s[6:7]
	v_bfe_u32 v30, v7, 16, 8
	v_cvt_f32_fp8_sdwa v30, v30 src0_sel:BYTE_0
	s_nop 0
	v_mul_f32_e32 v30, v19, v30
	v_and_b32_e32 v31, 0x7f800000, v30
	v_cmp_ne_u32_e64 s[0:1], s8, v31
                                        ; implicit-def: $vgpr31
	s_and_saveexec_b64 s[6:7], s[0:1]
	s_xor_b64 s[0:1], exec, s[6:7]
; %bb.811:                              ;   in Loop: Header=BB350_424 Depth=1
	v_bfe_u32 v31, v30, 16, 1
	v_add3_u32 v31, v30, v31, s9
                                        ; implicit-def: $vgpr30
; %bb.812:                              ;   in Loop: Header=BB350_424 Depth=1
	s_andn2_saveexec_b64 s[6:7], s[0:1]
; %bb.813:                              ;   in Loop: Header=BB350_424 Depth=1
	v_or_b32_e32 v31, 0x10000, v30
	v_cmp_eq_u32_sdwa s[0:1], v30, v29 src0_sel:WORD_0 src1_sel:DWORD
	s_nop 1
	v_cndmask_b32_e64 v31, v31, v30, s[0:1]
; %bb.814:                              ;   in Loop: Header=BB350_424 Depth=1
	s_or_b64 exec, exec, s[6:7]
	v_lshrrev_b32_e32 v7, 24, v7
	v_cvt_f32_fp8_sdwa v7, v7 src0_sel:BYTE_0
                                        ; implicit-def: $vgpr32
	s_nop 0
	v_mul_f32_e32 v7, v19, v7
	v_and_b32_e32 v30, 0x7f800000, v7
	v_cmp_ne_u32_e64 s[0:1], s8, v30
	s_and_saveexec_b64 s[6:7], s[0:1]
	s_xor_b64 s[0:1], exec, s[6:7]
; %bb.815:                              ;   in Loop: Header=BB350_424 Depth=1
	v_bfe_u32 v30, v7, 16, 1
	v_add3_u32 v32, v7, v30, s9
                                        ; implicit-def: $vgpr7
; %bb.816:                              ;   in Loop: Header=BB350_424 Depth=1
	s_andn2_saveexec_b64 s[6:7], s[0:1]
; %bb.817:                              ;   in Loop: Header=BB350_424 Depth=1
	v_or_b32_e32 v30, 0x10000, v7
	v_cmp_eq_u32_sdwa s[0:1], v7, v29 src0_sel:WORD_0 src1_sel:DWORD
	s_nop 1
	v_cndmask_b32_e64 v32, v30, v7, s[0:1]
; %bb.818:                              ;   in Loop: Header=BB350_424 Depth=1
	s_or_b64 exec, exec, s[6:7]
	v_lshrrev_b32_e32 v18, 16, v18
	v_lshrrev_b32_e32 v23, 16, v23
	;; [unrolled: 1-line block ×8, first 2 shown]
	s_and_saveexec_b64 s[6:7], vcc
	s_cbranch_execz .LBB350_820
; %bb.819:                              ;   in Loop: Header=BB350_424 Depth=1
	v_accvgpr_read_b32 v31, a29
	v_cmp_lt_i32_e64 s[0:1], v31, v39
	v_accvgpr_read_b32 v31, a35
	s_nop 0
	v_cndmask_b32_e64 v8, 0, v8, s[0:1]
	v_cmp_lt_i32_e64 s[0:1], v31, v39
	v_accvgpr_read_b32 v31, a34
	s_nop 0
	v_cndmask_b32_e64 v9, 0, v9, s[0:1]
	;; [unrolled: 4-line block ×6, first 2 shown]
	v_cmp_lt_i32_e64 s[0:1], v31, v39
	s_nop 1
	v_cndmask_b32_e64 v7, 0, v7, s[0:1]
	v_cmp_lt_i32_e64 s[0:1], v55, v39
	s_nop 1
	v_cndmask_b32_e64 v6, 0, v6, s[0:1]
.LBB350_820:                            ;   in Loop: Header=BB350_424 Depth=1
	s_or_b64 exec, exec, s[6:7]
	v_lshlrev_b32_e32 v8, 16, v8
	v_mul_f32_e32 v8, v62, v8
	v_and_b32_e32 v31, 0x7f800000, v8
	v_cmp_ne_u32_e64 s[0:1], s8, v31
                                        ; implicit-def: $agpr0
	s_and_saveexec_b64 s[6:7], s[0:1]
	s_xor_b64 s[0:1], exec, s[6:7]
; %bb.821:                              ;   in Loop: Header=BB350_424 Depth=1
	v_bfe_u32 v31, v8, 16, 1
	v_add3_u32 v8, v8, v31, s9
	v_accvgpr_write_b32 a0, v8
                                        ; implicit-def: $vgpr8
; %bb.822:                              ;   in Loop: Header=BB350_424 Depth=1
	s_andn2_saveexec_b64 s[6:7], s[0:1]
; %bb.823:                              ;   in Loop: Header=BB350_424 Depth=1
	v_or_b32_e32 v31, 0x10000, v8
	v_cmp_eq_u32_sdwa s[0:1], v8, v29 src0_sel:WORD_0 src1_sel:DWORD
	s_nop 1
	v_cndmask_b32_e64 v8, v31, v8, s[0:1]
	v_accvgpr_write_b32 a0, v8
; %bb.824:                              ;   in Loop: Header=BB350_424 Depth=1
	s_or_b64 exec, exec, s[6:7]
	v_lshlrev_b32_e32 v8, 16, v9
	v_mul_f32_e32 v8, v50, v8
	v_and_b32_e32 v9, 0x7f800000, v8
	v_cmp_ne_u32_e64 s[0:1], s8, v9
                                        ; implicit-def: $agpr1
	s_and_saveexec_b64 s[6:7], s[0:1]
	s_xor_b64 s[0:1], exec, s[6:7]
; %bb.825:                              ;   in Loop: Header=BB350_424 Depth=1
	v_bfe_u32 v9, v8, 16, 1
	v_add3_u32 v8, v8, v9, s9
	v_accvgpr_write_b32 a1, v8
                                        ; implicit-def: $vgpr8
; %bb.826:                              ;   in Loop: Header=BB350_424 Depth=1
	s_andn2_saveexec_b64 s[6:7], s[0:1]
; %bb.827:                              ;   in Loop: Header=BB350_424 Depth=1
	v_or_b32_e32 v9, 0x10000, v8
	v_cmp_eq_u32_sdwa s[0:1], v8, v29 src0_sel:WORD_0 src1_sel:DWORD
	s_nop 1
	v_cndmask_b32_e64 v8, v9, v8, s[0:1]
	v_accvgpr_write_b32 a1, v8
; %bb.828:                              ;   in Loop: Header=BB350_424 Depth=1
	s_or_b64 exec, exec, s[6:7]
	v_lshlrev_b32_e32 v8, 16, v22
	v_mul_f32_e32 v8, v51, v8
	v_and_b32_e32 v9, 0x7f800000, v8
	v_cmp_ne_u32_e64 s[0:1], s8, v9
                                        ; implicit-def: $agpr2
	s_and_saveexec_b64 s[6:7], s[0:1]
	s_xor_b64 s[0:1], exec, s[6:7]
; %bb.829:                              ;   in Loop: Header=BB350_424 Depth=1
	v_bfe_u32 v9, v8, 16, 1
	v_add3_u32 v8, v8, v9, s9
	v_accvgpr_write_b32 a2, v8
                                        ; implicit-def: $vgpr8
; %bb.830:                              ;   in Loop: Header=BB350_424 Depth=1
	s_andn2_saveexec_b64 s[6:7], s[0:1]
; %bb.831:                              ;   in Loop: Header=BB350_424 Depth=1
	v_or_b32_e32 v9, 0x10000, v8
	v_cmp_eq_u32_sdwa s[0:1], v8, v29 src0_sel:WORD_0 src1_sel:DWORD
	s_nop 1
	v_cndmask_b32_e64 v8, v9, v8, s[0:1]
	v_accvgpr_write_b32 a2, v8
; %bb.832:                              ;   in Loop: Header=BB350_424 Depth=1
	s_or_b64 exec, exec, s[6:7]
	v_lshlrev_b32_e32 v8, 16, v30
	v_mul_f32_e32 v8, v1, v8
	v_and_b32_e32 v9, 0x7f800000, v8
	v_cmp_ne_u32_e64 s[0:1], s8, v9
                                        ; implicit-def: $agpr3
	s_and_saveexec_b64 s[6:7], s[0:1]
	s_xor_b64 s[0:1], exec, s[6:7]
; %bb.833:                              ;   in Loop: Header=BB350_424 Depth=1
	v_bfe_u32 v9, v8, 16, 1
	v_add3_u32 v8, v8, v9, s9
	v_accvgpr_write_b32 a3, v8
                                        ; implicit-def: $vgpr8
; %bb.834:                              ;   in Loop: Header=BB350_424 Depth=1
	s_andn2_saveexec_b64 s[6:7], s[0:1]
; %bb.835:                              ;   in Loop: Header=BB350_424 Depth=1
	v_or_b32_e32 v9, 0x10000, v8
	v_cmp_eq_u32_sdwa s[0:1], v8, v29 src0_sel:WORD_0 src1_sel:DWORD
	s_nop 1
	v_cndmask_b32_e64 v8, v9, v8, s[0:1]
	v_accvgpr_write_b32 a3, v8
; %bb.836:                              ;   in Loop: Header=BB350_424 Depth=1
	s_or_b64 exec, exec, s[6:7]
	v_lshlrev_b32_e32 v8, 16, v23
	v_mul_f32_e32 v8, v0, v8
	v_and_b32_e32 v9, 0x7f800000, v8
	v_cmp_ne_u32_e64 s[0:1], s8, v9
                                        ; implicit-def: $agpr12
	s_and_saveexec_b64 s[6:7], s[0:1]
	s_xor_b64 s[0:1], exec, s[6:7]
; %bb.837:                              ;   in Loop: Header=BB350_424 Depth=1
	v_bfe_u32 v9, v8, 16, 1
	v_add3_u32 v8, v8, v9, s9
	v_accvgpr_write_b32 a12, v8
                                        ; implicit-def: $vgpr8
; %bb.838:                              ;   in Loop: Header=BB350_424 Depth=1
	s_andn2_saveexec_b64 s[6:7], s[0:1]
; %bb.839:                              ;   in Loop: Header=BB350_424 Depth=1
	v_or_b32_e32 v9, 0x10000, v8
	v_cmp_eq_u32_sdwa s[0:1], v8, v29 src0_sel:WORD_0 src1_sel:DWORD
	s_nop 1
	v_cndmask_b32_e64 v8, v9, v8, s[0:1]
	v_accvgpr_write_b32 a12, v8
; %bb.840:                              ;   in Loop: Header=BB350_424 Depth=1
	s_or_b64 exec, exec, s[6:7]
	v_lshlrev_b32_e32 v8, 16, v18
	v_mul_f32_e32 v8, v38, v8
	v_and_b32_e32 v9, 0x7f800000, v8
	v_cmp_ne_u32_e64 s[0:1], s8, v9
                                        ; implicit-def: $agpr10
	s_and_saveexec_b64 s[6:7], s[0:1]
	s_xor_b64 s[0:1], exec, s[6:7]
; %bb.841:                              ;   in Loop: Header=BB350_424 Depth=1
	v_bfe_u32 v9, v8, 16, 1
	v_add3_u32 v8, v8, v9, s9
	v_accvgpr_write_b32 a10, v8
                                        ; implicit-def: $vgpr8
; %bb.842:                              ;   in Loop: Header=BB350_424 Depth=1
	s_andn2_saveexec_b64 s[6:7], s[0:1]
; %bb.843:                              ;   in Loop: Header=BB350_424 Depth=1
	v_or_b32_e32 v9, 0x10000, v8
	v_cmp_eq_u32_sdwa s[0:1], v8, v29 src0_sel:WORD_0 src1_sel:DWORD
	s_nop 1
	v_cndmask_b32_e64 v8, v9, v8, s[0:1]
	v_accvgpr_write_b32 a10, v8
; %bb.844:                              ;   in Loop: Header=BB350_424 Depth=1
	s_or_b64 exec, exec, s[6:7]
	v_lshlrev_b32_e32 v7, 16, v7
	v_mul_f32_e32 v7, v52, v7
	v_and_b32_e32 v8, 0x7f800000, v7
	v_cmp_ne_u32_e64 s[0:1], s8, v8
                                        ; implicit-def: $agpr11
	s_and_saveexec_b64 s[6:7], s[0:1]
	s_xor_b64 s[0:1], exec, s[6:7]
; %bb.845:                              ;   in Loop: Header=BB350_424 Depth=1
	v_bfe_u32 v8, v7, 16, 1
	v_add3_u32 v7, v7, v8, s9
	v_accvgpr_write_b32 a11, v7
                                        ; implicit-def: $vgpr7
; %bb.846:                              ;   in Loop: Header=BB350_424 Depth=1
	s_andn2_saveexec_b64 s[6:7], s[0:1]
; %bb.847:                              ;   in Loop: Header=BB350_424 Depth=1
	v_or_b32_e32 v8, 0x10000, v7
	v_cmp_eq_u32_sdwa s[0:1], v7, v29 src0_sel:WORD_0 src1_sel:DWORD
	s_nop 1
	v_cndmask_b32_e64 v7, v8, v7, s[0:1]
	v_accvgpr_write_b32 a11, v7
; %bb.848:                              ;   in Loop: Header=BB350_424 Depth=1
	s_or_b64 exec, exec, s[6:7]
	v_lshlrev_b32_e32 v6, 16, v6
	v_mul_f32_e32 v6, v53, v6
	v_and_b32_e32 v7, 0x7f800000, v6
	v_cmp_ne_u32_e64 s[0:1], s8, v7
                                        ; implicit-def: $agpr14
	s_and_saveexec_b64 s[6:7], s[0:1]
	s_xor_b64 s[0:1], exec, s[6:7]
; %bb.849:                              ;   in Loop: Header=BB350_424 Depth=1
	v_bfe_u32 v7, v6, 16, 1
	v_add3_u32 v6, v6, v7, s9
	v_accvgpr_write_b32 a14, v6
                                        ; implicit-def: $vgpr6
; %bb.850:                              ;   in Loop: Header=BB350_424 Depth=1
	s_andn2_saveexec_b64 s[6:7], s[0:1]
; %bb.851:                              ;   in Loop: Header=BB350_424 Depth=1
	v_or_b32_e32 v7, 0x10000, v6
	v_cmp_eq_u32_sdwa s[0:1], v6, v29 src0_sel:WORD_0 src1_sel:DWORD
	s_nop 1
	v_cndmask_b32_e64 v6, v7, v6, s[0:1]
	v_accvgpr_write_b32 a14, v6
; %bb.852:                              ;   in Loop: Header=BB350_424 Depth=1
	s_or_b64 exec, exec, s[6:7]
	flat_load_dwordx2 v[6:7], v[4:5] offset:3072
	s_waitcnt vmcnt(0) lgkmcnt(0)
	v_and_b32_e32 v8, 0xff, v6
	v_cvt_f32_fp8_sdwa v8, v8 src0_sel:BYTE_0
	s_nop 0
	v_mul_f32_e32 v9, v19, v8
	v_and_b32_e32 v8, 0x7f800000, v9
	v_cmp_ne_u32_e64 s[0:1], s8, v8
                                        ; implicit-def: $vgpr8
	s_and_saveexec_b64 s[6:7], s[0:1]
	s_xor_b64 s[0:1], exec, s[6:7]
; %bb.853:                              ;   in Loop: Header=BB350_424 Depth=1
	v_bfe_u32 v8, v9, 16, 1
	v_add3_u32 v8, v9, v8, s9
                                        ; implicit-def: $vgpr9
; %bb.854:                              ;   in Loop: Header=BB350_424 Depth=1
	s_andn2_saveexec_b64 s[6:7], s[0:1]
; %bb.855:                              ;   in Loop: Header=BB350_424 Depth=1
	v_or_b32_e32 v8, 0x10000, v9
	v_cmp_eq_u32_sdwa s[0:1], v9, v29 src0_sel:WORD_0 src1_sel:DWORD
	s_nop 1
	v_cndmask_b32_e64 v8, v8, v9, s[0:1]
; %bb.856:                              ;   in Loop: Header=BB350_424 Depth=1
	s_or_b64 exec, exec, s[6:7]
	v_bfe_u32 v9, v6, 8, 8
	v_cvt_f32_fp8_sdwa v9, v9 src0_sel:BYTE_0
	s_nop 0
	v_mul_f32_e32 v18, v19, v9
	v_and_b32_e32 v9, 0x7f800000, v18
	v_cmp_ne_u32_e64 s[0:1], s8, v9
                                        ; implicit-def: $vgpr9
	s_and_saveexec_b64 s[6:7], s[0:1]
	s_xor_b64 s[0:1], exec, s[6:7]
; %bb.857:                              ;   in Loop: Header=BB350_424 Depth=1
	v_bfe_u32 v9, v18, 16, 1
	v_add3_u32 v9, v18, v9, s9
                                        ; implicit-def: $vgpr18
; %bb.858:                              ;   in Loop: Header=BB350_424 Depth=1
	s_andn2_saveexec_b64 s[6:7], s[0:1]
; %bb.859:                              ;   in Loop: Header=BB350_424 Depth=1
	v_or_b32_e32 v9, 0x10000, v18
	v_cmp_eq_u32_sdwa s[0:1], v18, v29 src0_sel:WORD_0 src1_sel:DWORD
	s_nop 1
	v_cndmask_b32_e64 v9, v9, v18, s[0:1]
; %bb.860:                              ;   in Loop: Header=BB350_424 Depth=1
	s_or_b64 exec, exec, s[6:7]
	v_bfe_u32 v18, v6, 16, 8
	v_cvt_f32_fp8_sdwa v18, v18 src0_sel:BYTE_0
	s_nop 0
	v_mul_f32_e32 v18, v19, v18
	v_and_b32_e32 v22, 0x7f800000, v18
	v_cmp_ne_u32_e64 s[0:1], s8, v22
                                        ; implicit-def: $vgpr22
	s_and_saveexec_b64 s[6:7], s[0:1]
	s_xor_b64 s[0:1], exec, s[6:7]
; %bb.861:                              ;   in Loop: Header=BB350_424 Depth=1
	v_bfe_u32 v22, v18, 16, 1
	v_add3_u32 v22, v18, v22, s9
                                        ; implicit-def: $vgpr18
; %bb.862:                              ;   in Loop: Header=BB350_424 Depth=1
	s_andn2_saveexec_b64 s[6:7], s[0:1]
; %bb.863:                              ;   in Loop: Header=BB350_424 Depth=1
	v_or_b32_e32 v22, 0x10000, v18
	v_cmp_eq_u32_sdwa s[0:1], v18, v29 src0_sel:WORD_0 src1_sel:DWORD
	s_nop 1
	v_cndmask_b32_e64 v22, v22, v18, s[0:1]
; %bb.864:                              ;   in Loop: Header=BB350_424 Depth=1
	s_or_b64 exec, exec, s[6:7]
	v_lshrrev_b32_e32 v6, 24, v6
	v_cvt_f32_fp8_sdwa v6, v6 src0_sel:BYTE_0
	s_nop 0
	v_mul_f32_e32 v18, v19, v6
	v_and_b32_e32 v6, 0x7f800000, v18
	v_cmp_ne_u32_e64 s[0:1], s8, v6
                                        ; implicit-def: $vgpr6
	s_and_saveexec_b64 s[6:7], s[0:1]
	s_xor_b64 s[0:1], exec, s[6:7]
; %bb.865:                              ;   in Loop: Header=BB350_424 Depth=1
	v_bfe_u32 v6, v18, 16, 1
	v_add3_u32 v6, v18, v6, s9
                                        ; implicit-def: $vgpr18
; %bb.866:                              ;   in Loop: Header=BB350_424 Depth=1
	s_andn2_saveexec_b64 s[6:7], s[0:1]
; %bb.867:                              ;   in Loop: Header=BB350_424 Depth=1
	v_or_b32_e32 v6, 0x10000, v18
	v_cmp_eq_u32_sdwa s[0:1], v18, v29 src0_sel:WORD_0 src1_sel:DWORD
	s_nop 1
	v_cndmask_b32_e64 v6, v6, v18, s[0:1]
; %bb.868:                              ;   in Loop: Header=BB350_424 Depth=1
	s_or_b64 exec, exec, s[6:7]
	v_and_b32_e32 v18, 0xff, v7
	v_cvt_f32_fp8_sdwa v18, v18 src0_sel:BYTE_0
	s_nop 0
	v_mul_f32_e32 v18, v19, v18
	v_and_b32_e32 v23, 0x7f800000, v18
	v_cmp_ne_u32_e64 s[0:1], s8, v23
                                        ; implicit-def: $vgpr23
	s_and_saveexec_b64 s[6:7], s[0:1]
	s_xor_b64 s[0:1], exec, s[6:7]
; %bb.869:                              ;   in Loop: Header=BB350_424 Depth=1
	v_bfe_u32 v23, v18, 16, 1
	v_add3_u32 v23, v18, v23, s9
                                        ; implicit-def: $vgpr18
; %bb.870:                              ;   in Loop: Header=BB350_424 Depth=1
	s_andn2_saveexec_b64 s[6:7], s[0:1]
; %bb.871:                              ;   in Loop: Header=BB350_424 Depth=1
	v_or_b32_e32 v23, 0x10000, v18
	v_cmp_eq_u32_sdwa s[0:1], v18, v29 src0_sel:WORD_0 src1_sel:DWORD
	s_nop 1
	v_cndmask_b32_e64 v23, v23, v18, s[0:1]
; %bb.872:                              ;   in Loop: Header=BB350_424 Depth=1
	s_or_b64 exec, exec, s[6:7]
	v_bfe_u32 v18, v7, 8, 8
	v_cvt_f32_fp8_sdwa v18, v18 src0_sel:BYTE_0
	s_nop 0
	v_mul_f32_e32 v30, v19, v18
	v_and_b32_e32 v18, 0x7f800000, v30
	v_cmp_ne_u32_e64 s[0:1], s8, v18
                                        ; implicit-def: $vgpr18
	s_and_saveexec_b64 s[6:7], s[0:1]
	s_xor_b64 s[0:1], exec, s[6:7]
; %bb.873:                              ;   in Loop: Header=BB350_424 Depth=1
	v_bfe_u32 v18, v30, 16, 1
	v_add3_u32 v18, v30, v18, s9
                                        ; implicit-def: $vgpr30
; %bb.874:                              ;   in Loop: Header=BB350_424 Depth=1
	s_andn2_saveexec_b64 s[6:7], s[0:1]
; %bb.875:                              ;   in Loop: Header=BB350_424 Depth=1
	v_or_b32_e32 v18, 0x10000, v30
	v_cmp_eq_u32_sdwa s[0:1], v30, v29 src0_sel:WORD_0 src1_sel:DWORD
	s_nop 1
	v_cndmask_b32_e64 v18, v18, v30, s[0:1]
; %bb.876:                              ;   in Loop: Header=BB350_424 Depth=1
	s_or_b64 exec, exec, s[6:7]
	v_bfe_u32 v30, v7, 16, 8
	v_cvt_f32_fp8_sdwa v30, v30 src0_sel:BYTE_0
	s_nop 0
	v_mul_f32_e32 v30, v19, v30
	v_and_b32_e32 v31, 0x7f800000, v30
	v_cmp_ne_u32_e64 s[0:1], s8, v31
                                        ; implicit-def: $vgpr31
	s_and_saveexec_b64 s[6:7], s[0:1]
	s_xor_b64 s[0:1], exec, s[6:7]
; %bb.877:                              ;   in Loop: Header=BB350_424 Depth=1
	v_bfe_u32 v31, v30, 16, 1
	v_add3_u32 v31, v30, v31, s9
                                        ; implicit-def: $vgpr30
; %bb.878:                              ;   in Loop: Header=BB350_424 Depth=1
	s_andn2_saveexec_b64 s[6:7], s[0:1]
; %bb.879:                              ;   in Loop: Header=BB350_424 Depth=1
	v_or_b32_e32 v31, 0x10000, v30
	v_cmp_eq_u32_sdwa s[0:1], v30, v29 src0_sel:WORD_0 src1_sel:DWORD
	s_nop 1
	v_cndmask_b32_e64 v31, v31, v30, s[0:1]
; %bb.880:                              ;   in Loop: Header=BB350_424 Depth=1
	s_or_b64 exec, exec, s[6:7]
	v_lshrrev_b32_e32 v7, 24, v7
	v_cvt_f32_fp8_sdwa v7, v7 src0_sel:BYTE_0
                                        ; implicit-def: $vgpr32
	s_nop 0
	v_mul_f32_e32 v7, v19, v7
	v_and_b32_e32 v30, 0x7f800000, v7
	v_cmp_ne_u32_e64 s[0:1], s8, v30
	s_and_saveexec_b64 s[6:7], s[0:1]
	s_xor_b64 s[0:1], exec, s[6:7]
; %bb.881:                              ;   in Loop: Header=BB350_424 Depth=1
	v_bfe_u32 v30, v7, 16, 1
	v_add3_u32 v32, v7, v30, s9
                                        ; implicit-def: $vgpr7
; %bb.882:                              ;   in Loop: Header=BB350_424 Depth=1
	s_andn2_saveexec_b64 s[6:7], s[0:1]
; %bb.883:                              ;   in Loop: Header=BB350_424 Depth=1
	v_or_b32_e32 v30, 0x10000, v7
	v_cmp_eq_u32_sdwa s[0:1], v7, v29 src0_sel:WORD_0 src1_sel:DWORD
	s_nop 1
	v_cndmask_b32_e64 v32, v30, v7, s[0:1]
; %bb.884:                              ;   in Loop: Header=BB350_424 Depth=1
	s_or_b64 exec, exec, s[6:7]
	v_lshrrev_b32_e32 v18, 16, v18
	v_lshrrev_b32_e32 v23, 16, v23
	;; [unrolled: 1-line block ×8, first 2 shown]
	s_and_saveexec_b64 s[6:7], vcc
	s_cbranch_execz .LBB350_886
; %bb.885:                              ;   in Loop: Header=BB350_424 Depth=1
	v_accvgpr_read_b32 v31, a29
	v_cmp_lt_i32_e64 s[0:1], v31, v39
	v_accvgpr_read_b32 v31, a35
	s_nop 0
	v_cndmask_b32_e64 v8, 0, v8, s[0:1]
	v_cmp_lt_i32_e64 s[0:1], v31, v39
	v_accvgpr_read_b32 v31, a34
	s_nop 0
	v_cndmask_b32_e64 v9, 0, v9, s[0:1]
	;; [unrolled: 4-line block ×6, first 2 shown]
	v_cmp_lt_i32_e64 s[0:1], v31, v39
	s_nop 1
	v_cndmask_b32_e64 v7, 0, v7, s[0:1]
	v_cmp_lt_i32_e64 s[0:1], v55, v39
	s_nop 1
	v_cndmask_b32_e64 v6, 0, v6, s[0:1]
.LBB350_886:                            ;   in Loop: Header=BB350_424 Depth=1
	s_or_b64 exec, exec, s[6:7]
	v_lshlrev_b32_e32 v8, 16, v8
	v_mul_f32_e32 v8, v62, v8
	v_and_b32_e32 v31, 0x7f800000, v8
	v_cmp_ne_u32_e64 s[0:1], s8, v31
                                        ; implicit-def: $agpr15
	s_and_saveexec_b64 s[6:7], s[0:1]
	s_xor_b64 s[0:1], exec, s[6:7]
; %bb.887:                              ;   in Loop: Header=BB350_424 Depth=1
	v_bfe_u32 v31, v8, 16, 1
	v_add3_u32 v8, v8, v31, s9
	v_accvgpr_write_b32 a15, v8
                                        ; implicit-def: $vgpr8
; %bb.888:                              ;   in Loop: Header=BB350_424 Depth=1
	s_andn2_saveexec_b64 s[6:7], s[0:1]
; %bb.889:                              ;   in Loop: Header=BB350_424 Depth=1
	v_or_b32_e32 v31, 0x10000, v8
	v_cmp_eq_u32_sdwa s[0:1], v8, v29 src0_sel:WORD_0 src1_sel:DWORD
	s_nop 1
	v_cndmask_b32_e64 v8, v31, v8, s[0:1]
	v_accvgpr_write_b32 a15, v8
; %bb.890:                              ;   in Loop: Header=BB350_424 Depth=1
	s_or_b64 exec, exec, s[6:7]
	v_lshlrev_b32_e32 v8, 16, v9
	v_mul_f32_e32 v8, v50, v8
	v_and_b32_e32 v9, 0x7f800000, v8
	v_cmp_ne_u32_e64 s[0:1], s8, v9
                                        ; implicit-def: $agpr16
	s_and_saveexec_b64 s[6:7], s[0:1]
	s_xor_b64 s[0:1], exec, s[6:7]
; %bb.891:                              ;   in Loop: Header=BB350_424 Depth=1
	v_bfe_u32 v9, v8, 16, 1
	v_add3_u32 v8, v8, v9, s9
	v_accvgpr_write_b32 a16, v8
                                        ; implicit-def: $vgpr8
; %bb.892:                              ;   in Loop: Header=BB350_424 Depth=1
	s_andn2_saveexec_b64 s[6:7], s[0:1]
; %bb.893:                              ;   in Loop: Header=BB350_424 Depth=1
	v_or_b32_e32 v9, 0x10000, v8
	v_cmp_eq_u32_sdwa s[0:1], v8, v29 src0_sel:WORD_0 src1_sel:DWORD
	s_nop 1
	v_cndmask_b32_e64 v8, v9, v8, s[0:1]
	v_accvgpr_write_b32 a16, v8
; %bb.894:                              ;   in Loop: Header=BB350_424 Depth=1
	s_or_b64 exec, exec, s[6:7]
	v_lshlrev_b32_e32 v8, 16, v22
	v_mul_f32_e32 v8, v51, v8
	v_and_b32_e32 v9, 0x7f800000, v8
	v_cmp_ne_u32_e64 s[0:1], s8, v9
                                        ; implicit-def: $agpr17
	s_and_saveexec_b64 s[6:7], s[0:1]
	s_xor_b64 s[0:1], exec, s[6:7]
; %bb.895:                              ;   in Loop: Header=BB350_424 Depth=1
	v_bfe_u32 v9, v8, 16, 1
	v_add3_u32 v8, v8, v9, s9
	v_accvgpr_write_b32 a17, v8
                                        ; implicit-def: $vgpr8
; %bb.896:                              ;   in Loop: Header=BB350_424 Depth=1
	s_andn2_saveexec_b64 s[6:7], s[0:1]
; %bb.897:                              ;   in Loop: Header=BB350_424 Depth=1
	v_or_b32_e32 v9, 0x10000, v8
	v_cmp_eq_u32_sdwa s[0:1], v8, v29 src0_sel:WORD_0 src1_sel:DWORD
	s_nop 1
	v_cndmask_b32_e64 v8, v9, v8, s[0:1]
	v_accvgpr_write_b32 a17, v8
; %bb.898:                              ;   in Loop: Header=BB350_424 Depth=1
	s_or_b64 exec, exec, s[6:7]
	v_lshlrev_b32_e32 v8, 16, v30
	v_mul_f32_e32 v8, v1, v8
	v_and_b32_e32 v9, 0x7f800000, v8
	v_cmp_ne_u32_e64 s[0:1], s8, v9
                                        ; implicit-def: $agpr18
	s_and_saveexec_b64 s[6:7], s[0:1]
	s_xor_b64 s[0:1], exec, s[6:7]
; %bb.899:                              ;   in Loop: Header=BB350_424 Depth=1
	v_bfe_u32 v9, v8, 16, 1
	v_add3_u32 v8, v8, v9, s9
	v_accvgpr_write_b32 a18, v8
                                        ; implicit-def: $vgpr8
; %bb.900:                              ;   in Loop: Header=BB350_424 Depth=1
	s_andn2_saveexec_b64 s[6:7], s[0:1]
; %bb.901:                              ;   in Loop: Header=BB350_424 Depth=1
	v_or_b32_e32 v9, 0x10000, v8
	v_cmp_eq_u32_sdwa s[0:1], v8, v29 src0_sel:WORD_0 src1_sel:DWORD
	s_nop 1
	v_cndmask_b32_e64 v8, v9, v8, s[0:1]
	v_accvgpr_write_b32 a18, v8
; %bb.902:                              ;   in Loop: Header=BB350_424 Depth=1
	s_or_b64 exec, exec, s[6:7]
	v_lshlrev_b32_e32 v8, 16, v23
	v_mul_f32_e32 v8, v0, v8
	v_and_b32_e32 v9, 0x7f800000, v8
	v_cmp_ne_u32_e64 s[0:1], s8, v9
                                        ; implicit-def: $agpr19
	s_and_saveexec_b64 s[6:7], s[0:1]
	s_xor_b64 s[0:1], exec, s[6:7]
; %bb.903:                              ;   in Loop: Header=BB350_424 Depth=1
	v_bfe_u32 v9, v8, 16, 1
	v_add3_u32 v8, v8, v9, s9
	v_accvgpr_write_b32 a19, v8
                                        ; implicit-def: $vgpr8
; %bb.904:                              ;   in Loop: Header=BB350_424 Depth=1
	s_andn2_saveexec_b64 s[6:7], s[0:1]
; %bb.905:                              ;   in Loop: Header=BB350_424 Depth=1
	v_or_b32_e32 v9, 0x10000, v8
	v_cmp_eq_u32_sdwa s[0:1], v8, v29 src0_sel:WORD_0 src1_sel:DWORD
	s_nop 1
	v_cndmask_b32_e64 v8, v9, v8, s[0:1]
	v_accvgpr_write_b32 a19, v8
; %bb.906:                              ;   in Loop: Header=BB350_424 Depth=1
	s_or_b64 exec, exec, s[6:7]
	v_lshlrev_b32_e32 v8, 16, v18
	v_mul_f32_e32 v8, v38, v8
	v_and_b32_e32 v9, 0x7f800000, v8
	v_cmp_ne_u32_e64 s[0:1], s8, v9
                                        ; implicit-def: $agpr20
	s_and_saveexec_b64 s[6:7], s[0:1]
	s_xor_b64 s[0:1], exec, s[6:7]
; %bb.907:                              ;   in Loop: Header=BB350_424 Depth=1
	v_bfe_u32 v9, v8, 16, 1
	v_add3_u32 v8, v8, v9, s9
	v_accvgpr_write_b32 a20, v8
                                        ; implicit-def: $vgpr8
; %bb.908:                              ;   in Loop: Header=BB350_424 Depth=1
	s_andn2_saveexec_b64 s[6:7], s[0:1]
; %bb.909:                              ;   in Loop: Header=BB350_424 Depth=1
	v_or_b32_e32 v9, 0x10000, v8
	v_cmp_eq_u32_sdwa s[0:1], v8, v29 src0_sel:WORD_0 src1_sel:DWORD
	s_nop 1
	v_cndmask_b32_e64 v8, v9, v8, s[0:1]
	v_accvgpr_write_b32 a20, v8
; %bb.910:                              ;   in Loop: Header=BB350_424 Depth=1
	s_or_b64 exec, exec, s[6:7]
	v_lshlrev_b32_e32 v7, 16, v7
	v_mul_f32_e32 v7, v52, v7
	v_and_b32_e32 v8, 0x7f800000, v7
	v_cmp_ne_u32_e64 s[0:1], s8, v8
                                        ; implicit-def: $agpr21
	s_and_saveexec_b64 s[6:7], s[0:1]
	s_xor_b64 s[0:1], exec, s[6:7]
; %bb.911:                              ;   in Loop: Header=BB350_424 Depth=1
	v_bfe_u32 v8, v7, 16, 1
	v_add3_u32 v7, v7, v8, s9
	v_accvgpr_write_b32 a21, v7
                                        ; implicit-def: $vgpr7
; %bb.912:                              ;   in Loop: Header=BB350_424 Depth=1
	s_andn2_saveexec_b64 s[6:7], s[0:1]
; %bb.913:                              ;   in Loop: Header=BB350_424 Depth=1
	v_or_b32_e32 v8, 0x10000, v7
	v_cmp_eq_u32_sdwa s[0:1], v7, v29 src0_sel:WORD_0 src1_sel:DWORD
	s_nop 1
	v_cndmask_b32_e64 v7, v8, v7, s[0:1]
	v_accvgpr_write_b32 a21, v7
; %bb.914:                              ;   in Loop: Header=BB350_424 Depth=1
	s_or_b64 exec, exec, s[6:7]
	v_lshlrev_b32_e32 v6, 16, v6
	v_mul_f32_e32 v6, v53, v6
	v_and_b32_e32 v7, 0x7f800000, v6
	v_cmp_ne_u32_e64 s[0:1], s8, v7
                                        ; implicit-def: $agpr4
	s_and_saveexec_b64 s[6:7], s[0:1]
	s_xor_b64 s[0:1], exec, s[6:7]
; %bb.915:                              ;   in Loop: Header=BB350_424 Depth=1
	v_bfe_u32 v7, v6, 16, 1
	v_add3_u32 v6, v6, v7, s9
	v_accvgpr_write_b32 a4, v6
                                        ; implicit-def: $vgpr6
; %bb.916:                              ;   in Loop: Header=BB350_424 Depth=1
	s_andn2_saveexec_b64 s[6:7], s[0:1]
; %bb.917:                              ;   in Loop: Header=BB350_424 Depth=1
	v_or_b32_e32 v7, 0x10000, v6
	v_cmp_eq_u32_sdwa s[0:1], v6, v29 src0_sel:WORD_0 src1_sel:DWORD
	s_nop 1
	v_cndmask_b32_e64 v6, v7, v6, s[0:1]
	v_accvgpr_write_b32 a4, v6
; %bb.918:                              ;   in Loop: Header=BB350_424 Depth=1
	s_or_b64 exec, exec, s[6:7]
	flat_load_dwordx2 v[4:5], v[4:5] offset:3584
	s_waitcnt vmcnt(0) lgkmcnt(0)
	v_and_b32_e32 v6, 0xff, v4
	v_cvt_f32_fp8_sdwa v6, v6 src0_sel:BYTE_0
	s_nop 0
	v_mul_f32_e32 v7, v19, v6
	v_and_b32_e32 v6, 0x7f800000, v7
	v_cmp_ne_u32_e64 s[0:1], s8, v6
                                        ; implicit-def: $vgpr6
	s_and_saveexec_b64 s[6:7], s[0:1]
	s_xor_b64 s[0:1], exec, s[6:7]
; %bb.919:                              ;   in Loop: Header=BB350_424 Depth=1
	v_bfe_u32 v6, v7, 16, 1
	v_add3_u32 v6, v7, v6, s9
                                        ; implicit-def: $vgpr7
; %bb.920:                              ;   in Loop: Header=BB350_424 Depth=1
	s_andn2_saveexec_b64 s[6:7], s[0:1]
; %bb.921:                              ;   in Loop: Header=BB350_424 Depth=1
	v_or_b32_e32 v6, 0x10000, v7
	v_cmp_eq_u32_sdwa s[0:1], v7, v29 src0_sel:WORD_0 src1_sel:DWORD
	s_nop 1
	v_cndmask_b32_e64 v6, v6, v7, s[0:1]
; %bb.922:                              ;   in Loop: Header=BB350_424 Depth=1
	s_or_b64 exec, exec, s[6:7]
	v_bfe_u32 v7, v4, 8, 8
	v_cvt_f32_fp8_sdwa v7, v7 src0_sel:BYTE_0
	s_nop 0
	v_mul_f32_e32 v8, v19, v7
	v_and_b32_e32 v7, 0x7f800000, v8
	v_cmp_ne_u32_e64 s[0:1], s8, v7
                                        ; implicit-def: $vgpr7
	s_and_saveexec_b64 s[6:7], s[0:1]
	s_xor_b64 s[0:1], exec, s[6:7]
; %bb.923:                              ;   in Loop: Header=BB350_424 Depth=1
	v_bfe_u32 v7, v8, 16, 1
	v_add3_u32 v7, v8, v7, s9
                                        ; implicit-def: $vgpr8
; %bb.924:                              ;   in Loop: Header=BB350_424 Depth=1
	s_andn2_saveexec_b64 s[6:7], s[0:1]
; %bb.925:                              ;   in Loop: Header=BB350_424 Depth=1
	v_or_b32_e32 v7, 0x10000, v8
	v_cmp_eq_u32_sdwa s[0:1], v8, v29 src0_sel:WORD_0 src1_sel:DWORD
	s_nop 1
	v_cndmask_b32_e64 v7, v7, v8, s[0:1]
; %bb.926:                              ;   in Loop: Header=BB350_424 Depth=1
	s_or_b64 exec, exec, s[6:7]
	v_bfe_u32 v8, v4, 16, 8
	v_cvt_f32_fp8_sdwa v8, v8 src0_sel:BYTE_0
	s_nop 0
	v_mul_f32_e32 v8, v19, v8
	v_and_b32_e32 v9, 0x7f800000, v8
	v_cmp_ne_u32_e64 s[0:1], s8, v9
                                        ; implicit-def: $vgpr9
	s_and_saveexec_b64 s[6:7], s[0:1]
	s_xor_b64 s[0:1], exec, s[6:7]
; %bb.927:                              ;   in Loop: Header=BB350_424 Depth=1
	v_bfe_u32 v9, v8, 16, 1
	v_add3_u32 v9, v8, v9, s9
                                        ; implicit-def: $vgpr8
; %bb.928:                              ;   in Loop: Header=BB350_424 Depth=1
	s_andn2_saveexec_b64 s[6:7], s[0:1]
; %bb.929:                              ;   in Loop: Header=BB350_424 Depth=1
	v_or_b32_e32 v9, 0x10000, v8
	v_cmp_eq_u32_sdwa s[0:1], v8, v29 src0_sel:WORD_0 src1_sel:DWORD
	s_nop 1
	v_cndmask_b32_e64 v9, v9, v8, s[0:1]
; %bb.930:                              ;   in Loop: Header=BB350_424 Depth=1
	s_or_b64 exec, exec, s[6:7]
	v_lshrrev_b32_e32 v4, 24, v4
	v_cvt_f32_fp8_sdwa v4, v4 src0_sel:BYTE_0
	s_nop 0
	v_mul_f32_e32 v8, v19, v4
	v_and_b32_e32 v4, 0x7f800000, v8
	v_cmp_ne_u32_e64 s[0:1], s8, v4
                                        ; implicit-def: $vgpr4
	s_and_saveexec_b64 s[6:7], s[0:1]
	s_xor_b64 s[0:1], exec, s[6:7]
; %bb.931:                              ;   in Loop: Header=BB350_424 Depth=1
	v_bfe_u32 v4, v8, 16, 1
	v_add3_u32 v4, v8, v4, s9
                                        ; implicit-def: $vgpr8
; %bb.932:                              ;   in Loop: Header=BB350_424 Depth=1
	s_andn2_saveexec_b64 s[6:7], s[0:1]
; %bb.933:                              ;   in Loop: Header=BB350_424 Depth=1
	v_or_b32_e32 v4, 0x10000, v8
	v_cmp_eq_u32_sdwa s[0:1], v8, v29 src0_sel:WORD_0 src1_sel:DWORD
	s_nop 1
	v_cndmask_b32_e64 v4, v4, v8, s[0:1]
; %bb.934:                              ;   in Loop: Header=BB350_424 Depth=1
	s_or_b64 exec, exec, s[6:7]
	v_and_b32_e32 v8, 0xff, v5
	v_cvt_f32_fp8_sdwa v8, v8 src0_sel:BYTE_0
	s_nop 0
	v_mul_f32_e32 v8, v19, v8
	v_and_b32_e32 v18, 0x7f800000, v8
	v_cmp_ne_u32_e64 s[0:1], s8, v18
                                        ; implicit-def: $vgpr18
	s_and_saveexec_b64 s[6:7], s[0:1]
	s_xor_b64 s[0:1], exec, s[6:7]
; %bb.935:                              ;   in Loop: Header=BB350_424 Depth=1
	v_bfe_u32 v18, v8, 16, 1
	v_add3_u32 v18, v8, v18, s9
                                        ; implicit-def: $vgpr8
; %bb.936:                              ;   in Loop: Header=BB350_424 Depth=1
	s_andn2_saveexec_b64 s[6:7], s[0:1]
; %bb.937:                              ;   in Loop: Header=BB350_424 Depth=1
	v_or_b32_e32 v18, 0x10000, v8
	v_cmp_eq_u32_sdwa s[0:1], v8, v29 src0_sel:WORD_0 src1_sel:DWORD
	s_nop 1
	v_cndmask_b32_e64 v18, v18, v8, s[0:1]
; %bb.938:                              ;   in Loop: Header=BB350_424 Depth=1
	s_or_b64 exec, exec, s[6:7]
	v_bfe_u32 v8, v5, 8, 8
	v_cvt_f32_fp8_sdwa v8, v8 src0_sel:BYTE_0
	s_nop 0
	v_mul_f32_e32 v22, v19, v8
	v_and_b32_e32 v8, 0x7f800000, v22
	v_cmp_ne_u32_e64 s[0:1], s8, v8
                                        ; implicit-def: $vgpr8
	s_and_saveexec_b64 s[6:7], s[0:1]
	s_xor_b64 s[0:1], exec, s[6:7]
; %bb.939:                              ;   in Loop: Header=BB350_424 Depth=1
	v_bfe_u32 v8, v22, 16, 1
	v_add3_u32 v8, v22, v8, s9
                                        ; implicit-def: $vgpr22
; %bb.940:                              ;   in Loop: Header=BB350_424 Depth=1
	s_andn2_saveexec_b64 s[6:7], s[0:1]
; %bb.941:                              ;   in Loop: Header=BB350_424 Depth=1
	v_or_b32_e32 v8, 0x10000, v22
	v_cmp_eq_u32_sdwa s[0:1], v22, v29 src0_sel:WORD_0 src1_sel:DWORD
	s_nop 1
	v_cndmask_b32_e64 v8, v8, v22, s[0:1]
; %bb.942:                              ;   in Loop: Header=BB350_424 Depth=1
	s_or_b64 exec, exec, s[6:7]
	v_bfe_u32 v22, v5, 16, 8
	v_cvt_f32_fp8_sdwa v22, v22 src0_sel:BYTE_0
	s_nop 0
	v_mul_f32_e32 v22, v19, v22
	v_and_b32_e32 v23, 0x7f800000, v22
	v_cmp_ne_u32_e64 s[0:1], s8, v23
                                        ; implicit-def: $vgpr23
	s_and_saveexec_b64 s[6:7], s[0:1]
	s_xor_b64 s[0:1], exec, s[6:7]
; %bb.943:                              ;   in Loop: Header=BB350_424 Depth=1
	v_bfe_u32 v23, v22, 16, 1
	v_add3_u32 v23, v22, v23, s9
                                        ; implicit-def: $vgpr22
; %bb.944:                              ;   in Loop: Header=BB350_424 Depth=1
	s_andn2_saveexec_b64 s[6:7], s[0:1]
; %bb.945:                              ;   in Loop: Header=BB350_424 Depth=1
	v_or_b32_e32 v23, 0x10000, v22
	v_cmp_eq_u32_sdwa s[0:1], v22, v29 src0_sel:WORD_0 src1_sel:DWORD
	s_nop 1
	v_cndmask_b32_e64 v23, v23, v22, s[0:1]
; %bb.946:                              ;   in Loop: Header=BB350_424 Depth=1
	s_or_b64 exec, exec, s[6:7]
	v_lshrrev_b32_e32 v5, 24, v5
	v_cvt_f32_fp8_sdwa v5, v5 src0_sel:BYTE_0
                                        ; implicit-def: $vgpr30
	s_nop 0
	v_mul_f32_e32 v5, v19, v5
	v_and_b32_e32 v22, 0x7f800000, v5
	v_cmp_ne_u32_e64 s[0:1], s8, v22
	s_and_saveexec_b64 s[6:7], s[0:1]
	s_xor_b64 s[0:1], exec, s[6:7]
; %bb.947:                              ;   in Loop: Header=BB350_424 Depth=1
	v_bfe_u32 v22, v5, 16, 1
	v_add3_u32 v30, v5, v22, s9
                                        ; implicit-def: $vgpr5
; %bb.948:                              ;   in Loop: Header=BB350_424 Depth=1
	s_andn2_saveexec_b64 s[6:7], s[0:1]
; %bb.949:                              ;   in Loop: Header=BB350_424 Depth=1
	v_or_b32_e32 v22, 0x10000, v5
	v_cmp_eq_u32_sdwa s[0:1], v5, v29 src0_sel:WORD_0 src1_sel:DWORD
	s_nop 1
	v_cndmask_b32_e64 v30, v22, v5, s[0:1]
; %bb.950:                              ;   in Loop: Header=BB350_424 Depth=1
	s_or_b64 exec, exec, s[6:7]
	v_lshrrev_b32_e32 v8, 16, v8
	v_lshrrev_b32_e32 v18, 16, v18
	;; [unrolled: 1-line block ×8, first 2 shown]
	s_and_saveexec_b64 s[6:7], vcc
	s_cbranch_execz .LBB350_952
; %bb.951:                              ;   in Loop: Header=BB350_424 Depth=1
	v_accvgpr_read_b32 v23, a29
	v_cmp_lt_i32_e64 s[0:1], v23, v39
	v_accvgpr_read_b32 v23, a35
	s_nop 0
	v_cndmask_b32_e64 v6, 0, v6, s[0:1]
	v_cmp_lt_i32_e64 s[0:1], v23, v39
	v_accvgpr_read_b32 v23, a34
	s_nop 0
	v_cndmask_b32_e64 v7, 0, v7, s[0:1]
	;; [unrolled: 4-line block ×6, first 2 shown]
	v_cmp_lt_i32_e64 s[0:1], v23, v39
	s_nop 1
	v_cndmask_b32_e64 v5, 0, v5, s[0:1]
	v_cmp_lt_i32_e64 s[0:1], v55, v39
	s_nop 1
	v_cndmask_b32_e64 v4, 0, v4, s[0:1]
.LBB350_952:                            ;   in Loop: Header=BB350_424 Depth=1
	s_or_b64 exec, exec, s[6:7]
	v_lshlrev_b32_e32 v6, 16, v6
	v_mul_f32_e32 v6, v62, v6
	v_and_b32_e32 v23, 0x7f800000, v6
	v_cmp_ne_u32_e64 s[0:1], s8, v23
                                        ; implicit-def: $agpr13
	s_and_saveexec_b64 s[6:7], s[0:1]
	s_xor_b64 s[0:1], exec, s[6:7]
; %bb.953:                              ;   in Loop: Header=BB350_424 Depth=1
	v_bfe_u32 v23, v6, 16, 1
	v_add3_u32 v6, v6, v23, s9
	v_accvgpr_write_b32 a13, v6
                                        ; implicit-def: $vgpr6
; %bb.954:                              ;   in Loop: Header=BB350_424 Depth=1
	s_andn2_saveexec_b64 s[6:7], s[0:1]
; %bb.955:                              ;   in Loop: Header=BB350_424 Depth=1
	v_or_b32_e32 v23, 0x10000, v6
	v_cmp_eq_u32_sdwa s[0:1], v6, v29 src0_sel:WORD_0 src1_sel:DWORD
	s_nop 1
	v_cndmask_b32_e64 v6, v23, v6, s[0:1]
	v_accvgpr_write_b32 a13, v6
; %bb.956:                              ;   in Loop: Header=BB350_424 Depth=1
	s_or_b64 exec, exec, s[6:7]
	v_lshlrev_b32_e32 v6, 16, v7
	v_mul_f32_e32 v6, v50, v6
	v_and_b32_e32 v7, 0x7f800000, v6
	v_cmp_ne_u32_e64 s[0:1], s8, v7
                                        ; implicit-def: $agpr22
	s_and_saveexec_b64 s[6:7], s[0:1]
	s_xor_b64 s[0:1], exec, s[6:7]
; %bb.957:                              ;   in Loop: Header=BB350_424 Depth=1
	v_bfe_u32 v7, v6, 16, 1
	v_add3_u32 v6, v6, v7, s9
	v_accvgpr_write_b32 a22, v6
                                        ; implicit-def: $vgpr6
; %bb.958:                              ;   in Loop: Header=BB350_424 Depth=1
	s_andn2_saveexec_b64 s[6:7], s[0:1]
; %bb.959:                              ;   in Loop: Header=BB350_424 Depth=1
	v_or_b32_e32 v7, 0x10000, v6
	v_cmp_eq_u32_sdwa s[0:1], v6, v29 src0_sel:WORD_0 src1_sel:DWORD
	s_nop 1
	v_cndmask_b32_e64 v6, v7, v6, s[0:1]
	v_accvgpr_write_b32 a22, v6
; %bb.960:                              ;   in Loop: Header=BB350_424 Depth=1
	s_or_b64 exec, exec, s[6:7]
	v_lshlrev_b32_e32 v6, 16, v9
	v_mul_f32_e32 v6, v51, v6
	v_and_b32_e32 v7, 0x7f800000, v6
	v_cmp_ne_u32_e64 s[0:1], s8, v7
                                        ; implicit-def: $agpr23
	s_and_saveexec_b64 s[6:7], s[0:1]
	s_xor_b64 s[0:1], exec, s[6:7]
; %bb.961:                              ;   in Loop: Header=BB350_424 Depth=1
	v_bfe_u32 v7, v6, 16, 1
	v_add3_u32 v6, v6, v7, s9
	v_accvgpr_write_b32 a23, v6
                                        ; implicit-def: $vgpr6
; %bb.962:                              ;   in Loop: Header=BB350_424 Depth=1
	s_andn2_saveexec_b64 s[6:7], s[0:1]
; %bb.963:                              ;   in Loop: Header=BB350_424 Depth=1
	v_or_b32_e32 v7, 0x10000, v6
	v_cmp_eq_u32_sdwa s[0:1], v6, v29 src0_sel:WORD_0 src1_sel:DWORD
	s_nop 1
	v_cndmask_b32_e64 v6, v7, v6, s[0:1]
	v_accvgpr_write_b32 a23, v6
; %bb.964:                              ;   in Loop: Header=BB350_424 Depth=1
	s_or_b64 exec, exec, s[6:7]
	v_lshlrev_b32_e32 v6, 16, v22
	v_mul_f32_e32 v6, v1, v6
	v_and_b32_e32 v7, 0x7f800000, v6
	v_cmp_ne_u32_e64 s[0:1], s8, v7
                                        ; implicit-def: $agpr24
	s_and_saveexec_b64 s[6:7], s[0:1]
	s_xor_b64 s[0:1], exec, s[6:7]
; %bb.965:                              ;   in Loop: Header=BB350_424 Depth=1
	v_bfe_u32 v7, v6, 16, 1
	v_add3_u32 v6, v6, v7, s9
	v_accvgpr_write_b32 a24, v6
                                        ; implicit-def: $vgpr6
; %bb.966:                              ;   in Loop: Header=BB350_424 Depth=1
	s_andn2_saveexec_b64 s[6:7], s[0:1]
; %bb.967:                              ;   in Loop: Header=BB350_424 Depth=1
	v_or_b32_e32 v7, 0x10000, v6
	v_cmp_eq_u32_sdwa s[0:1], v6, v29 src0_sel:WORD_0 src1_sel:DWORD
	s_nop 1
	v_cndmask_b32_e64 v6, v7, v6, s[0:1]
	v_accvgpr_write_b32 a24, v6
; %bb.968:                              ;   in Loop: Header=BB350_424 Depth=1
	s_or_b64 exec, exec, s[6:7]
	v_lshlrev_b32_e32 v6, 16, v18
	v_mul_f32_e32 v6, v0, v6
	v_and_b32_e32 v7, 0x7f800000, v6
	v_cmp_ne_u32_e64 s[0:1], s8, v7
                                        ; implicit-def: $agpr25
	s_and_saveexec_b64 s[6:7], s[0:1]
	s_xor_b64 s[0:1], exec, s[6:7]
; %bb.969:                              ;   in Loop: Header=BB350_424 Depth=1
	v_bfe_u32 v7, v6, 16, 1
	v_add3_u32 v6, v6, v7, s9
	v_accvgpr_write_b32 a25, v6
                                        ; implicit-def: $vgpr6
; %bb.970:                              ;   in Loop: Header=BB350_424 Depth=1
	s_andn2_saveexec_b64 s[6:7], s[0:1]
; %bb.971:                              ;   in Loop: Header=BB350_424 Depth=1
	v_or_b32_e32 v7, 0x10000, v6
	v_cmp_eq_u32_sdwa s[0:1], v6, v29 src0_sel:WORD_0 src1_sel:DWORD
	s_nop 1
	v_cndmask_b32_e64 v6, v7, v6, s[0:1]
	v_accvgpr_write_b32 a25, v6
; %bb.972:                              ;   in Loop: Header=BB350_424 Depth=1
	s_or_b64 exec, exec, s[6:7]
	v_lshlrev_b32_e32 v6, 16, v8
	v_mul_f32_e32 v6, v38, v6
	v_and_b32_e32 v7, 0x7f800000, v6
	v_cmp_ne_u32_e64 s[0:1], s8, v7
                                        ; implicit-def: $agpr26
	s_and_saveexec_b64 s[6:7], s[0:1]
	s_xor_b64 s[0:1], exec, s[6:7]
; %bb.973:                              ;   in Loop: Header=BB350_424 Depth=1
	v_bfe_u32 v7, v6, 16, 1
	v_add3_u32 v6, v6, v7, s9
	v_accvgpr_write_b32 a26, v6
                                        ; implicit-def: $vgpr6
; %bb.974:                              ;   in Loop: Header=BB350_424 Depth=1
	s_andn2_saveexec_b64 s[6:7], s[0:1]
; %bb.975:                              ;   in Loop: Header=BB350_424 Depth=1
	v_or_b32_e32 v7, 0x10000, v6
	v_cmp_eq_u32_sdwa s[0:1], v6, v29 src0_sel:WORD_0 src1_sel:DWORD
	s_nop 1
	v_cndmask_b32_e64 v6, v7, v6, s[0:1]
	v_accvgpr_write_b32 a26, v6
; %bb.976:                              ;   in Loop: Header=BB350_424 Depth=1
	s_or_b64 exec, exec, s[6:7]
	v_lshlrev_b32_e32 v5, 16, v5
	v_mul_f32_e32 v5, v52, v5
	v_and_b32_e32 v6, 0x7f800000, v5
	v_cmp_ne_u32_e64 s[0:1], s8, v6
                                        ; implicit-def: $agpr27
	s_and_saveexec_b64 s[6:7], s[0:1]
	s_xor_b64 s[0:1], exec, s[6:7]
; %bb.977:                              ;   in Loop: Header=BB350_424 Depth=1
	v_bfe_u32 v6, v5, 16, 1
	v_add3_u32 v5, v5, v6, s9
	v_accvgpr_write_b32 a27, v5
                                        ; implicit-def: $vgpr5
; %bb.978:                              ;   in Loop: Header=BB350_424 Depth=1
	s_andn2_saveexec_b64 s[6:7], s[0:1]
; %bb.979:                              ;   in Loop: Header=BB350_424 Depth=1
	v_or_b32_e32 v6, 0x10000, v5
	v_cmp_eq_u32_sdwa s[0:1], v5, v29 src0_sel:WORD_0 src1_sel:DWORD
	s_nop 1
	v_cndmask_b32_e64 v5, v6, v5, s[0:1]
	v_accvgpr_write_b32 a27, v5
; %bb.980:                              ;   in Loop: Header=BB350_424 Depth=1
	s_or_b64 exec, exec, s[6:7]
	v_lshlrev_b32_e32 v4, 16, v4
	v_mul_f32_e32 v4, v53, v4
	v_and_b32_e32 v5, 0x7f800000, v4
	v_cmp_ne_u32_e64 s[0:1], s8, v5
                                        ; implicit-def: $vgpr37
	s_and_saveexec_b64 s[6:7], s[0:1]
	s_xor_b64 s[0:1], exec, s[6:7]
; %bb.981:                              ;   in Loop: Header=BB350_424 Depth=1
	v_bfe_u32 v5, v4, 16, 1
	v_add3_u32 v37, v4, v5, s9
                                        ; implicit-def: $vgpr4
; %bb.982:                              ;   in Loop: Header=BB350_424 Depth=1
	s_andn2_saveexec_b64 s[6:7], s[0:1]
; %bb.983:                              ;   in Loop: Header=BB350_424 Depth=1
	v_or_b32_e32 v5, 0x10000, v4
	v_cmp_eq_u32_sdwa s[0:1], v4, v29 src0_sel:WORD_0 src1_sel:DWORD
	s_nop 1
	v_cndmask_b32_e64 v37, v5, v4, s[0:1]
; %bb.984:                              ;   in Loop: Header=BB350_424 Depth=1
	s_or_b64 exec, exec, s[6:7]
	scratch_load_dwordx2 v[4:5], off, s32 offset:240 ; 8-byte Folded Reload
	s_waitcnt vmcnt(0)
	v_lshl_add_u64 v[4:5], v[2:3], 0, v[4:5]
	flat_load_dwordx2 v[4:5], v[4:5]
	s_waitcnt vmcnt(0) lgkmcnt(0)
	v_and_b32_e32 v6, 0xff, v4
	v_cvt_f32_fp8_sdwa v6, v6 src0_sel:BYTE_0
	s_nop 0
	v_mul_f32_e32 v7, v19, v6
	v_and_b32_e32 v6, 0x7f800000, v7
	v_cmp_ne_u32_e64 s[0:1], s8, v6
                                        ; implicit-def: $vgpr6
	s_and_saveexec_b64 s[6:7], s[0:1]
	s_xor_b64 s[0:1], exec, s[6:7]
; %bb.985:                              ;   in Loop: Header=BB350_424 Depth=1
	v_bfe_u32 v6, v7, 16, 1
	v_add3_u32 v6, v7, v6, s9
                                        ; implicit-def: $vgpr7
; %bb.986:                              ;   in Loop: Header=BB350_424 Depth=1
	s_andn2_saveexec_b64 s[6:7], s[0:1]
; %bb.987:                              ;   in Loop: Header=BB350_424 Depth=1
	v_or_b32_e32 v6, 0x10000, v7
	v_cmp_eq_u32_sdwa s[0:1], v7, v29 src0_sel:WORD_0 src1_sel:DWORD
	s_nop 1
	v_cndmask_b32_e64 v6, v6, v7, s[0:1]
; %bb.988:                              ;   in Loop: Header=BB350_424 Depth=1
	s_or_b64 exec, exec, s[6:7]
	v_bfe_u32 v7, v4, 8, 8
	v_cvt_f32_fp8_sdwa v7, v7 src0_sel:BYTE_0
	s_nop 0
	v_mul_f32_e32 v8, v19, v7
	v_and_b32_e32 v7, 0x7f800000, v8
	v_cmp_ne_u32_e64 s[0:1], s8, v7
                                        ; implicit-def: $vgpr7
	s_and_saveexec_b64 s[6:7], s[0:1]
	s_xor_b64 s[0:1], exec, s[6:7]
; %bb.989:                              ;   in Loop: Header=BB350_424 Depth=1
	v_bfe_u32 v7, v8, 16, 1
	v_add3_u32 v7, v8, v7, s9
                                        ; implicit-def: $vgpr8
; %bb.990:                              ;   in Loop: Header=BB350_424 Depth=1
	s_andn2_saveexec_b64 s[6:7], s[0:1]
; %bb.991:                              ;   in Loop: Header=BB350_424 Depth=1
	v_or_b32_e32 v7, 0x10000, v8
	v_cmp_eq_u32_sdwa s[0:1], v8, v29 src0_sel:WORD_0 src1_sel:DWORD
	s_nop 1
	v_cndmask_b32_e64 v7, v7, v8, s[0:1]
; %bb.992:                              ;   in Loop: Header=BB350_424 Depth=1
	s_or_b64 exec, exec, s[6:7]
	v_bfe_u32 v8, v4, 16, 8
	v_cvt_f32_fp8_sdwa v8, v8 src0_sel:BYTE_0
	s_nop 0
	v_mul_f32_e32 v9, v19, v8
	v_and_b32_e32 v8, 0x7f800000, v9
	v_cmp_ne_u32_e64 s[0:1], s8, v8
                                        ; implicit-def: $vgpr8
	s_and_saveexec_b64 s[6:7], s[0:1]
	s_xor_b64 s[0:1], exec, s[6:7]
; %bb.993:                              ;   in Loop: Header=BB350_424 Depth=1
	v_bfe_u32 v8, v9, 16, 1
	v_add3_u32 v8, v9, v8, s9
                                        ; implicit-def: $vgpr9
; %bb.994:                              ;   in Loop: Header=BB350_424 Depth=1
	s_andn2_saveexec_b64 s[6:7], s[0:1]
; %bb.995:                              ;   in Loop: Header=BB350_424 Depth=1
	v_or_b32_e32 v8, 0x10000, v9
	v_cmp_eq_u32_sdwa s[0:1], v9, v29 src0_sel:WORD_0 src1_sel:DWORD
	s_nop 1
	v_cndmask_b32_e64 v8, v8, v9, s[0:1]
; %bb.996:                              ;   in Loop: Header=BB350_424 Depth=1
	s_or_b64 exec, exec, s[6:7]
	v_lshrrev_b32_e32 v4, 24, v4
	v_cvt_f32_fp8_sdwa v4, v4 src0_sel:BYTE_0
	s_nop 0
	v_mul_f32_e32 v9, v19, v4
	v_and_b32_e32 v4, 0x7f800000, v9
	v_cmp_ne_u32_e64 s[0:1], s8, v4
                                        ; implicit-def: $vgpr4
	s_and_saveexec_b64 s[6:7], s[0:1]
	s_xor_b64 s[0:1], exec, s[6:7]
; %bb.997:                              ;   in Loop: Header=BB350_424 Depth=1
	v_bfe_u32 v4, v9, 16, 1
	v_add3_u32 v4, v9, v4, s9
                                        ; implicit-def: $vgpr9
; %bb.998:                              ;   in Loop: Header=BB350_424 Depth=1
	s_andn2_saveexec_b64 s[6:7], s[0:1]
; %bb.999:                              ;   in Loop: Header=BB350_424 Depth=1
	v_or_b32_e32 v4, 0x10000, v9
	v_cmp_eq_u32_sdwa s[0:1], v9, v29 src0_sel:WORD_0 src1_sel:DWORD
	s_nop 1
	v_cndmask_b32_e64 v4, v4, v9, s[0:1]
; %bb.1000:                             ;   in Loop: Header=BB350_424 Depth=1
	s_or_b64 exec, exec, s[6:7]
	v_and_b32_e32 v9, 0xff, v5
	v_cvt_f32_fp8_sdwa v9, v9 src0_sel:BYTE_0
	s_nop 0
	v_mul_f32_e32 v18, v19, v9
	v_and_b32_e32 v9, 0x7f800000, v18
	v_cmp_ne_u32_e64 s[0:1], s8, v9
                                        ; implicit-def: $vgpr9
	s_and_saveexec_b64 s[6:7], s[0:1]
	s_xor_b64 s[0:1], exec, s[6:7]
; %bb.1001:                             ;   in Loop: Header=BB350_424 Depth=1
	v_bfe_u32 v9, v18, 16, 1
	v_add3_u32 v9, v18, v9, s9
                                        ; implicit-def: $vgpr18
; %bb.1002:                             ;   in Loop: Header=BB350_424 Depth=1
	s_andn2_saveexec_b64 s[6:7], s[0:1]
; %bb.1003:                             ;   in Loop: Header=BB350_424 Depth=1
	v_or_b32_e32 v9, 0x10000, v18
	v_cmp_eq_u32_sdwa s[0:1], v18, v29 src0_sel:WORD_0 src1_sel:DWORD
	s_nop 1
	v_cndmask_b32_e64 v9, v9, v18, s[0:1]
; %bb.1004:                             ;   in Loop: Header=BB350_424 Depth=1
	s_or_b64 exec, exec, s[6:7]
	v_bfe_u32 v18, v5, 8, 8
	v_cvt_f32_fp8_sdwa v18, v18 src0_sel:BYTE_0
	s_nop 0
	v_mul_f32_e32 v22, v19, v18
	v_and_b32_e32 v18, 0x7f800000, v22
	v_cmp_ne_u32_e64 s[0:1], s8, v18
                                        ; implicit-def: $vgpr18
	s_and_saveexec_b64 s[6:7], s[0:1]
	s_xor_b64 s[0:1], exec, s[6:7]
; %bb.1005:                             ;   in Loop: Header=BB350_424 Depth=1
	v_bfe_u32 v18, v22, 16, 1
	v_add3_u32 v18, v22, v18, s9
                                        ; implicit-def: $vgpr22
; %bb.1006:                             ;   in Loop: Header=BB350_424 Depth=1
	s_andn2_saveexec_b64 s[6:7], s[0:1]
; %bb.1007:                             ;   in Loop: Header=BB350_424 Depth=1
	v_or_b32_e32 v18, 0x10000, v22
	v_cmp_eq_u32_sdwa s[0:1], v22, v29 src0_sel:WORD_0 src1_sel:DWORD
	s_nop 1
	v_cndmask_b32_e64 v18, v18, v22, s[0:1]
; %bb.1008:                             ;   in Loop: Header=BB350_424 Depth=1
	s_or_b64 exec, exec, s[6:7]
	v_bfe_u32 v22, v5, 16, 8
	v_cvt_f32_fp8_sdwa v22, v22 src0_sel:BYTE_0
                                        ; implicit-def: $vgpr31
	s_nop 0
	v_mul_f32_e32 v22, v19, v22
	v_and_b32_e32 v23, 0x7f800000, v22
	v_cmp_ne_u32_e64 s[0:1], s8, v23
	s_and_saveexec_b64 s[6:7], s[0:1]
	s_xor_b64 s[0:1], exec, s[6:7]
; %bb.1009:                             ;   in Loop: Header=BB350_424 Depth=1
	v_bfe_u32 v23, v22, 16, 1
	v_add3_u32 v31, v22, v23, s9
                                        ; implicit-def: $vgpr22
; %bb.1010:                             ;   in Loop: Header=BB350_424 Depth=1
	s_andn2_saveexec_b64 s[6:7], s[0:1]
; %bb.1011:                             ;   in Loop: Header=BB350_424 Depth=1
	v_or_b32_e32 v23, 0x10000, v22
	v_cmp_eq_u32_sdwa s[0:1], v22, v29 src0_sel:WORD_0 src1_sel:DWORD
	s_nop 1
	v_cndmask_b32_e64 v31, v23, v22, s[0:1]
; %bb.1012:                             ;   in Loop: Header=BB350_424 Depth=1
	s_or_b64 exec, exec, s[6:7]
	v_lshrrev_b32_e32 v5, 24, v5
	v_cvt_f32_fp8_sdwa v5, v5 src0_sel:BYTE_0
                                        ; implicit-def: $vgpr32
	s_nop 0
	v_mul_f32_e32 v5, v19, v5
	v_and_b32_e32 v22, 0x7f800000, v5
	v_cmp_ne_u32_e64 s[0:1], s8, v22
	s_and_saveexec_b64 s[6:7], s[0:1]
	s_xor_b64 s[0:1], exec, s[6:7]
; %bb.1013:                             ;   in Loop: Header=BB350_424 Depth=1
	v_bfe_u32 v22, v5, 16, 1
	v_add3_u32 v32, v5, v22, s9
                                        ; implicit-def: $vgpr5
; %bb.1014:                             ;   in Loop: Header=BB350_424 Depth=1
	s_andn2_saveexec_b64 s[6:7], s[0:1]
; %bb.1015:                             ;   in Loop: Header=BB350_424 Depth=1
	v_or_b32_e32 v22, 0x10000, v5
	v_cmp_eq_u32_sdwa s[0:1], v5, v29 src0_sel:WORD_0 src1_sel:DWORD
	s_nop 1
	v_cndmask_b32_e64 v32, v22, v5, s[0:1]
; %bb.1016:                             ;   in Loop: Header=BB350_424 Depth=1
	s_or_b64 exec, exec, s[6:7]
	v_lshrrev_b32_e32 v22, 16, v18
	v_lshrrev_b32_e32 v23, 16, v9
	;; [unrolled: 1-line block ×8, first 2 shown]
	s_and_saveexec_b64 s[6:7], vcc
	s_cbranch_execz .LBB350_1018
; %bb.1017:                             ;   in Loop: Header=BB350_424 Depth=1
	v_accvgpr_read_b32 v8, a29
	v_cmp_lt_i32_e64 s[0:1], v8, v39
	v_accvgpr_read_b32 v8, a35
	s_nop 0
	v_cndmask_b32_e64 v6, 0, v6, s[0:1]
	v_cmp_lt_i32_e64 s[0:1], v8, v39
	v_accvgpr_read_b32 v8, a34
	s_nop 0
	v_cndmask_b32_e64 v7, 0, v7, s[0:1]
	;; [unrolled: 4-line block ×6, first 2 shown]
	v_cmp_lt_i32_e64 s[0:1], v8, v39
	s_nop 1
	v_cndmask_b32_e64 v5, 0, v5, s[0:1]
	v_cmp_lt_i32_e64 s[0:1], v55, v39
	s_nop 1
	v_cndmask_b32_e64 v4, 0, v4, s[0:1]
.LBB350_1018:                           ;   in Loop: Header=BB350_424 Depth=1
	s_or_b64 exec, exec, s[6:7]
	v_lshlrev_b32_e32 v6, 16, v6
	v_mul_f32_e32 v6, v62, v6
	v_and_b32_e32 v8, 0x7f800000, v6
	v_cmp_ne_u32_e64 s[0:1], s8, v8
                                        ; implicit-def: $vgpr8
	s_and_saveexec_b64 s[6:7], s[0:1]
	s_xor_b64 s[0:1], exec, s[6:7]
; %bb.1019:                             ;   in Loop: Header=BB350_424 Depth=1
	v_bfe_u32 v8, v6, 16, 1
	v_add3_u32 v8, v6, v8, s9
                                        ; implicit-def: $vgpr6
; %bb.1020:                             ;   in Loop: Header=BB350_424 Depth=1
	s_andn2_saveexec_b64 s[6:7], s[0:1]
; %bb.1021:                             ;   in Loop: Header=BB350_424 Depth=1
	v_or_b32_e32 v8, 0x10000, v6
	v_cmp_eq_u32_sdwa s[0:1], v6, v29 src0_sel:WORD_0 src1_sel:DWORD
	s_nop 1
	v_cndmask_b32_e64 v8, v8, v6, s[0:1]
; %bb.1022:                             ;   in Loop: Header=BB350_424 Depth=1
	s_or_b64 exec, exec, s[6:7]
	v_lshlrev_b32_e32 v6, 16, v7
	v_mul_f32_e32 v6, v50, v6
	v_and_b32_e32 v7, 0x7f800000, v6
	v_cmp_ne_u32_e64 s[0:1], s8, v7
                                        ; implicit-def: $vgpr18
	s_and_saveexec_b64 s[6:7], s[0:1]
	s_xor_b64 s[0:1], exec, s[6:7]
; %bb.1023:                             ;   in Loop: Header=BB350_424 Depth=1
	v_bfe_u32 v7, v6, 16, 1
	v_add3_u32 v18, v6, v7, s9
                                        ; implicit-def: $vgpr6
; %bb.1024:                             ;   in Loop: Header=BB350_424 Depth=1
	s_andn2_saveexec_b64 s[6:7], s[0:1]
; %bb.1025:                             ;   in Loop: Header=BB350_424 Depth=1
	v_or_b32_e32 v7, 0x10000, v6
	v_cmp_eq_u32_sdwa s[0:1], v6, v29 src0_sel:WORD_0 src1_sel:DWORD
	s_nop 1
	v_cndmask_b32_e64 v18, v7, v6, s[0:1]
; %bb.1026:                             ;   in Loop: Header=BB350_424 Depth=1
	s_or_b64 exec, exec, s[6:7]
	v_lshlrev_b32_e32 v6, 16, v9
	v_mul_f32_e32 v6, v51, v6
	v_and_b32_e32 v7, 0x7f800000, v6
	v_cmp_ne_u32_e64 s[0:1], s8, v7
                                        ; implicit-def: $vgpr9
	s_and_saveexec_b64 s[6:7], s[0:1]
	s_xor_b64 s[0:1], exec, s[6:7]
; %bb.1027:                             ;   in Loop: Header=BB350_424 Depth=1
	v_bfe_u32 v7, v6, 16, 1
	v_add3_u32 v9, v6, v7, s9
                                        ; implicit-def: $vgpr6
; %bb.1028:                             ;   in Loop: Header=BB350_424 Depth=1
	s_andn2_saveexec_b64 s[6:7], s[0:1]
; %bb.1029:                             ;   in Loop: Header=BB350_424 Depth=1
	v_or_b32_e32 v7, 0x10000, v6
	v_cmp_eq_u32_sdwa s[0:1], v6, v29 src0_sel:WORD_0 src1_sel:DWORD
	s_nop 1
	v_cndmask_b32_e64 v9, v7, v6, s[0:1]
; %bb.1030:                             ;   in Loop: Header=BB350_424 Depth=1
	s_or_b64 exec, exec, s[6:7]
	v_lshlrev_b32_e32 v6, 16, v30
	v_mul_f32_e32 v6, v1, v6
	v_and_b32_e32 v7, 0x7f800000, v6
	v_cmp_ne_u32_e64 s[0:1], s8, v7
                                        ; implicit-def: $vgpr41
	s_and_saveexec_b64 s[6:7], s[0:1]
	s_xor_b64 s[0:1], exec, s[6:7]
; %bb.1031:                             ;   in Loop: Header=BB350_424 Depth=1
	v_bfe_u32 v7, v6, 16, 1
	v_add3_u32 v41, v6, v7, s9
                                        ; implicit-def: $vgpr6
; %bb.1032:                             ;   in Loop: Header=BB350_424 Depth=1
	s_andn2_saveexec_b64 s[6:7], s[0:1]
; %bb.1033:                             ;   in Loop: Header=BB350_424 Depth=1
	v_or_b32_e32 v7, 0x10000, v6
	v_cmp_eq_u32_sdwa s[0:1], v6, v29 src0_sel:WORD_0 src1_sel:DWORD
	s_nop 1
	v_cndmask_b32_e64 v41, v7, v6, s[0:1]
; %bb.1034:                             ;   in Loop: Header=BB350_424 Depth=1
	s_or_b64 exec, exec, s[6:7]
	v_lshlrev_b32_e32 v6, 16, v23
	v_mul_f32_e32 v6, v0, v6
	v_and_b32_e32 v7, 0x7f800000, v6
	v_cmp_ne_u32_e64 s[0:1], s8, v7
                                        ; implicit-def: $vgpr42
	s_and_saveexec_b64 s[6:7], s[0:1]
	s_xor_b64 s[0:1], exec, s[6:7]
; %bb.1035:                             ;   in Loop: Header=BB350_424 Depth=1
	v_bfe_u32 v7, v6, 16, 1
	v_add3_u32 v42, v6, v7, s9
                                        ; implicit-def: $vgpr6
; %bb.1036:                             ;   in Loop: Header=BB350_424 Depth=1
	s_andn2_saveexec_b64 s[6:7], s[0:1]
; %bb.1037:                             ;   in Loop: Header=BB350_424 Depth=1
	v_or_b32_e32 v7, 0x10000, v6
	v_cmp_eq_u32_sdwa s[0:1], v6, v29 src0_sel:WORD_0 src1_sel:DWORD
	s_nop 1
	v_cndmask_b32_e64 v42, v7, v6, s[0:1]
; %bb.1038:                             ;   in Loop: Header=BB350_424 Depth=1
	s_or_b64 exec, exec, s[6:7]
	v_lshlrev_b32_e32 v6, 16, v22
	v_mul_f32_e32 v6, v38, v6
	v_and_b32_e32 v7, 0x7f800000, v6
	v_cmp_ne_u32_e64 s[0:1], s8, v7
                                        ; implicit-def: $vgpr47
	s_and_saveexec_b64 s[6:7], s[0:1]
	s_xor_b64 s[0:1], exec, s[6:7]
; %bb.1039:                             ;   in Loop: Header=BB350_424 Depth=1
	v_bfe_u32 v7, v6, 16, 1
	v_add3_u32 v47, v6, v7, s9
                                        ; implicit-def: $vgpr6
; %bb.1040:                             ;   in Loop: Header=BB350_424 Depth=1
	s_andn2_saveexec_b64 s[6:7], s[0:1]
; %bb.1041:                             ;   in Loop: Header=BB350_424 Depth=1
	v_or_b32_e32 v7, 0x10000, v6
	v_cmp_eq_u32_sdwa s[0:1], v6, v29 src0_sel:WORD_0 src1_sel:DWORD
	s_nop 1
	v_cndmask_b32_e64 v47, v7, v6, s[0:1]
; %bb.1042:                             ;   in Loop: Header=BB350_424 Depth=1
	s_or_b64 exec, exec, s[6:7]
	v_lshlrev_b32_e32 v5, 16, v5
	v_mul_f32_e32 v5, v52, v5
	v_and_b32_e32 v6, 0x7f800000, v5
	v_cmp_ne_u32_e64 s[0:1], s8, v6
                                        ; implicit-def: $vgpr49
	s_and_saveexec_b64 s[6:7], s[0:1]
	s_xor_b64 s[0:1], exec, s[6:7]
; %bb.1043:                             ;   in Loop: Header=BB350_424 Depth=1
	v_bfe_u32 v6, v5, 16, 1
	v_add3_u32 v49, v5, v6, s9
                                        ; implicit-def: $vgpr5
; %bb.1044:                             ;   in Loop: Header=BB350_424 Depth=1
	s_andn2_saveexec_b64 s[6:7], s[0:1]
; %bb.1045:                             ;   in Loop: Header=BB350_424 Depth=1
	v_or_b32_e32 v6, 0x10000, v5
	v_cmp_eq_u32_sdwa s[0:1], v5, v29 src0_sel:WORD_0 src1_sel:DWORD
	s_nop 1
	v_cndmask_b32_e64 v49, v6, v5, s[0:1]
; %bb.1046:                             ;   in Loop: Header=BB350_424 Depth=1
	s_or_b64 exec, exec, s[6:7]
	v_lshlrev_b32_e32 v4, 16, v4
	v_mul_f32_e32 v4, v53, v4
	v_and_b32_e32 v5, 0x7f800000, v4
	v_cmp_ne_u32_e64 s[0:1], s8, v5
                                        ; implicit-def: $vgpr56
	s_and_saveexec_b64 s[6:7], s[0:1]
	s_xor_b64 s[0:1], exec, s[6:7]
; %bb.1047:                             ;   in Loop: Header=BB350_424 Depth=1
	v_bfe_u32 v5, v4, 16, 1
	v_add3_u32 v56, v4, v5, s9
                                        ; implicit-def: $vgpr4
; %bb.1048:                             ;   in Loop: Header=BB350_424 Depth=1
	s_andn2_saveexec_b64 s[6:7], s[0:1]
; %bb.1049:                             ;   in Loop: Header=BB350_424 Depth=1
	v_or_b32_e32 v5, 0x10000, v4
	v_cmp_eq_u32_sdwa s[0:1], v4, v29 src0_sel:WORD_0 src1_sel:DWORD
	s_nop 1
	v_cndmask_b32_e64 v56, v5, v4, s[0:1]
; %bb.1050:                             ;   in Loop: Header=BB350_424 Depth=1
	s_or_b64 exec, exec, s[6:7]
	scratch_load_dwordx2 v[4:5], off, s32 offset:248 ; 8-byte Folded Reload
	s_waitcnt vmcnt(0)
	v_lshl_add_u64 v[4:5], v[2:3], 0, v[4:5]
	flat_load_dwordx2 v[4:5], v[4:5]
	s_waitcnt vmcnt(0) lgkmcnt(0)
	v_and_b32_e32 v6, 0xff, v4
	v_cvt_f32_fp8_sdwa v6, v6 src0_sel:BYTE_0
	s_nop 0
	v_mul_f32_e32 v7, v19, v6
	v_and_b32_e32 v6, 0x7f800000, v7
	v_cmp_ne_u32_e64 s[0:1], s8, v6
                                        ; implicit-def: $vgpr6
	s_and_saveexec_b64 s[6:7], s[0:1]
	s_xor_b64 s[0:1], exec, s[6:7]
; %bb.1051:                             ;   in Loop: Header=BB350_424 Depth=1
	v_bfe_u32 v6, v7, 16, 1
	v_add3_u32 v6, v7, v6, s9
                                        ; implicit-def: $vgpr7
; %bb.1052:                             ;   in Loop: Header=BB350_424 Depth=1
	s_andn2_saveexec_b64 s[6:7], s[0:1]
; %bb.1053:                             ;   in Loop: Header=BB350_424 Depth=1
	v_or_b32_e32 v6, 0x10000, v7
	v_cmp_eq_u32_sdwa s[0:1], v7, v29 src0_sel:WORD_0 src1_sel:DWORD
	s_nop 1
	v_cndmask_b32_e64 v6, v6, v7, s[0:1]
; %bb.1054:                             ;   in Loop: Header=BB350_424 Depth=1
	s_or_b64 exec, exec, s[6:7]
	v_bfe_u32 v7, v4, 8, 8
	v_cvt_f32_fp8_sdwa v7, v7 src0_sel:BYTE_0
	s_nop 0
	v_mul_f32_e32 v22, v19, v7
	v_and_b32_e32 v7, 0x7f800000, v22
	v_cmp_ne_u32_e64 s[0:1], s8, v7
                                        ; implicit-def: $vgpr7
	s_and_saveexec_b64 s[6:7], s[0:1]
	s_xor_b64 s[0:1], exec, s[6:7]
; %bb.1055:                             ;   in Loop: Header=BB350_424 Depth=1
	v_bfe_u32 v7, v22, 16, 1
	v_add3_u32 v7, v22, v7, s9
                                        ; implicit-def: $vgpr22
; %bb.1056:                             ;   in Loop: Header=BB350_424 Depth=1
	s_andn2_saveexec_b64 s[6:7], s[0:1]
; %bb.1057:                             ;   in Loop: Header=BB350_424 Depth=1
	v_or_b32_e32 v7, 0x10000, v22
	v_cmp_eq_u32_sdwa s[0:1], v22, v29 src0_sel:WORD_0 src1_sel:DWORD
	s_nop 1
	v_cndmask_b32_e64 v7, v7, v22, s[0:1]
; %bb.1058:                             ;   in Loop: Header=BB350_424 Depth=1
	s_or_b64 exec, exec, s[6:7]
	v_bfe_u32 v22, v4, 16, 8
	v_cvt_f32_fp8_sdwa v22, v22 src0_sel:BYTE_0
	s_nop 0
	v_mul_f32_e32 v22, v19, v22
	v_and_b32_e32 v23, 0x7f800000, v22
	v_cmp_ne_u32_e64 s[0:1], s8, v23
                                        ; implicit-def: $vgpr23
	s_and_saveexec_b64 s[6:7], s[0:1]
	s_xor_b64 s[0:1], exec, s[6:7]
; %bb.1059:                             ;   in Loop: Header=BB350_424 Depth=1
	v_bfe_u32 v23, v22, 16, 1
	v_add3_u32 v23, v22, v23, s9
                                        ; implicit-def: $vgpr22
; %bb.1060:                             ;   in Loop: Header=BB350_424 Depth=1
	s_andn2_saveexec_b64 s[6:7], s[0:1]
; %bb.1061:                             ;   in Loop: Header=BB350_424 Depth=1
	v_or_b32_e32 v23, 0x10000, v22
	v_cmp_eq_u32_sdwa s[0:1], v22, v29 src0_sel:WORD_0 src1_sel:DWORD
	s_nop 1
	v_cndmask_b32_e64 v23, v23, v22, s[0:1]
; %bb.1062:                             ;   in Loop: Header=BB350_424 Depth=1
	s_or_b64 exec, exec, s[6:7]
	v_lshrrev_b32_e32 v4, 24, v4
	v_cvt_f32_fp8_sdwa v4, v4 src0_sel:BYTE_0
	s_nop 0
	v_mul_f32_e32 v22, v19, v4
	v_and_b32_e32 v4, 0x7f800000, v22
	v_cmp_ne_u32_e64 s[0:1], s8, v4
                                        ; implicit-def: $vgpr4
	s_and_saveexec_b64 s[6:7], s[0:1]
	s_xor_b64 s[0:1], exec, s[6:7]
; %bb.1063:                             ;   in Loop: Header=BB350_424 Depth=1
	v_bfe_u32 v4, v22, 16, 1
	v_add3_u32 v4, v22, v4, s9
                                        ; implicit-def: $vgpr22
; %bb.1064:                             ;   in Loop: Header=BB350_424 Depth=1
	s_andn2_saveexec_b64 s[6:7], s[0:1]
; %bb.1065:                             ;   in Loop: Header=BB350_424 Depth=1
	v_or_b32_e32 v4, 0x10000, v22
	v_cmp_eq_u32_sdwa s[0:1], v22, v29 src0_sel:WORD_0 src1_sel:DWORD
	s_nop 1
	v_cndmask_b32_e64 v4, v4, v22, s[0:1]
; %bb.1066:                             ;   in Loop: Header=BB350_424 Depth=1
	s_or_b64 exec, exec, s[6:7]
	v_and_b32_e32 v22, 0xff, v5
	v_cvt_f32_fp8_sdwa v22, v22 src0_sel:BYTE_0
	s_nop 0
	v_mul_f32_e32 v22, v19, v22
	v_and_b32_e32 v30, 0x7f800000, v22
	v_cmp_ne_u32_e64 s[0:1], s8, v30
                                        ; implicit-def: $vgpr30
	s_and_saveexec_b64 s[6:7], s[0:1]
	s_xor_b64 s[0:1], exec, s[6:7]
; %bb.1067:                             ;   in Loop: Header=BB350_424 Depth=1
	v_bfe_u32 v30, v22, 16, 1
	v_add3_u32 v30, v22, v30, s9
                                        ; implicit-def: $vgpr22
; %bb.1068:                             ;   in Loop: Header=BB350_424 Depth=1
	s_andn2_saveexec_b64 s[6:7], s[0:1]
; %bb.1069:                             ;   in Loop: Header=BB350_424 Depth=1
	v_or_b32_e32 v30, 0x10000, v22
	v_cmp_eq_u32_sdwa s[0:1], v22, v29 src0_sel:WORD_0 src1_sel:DWORD
	s_nop 1
	v_cndmask_b32_e64 v30, v30, v22, s[0:1]
; %bb.1070:                             ;   in Loop: Header=BB350_424 Depth=1
	s_or_b64 exec, exec, s[6:7]
	v_bfe_u32 v22, v5, 8, 8
	v_cvt_f32_fp8_sdwa v22, v22 src0_sel:BYTE_0
	s_nop 0
	v_mul_f32_e32 v31, v19, v22
	v_and_b32_e32 v22, 0x7f800000, v31
	v_cmp_ne_u32_e64 s[0:1], s8, v22
                                        ; implicit-def: $vgpr22
	s_and_saveexec_b64 s[6:7], s[0:1]
	s_xor_b64 s[0:1], exec, s[6:7]
; %bb.1071:                             ;   in Loop: Header=BB350_424 Depth=1
	v_bfe_u32 v22, v31, 16, 1
	v_add3_u32 v22, v31, v22, s9
                                        ; implicit-def: $vgpr31
; %bb.1072:                             ;   in Loop: Header=BB350_424 Depth=1
	s_andn2_saveexec_b64 s[6:7], s[0:1]
; %bb.1073:                             ;   in Loop: Header=BB350_424 Depth=1
	v_or_b32_e32 v22, 0x10000, v31
	v_cmp_eq_u32_sdwa s[0:1], v31, v29 src0_sel:WORD_0 src1_sel:DWORD
	s_nop 1
	v_cndmask_b32_e64 v22, v22, v31, s[0:1]
; %bb.1074:                             ;   in Loop: Header=BB350_424 Depth=1
	s_or_b64 exec, exec, s[6:7]
	v_bfe_u32 v31, v5, 16, 8
	v_cvt_f32_fp8_sdwa v31, v31 src0_sel:BYTE_0
	s_nop 0
	v_mul_f32_e32 v31, v19, v31
	v_and_b32_e32 v32, 0x7f800000, v31
	v_cmp_ne_u32_e64 s[0:1], s8, v32
                                        ; implicit-def: $vgpr32
	s_and_saveexec_b64 s[6:7], s[0:1]
	s_xor_b64 s[0:1], exec, s[6:7]
; %bb.1075:                             ;   in Loop: Header=BB350_424 Depth=1
	v_bfe_u32 v32, v31, 16, 1
	v_add3_u32 v32, v31, v32, s9
                                        ; implicit-def: $vgpr31
; %bb.1076:                             ;   in Loop: Header=BB350_424 Depth=1
	s_andn2_saveexec_b64 s[6:7], s[0:1]
; %bb.1077:                             ;   in Loop: Header=BB350_424 Depth=1
	v_or_b32_e32 v32, 0x10000, v31
	v_cmp_eq_u32_sdwa s[0:1], v31, v29 src0_sel:WORD_0 src1_sel:DWORD
	s_nop 1
	v_cndmask_b32_e64 v32, v32, v31, s[0:1]
; %bb.1078:                             ;   in Loop: Header=BB350_424 Depth=1
	s_or_b64 exec, exec, s[6:7]
	v_lshrrev_b32_e32 v5, 24, v5
	v_cvt_f32_fp8_sdwa v5, v5 src0_sel:BYTE_0
                                        ; implicit-def: $vgpr33
	s_nop 0
	v_mul_f32_e32 v5, v19, v5
	v_and_b32_e32 v31, 0x7f800000, v5
	v_cmp_ne_u32_e64 s[0:1], s8, v31
	s_and_saveexec_b64 s[6:7], s[0:1]
	s_xor_b64 s[0:1], exec, s[6:7]
; %bb.1079:                             ;   in Loop: Header=BB350_424 Depth=1
	v_bfe_u32 v31, v5, 16, 1
	v_add3_u32 v33, v5, v31, s9
                                        ; implicit-def: $vgpr5
; %bb.1080:                             ;   in Loop: Header=BB350_424 Depth=1
	s_andn2_saveexec_b64 s[6:7], s[0:1]
; %bb.1081:                             ;   in Loop: Header=BB350_424 Depth=1
	v_or_b32_e32 v31, 0x10000, v5
	v_cmp_eq_u32_sdwa s[0:1], v5, v29 src0_sel:WORD_0 src1_sel:DWORD
	s_nop 1
	v_cndmask_b32_e64 v33, v31, v5, s[0:1]
; %bb.1082:                             ;   in Loop: Header=BB350_424 Depth=1
	s_or_b64 exec, exec, s[6:7]
	v_lshrrev_b32_e32 v22, 16, v22
	v_lshrrev_b32_e32 v30, 16, v30
	;; [unrolled: 1-line block ×8, first 2 shown]
	s_and_saveexec_b64 s[6:7], vcc
	s_cbranch_execz .LBB350_1084
; %bb.1083:                             ;   in Loop: Header=BB350_424 Depth=1
	v_accvgpr_read_b32 v32, a29
	v_cmp_lt_i32_e64 s[0:1], v32, v39
	v_accvgpr_read_b32 v32, a35
	s_nop 0
	v_cndmask_b32_e64 v6, 0, v6, s[0:1]
	v_cmp_lt_i32_e64 s[0:1], v32, v39
	v_accvgpr_read_b32 v32, a34
	s_nop 0
	v_cndmask_b32_e64 v7, 0, v7, s[0:1]
	;; [unrolled: 4-line block ×6, first 2 shown]
	v_cmp_lt_i32_e64 s[0:1], v32, v39
	s_nop 1
	v_cndmask_b32_e64 v5, 0, v5, s[0:1]
	v_cmp_lt_i32_e64 s[0:1], v55, v39
	s_nop 1
	v_cndmask_b32_e64 v4, 0, v4, s[0:1]
.LBB350_1084:                           ;   in Loop: Header=BB350_424 Depth=1
	s_or_b64 exec, exec, s[6:7]
	v_lshlrev_b32_e32 v6, 16, v6
	v_mul_f32_e32 v6, v62, v6
	v_and_b32_e32 v32, 0x7f800000, v6
	v_cmp_ne_u32_e64 s[0:1], s8, v32
                                        ; implicit-def: $vgpr57
	s_and_saveexec_b64 s[6:7], s[0:1]
	s_xor_b64 s[0:1], exec, s[6:7]
; %bb.1085:                             ;   in Loop: Header=BB350_424 Depth=1
	v_bfe_u32 v32, v6, 16, 1
	v_add3_u32 v57, v6, v32, s9
                                        ; implicit-def: $vgpr6
; %bb.1086:                             ;   in Loop: Header=BB350_424 Depth=1
	s_andn2_saveexec_b64 s[6:7], s[0:1]
; %bb.1087:                             ;   in Loop: Header=BB350_424 Depth=1
	v_or_b32_e32 v32, 0x10000, v6
	v_cmp_eq_u32_sdwa s[0:1], v6, v29 src0_sel:WORD_0 src1_sel:DWORD
	s_nop 1
	v_cndmask_b32_e64 v57, v32, v6, s[0:1]
; %bb.1088:                             ;   in Loop: Header=BB350_424 Depth=1
	s_or_b64 exec, exec, s[6:7]
	v_lshlrev_b32_e32 v6, 16, v7
	v_mul_f32_e32 v6, v50, v6
	v_and_b32_e32 v7, 0x7f800000, v6
	v_cmp_ne_u32_e64 s[0:1], s8, v7
                                        ; implicit-def: $vgpr58
	s_and_saveexec_b64 s[6:7], s[0:1]
	s_xor_b64 s[0:1], exec, s[6:7]
; %bb.1089:                             ;   in Loop: Header=BB350_424 Depth=1
	v_bfe_u32 v7, v6, 16, 1
	v_add3_u32 v58, v6, v7, s9
                                        ; implicit-def: $vgpr6
; %bb.1090:                             ;   in Loop: Header=BB350_424 Depth=1
	s_andn2_saveexec_b64 s[6:7], s[0:1]
; %bb.1091:                             ;   in Loop: Header=BB350_424 Depth=1
	v_or_b32_e32 v7, 0x10000, v6
	v_cmp_eq_u32_sdwa s[0:1], v6, v29 src0_sel:WORD_0 src1_sel:DWORD
	s_nop 1
	v_cndmask_b32_e64 v58, v7, v6, s[0:1]
; %bb.1092:                             ;   in Loop: Header=BB350_424 Depth=1
	s_or_b64 exec, exec, s[6:7]
	v_lshlrev_b32_e32 v6, 16, v23
	v_mul_f32_e32 v6, v51, v6
	v_and_b32_e32 v7, 0x7f800000, v6
	v_cmp_ne_u32_e64 s[0:1], s8, v7
                                        ; implicit-def: $vgpr59
	s_and_saveexec_b64 s[6:7], s[0:1]
	s_xor_b64 s[0:1], exec, s[6:7]
; %bb.1093:                             ;   in Loop: Header=BB350_424 Depth=1
	v_bfe_u32 v7, v6, 16, 1
	v_add3_u32 v59, v6, v7, s9
                                        ; implicit-def: $vgpr6
; %bb.1094:                             ;   in Loop: Header=BB350_424 Depth=1
	s_andn2_saveexec_b64 s[6:7], s[0:1]
; %bb.1095:                             ;   in Loop: Header=BB350_424 Depth=1
	v_or_b32_e32 v7, 0x10000, v6
	v_cmp_eq_u32_sdwa s[0:1], v6, v29 src0_sel:WORD_0 src1_sel:DWORD
	s_nop 1
	v_cndmask_b32_e64 v59, v7, v6, s[0:1]
; %bb.1096:                             ;   in Loop: Header=BB350_424 Depth=1
	s_or_b64 exec, exec, s[6:7]
	v_lshlrev_b32_e32 v6, 16, v31
	v_mul_f32_e32 v6, v1, v6
	v_and_b32_e32 v7, 0x7f800000, v6
	v_cmp_ne_u32_e64 s[0:1], s8, v7
                                        ; implicit-def: $vgpr60
	s_and_saveexec_b64 s[6:7], s[0:1]
	s_xor_b64 s[0:1], exec, s[6:7]
; %bb.1097:                             ;   in Loop: Header=BB350_424 Depth=1
	v_bfe_u32 v7, v6, 16, 1
	v_add3_u32 v60, v6, v7, s9
                                        ; implicit-def: $vgpr6
; %bb.1098:                             ;   in Loop: Header=BB350_424 Depth=1
	s_andn2_saveexec_b64 s[6:7], s[0:1]
; %bb.1099:                             ;   in Loop: Header=BB350_424 Depth=1
	v_or_b32_e32 v7, 0x10000, v6
	v_cmp_eq_u32_sdwa s[0:1], v6, v29 src0_sel:WORD_0 src1_sel:DWORD
	s_nop 1
	v_cndmask_b32_e64 v60, v7, v6, s[0:1]
; %bb.1100:                             ;   in Loop: Header=BB350_424 Depth=1
	s_or_b64 exec, exec, s[6:7]
	v_lshlrev_b32_e32 v6, 16, v30
	v_mul_f32_e32 v6, v0, v6
	v_and_b32_e32 v7, 0x7f800000, v6
	v_cmp_ne_u32_e64 s[0:1], s8, v7
                                        ; implicit-def: $vgpr61
	s_and_saveexec_b64 s[6:7], s[0:1]
	s_xor_b64 s[0:1], exec, s[6:7]
; %bb.1101:                             ;   in Loop: Header=BB350_424 Depth=1
	v_bfe_u32 v7, v6, 16, 1
	v_add3_u32 v61, v6, v7, s9
                                        ; implicit-def: $vgpr6
; %bb.1102:                             ;   in Loop: Header=BB350_424 Depth=1
	s_andn2_saveexec_b64 s[6:7], s[0:1]
; %bb.1103:                             ;   in Loop: Header=BB350_424 Depth=1
	v_or_b32_e32 v7, 0x10000, v6
	v_cmp_eq_u32_sdwa s[0:1], v6, v29 src0_sel:WORD_0 src1_sel:DWORD
	s_nop 1
	v_cndmask_b32_e64 v61, v7, v6, s[0:1]
; %bb.1104:                             ;   in Loop: Header=BB350_424 Depth=1
	s_or_b64 exec, exec, s[6:7]
	v_lshlrev_b32_e32 v6, 16, v22
	v_mul_f32_e32 v6, v38, v6
	v_and_b32_e32 v7, 0x7f800000, v6
	v_cmp_ne_u32_e64 s[0:1], s8, v7
                                        ; implicit-def: $vgpr44
	s_and_saveexec_b64 s[6:7], s[0:1]
	s_xor_b64 s[0:1], exec, s[6:7]
; %bb.1105:                             ;   in Loop: Header=BB350_424 Depth=1
	v_bfe_u32 v7, v6, 16, 1
	v_add3_u32 v44, v6, v7, s9
                                        ; implicit-def: $vgpr6
; %bb.1106:                             ;   in Loop: Header=BB350_424 Depth=1
	s_andn2_saveexec_b64 s[6:7], s[0:1]
; %bb.1107:                             ;   in Loop: Header=BB350_424 Depth=1
	v_or_b32_e32 v7, 0x10000, v6
	v_cmp_eq_u32_sdwa s[0:1], v6, v29 src0_sel:WORD_0 src1_sel:DWORD
	s_nop 1
	v_cndmask_b32_e64 v44, v7, v6, s[0:1]
; %bb.1108:                             ;   in Loop: Header=BB350_424 Depth=1
	s_or_b64 exec, exec, s[6:7]
	v_lshlrev_b32_e32 v5, 16, v5
	v_mul_f32_e32 v5, v52, v5
	v_and_b32_e32 v6, 0x7f800000, v5
	v_cmp_ne_u32_e64 s[0:1], s8, v6
                                        ; implicit-def: $vgpr6
	s_and_saveexec_b64 s[6:7], s[0:1]
	s_xor_b64 s[0:1], exec, s[6:7]
; %bb.1109:                             ;   in Loop: Header=BB350_424 Depth=1
	v_bfe_u32 v6, v5, 16, 1
	v_add3_u32 v6, v5, v6, s9
                                        ; implicit-def: $vgpr5
; %bb.1110:                             ;   in Loop: Header=BB350_424 Depth=1
	s_andn2_saveexec_b64 s[6:7], s[0:1]
; %bb.1111:                             ;   in Loop: Header=BB350_424 Depth=1
	v_or_b32_e32 v6, 0x10000, v5
	v_cmp_eq_u32_sdwa s[0:1], v5, v29 src0_sel:WORD_0 src1_sel:DWORD
	s_nop 1
	v_cndmask_b32_e64 v6, v6, v5, s[0:1]
; %bb.1112:                             ;   in Loop: Header=BB350_424 Depth=1
	s_or_b64 exec, exec, s[6:7]
	v_lshlrev_b32_e32 v4, 16, v4
	v_mul_f32_e32 v4, v53, v4
	v_and_b32_e32 v5, 0x7f800000, v4
	v_cmp_ne_u32_e64 s[0:1], s8, v5
                                        ; implicit-def: $vgpr7
	s_and_saveexec_b64 s[6:7], s[0:1]
	s_xor_b64 s[0:1], exec, s[6:7]
; %bb.1113:                             ;   in Loop: Header=BB350_424 Depth=1
	v_bfe_u32 v5, v4, 16, 1
	v_add3_u32 v7, v4, v5, s9
                                        ; implicit-def: $vgpr4
; %bb.1114:                             ;   in Loop: Header=BB350_424 Depth=1
	s_andn2_saveexec_b64 s[6:7], s[0:1]
; %bb.1115:                             ;   in Loop: Header=BB350_424 Depth=1
	v_or_b32_e32 v5, 0x10000, v4
	v_cmp_eq_u32_sdwa s[0:1], v4, v29 src0_sel:WORD_0 src1_sel:DWORD
	s_nop 1
	v_cndmask_b32_e64 v7, v5, v4, s[0:1]
; %bb.1116:                             ;   in Loop: Header=BB350_424 Depth=1
	s_or_b64 exec, exec, s[6:7]
	scratch_load_dwordx2 v[4:5], off, s32 offset:256 ; 8-byte Folded Reload
	s_waitcnt vmcnt(0)
	v_lshl_add_u64 v[4:5], v[2:3], 0, v[4:5]
	flat_load_dwordx2 v[4:5], v[4:5]
	s_waitcnt vmcnt(0) lgkmcnt(0)
	v_and_b32_e32 v22, 0xff, v4
	v_cvt_f32_fp8_sdwa v22, v22 src0_sel:BYTE_0
	s_nop 0
	v_mul_f32_e32 v23, v19, v22
	v_and_b32_e32 v22, 0x7f800000, v23
	v_cmp_ne_u32_e64 s[0:1], s8, v22
                                        ; implicit-def: $vgpr22
	s_and_saveexec_b64 s[6:7], s[0:1]
	s_xor_b64 s[0:1], exec, s[6:7]
; %bb.1117:                             ;   in Loop: Header=BB350_424 Depth=1
	v_bfe_u32 v22, v23, 16, 1
	v_add3_u32 v22, v23, v22, s9
                                        ; implicit-def: $vgpr23
; %bb.1118:                             ;   in Loop: Header=BB350_424 Depth=1
	s_andn2_saveexec_b64 s[6:7], s[0:1]
; %bb.1119:                             ;   in Loop: Header=BB350_424 Depth=1
	v_or_b32_e32 v22, 0x10000, v23
	v_cmp_eq_u32_sdwa s[0:1], v23, v29 src0_sel:WORD_0 src1_sel:DWORD
	s_nop 1
	v_cndmask_b32_e64 v22, v22, v23, s[0:1]
; %bb.1120:                             ;   in Loop: Header=BB350_424 Depth=1
	s_or_b64 exec, exec, s[6:7]
	v_bfe_u32 v23, v4, 8, 8
	v_cvt_f32_fp8_sdwa v23, v23 src0_sel:BYTE_0
	s_nop 0
	v_mul_f32_e32 v30, v19, v23
	v_and_b32_e32 v23, 0x7f800000, v30
	v_cmp_ne_u32_e64 s[0:1], s8, v23
                                        ; implicit-def: $vgpr23
	s_and_saveexec_b64 s[6:7], s[0:1]
	s_xor_b64 s[0:1], exec, s[6:7]
; %bb.1121:                             ;   in Loop: Header=BB350_424 Depth=1
	v_bfe_u32 v23, v30, 16, 1
	v_add3_u32 v23, v30, v23, s9
                                        ; implicit-def: $vgpr30
; %bb.1122:                             ;   in Loop: Header=BB350_424 Depth=1
	s_andn2_saveexec_b64 s[6:7], s[0:1]
; %bb.1123:                             ;   in Loop: Header=BB350_424 Depth=1
	v_or_b32_e32 v23, 0x10000, v30
	v_cmp_eq_u32_sdwa s[0:1], v30, v29 src0_sel:WORD_0 src1_sel:DWORD
	s_nop 1
	v_cndmask_b32_e64 v23, v23, v30, s[0:1]
; %bb.1124:                             ;   in Loop: Header=BB350_424 Depth=1
	s_or_b64 exec, exec, s[6:7]
	v_bfe_u32 v30, v4, 16, 8
	v_cvt_f32_fp8_sdwa v30, v30 src0_sel:BYTE_0
	s_nop 0
	v_mul_f32_e32 v30, v19, v30
	v_and_b32_e32 v31, 0x7f800000, v30
	v_cmp_ne_u32_e64 s[0:1], s8, v31
                                        ; implicit-def: $vgpr31
	s_and_saveexec_b64 s[6:7], s[0:1]
	s_xor_b64 s[0:1], exec, s[6:7]
; %bb.1125:                             ;   in Loop: Header=BB350_424 Depth=1
	v_bfe_u32 v31, v30, 16, 1
	v_add3_u32 v31, v30, v31, s9
                                        ; implicit-def: $vgpr30
; %bb.1126:                             ;   in Loop: Header=BB350_424 Depth=1
	s_andn2_saveexec_b64 s[6:7], s[0:1]
; %bb.1127:                             ;   in Loop: Header=BB350_424 Depth=1
	v_or_b32_e32 v31, 0x10000, v30
	v_cmp_eq_u32_sdwa s[0:1], v30, v29 src0_sel:WORD_0 src1_sel:DWORD
	s_nop 1
	v_cndmask_b32_e64 v31, v31, v30, s[0:1]
; %bb.1128:                             ;   in Loop: Header=BB350_424 Depth=1
	s_or_b64 exec, exec, s[6:7]
	v_lshrrev_b32_e32 v4, 24, v4
	v_cvt_f32_fp8_sdwa v4, v4 src0_sel:BYTE_0
	s_nop 0
	v_mul_f32_e32 v30, v19, v4
	v_and_b32_e32 v4, 0x7f800000, v30
	v_cmp_ne_u32_e64 s[0:1], s8, v4
                                        ; implicit-def: $vgpr4
	s_and_saveexec_b64 s[6:7], s[0:1]
	s_xor_b64 s[0:1], exec, s[6:7]
; %bb.1129:                             ;   in Loop: Header=BB350_424 Depth=1
	v_bfe_u32 v4, v30, 16, 1
	v_add3_u32 v4, v30, v4, s9
                                        ; implicit-def: $vgpr30
; %bb.1130:                             ;   in Loop: Header=BB350_424 Depth=1
	s_andn2_saveexec_b64 s[6:7], s[0:1]
; %bb.1131:                             ;   in Loop: Header=BB350_424 Depth=1
	v_or_b32_e32 v4, 0x10000, v30
	v_cmp_eq_u32_sdwa s[0:1], v30, v29 src0_sel:WORD_0 src1_sel:DWORD
	s_nop 1
	v_cndmask_b32_e64 v4, v4, v30, s[0:1]
; %bb.1132:                             ;   in Loop: Header=BB350_424 Depth=1
	s_or_b64 exec, exec, s[6:7]
	v_and_b32_e32 v30, 0xff, v5
	v_cvt_f32_fp8_sdwa v30, v30 src0_sel:BYTE_0
	s_nop 0
	v_mul_f32_e32 v30, v19, v30
	v_and_b32_e32 v32, 0x7f800000, v30
	v_cmp_ne_u32_e64 s[0:1], s8, v32
                                        ; implicit-def: $vgpr32
	s_and_saveexec_b64 s[6:7], s[0:1]
	s_xor_b64 s[0:1], exec, s[6:7]
; %bb.1133:                             ;   in Loop: Header=BB350_424 Depth=1
	v_bfe_u32 v32, v30, 16, 1
	v_add3_u32 v32, v30, v32, s9
                                        ; implicit-def: $vgpr30
; %bb.1134:                             ;   in Loop: Header=BB350_424 Depth=1
	s_andn2_saveexec_b64 s[6:7], s[0:1]
; %bb.1135:                             ;   in Loop: Header=BB350_424 Depth=1
	v_or_b32_e32 v32, 0x10000, v30
	v_cmp_eq_u32_sdwa s[0:1], v30, v29 src0_sel:WORD_0 src1_sel:DWORD
	s_nop 1
	v_cndmask_b32_e64 v32, v32, v30, s[0:1]
; %bb.1136:                             ;   in Loop: Header=BB350_424 Depth=1
	s_or_b64 exec, exec, s[6:7]
	v_bfe_u32 v30, v5, 8, 8
	v_cvt_f32_fp8_sdwa v30, v30 src0_sel:BYTE_0
	s_nop 0
	v_mul_f32_e32 v33, v19, v30
	v_and_b32_e32 v30, 0x7f800000, v33
	v_cmp_ne_u32_e64 s[0:1], s8, v30
                                        ; implicit-def: $vgpr30
	s_and_saveexec_b64 s[6:7], s[0:1]
	s_xor_b64 s[0:1], exec, s[6:7]
; %bb.1137:                             ;   in Loop: Header=BB350_424 Depth=1
	v_bfe_u32 v30, v33, 16, 1
	v_add3_u32 v30, v33, v30, s9
                                        ; implicit-def: $vgpr33
; %bb.1138:                             ;   in Loop: Header=BB350_424 Depth=1
	s_andn2_saveexec_b64 s[6:7], s[0:1]
; %bb.1139:                             ;   in Loop: Header=BB350_424 Depth=1
	v_or_b32_e32 v30, 0x10000, v33
	v_cmp_eq_u32_sdwa s[0:1], v33, v29 src0_sel:WORD_0 src1_sel:DWORD
	s_nop 1
	v_cndmask_b32_e64 v30, v30, v33, s[0:1]
; %bb.1140:                             ;   in Loop: Header=BB350_424 Depth=1
	s_or_b64 exec, exec, s[6:7]
	v_bfe_u32 v33, v5, 16, 8
	v_cvt_f32_fp8_sdwa v33, v33 src0_sel:BYTE_0
	s_nop 0
	v_mul_f32_e32 v33, v19, v33
	v_and_b32_e32 v34, 0x7f800000, v33
	v_cmp_ne_u32_e64 s[0:1], s8, v34
                                        ; implicit-def: $vgpr34
	s_and_saveexec_b64 s[6:7], s[0:1]
	s_xor_b64 s[0:1], exec, s[6:7]
; %bb.1141:                             ;   in Loop: Header=BB350_424 Depth=1
	v_bfe_u32 v34, v33, 16, 1
	v_add3_u32 v34, v33, v34, s9
                                        ; implicit-def: $vgpr33
; %bb.1142:                             ;   in Loop: Header=BB350_424 Depth=1
	s_andn2_saveexec_b64 s[6:7], s[0:1]
; %bb.1143:                             ;   in Loop: Header=BB350_424 Depth=1
	v_or_b32_e32 v34, 0x10000, v33
	v_cmp_eq_u32_sdwa s[0:1], v33, v29 src0_sel:WORD_0 src1_sel:DWORD
	s_nop 1
	v_cndmask_b32_e64 v34, v34, v33, s[0:1]
; %bb.1144:                             ;   in Loop: Header=BB350_424 Depth=1
	s_or_b64 exec, exec, s[6:7]
	v_lshrrev_b32_e32 v5, 24, v5
	v_cvt_f32_fp8_sdwa v5, v5 src0_sel:BYTE_0
                                        ; implicit-def: $vgpr35
	s_nop 0
	v_mul_f32_e32 v5, v19, v5
	v_and_b32_e32 v33, 0x7f800000, v5
	v_cmp_ne_u32_e64 s[0:1], s8, v33
	s_and_saveexec_b64 s[6:7], s[0:1]
	s_xor_b64 s[0:1], exec, s[6:7]
; %bb.1145:                             ;   in Loop: Header=BB350_424 Depth=1
	v_bfe_u32 v33, v5, 16, 1
	v_add3_u32 v35, v5, v33, s9
                                        ; implicit-def: $vgpr5
; %bb.1146:                             ;   in Loop: Header=BB350_424 Depth=1
	s_andn2_saveexec_b64 s[6:7], s[0:1]
; %bb.1147:                             ;   in Loop: Header=BB350_424 Depth=1
	v_or_b32_e32 v33, 0x10000, v5
	v_cmp_eq_u32_sdwa s[0:1], v5, v29 src0_sel:WORD_0 src1_sel:DWORD
	s_nop 1
	v_cndmask_b32_e64 v35, v33, v5, s[0:1]
; %bb.1148:                             ;   in Loop: Header=BB350_424 Depth=1
	s_or_b64 exec, exec, s[6:7]
	v_lshrrev_b32_e32 v30, 16, v30
	v_lshrrev_b32_e32 v32, 16, v32
	;; [unrolled: 1-line block ×8, first 2 shown]
	s_and_saveexec_b64 s[6:7], vcc
	s_cbranch_execz .LBB350_1150
; %bb.1149:                             ;   in Loop: Header=BB350_424 Depth=1
	v_accvgpr_read_b32 v34, a29
	v_cmp_lt_i32_e64 s[0:1], v34, v39
	v_accvgpr_read_b32 v34, a35
	s_nop 0
	v_cndmask_b32_e64 v4, 0, v4, s[0:1]
	v_cmp_lt_i32_e64 s[0:1], v34, v39
	v_accvgpr_read_b32 v34, a34
	s_nop 0
	v_cndmask_b32_e64 v5, 0, v5, s[0:1]
	;; [unrolled: 4-line block ×6, first 2 shown]
	v_cmp_lt_i32_e64 s[0:1], v34, v39
	s_nop 1
	v_cndmask_b32_e64 v23, 0, v23, s[0:1]
	v_cmp_lt_i32_e64 s[0:1], v55, v39
	s_nop 1
	v_cndmask_b32_e64 v22, 0, v22, s[0:1]
.LBB350_1150:                           ;   in Loop: Header=BB350_424 Depth=1
	s_or_b64 exec, exec, s[6:7]
	v_lshlrev_b32_e32 v4, 16, v4
	v_mul_f32_e32 v34, v62, v4
	v_and_b32_e32 v4, 0x7f800000, v34
	v_cmp_ne_u32_e64 s[0:1], s8, v4
                                        ; implicit-def: $vgpr4
	s_and_saveexec_b64 s[6:7], s[0:1]
	s_xor_b64 s[0:1], exec, s[6:7]
; %bb.1151:                             ;   in Loop: Header=BB350_424 Depth=1
	v_bfe_u32 v4, v34, 16, 1
	v_add3_u32 v4, v34, v4, s9
                                        ; implicit-def: $vgpr34
; %bb.1152:                             ;   in Loop: Header=BB350_424 Depth=1
	s_andn2_saveexec_b64 s[6:7], s[0:1]
; %bb.1153:                             ;   in Loop: Header=BB350_424 Depth=1
	v_or_b32_e32 v4, 0x10000, v34
	v_cmp_eq_u32_sdwa s[0:1], v34, v29 src0_sel:WORD_0 src1_sel:DWORD
	s_nop 1
	v_cndmask_b32_e64 v4, v4, v34, s[0:1]
; %bb.1154:                             ;   in Loop: Header=BB350_424 Depth=1
	s_or_b64 exec, exec, s[6:7]
	v_lshlrev_b32_e32 v5, 16, v5
	v_mul_f32_e32 v34, v50, v5
	v_and_b32_e32 v5, 0x7f800000, v34
	v_cmp_ne_u32_e64 s[0:1], s8, v5
                                        ; implicit-def: $vgpr5
	s_and_saveexec_b64 s[6:7], s[0:1]
	s_xor_b64 s[0:1], exec, s[6:7]
; %bb.1155:                             ;   in Loop: Header=BB350_424 Depth=1
	v_bfe_u32 v5, v34, 16, 1
	v_add3_u32 v5, v34, v5, s9
                                        ; implicit-def: $vgpr34
; %bb.1156:                             ;   in Loop: Header=BB350_424 Depth=1
	s_andn2_saveexec_b64 s[6:7], s[0:1]
; %bb.1157:                             ;   in Loop: Header=BB350_424 Depth=1
	v_or_b32_e32 v5, 0x10000, v34
	v_cmp_eq_u32_sdwa s[0:1], v34, v29 src0_sel:WORD_0 src1_sel:DWORD
	s_nop 1
	v_cndmask_b32_e64 v5, v5, v34, s[0:1]
; %bb.1158:                             ;   in Loop: Header=BB350_424 Depth=1
	s_or_b64 exec, exec, s[6:7]
	v_lshlrev_b32_e32 v31, 16, v31
	v_mul_f32_e32 v31, v51, v31
	v_and_b32_e32 v34, 0x7f800000, v31
	v_cmp_ne_u32_e64 s[0:1], s8, v34
                                        ; implicit-def: $vgpr43
	s_and_saveexec_b64 s[6:7], s[0:1]
	s_xor_b64 s[0:1], exec, s[6:7]
; %bb.1159:                             ;   in Loop: Header=BB350_424 Depth=1
	v_bfe_u32 v34, v31, 16, 1
	v_add3_u32 v43, v31, v34, s9
                                        ; implicit-def: $vgpr31
; %bb.1160:                             ;   in Loop: Header=BB350_424 Depth=1
	s_andn2_saveexec_b64 s[6:7], s[0:1]
; %bb.1161:                             ;   in Loop: Header=BB350_424 Depth=1
	v_or_b32_e32 v34, 0x10000, v31
	v_cmp_eq_u32_sdwa s[0:1], v31, v29 src0_sel:WORD_0 src1_sel:DWORD
	s_nop 1
	v_cndmask_b32_e64 v43, v34, v31, s[0:1]
; %bb.1162:                             ;   in Loop: Header=BB350_424 Depth=1
	s_or_b64 exec, exec, s[6:7]
	v_lshlrev_b32_e32 v31, 16, v33
	v_mul_f32_e32 v31, v1, v31
	v_and_b32_e32 v33, 0x7f800000, v31
	v_cmp_ne_u32_e64 s[0:1], s8, v33
                                        ; implicit-def: $vgpr45
	s_and_saveexec_b64 s[6:7], s[0:1]
	s_xor_b64 s[0:1], exec, s[6:7]
; %bb.1163:                             ;   in Loop: Header=BB350_424 Depth=1
	v_bfe_u32 v33, v31, 16, 1
	v_add3_u32 v45, v31, v33, s9
                                        ; implicit-def: $vgpr31
; %bb.1164:                             ;   in Loop: Header=BB350_424 Depth=1
	s_andn2_saveexec_b64 s[6:7], s[0:1]
; %bb.1165:                             ;   in Loop: Header=BB350_424 Depth=1
	v_or_b32_e32 v33, 0x10000, v31
	v_cmp_eq_u32_sdwa s[0:1], v31, v29 src0_sel:WORD_0 src1_sel:DWORD
	s_nop 1
	v_cndmask_b32_e64 v45, v33, v31, s[0:1]
; %bb.1166:                             ;   in Loop: Header=BB350_424 Depth=1
	s_or_b64 exec, exec, s[6:7]
	v_lshlrev_b32_e32 v31, 16, v32
	v_mul_f32_e32 v31, v0, v31
	v_and_b32_e32 v32, 0x7f800000, v31
	v_cmp_ne_u32_e64 s[0:1], s8, v32
                                        ; implicit-def: $vgpr46
	s_and_saveexec_b64 s[6:7], s[0:1]
	s_xor_b64 s[0:1], exec, s[6:7]
; %bb.1167:                             ;   in Loop: Header=BB350_424 Depth=1
	v_bfe_u32 v32, v31, 16, 1
	v_add3_u32 v46, v31, v32, s9
                                        ; implicit-def: $vgpr31
; %bb.1168:                             ;   in Loop: Header=BB350_424 Depth=1
	s_andn2_saveexec_b64 s[6:7], s[0:1]
; %bb.1169:                             ;   in Loop: Header=BB350_424 Depth=1
	v_or_b32_e32 v32, 0x10000, v31
	v_cmp_eq_u32_sdwa s[0:1], v31, v29 src0_sel:WORD_0 src1_sel:DWORD
	s_nop 1
	v_cndmask_b32_e64 v46, v32, v31, s[0:1]
; %bb.1170:                             ;   in Loop: Header=BB350_424 Depth=1
	s_or_b64 exec, exec, s[6:7]
	v_lshlrev_b32_e32 v30, 16, v30
	v_mul_f32_e32 v30, v38, v30
	v_and_b32_e32 v31, 0x7f800000, v30
	v_cmp_ne_u32_e64 s[0:1], s8, v31
                                        ; implicit-def: $vgpr54
	s_and_saveexec_b64 s[6:7], s[0:1]
	s_xor_b64 s[0:1], exec, s[6:7]
; %bb.1171:                             ;   in Loop: Header=BB350_424 Depth=1
	v_bfe_u32 v31, v30, 16, 1
	v_add3_u32 v54, v30, v31, s9
                                        ; implicit-def: $vgpr30
; %bb.1172:                             ;   in Loop: Header=BB350_424 Depth=1
	s_andn2_saveexec_b64 s[6:7], s[0:1]
; %bb.1173:                             ;   in Loop: Header=BB350_424 Depth=1
	v_or_b32_e32 v31, 0x10000, v30
	v_cmp_eq_u32_sdwa s[0:1], v30, v29 src0_sel:WORD_0 src1_sel:DWORD
	s_nop 1
	v_cndmask_b32_e64 v54, v31, v30, s[0:1]
; %bb.1174:                             ;   in Loop: Header=BB350_424 Depth=1
	s_or_b64 exec, exec, s[6:7]
	v_lshlrev_b32_e32 v23, 16, v23
	v_mul_f32_e32 v23, v52, v23
	v_and_b32_e32 v30, 0x7f800000, v23
	v_cmp_ne_u32_e64 s[0:1], s8, v30
                                        ; implicit-def: $vgpr48
	s_and_saveexec_b64 s[6:7], s[0:1]
	s_xor_b64 s[0:1], exec, s[6:7]
; %bb.1175:                             ;   in Loop: Header=BB350_424 Depth=1
	v_bfe_u32 v30, v23, 16, 1
	v_add3_u32 v48, v23, v30, s9
                                        ; implicit-def: $vgpr23
; %bb.1176:                             ;   in Loop: Header=BB350_424 Depth=1
	s_andn2_saveexec_b64 s[6:7], s[0:1]
; %bb.1177:                             ;   in Loop: Header=BB350_424 Depth=1
	v_or_b32_e32 v30, 0x10000, v23
	v_cmp_eq_u32_sdwa s[0:1], v23, v29 src0_sel:WORD_0 src1_sel:DWORD
	s_nop 1
	v_cndmask_b32_e64 v48, v30, v23, s[0:1]
; %bb.1178:                             ;   in Loop: Header=BB350_424 Depth=1
	s_or_b64 exec, exec, s[6:7]
	v_lshlrev_b32_e32 v22, 16, v22
	v_mul_f32_e32 v23, v53, v22
	v_and_b32_e32 v22, 0x7f800000, v23
	v_cmp_ne_u32_e64 s[0:1], s8, v22
                                        ; implicit-def: $vgpr22
	s_and_saveexec_b64 s[6:7], s[0:1]
	s_xor_b64 s[0:1], exec, s[6:7]
; %bb.1179:                             ;   in Loop: Header=BB350_424 Depth=1
	v_bfe_u32 v22, v23, 16, 1
	v_add3_u32 v22, v23, v22, s9
                                        ; implicit-def: $vgpr23
; %bb.1180:                             ;   in Loop: Header=BB350_424 Depth=1
	s_andn2_saveexec_b64 s[6:7], s[0:1]
; %bb.1181:                             ;   in Loop: Header=BB350_424 Depth=1
	v_or_b32_e32 v22, 0x10000, v23
	v_cmp_eq_u32_sdwa s[0:1], v23, v29 src0_sel:WORD_0 src1_sel:DWORD
	s_nop 1
	v_cndmask_b32_e64 v22, v22, v23, s[0:1]
; %bb.1182:                             ;   in Loop: Header=BB350_424 Depth=1
	s_or_b64 exec, exec, s[6:7]
	scratch_load_dwordx2 v[30:31], off, s32 offset:264 ; 8-byte Folded Reload
	s_waitcnt vmcnt(0)
	v_lshl_add_u64 v[2:3], v[2:3], 0, v[30:31]
	flat_load_dwordx2 v[2:3], v[2:3]
	s_waitcnt vmcnt(0) lgkmcnt(0)
	v_and_b32_e32 v23, 0xff, v2
	v_cvt_f32_fp8_sdwa v23, v23 src0_sel:BYTE_0
	s_nop 0
	v_mul_f32_e32 v30, v19, v23
	v_and_b32_e32 v23, 0x7f800000, v30
	v_cmp_ne_u32_e64 s[0:1], s8, v23
                                        ; implicit-def: $vgpr23
	s_and_saveexec_b64 s[6:7], s[0:1]
	s_xor_b64 s[0:1], exec, s[6:7]
; %bb.1183:                             ;   in Loop: Header=BB350_424 Depth=1
	v_bfe_u32 v23, v30, 16, 1
	v_add3_u32 v23, v30, v23, s9
                                        ; implicit-def: $vgpr30
; %bb.1184:                             ;   in Loop: Header=BB350_424 Depth=1
	s_andn2_saveexec_b64 s[6:7], s[0:1]
; %bb.1185:                             ;   in Loop: Header=BB350_424 Depth=1
	v_or_b32_e32 v23, 0x10000, v30
	v_cmp_eq_u32_sdwa s[0:1], v30, v29 src0_sel:WORD_0 src1_sel:DWORD
	s_nop 1
	v_cndmask_b32_e64 v23, v23, v30, s[0:1]
; %bb.1186:                             ;   in Loop: Header=BB350_424 Depth=1
	s_or_b64 exec, exec, s[6:7]
	v_bfe_u32 v30, v2, 8, 8
	v_cvt_f32_fp8_sdwa v30, v30 src0_sel:BYTE_0
	s_nop 0
	v_mul_f32_e32 v31, v19, v30
	v_and_b32_e32 v30, 0x7f800000, v31
	v_cmp_ne_u32_e64 s[0:1], s8, v30
                                        ; implicit-def: $vgpr30
	s_and_saveexec_b64 s[6:7], s[0:1]
	s_xor_b64 s[0:1], exec, s[6:7]
; %bb.1187:                             ;   in Loop: Header=BB350_424 Depth=1
	v_bfe_u32 v30, v31, 16, 1
	v_add3_u32 v30, v31, v30, s9
                                        ; implicit-def: $vgpr31
; %bb.1188:                             ;   in Loop: Header=BB350_424 Depth=1
	s_andn2_saveexec_b64 s[6:7], s[0:1]
; %bb.1189:                             ;   in Loop: Header=BB350_424 Depth=1
	v_or_b32_e32 v30, 0x10000, v31
	v_cmp_eq_u32_sdwa s[0:1], v31, v29 src0_sel:WORD_0 src1_sel:DWORD
	s_nop 1
	v_cndmask_b32_e64 v30, v30, v31, s[0:1]
; %bb.1190:                             ;   in Loop: Header=BB350_424 Depth=1
	s_or_b64 exec, exec, s[6:7]
	v_bfe_u32 v31, v2, 16, 8
	v_cvt_f32_fp8_sdwa v31, v31 src0_sel:BYTE_0
	s_nop 0
	v_mul_f32_e32 v31, v19, v31
	v_and_b32_e32 v32, 0x7f800000, v31
	v_cmp_ne_u32_e64 s[0:1], s8, v32
                                        ; implicit-def: $vgpr32
	s_and_saveexec_b64 s[6:7], s[0:1]
	s_xor_b64 s[0:1], exec, s[6:7]
; %bb.1191:                             ;   in Loop: Header=BB350_424 Depth=1
	v_bfe_u32 v32, v31, 16, 1
	v_add3_u32 v32, v31, v32, s9
                                        ; implicit-def: $vgpr31
; %bb.1192:                             ;   in Loop: Header=BB350_424 Depth=1
	s_andn2_saveexec_b64 s[6:7], s[0:1]
; %bb.1193:                             ;   in Loop: Header=BB350_424 Depth=1
	v_or_b32_e32 v32, 0x10000, v31
	v_cmp_eq_u32_sdwa s[0:1], v31, v29 src0_sel:WORD_0 src1_sel:DWORD
	s_nop 1
	v_cndmask_b32_e64 v32, v32, v31, s[0:1]
; %bb.1194:                             ;   in Loop: Header=BB350_424 Depth=1
	s_or_b64 exec, exec, s[6:7]
	v_lshrrev_b32_e32 v2, 24, v2
	v_cvt_f32_fp8_sdwa v2, v2 src0_sel:BYTE_0
	s_nop 0
	v_mul_f32_e32 v31, v19, v2
	v_and_b32_e32 v2, 0x7f800000, v31
	v_cmp_ne_u32_e64 s[0:1], s8, v2
                                        ; implicit-def: $vgpr2
	s_and_saveexec_b64 s[6:7], s[0:1]
	s_xor_b64 s[0:1], exec, s[6:7]
; %bb.1195:                             ;   in Loop: Header=BB350_424 Depth=1
	v_bfe_u32 v2, v31, 16, 1
	v_add3_u32 v2, v31, v2, s9
                                        ; implicit-def: $vgpr31
; %bb.1196:                             ;   in Loop: Header=BB350_424 Depth=1
	s_andn2_saveexec_b64 s[6:7], s[0:1]
; %bb.1197:                             ;   in Loop: Header=BB350_424 Depth=1
	v_or_b32_e32 v2, 0x10000, v31
	v_cmp_eq_u32_sdwa s[0:1], v31, v29 src0_sel:WORD_0 src1_sel:DWORD
	s_nop 1
	v_cndmask_b32_e64 v2, v2, v31, s[0:1]
; %bb.1198:                             ;   in Loop: Header=BB350_424 Depth=1
	s_or_b64 exec, exec, s[6:7]
	v_and_b32_e32 v31, 0xff, v3
	v_cvt_f32_fp8_sdwa v31, v31 src0_sel:BYTE_0
	s_nop 0
	v_mul_f32_e32 v31, v19, v31
	v_and_b32_e32 v33, 0x7f800000, v31
	v_cmp_ne_u32_e64 s[0:1], s8, v33
                                        ; implicit-def: $vgpr33
	s_and_saveexec_b64 s[6:7], s[0:1]
	s_xor_b64 s[0:1], exec, s[6:7]
; %bb.1199:                             ;   in Loop: Header=BB350_424 Depth=1
	v_bfe_u32 v33, v31, 16, 1
	v_add3_u32 v33, v31, v33, s9
                                        ; implicit-def: $vgpr31
; %bb.1200:                             ;   in Loop: Header=BB350_424 Depth=1
	s_andn2_saveexec_b64 s[6:7], s[0:1]
; %bb.1201:                             ;   in Loop: Header=BB350_424 Depth=1
	v_or_b32_e32 v33, 0x10000, v31
	v_cmp_eq_u32_sdwa s[0:1], v31, v29 src0_sel:WORD_0 src1_sel:DWORD
	s_nop 1
	v_cndmask_b32_e64 v33, v33, v31, s[0:1]
; %bb.1202:                             ;   in Loop: Header=BB350_424 Depth=1
	s_or_b64 exec, exec, s[6:7]
	v_bfe_u32 v31, v3, 8, 8
	v_cvt_f32_fp8_sdwa v31, v31 src0_sel:BYTE_0
	s_nop 0
	v_mul_f32_e32 v34, v19, v31
	v_and_b32_e32 v31, 0x7f800000, v34
	v_cmp_ne_u32_e64 s[0:1], s8, v31
                                        ; implicit-def: $vgpr31
	s_and_saveexec_b64 s[6:7], s[0:1]
	s_xor_b64 s[0:1], exec, s[6:7]
; %bb.1203:                             ;   in Loop: Header=BB350_424 Depth=1
	v_bfe_u32 v31, v34, 16, 1
	v_add3_u32 v31, v34, v31, s9
                                        ; implicit-def: $vgpr34
; %bb.1204:                             ;   in Loop: Header=BB350_424 Depth=1
	s_andn2_saveexec_b64 s[6:7], s[0:1]
; %bb.1205:                             ;   in Loop: Header=BB350_424 Depth=1
	v_or_b32_e32 v31, 0x10000, v34
	v_cmp_eq_u32_sdwa s[0:1], v34, v29 src0_sel:WORD_0 src1_sel:DWORD
	s_nop 1
	v_cndmask_b32_e64 v31, v31, v34, s[0:1]
; %bb.1206:                             ;   in Loop: Header=BB350_424 Depth=1
	s_or_b64 exec, exec, s[6:7]
	v_bfe_u32 v34, v3, 16, 8
	v_cvt_f32_fp8_sdwa v34, v34 src0_sel:BYTE_0
	s_nop 0
	v_mul_f32_e32 v34, v19, v34
	v_and_b32_e32 v35, 0x7f800000, v34
	v_cmp_ne_u32_e64 s[0:1], s8, v35
                                        ; implicit-def: $vgpr35
	s_and_saveexec_b64 s[6:7], s[0:1]
	s_xor_b64 s[0:1], exec, s[6:7]
; %bb.1207:                             ;   in Loop: Header=BB350_424 Depth=1
	v_bfe_u32 v35, v34, 16, 1
	v_add3_u32 v35, v34, v35, s9
                                        ; implicit-def: $vgpr34
; %bb.1208:                             ;   in Loop: Header=BB350_424 Depth=1
	s_andn2_saveexec_b64 s[6:7], s[0:1]
; %bb.1209:                             ;   in Loop: Header=BB350_424 Depth=1
	v_or_b32_e32 v35, 0x10000, v34
	v_cmp_eq_u32_sdwa s[0:1], v34, v29 src0_sel:WORD_0 src1_sel:DWORD
	s_nop 1
	v_cndmask_b32_e64 v35, v35, v34, s[0:1]
; %bb.1210:                             ;   in Loop: Header=BB350_424 Depth=1
	s_or_b64 exec, exec, s[6:7]
	v_lshrrev_b32_e32 v3, 24, v3
	v_cvt_f32_fp8_sdwa v3, v3 src0_sel:BYTE_0
                                        ; implicit-def: $vgpr36
	s_nop 0
	v_mul_f32_e32 v3, v19, v3
	v_and_b32_e32 v34, 0x7f800000, v3
	v_cmp_ne_u32_e64 s[0:1], s8, v34
	s_and_saveexec_b64 s[6:7], s[0:1]
	s_xor_b64 s[0:1], exec, s[6:7]
; %bb.1211:                             ;   in Loop: Header=BB350_424 Depth=1
	v_bfe_u32 v34, v3, 16, 1
	v_add3_u32 v36, v3, v34, s9
                                        ; implicit-def: $vgpr3
; %bb.1212:                             ;   in Loop: Header=BB350_424 Depth=1
	s_andn2_saveexec_b64 s[6:7], s[0:1]
; %bb.1213:                             ;   in Loop: Header=BB350_424 Depth=1
	v_or_b32_e32 v34, 0x10000, v3
	v_cmp_eq_u32_sdwa s[0:1], v3, v29 src0_sel:WORD_0 src1_sel:DWORD
	s_nop 1
	v_cndmask_b32_e64 v36, v34, v3, s[0:1]
; %bb.1214:                             ;   in Loop: Header=BB350_424 Depth=1
	s_or_b64 exec, exec, s[6:7]
	v_lshrrev_b32_e32 v31, 16, v31
	v_lshrrev_b32_e32 v33, 16, v33
	;; [unrolled: 1-line block ×8, first 2 shown]
	s_and_saveexec_b64 s[0:1], vcc
	s_cbranch_execz .LBB350_1216
; %bb.1215:                             ;   in Loop: Header=BB350_424 Depth=1
	v_accvgpr_read_b32 v35, a29
	v_cmp_lt_i32_e32 vcc, v35, v39
	v_accvgpr_read_b32 v35, a35
	s_nop 0
	v_cndmask_b32_e32 v2, 0, v2, vcc
	v_cmp_lt_i32_e32 vcc, v35, v39
	v_accvgpr_read_b32 v35, a34
	s_nop 0
	v_cndmask_b32_e32 v3, 0, v3, vcc
	;; [unrolled: 4-line block ×6, first 2 shown]
	v_cmp_lt_i32_e32 vcc, v35, v39
	s_nop 1
	v_cndmask_b32_e32 v30, 0, v30, vcc
	v_cmp_lt_i32_e32 vcc, v55, v39
	s_nop 1
	v_cndmask_b32_e32 v23, 0, v23, vcc
.LBB350_1216:                           ;   in Loop: Header=BB350_424 Depth=1
	s_or_b64 exec, exec, s[0:1]
	v_lshlrev_b32_e32 v2, 16, v2
	v_mul_f32_e32 v35, v62, v2
	v_and_b32_e32 v2, 0x7f800000, v35
	v_cmp_ne_u32_e32 vcc, s8, v2
                                        ; implicit-def: $vgpr2
	s_and_saveexec_b64 s[0:1], vcc
	s_xor_b64 s[0:1], exec, s[0:1]
; %bb.1217:                             ;   in Loop: Header=BB350_424 Depth=1
	v_bfe_u32 v2, v35, 16, 1
	v_add3_u32 v2, v35, v2, s9
                                        ; implicit-def: $vgpr35
; %bb.1218:                             ;   in Loop: Header=BB350_424 Depth=1
	s_andn2_saveexec_b64 s[0:1], s[0:1]
; %bb.1219:                             ;   in Loop: Header=BB350_424 Depth=1
	v_or_b32_e32 v2, 0x10000, v35
	v_cmp_eq_u32_sdwa vcc, v35, v29 src0_sel:WORD_0 src1_sel:DWORD
	s_nop 1
	v_cndmask_b32_e32 v2, v2, v35, vcc
; %bb.1220:                             ;   in Loop: Header=BB350_424 Depth=1
	s_or_b64 exec, exec, s[0:1]
	v_lshlrev_b32_e32 v3, 16, v3
	v_mul_f32_e32 v35, v50, v3
	v_and_b32_e32 v3, 0x7f800000, v35
	v_cmp_ne_u32_e32 vcc, s8, v3
                                        ; implicit-def: $vgpr3
	s_and_saveexec_b64 s[0:1], vcc
	s_xor_b64 s[0:1], exec, s[0:1]
; %bb.1221:                             ;   in Loop: Header=BB350_424 Depth=1
	v_bfe_u32 v3, v35, 16, 1
	v_add3_u32 v3, v35, v3, s9
                                        ; implicit-def: $vgpr35
; %bb.1222:                             ;   in Loop: Header=BB350_424 Depth=1
	s_andn2_saveexec_b64 s[0:1], s[0:1]
; %bb.1223:                             ;   in Loop: Header=BB350_424 Depth=1
	v_or_b32_e32 v3, 0x10000, v35
	v_cmp_eq_u32_sdwa vcc, v35, v29 src0_sel:WORD_0 src1_sel:DWORD
	s_nop 1
	v_cndmask_b32_e32 v3, v3, v35, vcc
; %bb.1224:                             ;   in Loop: Header=BB350_424 Depth=1
	s_or_b64 exec, exec, s[0:1]
	v_lshlrev_b32_e32 v32, 16, v32
	v_mul_f32_e32 v32, v51, v32
	v_and_b32_e32 v35, 0x7f800000, v32
	v_cmp_ne_u32_e32 vcc, s8, v35
                                        ; implicit-def: $vgpr50
	s_and_saveexec_b64 s[0:1], vcc
	s_xor_b64 s[0:1], exec, s[0:1]
; %bb.1225:                             ;   in Loop: Header=BB350_424 Depth=1
	v_bfe_u32 v35, v32, 16, 1
	v_add3_u32 v50, v32, v35, s9
                                        ; implicit-def: $vgpr32
; %bb.1226:                             ;   in Loop: Header=BB350_424 Depth=1
	s_andn2_saveexec_b64 s[0:1], s[0:1]
; %bb.1227:                             ;   in Loop: Header=BB350_424 Depth=1
	v_or_b32_e32 v35, 0x10000, v32
	v_cmp_eq_u32_sdwa vcc, v32, v29 src0_sel:WORD_0 src1_sel:DWORD
	s_nop 1
	v_cndmask_b32_e32 v50, v35, v32, vcc
; %bb.1228:                             ;   in Loop: Header=BB350_424 Depth=1
	s_or_b64 exec, exec, s[0:1]
	v_lshlrev_b32_e32 v32, 16, v34
	v_mul_f32_e32 v32, v1, v32
	v_and_b32_e32 v1, 0x7f800000, v32
	v_cmp_ne_u32_e32 vcc, s8, v1
                                        ; implicit-def: $vgpr1
	s_and_saveexec_b64 s[0:1], vcc
	s_xor_b64 s[0:1], exec, s[0:1]
; %bb.1229:                             ;   in Loop: Header=BB350_424 Depth=1
	v_bfe_u32 v1, v32, 16, 1
	v_add3_u32 v1, v32, v1, s9
                                        ; implicit-def: $vgpr32
; %bb.1230:                             ;   in Loop: Header=BB350_424 Depth=1
	s_andn2_saveexec_b64 s[0:1], s[0:1]
; %bb.1231:                             ;   in Loop: Header=BB350_424 Depth=1
	v_or_b32_e32 v1, 0x10000, v32
	v_cmp_eq_u32_sdwa vcc, v32, v29 src0_sel:WORD_0 src1_sel:DWORD
	s_nop 1
	v_cndmask_b32_e32 v1, v1, v32, vcc
; %bb.1232:                             ;   in Loop: Header=BB350_424 Depth=1
	s_or_b64 exec, exec, s[0:1]
	v_lshlrev_b32_e32 v32, 16, v33
	v_mul_f32_e32 v32, v0, v32
	v_and_b32_e32 v0, 0x7f800000, v32
	v_cmp_ne_u32_e32 vcc, s8, v0
                                        ; implicit-def: $vgpr0
	s_and_saveexec_b64 s[0:1], vcc
	s_xor_b64 s[0:1], exec, s[0:1]
; %bb.1233:                             ;   in Loop: Header=BB350_424 Depth=1
	v_bfe_u32 v0, v32, 16, 1
	v_add3_u32 v0, v32, v0, s9
                                        ; implicit-def: $vgpr32
; %bb.1234:                             ;   in Loop: Header=BB350_424 Depth=1
	s_andn2_saveexec_b64 s[0:1], s[0:1]
; %bb.1235:                             ;   in Loop: Header=BB350_424 Depth=1
	v_or_b32_e32 v0, 0x10000, v32
	v_cmp_eq_u32_sdwa vcc, v32, v29 src0_sel:WORD_0 src1_sel:DWORD
	s_nop 1
	v_cndmask_b32_e32 v0, v0, v32, vcc
; %bb.1236:                             ;   in Loop: Header=BB350_424 Depth=1
	s_or_b64 exec, exec, s[0:1]
	v_lshlrev_b32_e32 v31, 16, v31
	v_mul_f32_e32 v31, v38, v31
	v_and_b32_e32 v32, 0x7f800000, v31
	v_cmp_ne_u32_e32 vcc, s8, v32
                                        ; implicit-def: $vgpr38
	s_and_saveexec_b64 s[0:1], vcc
	s_xor_b64 s[0:1], exec, s[0:1]
; %bb.1237:                             ;   in Loop: Header=BB350_424 Depth=1
	v_bfe_u32 v32, v31, 16, 1
	v_add3_u32 v38, v31, v32, s9
                                        ; implicit-def: $vgpr31
; %bb.1238:                             ;   in Loop: Header=BB350_424 Depth=1
	s_andn2_saveexec_b64 s[0:1], s[0:1]
; %bb.1239:                             ;   in Loop: Header=BB350_424 Depth=1
	v_or_b32_e32 v32, 0x10000, v31
	v_cmp_eq_u32_sdwa vcc, v31, v29 src0_sel:WORD_0 src1_sel:DWORD
	s_nop 1
	v_cndmask_b32_e32 v38, v32, v31, vcc
; %bb.1240:                             ;   in Loop: Header=BB350_424 Depth=1
	s_or_b64 exec, exec, s[0:1]
	v_lshlrev_b32_e32 v30, 16, v30
	v_mul_f32_e32 v30, v52, v30
	v_and_b32_e32 v31, 0x7f800000, v30
	v_cmp_ne_u32_e32 vcc, s8, v31
                                        ; implicit-def: $vgpr51
	s_and_saveexec_b64 s[0:1], vcc
	s_xor_b64 s[0:1], exec, s[0:1]
; %bb.1241:                             ;   in Loop: Header=BB350_424 Depth=1
	v_bfe_u32 v31, v30, 16, 1
	v_add3_u32 v51, v30, v31, s9
                                        ; implicit-def: $vgpr30
; %bb.1242:                             ;   in Loop: Header=BB350_424 Depth=1
	s_andn2_saveexec_b64 s[0:1], s[0:1]
; %bb.1243:                             ;   in Loop: Header=BB350_424 Depth=1
	v_or_b32_e32 v31, 0x10000, v30
	v_cmp_eq_u32_sdwa vcc, v30, v29 src0_sel:WORD_0 src1_sel:DWORD
	s_nop 1
	v_cndmask_b32_e32 v51, v31, v30, vcc
; %bb.1244:                             ;   in Loop: Header=BB350_424 Depth=1
	s_or_b64 exec, exec, s[0:1]
	v_lshlrev_b32_e32 v23, 16, v23
	v_mul_f32_e32 v30, v53, v23
	v_and_b32_e32 v23, 0x7f800000, v30
	v_cmp_ne_u32_e32 vcc, s8, v23
                                        ; implicit-def: $vgpr23
	s_and_saveexec_b64 s[0:1], vcc
	s_xor_b64 s[0:1], exec, s[0:1]
; %bb.1245:                             ;   in Loop: Header=BB350_424 Depth=1
	v_bfe_u32 v23, v30, 16, 1
	v_add3_u32 v23, v30, v23, s9
                                        ; implicit-def: $vgpr30
; %bb.1246:                             ;   in Loop: Header=BB350_424 Depth=1
	s_andn2_saveexec_b64 s[0:1], s[0:1]
	s_cbranch_execz .LBB350_423
; %bb.1247:                             ;   in Loop: Header=BB350_424 Depth=1
	v_or_b32_e32 v23, 0x10000, v30
	v_cmp_eq_u32_sdwa vcc, v30, v29 src0_sel:WORD_0 src1_sel:DWORD
	s_nop 1
	v_cndmask_b32_e32 v23, v23, v30, vcc
	s_branch .LBB350_423
.LBB350_1248:
	s_or_b64 exec, exec, s[4:5]
	scratch_load_dword v30, off, s32 offset:284 ; 4-byte Folded Reload
	scratch_load_dword v28, off, s32 offset:280 ; 4-byte Folded Reload
	;; [unrolled: 1-line block ×4, first 2 shown]
.LBB350_1249:
	s_or_b64 exec, exec, s[2:3]
	s_waitcnt vmcnt(1)
	ds_bpermute_b32 v0, v31, v26
	ds_bpermute_b32 v1, v31, v27
	ds_bpermute_b32 v2, v31, v24
	ds_bpermute_b32 v3, v31, v25
	ds_bpermute_b32 v10, v31, v14
	ds_bpermute_b32 v11, v31, v15
	s_waitcnt lgkmcnt(4)
	v_pk_add_f32 v[0:1], v[26:27], v[0:1]
	s_waitcnt vmcnt(0)
	ds_bpermute_b32 v4, v29, v0
	ds_bpermute_b32 v5, v29, v1
	;; [unrolled: 1-line block ×4, first 2 shown]
	s_waitcnt lgkmcnt(6)
	v_pk_add_f32 v[2:3], v[24:25], v[2:3]
	s_waitcnt lgkmcnt(4)
	v_pk_add_f32 v[14:15], v[14:15], v[10:11]
	ds_bpermute_b32 v8, v29, v2
	s_waitcnt lgkmcnt(3)
	v_pk_add_f32 v[18:19], v[0:1], v[4:5]
	ds_bpermute_b32 v9, v29, v3
	;; [unrolled: 3-line block ×3, first 2 shown]
	ds_bpermute_b32 v21, v29, v15
	s_waitcnt lgkmcnt(0)
	v_pk_add_f32 v[10:11], v[2:3], v[8:9]
	s_barrier
	v_pk_add_f32 v[2:3], v[14:15], v[20:21]
	scratch_load_dword v14, off, s32 offset:560 ; 4-byte Folded Reload
	ds_bpermute_b32 v4, v31, v16
	ds_bpermute_b32 v5, v31, v17
	;; [unrolled: 1-line block ×6, first 2 shown]
	s_waitcnt lgkmcnt(4)
	v_pk_add_f32 v[4:5], v[16:17], v[4:5]
	ds_bpermute_b32 v16, v29, v4
	ds_bpermute_b32 v17, v29, v5
	s_waitcnt lgkmcnt(4)
	v_pk_add_f32 v[8:9], v[0:1], v[6:7]
	s_waitcnt lgkmcnt(0)
	v_pk_add_f32 v[6:7], v[4:5], v[16:17]
	v_pk_add_f32 v[4:5], v[12:13], v[22:23]
	ds_bpermute_b32 v12, v29, v4
	ds_bpermute_b32 v13, v29, v5
	s_waitcnt vmcnt(0)
	v_and_b32_e32 v0, 0x3c3, v14
	v_cmp_ne_u32_e32 vcc, 64, v0
	s_and_saveexec_b64 s[0:1], vcc
	s_xor_b64 s[0:1], exec, s[0:1]
; %bb.1250:
                                        ; implicit-def: $vgpr28
; %bb.1251:
	s_or_saveexec_b64 s[0:1], s[0:1]
	s_waitcnt lgkmcnt(0)
	v_pk_add_f32 v[4:5], v[4:5], v[12:13]
	s_xor_b64 exec, exec, s[0:1]
	s_cbranch_execz .LBB350_1253
; %bb.1252:
	s_ashr_i32 s17, s16, 31
	s_lshl_b64 s[2:3], s[16:17], 2
	s_getpc_b64 s[4:5]
	s_add_u32 s4, s4, llvm.amdgcn.dynlds.offset.table@rel32@lo+4
	s_addc_u32 s5, s5, llvm.amdgcn.dynlds.offset.table@rel32@hi+12
	s_add_u32 s2, s2, s4
	s_addc_u32 s3, s3, s5
	s_load_dword s2, s[2:3], 0x0
	s_waitcnt lgkmcnt(0)
	v_add_u32_e32 v0, s2, v28
	ds_write2_b32 v0, v18, v19 offset1:16
	ds_write2_b32 v0, v10, v11 offset0:32 offset1:48
	ds_write2_b32 v0, v8, v9 offset0:64 offset1:80
	;; [unrolled: 1-line block ×5, first 2 shown]
.LBB350_1253:
	s_or_b64 exec, exec, s[0:1]
	v_cmp_gt_u32_e32 vcc, 64, v14
	v_cmp_lt_u32_e64 s[0:1], 63, v14
	s_waitcnt lgkmcnt(0)
	s_barrier
	s_and_saveexec_b64 s[2:3], s[0:1]
	s_xor_b64 s[0:1], exec, s[2:3]
	s_andn2_saveexec_b64 s[2:3], s[0:1]
	s_cbranch_execz .LBB350_1268
; %bb.1254:
	v_cmp_eq_u32_e64 s[0:1], 0, v30
	v_lshrrev_b32_e32 v0, 2, v14
	s_and_saveexec_b64 s[4:5], s[0:1]
	s_cbranch_execnz .LBB350_1320
; %bb.1255:
	s_or_b64 exec, exec, s[4:5]
	s_and_saveexec_b64 s[4:5], s[0:1]
	s_cbranch_execnz .LBB350_1321
.LBB350_1256:
	s_or_b64 exec, exec, s[4:5]
	s_and_saveexec_b64 s[4:5], s[0:1]
	s_cbranch_execnz .LBB350_1322
.LBB350_1257:
	s_or_b64 exec, exec, s[4:5]
	s_and_saveexec_b64 s[4:5], s[0:1]
	s_cbranch_execnz .LBB350_1323
.LBB350_1258:
	s_or_b64 exec, exec, s[4:5]
	s_and_saveexec_b64 s[4:5], s[0:1]
	s_cbranch_execnz .LBB350_1324
.LBB350_1259:
	s_or_b64 exec, exec, s[4:5]
	s_and_saveexec_b64 s[4:5], s[0:1]
	s_cbranch_execnz .LBB350_1325
.LBB350_1260:
	s_or_b64 exec, exec, s[4:5]
	s_and_saveexec_b64 s[4:5], s[0:1]
	s_cbranch_execnz .LBB350_1326
.LBB350_1261:
	s_or_b64 exec, exec, s[4:5]
	s_and_saveexec_b64 s[4:5], s[0:1]
	s_cbranch_execnz .LBB350_1327
.LBB350_1262:
	s_or_b64 exec, exec, s[4:5]
	s_and_saveexec_b64 s[4:5], s[0:1]
	s_cbranch_execnz .LBB350_1328
.LBB350_1263:
	s_or_b64 exec, exec, s[4:5]
	s_and_saveexec_b64 s[4:5], s[0:1]
	s_cbranch_execnz .LBB350_1329
.LBB350_1264:
	s_or_b64 exec, exec, s[4:5]
	s_and_saveexec_b64 s[4:5], s[0:1]
	s_cbranch_execnz .LBB350_1330
.LBB350_1265:
	s_or_b64 exec, exec, s[4:5]
	s_and_saveexec_b64 s[4:5], s[0:1]
	s_cbranch_execz .LBB350_1267
.LBB350_1266:
	s_ashr_i32 s17, s16, 31
	s_lshl_b64 s[0:1], s[16:17], 2
	s_getpc_b64 s[6:7]
	s_add_u32 s6, s6, llvm.amdgcn.dynlds.offset.table@rel32@lo+4
	s_addc_u32 s7, s7, llvm.amdgcn.dynlds.offset.table@rel32@hi+12
	s_add_u32 s0, s0, s6
	s_addc_u32 s1, s1, s7
	s_load_dword s0, s[0:1], 0x0
	s_waitcnt lgkmcnt(0)
	v_lshl_add_u32 v0, v0, 2, s0
	ds_read_b32 v0, v0 offset:704
	s_waitcnt lgkmcnt(0)
	v_add_f32_e32 v5, v0, v5
.LBB350_1267:
	s_or_b64 exec, exec, s[4:5]
.LBB350_1268:
	s_or_b64 exec, exec, s[2:3]
	s_barrier
	s_and_saveexec_b64 s[0:1], vcc
	s_cbranch_execz .LBB350_1319
; %bb.1269:
	v_cmp_eq_u32_e32 vcc, 0, v30
	s_and_b64 exec, exec, vcc
	s_cbranch_execz .LBB350_1319
; %bb.1270:
	s_mov_b32 s2, 0x7f800000
	v_and_b32_e32 v0, 0x7f800000, v18
	v_cmp_ne_u32_e32 vcc, s2, v0
                                        ; implicit-def: $vgpr12
	s_and_saveexec_b64 s[2:3], vcc
	s_xor_b64 s[2:3], exec, s[2:3]
; %bb.1271:
	v_bfe_u32 v0, v18, 16, 1
	s_movk_i32 s4, 0x7fff
	v_add3_u32 v12, v18, v0, s4
; %bb.1272:
	s_andn2_saveexec_b64 s[2:3], s[2:3]
; %bb.1273:
	v_mov_b32_e32 v0, 0
	v_or_b32_e32 v1, 0x10000, v18
	v_cmp_eq_u32_sdwa vcc, v18, v0 src0_sel:WORD_0 src1_sel:DWORD
	s_nop 1
	v_cndmask_b32_e32 v12, v1, v18, vcc
; %bb.1274:
	s_or_b64 exec, exec, s[2:3]
	scratch_load_dwordx2 v[0:1], off, s32 offset:576 ; 8-byte Folded Reload
	v_cmp_ne_u16_e64 s[2:3], s15, 0
	s_cmp_lg_u64 s[2:3], 0
	s_addc_u32 s4, s13, 0
	s_mul_i32 s2, s4, s10
	s_mul_i32 s2, s2, s11
	s_mulk_i32 s2, 0xc0
	s_mul_i32 s4, s12, s4
	s_mul_i32 s6, s14, 0xc0
	s_ashr_i32 s3, s2, 31
	s_ashr_i32 s5, s4, 31
	;; [unrolled: 1-line block ×3, first 2 shown]
	s_lshl_b64 s[2:3], s[2:3], 1
	s_lshl_b64 s[4:5], s[4:5], 1
	s_lshl_b64 s[6:7], s[6:7], 1
	s_add_u32 s4, s6, s4
	s_addc_u32 s5, s7, s5
	s_add_u32 s2, s4, s2
	s_addc_u32 s3, s5, s3
	v_lshrrev_b32_e32 v13, 1, v14
	v_and_b32_e32 v14, 0x1fe, v13
	v_mov_b32_e32 v15, 0
	s_waitcnt vmcnt(0)
	v_lshl_add_u64 v[0:1], s[2:3], 0, v[0:1]
	v_lshl_add_u64 v[0:1], v[0:1], 0, v[14:15]
	flat_store_short_d16_hi v[0:1], v12
	s_mov_b32 s2, 0x7f800000
	v_and_b32_e32 v12, 0x7f800000, v19
	v_cmp_ne_u32_e32 vcc, s2, v12
                                        ; implicit-def: $vgpr12
	s_and_saveexec_b64 s[2:3], vcc
	s_xor_b64 s[2:3], exec, s[2:3]
; %bb.1275:
	v_bfe_u32 v12, v19, 16, 1
	s_movk_i32 s4, 0x7fff
	v_add3_u32 v12, v19, v12, s4
                                        ; implicit-def: $vgpr18_vgpr19
; %bb.1276:
	s_andn2_saveexec_b64 s[2:3], s[2:3]
; %bb.1277:
	v_mov_b32_e32 v12, 0
	v_or_b32_e32 v13, 0x10000, v19
	v_cmp_eq_u32_sdwa vcc, v19, v12 src0_sel:WORD_0 src1_sel:DWORD
	s_nop 1
	v_cndmask_b32_e32 v12, v13, v19, vcc
; %bb.1278:
	s_or_b64 exec, exec, s[2:3]
	flat_store_short_d16_hi v[0:1], v12 offset:32
	s_mov_b32 s2, 0x7f800000
	v_and_b32_e32 v12, 0x7f800000, v10
	v_cmp_ne_u32_e32 vcc, s2, v12
                                        ; implicit-def: $vgpr12
	s_and_saveexec_b64 s[2:3], vcc
	s_xor_b64 s[2:3], exec, s[2:3]
; %bb.1279:
	v_bfe_u32 v12, v10, 16, 1
	s_movk_i32 s4, 0x7fff
	v_add3_u32 v12, v10, v12, s4
; %bb.1280:
	s_andn2_saveexec_b64 s[2:3], s[2:3]
; %bb.1281:
	v_mov_b32_e32 v12, 0
	v_or_b32_e32 v13, 0x10000, v10
	v_cmp_eq_u32_sdwa vcc, v10, v12 src0_sel:WORD_0 src1_sel:DWORD
	s_nop 1
	v_cndmask_b32_e32 v12, v13, v10, vcc
; %bb.1282:
	s_or_b64 exec, exec, s[2:3]
	s_mov_b32 s2, 0x7f800000
	v_and_b32_e32 v10, 0x7f800000, v11
	v_cmp_ne_u32_e32 vcc, s2, v10
	flat_store_short_d16_hi v[0:1], v12 offset:64
                                        ; implicit-def: $vgpr12
	s_and_saveexec_b64 s[2:3], vcc
	s_xor_b64 s[2:3], exec, s[2:3]
; %bb.1283:
	v_bfe_u32 v10, v11, 16, 1
	s_movk_i32 s4, 0x7fff
	v_add3_u32 v12, v11, v10, s4
                                        ; implicit-def: $vgpr10_vgpr11
; %bb.1284:
	s_andn2_saveexec_b64 s[2:3], s[2:3]
; %bb.1285:
	v_mov_b32_e32 v10, 0
	v_or_b32_e32 v12, 0x10000, v11
	v_cmp_eq_u32_sdwa vcc, v11, v10 src0_sel:WORD_0 src1_sel:DWORD
	s_nop 1
	v_cndmask_b32_e32 v12, v12, v11, vcc
; %bb.1286:
	s_or_b64 exec, exec, s[2:3]
	s_mov_b32 s2, 0x7f800000
	v_and_b32_e32 v10, 0x7f800000, v8
	v_cmp_ne_u32_e32 vcc, s2, v10
	flat_store_short_d16_hi v[0:1], v12 offset:96
                                        ; implicit-def: $vgpr10
	s_and_saveexec_b64 s[2:3], vcc
	s_xor_b64 s[2:3], exec, s[2:3]
; %bb.1287:
	v_bfe_u32 v10, v8, 16, 1
	s_movk_i32 s4, 0x7fff
	v_add3_u32 v10, v8, v10, s4
; %bb.1288:
	s_andn2_saveexec_b64 s[2:3], s[2:3]
; %bb.1289:
	v_mov_b32_e32 v10, 0
	v_or_b32_e32 v11, 0x10000, v8
	v_cmp_eq_u32_sdwa vcc, v8, v10 src0_sel:WORD_0 src1_sel:DWORD
	s_nop 1
	v_cndmask_b32_e32 v10, v11, v8, vcc
; %bb.1290:
	s_or_b64 exec, exec, s[2:3]
	s_mov_b32 s2, 0x7f800000
	v_and_b32_e32 v8, 0x7f800000, v9
	v_cmp_ne_u32_e32 vcc, s2, v8
	flat_store_short_d16_hi v[0:1], v10 offset:128
                                        ; implicit-def: $vgpr10
	s_and_saveexec_b64 s[2:3], vcc
	s_xor_b64 s[2:3], exec, s[2:3]
; %bb.1291:
	v_bfe_u32 v8, v9, 16, 1
	s_movk_i32 s4, 0x7fff
	v_add3_u32 v10, v9, v8, s4
                                        ; implicit-def: $vgpr8_vgpr9
; %bb.1292:
	s_andn2_saveexec_b64 s[2:3], s[2:3]
; %bb.1293:
	v_mov_b32_e32 v8, 0
	v_or_b32_e32 v10, 0x10000, v9
	v_cmp_eq_u32_sdwa vcc, v9, v8 src0_sel:WORD_0 src1_sel:DWORD
	s_nop 1
	v_cndmask_b32_e32 v10, v10, v9, vcc
; %bb.1294:
	s_or_b64 exec, exec, s[2:3]
	s_mov_b32 s2, 0x7f800000
	v_and_b32_e32 v8, 0x7f800000, v6
	v_cmp_ne_u32_e32 vcc, s2, v8
	flat_store_short_d16_hi v[0:1], v10 offset:160
                                        ; implicit-def: $vgpr8
	s_and_saveexec_b64 s[2:3], vcc
	s_xor_b64 s[2:3], exec, s[2:3]
; %bb.1295:
	v_bfe_u32 v8, v6, 16, 1
	s_movk_i32 s4, 0x7fff
	v_add3_u32 v8, v6, v8, s4
; %bb.1296:
	s_andn2_saveexec_b64 s[2:3], s[2:3]
; %bb.1297:
	v_mov_b32_e32 v8, 0
	v_or_b32_e32 v9, 0x10000, v6
	v_cmp_eq_u32_sdwa vcc, v6, v8 src0_sel:WORD_0 src1_sel:DWORD
	s_nop 1
	v_cndmask_b32_e32 v8, v9, v6, vcc
; %bb.1298:
	s_or_b64 exec, exec, s[2:3]
	s_mov_b32 s2, 0x7f800000
	v_and_b32_e32 v6, 0x7f800000, v7
	v_cmp_ne_u32_e32 vcc, s2, v6
	flat_store_short_d16_hi v[0:1], v8 offset:192
                                        ; implicit-def: $vgpr8
	s_and_saveexec_b64 s[2:3], vcc
	s_xor_b64 s[2:3], exec, s[2:3]
; %bb.1299:
	v_bfe_u32 v6, v7, 16, 1
	s_movk_i32 s4, 0x7fff
	v_add3_u32 v8, v7, v6, s4
                                        ; implicit-def: $vgpr6_vgpr7
; %bb.1300:
	s_andn2_saveexec_b64 s[2:3], s[2:3]
; %bb.1301:
	v_mov_b32_e32 v6, 0
	v_or_b32_e32 v8, 0x10000, v7
	v_cmp_eq_u32_sdwa vcc, v7, v6 src0_sel:WORD_0 src1_sel:DWORD
	s_nop 1
	v_cndmask_b32_e32 v8, v8, v7, vcc
; %bb.1302:
	s_or_b64 exec, exec, s[2:3]
	s_mov_b32 s2, 0x7f800000
	v_and_b32_e32 v6, 0x7f800000, v2
	v_cmp_ne_u32_e32 vcc, s2, v6
	flat_store_short_d16_hi v[0:1], v8 offset:224
                                        ; implicit-def: $vgpr6
	s_and_saveexec_b64 s[2:3], vcc
	s_xor_b64 s[2:3], exec, s[2:3]
; %bb.1303:
	v_bfe_u32 v6, v2, 16, 1
	s_movk_i32 s4, 0x7fff
	v_add3_u32 v6, v2, v6, s4
; %bb.1304:
	s_andn2_saveexec_b64 s[2:3], s[2:3]
; %bb.1305:
	v_mov_b32_e32 v6, 0
	v_or_b32_e32 v7, 0x10000, v2
	v_cmp_eq_u32_sdwa vcc, v2, v6 src0_sel:WORD_0 src1_sel:DWORD
	s_nop 1
	v_cndmask_b32_e32 v6, v7, v2, vcc
; %bb.1306:
	s_or_b64 exec, exec, s[2:3]
	s_mov_b32 s2, 0x7f800000
	v_and_b32_e32 v2, 0x7f800000, v3
	v_cmp_ne_u32_e32 vcc, s2, v2
	flat_store_short_d16_hi v[0:1], v6 offset:256
                                        ; implicit-def: $vgpr6
	s_and_saveexec_b64 s[2:3], vcc
	s_xor_b64 s[2:3], exec, s[2:3]
; %bb.1307:
	v_bfe_u32 v2, v3, 16, 1
	s_movk_i32 s4, 0x7fff
	v_add3_u32 v6, v3, v2, s4
                                        ; implicit-def: $vgpr2_vgpr3
; %bb.1308:
	s_andn2_saveexec_b64 s[2:3], s[2:3]
; %bb.1309:
	v_mov_b32_e32 v2, 0
	v_or_b32_e32 v6, 0x10000, v3
	v_cmp_eq_u32_sdwa vcc, v3, v2 src0_sel:WORD_0 src1_sel:DWORD
	s_nop 1
	v_cndmask_b32_e32 v6, v6, v3, vcc
; %bb.1310:
	s_or_b64 exec, exec, s[2:3]
	s_mov_b32 s2, 0x7f800000
	v_and_b32_e32 v2, 0x7f800000, v4
	v_cmp_ne_u32_e32 vcc, s2, v2
	flat_store_short_d16_hi v[0:1], v6 offset:288
                                        ; implicit-def: $vgpr2
	s_and_saveexec_b64 s[2:3], vcc
	s_xor_b64 s[2:3], exec, s[2:3]
; %bb.1311:
	v_bfe_u32 v2, v4, 16, 1
	s_movk_i32 s4, 0x7fff
	v_add3_u32 v2, v4, v2, s4
; %bb.1312:
	s_andn2_saveexec_b64 s[2:3], s[2:3]
; %bb.1313:
	v_mov_b32_e32 v2, 0
	v_or_b32_e32 v3, 0x10000, v4
	v_cmp_eq_u32_sdwa vcc, v4, v2 src0_sel:WORD_0 src1_sel:DWORD
	s_nop 1
	v_cndmask_b32_e32 v2, v3, v4, vcc
; %bb.1314:
	s_or_b64 exec, exec, s[2:3]
	flat_store_short_d16_hi v[0:1], v2 offset:320
	s_mov_b32 s2, 0x7f800000
	v_and_b32_e32 v2, 0x7f800000, v5
	v_cmp_ne_u32_e32 vcc, s2, v2
                                        ; implicit-def: $vgpr2
	s_and_saveexec_b64 s[2:3], vcc
	s_xor_b64 s[2:3], exec, s[2:3]
; %bb.1315:
	v_bfe_u32 v2, v5, 16, 1
	s_movk_i32 s4, 0x7fff
	v_add3_u32 v2, v5, v2, s4
                                        ; implicit-def: $vgpr4_vgpr5
; %bb.1316:
	s_andn2_saveexec_b64 s[2:3], s[2:3]
; %bb.1317:
	v_mov_b32_e32 v2, 0
	v_or_b32_e32 v3, 0x10000, v5
	v_cmp_eq_u32_sdwa vcc, v5, v2 src0_sel:WORD_0 src1_sel:DWORD
	s_nop 1
	v_cndmask_b32_e32 v2, v3, v5, vcc
; %bb.1318:
	s_or_b64 exec, exec, s[2:3]
	flat_store_short_d16_hi v[0:1], v2 offset:352
.LBB350_1319:
	s_or_b64 exec, exec, s[0:1]
	scratch_load_dword a63, off, s32        ; 4-byte Folded Reload
	scratch_load_dword a62, off, s32 offset:4 ; 4-byte Folded Reload
	scratch_load_dword a61, off, s32 offset:8 ; 4-byte Folded Reload
	;; [unrolled: 1-line block ×46, first 2 shown]
	v_readlane_b32 s30, v63, 0
	v_readlane_b32 s31, v63, 1
	s_or_saveexec_b64 s[0:1], -1
	scratch_load_dword v63, off, s32 offset:632 ; 4-byte Folded Reload
	s_mov_b64 exec, s[0:1]
	s_waitcnt vmcnt(0) lgkmcnt(0)
	s_setpc_b64 s[30:31]
.LBB350_1320:
	s_ashr_i32 s17, s16, 31
	s_lshl_b64 s[6:7], s[16:17], 2
	s_getpc_b64 s[8:9]
	s_add_u32 s8, s8, llvm.amdgcn.dynlds.offset.table@rel32@lo+4
	s_addc_u32 s9, s9, llvm.amdgcn.dynlds.offset.table@rel32@hi+12
	s_add_u32 s6, s6, s8
	s_addc_u32 s7, s7, s9
	s_load_dword s6, s[6:7], 0x0
	s_waitcnt lgkmcnt(0)
	v_lshl_add_u32 v1, v0, 2, s6
	ds_read_b32 v1, v1
	s_waitcnt lgkmcnt(0)
	v_add_f32_e32 v18, v1, v18
	s_or_b64 exec, exec, s[4:5]
	s_and_saveexec_b64 s[4:5], s[0:1]
	s_cbranch_execz .LBB350_1256
.LBB350_1321:
	s_ashr_i32 s17, s16, 31
	s_lshl_b64 s[6:7], s[16:17], 2
	s_getpc_b64 s[8:9]
	s_add_u32 s8, s8, llvm.amdgcn.dynlds.offset.table@rel32@lo+4
	s_addc_u32 s9, s9, llvm.amdgcn.dynlds.offset.table@rel32@hi+12
	s_add_u32 s6, s6, s8
	s_addc_u32 s7, s7, s9
	s_load_dword s6, s[6:7], 0x0
	s_waitcnt lgkmcnt(0)
	v_lshl_add_u32 v1, v0, 2, s6
	ds_read_b32 v1, v1 offset:64
	s_waitcnt lgkmcnt(0)
	v_add_f32_e32 v19, v1, v19
	s_or_b64 exec, exec, s[4:5]
	s_and_saveexec_b64 s[4:5], s[0:1]
	s_cbranch_execz .LBB350_1257
.LBB350_1322:
	s_ashr_i32 s17, s16, 31
	s_lshl_b64 s[6:7], s[16:17], 2
	s_getpc_b64 s[8:9]
	s_add_u32 s8, s8, llvm.amdgcn.dynlds.offset.table@rel32@lo+4
	s_addc_u32 s9, s9, llvm.amdgcn.dynlds.offset.table@rel32@hi+12
	s_add_u32 s6, s6, s8
	s_addc_u32 s7, s7, s9
	s_load_dword s6, s[6:7], 0x0
	s_waitcnt lgkmcnt(0)
	v_lshl_add_u32 v1, v0, 2, s6
	ds_read_b32 v1, v1 offset:128
	s_waitcnt lgkmcnt(0)
	v_add_f32_e32 v10, v1, v10
	s_or_b64 exec, exec, s[4:5]
	s_and_saveexec_b64 s[4:5], s[0:1]
	s_cbranch_execz .LBB350_1258
.LBB350_1323:
	s_ashr_i32 s17, s16, 31
	s_lshl_b64 s[6:7], s[16:17], 2
	s_getpc_b64 s[8:9]
	s_add_u32 s8, s8, llvm.amdgcn.dynlds.offset.table@rel32@lo+4
	s_addc_u32 s9, s9, llvm.amdgcn.dynlds.offset.table@rel32@hi+12
	s_add_u32 s6, s6, s8
	s_addc_u32 s7, s7, s9
	s_load_dword s6, s[6:7], 0x0
	s_waitcnt lgkmcnt(0)
	v_lshl_add_u32 v1, v0, 2, s6
	ds_read_b32 v1, v1 offset:192
	s_waitcnt lgkmcnt(0)
	v_add_f32_e32 v11, v1, v11
	s_or_b64 exec, exec, s[4:5]
	s_and_saveexec_b64 s[4:5], s[0:1]
	s_cbranch_execz .LBB350_1259
.LBB350_1324:
	s_ashr_i32 s17, s16, 31
	s_lshl_b64 s[6:7], s[16:17], 2
	s_getpc_b64 s[8:9]
	s_add_u32 s8, s8, llvm.amdgcn.dynlds.offset.table@rel32@lo+4
	s_addc_u32 s9, s9, llvm.amdgcn.dynlds.offset.table@rel32@hi+12
	s_add_u32 s6, s6, s8
	s_addc_u32 s7, s7, s9
	s_load_dword s6, s[6:7], 0x0
	s_waitcnt lgkmcnt(0)
	v_lshl_add_u32 v1, v0, 2, s6
	ds_read_b32 v1, v1 offset:256
	s_waitcnt lgkmcnt(0)
	v_add_f32_e32 v8, v1, v8
	s_or_b64 exec, exec, s[4:5]
	s_and_saveexec_b64 s[4:5], s[0:1]
	s_cbranch_execz .LBB350_1260
.LBB350_1325:
	s_ashr_i32 s17, s16, 31
	s_lshl_b64 s[6:7], s[16:17], 2
	s_getpc_b64 s[8:9]
	s_add_u32 s8, s8, llvm.amdgcn.dynlds.offset.table@rel32@lo+4
	s_addc_u32 s9, s9, llvm.amdgcn.dynlds.offset.table@rel32@hi+12
	s_add_u32 s6, s6, s8
	s_addc_u32 s7, s7, s9
	s_load_dword s6, s[6:7], 0x0
	s_waitcnt lgkmcnt(0)
	v_lshl_add_u32 v1, v0, 2, s6
	ds_read_b32 v1, v1 offset:320
	s_waitcnt lgkmcnt(0)
	v_add_f32_e32 v9, v1, v9
	s_or_b64 exec, exec, s[4:5]
	s_and_saveexec_b64 s[4:5], s[0:1]
	s_cbranch_execz .LBB350_1261
.LBB350_1326:
	s_ashr_i32 s17, s16, 31
	s_lshl_b64 s[6:7], s[16:17], 2
	s_getpc_b64 s[8:9]
	s_add_u32 s8, s8, llvm.amdgcn.dynlds.offset.table@rel32@lo+4
	s_addc_u32 s9, s9, llvm.amdgcn.dynlds.offset.table@rel32@hi+12
	s_add_u32 s6, s6, s8
	s_addc_u32 s7, s7, s9
	s_load_dword s6, s[6:7], 0x0
	s_waitcnt lgkmcnt(0)
	v_lshl_add_u32 v1, v0, 2, s6
	ds_read_b32 v1, v1 offset:384
	s_waitcnt lgkmcnt(0)
	v_add_f32_e32 v6, v1, v6
	s_or_b64 exec, exec, s[4:5]
	s_and_saveexec_b64 s[4:5], s[0:1]
	s_cbranch_execz .LBB350_1262
.LBB350_1327:
	s_ashr_i32 s17, s16, 31
	s_lshl_b64 s[6:7], s[16:17], 2
	s_getpc_b64 s[8:9]
	s_add_u32 s8, s8, llvm.amdgcn.dynlds.offset.table@rel32@lo+4
	s_addc_u32 s9, s9, llvm.amdgcn.dynlds.offset.table@rel32@hi+12
	s_add_u32 s6, s6, s8
	s_addc_u32 s7, s7, s9
	s_load_dword s6, s[6:7], 0x0
	s_waitcnt lgkmcnt(0)
	v_lshl_add_u32 v1, v0, 2, s6
	ds_read_b32 v1, v1 offset:448
	s_waitcnt lgkmcnt(0)
	v_add_f32_e32 v7, v1, v7
	s_or_b64 exec, exec, s[4:5]
	s_and_saveexec_b64 s[4:5], s[0:1]
	s_cbranch_execz .LBB350_1263
.LBB350_1328:
	s_ashr_i32 s17, s16, 31
	s_lshl_b64 s[6:7], s[16:17], 2
	s_getpc_b64 s[8:9]
	s_add_u32 s8, s8, llvm.amdgcn.dynlds.offset.table@rel32@lo+4
	s_addc_u32 s9, s9, llvm.amdgcn.dynlds.offset.table@rel32@hi+12
	s_add_u32 s6, s6, s8
	s_addc_u32 s7, s7, s9
	s_load_dword s6, s[6:7], 0x0
	s_waitcnt lgkmcnt(0)
	v_lshl_add_u32 v1, v0, 2, s6
	ds_read_b32 v1, v1 offset:512
	s_waitcnt lgkmcnt(0)
	v_add_f32_e32 v2, v1, v2
	s_or_b64 exec, exec, s[4:5]
	s_and_saveexec_b64 s[4:5], s[0:1]
	s_cbranch_execz .LBB350_1264
.LBB350_1329:
	s_ashr_i32 s17, s16, 31
	s_lshl_b64 s[6:7], s[16:17], 2
	s_getpc_b64 s[8:9]
	s_add_u32 s8, s8, llvm.amdgcn.dynlds.offset.table@rel32@lo+4
	s_addc_u32 s9, s9, llvm.amdgcn.dynlds.offset.table@rel32@hi+12
	s_add_u32 s6, s6, s8
	s_addc_u32 s7, s7, s9
	s_load_dword s6, s[6:7], 0x0
	s_waitcnt lgkmcnt(0)
	v_lshl_add_u32 v1, v0, 2, s6
	ds_read_b32 v1, v1 offset:576
	s_waitcnt lgkmcnt(0)
	v_add_f32_e32 v3, v1, v3
	s_or_b64 exec, exec, s[4:5]
	s_and_saveexec_b64 s[4:5], s[0:1]
	s_cbranch_execz .LBB350_1265
.LBB350_1330:
	s_ashr_i32 s17, s16, 31
	s_lshl_b64 s[6:7], s[16:17], 2
	s_getpc_b64 s[8:9]
	s_add_u32 s8, s8, llvm.amdgcn.dynlds.offset.table@rel32@lo+4
	s_addc_u32 s9, s9, llvm.amdgcn.dynlds.offset.table@rel32@hi+12
	s_add_u32 s6, s6, s8
	s_addc_u32 s7, s7, s9
	s_load_dword s6, s[6:7], 0x0
	s_waitcnt lgkmcnt(0)
	v_lshl_add_u32 v1, v0, 2, s6
	ds_read_b32 v1, v1 offset:640
	s_waitcnt lgkmcnt(0)
	v_add_f32_e32 v4, v1, v4
	s_or_b64 exec, exec, s[4:5]
	s_and_saveexec_b64 s[4:5], s[0:1]
	s_cbranch_execnz .LBB350_1266
	s_branch .LBB350_1267
.Lfunc_end350:
	.size	_ZN4vllm22paged_attention_kernelI14__hip_bfloat16hLi192ELi32ELi128ELNS_18Fp8KVCacheDataTypeE1ELb0ELi0EEEvPfS3_PT_PKS4_PKT0_SA_ifPKiSC_iPKfiiiSE_SE_iiiii, .Lfunc_end350-_ZN4vllm22paged_attention_kernelI14__hip_bfloat16hLi192ELi32ELi128ELNS_18Fp8KVCacheDataTypeE1ELb0ELi0EEEvPfS3_PT_PKS4_PKT0_SA_ifPKiSC_iPKfiiiSE_SE_iiiii
                                        ; -- End function
	.section	.AMDGPU.csdata,"",@progbits
; Function info:
; codeLenInByte = 45500
; NumSgprs: 39
; NumVgprs: 64
; NumAgprs: 64
; TotalNumVgprs: 128
; ScratchSize: 640
; MemoryBound: 0
	.section	.text._ZN4vllm25paged_attention_v1_kernelI14__hip_bfloat16hLi192ELi32ELi128ELNS_18Fp8KVCacheDataTypeE1ELb0EEEvPT_PKS3_PKT0_S9_ifPKiSB_iPKfiiiSD_SD_iiiii,"axG",@progbits,_ZN4vllm25paged_attention_v1_kernelI14__hip_bfloat16hLi192ELi32ELi128ELNS_18Fp8KVCacheDataTypeE1ELb0EEEvPT_PKS3_PKT0_S9_ifPKiSB_iPKfiiiSD_SD_iiiii,comdat
	.protected	_ZN4vllm25paged_attention_v1_kernelI14__hip_bfloat16hLi192ELi32ELi128ELNS_18Fp8KVCacheDataTypeE1ELb0EEEvPT_PKS3_PKT0_S9_ifPKiSB_iPKfiiiSD_SD_iiiii ; -- Begin function _ZN4vllm25paged_attention_v1_kernelI14__hip_bfloat16hLi192ELi32ELi128ELNS_18Fp8KVCacheDataTypeE1ELb0EEEvPT_PKS3_PKT0_S9_ifPKiSB_iPKfiiiSD_SD_iiiii
	.globl	_ZN4vllm25paged_attention_v1_kernelI14__hip_bfloat16hLi192ELi32ELi128ELNS_18Fp8KVCacheDataTypeE1ELb0EEEvPT_PKS3_PKT0_S9_ifPKiSB_iPKfiiiSD_SD_iiiii
	.p2align	8
	.type	_ZN4vllm25paged_attention_v1_kernelI14__hip_bfloat16hLi192ELi32ELi128ELNS_18Fp8KVCacheDataTypeE1ELb0EEEvPT_PKS3_PKT0_S9_ifPKiSB_iPKfiiiSD_SD_iiiii,@function
_ZN4vllm25paged_attention_v1_kernelI14__hip_bfloat16hLi192ELi32ELi128ELNS_18Fp8KVCacheDataTypeE1ELb0EEEvPT_PKS3_PKT0_S9_ifPKiSB_iPKfiiiSD_SD_iiiii: ; @_ZN4vllm25paged_attention_v1_kernelI14__hip_bfloat16hLi192ELi32ELi128ELNS_18Fp8KVCacheDataTypeE1ELb0EEEvPT_PKS3_PKT0_S9_ifPKiSB_iPKfiiiSD_SD_iiiii
; %bb.0:
	s_load_dwordx8 s[16:23], s[0:1], 0x0
	s_load_dwordx4 s[36:39], s[0:1], 0x20
	s_load_dwordx2 s[6:7], s[0:1], 0x30
	s_load_dword s5, s[0:1], 0x38
	s_load_dwordx2 s[10:11], s[0:1], 0x40
	s_load_dwordx8 s[24:31], s[0:1], 0x48
	s_add_u32 s8, s0, 0x80
	s_addc_u32 s9, s1, 0
	s_mov_b32 s12, s2
	s_mov_b32 s13, s3
	;; [unrolled: 1-line block ×4, first 2 shown]
	v_mov_b32_e32 v31, v0
	s_waitcnt lgkmcnt(0)
	v_mov_b32_e32 v0, s16
	v_mov_b32_e32 v1, s17
	;; [unrolled: 1-line block ×24, first 2 shown]
	s_mov_b32 s32, 0
	s_getpc_b64 s[0:1]
	s_add_u32 s0, s0, _ZN4vllm22paged_attention_kernelI14__hip_bfloat16hLi192ELi32ELi128ELNS_18Fp8KVCacheDataTypeE1ELb0ELi0EEEvPfS3_PT_PKS4_PKT0_SA_ifPKiSC_iPKfiiiSE_SE_iiiii@rel32@lo+4
	s_addc_u32 s1, s1, _ZN4vllm22paged_attention_kernelI14__hip_bfloat16hLi192ELi32ELi128ELNS_18Fp8KVCacheDataTypeE1ELb0ELi0EEEvPfS3_PT_PKS4_PKT0_SA_ifPKiSC_iPKfiiiSE_SE_iiiii@rel32@hi+12
	s_swappc_b64 s[30:31], s[0:1]
	s_endpgm
	.section	.rodata,"a",@progbits
	.p2align	6, 0x0
	.amdhsa_kernel _ZN4vllm25paged_attention_v1_kernelI14__hip_bfloat16hLi192ELi32ELi128ELNS_18Fp8KVCacheDataTypeE1ELb0EEEvPT_PKS3_PKT0_S9_ifPKiSB_iPKfiiiSD_SD_iiiii
		.amdhsa_group_segment_fixed_size 400
		.amdhsa_private_segment_fixed_size 640
		.amdhsa_kernarg_size 384
		.amdhsa_user_sgpr_count 2
		.amdhsa_user_sgpr_dispatch_ptr 0
		.amdhsa_user_sgpr_queue_ptr 0
		.amdhsa_user_sgpr_kernarg_segment_ptr 1
		.amdhsa_user_sgpr_dispatch_id 0
		.amdhsa_user_sgpr_kernarg_preload_length 0
		.amdhsa_user_sgpr_kernarg_preload_offset 0
		.amdhsa_user_sgpr_private_segment_size 0
		.amdhsa_uses_dynamic_stack 0
		.amdhsa_enable_private_segment 1
		.amdhsa_system_sgpr_workgroup_id_x 1
		.amdhsa_system_sgpr_workgroup_id_y 1
		.amdhsa_system_sgpr_workgroup_id_z 1
		.amdhsa_system_sgpr_workgroup_info 0
		.amdhsa_system_vgpr_workitem_id 0
		.amdhsa_next_free_vgpr 128
		.amdhsa_next_free_sgpr 40
		.amdhsa_accum_offset 64
		.amdhsa_reserve_vcc 1
		.amdhsa_float_round_mode_32 0
		.amdhsa_float_round_mode_16_64 0
		.amdhsa_float_denorm_mode_32 3
		.amdhsa_float_denorm_mode_16_64 3
		.amdhsa_dx10_clamp 1
		.amdhsa_ieee_mode 1
		.amdhsa_fp16_overflow 0
		.amdhsa_tg_split 0
		.amdhsa_exception_fp_ieee_invalid_op 0
		.amdhsa_exception_fp_denorm_src 0
		.amdhsa_exception_fp_ieee_div_zero 0
		.amdhsa_exception_fp_ieee_overflow 0
		.amdhsa_exception_fp_ieee_underflow 0
		.amdhsa_exception_fp_ieee_inexact 0
		.amdhsa_exception_int_div_zero 0
	.end_amdhsa_kernel
	.section	.text._ZN4vllm25paged_attention_v1_kernelI14__hip_bfloat16hLi192ELi32ELi128ELNS_18Fp8KVCacheDataTypeE1ELb0EEEvPT_PKS3_PKT0_S9_ifPKiSB_iPKfiiiSD_SD_iiiii,"axG",@progbits,_ZN4vllm25paged_attention_v1_kernelI14__hip_bfloat16hLi192ELi32ELi128ELNS_18Fp8KVCacheDataTypeE1ELb0EEEvPT_PKS3_PKT0_S9_ifPKiSB_iPKfiiiSD_SD_iiiii,comdat
.Lfunc_end351:
	.size	_ZN4vllm25paged_attention_v1_kernelI14__hip_bfloat16hLi192ELi32ELi128ELNS_18Fp8KVCacheDataTypeE1ELb0EEEvPT_PKS3_PKT0_S9_ifPKiSB_iPKfiiiSD_SD_iiiii, .Lfunc_end351-_ZN4vllm25paged_attention_v1_kernelI14__hip_bfloat16hLi192ELi32ELi128ELNS_18Fp8KVCacheDataTypeE1ELb0EEEvPT_PKS3_PKT0_S9_ifPKiSB_iPKfiiiSD_SD_iiiii
                                        ; -- End function
	.section	.AMDGPU.csdata,"",@progbits
; Kernel info:
; codeLenInByte = 212
; NumSgprs: 46
; NumVgprs: 64
; NumAgprs: 64
; TotalNumVgprs: 128
; ScratchSize: 640
; MemoryBound: 0
; FloatMode: 240
; IeeeMode: 1
; LDSByteSize: 400 bytes/workgroup (compile time only)
; SGPRBlocks: 5
; VGPRBlocks: 15
; NumSGPRsForWavesPerEU: 46
; NumVGPRsForWavesPerEU: 128
; AccumOffset: 64
; Occupancy: 4
; WaveLimiterHint : 1
; COMPUTE_PGM_RSRC2:SCRATCH_EN: 1
; COMPUTE_PGM_RSRC2:USER_SGPR: 2
; COMPUTE_PGM_RSRC2:TRAP_HANDLER: 0
; COMPUTE_PGM_RSRC2:TGID_X_EN: 1
; COMPUTE_PGM_RSRC2:TGID_Y_EN: 1
; COMPUTE_PGM_RSRC2:TGID_Z_EN: 1
; COMPUTE_PGM_RSRC2:TIDIG_COMP_CNT: 0
; COMPUTE_PGM_RSRC3_GFX90A:ACCUM_OFFSET: 15
; COMPUTE_PGM_RSRC3_GFX90A:TG_SPLIT: 0
	.text
	.p2align	2                               ; -- Begin function _ZN4vllm22paged_attention_kernelI14__hip_bfloat16hLi256ELi32ELi128ELNS_18Fp8KVCacheDataTypeE1ELb0ELi0EEEvPfS3_PT_PKS4_PKT0_SA_ifPKiSC_iPKfiiiSE_SE_iiiii
	.type	_ZN4vllm22paged_attention_kernelI14__hip_bfloat16hLi256ELi32ELi128ELNS_18Fp8KVCacheDataTypeE1ELb0ELi0EEEvPfS3_PT_PKS4_PKT0_SA_ifPKiSC_iPKfiiiSE_SE_iiiii,@function
_ZN4vllm22paged_attention_kernelI14__hip_bfloat16hLi256ELi32ELi128ELNS_18Fp8KVCacheDataTypeE1ELb0ELi0EEEvPfS3_PT_PKS4_PKT0_SA_ifPKiSC_iPKfiiiSE_SE_iiiii: ; @_ZN4vllm22paged_attention_kernelI14__hip_bfloat16hLi256ELi32ELi128ELNS_18Fp8KVCacheDataTypeE1ELb0ELi0EEEvPfS3_PT_PKS4_PKT0_SA_ifPKiSC_iPKfiiiSE_SE_iiiii
; %bb.0:
	s_waitcnt vmcnt(0) expcnt(0) lgkmcnt(0)
	s_or_saveexec_b64 s[0:1], -1
	scratch_store_dword off, v63, s32 offset:904 ; 4-byte Folded Spill
	s_mov_b64 exec, s[0:1]
	scratch_store_dword off, v40, s32 offset:184 ; 4-byte Folded Spill
	scratch_store_dword off, v41, s32 offset:180 ; 4-byte Folded Spill
	;; [unrolled: 1-line block ×46, first 2 shown]
	scratch_store_dword off, a63, s32       ; 4-byte Folded Spill
	v_writelane_b32 v63, s34, 0
	v_writelane_b32 v63, s35, 1
	;; [unrolled: 1-line block ×14, first 2 shown]
	s_nop 1
	v_writelane_b32 v63, s31, 14
	s_mov_b32 s16, s13
	s_ashr_i32 s17, s13, 31
	scratch_store_dwordx2 off, v[20:21], s32 offset:252 ; 8-byte Folded Spill
	scratch_store_dwordx2 off, v[18:19], s32 offset:196 ; 8-byte Folded Spill
	;; [unrolled: 1-line block ×3, first 2 shown]
	v_lshl_add_u64 v[0:1], s[16:17], 2, v[12:13]
	flat_load_dword v43, v[0:1]
	v_sub_u32_e32 v0, 0, v8
	v_max_i32_e32 v0, v8, v0
	v_cvt_f32_u32_e32 v1, v0
	scratch_store_dword off, v9, s32 offset:828 ; 4-byte Folded Spill
	s_load_dword s0, s[8:9], 0x10
	s_load_dword s2, s[8:9], 0x0
	v_mov_b32_e32 v39, v7
	v_rcp_iflag_f32_e32 v1, v1
	v_sub_u32_e32 v7, 0, v0
	s_waitcnt lgkmcnt(0)
	s_lshr_b32 s0, s0, 16
	s_cmp_lg_u32 s0, 0
	v_mul_f32_e32 v1, 0x4f7ffffe, v1
	v_cvt_u32_f32_e32 v1, v1
	s_cselect_b64 s[0:1], -1, 0
	s_cmp_lg_u64 s[0:1], 0
	s_mov_b32 s18, s15
	v_mul_lo_u32 v7, v7, v1
	s_addc_u32 s15, s2, 0
	v_mul_hi_u32 v7, v1, v7
	s_abs_i32 s0, s15
	v_add_u32_e32 v1, v1, v7
	v_mul_hi_u32 v1, s0, v1
	v_mul_lo_u32 v7, v1, v0
	v_sub_u32_e32 v7, s0, v7
	v_mov_b32_e32 v38, v6
	v_xor_b32_e32 v6, s15, v8
	v_add_u32_e32 v8, 1, v1
	v_cmp_ge_u32_e32 vcc, v7, v0
	v_ashrrev_i32_e32 v6, 31, v6
	v_mov_b32_e32 v25, v16
	v_cndmask_b32_e32 v1, v1, v8, vcc
	v_sub_u32_e32 v8, v7, v0
	v_cndmask_b32_e32 v7, v7, v8, vcc
	v_add_u32_e32 v8, 1, v1
	v_cmp_ge_u32_e32 vcc, v7, v0
	v_mov_b32_e32 v24, v15
	s_abs_i32 s6, s12
	v_cndmask_b32_e32 v0, v1, v8, vcc
	v_xor_b32_e32 v0, v0, v6
	v_sub_u32_e32 v0, v0, v6
	v_sub_u32_e32 v1, 0, v0
	v_max_i32_e32 v1, v0, v1
	v_cvt_f32_u32_e32 v6, v1
	v_sub_u32_e32 v7, 0, v1
	v_mov_b32_e32 v37, v11
	v_mov_b32_e32 v36, v10
	v_rcp_iflag_f32_e32 v6, v6
	v_cmp_ne_u64_e32 vcc, 0, v[24:25]
	v_mul_f32_e32 v6, 0x4f7ffffe, v6
	v_cvt_u32_f32_e32 v6, v6
	v_mul_lo_u32 v7, v7, v6
	v_mul_hi_u32 v7, v6, v7
	v_add_u32_e32 v6, v6, v7
	v_mad_u64_u32 v[12:13], s[0:1], s6, v6, 0
	v_mov_b32_e32 v6, 0
	scratch_store_dword off, v6, s32 offset:824 ; 4-byte Folded Spill
	s_and_saveexec_b64 s[0:1], vcc
	s_cbranch_execz .LBB352_2
; %bb.1:
	s_ashr_i32 s13, s12, 31
	v_lshl_add_u64 v[6:7], s[12:13], 2, v[24:25]
	flat_load_dword v6, v[6:7]
	s_waitcnt vmcnt(0) lgkmcnt(0)
	scratch_store_dword off, v6, s32 offset:824 ; 4-byte Folded Spill
.LBB352_2:
	s_or_b64 exec, exec, s[0:1]
	v_and_b32_e32 v15, 0x3ff, v31
	s_ashr_i32 s7, s12, 31
	v_ashrrev_i32_e32 v6, 31, v0
	v_and_b32_e32 v0, 1, v15
	s_lshl_b32 s12, s12, 8
	v_cmp_lt_u32_e64 s[2:3], 63, v15
	v_cmp_gt_u32_e64 s[0:1], 64, v15
	v_lshlrev_b32_e32 v48, 3, v15
	s_and_saveexec_b64 s[4:5], s[0:1]
	s_cbranch_execz .LBB352_4
; %bb.3:
	v_mul_lo_u32 v8, s16, v17
	v_ashrrev_i32_e32 v9, 31, v8
	v_lshl_add_u64 v[2:3], v[8:9], 1, v[2:3]
	s_ashr_i32 s13, s12, 31
	v_lshl_add_u64 v[2:3], s[12:13], 1, v[2:3]
	v_mov_b32_e32 v49, 0
	v_lshl_add_u64 v[2:3], v[2:3], 0, v[48:49]
	flat_load_dwordx2 v[2:3], v[2:3]
	v_lshlrev_b32_e32 v7, 2, v15
	v_and_b32_e32 v7, 0xff8, v7
	v_lshl_add_u32 v7, v0, 8, v7
	s_waitcnt vmcnt(0) lgkmcnt(0)
	ds_write_b64 v7, v[2:3]
.LBB352_4:
	s_or_b64 exec, exec, s[4:5]
	s_waitcnt vmcnt(0)
	v_add_u32_e32 v2, 31, v43
	v_ashrrev_i32_e32 v3, 31, v2
	v_lshrrev_b32_e32 v3, 27, v3
	v_add_u32_e32 v2, v2, v3
	v_mul_lo_u32 v3, v13, v1
	v_sub_u32_e32 v3, s6, v3
	v_ashrrev_i32_e32 v8, 5, v2
	v_xor_b32_e32 v2, s7, v6
	v_add_u32_e32 v6, 1, v13
	v_cmp_ge_u32_e32 vcc, v3, v1
	v_sub_u32_e32 v7, v3, v1
	v_lshrrev_b32_e32 v9, 6, v15
	v_cndmask_b32_e32 v6, v13, v6, vcc
	v_cndmask_b32_e32 v3, v3, v7, vcc
	v_add_u32_e32 v7, 1, v6
	v_cmp_ge_u32_e32 vcc, v3, v1
	v_mul_lo_u32 v50, s16, v14
	v_ashrrev_i32_e32 v51, 31, v50
	v_cndmask_b32_e32 v1, v6, v7, vcc
	v_xor_b32_e32 v1, v1, v2
	v_sub_u32_e32 v2, v1, v2
	v_cmp_lt_i32_e64 s[4:5], v9, v8
	v_cmp_ge_i32_e32 vcc, v9, v8
	v_mbcnt_lo_u32_b32 v1, -1, 0
	s_waitcnt lgkmcnt(0)
	s_barrier
	scratch_store_dword off, v8, s32 offset:192 ; 4-byte Folded Spill
	scratch_store_dword off, v9, s32 offset:188 ; 4-byte Folded Spill
                                        ; implicit-def: $sgpr19
                                        ; implicit-def: $vgpr8
                                        ; implicit-def: $vgpr9
	s_and_saveexec_b64 s[6:7], vcc
	s_xor_b64 s[6:7], exec, s[6:7]
	s_cbranch_execz .LBB352_6
; %bb.5:
	v_mbcnt_hi_u32_b32 v8, -1, v1
	v_and_b32_e32 v0, 64, v8
	v_add_u32_e32 v9, 64, v0
                                        ; implicit-def: $vgpr0
                                        ; kill: killed $vgpr0
                                        ; implicit-def: $vgpr0
	s_mov_b32 s19, 0xff7fffff
                                        ; kill: killed $vgpr0
                                        ; implicit-def: $vgpr0
	scratch_store_dwordx2 off, v[0:1], s32 offset:252 ; 8-byte Folded Spill
                                        ; implicit-def: $vgpr4
                                        ; implicit-def: $vgpr0
                                        ; implicit-def: $vgpr1
.LBB352_6:
	s_or_saveexec_b64 s[10:11], s[6:7]
	s_load_dword s17, s[8:9], 0x14
	s_load_dword s13, s[8:9], 0x8
	v_mul_lo_u32 v52, v2, v19
	v_mov_b32_e32 v3, s19
	v_ashrrev_i32_e32 v53, 31, v52
	v_lshrrev_b32_e32 v49, 4, v15
	scratch_store_dword off, v15, s32 offset:832 ; 4-byte Folded Spill
	s_xor_b64 exec, exec, s[10:11]
	s_cbranch_execz .LBB352_524
; %bb.7:
	scratch_store_dwordx2 off, v[48:49], s32 offset:872 ; 8-byte Folded Spill
	scratch_store_dwordx2 off, v[38:39], s32 offset:880 ; 8-byte Folded Spill
	;; [unrolled: 1-line block ×3, first 2 shown]
	v_lshlrev_b32_e32 v2, 8, v0
	ds_read_b128 v[6:9], v2
	ds_read_b128 v[10:13], v2 offset:16
	v_mov_b32_e32 v22, v15
	ds_read_b128 v[14:17], v2 offset:32
	ds_read_b128 v[18:21], v2 offset:48
	v_mbcnt_hi_u32_b32 v1, -1, v1
	s_waitcnt lgkmcnt(0)
	v_lshlrev_b32_e32 v3, 16, v6
	scratch_store_dword off, v3, s32 offset:264 ; 4-byte Folded Spill
	v_and_b32_e32 v3, 0xffff0000, v6
	scratch_store_dword off, v3, s32 offset:268 ; 4-byte Folded Spill
	v_lshlrev_b32_e32 v3, 16, v7
	scratch_store_dword off, v3, s32 offset:272 ; 4-byte Folded Spill
	v_and_b32_e32 v3, 0xffff0000, v7
	scratch_store_dword off, v3, s32 offset:276 ; 4-byte Folded Spill
	;; [unrolled: 4-line block ×13, first 2 shown]
	v_lshlrev_b32_e32 v3, 16, v19
	scratch_store_dword off, v3, s32 offset:368 ; 4-byte Folded Spill
	v_and_b32_e32 v3, 0xffff0000, v19
	ds_read_b128 v[6:9], v2 offset:64
	ds_read_b128 v[10:13], v2 offset:80
	scratch_store_dword off, v3, s32 offset:372 ; 4-byte Folded Spill
	v_lshlrev_b32_e32 v3, 16, v20
	scratch_store_dword off, v3, s32 offset:376 ; 4-byte Folded Spill
	v_and_b32_e32 v3, 0xffff0000, v20
	scratch_store_dword off, v3, s32 offset:380 ; 4-byte Folded Spill
	v_lshlrev_b32_e32 v3, 16, v21
	scratch_store_dword off, v3, s32 offset:384 ; 4-byte Folded Spill
	v_and_b32_e32 v3, 0xffff0000, v21
	scratch_store_dword off, v3, s32 offset:392 ; 4-byte Folded Spill
	s_waitcnt lgkmcnt(1)
	v_lshlrev_b32_e32 v3, 16, v6
	scratch_store_dword off, v3, s32 offset:400 ; 4-byte Folded Spill
	v_and_b32_e32 v3, 0xffff0000, v6
	scratch_store_dword off, v3, s32 offset:408 ; 4-byte Folded Spill
	v_lshlrev_b32_e32 v3, 16, v7
	scratch_store_dword off, v3, s32 offset:416 ; 4-byte Folded Spill
	v_and_b32_e32 v3, 0xffff0000, v7
	scratch_store_dword off, v3, s32 offset:424 ; 4-byte Folded Spill
	;; [unrolled: 4-line block ×4, first 2 shown]
	s_waitcnt lgkmcnt(0)
	v_lshlrev_b32_e32 v3, 16, v10
	scratch_store_dword off, v3, s32 offset:460 ; 4-byte Folded Spill
	v_and_b32_e32 v3, 0xffff0000, v10
	scratch_store_dword off, v3, s32 offset:464 ; 4-byte Folded Spill
	v_lshlrev_b32_e32 v3, 16, v11
	scratch_store_dword off, v3, s32 offset:468 ; 4-byte Folded Spill
	v_and_b32_e32 v3, 0xffff0000, v11
	scratch_store_dword off, v3, s32 offset:472 ; 4-byte Folded Spill
	;; [unrolled: 4-line block ×4, first 2 shown]
	ds_read_b128 v[6:9], v2 offset:96
	ds_read_b128 v[10:13], v2 offset:112
	v_cmp_eq_u32_e64 s[6:7], 0, v0
	s_ashr_i32 s19, s18, 31
	s_lshl_b64 s[20:21], s[18:19], 2
	s_waitcnt lgkmcnt(1)
	v_lshlrev_b32_e32 v3, 16, v6
	scratch_store_dword off, v3, s32 offset:492 ; 4-byte Folded Spill
	v_and_b32_e32 v3, 0xffff0000, v6
	scratch_store_dword off, v3, s32 offset:496 ; 4-byte Folded Spill
	v_lshlrev_b32_e32 v3, 16, v7
	scratch_store_dword off, v3, s32 offset:500 ; 4-byte Folded Spill
	v_and_b32_e32 v3, 0xffff0000, v7
	scratch_store_dword off, v3, s32 offset:504 ; 4-byte Folded Spill
	;; [unrolled: 4-line block ×4, first 2 shown]
	s_waitcnt lgkmcnt(0)
	v_lshlrev_b32_e32 v3, 16, v10
	scratch_store_dword off, v3, s32 offset:524 ; 4-byte Folded Spill
	v_and_b32_e32 v3, 0xffff0000, v10
	scratch_store_dword off, v3, s32 offset:528 ; 4-byte Folded Spill
	v_lshlrev_b32_e32 v3, 16, v11
	scratch_store_dword off, v3, s32 offset:532 ; 4-byte Folded Spill
	v_and_b32_e32 v3, 0xffff0000, v11
	scratch_store_dword off, v3, s32 offset:536 ; 4-byte Folded Spill
	v_lshlrev_b32_e32 v3, 16, v12
	scratch_store_dword off, v3, s32 offset:540 ; 4-byte Folded Spill
	v_and_b32_e32 v3, 0xffff0000, v12
	scratch_store_dword off, v3, s32 offset:544 ; 4-byte Folded Spill
	v_lshlrev_b32_e32 v3, 16, v13
	scratch_store_dword off, v3, s32 offset:548 ; 4-byte Folded Spill
	v_and_b32_e32 v3, 0xffff0000, v13
	scratch_store_dword off, v3, s32 offset:552 ; 4-byte Folded Spill
	ds_read_b128 v[6:9], v2 offset:128
	ds_read_b128 v[10:13], v2 offset:144
	s_getpc_b64 s[22:23]
	s_add_u32 s22, s22, llvm.amdgcn.dynlds.offset.table@rel32@lo+4
	s_addc_u32 s23, s23, llvm.amdgcn.dynlds.offset.table@rel32@hi+12
	s_add_u32 s20, s20, s22
	s_addc_u32 s21, s21, s23
	s_waitcnt lgkmcnt(1)
	v_lshlrev_b32_e32 v3, 16, v6
	scratch_store_dword off, v3, s32 offset:556 ; 4-byte Folded Spill
	v_and_b32_e32 v3, 0xffff0000, v6
	scratch_store_dword off, v3, s32 offset:560 ; 4-byte Folded Spill
	v_lshlrev_b32_e32 v3, 16, v7
	scratch_store_dword off, v3, s32 offset:564 ; 4-byte Folded Spill
	v_and_b32_e32 v3, 0xffff0000, v7
	scratch_store_dword off, v3, s32 offset:568 ; 4-byte Folded Spill
	;; [unrolled: 4-line block ×4, first 2 shown]
	s_waitcnt lgkmcnt(0)
	v_lshlrev_b32_e32 v3, 16, v10
	scratch_store_dword off, v3, s32 offset:588 ; 4-byte Folded Spill
	v_and_b32_e32 v3, 0xffff0000, v10
	scratch_store_dword off, v3, s32 offset:592 ; 4-byte Folded Spill
	v_lshlrev_b32_e32 v3, 16, v11
	scratch_store_dword off, v3, s32 offset:596 ; 4-byte Folded Spill
	v_and_b32_e32 v3, 0xffff0000, v11
	scratch_store_dword off, v3, s32 offset:600 ; 4-byte Folded Spill
	;; [unrolled: 4-line block ×4, first 2 shown]
	ds_read_b128 v[6:9], v2 offset:160
	ds_read_b128 v[10:13], v2 offset:176
	s_mov_b64 s[22:23], 0
	s_mov_b32 s19, 0x7f800000
	s_movk_i32 s44, 0x7fff
	s_waitcnt lgkmcnt(1)
	v_lshlrev_b32_e32 v3, 16, v6
	scratch_store_dword off, v3, s32 offset:620 ; 4-byte Folded Spill
	v_and_b32_e32 v3, 0xffff0000, v6
	scratch_store_dword off, v3, s32 offset:624 ; 4-byte Folded Spill
	v_lshlrev_b32_e32 v3, 16, v7
	scratch_store_dword off, v3, s32 offset:628 ; 4-byte Folded Spill
	v_and_b32_e32 v3, 0xffff0000, v7
	scratch_store_dword off, v3, s32 offset:632 ; 4-byte Folded Spill
	;; [unrolled: 4-line block ×4, first 2 shown]
	s_waitcnt lgkmcnt(0)
	v_lshlrev_b32_e32 v3, 16, v10
	scratch_store_dword off, v3, s32 offset:652 ; 4-byte Folded Spill
	v_and_b32_e32 v3, 0xffff0000, v10
	scratch_store_dword off, v3, s32 offset:656 ; 4-byte Folded Spill
	v_lshlrev_b32_e32 v3, 16, v11
	scratch_store_dword off, v3, s32 offset:660 ; 4-byte Folded Spill
	v_and_b32_e32 v3, 0xffff0000, v11
	scratch_store_dword off, v3, s32 offset:664 ; 4-byte Folded Spill
	v_lshlrev_b32_e32 v3, 16, v12
	scratch_store_dword off, v3, s32 offset:668 ; 4-byte Folded Spill
	v_and_b32_e32 v3, 0xffff0000, v12
	scratch_store_dword off, v3, s32 offset:672 ; 4-byte Folded Spill
	v_lshlrev_b32_e32 v3, 16, v13
	scratch_store_dword off, v3, s32 offset:676 ; 4-byte Folded Spill
	v_and_b32_e32 v3, 0xffff0000, v13
	scratch_store_dword off, v3, s32 offset:680 ; 4-byte Folded Spill
	ds_read_b128 v[6:9], v2 offset:192
	ds_read_b128 v[10:13], v2 offset:208
	s_mov_b64 s[24:25], 0x1000
	s_mov_b64 s[26:27], 0x1200
	;; [unrolled: 1-line block ×3, first 2 shown]
	s_waitcnt lgkmcnt(1)
	v_lshlrev_b32_e32 v3, 16, v6
	scratch_store_dword off, v3, s32 offset:684 ; 4-byte Folded Spill
	v_and_b32_e32 v3, 0xffff0000, v6
	scratch_store_dword off, v3, s32 offset:688 ; 4-byte Folded Spill
	v_lshlrev_b32_e32 v3, 16, v7
	scratch_store_dword off, v3, s32 offset:692 ; 4-byte Folded Spill
	v_and_b32_e32 v3, 0xffff0000, v7
	scratch_store_dword off, v3, s32 offset:696 ; 4-byte Folded Spill
	;; [unrolled: 4-line block ×4, first 2 shown]
	s_waitcnt lgkmcnt(0)
	v_lshlrev_b32_e32 v3, 16, v10
	scratch_store_dword off, v3, s32 offset:716 ; 4-byte Folded Spill
	v_and_b32_e32 v3, 0xffff0000, v10
	scratch_store_dword off, v3, s32 offset:720 ; 4-byte Folded Spill
	v_lshlrev_b32_e32 v3, 16, v11
	scratch_store_dword off, v3, s32 offset:724 ; 4-byte Folded Spill
	v_and_b32_e32 v3, 0xffff0000, v11
	scratch_store_dword off, v3, s32 offset:728 ; 4-byte Folded Spill
	v_lshlrev_b32_e32 v3, 16, v12
	scratch_store_dword off, v3, s32 offset:732 ; 4-byte Folded Spill
	v_and_b32_e32 v3, 0xffff0000, v12
	scratch_store_dword off, v3, s32 offset:736 ; 4-byte Folded Spill
	v_lshlrev_b32_e32 v3, 16, v13
	scratch_store_dword off, v3, s32 offset:740 ; 4-byte Folded Spill
	v_and_b32_e32 v3, 0xffff0000, v13
	scratch_store_dword off, v3, s32 offset:744 ; 4-byte Folded Spill
	ds_read_b128 v[6:9], v2 offset:224
	ds_read_b128 v[10:13], v2 offset:240
	s_mov_b64 s[30:31], 0x1600
	s_mov_b64 s[34:35], 0x1800
	;; [unrolled: 1-line block ×3, first 2 shown]
	s_waitcnt lgkmcnt(1)
	v_lshlrev_b32_e32 v2, 16, v6
	scratch_store_dword off, v2, s32 offset:748 ; 4-byte Folded Spill
	v_and_b32_e32 v2, 0xffff0000, v6
	scratch_store_dword off, v2, s32 offset:752 ; 4-byte Folded Spill
	v_lshlrev_b32_e32 v2, 16, v7
	scratch_store_dword off, v2, s32 offset:756 ; 4-byte Folded Spill
	v_and_b32_e32 v2, 0xffff0000, v7
	scratch_store_dword off, v2, s32 offset:760 ; 4-byte Folded Spill
	v_lshlrev_b32_e32 v2, 16, v8
	scratch_store_dword off, v2, s32 offset:764 ; 4-byte Folded Spill
	v_and_b32_e32 v2, 0xffff0000, v8
	scratch_store_dword off, v2, s32 offset:768 ; 4-byte Folded Spill
	v_lshlrev_b32_e32 v2, 16, v9
	scratch_store_dword off, v2, s32 offset:772 ; 4-byte Folded Spill
	v_and_b32_e32 v2, 0xffff0000, v9
	scratch_store_dword off, v2, s32 offset:776 ; 4-byte Folded Spill
	s_waitcnt lgkmcnt(0)
	v_lshlrev_b32_e32 v2, 16, v10
	scratch_store_dword off, v2, s32 offset:780 ; 4-byte Folded Spill
	v_and_b32_e32 v2, 0xffff0000, v10
	scratch_store_dword off, v2, s32 offset:784 ; 4-byte Folded Spill
	v_lshlrev_b32_e32 v2, 16, v11
	scratch_store_dword off, v2, s32 offset:788 ; 4-byte Folded Spill
	v_and_b32_e32 v2, 0xffff0000, v11
	scratch_store_dword off, v2, s32 offset:792 ; 4-byte Folded Spill
	;; [unrolled: 4-line block ×3, first 2 shown]
	v_lshlrev_b32_e32 v2, 16, v13
	scratch_store_dword off, v2, s32 offset:804 ; 4-byte Folded Spill
	v_and_b32_e32 v2, 0xffff0000, v13
	v_bfe_u32 v6, v22, 1, 5
	scratch_store_dword off, v2, s32 offset:808 ; 4-byte Folded Spill
	scratch_store_dwordx2 off, v[52:53], s32 offset:844 ; 8-byte Folded Spill
	v_lshl_add_u64 v[2:3], v[4:5], 0, v[52:53]
	v_lshlrev_b32_e32 v4, 4, v6
	v_mov_b32_e32 v5, 0
	v_lshl_add_u64 v[2:3], v[2:3], 0, v[4:5]
	v_lshlrev_b32_e32 v4, 2, v0
	v_and_b32_e32 v0, 64, v1
	scratch_store_dwordx2 off, v[2:3], s32 offset:816 ; 8-byte Folded Spill
	v_add_u32_e32 v2, 64, v0
	v_xor_b32_e32 v0, 1, v1
	v_cmp_lt_i32_e32 vcc, v0, v2
	scratch_load_dword v45, off, s32 offset:188 ; 4-byte Folded Reload
	s_mov_b64 s[38:39], 0x1c00
	v_cndmask_b32_e32 v0, v1, v0, vcc
	v_lshlrev_b32_e32 v0, 2, v0
	scratch_store_dword off, v0, s32 offset:812 ; 4-byte Folded Spill
	scratch_load_dword v0, off, s32 offset:824 ; 4-byte Folded Reload
	s_mov_b64 s[40:41], 0x1e00
	scratch_store_dword off, v1, s32 offset:856 ; 4-byte Folded Spill
	v_mov_b32_e32 v1, v5
	scratch_store_dword off, v2, s32 offset:852 ; 4-byte Folded Spill
	scratch_store_dword off, v49, s32 offset:860 ; 4-byte Folded Spill
	scratch_store_dwordx2 off, v[50:51], s32 offset:864 ; 8-byte Folded Spill
	scratch_store_dwordx2 off, v[36:37], s32 offset:896 ; 8-byte Folded Spill
	s_waitcnt vmcnt(7)
	v_lshl_or_b32 v60, v45, 5, v6
	s_waitcnt vmcnt(5)
	v_cmp_neq_f32_e64 s[8:9], 0, v0
	v_and_b32_e32 v0, 60, v49
	v_lshl_add_u64 v[0:1], v[50:51], 2, v[0:1]
	v_lshl_add_u64 v[14:15], v[36:37], 0, v[0:1]
	v_lshlrev_b32_e32 v0, 2, v6
	v_lshl_or_b32 v61, v45, 7, v0
	v_mov_b32_e32 v0, 0xff7fffff
	scratch_store_dword off, v0, s32 offset:260 ; 4-byte Folded Spill
	s_branch .LBB352_9
.LBB352_8:                              ;   in Loop: Header=BB352_9 Depth=1
	s_or_b64 exec, exec, s[42:43]
	scratch_load_dword v0, off, s32 offset:192 ; 4-byte Folded Reload
	v_add_u32_e32 v45, 2, v45
	v_lshl_add_u64 v[14:15], v[14:15], 0, 8
	v_add_u32_e32 v60, 64, v60
	v_add_u32_e32 v61, 0x100, v61
	s_waitcnt vmcnt(0)
	v_cmp_ge_i32_e32 vcc, v45, v0
	s_or_b64 s[22:23], vcc, s[22:23]
	s_andn2_b64 exec, exec, s[22:23]
	s_cbranch_execz .LBB352_523
.LBB352_9:                              ; =>This Inner Loop Header: Depth=1
	flat_load_dword v0, v[14:15]
	scratch_load_dwordx2 v[2:3], off, s32 offset:196 ; 8-byte Folded Reload
	scratch_load_dwordx2 v[6:7], off, s32 offset:816 ; 8-byte Folded Reload
                                        ; implicit-def: $vgpr38
	s_waitcnt vmcnt(0) lgkmcnt(0)
	v_mad_i64_i32 v[0:1], vcc, v0, v2, v[6:7]
	v_lshl_add_u64 v[16:17], v[0:1], 0, v[4:5]
	flat_load_dword v0, v[16:17]
	scratch_load_dwordx2 v[2:3], off, s32 offset:252 ; 8-byte Folded Reload
	s_waitcnt vmcnt(0) lgkmcnt(0)
	v_and_b32_e32 v1, 0xff, v0
	flat_load_dword v22, v[2:3]
	v_cvt_f32_fp8_sdwa v1, v1 src0_sel:BYTE_0
	s_waitcnt vmcnt(0) lgkmcnt(0)
	v_mul_f32_e32 v1, v22, v1
	v_and_b32_e32 v2, 0x7f800000, v1
	v_cmp_ne_u32_e32 vcc, s19, v2
	s_and_saveexec_b64 s[42:43], vcc
	s_xor_b64 vcc, exec, s[42:43]
; %bb.10:                               ;   in Loop: Header=BB352_9 Depth=1
	v_bfe_u32 v2, v1, 16, 1
	v_add3_u32 v38, v1, v2, s44
                                        ; implicit-def: $vgpr1
; %bb.11:                               ;   in Loop: Header=BB352_9 Depth=1
	s_andn2_saveexec_b64 s[42:43], vcc
; %bb.12:                               ;   in Loop: Header=BB352_9 Depth=1
	v_or_b32_e32 v2, 0x10000, v1
	v_cmp_eq_u32_sdwa vcc, v1, v5 src0_sel:WORD_0 src1_sel:DWORD
	s_nop 1
	v_cndmask_b32_e32 v38, v2, v1, vcc
; %bb.13:                               ;   in Loop: Header=BB352_9 Depth=1
	s_or_b64 exec, exec, s[42:43]
	v_bfe_u32 v1, v0, 8, 8
	v_cvt_f32_fp8_sdwa v1, v1 src0_sel:BYTE_0
	s_nop 0
	v_mul_f32_e32 v1, v22, v1
	v_and_b32_e32 v2, 0x7f800000, v1
	v_cmp_ne_u32_e32 vcc, s19, v2
                                        ; implicit-def: $vgpr2
                                        ; kill: killed $vgpr2
	s_and_saveexec_b64 s[42:43], vcc
	s_xor_b64 vcc, exec, s[42:43]
	s_cbranch_execz .LBB352_15
; %bb.14:                               ;   in Loop: Header=BB352_9 Depth=1
	v_bfe_u32 v2, v1, 16, 1
	v_add3_u32 v1, v1, v2, s44
	scratch_store_dword off, v1, s32 offset:212 ; 4-byte Folded Spill
                                        ; implicit-def: $vgpr1
.LBB352_15:                             ;   in Loop: Header=BB352_9 Depth=1
	s_andn2_saveexec_b64 s[42:43], vcc
	s_cbranch_execz .LBB352_17
; %bb.16:                               ;   in Loop: Header=BB352_9 Depth=1
	v_or_b32_e32 v2, 0x10000, v1
	v_cmp_eq_u32_sdwa vcc, v1, v5 src0_sel:WORD_0 src1_sel:DWORD
	s_nop 1
	v_cndmask_b32_e32 v1, v2, v1, vcc
	scratch_store_dword off, v1, s32 offset:212 ; 4-byte Folded Spill
.LBB352_17:                             ;   in Loop: Header=BB352_9 Depth=1
	s_or_b64 exec, exec, s[42:43]
	v_bfe_u32 v1, v0, 16, 8
	v_cvt_f32_fp8_sdwa v1, v1 src0_sel:BYTE_0
	s_nop 0
	v_mul_f32_e32 v1, v22, v1
	v_and_b32_e32 v2, 0x7f800000, v1
	v_cmp_ne_u32_e32 vcc, s19, v2
                                        ; implicit-def: $vgpr2
                                        ; kill: killed $vgpr2
	s_and_saveexec_b64 s[42:43], vcc
	s_xor_b64 vcc, exec, s[42:43]
	s_cbranch_execz .LBB352_19
; %bb.18:                               ;   in Loop: Header=BB352_9 Depth=1
	v_bfe_u32 v2, v1, 16, 1
	v_add3_u32 v1, v1, v2, s44
	scratch_store_dword off, v1, s32 offset:216 ; 4-byte Folded Spill
                                        ; implicit-def: $vgpr1
.LBB352_19:                             ;   in Loop: Header=BB352_9 Depth=1
	s_andn2_saveexec_b64 s[42:43], vcc
	s_cbranch_execz .LBB352_21
; %bb.20:                               ;   in Loop: Header=BB352_9 Depth=1
	v_or_b32_e32 v2, 0x10000, v1
	v_cmp_eq_u32_sdwa vcc, v1, v5 src0_sel:WORD_0 src1_sel:DWORD
	s_nop 1
	v_cndmask_b32_e32 v1, v2, v1, vcc
	scratch_store_dword off, v1, s32 offset:216 ; 4-byte Folded Spill
.LBB352_21:                             ;   in Loop: Header=BB352_9 Depth=1
	s_or_b64 exec, exec, s[42:43]
	v_lshrrev_b32_e32 v0, 24, v0
	v_cvt_f32_fp8_sdwa v0, v0 src0_sel:BYTE_0
	s_nop 0
	v_mul_f32_e32 v0, v22, v0
	v_and_b32_e32 v1, 0x7f800000, v0
	v_cmp_ne_u32_e32 vcc, s19, v1
                                        ; implicit-def: $vgpr1
                                        ; kill: killed $vgpr1
	s_and_saveexec_b64 s[42:43], vcc
	s_xor_b64 vcc, exec, s[42:43]
	s_cbranch_execz .LBB352_23
; %bb.22:                               ;   in Loop: Header=BB352_9 Depth=1
	v_bfe_u32 v1, v0, 16, 1
	v_add3_u32 v0, v0, v1, s44
	scratch_store_dword off, v0, s32 offset:204 ; 4-byte Folded Spill
                                        ; implicit-def: $vgpr0
.LBB352_23:                             ;   in Loop: Header=BB352_9 Depth=1
	s_andn2_saveexec_b64 s[42:43], vcc
	s_cbranch_execz .LBB352_25
; %bb.24:                               ;   in Loop: Header=BB352_9 Depth=1
	v_or_b32_e32 v1, 0x10000, v0
	v_cmp_eq_u32_sdwa vcc, v0, v5 src0_sel:WORD_0 src1_sel:DWORD
	s_nop 1
	v_cndmask_b32_e32 v0, v1, v0, vcc
	scratch_store_dword off, v0, s32 offset:204 ; 4-byte Folded Spill
.LBB352_25:                             ;   in Loop: Header=BB352_9 Depth=1
	s_or_b64 exec, exec, s[42:43]
	flat_load_dword v0, v[16:17] offset:8
                                        ; implicit-def: $vgpr37
	s_waitcnt vmcnt(0) lgkmcnt(0)
	v_and_b32_e32 v1, 0xff, v0
	v_cvt_f32_fp8_sdwa v1, v1 src0_sel:BYTE_0
	s_nop 0
	v_mul_f32_e32 v1, v22, v1
	v_and_b32_e32 v2, 0x7f800000, v1
	v_cmp_ne_u32_e32 vcc, s19, v2
	s_and_saveexec_b64 s[42:43], vcc
	s_xor_b64 vcc, exec, s[42:43]
; %bb.26:                               ;   in Loop: Header=BB352_9 Depth=1
	v_bfe_u32 v2, v1, 16, 1
	v_add3_u32 v37, v1, v2, s44
                                        ; implicit-def: $vgpr1
; %bb.27:                               ;   in Loop: Header=BB352_9 Depth=1
	s_andn2_saveexec_b64 s[42:43], vcc
; %bb.28:                               ;   in Loop: Header=BB352_9 Depth=1
	v_or_b32_e32 v2, 0x10000, v1
	v_cmp_eq_u32_sdwa vcc, v1, v5 src0_sel:WORD_0 src1_sel:DWORD
	s_nop 1
	v_cndmask_b32_e32 v37, v2, v1, vcc
; %bb.29:                               ;   in Loop: Header=BB352_9 Depth=1
	s_or_b64 exec, exec, s[42:43]
	v_bfe_u32 v1, v0, 8, 8
	v_cvt_f32_fp8_sdwa v1, v1 src0_sel:BYTE_0
	s_nop 0
	v_mul_f32_e32 v1, v22, v1
	v_and_b32_e32 v2, 0x7f800000, v1
	v_cmp_ne_u32_e32 vcc, s19, v2
                                        ; implicit-def: $vgpr2
                                        ; kill: killed $vgpr2
	s_and_saveexec_b64 s[42:43], vcc
	s_xor_b64 vcc, exec, s[42:43]
	s_cbranch_execz .LBB352_31
; %bb.30:                               ;   in Loop: Header=BB352_9 Depth=1
	v_bfe_u32 v2, v1, 16, 1
	v_add3_u32 v1, v1, v2, s44
	scratch_store_dword off, v1, s32 offset:220 ; 4-byte Folded Spill
                                        ; implicit-def: $vgpr1
.LBB352_31:                             ;   in Loop: Header=BB352_9 Depth=1
	s_andn2_saveexec_b64 s[42:43], vcc
	s_cbranch_execz .LBB352_33
; %bb.32:                               ;   in Loop: Header=BB352_9 Depth=1
	v_or_b32_e32 v2, 0x10000, v1
	v_cmp_eq_u32_sdwa vcc, v1, v5 src0_sel:WORD_0 src1_sel:DWORD
	s_nop 1
	v_cndmask_b32_e32 v1, v2, v1, vcc
	scratch_store_dword off, v1, s32 offset:220 ; 4-byte Folded Spill
.LBB352_33:                             ;   in Loop: Header=BB352_9 Depth=1
	s_or_b64 exec, exec, s[42:43]
	v_bfe_u32 v1, v0, 16, 8
	v_cvt_f32_fp8_sdwa v1, v1 src0_sel:BYTE_0
                                        ; implicit-def: $vgpr39
	s_nop 0
	v_mul_f32_e32 v1, v22, v1
	v_and_b32_e32 v2, 0x7f800000, v1
	v_cmp_ne_u32_e32 vcc, s19, v2
	s_and_saveexec_b64 s[42:43], vcc
	s_xor_b64 vcc, exec, s[42:43]
; %bb.34:                               ;   in Loop: Header=BB352_9 Depth=1
	v_bfe_u32 v2, v1, 16, 1
	v_add3_u32 v39, v1, v2, s44
                                        ; implicit-def: $vgpr1
; %bb.35:                               ;   in Loop: Header=BB352_9 Depth=1
	s_andn2_saveexec_b64 s[42:43], vcc
; %bb.36:                               ;   in Loop: Header=BB352_9 Depth=1
	v_or_b32_e32 v2, 0x10000, v1
	v_cmp_eq_u32_sdwa vcc, v1, v5 src0_sel:WORD_0 src1_sel:DWORD
	s_nop 1
	v_cndmask_b32_e32 v39, v2, v1, vcc
; %bb.37:                               ;   in Loop: Header=BB352_9 Depth=1
	s_or_b64 exec, exec, s[42:43]
	v_lshrrev_b32_e32 v0, 24, v0
	v_cvt_f32_fp8_sdwa v0, v0 src0_sel:BYTE_0
                                        ; implicit-def: $vgpr50
	s_nop 0
	v_mul_f32_e32 v0, v22, v0
	v_and_b32_e32 v1, 0x7f800000, v0
	v_cmp_ne_u32_e32 vcc, s19, v1
	s_and_saveexec_b64 s[42:43], vcc
	s_xor_b64 vcc, exec, s[42:43]
; %bb.38:                               ;   in Loop: Header=BB352_9 Depth=1
	v_bfe_u32 v1, v0, 16, 1
	v_add3_u32 v50, v0, v1, s44
                                        ; implicit-def: $vgpr0
; %bb.39:                               ;   in Loop: Header=BB352_9 Depth=1
	s_andn2_saveexec_b64 s[42:43], vcc
; %bb.40:                               ;   in Loop: Header=BB352_9 Depth=1
	v_or_b32_e32 v1, 0x10000, v0
	v_cmp_eq_u32_sdwa vcc, v0, v5 src0_sel:WORD_0 src1_sel:DWORD
	s_nop 1
	v_cndmask_b32_e32 v50, v1, v0, vcc
; %bb.41:                               ;   in Loop: Header=BB352_9 Depth=1
	s_or_b64 exec, exec, s[42:43]
	flat_load_dword v0, v[16:17] offset:512
	s_waitcnt vmcnt(0) lgkmcnt(0)
	v_and_b32_e32 v1, 0xff, v0
	v_cvt_f32_fp8_sdwa v1, v1 src0_sel:BYTE_0
	s_nop 0
	v_mul_f32_e32 v1, v22, v1
	v_and_b32_e32 v2, 0x7f800000, v1
	v_cmp_ne_u32_e32 vcc, s19, v2
                                        ; implicit-def: $vgpr2
                                        ; kill: killed $vgpr2
	s_and_saveexec_b64 s[42:43], vcc
	s_xor_b64 vcc, exec, s[42:43]
	s_cbranch_execz .LBB352_43
; %bb.42:                               ;   in Loop: Header=BB352_9 Depth=1
	v_bfe_u32 v2, v1, 16, 1
	v_add3_u32 v1, v1, v2, s44
	scratch_store_dword off, v1, s32 offset:224 ; 4-byte Folded Spill
                                        ; implicit-def: $vgpr1
.LBB352_43:                             ;   in Loop: Header=BB352_9 Depth=1
	s_andn2_saveexec_b64 s[42:43], vcc
	s_cbranch_execz .LBB352_45
; %bb.44:                               ;   in Loop: Header=BB352_9 Depth=1
	v_or_b32_e32 v2, 0x10000, v1
	v_cmp_eq_u32_sdwa vcc, v1, v5 src0_sel:WORD_0 src1_sel:DWORD
	s_nop 1
	v_cndmask_b32_e32 v1, v2, v1, vcc
	scratch_store_dword off, v1, s32 offset:224 ; 4-byte Folded Spill
.LBB352_45:                             ;   in Loop: Header=BB352_9 Depth=1
	s_or_b64 exec, exec, s[42:43]
	v_bfe_u32 v1, v0, 8, 8
	v_cvt_f32_fp8_sdwa v1, v1 src0_sel:BYTE_0
	s_nop 0
	v_mul_f32_e32 v1, v22, v1
	v_and_b32_e32 v2, 0x7f800000, v1
	v_cmp_ne_u32_e32 vcc, s19, v2
                                        ; implicit-def: $vgpr2
                                        ; kill: killed $vgpr2
	s_and_saveexec_b64 s[42:43], vcc
	s_xor_b64 vcc, exec, s[42:43]
	s_cbranch_execz .LBB352_47
; %bb.46:                               ;   in Loop: Header=BB352_9 Depth=1
	v_bfe_u32 v2, v1, 16, 1
	v_add3_u32 v1, v1, v2, s44
	scratch_store_dword off, v1, s32 offset:228 ; 4-byte Folded Spill
                                        ; implicit-def: $vgpr1
.LBB352_47:                             ;   in Loop: Header=BB352_9 Depth=1
	s_andn2_saveexec_b64 s[42:43], vcc
	s_cbranch_execz .LBB352_49
; %bb.48:                               ;   in Loop: Header=BB352_9 Depth=1
	v_or_b32_e32 v2, 0x10000, v1
	v_cmp_eq_u32_sdwa vcc, v1, v5 src0_sel:WORD_0 src1_sel:DWORD
	s_nop 1
	v_cndmask_b32_e32 v1, v2, v1, vcc
	scratch_store_dword off, v1, s32 offset:228 ; 4-byte Folded Spill
.LBB352_49:                             ;   in Loop: Header=BB352_9 Depth=1
	s_or_b64 exec, exec, s[42:43]
	v_bfe_u32 v1, v0, 16, 8
	v_cvt_f32_fp8_sdwa v1, v1 src0_sel:BYTE_0
	s_nop 0
	v_mul_f32_e32 v1, v22, v1
	v_and_b32_e32 v2, 0x7f800000, v1
	v_cmp_ne_u32_e32 vcc, s19, v2
                                        ; implicit-def: $vgpr2
                                        ; kill: killed $vgpr2
	s_and_saveexec_b64 s[42:43], vcc
	s_xor_b64 vcc, exec, s[42:43]
	s_cbranch_execz .LBB352_51
; %bb.50:                               ;   in Loop: Header=BB352_9 Depth=1
	v_bfe_u32 v2, v1, 16, 1
	v_add3_u32 v1, v1, v2, s44
	scratch_store_dword off, v1, s32 offset:232 ; 4-byte Folded Spill
                                        ; implicit-def: $vgpr1
.LBB352_51:                             ;   in Loop: Header=BB352_9 Depth=1
	s_andn2_saveexec_b64 s[42:43], vcc
	s_cbranch_execz .LBB352_53
; %bb.52:                               ;   in Loop: Header=BB352_9 Depth=1
	v_or_b32_e32 v2, 0x10000, v1
	v_cmp_eq_u32_sdwa vcc, v1, v5 src0_sel:WORD_0 src1_sel:DWORD
	s_nop 1
	v_cndmask_b32_e32 v1, v2, v1, vcc
	scratch_store_dword off, v1, s32 offset:232 ; 4-byte Folded Spill
.LBB352_53:                             ;   in Loop: Header=BB352_9 Depth=1
	s_or_b64 exec, exec, s[42:43]
	v_lshrrev_b32_e32 v0, 24, v0
	v_cvt_f32_fp8_sdwa v0, v0 src0_sel:BYTE_0
	s_nop 0
	v_mul_f32_e32 v0, v22, v0
	v_and_b32_e32 v1, 0x7f800000, v0
	v_cmp_ne_u32_e32 vcc, s19, v1
                                        ; implicit-def: $vgpr1
                                        ; kill: killed $vgpr1
	s_and_saveexec_b64 s[42:43], vcc
	s_xor_b64 vcc, exec, s[42:43]
	s_cbranch_execz .LBB352_55
; %bb.54:                               ;   in Loop: Header=BB352_9 Depth=1
	v_bfe_u32 v1, v0, 16, 1
	v_add3_u32 v0, v0, v1, s44
	scratch_store_dword off, v0, s32 offset:236 ; 4-byte Folded Spill
                                        ; implicit-def: $vgpr0
.LBB352_55:                             ;   in Loop: Header=BB352_9 Depth=1
	s_andn2_saveexec_b64 s[42:43], vcc
	s_cbranch_execz .LBB352_57
; %bb.56:                               ;   in Loop: Header=BB352_9 Depth=1
	v_or_b32_e32 v1, 0x10000, v0
	v_cmp_eq_u32_sdwa vcc, v0, v5 src0_sel:WORD_0 src1_sel:DWORD
	s_nop 1
	v_cndmask_b32_e32 v0, v1, v0, vcc
	scratch_store_dword off, v0, s32 offset:236 ; 4-byte Folded Spill
.LBB352_57:                             ;   in Loop: Header=BB352_9 Depth=1
	s_or_b64 exec, exec, s[42:43]
	flat_load_dword v0, v[16:17] offset:520
	s_waitcnt vmcnt(0) lgkmcnt(0)
	v_and_b32_e32 v1, 0xff, v0
	v_cvt_f32_fp8_sdwa v1, v1 src0_sel:BYTE_0
	s_nop 0
	v_mul_f32_e32 v1, v22, v1
	v_and_b32_e32 v2, 0x7f800000, v1
	v_cmp_ne_u32_e32 vcc, s19, v2
                                        ; implicit-def: $vgpr2
                                        ; kill: killed $vgpr2
	s_and_saveexec_b64 s[42:43], vcc
	s_xor_b64 vcc, exec, s[42:43]
	s_cbranch_execz .LBB352_59
; %bb.58:                               ;   in Loop: Header=BB352_9 Depth=1
	v_bfe_u32 v2, v1, 16, 1
	v_add3_u32 v1, v1, v2, s44
	scratch_store_dword off, v1, s32 offset:240 ; 4-byte Folded Spill
                                        ; implicit-def: $vgpr1
.LBB352_59:                             ;   in Loop: Header=BB352_9 Depth=1
	s_andn2_saveexec_b64 s[42:43], vcc
	s_cbranch_execz .LBB352_61
; %bb.60:                               ;   in Loop: Header=BB352_9 Depth=1
	v_or_b32_e32 v2, 0x10000, v1
	v_cmp_eq_u32_sdwa vcc, v1, v5 src0_sel:WORD_0 src1_sel:DWORD
	s_nop 1
	v_cndmask_b32_e32 v1, v2, v1, vcc
	scratch_store_dword off, v1, s32 offset:240 ; 4-byte Folded Spill
.LBB352_61:                             ;   in Loop: Header=BB352_9 Depth=1
	s_or_b64 exec, exec, s[42:43]
	v_bfe_u32 v1, v0, 8, 8
	v_cvt_f32_fp8_sdwa v1, v1 src0_sel:BYTE_0
	s_nop 0
	v_mul_f32_e32 v1, v22, v1
	v_and_b32_e32 v2, 0x7f800000, v1
	v_cmp_ne_u32_e32 vcc, s19, v2
                                        ; implicit-def: $vgpr2
                                        ; kill: killed $vgpr2
	s_and_saveexec_b64 s[42:43], vcc
	s_xor_b64 vcc, exec, s[42:43]
	s_cbranch_execz .LBB352_63
; %bb.62:                               ;   in Loop: Header=BB352_9 Depth=1
	v_bfe_u32 v2, v1, 16, 1
	v_add3_u32 v1, v1, v2, s44
	scratch_store_dword off, v1, s32 offset:244 ; 4-byte Folded Spill
                                        ; implicit-def: $vgpr1
.LBB352_63:                             ;   in Loop: Header=BB352_9 Depth=1
	s_andn2_saveexec_b64 s[42:43], vcc
	s_cbranch_execz .LBB352_65
; %bb.64:                               ;   in Loop: Header=BB352_9 Depth=1
	v_or_b32_e32 v2, 0x10000, v1
	v_cmp_eq_u32_sdwa vcc, v1, v5 src0_sel:WORD_0 src1_sel:DWORD
	s_nop 1
	v_cndmask_b32_e32 v1, v2, v1, vcc
	scratch_store_dword off, v1, s32 offset:244 ; 4-byte Folded Spill
.LBB352_65:                             ;   in Loop: Header=BB352_9 Depth=1
	s_or_b64 exec, exec, s[42:43]
	v_bfe_u32 v1, v0, 16, 8
	v_cvt_f32_fp8_sdwa v1, v1 src0_sel:BYTE_0
	s_nop 0
	v_mul_f32_e32 v1, v22, v1
	v_and_b32_e32 v2, 0x7f800000, v1
	v_cmp_ne_u32_e32 vcc, s19, v2
                                        ; implicit-def: $vgpr2
                                        ; kill: killed $vgpr2
	s_and_saveexec_b64 s[42:43], vcc
	s_xor_b64 vcc, exec, s[42:43]
	s_cbranch_execz .LBB352_67
; %bb.66:                               ;   in Loop: Header=BB352_9 Depth=1
	v_bfe_u32 v2, v1, 16, 1
	v_add3_u32 v1, v1, v2, s44
	scratch_store_dword off, v1, s32 offset:248 ; 4-byte Folded Spill
                                        ; implicit-def: $vgpr1
.LBB352_67:                             ;   in Loop: Header=BB352_9 Depth=1
	s_andn2_saveexec_b64 s[42:43], vcc
	s_cbranch_execz .LBB352_69
; %bb.68:                               ;   in Loop: Header=BB352_9 Depth=1
	v_or_b32_e32 v2, 0x10000, v1
	v_cmp_eq_u32_sdwa vcc, v1, v5 src0_sel:WORD_0 src1_sel:DWORD
	s_nop 1
	v_cndmask_b32_e32 v1, v2, v1, vcc
	scratch_store_dword off, v1, s32 offset:248 ; 4-byte Folded Spill
.LBB352_69:                             ;   in Loop: Header=BB352_9 Depth=1
	s_or_b64 exec, exec, s[42:43]
	v_lshrrev_b32_e32 v0, 24, v0
	v_cvt_f32_fp8_sdwa v0, v0 src0_sel:BYTE_0
                                        ; implicit-def: $agpr38
	s_nop 0
	v_mul_f32_e32 v0, v22, v0
	v_and_b32_e32 v1, 0x7f800000, v0
	v_cmp_ne_u32_e32 vcc, s19, v1
	s_and_saveexec_b64 s[42:43], vcc
	s_xor_b64 vcc, exec, s[42:43]
; %bb.70:                               ;   in Loop: Header=BB352_9 Depth=1
	v_bfe_u32 v1, v0, 16, 1
	v_add3_u32 v0, v0, v1, s44
	v_accvgpr_write_b32 a38, v0
                                        ; implicit-def: $vgpr0
; %bb.71:                               ;   in Loop: Header=BB352_9 Depth=1
	s_andn2_saveexec_b64 s[42:43], vcc
; %bb.72:                               ;   in Loop: Header=BB352_9 Depth=1
	v_or_b32_e32 v1, 0x10000, v0
	v_cmp_eq_u32_sdwa vcc, v0, v5 src0_sel:WORD_0 src1_sel:DWORD
	s_nop 1
	v_cndmask_b32_e32 v0, v1, v0, vcc
	v_accvgpr_write_b32 a38, v0
; %bb.73:                               ;   in Loop: Header=BB352_9 Depth=1
	s_or_b64 exec, exec, s[42:43]
	flat_load_dword v0, v[16:17] offset:1024
                                        ; implicit-def: $agpr39
	s_waitcnt vmcnt(0) lgkmcnt(0)
	v_and_b32_e32 v1, 0xff, v0
	v_cvt_f32_fp8_sdwa v1, v1 src0_sel:BYTE_0
	s_nop 0
	v_mul_f32_e32 v1, v22, v1
	v_and_b32_e32 v2, 0x7f800000, v1
	v_cmp_ne_u32_e32 vcc, s19, v2
	s_and_saveexec_b64 s[42:43], vcc
	s_xor_b64 vcc, exec, s[42:43]
; %bb.74:                               ;   in Loop: Header=BB352_9 Depth=1
	v_bfe_u32 v2, v1, 16, 1
	v_add3_u32 v1, v1, v2, s44
	v_accvgpr_write_b32 a39, v1
                                        ; implicit-def: $vgpr1
; %bb.75:                               ;   in Loop: Header=BB352_9 Depth=1
	s_andn2_saveexec_b64 s[42:43], vcc
; %bb.76:                               ;   in Loop: Header=BB352_9 Depth=1
	v_or_b32_e32 v2, 0x10000, v1
	v_cmp_eq_u32_sdwa vcc, v1, v5 src0_sel:WORD_0 src1_sel:DWORD
	s_nop 1
	v_cndmask_b32_e32 v1, v2, v1, vcc
	v_accvgpr_write_b32 a39, v1
; %bb.77:                               ;   in Loop: Header=BB352_9 Depth=1
	s_or_b64 exec, exec, s[42:43]
	v_bfe_u32 v1, v0, 8, 8
	v_cvt_f32_fp8_sdwa v1, v1 src0_sel:BYTE_0
                                        ; implicit-def: $agpr40
	s_nop 0
	v_mul_f32_e32 v1, v22, v1
	v_and_b32_e32 v2, 0x7f800000, v1
	v_cmp_ne_u32_e32 vcc, s19, v2
	s_and_saveexec_b64 s[42:43], vcc
	s_xor_b64 vcc, exec, s[42:43]
; %bb.78:                               ;   in Loop: Header=BB352_9 Depth=1
	v_bfe_u32 v2, v1, 16, 1
	v_add3_u32 v1, v1, v2, s44
	v_accvgpr_write_b32 a40, v1
                                        ; implicit-def: $vgpr1
; %bb.79:                               ;   in Loop: Header=BB352_9 Depth=1
	s_andn2_saveexec_b64 s[42:43], vcc
; %bb.80:                               ;   in Loop: Header=BB352_9 Depth=1
	v_or_b32_e32 v2, 0x10000, v1
	v_cmp_eq_u32_sdwa vcc, v1, v5 src0_sel:WORD_0 src1_sel:DWORD
	s_nop 1
	v_cndmask_b32_e32 v1, v2, v1, vcc
	v_accvgpr_write_b32 a40, v1
; %bb.81:                               ;   in Loop: Header=BB352_9 Depth=1
	s_or_b64 exec, exec, s[42:43]
	v_bfe_u32 v1, v0, 16, 8
	v_cvt_f32_fp8_sdwa v1, v1 src0_sel:BYTE_0
                                        ; implicit-def: $agpr41
	s_nop 0
	v_mul_f32_e32 v1, v22, v1
	v_and_b32_e32 v2, 0x7f800000, v1
	v_cmp_ne_u32_e32 vcc, s19, v2
	s_and_saveexec_b64 s[42:43], vcc
	s_xor_b64 vcc, exec, s[42:43]
; %bb.82:                               ;   in Loop: Header=BB352_9 Depth=1
	v_bfe_u32 v2, v1, 16, 1
	v_add3_u32 v1, v1, v2, s44
	v_accvgpr_write_b32 a41, v1
                                        ; implicit-def: $vgpr1
; %bb.83:                               ;   in Loop: Header=BB352_9 Depth=1
	s_andn2_saveexec_b64 s[42:43], vcc
; %bb.84:                               ;   in Loop: Header=BB352_9 Depth=1
	v_or_b32_e32 v2, 0x10000, v1
	v_cmp_eq_u32_sdwa vcc, v1, v5 src0_sel:WORD_0 src1_sel:DWORD
	s_nop 1
	v_cndmask_b32_e32 v1, v2, v1, vcc
	v_accvgpr_write_b32 a41, v1
; %bb.85:                               ;   in Loop: Header=BB352_9 Depth=1
	s_or_b64 exec, exec, s[42:43]
	v_lshrrev_b32_e32 v0, 24, v0
	v_cvt_f32_fp8_sdwa v0, v0 src0_sel:BYTE_0
                                        ; implicit-def: $agpr42
	s_nop 0
	v_mul_f32_e32 v0, v22, v0
	v_and_b32_e32 v1, 0x7f800000, v0
	v_cmp_ne_u32_e32 vcc, s19, v1
	s_and_saveexec_b64 s[42:43], vcc
	s_xor_b64 vcc, exec, s[42:43]
; %bb.86:                               ;   in Loop: Header=BB352_9 Depth=1
	v_bfe_u32 v1, v0, 16, 1
	v_add3_u32 v0, v0, v1, s44
	v_accvgpr_write_b32 a42, v0
                                        ; implicit-def: $vgpr0
; %bb.87:                               ;   in Loop: Header=BB352_9 Depth=1
	s_andn2_saveexec_b64 s[42:43], vcc
; %bb.88:                               ;   in Loop: Header=BB352_9 Depth=1
	v_or_b32_e32 v1, 0x10000, v0
	v_cmp_eq_u32_sdwa vcc, v0, v5 src0_sel:WORD_0 src1_sel:DWORD
	s_nop 1
	v_cndmask_b32_e32 v0, v1, v0, vcc
	v_accvgpr_write_b32 a42, v0
; %bb.89:                               ;   in Loop: Header=BB352_9 Depth=1
	s_or_b64 exec, exec, s[42:43]
	flat_load_dword v0, v[16:17] offset:1032
                                        ; implicit-def: $agpr43
	s_waitcnt vmcnt(0) lgkmcnt(0)
	v_and_b32_e32 v1, 0xff, v0
	v_cvt_f32_fp8_sdwa v1, v1 src0_sel:BYTE_0
	s_nop 0
	v_mul_f32_e32 v1, v22, v1
	v_and_b32_e32 v2, 0x7f800000, v1
	v_cmp_ne_u32_e32 vcc, s19, v2
	s_and_saveexec_b64 s[42:43], vcc
	s_xor_b64 vcc, exec, s[42:43]
; %bb.90:                               ;   in Loop: Header=BB352_9 Depth=1
	v_bfe_u32 v2, v1, 16, 1
	v_add3_u32 v1, v1, v2, s44
	v_accvgpr_write_b32 a43, v1
                                        ; implicit-def: $vgpr1
; %bb.91:                               ;   in Loop: Header=BB352_9 Depth=1
	s_andn2_saveexec_b64 s[42:43], vcc
; %bb.92:                               ;   in Loop: Header=BB352_9 Depth=1
	v_or_b32_e32 v2, 0x10000, v1
	v_cmp_eq_u32_sdwa vcc, v1, v5 src0_sel:WORD_0 src1_sel:DWORD
	s_nop 1
	v_cndmask_b32_e32 v1, v2, v1, vcc
	v_accvgpr_write_b32 a43, v1
; %bb.93:                               ;   in Loop: Header=BB352_9 Depth=1
	s_or_b64 exec, exec, s[42:43]
	v_bfe_u32 v1, v0, 8, 8
	v_cvt_f32_fp8_sdwa v1, v1 src0_sel:BYTE_0
                                        ; implicit-def: $agpr44
	s_nop 0
	v_mul_f32_e32 v1, v22, v1
	v_and_b32_e32 v2, 0x7f800000, v1
	v_cmp_ne_u32_e32 vcc, s19, v2
	s_and_saveexec_b64 s[42:43], vcc
	s_xor_b64 vcc, exec, s[42:43]
; %bb.94:                               ;   in Loop: Header=BB352_9 Depth=1
	v_bfe_u32 v2, v1, 16, 1
	v_add3_u32 v1, v1, v2, s44
	v_accvgpr_write_b32 a44, v1
                                        ; implicit-def: $vgpr1
; %bb.95:                               ;   in Loop: Header=BB352_9 Depth=1
	s_andn2_saveexec_b64 s[42:43], vcc
; %bb.96:                               ;   in Loop: Header=BB352_9 Depth=1
	v_or_b32_e32 v2, 0x10000, v1
	v_cmp_eq_u32_sdwa vcc, v1, v5 src0_sel:WORD_0 src1_sel:DWORD
	s_nop 1
	v_cndmask_b32_e32 v1, v2, v1, vcc
	v_accvgpr_write_b32 a44, v1
; %bb.97:                               ;   in Loop: Header=BB352_9 Depth=1
	s_or_b64 exec, exec, s[42:43]
	v_bfe_u32 v1, v0, 16, 8
	v_cvt_f32_fp8_sdwa v1, v1 src0_sel:BYTE_0
                                        ; implicit-def: $agpr45
	s_nop 0
	v_mul_f32_e32 v1, v22, v1
	v_and_b32_e32 v2, 0x7f800000, v1
	v_cmp_ne_u32_e32 vcc, s19, v2
	s_and_saveexec_b64 s[42:43], vcc
	s_xor_b64 vcc, exec, s[42:43]
; %bb.98:                               ;   in Loop: Header=BB352_9 Depth=1
	v_bfe_u32 v2, v1, 16, 1
	v_add3_u32 v1, v1, v2, s44
	v_accvgpr_write_b32 a45, v1
                                        ; implicit-def: $vgpr1
; %bb.99:                               ;   in Loop: Header=BB352_9 Depth=1
	s_andn2_saveexec_b64 s[42:43], vcc
; %bb.100:                              ;   in Loop: Header=BB352_9 Depth=1
	v_or_b32_e32 v2, 0x10000, v1
	v_cmp_eq_u32_sdwa vcc, v1, v5 src0_sel:WORD_0 src1_sel:DWORD
	s_nop 1
	v_cndmask_b32_e32 v1, v2, v1, vcc
	v_accvgpr_write_b32 a45, v1
; %bb.101:                              ;   in Loop: Header=BB352_9 Depth=1
	s_or_b64 exec, exec, s[42:43]
	v_lshrrev_b32_e32 v0, 24, v0
	v_cvt_f32_fp8_sdwa v0, v0 src0_sel:BYTE_0
                                        ; implicit-def: $agpr46
	s_nop 0
	v_mul_f32_e32 v0, v22, v0
	v_and_b32_e32 v1, 0x7f800000, v0
	v_cmp_ne_u32_e32 vcc, s19, v1
	s_and_saveexec_b64 s[42:43], vcc
	s_xor_b64 vcc, exec, s[42:43]
; %bb.102:                              ;   in Loop: Header=BB352_9 Depth=1
	v_bfe_u32 v1, v0, 16, 1
	v_add3_u32 v0, v0, v1, s44
	v_accvgpr_write_b32 a46, v0
                                        ; implicit-def: $vgpr0
; %bb.103:                              ;   in Loop: Header=BB352_9 Depth=1
	s_andn2_saveexec_b64 s[42:43], vcc
; %bb.104:                              ;   in Loop: Header=BB352_9 Depth=1
	v_or_b32_e32 v1, 0x10000, v0
	v_cmp_eq_u32_sdwa vcc, v0, v5 src0_sel:WORD_0 src1_sel:DWORD
	s_nop 1
	v_cndmask_b32_e32 v0, v1, v0, vcc
	v_accvgpr_write_b32 a46, v0
; %bb.105:                              ;   in Loop: Header=BB352_9 Depth=1
	s_or_b64 exec, exec, s[42:43]
	flat_load_dword v0, v[16:17] offset:1536
                                        ; implicit-def: $agpr47
	s_waitcnt vmcnt(0) lgkmcnt(0)
	v_and_b32_e32 v1, 0xff, v0
	v_cvt_f32_fp8_sdwa v1, v1 src0_sel:BYTE_0
	s_nop 0
	v_mul_f32_e32 v1, v22, v1
	v_and_b32_e32 v2, 0x7f800000, v1
	v_cmp_ne_u32_e32 vcc, s19, v2
	s_and_saveexec_b64 s[42:43], vcc
	s_xor_b64 vcc, exec, s[42:43]
; %bb.106:                              ;   in Loop: Header=BB352_9 Depth=1
	v_bfe_u32 v2, v1, 16, 1
	v_add3_u32 v1, v1, v2, s44
	v_accvgpr_write_b32 a47, v1
                                        ; implicit-def: $vgpr1
; %bb.107:                              ;   in Loop: Header=BB352_9 Depth=1
	s_andn2_saveexec_b64 s[42:43], vcc
; %bb.108:                              ;   in Loop: Header=BB352_9 Depth=1
	v_or_b32_e32 v2, 0x10000, v1
	v_cmp_eq_u32_sdwa vcc, v1, v5 src0_sel:WORD_0 src1_sel:DWORD
	s_nop 1
	v_cndmask_b32_e32 v1, v2, v1, vcc
	v_accvgpr_write_b32 a47, v1
; %bb.109:                              ;   in Loop: Header=BB352_9 Depth=1
	s_or_b64 exec, exec, s[42:43]
	v_bfe_u32 v1, v0, 8, 8
	v_cvt_f32_fp8_sdwa v1, v1 src0_sel:BYTE_0
                                        ; implicit-def: $agpr48
	s_nop 0
	v_mul_f32_e32 v1, v22, v1
	v_and_b32_e32 v2, 0x7f800000, v1
	v_cmp_ne_u32_e32 vcc, s19, v2
	s_and_saveexec_b64 s[42:43], vcc
	s_xor_b64 vcc, exec, s[42:43]
; %bb.110:                              ;   in Loop: Header=BB352_9 Depth=1
	v_bfe_u32 v2, v1, 16, 1
	v_add3_u32 v1, v1, v2, s44
	v_accvgpr_write_b32 a48, v1
                                        ; implicit-def: $vgpr1
; %bb.111:                              ;   in Loop: Header=BB352_9 Depth=1
	s_andn2_saveexec_b64 s[42:43], vcc
; %bb.112:                              ;   in Loop: Header=BB352_9 Depth=1
	v_or_b32_e32 v2, 0x10000, v1
	v_cmp_eq_u32_sdwa vcc, v1, v5 src0_sel:WORD_0 src1_sel:DWORD
	s_nop 1
	v_cndmask_b32_e32 v1, v2, v1, vcc
	v_accvgpr_write_b32 a48, v1
; %bb.113:                              ;   in Loop: Header=BB352_9 Depth=1
	s_or_b64 exec, exec, s[42:43]
	v_bfe_u32 v1, v0, 16, 8
	v_cvt_f32_fp8_sdwa v1, v1 src0_sel:BYTE_0
                                        ; implicit-def: $agpr49
	s_nop 0
	v_mul_f32_e32 v1, v22, v1
	v_and_b32_e32 v2, 0x7f800000, v1
	v_cmp_ne_u32_e32 vcc, s19, v2
	s_and_saveexec_b64 s[42:43], vcc
	s_xor_b64 vcc, exec, s[42:43]
; %bb.114:                              ;   in Loop: Header=BB352_9 Depth=1
	v_bfe_u32 v2, v1, 16, 1
	v_add3_u32 v1, v1, v2, s44
	v_accvgpr_write_b32 a49, v1
                                        ; implicit-def: $vgpr1
; %bb.115:                              ;   in Loop: Header=BB352_9 Depth=1
	s_andn2_saveexec_b64 s[42:43], vcc
; %bb.116:                              ;   in Loop: Header=BB352_9 Depth=1
	v_or_b32_e32 v2, 0x10000, v1
	v_cmp_eq_u32_sdwa vcc, v1, v5 src0_sel:WORD_0 src1_sel:DWORD
	s_nop 1
	v_cndmask_b32_e32 v1, v2, v1, vcc
	v_accvgpr_write_b32 a49, v1
; %bb.117:                              ;   in Loop: Header=BB352_9 Depth=1
	s_or_b64 exec, exec, s[42:43]
	v_lshrrev_b32_e32 v0, 24, v0
	v_cvt_f32_fp8_sdwa v0, v0 src0_sel:BYTE_0
                                        ; implicit-def: $agpr50
	s_nop 0
	v_mul_f32_e32 v0, v22, v0
	v_and_b32_e32 v1, 0x7f800000, v0
	v_cmp_ne_u32_e32 vcc, s19, v1
	s_and_saveexec_b64 s[42:43], vcc
	s_xor_b64 vcc, exec, s[42:43]
; %bb.118:                              ;   in Loop: Header=BB352_9 Depth=1
	v_bfe_u32 v1, v0, 16, 1
	v_add3_u32 v0, v0, v1, s44
	v_accvgpr_write_b32 a50, v0
                                        ; implicit-def: $vgpr0
; %bb.119:                              ;   in Loop: Header=BB352_9 Depth=1
	s_andn2_saveexec_b64 s[42:43], vcc
; %bb.120:                              ;   in Loop: Header=BB352_9 Depth=1
	v_or_b32_e32 v1, 0x10000, v0
	v_cmp_eq_u32_sdwa vcc, v0, v5 src0_sel:WORD_0 src1_sel:DWORD
	s_nop 1
	v_cndmask_b32_e32 v0, v1, v0, vcc
	v_accvgpr_write_b32 a50, v0
; %bb.121:                              ;   in Loop: Header=BB352_9 Depth=1
	s_or_b64 exec, exec, s[42:43]
	flat_load_dword v0, v[16:17] offset:1544
                                        ; implicit-def: $agpr51
	s_waitcnt vmcnt(0) lgkmcnt(0)
	v_and_b32_e32 v1, 0xff, v0
	v_cvt_f32_fp8_sdwa v1, v1 src0_sel:BYTE_0
	s_nop 0
	v_mul_f32_e32 v1, v22, v1
	v_and_b32_e32 v2, 0x7f800000, v1
	v_cmp_ne_u32_e32 vcc, s19, v2
	s_and_saveexec_b64 s[42:43], vcc
	s_xor_b64 vcc, exec, s[42:43]
; %bb.122:                              ;   in Loop: Header=BB352_9 Depth=1
	v_bfe_u32 v2, v1, 16, 1
	v_add3_u32 v1, v1, v2, s44
	v_accvgpr_write_b32 a51, v1
                                        ; implicit-def: $vgpr1
; %bb.123:                              ;   in Loop: Header=BB352_9 Depth=1
	s_andn2_saveexec_b64 s[42:43], vcc
; %bb.124:                              ;   in Loop: Header=BB352_9 Depth=1
	v_or_b32_e32 v2, 0x10000, v1
	v_cmp_eq_u32_sdwa vcc, v1, v5 src0_sel:WORD_0 src1_sel:DWORD
	s_nop 1
	v_cndmask_b32_e32 v1, v2, v1, vcc
	v_accvgpr_write_b32 a51, v1
; %bb.125:                              ;   in Loop: Header=BB352_9 Depth=1
	s_or_b64 exec, exec, s[42:43]
	v_bfe_u32 v1, v0, 8, 8
	v_cvt_f32_fp8_sdwa v1, v1 src0_sel:BYTE_0
                                        ; implicit-def: $agpr52
	s_nop 0
	v_mul_f32_e32 v1, v22, v1
	v_and_b32_e32 v2, 0x7f800000, v1
	v_cmp_ne_u32_e32 vcc, s19, v2
	s_and_saveexec_b64 s[42:43], vcc
	s_xor_b64 vcc, exec, s[42:43]
; %bb.126:                              ;   in Loop: Header=BB352_9 Depth=1
	v_bfe_u32 v2, v1, 16, 1
	v_add3_u32 v1, v1, v2, s44
	v_accvgpr_write_b32 a52, v1
                                        ; implicit-def: $vgpr1
; %bb.127:                              ;   in Loop: Header=BB352_9 Depth=1
	s_andn2_saveexec_b64 s[42:43], vcc
; %bb.128:                              ;   in Loop: Header=BB352_9 Depth=1
	v_or_b32_e32 v2, 0x10000, v1
	v_cmp_eq_u32_sdwa vcc, v1, v5 src0_sel:WORD_0 src1_sel:DWORD
	s_nop 1
	v_cndmask_b32_e32 v1, v2, v1, vcc
	v_accvgpr_write_b32 a52, v1
; %bb.129:                              ;   in Loop: Header=BB352_9 Depth=1
	s_or_b64 exec, exec, s[42:43]
	v_bfe_u32 v1, v0, 16, 8
	v_cvt_f32_fp8_sdwa v1, v1 src0_sel:BYTE_0
                                        ; implicit-def: $agpr53
	s_nop 0
	v_mul_f32_e32 v1, v22, v1
	v_and_b32_e32 v2, 0x7f800000, v1
	v_cmp_ne_u32_e32 vcc, s19, v2
	s_and_saveexec_b64 s[42:43], vcc
	s_xor_b64 vcc, exec, s[42:43]
; %bb.130:                              ;   in Loop: Header=BB352_9 Depth=1
	v_bfe_u32 v2, v1, 16, 1
	v_add3_u32 v1, v1, v2, s44
	v_accvgpr_write_b32 a53, v1
                                        ; implicit-def: $vgpr1
; %bb.131:                              ;   in Loop: Header=BB352_9 Depth=1
	s_andn2_saveexec_b64 s[42:43], vcc
; %bb.132:                              ;   in Loop: Header=BB352_9 Depth=1
	v_or_b32_e32 v2, 0x10000, v1
	v_cmp_eq_u32_sdwa vcc, v1, v5 src0_sel:WORD_0 src1_sel:DWORD
	s_nop 1
	v_cndmask_b32_e32 v1, v2, v1, vcc
	v_accvgpr_write_b32 a53, v1
; %bb.133:                              ;   in Loop: Header=BB352_9 Depth=1
	s_or_b64 exec, exec, s[42:43]
	v_lshrrev_b32_e32 v0, 24, v0
	v_cvt_f32_fp8_sdwa v0, v0 src0_sel:BYTE_0
                                        ; implicit-def: $agpr55
	s_nop 0
	v_mul_f32_e32 v0, v22, v0
	v_and_b32_e32 v1, 0x7f800000, v0
	v_cmp_ne_u32_e32 vcc, s19, v1
	s_and_saveexec_b64 s[42:43], vcc
	s_xor_b64 vcc, exec, s[42:43]
; %bb.134:                              ;   in Loop: Header=BB352_9 Depth=1
	v_bfe_u32 v1, v0, 16, 1
	v_add3_u32 v0, v0, v1, s44
	v_accvgpr_write_b32 a55, v0
                                        ; implicit-def: $vgpr0
; %bb.135:                              ;   in Loop: Header=BB352_9 Depth=1
	s_andn2_saveexec_b64 s[42:43], vcc
; %bb.136:                              ;   in Loop: Header=BB352_9 Depth=1
	v_or_b32_e32 v1, 0x10000, v0
	v_cmp_eq_u32_sdwa vcc, v0, v5 src0_sel:WORD_0 src1_sel:DWORD
	s_nop 1
	v_cndmask_b32_e32 v0, v1, v0, vcc
	v_accvgpr_write_b32 a55, v0
; %bb.137:                              ;   in Loop: Header=BB352_9 Depth=1
	s_or_b64 exec, exec, s[42:43]
	flat_load_dword v0, v[16:17] offset:2048
                                        ; implicit-def: $agpr56
	s_waitcnt vmcnt(0) lgkmcnt(0)
	v_and_b32_e32 v1, 0xff, v0
	v_cvt_f32_fp8_sdwa v1, v1 src0_sel:BYTE_0
	s_nop 0
	v_mul_f32_e32 v1, v22, v1
	v_and_b32_e32 v2, 0x7f800000, v1
	v_cmp_ne_u32_e32 vcc, s19, v2
	s_and_saveexec_b64 s[42:43], vcc
	s_xor_b64 vcc, exec, s[42:43]
; %bb.138:                              ;   in Loop: Header=BB352_9 Depth=1
	v_bfe_u32 v2, v1, 16, 1
	v_add3_u32 v1, v1, v2, s44
	v_accvgpr_write_b32 a56, v1
                                        ; implicit-def: $vgpr1
; %bb.139:                              ;   in Loop: Header=BB352_9 Depth=1
	s_andn2_saveexec_b64 s[42:43], vcc
; %bb.140:                              ;   in Loop: Header=BB352_9 Depth=1
	v_or_b32_e32 v2, 0x10000, v1
	v_cmp_eq_u32_sdwa vcc, v1, v5 src0_sel:WORD_0 src1_sel:DWORD
	s_nop 1
	v_cndmask_b32_e32 v1, v2, v1, vcc
	v_accvgpr_write_b32 a56, v1
; %bb.141:                              ;   in Loop: Header=BB352_9 Depth=1
	s_or_b64 exec, exec, s[42:43]
	v_bfe_u32 v1, v0, 8, 8
	v_cvt_f32_fp8_sdwa v1, v1 src0_sel:BYTE_0
                                        ; implicit-def: $agpr57
	s_nop 0
	v_mul_f32_e32 v1, v22, v1
	v_and_b32_e32 v2, 0x7f800000, v1
	v_cmp_ne_u32_e32 vcc, s19, v2
	s_and_saveexec_b64 s[42:43], vcc
	s_xor_b64 vcc, exec, s[42:43]
; %bb.142:                              ;   in Loop: Header=BB352_9 Depth=1
	v_bfe_u32 v2, v1, 16, 1
	v_add3_u32 v1, v1, v2, s44
	v_accvgpr_write_b32 a57, v1
                                        ; implicit-def: $vgpr1
; %bb.143:                              ;   in Loop: Header=BB352_9 Depth=1
	s_andn2_saveexec_b64 s[42:43], vcc
; %bb.144:                              ;   in Loop: Header=BB352_9 Depth=1
	v_or_b32_e32 v2, 0x10000, v1
	v_cmp_eq_u32_sdwa vcc, v1, v5 src0_sel:WORD_0 src1_sel:DWORD
	s_nop 1
	v_cndmask_b32_e32 v1, v2, v1, vcc
	v_accvgpr_write_b32 a57, v1
; %bb.145:                              ;   in Loop: Header=BB352_9 Depth=1
	s_or_b64 exec, exec, s[42:43]
	v_bfe_u32 v1, v0, 16, 8
	v_cvt_f32_fp8_sdwa v1, v1 src0_sel:BYTE_0
                                        ; implicit-def: $agpr58
	s_nop 0
	v_mul_f32_e32 v1, v22, v1
	v_and_b32_e32 v2, 0x7f800000, v1
	v_cmp_ne_u32_e32 vcc, s19, v2
	s_and_saveexec_b64 s[42:43], vcc
	s_xor_b64 vcc, exec, s[42:43]
; %bb.146:                              ;   in Loop: Header=BB352_9 Depth=1
	v_bfe_u32 v2, v1, 16, 1
	v_add3_u32 v1, v1, v2, s44
	v_accvgpr_write_b32 a58, v1
                                        ; implicit-def: $vgpr1
; %bb.147:                              ;   in Loop: Header=BB352_9 Depth=1
	s_andn2_saveexec_b64 s[42:43], vcc
; %bb.148:                              ;   in Loop: Header=BB352_9 Depth=1
	v_or_b32_e32 v2, 0x10000, v1
	v_cmp_eq_u32_sdwa vcc, v1, v5 src0_sel:WORD_0 src1_sel:DWORD
	s_nop 1
	v_cndmask_b32_e32 v1, v2, v1, vcc
	v_accvgpr_write_b32 a58, v1
; %bb.149:                              ;   in Loop: Header=BB352_9 Depth=1
	s_or_b64 exec, exec, s[42:43]
	v_lshrrev_b32_e32 v0, 24, v0
	v_cvt_f32_fp8_sdwa v0, v0 src0_sel:BYTE_0
                                        ; implicit-def: $agpr59
	s_nop 0
	v_mul_f32_e32 v0, v22, v0
	v_and_b32_e32 v1, 0x7f800000, v0
	v_cmp_ne_u32_e32 vcc, s19, v1
	s_and_saveexec_b64 s[42:43], vcc
	s_xor_b64 vcc, exec, s[42:43]
; %bb.150:                              ;   in Loop: Header=BB352_9 Depth=1
	v_bfe_u32 v1, v0, 16, 1
	v_add3_u32 v0, v0, v1, s44
	v_accvgpr_write_b32 a59, v0
                                        ; implicit-def: $vgpr0
; %bb.151:                              ;   in Loop: Header=BB352_9 Depth=1
	s_andn2_saveexec_b64 s[42:43], vcc
; %bb.152:                              ;   in Loop: Header=BB352_9 Depth=1
	v_or_b32_e32 v1, 0x10000, v0
	v_cmp_eq_u32_sdwa vcc, v0, v5 src0_sel:WORD_0 src1_sel:DWORD
	s_nop 1
	v_cndmask_b32_e32 v0, v1, v0, vcc
	v_accvgpr_write_b32 a59, v0
; %bb.153:                              ;   in Loop: Header=BB352_9 Depth=1
	s_or_b64 exec, exec, s[42:43]
	flat_load_dword v0, v[16:17] offset:2056
                                        ; implicit-def: $agpr60
	s_waitcnt vmcnt(0) lgkmcnt(0)
	v_and_b32_e32 v1, 0xff, v0
	v_cvt_f32_fp8_sdwa v1, v1 src0_sel:BYTE_0
	s_nop 0
	v_mul_f32_e32 v1, v22, v1
	v_and_b32_e32 v2, 0x7f800000, v1
	v_cmp_ne_u32_e32 vcc, s19, v2
	s_and_saveexec_b64 s[42:43], vcc
	s_xor_b64 vcc, exec, s[42:43]
; %bb.154:                              ;   in Loop: Header=BB352_9 Depth=1
	v_bfe_u32 v2, v1, 16, 1
	v_add3_u32 v1, v1, v2, s44
	v_accvgpr_write_b32 a60, v1
                                        ; implicit-def: $vgpr1
; %bb.155:                              ;   in Loop: Header=BB352_9 Depth=1
	s_andn2_saveexec_b64 s[42:43], vcc
; %bb.156:                              ;   in Loop: Header=BB352_9 Depth=1
	v_or_b32_e32 v2, 0x10000, v1
	v_cmp_eq_u32_sdwa vcc, v1, v5 src0_sel:WORD_0 src1_sel:DWORD
	s_nop 1
	v_cndmask_b32_e32 v1, v2, v1, vcc
	v_accvgpr_write_b32 a60, v1
; %bb.157:                              ;   in Loop: Header=BB352_9 Depth=1
	s_or_b64 exec, exec, s[42:43]
	v_bfe_u32 v1, v0, 8, 8
	v_cvt_f32_fp8_sdwa v1, v1 src0_sel:BYTE_0
                                        ; implicit-def: $agpr61
	s_nop 0
	v_mul_f32_e32 v1, v22, v1
	v_and_b32_e32 v2, 0x7f800000, v1
	v_cmp_ne_u32_e32 vcc, s19, v2
	s_and_saveexec_b64 s[42:43], vcc
	s_xor_b64 vcc, exec, s[42:43]
; %bb.158:                              ;   in Loop: Header=BB352_9 Depth=1
	v_bfe_u32 v2, v1, 16, 1
	v_add3_u32 v1, v1, v2, s44
	v_accvgpr_write_b32 a61, v1
                                        ; implicit-def: $vgpr1
; %bb.159:                              ;   in Loop: Header=BB352_9 Depth=1
	s_andn2_saveexec_b64 s[42:43], vcc
; %bb.160:                              ;   in Loop: Header=BB352_9 Depth=1
	v_or_b32_e32 v2, 0x10000, v1
	v_cmp_eq_u32_sdwa vcc, v1, v5 src0_sel:WORD_0 src1_sel:DWORD
	s_nop 1
	v_cndmask_b32_e32 v1, v2, v1, vcc
	v_accvgpr_write_b32 a61, v1
; %bb.161:                              ;   in Loop: Header=BB352_9 Depth=1
	s_or_b64 exec, exec, s[42:43]
	v_bfe_u32 v1, v0, 16, 8
	v_cvt_f32_fp8_sdwa v1, v1 src0_sel:BYTE_0
                                        ; implicit-def: $agpr62
	s_nop 0
	v_mul_f32_e32 v1, v22, v1
	v_and_b32_e32 v2, 0x7f800000, v1
	v_cmp_ne_u32_e32 vcc, s19, v2
	s_and_saveexec_b64 s[42:43], vcc
	s_xor_b64 vcc, exec, s[42:43]
; %bb.162:                              ;   in Loop: Header=BB352_9 Depth=1
	v_bfe_u32 v2, v1, 16, 1
	v_add3_u32 v1, v1, v2, s44
	v_accvgpr_write_b32 a62, v1
                                        ; implicit-def: $vgpr1
; %bb.163:                              ;   in Loop: Header=BB352_9 Depth=1
	s_andn2_saveexec_b64 s[42:43], vcc
; %bb.164:                              ;   in Loop: Header=BB352_9 Depth=1
	v_or_b32_e32 v2, 0x10000, v1
	v_cmp_eq_u32_sdwa vcc, v1, v5 src0_sel:WORD_0 src1_sel:DWORD
	s_nop 1
	v_cndmask_b32_e32 v1, v2, v1, vcc
	v_accvgpr_write_b32 a62, v1
; %bb.165:                              ;   in Loop: Header=BB352_9 Depth=1
	s_or_b64 exec, exec, s[42:43]
	v_lshrrev_b32_e32 v0, 24, v0
	v_cvt_f32_fp8_sdwa v0, v0 src0_sel:BYTE_0
                                        ; implicit-def: $agpr63
	s_nop 0
	v_mul_f32_e32 v0, v22, v0
	v_and_b32_e32 v1, 0x7f800000, v0
	v_cmp_ne_u32_e32 vcc, s19, v1
	s_and_saveexec_b64 s[42:43], vcc
	s_xor_b64 vcc, exec, s[42:43]
; %bb.166:                              ;   in Loop: Header=BB352_9 Depth=1
	v_bfe_u32 v1, v0, 16, 1
	v_add3_u32 v0, v0, v1, s44
	v_accvgpr_write_b32 a63, v0
                                        ; implicit-def: $vgpr0
; %bb.167:                              ;   in Loop: Header=BB352_9 Depth=1
	s_andn2_saveexec_b64 s[42:43], vcc
; %bb.168:                              ;   in Loop: Header=BB352_9 Depth=1
	v_or_b32_e32 v1, 0x10000, v0
	v_cmp_eq_u32_sdwa vcc, v0, v5 src0_sel:WORD_0 src1_sel:DWORD
	s_nop 1
	v_cndmask_b32_e32 v0, v1, v0, vcc
	v_accvgpr_write_b32 a63, v0
; %bb.169:                              ;   in Loop: Header=BB352_9 Depth=1
	s_or_b64 exec, exec, s[42:43]
	flat_load_dword v0, v[16:17] offset:2560
                                        ; implicit-def: $agpr12
	s_waitcnt vmcnt(0) lgkmcnt(0)
	v_and_b32_e32 v1, 0xff, v0
	v_cvt_f32_fp8_sdwa v1, v1 src0_sel:BYTE_0
	s_nop 0
	v_mul_f32_e32 v1, v22, v1
	v_and_b32_e32 v2, 0x7f800000, v1
	v_cmp_ne_u32_e32 vcc, s19, v2
	s_and_saveexec_b64 s[42:43], vcc
	s_xor_b64 vcc, exec, s[42:43]
; %bb.170:                              ;   in Loop: Header=BB352_9 Depth=1
	v_bfe_u32 v2, v1, 16, 1
	v_add3_u32 v1, v1, v2, s44
	v_accvgpr_write_b32 a12, v1
                                        ; implicit-def: $vgpr1
; %bb.171:                              ;   in Loop: Header=BB352_9 Depth=1
	s_andn2_saveexec_b64 s[42:43], vcc
; %bb.172:                              ;   in Loop: Header=BB352_9 Depth=1
	v_or_b32_e32 v2, 0x10000, v1
	v_cmp_eq_u32_sdwa vcc, v1, v5 src0_sel:WORD_0 src1_sel:DWORD
	s_nop 1
	v_cndmask_b32_e32 v1, v2, v1, vcc
	v_accvgpr_write_b32 a12, v1
; %bb.173:                              ;   in Loop: Header=BB352_9 Depth=1
	s_or_b64 exec, exec, s[42:43]
	v_bfe_u32 v1, v0, 8, 8
	v_cvt_f32_fp8_sdwa v1, v1 src0_sel:BYTE_0
                                        ; implicit-def: $agpr13
	s_nop 0
	v_mul_f32_e32 v1, v22, v1
	v_and_b32_e32 v2, 0x7f800000, v1
	v_cmp_ne_u32_e32 vcc, s19, v2
	s_and_saveexec_b64 s[42:43], vcc
	s_xor_b64 vcc, exec, s[42:43]
; %bb.174:                              ;   in Loop: Header=BB352_9 Depth=1
	v_bfe_u32 v2, v1, 16, 1
	v_add3_u32 v1, v1, v2, s44
	v_accvgpr_write_b32 a13, v1
                                        ; implicit-def: $vgpr1
; %bb.175:                              ;   in Loop: Header=BB352_9 Depth=1
	s_andn2_saveexec_b64 s[42:43], vcc
; %bb.176:                              ;   in Loop: Header=BB352_9 Depth=1
	v_or_b32_e32 v2, 0x10000, v1
	v_cmp_eq_u32_sdwa vcc, v1, v5 src0_sel:WORD_0 src1_sel:DWORD
	s_nop 1
	v_cndmask_b32_e32 v1, v2, v1, vcc
	v_accvgpr_write_b32 a13, v1
; %bb.177:                              ;   in Loop: Header=BB352_9 Depth=1
	s_or_b64 exec, exec, s[42:43]
	v_bfe_u32 v1, v0, 16, 8
	v_cvt_f32_fp8_sdwa v1, v1 src0_sel:BYTE_0
                                        ; implicit-def: $agpr54
	s_nop 0
	v_mul_f32_e32 v1, v22, v1
	v_and_b32_e32 v2, 0x7f800000, v1
	v_cmp_ne_u32_e32 vcc, s19, v2
	s_and_saveexec_b64 s[42:43], vcc
	s_xor_b64 vcc, exec, s[42:43]
; %bb.178:                              ;   in Loop: Header=BB352_9 Depth=1
	v_bfe_u32 v2, v1, 16, 1
	v_add3_u32 v1, v1, v2, s44
	v_accvgpr_write_b32 a54, v1
                                        ; implicit-def: $vgpr1
; %bb.179:                              ;   in Loop: Header=BB352_9 Depth=1
	s_andn2_saveexec_b64 s[42:43], vcc
; %bb.180:                              ;   in Loop: Header=BB352_9 Depth=1
	v_or_b32_e32 v2, 0x10000, v1
	v_cmp_eq_u32_sdwa vcc, v1, v5 src0_sel:WORD_0 src1_sel:DWORD
	s_nop 1
	v_cndmask_b32_e32 v1, v2, v1, vcc
	v_accvgpr_write_b32 a54, v1
; %bb.181:                              ;   in Loop: Header=BB352_9 Depth=1
	s_or_b64 exec, exec, s[42:43]
	v_lshrrev_b32_e32 v0, 24, v0
	v_cvt_f32_fp8_sdwa v0, v0 src0_sel:BYTE_0
                                        ; implicit-def: $agpr9
	s_nop 0
	v_mul_f32_e32 v0, v22, v0
	v_and_b32_e32 v1, 0x7f800000, v0
	v_cmp_ne_u32_e32 vcc, s19, v1
	s_and_saveexec_b64 s[42:43], vcc
	s_xor_b64 vcc, exec, s[42:43]
; %bb.182:                              ;   in Loop: Header=BB352_9 Depth=1
	v_bfe_u32 v1, v0, 16, 1
	v_add3_u32 v0, v0, v1, s44
	v_accvgpr_write_b32 a9, v0
                                        ; implicit-def: $vgpr0
; %bb.183:                              ;   in Loop: Header=BB352_9 Depth=1
	s_andn2_saveexec_b64 s[42:43], vcc
; %bb.184:                              ;   in Loop: Header=BB352_9 Depth=1
	v_or_b32_e32 v1, 0x10000, v0
	v_cmp_eq_u32_sdwa vcc, v0, v5 src0_sel:WORD_0 src1_sel:DWORD
	s_nop 1
	v_cndmask_b32_e32 v0, v1, v0, vcc
	v_accvgpr_write_b32 a9, v0
; %bb.185:                              ;   in Loop: Header=BB352_9 Depth=1
	s_or_b64 exec, exec, s[42:43]
	flat_load_dword v0, v[16:17] offset:2568
                                        ; implicit-def: $agpr10
	s_waitcnt vmcnt(0) lgkmcnt(0)
	v_and_b32_e32 v1, 0xff, v0
	v_cvt_f32_fp8_sdwa v1, v1 src0_sel:BYTE_0
	s_nop 0
	v_mul_f32_e32 v1, v22, v1
	v_and_b32_e32 v2, 0x7f800000, v1
	v_cmp_ne_u32_e32 vcc, s19, v2
	s_and_saveexec_b64 s[42:43], vcc
	s_xor_b64 vcc, exec, s[42:43]
; %bb.186:                              ;   in Loop: Header=BB352_9 Depth=1
	v_bfe_u32 v2, v1, 16, 1
	v_add3_u32 v1, v1, v2, s44
	v_accvgpr_write_b32 a10, v1
                                        ; implicit-def: $vgpr1
; %bb.187:                              ;   in Loop: Header=BB352_9 Depth=1
	s_andn2_saveexec_b64 s[42:43], vcc
; %bb.188:                              ;   in Loop: Header=BB352_9 Depth=1
	v_or_b32_e32 v2, 0x10000, v1
	v_cmp_eq_u32_sdwa vcc, v1, v5 src0_sel:WORD_0 src1_sel:DWORD
	s_nop 1
	v_cndmask_b32_e32 v1, v2, v1, vcc
	v_accvgpr_write_b32 a10, v1
; %bb.189:                              ;   in Loop: Header=BB352_9 Depth=1
	s_or_b64 exec, exec, s[42:43]
	v_bfe_u32 v1, v0, 8, 8
	v_cvt_f32_fp8_sdwa v1, v1 src0_sel:BYTE_0
                                        ; implicit-def: $agpr11
	s_nop 0
	v_mul_f32_e32 v1, v22, v1
	v_and_b32_e32 v2, 0x7f800000, v1
	v_cmp_ne_u32_e32 vcc, s19, v2
	s_and_saveexec_b64 s[42:43], vcc
	s_xor_b64 vcc, exec, s[42:43]
; %bb.190:                              ;   in Loop: Header=BB352_9 Depth=1
	v_bfe_u32 v2, v1, 16, 1
	v_add3_u32 v1, v1, v2, s44
	v_accvgpr_write_b32 a11, v1
                                        ; implicit-def: $vgpr1
; %bb.191:                              ;   in Loop: Header=BB352_9 Depth=1
	s_andn2_saveexec_b64 s[42:43], vcc
; %bb.192:                              ;   in Loop: Header=BB352_9 Depth=1
	v_or_b32_e32 v2, 0x10000, v1
	v_cmp_eq_u32_sdwa vcc, v1, v5 src0_sel:WORD_0 src1_sel:DWORD
	s_nop 1
	v_cndmask_b32_e32 v1, v2, v1, vcc
	v_accvgpr_write_b32 a11, v1
; %bb.193:                              ;   in Loop: Header=BB352_9 Depth=1
	s_or_b64 exec, exec, s[42:43]
	v_bfe_u32 v1, v0, 16, 8
	v_cvt_f32_fp8_sdwa v1, v1 src0_sel:BYTE_0
                                        ; implicit-def: $agpr8
	s_nop 0
	v_mul_f32_e32 v1, v22, v1
	v_and_b32_e32 v2, 0x7f800000, v1
	v_cmp_ne_u32_e32 vcc, s19, v2
	s_and_saveexec_b64 s[42:43], vcc
	s_xor_b64 vcc, exec, s[42:43]
; %bb.194:                              ;   in Loop: Header=BB352_9 Depth=1
	v_bfe_u32 v2, v1, 16, 1
	v_add3_u32 v1, v1, v2, s44
	v_accvgpr_write_b32 a8, v1
                                        ; implicit-def: $vgpr1
; %bb.195:                              ;   in Loop: Header=BB352_9 Depth=1
	s_andn2_saveexec_b64 s[42:43], vcc
; %bb.196:                              ;   in Loop: Header=BB352_9 Depth=1
	v_or_b32_e32 v2, 0x10000, v1
	v_cmp_eq_u32_sdwa vcc, v1, v5 src0_sel:WORD_0 src1_sel:DWORD
	s_nop 1
	v_cndmask_b32_e32 v1, v2, v1, vcc
	v_accvgpr_write_b32 a8, v1
; %bb.197:                              ;   in Loop: Header=BB352_9 Depth=1
	s_or_b64 exec, exec, s[42:43]
	v_lshrrev_b32_e32 v0, 24, v0
	v_cvt_f32_fp8_sdwa v0, v0 src0_sel:BYTE_0
                                        ; implicit-def: $agpr6
	s_nop 0
	v_mul_f32_e32 v0, v22, v0
	v_and_b32_e32 v1, 0x7f800000, v0
	v_cmp_ne_u32_e32 vcc, s19, v1
	s_and_saveexec_b64 s[42:43], vcc
	s_xor_b64 vcc, exec, s[42:43]
; %bb.198:                              ;   in Loop: Header=BB352_9 Depth=1
	v_bfe_u32 v1, v0, 16, 1
	v_add3_u32 v0, v0, v1, s44
	v_accvgpr_write_b32 a6, v0
                                        ; implicit-def: $vgpr0
; %bb.199:                              ;   in Loop: Header=BB352_9 Depth=1
	s_andn2_saveexec_b64 s[42:43], vcc
; %bb.200:                              ;   in Loop: Header=BB352_9 Depth=1
	v_or_b32_e32 v1, 0x10000, v0
	v_cmp_eq_u32_sdwa vcc, v0, v5 src0_sel:WORD_0 src1_sel:DWORD
	s_nop 1
	v_cndmask_b32_e32 v0, v1, v0, vcc
	v_accvgpr_write_b32 a6, v0
; %bb.201:                              ;   in Loop: Header=BB352_9 Depth=1
	s_or_b64 exec, exec, s[42:43]
	flat_load_dword v0, v[16:17] offset:3072
                                        ; implicit-def: $agpr7
	s_waitcnt vmcnt(0) lgkmcnt(0)
	v_and_b32_e32 v1, 0xff, v0
	v_cvt_f32_fp8_sdwa v1, v1 src0_sel:BYTE_0
	s_nop 0
	v_mul_f32_e32 v1, v22, v1
	v_and_b32_e32 v2, 0x7f800000, v1
	v_cmp_ne_u32_e32 vcc, s19, v2
	s_and_saveexec_b64 s[42:43], vcc
	s_xor_b64 vcc, exec, s[42:43]
; %bb.202:                              ;   in Loop: Header=BB352_9 Depth=1
	v_bfe_u32 v2, v1, 16, 1
	v_add3_u32 v1, v1, v2, s44
	v_accvgpr_write_b32 a7, v1
                                        ; implicit-def: $vgpr1
; %bb.203:                              ;   in Loop: Header=BB352_9 Depth=1
	s_andn2_saveexec_b64 s[42:43], vcc
; %bb.204:                              ;   in Loop: Header=BB352_9 Depth=1
	v_or_b32_e32 v2, 0x10000, v1
	v_cmp_eq_u32_sdwa vcc, v1, v5 src0_sel:WORD_0 src1_sel:DWORD
	s_nop 1
	v_cndmask_b32_e32 v1, v2, v1, vcc
	v_accvgpr_write_b32 a7, v1
; %bb.205:                              ;   in Loop: Header=BB352_9 Depth=1
	s_or_b64 exec, exec, s[42:43]
	v_bfe_u32 v1, v0, 8, 8
	v_cvt_f32_fp8_sdwa v1, v1 src0_sel:BYTE_0
                                        ; implicit-def: $agpr2
	s_nop 0
	v_mul_f32_e32 v1, v22, v1
	v_and_b32_e32 v2, 0x7f800000, v1
	v_cmp_ne_u32_e32 vcc, s19, v2
	s_and_saveexec_b64 s[42:43], vcc
	s_xor_b64 vcc, exec, s[42:43]
; %bb.206:                              ;   in Loop: Header=BB352_9 Depth=1
	v_bfe_u32 v2, v1, 16, 1
	v_add3_u32 v1, v1, v2, s44
	v_accvgpr_write_b32 a2, v1
                                        ; implicit-def: $vgpr1
; %bb.207:                              ;   in Loop: Header=BB352_9 Depth=1
	s_andn2_saveexec_b64 s[42:43], vcc
; %bb.208:                              ;   in Loop: Header=BB352_9 Depth=1
	v_or_b32_e32 v2, 0x10000, v1
	v_cmp_eq_u32_sdwa vcc, v1, v5 src0_sel:WORD_0 src1_sel:DWORD
	s_nop 1
	v_cndmask_b32_e32 v1, v2, v1, vcc
	v_accvgpr_write_b32 a2, v1
; %bb.209:                              ;   in Loop: Header=BB352_9 Depth=1
	s_or_b64 exec, exec, s[42:43]
	v_bfe_u32 v1, v0, 16, 8
	v_cvt_f32_fp8_sdwa v1, v1 src0_sel:BYTE_0
                                        ; implicit-def: $agpr3
	s_nop 0
	v_mul_f32_e32 v1, v22, v1
	v_and_b32_e32 v2, 0x7f800000, v1
	v_cmp_ne_u32_e32 vcc, s19, v2
	s_and_saveexec_b64 s[42:43], vcc
	s_xor_b64 vcc, exec, s[42:43]
; %bb.210:                              ;   in Loop: Header=BB352_9 Depth=1
	v_bfe_u32 v2, v1, 16, 1
	v_add3_u32 v1, v1, v2, s44
	v_accvgpr_write_b32 a3, v1
                                        ; implicit-def: $vgpr1
; %bb.211:                              ;   in Loop: Header=BB352_9 Depth=1
	s_andn2_saveexec_b64 s[42:43], vcc
; %bb.212:                              ;   in Loop: Header=BB352_9 Depth=1
	v_or_b32_e32 v2, 0x10000, v1
	v_cmp_eq_u32_sdwa vcc, v1, v5 src0_sel:WORD_0 src1_sel:DWORD
	s_nop 1
	v_cndmask_b32_e32 v1, v2, v1, vcc
	v_accvgpr_write_b32 a3, v1
; %bb.213:                              ;   in Loop: Header=BB352_9 Depth=1
	s_or_b64 exec, exec, s[42:43]
	v_lshrrev_b32_e32 v0, 24, v0
	v_cvt_f32_fp8_sdwa v0, v0 src0_sel:BYTE_0
                                        ; implicit-def: $agpr0
	s_nop 0
	v_mul_f32_e32 v0, v22, v0
	v_and_b32_e32 v1, 0x7f800000, v0
	v_cmp_ne_u32_e32 vcc, s19, v1
	s_and_saveexec_b64 s[42:43], vcc
	s_xor_b64 vcc, exec, s[42:43]
; %bb.214:                              ;   in Loop: Header=BB352_9 Depth=1
	v_bfe_u32 v1, v0, 16, 1
	v_add3_u32 v0, v0, v1, s44
	v_accvgpr_write_b32 a0, v0
                                        ; implicit-def: $vgpr0
; %bb.215:                              ;   in Loop: Header=BB352_9 Depth=1
	s_andn2_saveexec_b64 s[42:43], vcc
; %bb.216:                              ;   in Loop: Header=BB352_9 Depth=1
	v_or_b32_e32 v1, 0x10000, v0
	v_cmp_eq_u32_sdwa vcc, v0, v5 src0_sel:WORD_0 src1_sel:DWORD
	s_nop 1
	v_cndmask_b32_e32 v0, v1, v0, vcc
	v_accvgpr_write_b32 a0, v0
; %bb.217:                              ;   in Loop: Header=BB352_9 Depth=1
	s_or_b64 exec, exec, s[42:43]
	flat_load_dword v0, v[16:17] offset:3080
                                        ; implicit-def: $agpr1
	s_waitcnt vmcnt(0) lgkmcnt(0)
	v_and_b32_e32 v1, 0xff, v0
	v_cvt_f32_fp8_sdwa v1, v1 src0_sel:BYTE_0
	s_nop 0
	v_mul_f32_e32 v1, v22, v1
	v_and_b32_e32 v2, 0x7f800000, v1
	v_cmp_ne_u32_e32 vcc, s19, v2
	s_and_saveexec_b64 s[42:43], vcc
	s_xor_b64 vcc, exec, s[42:43]
; %bb.218:                              ;   in Loop: Header=BB352_9 Depth=1
	v_bfe_u32 v2, v1, 16, 1
	v_add3_u32 v1, v1, v2, s44
	v_accvgpr_write_b32 a1, v1
                                        ; implicit-def: $vgpr1
; %bb.219:                              ;   in Loop: Header=BB352_9 Depth=1
	s_andn2_saveexec_b64 s[42:43], vcc
; %bb.220:                              ;   in Loop: Header=BB352_9 Depth=1
	v_or_b32_e32 v2, 0x10000, v1
	v_cmp_eq_u32_sdwa vcc, v1, v5 src0_sel:WORD_0 src1_sel:DWORD
	s_nop 1
	v_cndmask_b32_e32 v1, v2, v1, vcc
	v_accvgpr_write_b32 a1, v1
; %bb.221:                              ;   in Loop: Header=BB352_9 Depth=1
	s_or_b64 exec, exec, s[42:43]
	v_bfe_u32 v1, v0, 8, 8
	v_cvt_f32_fp8_sdwa v1, v1 src0_sel:BYTE_0
                                        ; implicit-def: $agpr16
	s_nop 0
	v_mul_f32_e32 v1, v22, v1
	v_and_b32_e32 v2, 0x7f800000, v1
	v_cmp_ne_u32_e32 vcc, s19, v2
	s_and_saveexec_b64 s[42:43], vcc
	s_xor_b64 vcc, exec, s[42:43]
; %bb.222:                              ;   in Loop: Header=BB352_9 Depth=1
	v_bfe_u32 v2, v1, 16, 1
	v_add3_u32 v1, v1, v2, s44
	v_accvgpr_write_b32 a16, v1
                                        ; implicit-def: $vgpr1
; %bb.223:                              ;   in Loop: Header=BB352_9 Depth=1
	s_andn2_saveexec_b64 s[42:43], vcc
; %bb.224:                              ;   in Loop: Header=BB352_9 Depth=1
	v_or_b32_e32 v2, 0x10000, v1
	v_cmp_eq_u32_sdwa vcc, v1, v5 src0_sel:WORD_0 src1_sel:DWORD
	s_nop 1
	v_cndmask_b32_e32 v1, v2, v1, vcc
	v_accvgpr_write_b32 a16, v1
; %bb.225:                              ;   in Loop: Header=BB352_9 Depth=1
	s_or_b64 exec, exec, s[42:43]
	v_bfe_u32 v1, v0, 16, 8
	v_cvt_f32_fp8_sdwa v1, v1 src0_sel:BYTE_0
                                        ; implicit-def: $agpr17
	s_nop 0
	v_mul_f32_e32 v1, v22, v1
	v_and_b32_e32 v2, 0x7f800000, v1
	v_cmp_ne_u32_e32 vcc, s19, v2
	s_and_saveexec_b64 s[42:43], vcc
	s_xor_b64 vcc, exec, s[42:43]
; %bb.226:                              ;   in Loop: Header=BB352_9 Depth=1
	v_bfe_u32 v2, v1, 16, 1
	v_add3_u32 v1, v1, v2, s44
	v_accvgpr_write_b32 a17, v1
                                        ; implicit-def: $vgpr1
; %bb.227:                              ;   in Loop: Header=BB352_9 Depth=1
	s_andn2_saveexec_b64 s[42:43], vcc
; %bb.228:                              ;   in Loop: Header=BB352_9 Depth=1
	v_or_b32_e32 v2, 0x10000, v1
	v_cmp_eq_u32_sdwa vcc, v1, v5 src0_sel:WORD_0 src1_sel:DWORD
	s_nop 1
	v_cndmask_b32_e32 v1, v2, v1, vcc
	v_accvgpr_write_b32 a17, v1
; %bb.229:                              ;   in Loop: Header=BB352_9 Depth=1
	s_or_b64 exec, exec, s[42:43]
	v_lshrrev_b32_e32 v0, 24, v0
	v_cvt_f32_fp8_sdwa v0, v0 src0_sel:BYTE_0
                                        ; implicit-def: $agpr18
	s_nop 0
	v_mul_f32_e32 v0, v22, v0
	v_and_b32_e32 v1, 0x7f800000, v0
	v_cmp_ne_u32_e32 vcc, s19, v1
	s_and_saveexec_b64 s[42:43], vcc
	s_xor_b64 vcc, exec, s[42:43]
; %bb.230:                              ;   in Loop: Header=BB352_9 Depth=1
	v_bfe_u32 v1, v0, 16, 1
	v_add3_u32 v0, v0, v1, s44
	v_accvgpr_write_b32 a18, v0
                                        ; implicit-def: $vgpr0
; %bb.231:                              ;   in Loop: Header=BB352_9 Depth=1
	s_andn2_saveexec_b64 s[42:43], vcc
; %bb.232:                              ;   in Loop: Header=BB352_9 Depth=1
	v_or_b32_e32 v1, 0x10000, v0
	v_cmp_eq_u32_sdwa vcc, v0, v5 src0_sel:WORD_0 src1_sel:DWORD
	s_nop 1
	v_cndmask_b32_e32 v0, v1, v0, vcc
	v_accvgpr_write_b32 a18, v0
; %bb.233:                              ;   in Loop: Header=BB352_9 Depth=1
	s_or_b64 exec, exec, s[42:43]
	flat_load_dword v0, v[16:17] offset:3584
                                        ; implicit-def: $agpr19
	s_waitcnt vmcnt(0) lgkmcnt(0)
	v_and_b32_e32 v1, 0xff, v0
	v_cvt_f32_fp8_sdwa v1, v1 src0_sel:BYTE_0
	s_nop 0
	v_mul_f32_e32 v1, v22, v1
	v_and_b32_e32 v2, 0x7f800000, v1
	v_cmp_ne_u32_e32 vcc, s19, v2
	s_and_saveexec_b64 s[42:43], vcc
	s_xor_b64 vcc, exec, s[42:43]
; %bb.234:                              ;   in Loop: Header=BB352_9 Depth=1
	v_bfe_u32 v2, v1, 16, 1
	v_add3_u32 v1, v1, v2, s44
	v_accvgpr_write_b32 a19, v1
                                        ; implicit-def: $vgpr1
; %bb.235:                              ;   in Loop: Header=BB352_9 Depth=1
	s_andn2_saveexec_b64 s[42:43], vcc
; %bb.236:                              ;   in Loop: Header=BB352_9 Depth=1
	v_or_b32_e32 v2, 0x10000, v1
	v_cmp_eq_u32_sdwa vcc, v1, v5 src0_sel:WORD_0 src1_sel:DWORD
	s_nop 1
	v_cndmask_b32_e32 v1, v2, v1, vcc
	v_accvgpr_write_b32 a19, v1
; %bb.237:                              ;   in Loop: Header=BB352_9 Depth=1
	s_or_b64 exec, exec, s[42:43]
	v_bfe_u32 v1, v0, 8, 8
	v_cvt_f32_fp8_sdwa v1, v1 src0_sel:BYTE_0
                                        ; implicit-def: $agpr20
	s_nop 0
	v_mul_f32_e32 v1, v22, v1
	v_and_b32_e32 v2, 0x7f800000, v1
	v_cmp_ne_u32_e32 vcc, s19, v2
	s_and_saveexec_b64 s[42:43], vcc
	s_xor_b64 vcc, exec, s[42:43]
; %bb.238:                              ;   in Loop: Header=BB352_9 Depth=1
	v_bfe_u32 v2, v1, 16, 1
	v_add3_u32 v1, v1, v2, s44
	v_accvgpr_write_b32 a20, v1
                                        ; implicit-def: $vgpr1
; %bb.239:                              ;   in Loop: Header=BB352_9 Depth=1
	s_andn2_saveexec_b64 s[42:43], vcc
; %bb.240:                              ;   in Loop: Header=BB352_9 Depth=1
	v_or_b32_e32 v2, 0x10000, v1
	v_cmp_eq_u32_sdwa vcc, v1, v5 src0_sel:WORD_0 src1_sel:DWORD
	s_nop 1
	v_cndmask_b32_e32 v1, v2, v1, vcc
	v_accvgpr_write_b32 a20, v1
; %bb.241:                              ;   in Loop: Header=BB352_9 Depth=1
	s_or_b64 exec, exec, s[42:43]
	v_bfe_u32 v1, v0, 16, 8
	v_cvt_f32_fp8_sdwa v1, v1 src0_sel:BYTE_0
                                        ; implicit-def: $agpr21
	s_nop 0
	v_mul_f32_e32 v1, v22, v1
	v_and_b32_e32 v2, 0x7f800000, v1
	v_cmp_ne_u32_e32 vcc, s19, v2
	s_and_saveexec_b64 s[42:43], vcc
	s_xor_b64 vcc, exec, s[42:43]
; %bb.242:                              ;   in Loop: Header=BB352_9 Depth=1
	v_bfe_u32 v2, v1, 16, 1
	v_add3_u32 v1, v1, v2, s44
	v_accvgpr_write_b32 a21, v1
                                        ; implicit-def: $vgpr1
; %bb.243:                              ;   in Loop: Header=BB352_9 Depth=1
	s_andn2_saveexec_b64 s[42:43], vcc
; %bb.244:                              ;   in Loop: Header=BB352_9 Depth=1
	v_or_b32_e32 v2, 0x10000, v1
	v_cmp_eq_u32_sdwa vcc, v1, v5 src0_sel:WORD_0 src1_sel:DWORD
	s_nop 1
	v_cndmask_b32_e32 v1, v2, v1, vcc
	v_accvgpr_write_b32 a21, v1
; %bb.245:                              ;   in Loop: Header=BB352_9 Depth=1
	s_or_b64 exec, exec, s[42:43]
	v_lshrrev_b32_e32 v0, 24, v0
	v_cvt_f32_fp8_sdwa v0, v0 src0_sel:BYTE_0
                                        ; implicit-def: $agpr22
	s_nop 0
	v_mul_f32_e32 v0, v22, v0
	v_and_b32_e32 v1, 0x7f800000, v0
	v_cmp_ne_u32_e32 vcc, s19, v1
	s_and_saveexec_b64 s[42:43], vcc
	s_xor_b64 vcc, exec, s[42:43]
; %bb.246:                              ;   in Loop: Header=BB352_9 Depth=1
	v_bfe_u32 v1, v0, 16, 1
	v_add3_u32 v0, v0, v1, s44
	v_accvgpr_write_b32 a22, v0
                                        ; implicit-def: $vgpr0
; %bb.247:                              ;   in Loop: Header=BB352_9 Depth=1
	s_andn2_saveexec_b64 s[42:43], vcc
; %bb.248:                              ;   in Loop: Header=BB352_9 Depth=1
	v_or_b32_e32 v1, 0x10000, v0
	v_cmp_eq_u32_sdwa vcc, v0, v5 src0_sel:WORD_0 src1_sel:DWORD
	s_nop 1
	v_cndmask_b32_e32 v0, v1, v0, vcc
	v_accvgpr_write_b32 a22, v0
; %bb.249:                              ;   in Loop: Header=BB352_9 Depth=1
	s_or_b64 exec, exec, s[42:43]
	flat_load_dword v0, v[16:17] offset:3592
                                        ; implicit-def: $agpr23
	s_waitcnt vmcnt(0) lgkmcnt(0)
	v_and_b32_e32 v1, 0xff, v0
	v_cvt_f32_fp8_sdwa v1, v1 src0_sel:BYTE_0
	s_nop 0
	v_mul_f32_e32 v1, v22, v1
	v_and_b32_e32 v2, 0x7f800000, v1
	v_cmp_ne_u32_e32 vcc, s19, v2
	s_and_saveexec_b64 s[42:43], vcc
	s_xor_b64 vcc, exec, s[42:43]
; %bb.250:                              ;   in Loop: Header=BB352_9 Depth=1
	v_bfe_u32 v2, v1, 16, 1
	v_add3_u32 v1, v1, v2, s44
	v_accvgpr_write_b32 a23, v1
                                        ; implicit-def: $vgpr1
; %bb.251:                              ;   in Loop: Header=BB352_9 Depth=1
	s_andn2_saveexec_b64 s[42:43], vcc
; %bb.252:                              ;   in Loop: Header=BB352_9 Depth=1
	v_or_b32_e32 v2, 0x10000, v1
	v_cmp_eq_u32_sdwa vcc, v1, v5 src0_sel:WORD_0 src1_sel:DWORD
	s_nop 1
	v_cndmask_b32_e32 v1, v2, v1, vcc
	v_accvgpr_write_b32 a23, v1
; %bb.253:                              ;   in Loop: Header=BB352_9 Depth=1
	s_or_b64 exec, exec, s[42:43]
	v_bfe_u32 v1, v0, 8, 8
	v_cvt_f32_fp8_sdwa v1, v1 src0_sel:BYTE_0
                                        ; implicit-def: $agpr26
	s_nop 0
	v_mul_f32_e32 v1, v22, v1
	v_and_b32_e32 v2, 0x7f800000, v1
	v_cmp_ne_u32_e32 vcc, s19, v2
	s_and_saveexec_b64 s[42:43], vcc
	s_xor_b64 vcc, exec, s[42:43]
; %bb.254:                              ;   in Loop: Header=BB352_9 Depth=1
	v_bfe_u32 v2, v1, 16, 1
	v_add3_u32 v1, v1, v2, s44
	v_accvgpr_write_b32 a26, v1
                                        ; implicit-def: $vgpr1
; %bb.255:                              ;   in Loop: Header=BB352_9 Depth=1
	s_andn2_saveexec_b64 s[42:43], vcc
; %bb.256:                              ;   in Loop: Header=BB352_9 Depth=1
	v_or_b32_e32 v2, 0x10000, v1
	v_cmp_eq_u32_sdwa vcc, v1, v5 src0_sel:WORD_0 src1_sel:DWORD
	s_nop 1
	v_cndmask_b32_e32 v1, v2, v1, vcc
	v_accvgpr_write_b32 a26, v1
; %bb.257:                              ;   in Loop: Header=BB352_9 Depth=1
	s_or_b64 exec, exec, s[42:43]
	v_bfe_u32 v1, v0, 16, 8
	v_cvt_f32_fp8_sdwa v1, v1 src0_sel:BYTE_0
                                        ; implicit-def: $agpr4
	s_nop 0
	v_mul_f32_e32 v1, v22, v1
	v_and_b32_e32 v2, 0x7f800000, v1
	v_cmp_ne_u32_e32 vcc, s19, v2
	s_and_saveexec_b64 s[42:43], vcc
	s_xor_b64 vcc, exec, s[42:43]
; %bb.258:                              ;   in Loop: Header=BB352_9 Depth=1
	v_bfe_u32 v2, v1, 16, 1
	v_add3_u32 v1, v1, v2, s44
	v_accvgpr_write_b32 a4, v1
                                        ; implicit-def: $vgpr1
; %bb.259:                              ;   in Loop: Header=BB352_9 Depth=1
	s_andn2_saveexec_b64 s[42:43], vcc
; %bb.260:                              ;   in Loop: Header=BB352_9 Depth=1
	v_or_b32_e32 v2, 0x10000, v1
	v_cmp_eq_u32_sdwa vcc, v1, v5 src0_sel:WORD_0 src1_sel:DWORD
	s_nop 1
	v_cndmask_b32_e32 v1, v2, v1, vcc
	v_accvgpr_write_b32 a4, v1
; %bb.261:                              ;   in Loop: Header=BB352_9 Depth=1
	s_or_b64 exec, exec, s[42:43]
	v_lshrrev_b32_e32 v0, 24, v0
	v_cvt_f32_fp8_sdwa v0, v0 src0_sel:BYTE_0
                                        ; implicit-def: $agpr14
	s_nop 0
	v_mul_f32_e32 v0, v22, v0
	v_and_b32_e32 v1, 0x7f800000, v0
	v_cmp_ne_u32_e32 vcc, s19, v1
	s_and_saveexec_b64 s[42:43], vcc
	s_xor_b64 vcc, exec, s[42:43]
; %bb.262:                              ;   in Loop: Header=BB352_9 Depth=1
	v_bfe_u32 v1, v0, 16, 1
	v_add3_u32 v0, v0, v1, s44
	v_accvgpr_write_b32 a14, v0
                                        ; implicit-def: $vgpr0
; %bb.263:                              ;   in Loop: Header=BB352_9 Depth=1
	s_andn2_saveexec_b64 s[42:43], vcc
; %bb.264:                              ;   in Loop: Header=BB352_9 Depth=1
	v_or_b32_e32 v1, 0x10000, v0
	v_cmp_eq_u32_sdwa vcc, v0, v5 src0_sel:WORD_0 src1_sel:DWORD
	s_nop 1
	v_cndmask_b32_e32 v0, v1, v0, vcc
	v_accvgpr_write_b32 a14, v0
; %bb.265:                              ;   in Loop: Header=BB352_9 Depth=1
	s_or_b64 exec, exec, s[42:43]
	v_add_co_u32_e32 v0, vcc, 0x1000, v16
                                        ; implicit-def: $agpr15
	s_nop 1
	v_addc_co_u32_e32 v1, vcc, 0, v17, vcc
	flat_load_dword v0, v[0:1]
	s_waitcnt vmcnt(0) lgkmcnt(0)
	v_and_b32_e32 v1, 0xff, v0
	v_cvt_f32_fp8_sdwa v1, v1 src0_sel:BYTE_0
	s_nop 0
	v_mul_f32_e32 v1, v22, v1
	v_and_b32_e32 v2, 0x7f800000, v1
	v_cmp_ne_u32_e32 vcc, s19, v2
	s_and_saveexec_b64 s[42:43], vcc
	s_xor_b64 vcc, exec, s[42:43]
; %bb.266:                              ;   in Loop: Header=BB352_9 Depth=1
	v_bfe_u32 v2, v1, 16, 1
	v_add3_u32 v1, v1, v2, s44
	v_accvgpr_write_b32 a15, v1
                                        ; implicit-def: $vgpr1
; %bb.267:                              ;   in Loop: Header=BB352_9 Depth=1
	s_andn2_saveexec_b64 s[42:43], vcc
; %bb.268:                              ;   in Loop: Header=BB352_9 Depth=1
	v_or_b32_e32 v2, 0x10000, v1
	v_cmp_eq_u32_sdwa vcc, v1, v5 src0_sel:WORD_0 src1_sel:DWORD
	s_nop 1
	v_cndmask_b32_e32 v1, v2, v1, vcc
	v_accvgpr_write_b32 a15, v1
; %bb.269:                              ;   in Loop: Header=BB352_9 Depth=1
	s_or_b64 exec, exec, s[42:43]
	v_bfe_u32 v1, v0, 8, 8
	v_cvt_f32_fp8_sdwa v1, v1 src0_sel:BYTE_0
                                        ; implicit-def: $agpr24
	s_nop 0
	v_mul_f32_e32 v1, v22, v1
	v_and_b32_e32 v2, 0x7f800000, v1
	v_cmp_ne_u32_e32 vcc, s19, v2
	s_and_saveexec_b64 s[42:43], vcc
	s_xor_b64 vcc, exec, s[42:43]
; %bb.270:                              ;   in Loop: Header=BB352_9 Depth=1
	v_bfe_u32 v2, v1, 16, 1
	v_add3_u32 v1, v1, v2, s44
	v_accvgpr_write_b32 a24, v1
                                        ; implicit-def: $vgpr1
; %bb.271:                              ;   in Loop: Header=BB352_9 Depth=1
	s_andn2_saveexec_b64 s[42:43], vcc
; %bb.272:                              ;   in Loop: Header=BB352_9 Depth=1
	v_or_b32_e32 v2, 0x10000, v1
	v_cmp_eq_u32_sdwa vcc, v1, v5 src0_sel:WORD_0 src1_sel:DWORD
	s_nop 1
	v_cndmask_b32_e32 v1, v2, v1, vcc
	v_accvgpr_write_b32 a24, v1
; %bb.273:                              ;   in Loop: Header=BB352_9 Depth=1
	s_or_b64 exec, exec, s[42:43]
	v_bfe_u32 v1, v0, 16, 8
	v_cvt_f32_fp8_sdwa v1, v1 src0_sel:BYTE_0
                                        ; implicit-def: $agpr25
	s_nop 0
	v_mul_f32_e32 v1, v22, v1
	v_and_b32_e32 v2, 0x7f800000, v1
	v_cmp_ne_u32_e32 vcc, s19, v2
	s_and_saveexec_b64 s[42:43], vcc
	s_xor_b64 vcc, exec, s[42:43]
; %bb.274:                              ;   in Loop: Header=BB352_9 Depth=1
	v_bfe_u32 v2, v1, 16, 1
	v_add3_u32 v1, v1, v2, s44
	v_accvgpr_write_b32 a25, v1
                                        ; implicit-def: $vgpr1
; %bb.275:                              ;   in Loop: Header=BB352_9 Depth=1
	s_andn2_saveexec_b64 s[42:43], vcc
; %bb.276:                              ;   in Loop: Header=BB352_9 Depth=1
	v_or_b32_e32 v2, 0x10000, v1
	v_cmp_eq_u32_sdwa vcc, v1, v5 src0_sel:WORD_0 src1_sel:DWORD
	s_nop 1
	v_cndmask_b32_e32 v1, v2, v1, vcc
	v_accvgpr_write_b32 a25, v1
; %bb.277:                              ;   in Loop: Header=BB352_9 Depth=1
	s_or_b64 exec, exec, s[42:43]
	v_lshrrev_b32_e32 v0, 24, v0
	v_cvt_f32_fp8_sdwa v0, v0 src0_sel:BYTE_0
                                        ; implicit-def: $agpr5
	s_nop 0
	v_mul_f32_e32 v0, v22, v0
	v_and_b32_e32 v1, 0x7f800000, v0
	v_cmp_ne_u32_e32 vcc, s19, v1
	s_and_saveexec_b64 s[42:43], vcc
	s_xor_b64 vcc, exec, s[42:43]
; %bb.278:                              ;   in Loop: Header=BB352_9 Depth=1
	v_bfe_u32 v1, v0, 16, 1
	v_add3_u32 v0, v0, v1, s44
	v_accvgpr_write_b32 a5, v0
                                        ; implicit-def: $vgpr0
; %bb.279:                              ;   in Loop: Header=BB352_9 Depth=1
	s_andn2_saveexec_b64 s[42:43], vcc
; %bb.280:                              ;   in Loop: Header=BB352_9 Depth=1
	v_or_b32_e32 v1, 0x10000, v0
	v_cmp_eq_u32_sdwa vcc, v0, v5 src0_sel:WORD_0 src1_sel:DWORD
	s_nop 1
	v_cndmask_b32_e32 v0, v1, v0, vcc
	v_accvgpr_write_b32 a5, v0
; %bb.281:                              ;   in Loop: Header=BB352_9 Depth=1
	s_or_b64 exec, exec, s[42:43]
	v_lshl_add_u64 v[0:1], v[16:17], 0, s[24:25]
	flat_load_dword v0, v[0:1] offset:8
                                        ; implicit-def: $agpr27
	s_waitcnt vmcnt(0) lgkmcnt(0)
	v_and_b32_e32 v1, 0xff, v0
	v_cvt_f32_fp8_sdwa v1, v1 src0_sel:BYTE_0
	s_nop 0
	v_mul_f32_e32 v1, v22, v1
	v_and_b32_e32 v2, 0x7f800000, v1
	v_cmp_ne_u32_e32 vcc, s19, v2
	s_and_saveexec_b64 s[42:43], vcc
	s_xor_b64 vcc, exec, s[42:43]
; %bb.282:                              ;   in Loop: Header=BB352_9 Depth=1
	v_bfe_u32 v2, v1, 16, 1
	v_add3_u32 v1, v1, v2, s44
	v_accvgpr_write_b32 a27, v1
                                        ; implicit-def: $vgpr1
; %bb.283:                              ;   in Loop: Header=BB352_9 Depth=1
	s_andn2_saveexec_b64 s[42:43], vcc
; %bb.284:                              ;   in Loop: Header=BB352_9 Depth=1
	v_or_b32_e32 v2, 0x10000, v1
	v_cmp_eq_u32_sdwa vcc, v1, v5 src0_sel:WORD_0 src1_sel:DWORD
	s_nop 1
	v_cndmask_b32_e32 v1, v2, v1, vcc
	v_accvgpr_write_b32 a27, v1
; %bb.285:                              ;   in Loop: Header=BB352_9 Depth=1
	s_or_b64 exec, exec, s[42:43]
	v_bfe_u32 v1, v0, 8, 8
	v_cvt_f32_fp8_sdwa v1, v1 src0_sel:BYTE_0
                                        ; implicit-def: $agpr28
	s_nop 0
	v_mul_f32_e32 v1, v22, v1
	v_and_b32_e32 v2, 0x7f800000, v1
	v_cmp_ne_u32_e32 vcc, s19, v2
	s_and_saveexec_b64 s[42:43], vcc
	s_xor_b64 vcc, exec, s[42:43]
; %bb.286:                              ;   in Loop: Header=BB352_9 Depth=1
	v_bfe_u32 v2, v1, 16, 1
	v_add3_u32 v1, v1, v2, s44
	v_accvgpr_write_b32 a28, v1
                                        ; implicit-def: $vgpr1
; %bb.287:                              ;   in Loop: Header=BB352_9 Depth=1
	s_andn2_saveexec_b64 s[42:43], vcc
; %bb.288:                              ;   in Loop: Header=BB352_9 Depth=1
	v_or_b32_e32 v2, 0x10000, v1
	v_cmp_eq_u32_sdwa vcc, v1, v5 src0_sel:WORD_0 src1_sel:DWORD
	s_nop 1
	v_cndmask_b32_e32 v1, v2, v1, vcc
	v_accvgpr_write_b32 a28, v1
; %bb.289:                              ;   in Loop: Header=BB352_9 Depth=1
	s_or_b64 exec, exec, s[42:43]
	v_bfe_u32 v1, v0, 16, 8
	v_cvt_f32_fp8_sdwa v1, v1 src0_sel:BYTE_0
                                        ; implicit-def: $agpr29
	s_nop 0
	v_mul_f32_e32 v1, v22, v1
	v_and_b32_e32 v2, 0x7f800000, v1
	v_cmp_ne_u32_e32 vcc, s19, v2
	s_and_saveexec_b64 s[42:43], vcc
	s_xor_b64 vcc, exec, s[42:43]
; %bb.290:                              ;   in Loop: Header=BB352_9 Depth=1
	v_bfe_u32 v2, v1, 16, 1
	v_add3_u32 v1, v1, v2, s44
	v_accvgpr_write_b32 a29, v1
                                        ; implicit-def: $vgpr1
; %bb.291:                              ;   in Loop: Header=BB352_9 Depth=1
	s_andn2_saveexec_b64 s[42:43], vcc
; %bb.292:                              ;   in Loop: Header=BB352_9 Depth=1
	v_or_b32_e32 v2, 0x10000, v1
	v_cmp_eq_u32_sdwa vcc, v1, v5 src0_sel:WORD_0 src1_sel:DWORD
	s_nop 1
	v_cndmask_b32_e32 v1, v2, v1, vcc
	v_accvgpr_write_b32 a29, v1
; %bb.293:                              ;   in Loop: Header=BB352_9 Depth=1
	s_or_b64 exec, exec, s[42:43]
	v_lshrrev_b32_e32 v0, 24, v0
	v_cvt_f32_fp8_sdwa v0, v0 src0_sel:BYTE_0
                                        ; implicit-def: $agpr30
	s_nop 0
	v_mul_f32_e32 v0, v22, v0
	v_and_b32_e32 v1, 0x7f800000, v0
	v_cmp_ne_u32_e32 vcc, s19, v1
	s_and_saveexec_b64 s[42:43], vcc
	s_xor_b64 vcc, exec, s[42:43]
; %bb.294:                              ;   in Loop: Header=BB352_9 Depth=1
	v_bfe_u32 v1, v0, 16, 1
	v_add3_u32 v0, v0, v1, s44
	v_accvgpr_write_b32 a30, v0
                                        ; implicit-def: $vgpr0
; %bb.295:                              ;   in Loop: Header=BB352_9 Depth=1
	s_andn2_saveexec_b64 s[42:43], vcc
; %bb.296:                              ;   in Loop: Header=BB352_9 Depth=1
	v_or_b32_e32 v1, 0x10000, v0
	v_cmp_eq_u32_sdwa vcc, v0, v5 src0_sel:WORD_0 src1_sel:DWORD
	s_nop 1
	v_cndmask_b32_e32 v0, v1, v0, vcc
	v_accvgpr_write_b32 a30, v0
; %bb.297:                              ;   in Loop: Header=BB352_9 Depth=1
	s_or_b64 exec, exec, s[42:43]
	v_add_co_u32_e32 v0, vcc, 0x1000, v16
                                        ; implicit-def: $agpr31
	s_nop 1
	v_addc_co_u32_e32 v1, vcc, 0, v17, vcc
	flat_load_dword v0, v[0:1] offset:512
	s_waitcnt vmcnt(0) lgkmcnt(0)
	v_and_b32_e32 v1, 0xff, v0
	v_cvt_f32_fp8_sdwa v1, v1 src0_sel:BYTE_0
	s_nop 0
	v_mul_f32_e32 v1, v22, v1
	v_and_b32_e32 v2, 0x7f800000, v1
	v_cmp_ne_u32_e32 vcc, s19, v2
	s_and_saveexec_b64 s[42:43], vcc
	s_xor_b64 vcc, exec, s[42:43]
; %bb.298:                              ;   in Loop: Header=BB352_9 Depth=1
	v_bfe_u32 v2, v1, 16, 1
	v_add3_u32 v1, v1, v2, s44
	v_accvgpr_write_b32 a31, v1
                                        ; implicit-def: $vgpr1
; %bb.299:                              ;   in Loop: Header=BB352_9 Depth=1
	s_andn2_saveexec_b64 s[42:43], vcc
; %bb.300:                              ;   in Loop: Header=BB352_9 Depth=1
	v_or_b32_e32 v2, 0x10000, v1
	v_cmp_eq_u32_sdwa vcc, v1, v5 src0_sel:WORD_0 src1_sel:DWORD
	s_nop 1
	v_cndmask_b32_e32 v1, v2, v1, vcc
	v_accvgpr_write_b32 a31, v1
; %bb.301:                              ;   in Loop: Header=BB352_9 Depth=1
	s_or_b64 exec, exec, s[42:43]
	v_bfe_u32 v1, v0, 8, 8
	v_cvt_f32_fp8_sdwa v1, v1 src0_sel:BYTE_0
                                        ; implicit-def: $agpr32
	s_nop 0
	v_mul_f32_e32 v1, v22, v1
	v_and_b32_e32 v2, 0x7f800000, v1
	v_cmp_ne_u32_e32 vcc, s19, v2
	s_and_saveexec_b64 s[42:43], vcc
	s_xor_b64 vcc, exec, s[42:43]
; %bb.302:                              ;   in Loop: Header=BB352_9 Depth=1
	v_bfe_u32 v2, v1, 16, 1
	v_add3_u32 v1, v1, v2, s44
	v_accvgpr_write_b32 a32, v1
                                        ; implicit-def: $vgpr1
; %bb.303:                              ;   in Loop: Header=BB352_9 Depth=1
	s_andn2_saveexec_b64 s[42:43], vcc
; %bb.304:                              ;   in Loop: Header=BB352_9 Depth=1
	v_or_b32_e32 v2, 0x10000, v1
	v_cmp_eq_u32_sdwa vcc, v1, v5 src0_sel:WORD_0 src1_sel:DWORD
	s_nop 1
	v_cndmask_b32_e32 v1, v2, v1, vcc
	v_accvgpr_write_b32 a32, v1
; %bb.305:                              ;   in Loop: Header=BB352_9 Depth=1
	s_or_b64 exec, exec, s[42:43]
	v_bfe_u32 v1, v0, 16, 8
	v_cvt_f32_fp8_sdwa v1, v1 src0_sel:BYTE_0
                                        ; implicit-def: $agpr33
	s_nop 0
	v_mul_f32_e32 v1, v22, v1
	v_and_b32_e32 v2, 0x7f800000, v1
	v_cmp_ne_u32_e32 vcc, s19, v2
	s_and_saveexec_b64 s[42:43], vcc
	s_xor_b64 vcc, exec, s[42:43]
; %bb.306:                              ;   in Loop: Header=BB352_9 Depth=1
	v_bfe_u32 v2, v1, 16, 1
	v_add3_u32 v1, v1, v2, s44
	v_accvgpr_write_b32 a33, v1
                                        ; implicit-def: $vgpr1
; %bb.307:                              ;   in Loop: Header=BB352_9 Depth=1
	s_andn2_saveexec_b64 s[42:43], vcc
; %bb.308:                              ;   in Loop: Header=BB352_9 Depth=1
	v_or_b32_e32 v2, 0x10000, v1
	v_cmp_eq_u32_sdwa vcc, v1, v5 src0_sel:WORD_0 src1_sel:DWORD
	s_nop 1
	v_cndmask_b32_e32 v1, v2, v1, vcc
	v_accvgpr_write_b32 a33, v1
; %bb.309:                              ;   in Loop: Header=BB352_9 Depth=1
	s_or_b64 exec, exec, s[42:43]
	v_lshrrev_b32_e32 v0, 24, v0
	v_cvt_f32_fp8_sdwa v0, v0 src0_sel:BYTE_0
                                        ; implicit-def: $agpr34
	s_nop 0
	v_mul_f32_e32 v0, v22, v0
	v_and_b32_e32 v1, 0x7f800000, v0
	v_cmp_ne_u32_e32 vcc, s19, v1
	s_and_saveexec_b64 s[42:43], vcc
	s_xor_b64 vcc, exec, s[42:43]
; %bb.310:                              ;   in Loop: Header=BB352_9 Depth=1
	v_bfe_u32 v1, v0, 16, 1
	v_add3_u32 v0, v0, v1, s44
	v_accvgpr_write_b32 a34, v0
                                        ; implicit-def: $vgpr0
; %bb.311:                              ;   in Loop: Header=BB352_9 Depth=1
	s_andn2_saveexec_b64 s[42:43], vcc
; %bb.312:                              ;   in Loop: Header=BB352_9 Depth=1
	v_or_b32_e32 v1, 0x10000, v0
	v_cmp_eq_u32_sdwa vcc, v0, v5 src0_sel:WORD_0 src1_sel:DWORD
	s_nop 1
	v_cndmask_b32_e32 v0, v1, v0, vcc
	v_accvgpr_write_b32 a34, v0
; %bb.313:                              ;   in Loop: Header=BB352_9 Depth=1
	s_or_b64 exec, exec, s[42:43]
	v_lshl_add_u64 v[0:1], v[16:17], 0, s[26:27]
	flat_load_dword v0, v[0:1] offset:8
                                        ; implicit-def: $agpr35
	s_waitcnt vmcnt(0) lgkmcnt(0)
	v_and_b32_e32 v1, 0xff, v0
	v_cvt_f32_fp8_sdwa v1, v1 src0_sel:BYTE_0
	s_nop 0
	v_mul_f32_e32 v1, v22, v1
	v_and_b32_e32 v2, 0x7f800000, v1
	v_cmp_ne_u32_e32 vcc, s19, v2
	s_and_saveexec_b64 s[42:43], vcc
	s_xor_b64 vcc, exec, s[42:43]
; %bb.314:                              ;   in Loop: Header=BB352_9 Depth=1
	v_bfe_u32 v2, v1, 16, 1
	v_add3_u32 v1, v1, v2, s44
	v_accvgpr_write_b32 a35, v1
                                        ; implicit-def: $vgpr1
; %bb.315:                              ;   in Loop: Header=BB352_9 Depth=1
	s_andn2_saveexec_b64 s[42:43], vcc
; %bb.316:                              ;   in Loop: Header=BB352_9 Depth=1
	v_or_b32_e32 v2, 0x10000, v1
	v_cmp_eq_u32_sdwa vcc, v1, v5 src0_sel:WORD_0 src1_sel:DWORD
	s_nop 1
	v_cndmask_b32_e32 v1, v2, v1, vcc
	v_accvgpr_write_b32 a35, v1
; %bb.317:                              ;   in Loop: Header=BB352_9 Depth=1
	s_or_b64 exec, exec, s[42:43]
	v_bfe_u32 v1, v0, 8, 8
	v_cvt_f32_fp8_sdwa v1, v1 src0_sel:BYTE_0
                                        ; implicit-def: $agpr36
	s_nop 0
	v_mul_f32_e32 v1, v22, v1
	v_and_b32_e32 v2, 0x7f800000, v1
	v_cmp_ne_u32_e32 vcc, s19, v2
	s_and_saveexec_b64 s[42:43], vcc
	s_xor_b64 vcc, exec, s[42:43]
; %bb.318:                              ;   in Loop: Header=BB352_9 Depth=1
	v_bfe_u32 v2, v1, 16, 1
	v_add3_u32 v1, v1, v2, s44
	v_accvgpr_write_b32 a36, v1
                                        ; implicit-def: $vgpr1
; %bb.319:                              ;   in Loop: Header=BB352_9 Depth=1
	s_andn2_saveexec_b64 s[42:43], vcc
; %bb.320:                              ;   in Loop: Header=BB352_9 Depth=1
	v_or_b32_e32 v2, 0x10000, v1
	v_cmp_eq_u32_sdwa vcc, v1, v5 src0_sel:WORD_0 src1_sel:DWORD
	s_nop 1
	v_cndmask_b32_e32 v1, v2, v1, vcc
	v_accvgpr_write_b32 a36, v1
; %bb.321:                              ;   in Loop: Header=BB352_9 Depth=1
	s_or_b64 exec, exec, s[42:43]
	v_bfe_u32 v1, v0, 16, 8
	v_cvt_f32_fp8_sdwa v1, v1 src0_sel:BYTE_0
                                        ; implicit-def: $agpr37
	s_nop 0
	v_mul_f32_e32 v1, v22, v1
	v_and_b32_e32 v2, 0x7f800000, v1
	v_cmp_ne_u32_e32 vcc, s19, v2
	s_and_saveexec_b64 s[42:43], vcc
	s_xor_b64 vcc, exec, s[42:43]
; %bb.322:                              ;   in Loop: Header=BB352_9 Depth=1
	v_bfe_u32 v2, v1, 16, 1
	v_add3_u32 v1, v1, v2, s44
	v_accvgpr_write_b32 a37, v1
                                        ; implicit-def: $vgpr1
; %bb.323:                              ;   in Loop: Header=BB352_9 Depth=1
	s_andn2_saveexec_b64 s[42:43], vcc
; %bb.324:                              ;   in Loop: Header=BB352_9 Depth=1
	v_or_b32_e32 v2, 0x10000, v1
	v_cmp_eq_u32_sdwa vcc, v1, v5 src0_sel:WORD_0 src1_sel:DWORD
	s_nop 1
	v_cndmask_b32_e32 v1, v2, v1, vcc
	v_accvgpr_write_b32 a37, v1
; %bb.325:                              ;   in Loop: Header=BB352_9 Depth=1
	s_or_b64 exec, exec, s[42:43]
	v_lshrrev_b32_e32 v0, 24, v0
	v_cvt_f32_fp8_sdwa v0, v0 src0_sel:BYTE_0
                                        ; implicit-def: $vgpr48
	s_nop 0
	v_mul_f32_e32 v0, v22, v0
	v_and_b32_e32 v1, 0x7f800000, v0
	v_cmp_ne_u32_e32 vcc, s19, v1
	s_and_saveexec_b64 s[42:43], vcc
	s_xor_b64 vcc, exec, s[42:43]
; %bb.326:                              ;   in Loop: Header=BB352_9 Depth=1
	v_bfe_u32 v1, v0, 16, 1
	v_add3_u32 v48, v0, v1, s44
                                        ; implicit-def: $vgpr0
; %bb.327:                              ;   in Loop: Header=BB352_9 Depth=1
	s_andn2_saveexec_b64 s[42:43], vcc
; %bb.328:                              ;   in Loop: Header=BB352_9 Depth=1
	v_or_b32_e32 v1, 0x10000, v0
	v_cmp_eq_u32_sdwa vcc, v0, v5 src0_sel:WORD_0 src1_sel:DWORD
	s_nop 1
	v_cndmask_b32_e32 v48, v1, v0, vcc
; %bb.329:                              ;   in Loop: Header=BB352_9 Depth=1
	s_or_b64 exec, exec, s[42:43]
	v_add_co_u32_e32 v0, vcc, 0x1000, v16
                                        ; implicit-def: $vgpr49
	s_nop 1
	v_addc_co_u32_e32 v1, vcc, 0, v17, vcc
	flat_load_dword v0, v[0:1] offset:1024
	s_waitcnt vmcnt(0) lgkmcnt(0)
	v_and_b32_e32 v1, 0xff, v0
	v_cvt_f32_fp8_sdwa v1, v1 src0_sel:BYTE_0
	s_nop 0
	v_mul_f32_e32 v1, v22, v1
	v_and_b32_e32 v2, 0x7f800000, v1
	v_cmp_ne_u32_e32 vcc, s19, v2
	s_and_saveexec_b64 s[42:43], vcc
	s_xor_b64 vcc, exec, s[42:43]
; %bb.330:                              ;   in Loop: Header=BB352_9 Depth=1
	v_bfe_u32 v2, v1, 16, 1
	v_add3_u32 v49, v1, v2, s44
                                        ; implicit-def: $vgpr1
; %bb.331:                              ;   in Loop: Header=BB352_9 Depth=1
	s_andn2_saveexec_b64 s[42:43], vcc
; %bb.332:                              ;   in Loop: Header=BB352_9 Depth=1
	v_or_b32_e32 v2, 0x10000, v1
	v_cmp_eq_u32_sdwa vcc, v1, v5 src0_sel:WORD_0 src1_sel:DWORD
	s_nop 1
	v_cndmask_b32_e32 v49, v2, v1, vcc
; %bb.333:                              ;   in Loop: Header=BB352_9 Depth=1
	s_or_b64 exec, exec, s[42:43]
	v_bfe_u32 v1, v0, 8, 8
	v_cvt_f32_fp8_sdwa v1, v1 src0_sel:BYTE_0
                                        ; implicit-def: $vgpr62
	s_nop 0
	v_mul_f32_e32 v1, v22, v1
	v_and_b32_e32 v2, 0x7f800000, v1
	v_cmp_ne_u32_e32 vcc, s19, v2
	s_and_saveexec_b64 s[42:43], vcc
	s_xor_b64 vcc, exec, s[42:43]
; %bb.334:                              ;   in Loop: Header=BB352_9 Depth=1
	v_bfe_u32 v2, v1, 16, 1
	v_add3_u32 v62, v1, v2, s44
                                        ; implicit-def: $vgpr1
; %bb.335:                              ;   in Loop: Header=BB352_9 Depth=1
	s_andn2_saveexec_b64 s[42:43], vcc
; %bb.336:                              ;   in Loop: Header=BB352_9 Depth=1
	v_or_b32_e32 v2, 0x10000, v1
	v_cmp_eq_u32_sdwa vcc, v1, v5 src0_sel:WORD_0 src1_sel:DWORD
	s_nop 1
	v_cndmask_b32_e32 v62, v2, v1, vcc
; %bb.337:                              ;   in Loop: Header=BB352_9 Depth=1
	s_or_b64 exec, exec, s[42:43]
	v_bfe_u32 v1, v0, 16, 8
	v_cvt_f32_fp8_sdwa v1, v1 src0_sel:BYTE_0
                                        ; implicit-def: $vgpr51
	s_nop 0
	v_mul_f32_e32 v1, v22, v1
	v_and_b32_e32 v2, 0x7f800000, v1
	v_cmp_ne_u32_e32 vcc, s19, v2
	s_and_saveexec_b64 s[42:43], vcc
	s_xor_b64 vcc, exec, s[42:43]
; %bb.338:                              ;   in Loop: Header=BB352_9 Depth=1
	v_bfe_u32 v2, v1, 16, 1
	v_add3_u32 v51, v1, v2, s44
                                        ; implicit-def: $vgpr1
; %bb.339:                              ;   in Loop: Header=BB352_9 Depth=1
	s_andn2_saveexec_b64 s[42:43], vcc
; %bb.340:                              ;   in Loop: Header=BB352_9 Depth=1
	v_or_b32_e32 v2, 0x10000, v1
	v_cmp_eq_u32_sdwa vcc, v1, v5 src0_sel:WORD_0 src1_sel:DWORD
	s_nop 1
	v_cndmask_b32_e32 v51, v2, v1, vcc
; %bb.341:                              ;   in Loop: Header=BB352_9 Depth=1
	s_or_b64 exec, exec, s[42:43]
	v_lshrrev_b32_e32 v0, 24, v0
	v_cvt_f32_fp8_sdwa v0, v0 src0_sel:BYTE_0
                                        ; implicit-def: $vgpr52
	s_nop 0
	v_mul_f32_e32 v0, v22, v0
	v_and_b32_e32 v1, 0x7f800000, v0
	v_cmp_ne_u32_e32 vcc, s19, v1
	s_and_saveexec_b64 s[42:43], vcc
	s_xor_b64 vcc, exec, s[42:43]
; %bb.342:                              ;   in Loop: Header=BB352_9 Depth=1
	v_bfe_u32 v1, v0, 16, 1
	v_add3_u32 v52, v0, v1, s44
                                        ; implicit-def: $vgpr0
; %bb.343:                              ;   in Loop: Header=BB352_9 Depth=1
	s_andn2_saveexec_b64 s[42:43], vcc
; %bb.344:                              ;   in Loop: Header=BB352_9 Depth=1
	v_or_b32_e32 v1, 0x10000, v0
	v_cmp_eq_u32_sdwa vcc, v0, v5 src0_sel:WORD_0 src1_sel:DWORD
	s_nop 1
	v_cndmask_b32_e32 v52, v1, v0, vcc
; %bb.345:                              ;   in Loop: Header=BB352_9 Depth=1
	s_or_b64 exec, exec, s[42:43]
	v_lshl_add_u64 v[0:1], v[16:17], 0, s[28:29]
	flat_load_dword v0, v[0:1] offset:8
                                        ; implicit-def: $vgpr53
	s_waitcnt vmcnt(0) lgkmcnt(0)
	v_and_b32_e32 v1, 0xff, v0
	v_cvt_f32_fp8_sdwa v1, v1 src0_sel:BYTE_0
	s_nop 0
	v_mul_f32_e32 v1, v22, v1
	v_and_b32_e32 v2, 0x7f800000, v1
	v_cmp_ne_u32_e32 vcc, s19, v2
	s_and_saveexec_b64 s[42:43], vcc
	s_xor_b64 vcc, exec, s[42:43]
; %bb.346:                              ;   in Loop: Header=BB352_9 Depth=1
	v_bfe_u32 v2, v1, 16, 1
	v_add3_u32 v53, v1, v2, s44
                                        ; implicit-def: $vgpr1
; %bb.347:                              ;   in Loop: Header=BB352_9 Depth=1
	s_andn2_saveexec_b64 s[42:43], vcc
; %bb.348:                              ;   in Loop: Header=BB352_9 Depth=1
	v_or_b32_e32 v2, 0x10000, v1
	v_cmp_eq_u32_sdwa vcc, v1, v5 src0_sel:WORD_0 src1_sel:DWORD
	s_nop 1
	v_cndmask_b32_e32 v53, v2, v1, vcc
; %bb.349:                              ;   in Loop: Header=BB352_9 Depth=1
	s_or_b64 exec, exec, s[42:43]
	v_bfe_u32 v1, v0, 8, 8
	v_cvt_f32_fp8_sdwa v1, v1 src0_sel:BYTE_0
                                        ; implicit-def: $vgpr54
	s_nop 0
	v_mul_f32_e32 v1, v22, v1
	v_and_b32_e32 v2, 0x7f800000, v1
	v_cmp_ne_u32_e32 vcc, s19, v2
	s_and_saveexec_b64 s[42:43], vcc
	s_xor_b64 vcc, exec, s[42:43]
; %bb.350:                              ;   in Loop: Header=BB352_9 Depth=1
	v_bfe_u32 v2, v1, 16, 1
	v_add3_u32 v54, v1, v2, s44
                                        ; implicit-def: $vgpr1
; %bb.351:                              ;   in Loop: Header=BB352_9 Depth=1
	s_andn2_saveexec_b64 s[42:43], vcc
; %bb.352:                              ;   in Loop: Header=BB352_9 Depth=1
	v_or_b32_e32 v2, 0x10000, v1
	v_cmp_eq_u32_sdwa vcc, v1, v5 src0_sel:WORD_0 src1_sel:DWORD
	s_nop 1
	v_cndmask_b32_e32 v54, v2, v1, vcc
; %bb.353:                              ;   in Loop: Header=BB352_9 Depth=1
	s_or_b64 exec, exec, s[42:43]
	v_bfe_u32 v1, v0, 16, 8
	v_cvt_f32_fp8_sdwa v1, v1 src0_sel:BYTE_0
                                        ; implicit-def: $vgpr55
	s_nop 0
	v_mul_f32_e32 v1, v22, v1
	v_and_b32_e32 v2, 0x7f800000, v1
	v_cmp_ne_u32_e32 vcc, s19, v2
	s_and_saveexec_b64 s[42:43], vcc
	s_xor_b64 vcc, exec, s[42:43]
; %bb.354:                              ;   in Loop: Header=BB352_9 Depth=1
	v_bfe_u32 v2, v1, 16, 1
	v_add3_u32 v55, v1, v2, s44
                                        ; implicit-def: $vgpr1
; %bb.355:                              ;   in Loop: Header=BB352_9 Depth=1
	s_andn2_saveexec_b64 s[42:43], vcc
; %bb.356:                              ;   in Loop: Header=BB352_9 Depth=1
	v_or_b32_e32 v2, 0x10000, v1
	v_cmp_eq_u32_sdwa vcc, v1, v5 src0_sel:WORD_0 src1_sel:DWORD
	s_nop 1
	v_cndmask_b32_e32 v55, v2, v1, vcc
; %bb.357:                              ;   in Loop: Header=BB352_9 Depth=1
	s_or_b64 exec, exec, s[42:43]
	v_lshrrev_b32_e32 v0, 24, v0
	v_cvt_f32_fp8_sdwa v0, v0 src0_sel:BYTE_0
                                        ; implicit-def: $vgpr41
	s_nop 0
	v_mul_f32_e32 v0, v22, v0
	v_and_b32_e32 v1, 0x7f800000, v0
	v_cmp_ne_u32_e32 vcc, s19, v1
	s_and_saveexec_b64 s[42:43], vcc
	s_xor_b64 vcc, exec, s[42:43]
; %bb.358:                              ;   in Loop: Header=BB352_9 Depth=1
	v_bfe_u32 v1, v0, 16, 1
	v_add3_u32 v41, v0, v1, s44
                                        ; implicit-def: $vgpr0
; %bb.359:                              ;   in Loop: Header=BB352_9 Depth=1
	s_andn2_saveexec_b64 s[42:43], vcc
; %bb.360:                              ;   in Loop: Header=BB352_9 Depth=1
	v_or_b32_e32 v1, 0x10000, v0
	v_cmp_eq_u32_sdwa vcc, v0, v5 src0_sel:WORD_0 src1_sel:DWORD
	s_nop 1
	v_cndmask_b32_e32 v41, v1, v0, vcc
; %bb.361:                              ;   in Loop: Header=BB352_9 Depth=1
	s_or_b64 exec, exec, s[42:43]
	v_add_co_u32_e32 v0, vcc, 0x1000, v16
                                        ; implicit-def: $vgpr42
	s_nop 1
	v_addc_co_u32_e32 v1, vcc, 0, v17, vcc
	flat_load_dword v0, v[0:1] offset:1536
	s_waitcnt vmcnt(0) lgkmcnt(0)
	v_and_b32_e32 v1, 0xff, v0
	v_cvt_f32_fp8_sdwa v1, v1 src0_sel:BYTE_0
	s_nop 0
	v_mul_f32_e32 v1, v22, v1
	v_and_b32_e32 v2, 0x7f800000, v1
	v_cmp_ne_u32_e32 vcc, s19, v2
	s_and_saveexec_b64 s[42:43], vcc
	s_xor_b64 vcc, exec, s[42:43]
; %bb.362:                              ;   in Loop: Header=BB352_9 Depth=1
	v_bfe_u32 v2, v1, 16, 1
	v_add3_u32 v42, v1, v2, s44
                                        ; implicit-def: $vgpr1
; %bb.363:                              ;   in Loop: Header=BB352_9 Depth=1
	s_andn2_saveexec_b64 s[42:43], vcc
; %bb.364:                              ;   in Loop: Header=BB352_9 Depth=1
	v_or_b32_e32 v2, 0x10000, v1
	v_cmp_eq_u32_sdwa vcc, v1, v5 src0_sel:WORD_0 src1_sel:DWORD
	s_nop 1
	v_cndmask_b32_e32 v42, v2, v1, vcc
; %bb.365:                              ;   in Loop: Header=BB352_9 Depth=1
	s_or_b64 exec, exec, s[42:43]
	v_bfe_u32 v1, v0, 8, 8
	v_cvt_f32_fp8_sdwa v1, v1 src0_sel:BYTE_0
                                        ; implicit-def: $vgpr44
	s_nop 0
	v_mul_f32_e32 v1, v22, v1
	v_and_b32_e32 v2, 0x7f800000, v1
	v_cmp_ne_u32_e32 vcc, s19, v2
	s_and_saveexec_b64 s[42:43], vcc
	s_xor_b64 vcc, exec, s[42:43]
; %bb.366:                              ;   in Loop: Header=BB352_9 Depth=1
	v_bfe_u32 v2, v1, 16, 1
	v_add3_u32 v44, v1, v2, s44
                                        ; implicit-def: $vgpr1
; %bb.367:                              ;   in Loop: Header=BB352_9 Depth=1
	s_andn2_saveexec_b64 s[42:43], vcc
; %bb.368:                              ;   in Loop: Header=BB352_9 Depth=1
	v_or_b32_e32 v2, 0x10000, v1
	v_cmp_eq_u32_sdwa vcc, v1, v5 src0_sel:WORD_0 src1_sel:DWORD
	s_nop 1
	v_cndmask_b32_e32 v44, v2, v1, vcc
; %bb.369:                              ;   in Loop: Header=BB352_9 Depth=1
	s_or_b64 exec, exec, s[42:43]
	v_bfe_u32 v1, v0, 16, 8
	v_cvt_f32_fp8_sdwa v1, v1 src0_sel:BYTE_0
                                        ; implicit-def: $vgpr46
	s_nop 0
	v_mul_f32_e32 v1, v22, v1
	v_and_b32_e32 v2, 0x7f800000, v1
	v_cmp_ne_u32_e32 vcc, s19, v2
	s_and_saveexec_b64 s[42:43], vcc
	s_xor_b64 vcc, exec, s[42:43]
; %bb.370:                              ;   in Loop: Header=BB352_9 Depth=1
	v_bfe_u32 v2, v1, 16, 1
	v_add3_u32 v46, v1, v2, s44
                                        ; implicit-def: $vgpr1
; %bb.371:                              ;   in Loop: Header=BB352_9 Depth=1
	s_andn2_saveexec_b64 s[42:43], vcc
; %bb.372:                              ;   in Loop: Header=BB352_9 Depth=1
	v_or_b32_e32 v2, 0x10000, v1
	v_cmp_eq_u32_sdwa vcc, v1, v5 src0_sel:WORD_0 src1_sel:DWORD
	s_nop 1
	v_cndmask_b32_e32 v46, v2, v1, vcc
; %bb.373:                              ;   in Loop: Header=BB352_9 Depth=1
	s_or_b64 exec, exec, s[42:43]
	v_lshrrev_b32_e32 v0, 24, v0
	v_cvt_f32_fp8_sdwa v0, v0 src0_sel:BYTE_0
                                        ; implicit-def: $vgpr47
	s_nop 0
	v_mul_f32_e32 v0, v22, v0
	v_and_b32_e32 v1, 0x7f800000, v0
	v_cmp_ne_u32_e32 vcc, s19, v1
	s_and_saveexec_b64 s[42:43], vcc
	s_xor_b64 vcc, exec, s[42:43]
; %bb.374:                              ;   in Loop: Header=BB352_9 Depth=1
	v_bfe_u32 v1, v0, 16, 1
	v_add3_u32 v47, v0, v1, s44
                                        ; implicit-def: $vgpr0
; %bb.375:                              ;   in Loop: Header=BB352_9 Depth=1
	s_andn2_saveexec_b64 s[42:43], vcc
; %bb.376:                              ;   in Loop: Header=BB352_9 Depth=1
	v_or_b32_e32 v1, 0x10000, v0
	v_cmp_eq_u32_sdwa vcc, v0, v5 src0_sel:WORD_0 src1_sel:DWORD
	s_nop 1
	v_cndmask_b32_e32 v47, v1, v0, vcc
; %bb.377:                              ;   in Loop: Header=BB352_9 Depth=1
	s_or_b64 exec, exec, s[42:43]
	v_lshl_add_u64 v[0:1], v[16:17], 0, s[30:31]
	flat_load_dword v0, v[0:1] offset:8
                                        ; implicit-def: $vgpr56
	s_waitcnt vmcnt(0) lgkmcnt(0)
	v_and_b32_e32 v1, 0xff, v0
	v_cvt_f32_fp8_sdwa v1, v1 src0_sel:BYTE_0
	s_nop 0
	v_mul_f32_e32 v1, v22, v1
	v_and_b32_e32 v2, 0x7f800000, v1
	v_cmp_ne_u32_e32 vcc, s19, v2
	s_and_saveexec_b64 s[42:43], vcc
	s_xor_b64 vcc, exec, s[42:43]
; %bb.378:                              ;   in Loop: Header=BB352_9 Depth=1
	v_bfe_u32 v2, v1, 16, 1
	v_add3_u32 v56, v1, v2, s44
                                        ; implicit-def: $vgpr1
; %bb.379:                              ;   in Loop: Header=BB352_9 Depth=1
	s_andn2_saveexec_b64 s[42:43], vcc
; %bb.380:                              ;   in Loop: Header=BB352_9 Depth=1
	v_or_b32_e32 v2, 0x10000, v1
	v_cmp_eq_u32_sdwa vcc, v1, v5 src0_sel:WORD_0 src1_sel:DWORD
	s_nop 1
	v_cndmask_b32_e32 v56, v2, v1, vcc
; %bb.381:                              ;   in Loop: Header=BB352_9 Depth=1
	s_or_b64 exec, exec, s[42:43]
	v_bfe_u32 v1, v0, 8, 8
	v_cvt_f32_fp8_sdwa v1, v1 src0_sel:BYTE_0
                                        ; implicit-def: $vgpr57
	s_nop 0
	v_mul_f32_e32 v1, v22, v1
	v_and_b32_e32 v2, 0x7f800000, v1
	v_cmp_ne_u32_e32 vcc, s19, v2
	s_and_saveexec_b64 s[42:43], vcc
	s_xor_b64 vcc, exec, s[42:43]
; %bb.382:                              ;   in Loop: Header=BB352_9 Depth=1
	v_bfe_u32 v2, v1, 16, 1
	v_add3_u32 v57, v1, v2, s44
                                        ; implicit-def: $vgpr1
; %bb.383:                              ;   in Loop: Header=BB352_9 Depth=1
	s_andn2_saveexec_b64 s[42:43], vcc
; %bb.384:                              ;   in Loop: Header=BB352_9 Depth=1
	v_or_b32_e32 v2, 0x10000, v1
	v_cmp_eq_u32_sdwa vcc, v1, v5 src0_sel:WORD_0 src1_sel:DWORD
	s_nop 1
	v_cndmask_b32_e32 v57, v2, v1, vcc
; %bb.385:                              ;   in Loop: Header=BB352_9 Depth=1
	s_or_b64 exec, exec, s[42:43]
	v_bfe_u32 v1, v0, 16, 8
	v_cvt_f32_fp8_sdwa v1, v1 src0_sel:BYTE_0
                                        ; implicit-def: $vgpr59
	s_nop 0
	v_mul_f32_e32 v1, v22, v1
	v_and_b32_e32 v2, 0x7f800000, v1
	v_cmp_ne_u32_e32 vcc, s19, v2
	s_and_saveexec_b64 s[42:43], vcc
	s_xor_b64 vcc, exec, s[42:43]
; %bb.386:                              ;   in Loop: Header=BB352_9 Depth=1
	v_bfe_u32 v2, v1, 16, 1
	v_add3_u32 v59, v1, v2, s44
                                        ; implicit-def: $vgpr1
; %bb.387:                              ;   in Loop: Header=BB352_9 Depth=1
	s_andn2_saveexec_b64 s[42:43], vcc
; %bb.388:                              ;   in Loop: Header=BB352_9 Depth=1
	v_or_b32_e32 v2, 0x10000, v1
	v_cmp_eq_u32_sdwa vcc, v1, v5 src0_sel:WORD_0 src1_sel:DWORD
	s_nop 1
	v_cndmask_b32_e32 v59, v2, v1, vcc
; %bb.389:                              ;   in Loop: Header=BB352_9 Depth=1
	s_or_b64 exec, exec, s[42:43]
	v_lshrrev_b32_e32 v0, 24, v0
	v_cvt_f32_fp8_sdwa v0, v0 src0_sel:BYTE_0
	s_nop 0
	v_mul_f32_e32 v0, v22, v0
	v_and_b32_e32 v1, 0x7f800000, v0
	v_cmp_ne_u32_e32 vcc, s19, v1
                                        ; implicit-def: $vgpr1
	s_and_saveexec_b64 s[42:43], vcc
	s_xor_b64 vcc, exec, s[42:43]
; %bb.390:                              ;   in Loop: Header=BB352_9 Depth=1
	v_bfe_u32 v1, v0, 16, 1
	v_add3_u32 v1, v0, v1, s44
                                        ; implicit-def: $vgpr0
; %bb.391:                              ;   in Loop: Header=BB352_9 Depth=1
	s_andn2_saveexec_b64 s[42:43], vcc
; %bb.392:                              ;   in Loop: Header=BB352_9 Depth=1
	v_or_b32_e32 v1, 0x10000, v0
	v_cmp_eq_u32_sdwa vcc, v0, v5 src0_sel:WORD_0 src1_sel:DWORD
	s_nop 1
	v_cndmask_b32_e32 v1, v1, v0, vcc
; %bb.393:                              ;   in Loop: Header=BB352_9 Depth=1
	s_or_b64 exec, exec, s[42:43]
	v_add_co_u32_e32 v2, vcc, 0x1000, v16
                                        ; implicit-def: $vgpr9
	s_nop 1
	v_addc_co_u32_e32 v3, vcc, 0, v17, vcc
	flat_load_dword v0, v[2:3] offset:2048
	s_waitcnt vmcnt(0) lgkmcnt(0)
	v_and_b32_e32 v2, 0xff, v0
	v_cvt_f32_fp8_sdwa v2, v2 src0_sel:BYTE_0
	s_nop 0
	v_mul_f32_e32 v2, v22, v2
	v_and_b32_e32 v3, 0x7f800000, v2
	v_cmp_ne_u32_e32 vcc, s19, v3
	s_and_saveexec_b64 s[42:43], vcc
	s_xor_b64 vcc, exec, s[42:43]
; %bb.394:                              ;   in Loop: Header=BB352_9 Depth=1
	v_bfe_u32 v3, v2, 16, 1
	v_add3_u32 v9, v2, v3, s44
                                        ; implicit-def: $vgpr2
; %bb.395:                              ;   in Loop: Header=BB352_9 Depth=1
	s_andn2_saveexec_b64 s[42:43], vcc
; %bb.396:                              ;   in Loop: Header=BB352_9 Depth=1
	v_or_b32_e32 v3, 0x10000, v2
	v_cmp_eq_u32_sdwa vcc, v2, v5 src0_sel:WORD_0 src1_sel:DWORD
	s_nop 1
	v_cndmask_b32_e32 v9, v3, v2, vcc
; %bb.397:                              ;   in Loop: Header=BB352_9 Depth=1
	s_or_b64 exec, exec, s[42:43]
	v_bfe_u32 v2, v0, 8, 8
	v_cvt_f32_fp8_sdwa v2, v2 src0_sel:BYTE_0
	s_nop 0
	v_mul_f32_e32 v3, v22, v2
	v_and_b32_e32 v2, 0x7f800000, v3
	v_cmp_ne_u32_e32 vcc, s19, v2
                                        ; implicit-def: $vgpr2
	s_and_saveexec_b64 s[42:43], vcc
	s_xor_b64 vcc, exec, s[42:43]
; %bb.398:                              ;   in Loop: Header=BB352_9 Depth=1
	v_bfe_u32 v2, v3, 16, 1
	v_add3_u32 v2, v3, v2, s44
                                        ; implicit-def: $vgpr3
; %bb.399:                              ;   in Loop: Header=BB352_9 Depth=1
	s_andn2_saveexec_b64 s[42:43], vcc
; %bb.400:                              ;   in Loop: Header=BB352_9 Depth=1
	v_or_b32_e32 v2, 0x10000, v3
	v_cmp_eq_u32_sdwa vcc, v3, v5 src0_sel:WORD_0 src1_sel:DWORD
	s_nop 1
	v_cndmask_b32_e32 v2, v2, v3, vcc
; %bb.401:                              ;   in Loop: Header=BB352_9 Depth=1
	s_or_b64 exec, exec, s[42:43]
	v_bfe_u32 v3, v0, 16, 8
	v_cvt_f32_fp8_sdwa v3, v3 src0_sel:BYTE_0
                                        ; implicit-def: $vgpr12
	s_nop 0
	v_mul_f32_e32 v3, v22, v3
	v_and_b32_e32 v6, 0x7f800000, v3
	v_cmp_ne_u32_e32 vcc, s19, v6
	s_and_saveexec_b64 s[42:43], vcc
	s_xor_b64 vcc, exec, s[42:43]
; %bb.402:                              ;   in Loop: Header=BB352_9 Depth=1
	v_bfe_u32 v6, v3, 16, 1
	v_add3_u32 v12, v3, v6, s44
                                        ; implicit-def: $vgpr3
; %bb.403:                              ;   in Loop: Header=BB352_9 Depth=1
	s_andn2_saveexec_b64 s[42:43], vcc
; %bb.404:                              ;   in Loop: Header=BB352_9 Depth=1
	v_or_b32_e32 v6, 0x10000, v3
	v_cmp_eq_u32_sdwa vcc, v3, v5 src0_sel:WORD_0 src1_sel:DWORD
	s_nop 1
	v_cndmask_b32_e32 v12, v6, v3, vcc
; %bb.405:                              ;   in Loop: Header=BB352_9 Depth=1
	s_or_b64 exec, exec, s[42:43]
	v_lshrrev_b32_e32 v0, 24, v0
	v_cvt_f32_fp8_sdwa v0, v0 src0_sel:BYTE_0
                                        ; implicit-def: $vgpr13
	s_nop 0
	v_mul_f32_e32 v0, v22, v0
	v_and_b32_e32 v3, 0x7f800000, v0
	v_cmp_ne_u32_e32 vcc, s19, v3
	s_and_saveexec_b64 s[42:43], vcc
	s_xor_b64 vcc, exec, s[42:43]
; %bb.406:                              ;   in Loop: Header=BB352_9 Depth=1
	v_bfe_u32 v3, v0, 16, 1
	v_add3_u32 v13, v0, v3, s44
                                        ; implicit-def: $vgpr0
; %bb.407:                              ;   in Loop: Header=BB352_9 Depth=1
	s_andn2_saveexec_b64 s[42:43], vcc
; %bb.408:                              ;   in Loop: Header=BB352_9 Depth=1
	v_or_b32_e32 v3, 0x10000, v0
	v_cmp_eq_u32_sdwa vcc, v0, v5 src0_sel:WORD_0 src1_sel:DWORD
	s_nop 1
	v_cndmask_b32_e32 v13, v3, v0, vcc
; %bb.409:                              ;   in Loop: Header=BB352_9 Depth=1
	s_or_b64 exec, exec, s[42:43]
	v_lshl_add_u64 v[6:7], v[16:17], 0, s[34:35]
	flat_load_dword v0, v[6:7] offset:8
                                        ; implicit-def: $vgpr58
	s_waitcnt vmcnt(0) lgkmcnt(0)
	v_and_b32_e32 v3, 0xff, v0
	v_cvt_f32_fp8_sdwa v3, v3 src0_sel:BYTE_0
	s_nop 0
	v_mul_f32_e32 v3, v22, v3
	v_and_b32_e32 v6, 0x7f800000, v3
	v_cmp_ne_u32_e32 vcc, s19, v6
	s_and_saveexec_b64 s[42:43], vcc
	s_xor_b64 vcc, exec, s[42:43]
; %bb.410:                              ;   in Loop: Header=BB352_9 Depth=1
	v_bfe_u32 v6, v3, 16, 1
	v_add3_u32 v58, v3, v6, s44
                                        ; implicit-def: $vgpr3
; %bb.411:                              ;   in Loop: Header=BB352_9 Depth=1
	s_andn2_saveexec_b64 s[42:43], vcc
; %bb.412:                              ;   in Loop: Header=BB352_9 Depth=1
	v_or_b32_e32 v6, 0x10000, v3
	v_cmp_eq_u32_sdwa vcc, v3, v5 src0_sel:WORD_0 src1_sel:DWORD
	s_nop 1
	v_cndmask_b32_e32 v58, v6, v3, vcc
; %bb.413:                              ;   in Loop: Header=BB352_9 Depth=1
	s_or_b64 exec, exec, s[42:43]
	v_bfe_u32 v3, v0, 8, 8
	v_cvt_f32_fp8_sdwa v3, v3 src0_sel:BYTE_0
                                        ; implicit-def: $vgpr21
	s_nop 0
	v_mul_f32_e32 v3, v22, v3
	v_and_b32_e32 v6, 0x7f800000, v3
	v_cmp_ne_u32_e32 vcc, s19, v6
	s_and_saveexec_b64 s[42:43], vcc
	s_xor_b64 vcc, exec, s[42:43]
; %bb.414:                              ;   in Loop: Header=BB352_9 Depth=1
	v_bfe_u32 v6, v3, 16, 1
	v_add3_u32 v21, v3, v6, s44
                                        ; implicit-def: $vgpr3
; %bb.415:                              ;   in Loop: Header=BB352_9 Depth=1
	s_andn2_saveexec_b64 s[42:43], vcc
; %bb.416:                              ;   in Loop: Header=BB352_9 Depth=1
	v_or_b32_e32 v6, 0x10000, v3
	v_cmp_eq_u32_sdwa vcc, v3, v5 src0_sel:WORD_0 src1_sel:DWORD
	s_nop 1
	v_cndmask_b32_e32 v21, v6, v3, vcc
; %bb.417:                              ;   in Loop: Header=BB352_9 Depth=1
	s_or_b64 exec, exec, s[42:43]
	v_bfe_u32 v3, v0, 16, 8
	v_cvt_f32_fp8_sdwa v3, v3 src0_sel:BYTE_0
                                        ; implicit-def: $vgpr20
	s_nop 0
	v_mul_f32_e32 v3, v22, v3
	v_and_b32_e32 v6, 0x7f800000, v3
	v_cmp_ne_u32_e32 vcc, s19, v6
	s_and_saveexec_b64 s[42:43], vcc
	s_xor_b64 vcc, exec, s[42:43]
; %bb.418:                              ;   in Loop: Header=BB352_9 Depth=1
	v_bfe_u32 v6, v3, 16, 1
	v_add3_u32 v20, v3, v6, s44
                                        ; implicit-def: $vgpr3
; %bb.419:                              ;   in Loop: Header=BB352_9 Depth=1
	s_andn2_saveexec_b64 s[42:43], vcc
; %bb.420:                              ;   in Loop: Header=BB352_9 Depth=1
	v_or_b32_e32 v6, 0x10000, v3
	v_cmp_eq_u32_sdwa vcc, v3, v5 src0_sel:WORD_0 src1_sel:DWORD
	s_nop 1
	v_cndmask_b32_e32 v20, v6, v3, vcc
; %bb.421:                              ;   in Loop: Header=BB352_9 Depth=1
	s_or_b64 exec, exec, s[42:43]
	v_lshrrev_b32_e32 v0, 24, v0
	v_cvt_f32_fp8_sdwa v0, v0 src0_sel:BYTE_0
	s_nop 0
	v_mul_f32_e32 v3, v22, v0
	v_and_b32_e32 v0, 0x7f800000, v3
	v_cmp_ne_u32_e32 vcc, s19, v0
                                        ; implicit-def: $vgpr0
	s_and_saveexec_b64 s[42:43], vcc
	s_xor_b64 vcc, exec, s[42:43]
; %bb.422:                              ;   in Loop: Header=BB352_9 Depth=1
	v_bfe_u32 v0, v3, 16, 1
	v_add3_u32 v0, v3, v0, s44
                                        ; implicit-def: $vgpr3
; %bb.423:                              ;   in Loop: Header=BB352_9 Depth=1
	s_andn2_saveexec_b64 s[42:43], vcc
; %bb.424:                              ;   in Loop: Header=BB352_9 Depth=1
	v_or_b32_e32 v0, 0x10000, v3
	v_cmp_eq_u32_sdwa vcc, v3, v5 src0_sel:WORD_0 src1_sel:DWORD
	s_nop 1
	v_cndmask_b32_e32 v0, v0, v3, vcc
; %bb.425:                              ;   in Loop: Header=BB352_9 Depth=1
	s_or_b64 exec, exec, s[42:43]
	v_add_co_u32_e32 v6, vcc, 0x1000, v16
	s_nop 1
	v_addc_co_u32_e32 v7, vcc, 0, v17, vcc
	flat_load_dword v6, v[6:7] offset:2560
	s_waitcnt vmcnt(0) lgkmcnt(0)
	v_and_b32_e32 v3, 0xff, v6
	v_cvt_f32_fp8_sdwa v3, v3 src0_sel:BYTE_0
	s_nop 0
	v_mul_f32_e32 v7, v22, v3
	v_and_b32_e32 v3, 0x7f800000, v7
	v_cmp_ne_u32_e32 vcc, s19, v3
                                        ; implicit-def: $vgpr3
	s_and_saveexec_b64 s[42:43], vcc
	s_xor_b64 vcc, exec, s[42:43]
; %bb.426:                              ;   in Loop: Header=BB352_9 Depth=1
	v_bfe_u32 v3, v7, 16, 1
	v_add3_u32 v3, v7, v3, s44
                                        ; implicit-def: $vgpr7
; %bb.427:                              ;   in Loop: Header=BB352_9 Depth=1
	s_andn2_saveexec_b64 s[42:43], vcc
; %bb.428:                              ;   in Loop: Header=BB352_9 Depth=1
	v_or_b32_e32 v3, 0x10000, v7
	v_cmp_eq_u32_sdwa vcc, v7, v5 src0_sel:WORD_0 src1_sel:DWORD
	s_nop 1
	v_cndmask_b32_e32 v3, v3, v7, vcc
; %bb.429:                              ;   in Loop: Header=BB352_9 Depth=1
	s_or_b64 exec, exec, s[42:43]
	v_bfe_u32 v7, v6, 8, 8
	v_cvt_f32_fp8_sdwa v7, v7 src0_sel:BYTE_0
                                        ; implicit-def: $vgpr40
	s_nop 0
	v_mul_f32_e32 v7, v22, v7
	v_and_b32_e32 v8, 0x7f800000, v7
	v_cmp_ne_u32_e32 vcc, s19, v8
	s_and_saveexec_b64 s[42:43], vcc
	s_xor_b64 vcc, exec, s[42:43]
; %bb.430:                              ;   in Loop: Header=BB352_9 Depth=1
	v_bfe_u32 v8, v7, 16, 1
	v_add3_u32 v40, v7, v8, s44
                                        ; implicit-def: $vgpr7
; %bb.431:                              ;   in Loop: Header=BB352_9 Depth=1
	s_andn2_saveexec_b64 s[42:43], vcc
; %bb.432:                              ;   in Loop: Header=BB352_9 Depth=1
	v_or_b32_e32 v8, 0x10000, v7
	v_cmp_eq_u32_sdwa vcc, v7, v5 src0_sel:WORD_0 src1_sel:DWORD
	s_nop 1
	v_cndmask_b32_e32 v40, v8, v7, vcc
; %bb.433:                              ;   in Loop: Header=BB352_9 Depth=1
	s_or_b64 exec, exec, s[42:43]
	v_bfe_u32 v7, v6, 16, 8
	v_cvt_f32_fp8_sdwa v7, v7 src0_sel:BYTE_0
                                        ; implicit-def: $vgpr23
	s_nop 0
	v_mul_f32_e32 v7, v22, v7
	v_and_b32_e32 v8, 0x7f800000, v7
	v_cmp_ne_u32_e32 vcc, s19, v8
	s_and_saveexec_b64 s[42:43], vcc
	s_xor_b64 vcc, exec, s[42:43]
; %bb.434:                              ;   in Loop: Header=BB352_9 Depth=1
	v_bfe_u32 v8, v7, 16, 1
	v_add3_u32 v23, v7, v8, s44
                                        ; implicit-def: $vgpr7
; %bb.435:                              ;   in Loop: Header=BB352_9 Depth=1
	s_andn2_saveexec_b64 s[42:43], vcc
; %bb.436:                              ;   in Loop: Header=BB352_9 Depth=1
	v_or_b32_e32 v8, 0x10000, v7
	v_cmp_eq_u32_sdwa vcc, v7, v5 src0_sel:WORD_0 src1_sel:DWORD
	s_nop 1
	v_cndmask_b32_e32 v23, v8, v7, vcc
; %bb.437:                              ;   in Loop: Header=BB352_9 Depth=1
	s_or_b64 exec, exec, s[42:43]
	v_lshrrev_b32_e32 v6, 24, v6
	v_cvt_f32_fp8_sdwa v6, v6 src0_sel:BYTE_0
	s_nop 0
	v_mul_f32_e32 v6, v22, v6
	v_and_b32_e32 v7, 0x7f800000, v6
	v_cmp_ne_u32_e32 vcc, s19, v7
                                        ; implicit-def: $vgpr7
	s_and_saveexec_b64 s[42:43], vcc
	s_xor_b64 vcc, exec, s[42:43]
; %bb.438:                              ;   in Loop: Header=BB352_9 Depth=1
	v_bfe_u32 v7, v6, 16, 1
	v_add3_u32 v7, v6, v7, s44
                                        ; implicit-def: $vgpr6
; %bb.439:                              ;   in Loop: Header=BB352_9 Depth=1
	s_andn2_saveexec_b64 s[42:43], vcc
; %bb.440:                              ;   in Loop: Header=BB352_9 Depth=1
	v_or_b32_e32 v7, 0x10000, v6
	v_cmp_eq_u32_sdwa vcc, v6, v5 src0_sel:WORD_0 src1_sel:DWORD
	s_nop 1
	v_cndmask_b32_e32 v7, v7, v6, vcc
; %bb.441:                              ;   in Loop: Header=BB352_9 Depth=1
	s_or_b64 exec, exec, s[42:43]
	v_lshl_add_u64 v[10:11], v[16:17], 0, s[36:37]
	flat_load_dword v8, v[10:11] offset:8
	s_waitcnt vmcnt(0) lgkmcnt(0)
	v_and_b32_e32 v6, 0xff, v8
	v_cvt_f32_fp8_sdwa v6, v6 src0_sel:BYTE_0
	s_nop 0
	v_mul_f32_e32 v10, v22, v6
	v_and_b32_e32 v6, 0x7f800000, v10
	v_cmp_ne_u32_e32 vcc, s19, v6
                                        ; implicit-def: $vgpr6
	s_and_saveexec_b64 s[42:43], vcc
	s_xor_b64 vcc, exec, s[42:43]
; %bb.442:                              ;   in Loop: Header=BB352_9 Depth=1
	v_bfe_u32 v6, v10, 16, 1
	v_add3_u32 v6, v10, v6, s44
                                        ; implicit-def: $vgpr10
; %bb.443:                              ;   in Loop: Header=BB352_9 Depth=1
	s_andn2_saveexec_b64 s[42:43], vcc
; %bb.444:                              ;   in Loop: Header=BB352_9 Depth=1
	v_or_b32_e32 v6, 0x10000, v10
	v_cmp_eq_u32_sdwa vcc, v10, v5 src0_sel:WORD_0 src1_sel:DWORD
	s_nop 1
	v_cndmask_b32_e32 v6, v6, v10, vcc
; %bb.445:                              ;   in Loop: Header=BB352_9 Depth=1
	s_or_b64 exec, exec, s[42:43]
	v_bfe_u32 v10, v8, 8, 8
	v_cvt_f32_fp8_sdwa v10, v10 src0_sel:BYTE_0
	s_nop 0
	v_mul_f32_e32 v10, v22, v10
	v_and_b32_e32 v11, 0x7f800000, v10
	v_cmp_ne_u32_e32 vcc, s19, v11
                                        ; implicit-def: $vgpr11
	s_and_saveexec_b64 s[42:43], vcc
	s_xor_b64 vcc, exec, s[42:43]
; %bb.446:                              ;   in Loop: Header=BB352_9 Depth=1
	v_bfe_u32 v11, v10, 16, 1
	v_add3_u32 v11, v10, v11, s44
                                        ; implicit-def: $vgpr10
; %bb.447:                              ;   in Loop: Header=BB352_9 Depth=1
	s_andn2_saveexec_b64 s[42:43], vcc
; %bb.448:                              ;   in Loop: Header=BB352_9 Depth=1
	v_or_b32_e32 v11, 0x10000, v10
	v_cmp_eq_u32_sdwa vcc, v10, v5 src0_sel:WORD_0 src1_sel:DWORD
	s_nop 1
	v_cndmask_b32_e32 v11, v11, v10, vcc
; %bb.449:                              ;   in Loop: Header=BB352_9 Depth=1
	s_or_b64 exec, exec, s[42:43]
	v_bfe_u32 v10, v8, 16, 8
	v_cvt_f32_fp8_sdwa v10, v10 src0_sel:BYTE_0
	s_nop 0
	v_mul_f32_e32 v18, v22, v10
	v_and_b32_e32 v10, 0x7f800000, v18
	v_cmp_ne_u32_e32 vcc, s19, v10
                                        ; implicit-def: $vgpr10
	s_and_saveexec_b64 s[42:43], vcc
	s_xor_b64 vcc, exec, s[42:43]
; %bb.450:                              ;   in Loop: Header=BB352_9 Depth=1
	v_bfe_u32 v10, v18, 16, 1
	v_add3_u32 v10, v18, v10, s44
                                        ; implicit-def: $vgpr18
; %bb.451:                              ;   in Loop: Header=BB352_9 Depth=1
	s_andn2_saveexec_b64 s[42:43], vcc
; %bb.452:                              ;   in Loop: Header=BB352_9 Depth=1
	v_or_b32_e32 v10, 0x10000, v18
	v_cmp_eq_u32_sdwa vcc, v18, v5 src0_sel:WORD_0 src1_sel:DWORD
	s_nop 1
	v_cndmask_b32_e32 v10, v10, v18, vcc
; %bb.453:                              ;   in Loop: Header=BB352_9 Depth=1
	s_or_b64 exec, exec, s[42:43]
	v_lshrrev_b32_e32 v8, 24, v8
	v_cvt_f32_fp8_sdwa v8, v8 src0_sel:BYTE_0
                                        ; implicit-def: $vgpr32
	s_nop 0
	v_mul_f32_e32 v8, v22, v8
	v_and_b32_e32 v18, 0x7f800000, v8
	v_cmp_ne_u32_e32 vcc, s19, v18
	s_and_saveexec_b64 s[42:43], vcc
	s_xor_b64 vcc, exec, s[42:43]
; %bb.454:                              ;   in Loop: Header=BB352_9 Depth=1
	v_bfe_u32 v18, v8, 16, 1
	v_add3_u32 v32, v8, v18, s44
                                        ; implicit-def: $vgpr8
; %bb.455:                              ;   in Loop: Header=BB352_9 Depth=1
	s_andn2_saveexec_b64 s[42:43], vcc
; %bb.456:                              ;   in Loop: Header=BB352_9 Depth=1
	v_or_b32_e32 v18, 0x10000, v8
	v_cmp_eq_u32_sdwa vcc, v8, v5 src0_sel:WORD_0 src1_sel:DWORD
	s_nop 1
	v_cndmask_b32_e32 v32, v18, v8, vcc
; %bb.457:                              ;   in Loop: Header=BB352_9 Depth=1
	s_or_b64 exec, exec, s[42:43]
	v_add_co_u32_e32 v18, vcc, 0x1000, v16
                                        ; implicit-def: $vgpr33
	s_nop 1
	v_addc_co_u32_e32 v19, vcc, 0, v17, vcc
	flat_load_dword v19, v[18:19] offset:3072
	s_waitcnt vmcnt(0) lgkmcnt(0)
	v_and_b32_e32 v8, 0xff, v19
	v_cvt_f32_fp8_sdwa v8, v8 src0_sel:BYTE_0
	s_nop 0
	v_mul_f32_e32 v8, v22, v8
	v_and_b32_e32 v18, 0x7f800000, v8
	v_cmp_ne_u32_e32 vcc, s19, v18
	s_and_saveexec_b64 s[42:43], vcc
	s_xor_b64 vcc, exec, s[42:43]
; %bb.458:                              ;   in Loop: Header=BB352_9 Depth=1
	v_bfe_u32 v18, v8, 16, 1
	v_add3_u32 v33, v8, v18, s44
                                        ; implicit-def: $vgpr8
; %bb.459:                              ;   in Loop: Header=BB352_9 Depth=1
	s_andn2_saveexec_b64 s[42:43], vcc
; %bb.460:                              ;   in Loop: Header=BB352_9 Depth=1
	v_or_b32_e32 v18, 0x10000, v8
	v_cmp_eq_u32_sdwa vcc, v8, v5 src0_sel:WORD_0 src1_sel:DWORD
	s_nop 1
	v_cndmask_b32_e32 v33, v18, v8, vcc
; %bb.461:                              ;   in Loop: Header=BB352_9 Depth=1
	s_or_b64 exec, exec, s[42:43]
	v_bfe_u32 v8, v19, 8, 8
	v_cvt_f32_fp8_sdwa v8, v8 src0_sel:BYTE_0
	s_nop 0
	v_mul_f32_e32 v18, v22, v8
	v_and_b32_e32 v8, 0x7f800000, v18
	v_cmp_ne_u32_e32 vcc, s19, v8
                                        ; implicit-def: $vgpr8
	s_and_saveexec_b64 s[42:43], vcc
	s_xor_b64 vcc, exec, s[42:43]
; %bb.462:                              ;   in Loop: Header=BB352_9 Depth=1
	v_bfe_u32 v8, v18, 16, 1
	v_add3_u32 v8, v18, v8, s44
                                        ; implicit-def: $vgpr18
; %bb.463:                              ;   in Loop: Header=BB352_9 Depth=1
	s_andn2_saveexec_b64 s[42:43], vcc
; %bb.464:                              ;   in Loop: Header=BB352_9 Depth=1
	v_or_b32_e32 v8, 0x10000, v18
	v_cmp_eq_u32_sdwa vcc, v18, v5 src0_sel:WORD_0 src1_sel:DWORD
	s_nop 1
	v_cndmask_b32_e32 v8, v8, v18, vcc
; %bb.465:                              ;   in Loop: Header=BB352_9 Depth=1
	s_or_b64 exec, exec, s[42:43]
	v_bfe_u32 v18, v19, 16, 8
	v_cvt_f32_fp8_sdwa v18, v18 src0_sel:BYTE_0
	s_nop 0
	v_mul_f32_e32 v24, v22, v18
	v_and_b32_e32 v18, 0x7f800000, v24
	v_cmp_ne_u32_e32 vcc, s19, v18
                                        ; implicit-def: $vgpr18
	s_and_saveexec_b64 s[42:43], vcc
	s_xor_b64 vcc, exec, s[42:43]
; %bb.466:                              ;   in Loop: Header=BB352_9 Depth=1
	v_bfe_u32 v18, v24, 16, 1
	v_add3_u32 v18, v24, v18, s44
                                        ; implicit-def: $vgpr24
; %bb.467:                              ;   in Loop: Header=BB352_9 Depth=1
	s_andn2_saveexec_b64 s[42:43], vcc
; %bb.468:                              ;   in Loop: Header=BB352_9 Depth=1
	v_or_b32_e32 v18, 0x10000, v24
	v_cmp_eq_u32_sdwa vcc, v24, v5 src0_sel:WORD_0 src1_sel:DWORD
	s_nop 1
	v_cndmask_b32_e32 v18, v18, v24, vcc
; %bb.469:                              ;   in Loop: Header=BB352_9 Depth=1
	s_or_b64 exec, exec, s[42:43]
	v_lshrrev_b32_e32 v19, 24, v19
	v_cvt_f32_fp8_sdwa v19, v19 src0_sel:BYTE_0
	s_nop 0
	v_mul_f32_e32 v24, v22, v19
	v_and_b32_e32 v19, 0x7f800000, v24
	v_cmp_ne_u32_e32 vcc, s19, v19
                                        ; implicit-def: $vgpr19
	s_and_saveexec_b64 s[42:43], vcc
	s_xor_b64 vcc, exec, s[42:43]
; %bb.470:                              ;   in Loop: Header=BB352_9 Depth=1
	v_bfe_u32 v19, v24, 16, 1
	v_add3_u32 v19, v24, v19, s44
                                        ; implicit-def: $vgpr24
; %bb.471:                              ;   in Loop: Header=BB352_9 Depth=1
	s_andn2_saveexec_b64 s[42:43], vcc
; %bb.472:                              ;   in Loop: Header=BB352_9 Depth=1
	v_or_b32_e32 v19, 0x10000, v24
	v_cmp_eq_u32_sdwa vcc, v24, v5 src0_sel:WORD_0 src1_sel:DWORD
	s_nop 1
	v_cndmask_b32_e32 v19, v19, v24, vcc
; %bb.473:                              ;   in Loop: Header=BB352_9 Depth=1
	s_or_b64 exec, exec, s[42:43]
	v_lshl_add_u64 v[24:25], v[16:17], 0, s[38:39]
	flat_load_dword v27, v[24:25] offset:8
	s_waitcnt vmcnt(0) lgkmcnt(0)
	v_and_b32_e32 v24, 0xff, v27
	v_cvt_f32_fp8_sdwa v24, v24 src0_sel:BYTE_0
	s_nop 0
	v_mul_f32_e32 v25, v22, v24
	v_and_b32_e32 v24, 0x7f800000, v25
	v_cmp_ne_u32_e32 vcc, s19, v24
                                        ; implicit-def: $vgpr24
	s_and_saveexec_b64 s[42:43], vcc
	s_xor_b64 vcc, exec, s[42:43]
; %bb.474:                              ;   in Loop: Header=BB352_9 Depth=1
	v_bfe_u32 v24, v25, 16, 1
	v_add3_u32 v24, v25, v24, s44
                                        ; implicit-def: $vgpr25
; %bb.475:                              ;   in Loop: Header=BB352_9 Depth=1
	s_andn2_saveexec_b64 s[42:43], vcc
; %bb.476:                              ;   in Loop: Header=BB352_9 Depth=1
	v_or_b32_e32 v24, 0x10000, v25
	v_cmp_eq_u32_sdwa vcc, v25, v5 src0_sel:WORD_0 src1_sel:DWORD
	s_nop 1
	v_cndmask_b32_e32 v24, v24, v25, vcc
; %bb.477:                              ;   in Loop: Header=BB352_9 Depth=1
	s_or_b64 exec, exec, s[42:43]
	v_bfe_u32 v25, v27, 8, 8
	v_cvt_f32_fp8_sdwa v25, v25 src0_sel:BYTE_0
	s_nop 0
	v_mul_f32_e32 v26, v22, v25
	v_and_b32_e32 v25, 0x7f800000, v26
	v_cmp_ne_u32_e32 vcc, s19, v25
                                        ; implicit-def: $vgpr25
	s_and_saveexec_b64 s[42:43], vcc
	s_xor_b64 vcc, exec, s[42:43]
; %bb.478:                              ;   in Loop: Header=BB352_9 Depth=1
	v_bfe_u32 v25, v26, 16, 1
	v_add3_u32 v25, v26, v25, s44
                                        ; implicit-def: $vgpr26
; %bb.479:                              ;   in Loop: Header=BB352_9 Depth=1
	s_andn2_saveexec_b64 s[42:43], vcc
; %bb.480:                              ;   in Loop: Header=BB352_9 Depth=1
	v_or_b32_e32 v25, 0x10000, v26
	v_cmp_eq_u32_sdwa vcc, v26, v5 src0_sel:WORD_0 src1_sel:DWORD
	s_nop 1
	v_cndmask_b32_e32 v25, v25, v26, vcc
; %bb.481:                              ;   in Loop: Header=BB352_9 Depth=1
	s_or_b64 exec, exec, s[42:43]
	v_bfe_u32 v26, v27, 16, 8
	v_cvt_f32_fp8_sdwa v26, v26 src0_sel:BYTE_0
	s_nop 0
	v_mul_f32_e32 v28, v22, v26
	v_and_b32_e32 v26, 0x7f800000, v28
	v_cmp_ne_u32_e32 vcc, s19, v26
                                        ; implicit-def: $vgpr26
	s_and_saveexec_b64 s[42:43], vcc
	s_xor_b64 vcc, exec, s[42:43]
; %bb.482:                              ;   in Loop: Header=BB352_9 Depth=1
	v_bfe_u32 v26, v28, 16, 1
	v_add3_u32 v26, v28, v26, s44
                                        ; implicit-def: $vgpr28
; %bb.483:                              ;   in Loop: Header=BB352_9 Depth=1
	s_andn2_saveexec_b64 s[42:43], vcc
; %bb.484:                              ;   in Loop: Header=BB352_9 Depth=1
	v_or_b32_e32 v26, 0x10000, v28
	v_cmp_eq_u32_sdwa vcc, v28, v5 src0_sel:WORD_0 src1_sel:DWORD
	s_nop 1
	v_cndmask_b32_e32 v26, v26, v28, vcc
; %bb.485:                              ;   in Loop: Header=BB352_9 Depth=1
	s_or_b64 exec, exec, s[42:43]
	v_lshrrev_b32_e32 v27, 24, v27
	v_cvt_f32_fp8_sdwa v27, v27 src0_sel:BYTE_0
	s_nop 0
	v_mul_f32_e32 v28, v22, v27
	v_and_b32_e32 v27, 0x7f800000, v28
	v_cmp_ne_u32_e32 vcc, s19, v27
                                        ; implicit-def: $vgpr27
	s_and_saveexec_b64 s[42:43], vcc
	s_xor_b64 vcc, exec, s[42:43]
; %bb.486:                              ;   in Loop: Header=BB352_9 Depth=1
	v_bfe_u32 v27, v28, 16, 1
	v_add3_u32 v27, v28, v27, s44
                                        ; implicit-def: $vgpr28
; %bb.487:                              ;   in Loop: Header=BB352_9 Depth=1
	s_andn2_saveexec_b64 s[42:43], vcc
; %bb.488:                              ;   in Loop: Header=BB352_9 Depth=1
	v_or_b32_e32 v27, 0x10000, v28
	v_cmp_eq_u32_sdwa vcc, v28, v5 src0_sel:WORD_0 src1_sel:DWORD
	s_nop 1
	v_cndmask_b32_e32 v27, v27, v28, vcc
; %bb.489:                              ;   in Loop: Header=BB352_9 Depth=1
	s_or_b64 exec, exec, s[42:43]
	v_add_co_u32_e32 v28, vcc, 0x1000, v16
	s_nop 1
	v_addc_co_u32_e32 v29, vcc, 0, v17, vcc
	flat_load_dword v31, v[28:29] offset:3584
	s_waitcnt vmcnt(0) lgkmcnt(0)
	v_and_b32_e32 v28, 0xff, v31
	v_cvt_f32_fp8_sdwa v28, v28 src0_sel:BYTE_0
	s_nop 0
	v_mul_f32_e32 v29, v22, v28
	v_and_b32_e32 v28, 0x7f800000, v29
	v_cmp_ne_u32_e32 vcc, s19, v28
                                        ; implicit-def: $vgpr28
	s_and_saveexec_b64 s[42:43], vcc
	s_xor_b64 vcc, exec, s[42:43]
; %bb.490:                              ;   in Loop: Header=BB352_9 Depth=1
	v_bfe_u32 v28, v29, 16, 1
	v_add3_u32 v28, v29, v28, s44
                                        ; implicit-def: $vgpr29
; %bb.491:                              ;   in Loop: Header=BB352_9 Depth=1
	s_andn2_saveexec_b64 s[42:43], vcc
; %bb.492:                              ;   in Loop: Header=BB352_9 Depth=1
	v_or_b32_e32 v28, 0x10000, v29
	v_cmp_eq_u32_sdwa vcc, v29, v5 src0_sel:WORD_0 src1_sel:DWORD
	s_nop 1
	v_cndmask_b32_e32 v28, v28, v29, vcc
; %bb.493:                              ;   in Loop: Header=BB352_9 Depth=1
	s_or_b64 exec, exec, s[42:43]
	v_bfe_u32 v29, v31, 8, 8
	v_cvt_f32_fp8_sdwa v29, v29 src0_sel:BYTE_0
	s_nop 0
	v_mul_f32_e32 v30, v22, v29
	v_and_b32_e32 v29, 0x7f800000, v30
	v_cmp_ne_u32_e32 vcc, s19, v29
                                        ; implicit-def: $vgpr29
	s_and_saveexec_b64 s[42:43], vcc
	s_xor_b64 vcc, exec, s[42:43]
; %bb.494:                              ;   in Loop: Header=BB352_9 Depth=1
	v_bfe_u32 v29, v30, 16, 1
	v_add3_u32 v29, v30, v29, s44
                                        ; implicit-def: $vgpr30
; %bb.495:                              ;   in Loop: Header=BB352_9 Depth=1
	s_andn2_saveexec_b64 s[42:43], vcc
; %bb.496:                              ;   in Loop: Header=BB352_9 Depth=1
	v_or_b32_e32 v29, 0x10000, v30
	v_cmp_eq_u32_sdwa vcc, v30, v5 src0_sel:WORD_0 src1_sel:DWORD
	s_nop 1
	v_cndmask_b32_e32 v29, v29, v30, vcc
; %bb.497:                              ;   in Loop: Header=BB352_9 Depth=1
	s_or_b64 exec, exec, s[42:43]
	v_bfe_u32 v30, v31, 16, 8
	v_cvt_f32_fp8_sdwa v30, v30 src0_sel:BYTE_0
	s_nop 0
	v_mul_f32_e32 v34, v22, v30
	v_and_b32_e32 v30, 0x7f800000, v34
	v_cmp_ne_u32_e32 vcc, s19, v30
                                        ; implicit-def: $vgpr30
	s_and_saveexec_b64 s[42:43], vcc
	s_xor_b64 vcc, exec, s[42:43]
; %bb.498:                              ;   in Loop: Header=BB352_9 Depth=1
	v_bfe_u32 v30, v34, 16, 1
	v_add3_u32 v30, v34, v30, s44
                                        ; implicit-def: $vgpr34
; %bb.499:                              ;   in Loop: Header=BB352_9 Depth=1
	s_andn2_saveexec_b64 s[42:43], vcc
; %bb.500:                              ;   in Loop: Header=BB352_9 Depth=1
	v_or_b32_e32 v30, 0x10000, v34
	v_cmp_eq_u32_sdwa vcc, v34, v5 src0_sel:WORD_0 src1_sel:DWORD
	s_nop 1
	v_cndmask_b32_e32 v30, v30, v34, vcc
; %bb.501:                              ;   in Loop: Header=BB352_9 Depth=1
	s_or_b64 exec, exec, s[42:43]
	v_lshrrev_b32_e32 v31, 24, v31
	v_cvt_f32_fp8_sdwa v31, v31 src0_sel:BYTE_0
	s_nop 0
	v_mul_f32_e32 v34, v22, v31
	v_and_b32_e32 v31, 0x7f800000, v34
	v_cmp_ne_u32_e32 vcc, s19, v31
                                        ; implicit-def: $vgpr31
	s_and_saveexec_b64 s[42:43], vcc
	s_xor_b64 vcc, exec, s[42:43]
; %bb.502:                              ;   in Loop: Header=BB352_9 Depth=1
	v_bfe_u32 v31, v34, 16, 1
	v_add3_u32 v31, v34, v31, s44
                                        ; implicit-def: $vgpr34
; %bb.503:                              ;   in Loop: Header=BB352_9 Depth=1
	s_andn2_saveexec_b64 s[42:43], vcc
; %bb.504:                              ;   in Loop: Header=BB352_9 Depth=1
	v_or_b32_e32 v31, 0x10000, v34
	v_cmp_eq_u32_sdwa vcc, v34, v5 src0_sel:WORD_0 src1_sel:DWORD
	s_nop 1
	v_cndmask_b32_e32 v31, v31, v34, vcc
; %bb.505:                              ;   in Loop: Header=BB352_9 Depth=1
	s_or_b64 exec, exec, s[42:43]
	v_lshl_add_u64 v[16:17], v[16:17], 0, s[40:41]
	flat_load_dword v35, v[16:17] offset:8
	s_waitcnt vmcnt(0) lgkmcnt(0)
	v_and_b32_e32 v16, 0xff, v35
	v_cvt_f32_fp8_sdwa v16, v16 src0_sel:BYTE_0
	s_nop 0
	v_mul_f32_e32 v17, v22, v16
	v_and_b32_e32 v16, 0x7f800000, v17
	v_cmp_ne_u32_e32 vcc, s19, v16
                                        ; implicit-def: $vgpr16
	s_and_saveexec_b64 s[42:43], vcc
	s_xor_b64 vcc, exec, s[42:43]
; %bb.506:                              ;   in Loop: Header=BB352_9 Depth=1
	v_bfe_u32 v16, v17, 16, 1
	v_add3_u32 v16, v17, v16, s44
                                        ; implicit-def: $vgpr17
; %bb.507:                              ;   in Loop: Header=BB352_9 Depth=1
	s_andn2_saveexec_b64 s[42:43], vcc
; %bb.508:                              ;   in Loop: Header=BB352_9 Depth=1
	v_or_b32_e32 v16, 0x10000, v17
	v_cmp_eq_u32_sdwa vcc, v17, v5 src0_sel:WORD_0 src1_sel:DWORD
	s_nop 1
	v_cndmask_b32_e32 v16, v16, v17, vcc
; %bb.509:                              ;   in Loop: Header=BB352_9 Depth=1
	s_or_b64 exec, exec, s[42:43]
	v_bfe_u32 v17, v35, 8, 8
	v_cvt_f32_fp8_sdwa v17, v17 src0_sel:BYTE_0
	s_nop 0
	v_mul_f32_e32 v34, v22, v17
	v_and_b32_e32 v17, 0x7f800000, v34
	v_cmp_ne_u32_e32 vcc, s19, v17
                                        ; implicit-def: $vgpr17
	s_and_saveexec_b64 s[42:43], vcc
	s_xor_b64 vcc, exec, s[42:43]
; %bb.510:                              ;   in Loop: Header=BB352_9 Depth=1
	v_bfe_u32 v17, v34, 16, 1
	v_add3_u32 v17, v34, v17, s44
                                        ; implicit-def: $vgpr34
; %bb.511:                              ;   in Loop: Header=BB352_9 Depth=1
	s_andn2_saveexec_b64 s[42:43], vcc
; %bb.512:                              ;   in Loop: Header=BB352_9 Depth=1
	v_or_b32_e32 v17, 0x10000, v34
	v_cmp_eq_u32_sdwa vcc, v34, v5 src0_sel:WORD_0 src1_sel:DWORD
	s_nop 1
	v_cndmask_b32_e32 v17, v17, v34, vcc
; %bb.513:                              ;   in Loop: Header=BB352_9 Depth=1
	s_or_b64 exec, exec, s[42:43]
	v_bfe_u32 v34, v35, 16, 8
	v_cvt_f32_fp8_sdwa v34, v34 src0_sel:BYTE_0
	s_nop 0
	v_mul_f32_e32 v36, v22, v34
	v_and_b32_e32 v34, 0x7f800000, v36
	v_cmp_ne_u32_e32 vcc, s19, v34
                                        ; implicit-def: $vgpr34
	s_and_saveexec_b64 s[42:43], vcc
	s_xor_b64 vcc, exec, s[42:43]
; %bb.514:                              ;   in Loop: Header=BB352_9 Depth=1
	v_bfe_u32 v34, v36, 16, 1
	v_add3_u32 v34, v36, v34, s44
                                        ; implicit-def: $vgpr36
; %bb.515:                              ;   in Loop: Header=BB352_9 Depth=1
	s_andn2_saveexec_b64 s[42:43], vcc
; %bb.516:                              ;   in Loop: Header=BB352_9 Depth=1
	v_or_b32_e32 v34, 0x10000, v36
	v_cmp_eq_u32_sdwa vcc, v36, v5 src0_sel:WORD_0 src1_sel:DWORD
	s_nop 1
	v_cndmask_b32_e32 v34, v34, v36, vcc
; %bb.517:                              ;   in Loop: Header=BB352_9 Depth=1
	s_or_b64 exec, exec, s[42:43]
	v_lshrrev_b32_e32 v35, 24, v35
	v_cvt_f32_fp8_sdwa v35, v35 src0_sel:BYTE_0
	s_nop 0
	v_mul_f32_e32 v35, v22, v35
	v_and_b32_e32 v22, 0x7f800000, v35
	v_cmp_ne_u32_e32 vcc, s19, v22
                                        ; implicit-def: $vgpr22
	s_and_saveexec_b64 s[42:43], vcc
	s_xor_b64 vcc, exec, s[42:43]
; %bb.518:                              ;   in Loop: Header=BB352_9 Depth=1
	v_bfe_u32 v22, v35, 16, 1
	v_add3_u32 v22, v35, v22, s44
                                        ; implicit-def: $vgpr35
; %bb.519:                              ;   in Loop: Header=BB352_9 Depth=1
	s_andn2_saveexec_b64 s[42:43], vcc
; %bb.520:                              ;   in Loop: Header=BB352_9 Depth=1
	v_or_b32_e32 v22, 0x10000, v35
	v_cmp_eq_u32_sdwa vcc, v35, v5 src0_sel:WORD_0 src1_sel:DWORD
	s_nop 1
	v_cndmask_b32_e32 v22, v22, v35, vcc
; %bb.521:                              ;   in Loop: Header=BB352_9 Depth=1
	s_or_b64 exec, exec, s[42:43]
	v_and_b32_e32 v35, 0xffff0000, v37
	scratch_load_dword v37, off, s32 offset:280 ; 4-byte Folded Reload
	v_and_b32_e32 v36, 0xffff0000, v38
	v_and_b32_e32 v1, 0xffff0000, v1
	;; [unrolled: 1-line block ×3, first 2 shown]
	scratch_load_dword v38, off, s32 offset:284 ; 4-byte Folded Reload
	s_waitcnt vmcnt(1)
	v_mul_f32_e32 v35, v37, v35
	scratch_load_dword v37, off, s32 offset:264 ; 4-byte Folded Reload
	s_waitcnt vmcnt(0)
	v_fmac_f32_e32 v35, v37, v36
	scratch_load_dword v36, off, s32 offset:220 ; 4-byte Folded Reload
	scratch_load_dword v37, off, s32 offset:212 ; 4-byte Folded Reload
	s_waitcnt vmcnt(1)
	v_and_b32_e32 v36, 0xffff0000, v36
	v_mul_f32_e32 v36, v38, v36
	scratch_load_dword v38, off, s32 offset:268 ; 4-byte Folded Reload
	s_waitcnt vmcnt(1)
	v_and_b32_e32 v37, 0xffff0000, v37
	s_waitcnt vmcnt(0)
	v_fmac_f32_e32 v36, v38, v37
	v_and_b32_e32 v37, 0xffff0000, v39
	scratch_load_dword v39, off, s32 offset:288 ; 4-byte Folded Reload
	scratch_load_dword v38, off, s32 offset:216 ; 4-byte Folded Reload
	s_waitcnt vmcnt(1)
	v_mul_f32_e32 v37, v39, v37
	scratch_load_dword v39, off, s32 offset:272 ; 4-byte Folded Reload
	s_waitcnt vmcnt(1)
	v_and_b32_e32 v38, 0xffff0000, v38
	s_waitcnt vmcnt(0)
	v_fmac_f32_e32 v37, v39, v38
	scratch_load_dword v39, off, s32 offset:204 ; 4-byte Folded Reload
	v_and_b32_e32 v38, 0xffff0000, v50
	s_waitcnt vmcnt(0)
	v_and_b32_e32 v50, 0xffff0000, v39
	scratch_load_dword v39, off, s32 offset:292 ; 4-byte Folded Reload
	s_waitcnt vmcnt(0)
	v_mul_f32_e32 v38, v39, v38
	scratch_load_dword v39, off, s32 offset:276 ; 4-byte Folded Reload
	s_waitcnt vmcnt(0)
	v_fmac_f32_e32 v38, v39, v50
	scratch_load_dword v39, off, s32 offset:224 ; 4-byte Folded Reload
	s_waitcnt vmcnt(0)
	v_and_b32_e32 v50, 0xffff0000, v39
	scratch_load_dword v39, off, s32 offset:296 ; 4-byte Folded Reload
	s_waitcnt vmcnt(0)
	v_fmac_f32_e32 v35, v39, v50
	scratch_load_dword v39, off, s32 offset:228 ; 4-byte Folded Reload
	s_waitcnt vmcnt(0)
	v_and_b32_e32 v50, 0xffff0000, v39
	;; [unrolled: 6-line block ×7, first 2 shown]
	scratch_load_dword v39, off, s32 offset:320 ; 4-byte Folded Reload
	s_waitcnt vmcnt(0)
	v_fmac_f32_e32 v37, v39, v50
	v_accvgpr_read_b32 v39, a38
	v_and_b32_e32 v50, 0xffff0000, v39
	scratch_load_dword v39, off, s32 offset:324 ; 4-byte Folded Reload
	s_waitcnt vmcnt(0)
	v_fmac_f32_e32 v38, v39, v50
	v_accvgpr_read_b32 v39, a39
	v_and_b32_e32 v50, 0xffff0000, v39
	;; [unrolled: 5-line block ×63, first 2 shown]
	scratch_load_dword v39, off, s32 offset:608 ; 4-byte Folded Reload
	s_waitcnt vmcnt(0)
	v_fmac_f32_e32 v36, v39, v50
	scratch_load_dword v50, off, s32 offset:612 ; 4-byte Folded Reload
	v_accvgpr_read_b32 v39, a37
	v_and_b32_e32 v39, 0xffff0000, v39
	s_waitcnt vmcnt(0)
	v_fmac_f32_e32 v37, v50, v39
	v_and_b32_e32 v39, 0xffff0000, v48
	scratch_load_dword v48, off, s32 offset:616 ; 4-byte Folded Reload
	s_waitcnt vmcnt(0)
	v_fmac_f32_e32 v38, v48, v39
	scratch_load_dword v48, off, s32 offset:620 ; 4-byte Folded Reload
	v_and_b32_e32 v39, 0xffff0000, v49
	s_waitcnt vmcnt(0)
	v_fmac_f32_e32 v35, v48, v39
	scratch_load_dword v48, off, s32 offset:624 ; 4-byte Folded Reload
	v_and_b32_e32 v39, 0xffff0000, v62
	;; [unrolled: 4-line block ×15, first 2 shown]
	s_waitcnt vmcnt(0)
	v_fmac_f32_e32 v37, v48, v39
	scratch_load_dword v39, off, s32 offset:680 ; 4-byte Folded Reload
	s_waitcnt vmcnt(0)
	v_fmac_f32_e32 v38, v39, v1
	v_and_b32_e32 v1, 0xffff0000, v9
	scratch_load_dword v9, off, s32 offset:684 ; 4-byte Folded Reload
	s_waitcnt vmcnt(0)
	v_fmac_f32_e32 v35, v9, v1
	v_and_b32_e32 v1, 0xffff0000, v2
	scratch_load_dword v2, off, s32 offset:688 ; 4-byte Folded Reload
	s_waitcnt vmcnt(0)
	v_fmac_f32_e32 v36, v2, v1
	scratch_load_dword v2, off, s32 offset:692 ; 4-byte Folded Reload
	v_and_b32_e32 v1, 0xffff0000, v12
	s_waitcnt vmcnt(0)
	v_fmac_f32_e32 v37, v2, v1
	scratch_load_dword v2, off, s32 offset:696 ; 4-byte Folded Reload
	v_and_b32_e32 v1, 0xffff0000, v13
	s_waitcnt vmcnt(0)
	v_fmac_f32_e32 v38, v2, v1
	scratch_load_dword v2, off, s32 offset:700 ; 4-byte Folded Reload
	v_and_b32_e32 v1, 0xffff0000, v58
	s_waitcnt vmcnt(0)
	v_fmac_f32_e32 v35, v2, v1
	scratch_load_dword v2, off, s32 offset:704 ; 4-byte Folded Reload
	v_and_b32_e32 v1, 0xffff0000, v21
	s_waitcnt vmcnt(0)
	v_fmac_f32_e32 v36, v2, v1
	scratch_load_dword v2, off, s32 offset:708 ; 4-byte Folded Reload
	v_and_b32_e32 v1, 0xffff0000, v20
	s_waitcnt vmcnt(0)
	v_fmac_f32_e32 v37, v2, v1
	scratch_load_dword v1, off, s32 offset:712 ; 4-byte Folded Reload
	s_waitcnt vmcnt(0)
	v_fmac_f32_e32 v38, v1, v0
	scratch_load_dword v1, off, s32 offset:716 ; 4-byte Folded Reload
	v_and_b32_e32 v0, 0xffff0000, v3
	s_waitcnt vmcnt(0)
	v_fmac_f32_e32 v35, v1, v0
	scratch_load_dword v1, off, s32 offset:720 ; 4-byte Folded Reload
	v_and_b32_e32 v0, 0xffff0000, v40
	;; [unrolled: 4-line block ×24, first 2 shown]
	s_waitcnt vmcnt(0)
	v_fmac_f32_e32 v38, v1, v0
	scratch_load_dword v1, off, s32 offset:812 ; 4-byte Folded Reload
	v_add_f32_e32 v0, v35, v36
	v_add_f32_e32 v0, v0, v37
	;; [unrolled: 1-line block ×3, first 2 shown]
	s_waitcnt vmcnt(0)
	ds_bpermute_b32 v1, v1, v0
	s_and_saveexec_b64 s[42:43], s[6:7]
	s_cbranch_execz .LBB352_8
; %bb.522:                              ;   in Loop: Header=BB352_9 Depth=1
	s_waitcnt lgkmcnt(0)
	v_add_f32_e32 v0, v0, v1
	scratch_load_dword v1, off, s32 offset:824 ; 4-byte Folded Reload
	scratch_load_dword v3, off, s32 offset:828 ; 4-byte Folded Reload
	v_sub_u32_e32 v2, 1, v43
	v_add_u32_e32 v2, v2, v60
	v_cvt_f32_i32_e32 v2, v2
	s_load_dword vcc_lo, s[20:21], 0x0
	s_waitcnt vmcnt(1)
	v_mul_f32_e32 v1, v1, v2
	v_cndmask_b32_e64 v1, 0, v1, s[8:9]
	s_waitcnt lgkmcnt(0)
	v_add_u32_e32 v2, vcc_lo, v61
	s_waitcnt vmcnt(0)
	v_fmac_f32_e32 v1, v0, v3
	v_cmp_lt_i32_e32 vcc, v60, v43
	s_nop 1
	v_cndmask_b32_e32 v0, 0, v1, vcc
	ds_write_b32 v2, v0
	scratch_load_dword v2, off, s32 offset:260 ; 4-byte Folded Reload
	s_waitcnt vmcnt(0)
	v_max_f32_e32 v0, v2, v2
	v_max_f32_e32 v0, v0, v1
	v_cndmask_b32_e32 v2, v2, v0, vcc
	scratch_store_dword off, v2, s32 offset:260 ; 4-byte Folded Spill
	s_branch .LBB352_8
.LBB352_523:
	s_or_b64 exec, exec, s[22:23]
	scratch_load_dword v15, off, s32 offset:832 ; 4-byte Folded Reload
	scratch_load_dwordx2 v[36:37], off, s32 offset:896 ; 8-byte Folded Reload
	scratch_load_dwordx2 v[22:23], off, s32 offset:888 ; 8-byte Folded Reload
	;; [unrolled: 1-line block ×5, first 2 shown]
	scratch_load_dword v49, off, s32 offset:860 ; 4-byte Folded Reload
	scratch_load_dwordx2 v[52:53], off, s32 offset:844 ; 8-byte Folded Reload
	scratch_load_dword v8, off, s32 offset:856 ; 4-byte Folded Reload
	scratch_load_dword v9, off, s32 offset:852 ; 4-byte Folded Reload
	;; [unrolled: 1-line block ×3, first 2 shown]
.LBB352_524:
	s_or_b64 exec, exec, s[10:11]
	s_waitcnt vmcnt(2)
	v_xor_b32_e32 v0, 32, v8
	s_waitcnt vmcnt(1)
	v_cmp_lt_i32_e32 vcc, v0, v9
	s_waitcnt vmcnt(0)
	v_max_f32_e32 v2, v3, v3
	v_xor_b32_e32 v4, 8, v8
	v_cndmask_b32_e32 v0, v8, v0, vcc
	s_waitcnt lgkmcnt(0)
	v_lshlrev_b32_e32 v1, 2, v0
	ds_bpermute_b32 v0, v1, v3
	v_xor_b32_e32 v3, 16, v8
	v_cmp_lt_i32_e32 vcc, v3, v9
	v_xor_b32_e32 v5, 4, v8
	v_xor_b32_e32 v6, 2, v8
	s_waitcnt lgkmcnt(0)
	v_max_f32_e32 v0, v0, v0
	v_max_f32_e32 v0, v2, v0
	v_cndmask_b32_e32 v2, v8, v3, vcc
	v_lshlrev_b32_e32 v2, 2, v2
	ds_bpermute_b32 v3, v2, v0
	v_cmp_lt_i32_e32 vcc, v4, v9
	v_and_b32_e32 v33, 63, v15
	s_lshr_b32 s17, s17, 16
	s_waitcnt lgkmcnt(0)
	v_max_f32_e32 v3, v3, v3
	v_max_f32_e32 v0, v0, v3
	v_cndmask_b32_e32 v3, v8, v4, vcc
	v_lshlrev_b32_e32 v3, 2, v3
	ds_bpermute_b32 v4, v3, v0
	v_cmp_lt_i32_e32 vcc, v5, v9
	s_waitcnt lgkmcnt(0)
	v_max_f32_e32 v4, v4, v4
	v_max_f32_e32 v0, v0, v4
	v_cndmask_b32_e32 v4, v8, v5, vcc
	v_lshlrev_b32_e32 v4, 2, v4
	ds_bpermute_b32 v5, v4, v0
	v_cmp_lt_i32_e32 vcc, v6, v9
	s_waitcnt lgkmcnt(0)
	v_max_f32_e32 v5, v5, v5
	v_max_f32_e32 v0, v0, v5
	v_cndmask_b32_e32 v5, v8, v6, vcc
	v_lshlrev_b32_e32 v34, 2, v5
	scratch_load_dword v5, off, s32 offset:188 ; 4-byte Folded Reload
	ds_bpermute_b32 v6, v34, v0
	v_cmp_eq_u32_e32 vcc, 0, v33
	s_waitcnt vmcnt(0)
	v_lshlrev_b32_e32 v5, 2, v5
	s_and_saveexec_b64 s[6:7], vcc
	s_cbranch_execz .LBB352_526
; %bb.525:
	s_waitcnt lgkmcnt(0)
	v_max_f32_e32 v6, v6, v6
	v_max_f32_e32 v0, v0, v0
	;; [unrolled: 1-line block ×3, first 2 shown]
	ds_write_b32 v5, v0 offset:512
.LBB352_526:
	s_or_b64 exec, exec, s[6:7]
	v_cmp_gt_u32_e64 s[6:7], 2, v33
	v_mov_b32_e32 v0, 0xff7fffff
	s_waitcnt lgkmcnt(0)
	v_lshlrev_b32_e32 v6, 2, v33
	s_barrier
	s_and_saveexec_b64 s[8:9], s[6:7]
	s_cbranch_execz .LBB352_528
; %bb.527:
	ds_read_b32 v0, v6 offset:512
.LBB352_528:
	s_or_b64 exec, exec, s[8:9]
	v_xor_b32_e32 v7, 1, v8
	v_cmp_lt_i32_e64 s[8:9], v7, v9
	v_mov_b32_e32 v9, 0
	s_nop 0
	v_cndmask_b32_e64 v7, v8, v7, s[8:9]
	v_lshlrev_b32_e32 v35, 2, v7
	s_waitcnt lgkmcnt(0)
	ds_bpermute_b32 v7, v35, v0
	v_max_f32_e32 v0, v0, v0
	v_lshlrev_b32_e32 v8, 2, v8
	s_waitcnt lgkmcnt(0)
	v_max_f32_e32 v7, v7, v7
	v_max_f32_e32 v0, v0, v7
	v_and_b32_e32 v7, 0xffffff00, v8
	ds_bpermute_b32 v8, v7, v0
	scratch_load_dword v0, off, s32 offset:192 ; 4-byte Folded Reload
	s_waitcnt vmcnt(0)
	v_lshlrev_b32_e32 v0, 5, v0
	v_min_i32_e32 v0, v0, v43
	v_cmp_lt_i32_e64 s[8:9], v15, v0
	s_and_saveexec_b64 s[20:21], s[8:9]
	s_cbranch_execz .LBB352_532
; %bb.529:
	s_ashr_i32 s19, s18, 31
	s_lshl_b64 s[10:11], s[18:19], 2
	s_getpc_b64 s[22:23]
	s_add_u32 s22, s22, llvm.amdgcn.dynlds.offset.table@rel32@lo+4
	s_addc_u32 s23, s23, llvm.amdgcn.dynlds.offset.table@rel32@hi+12
	s_add_u32 s10, s10, s22
	s_addc_u32 s11, s11, s23
	s_load_dword s10, s[10:11], 0x0
	s_mov_b64 s[22:23], 0
	v_mov_b32_e32 v9, 0
	v_mov_b32_e32 v11, v15
	s_waitcnt lgkmcnt(0)
	v_lshl_add_u32 v10, v15, 2, s10
.LBB352_530:                            ; =>This Inner Loop Header: Depth=1
	ds_read_b32 v12, v10
	v_add_u32_e32 v11, 0x80, v11
	v_cmp_ge_i32_e64 s[10:11], v11, v0
	s_or_b64 s[22:23], s[10:11], s[22:23]
	s_waitcnt lgkmcnt(0)
	v_sub_f32_e32 v12, v12, v8
	v_mul_f32_e32 v12, 0x3fb8aa3b, v12
	v_exp_f32_e32 v12, v12
	ds_write_b32 v10, v12
	v_add_f32_e32 v9, v9, v12
	v_add_u32_e32 v10, 0x200, v10
	s_andn2_b64 exec, exec, s[22:23]
	s_cbranch_execnz .LBB352_530
; %bb.531:
	s_or_b64 exec, exec, s[22:23]
.LBB352_532:
	s_or_b64 exec, exec, s[20:21]
	ds_bpermute_b32 v1, v1, v9
	s_waitcnt lgkmcnt(0)
	v_add_f32_e32 v1, v9, v1
	ds_bpermute_b32 v2, v2, v1
	s_waitcnt lgkmcnt(0)
	v_add_f32_e32 v1, v1, v2
	ds_bpermute_b32 v2, v3, v1
	s_waitcnt lgkmcnt(0)
	v_add_f32_e32 v1, v1, v2
	ds_bpermute_b32 v2, v4, v1
	s_waitcnt lgkmcnt(0)
	v_add_f32_e32 v1, v1, v2
	ds_bpermute_b32 v2, v34, v1
	s_waitcnt lgkmcnt(0)
	v_add_f32_e32 v1, v1, v2
	ds_bpermute_b32 v2, v35, v1
	s_waitcnt lgkmcnt(0)
	v_add_f32_e32 v1, v1, v2
	s_and_saveexec_b64 s[10:11], vcc
	s_cbranch_execz .LBB352_534
; %bb.533:
	ds_write_b32 v5, v1 offset:520
.LBB352_534:
	s_or_b64 exec, exec, s[10:11]
	s_waitcnt lgkmcnt(0)
	s_barrier
	s_and_saveexec_b64 s[10:11], s[6:7]
	s_cbranch_execz .LBB352_536
; %bb.535:
	ds_read_b32 v1, v6 offset:520
.LBB352_536:
	s_or_b64 exec, exec, s[10:11]
	s_waitcnt lgkmcnt(0)
	ds_bpermute_b32 v2, v35, v1
	s_waitcnt lgkmcnt(0)
	v_add_f32_e32 v1, v1, v2
	ds_bpermute_b32 v1, v7, v1
	s_and_saveexec_b64 s[6:7], s[8:9]
	s_cbranch_execz .LBB352_549
; %bb.537:
	s_waitcnt lgkmcnt(0)
	v_add_f32_e32 v1, 0x358637bd, v1
	v_div_scale_f32 v2, s[8:9], v1, v1, 1.0
	v_rcp_f32_e32 v3, v2
	v_div_scale_f32 v4, vcc, 1.0, v1, 1.0
	s_movk_i32 s8, 0x7f
	v_fma_f32 v5, -v2, v3, 1.0
	v_fmac_f32_e32 v3, v5, v3
	v_mul_f32_e32 v5, v4, v3
	v_fma_f32 v6, -v2, v5, v4
	v_fmac_f32_e32 v5, v6, v3
	v_fma_f32 v2, -v2, v5, v4
	v_div_fmas_f32 v2, v2, v3, v5
	v_div_fixup_f32 v4, v2, v1, 1.0
	v_xad_u32 v2, v15, -1, v0
	v_cmp_lt_u32_e32 vcc, s8, v2
	s_mov_b64 s[10:11], -1
	v_mov_b32_e32 v1, v15
	s_and_saveexec_b64 s[8:9], vcc
	s_cbranch_execz .LBB352_546
; %bb.538:
	v_lshrrev_b32_e32 v1, 7, v2
	v_add_u32_e32 v3, -1, v1
	v_lshrrev_b32_e32 v2, 1, v3
	v_mov_b32_e32 v5, v4
	v_add_u32_e32 v2, 1, v2
	v_cmp_lt_u32_e32 vcc, 13, v3
	v_mov_b32_e32 v7, 0
	s_and_saveexec_b64 s[10:11], vcc
	s_cbranch_execz .LBB352_542
; %bb.539:
	s_ashr_i32 s19, s18, 31
	s_lshl_b64 s[20:21], s[18:19], 2
	s_getpc_b64 s[22:23]
	s_add_u32 s22, s22, llvm.amdgcn.dynlds.offset.table@rel32@lo+4
	s_addc_u32 s23, s23, llvm.amdgcn.dynlds.offset.table@rel32@hi+12
	s_add_u32 s20, s20, s22
	s_addc_u32 s21, s21, s23
	s_load_dword s20, s[20:21], 0x0
	v_and_b32_e32 v3, -8, v2
	s_mov_b32 s19, 0
	s_waitcnt lgkmcnt(0)
	v_lshl_add_u32 v6, v15, 2, s20
	s_mov_b64 s[20:21], 0
.LBB352_540:                            ; =>This Inner Loop Header: Depth=1
	ds_read2st64_b32 v[8:9], v6 offset1:2
	ds_read2st64_b32 v[10:11], v6 offset0:4 offset1:6
	ds_read2st64_b32 v[12:13], v6 offset0:8 offset1:10
	;; [unrolled: 1-line block ×3, first 2 shown]
	v_add_u32_e32 v3, -8, v3
	s_waitcnt lgkmcnt(3)
	v_pk_mul_f32 v[8:9], v[4:5], v[8:9]
	s_waitcnt lgkmcnt(2)
	v_pk_mul_f32 v[10:11], v[4:5], v[10:11]
	ds_write2st64_b32 v6, v8, v9 offset1:2
	ds_write2st64_b32 v6, v10, v11 offset0:4 offset1:6
	ds_read2st64_b32 v[10:11], v6 offset0:16 offset1:18
	s_waitcnt lgkmcnt(4)
	v_pk_mul_f32 v[8:9], v[4:5], v[12:13]
	ds_write2st64_b32 v6, v8, v9 offset0:8 offset1:10
	s_waitcnt lgkmcnt(4)
	v_pk_mul_f32 v[8:9], v[4:5], v[14:15]
	ds_write2st64_b32 v6, v8, v9 offset0:12 offset1:14
	ds_read2st64_b32 v[8:9], v6 offset0:20 offset1:22
	s_waitcnt lgkmcnt(3)
	v_pk_mul_f32 v[10:11], v[4:5], v[10:11]
	ds_read2st64_b32 v[12:13], v6 offset0:24 offset1:26
	ds_write2st64_b32 v6, v10, v11 offset0:16 offset1:18
	ds_read2st64_b32 v[10:11], v6 offset0:28 offset1:30
	s_waitcnt lgkmcnt(3)
	v_pk_mul_f32 v[8:9], v[4:5], v[8:9]
	ds_write2st64_b32 v6, v8, v9 offset0:20 offset1:22
	s_waitcnt lgkmcnt(3)
	v_pk_mul_f32 v[8:9], v[4:5], v[12:13]
	ds_write2st64_b32 v6, v8, v9 offset0:24 offset1:26
	s_waitcnt lgkmcnt(2)
	v_pk_mul_f32 v[8:9], v[4:5], v[10:11]
	s_add_i32 s19, s19, 16
	v_cmp_eq_u32_e32 vcc, 0, v3
	ds_write2st64_b32 v6, v8, v9 offset0:28 offset1:30
	v_add_u32_e32 v6, 0x2000, v6
	s_or_b64 s[20:21], vcc, s[20:21]
	v_mov_b32_e32 v7, s19
	s_andn2_b64 exec, exec, s[20:21]
	s_cbranch_execnz .LBB352_540
; %bb.541:
	s_or_b64 exec, exec, s[20:21]
	scratch_load_dword v15, off, s32 offset:832 ; 4-byte Folded Reload
.LBB352_542:
	s_or_b64 exec, exec, s[10:11]
	v_and_b32_e32 v2, 7, v2
	v_cmp_ne_u32_e32 vcc, 0, v2
	s_and_saveexec_b64 s[10:11], vcc
	s_cbranch_execz .LBB352_545
; %bb.543:
	s_ashr_i32 s19, s18, 31
	s_lshl_b64 s[20:21], s[18:19], 2
	s_getpc_b64 s[22:23]
	s_add_u32 s22, s22, llvm.amdgcn.dynlds.offset.table@rel32@lo+4
	s_addc_u32 s23, s23, llvm.amdgcn.dynlds.offset.table@rel32@hi+12
	s_add_u32 s20, s20, s22
	s_addc_u32 s21, s21, s23
	s_load_dword s19, s[20:21], 0x0
	v_lshlrev_b32_e32 v3, 9, v7
	s_waitcnt vmcnt(0)
	v_lshlrev_b32_e32 v6, 2, v15
	s_mov_b64 s[20:21], 0
	s_waitcnt lgkmcnt(0)
	v_add3_u32 v3, v3, v6, s19
.LBB352_544:                            ; =>This Inner Loop Header: Depth=1
	ds_read2st64_b32 v[6:7], v3 offset1:2
	v_add_u32_e32 v2, -1, v2
	v_cmp_eq_u32_e32 vcc, 0, v2
	s_or_b64 s[20:21], vcc, s[20:21]
	s_waitcnt lgkmcnt(0)
	v_pk_mul_f32 v[6:7], v[4:5], v[6:7]
	ds_write2st64_b32 v3, v6, v7 offset1:2
	v_add_u32_e32 v3, 0x400, v3
	s_andn2_b64 exec, exec, s[20:21]
	s_cbranch_execnz .LBB352_544
.LBB352_545:
	s_or_b64 exec, exec, s[10:11]
	v_add_u32_e32 v2, 1, v1
	v_and_b32_e32 v3, 0x3fffffe, v2
	v_cmp_ne_u32_e32 vcc, v2, v3
	s_waitcnt vmcnt(0)
	v_lshl_add_u32 v1, v3, 7, v15
	s_orn2_b64 s[10:11], vcc, exec
.LBB352_546:
	s_or_b64 exec, exec, s[8:9]
	s_and_b64 exec, exec, s[10:11]
	s_cbranch_execz .LBB352_549
; %bb.547:
	s_ashr_i32 s19, s18, 31
	s_lshl_b64 s[8:9], s[18:19], 2
	s_getpc_b64 s[10:11]
	s_add_u32 s10, s10, llvm.amdgcn.dynlds.offset.table@rel32@lo+4
	s_addc_u32 s11, s11, llvm.amdgcn.dynlds.offset.table@rel32@hi+12
	s_add_u32 s8, s8, s10
	s_addc_u32 s9, s9, s11
	s_load_dword s8, s[8:9], 0x0
	s_waitcnt lgkmcnt(0)
	v_lshl_add_u32 v2, v1, 2, s8
	s_mov_b64 s[8:9], 0
.LBB352_548:                            ; =>This Inner Loop Header: Depth=1
	ds_read_b32 v3, v2
	v_add_u32_e32 v1, 0x80, v1
	v_cmp_ge_i32_e32 vcc, v1, v0
	s_or_b64 s[8:9], vcc, s[8:9]
	s_waitcnt lgkmcnt(0)
	v_mul_f32_e32 v3, v4, v3
	ds_write_b32 v2, v3
	v_add_u32_e32 v2, 0x200, v2
	s_andn2_b64 exec, exec, s[8:9]
	s_cbranch_execnz .LBB352_548
.LBB352_549:
	s_or_b64 exec, exec, s[6:7]
	v_mov_b32_e32 v30, 0
	v_and_b32_e32 v32, 3, v15
	v_mov_b32_e32 v31, 0
	v_mov_b32_e32 v28, 0
	;; [unrolled: 1-line block ×15, first 2 shown]
	s_waitcnt lgkmcnt(0)
	s_barrier
	s_and_saveexec_b64 s[6:7], s[4:5]
	s_cbranch_execz .LBB352_1641
; %bb.550:
	scratch_store_dword off, v35, s32 offset:460 ; 4-byte Folded Spill
	scratch_store_dword off, v34, s32 offset:456 ; 4-byte Folded Spill
	;; [unrolled: 1-line block ×3, first 2 shown]
	v_lshl_add_u64 v[0:1], v[38:39], 0, v[52:53]
	scratch_store_dwordx2 off, v[0:1], s32 offset:384 ; 8-byte Folded Spill
	scratch_load_dword v0, off, s32 offset:192 ; 4-byte Folded Reload
	v_mov_b32_e32 v3, v32
	v_and_b32_e32 v32, 0x1f8, v48
	v_mov_b32_e32 v33, 0
	v_mov_b32_e32 v1, v33
	flat_load_dword v19, v[22:23]
	s_ashr_i32 s19, s18, 31
	s_lshl_b64 s[4:5], s[18:19], 2
	s_getpc_b64 s[8:9]
	s_add_u32 s8, s8, llvm.amdgcn.dynlds.offset.table@rel32@lo+4
	s_addc_u32 s9, s9, llvm.amdgcn.dynlds.offset.table@rel32@hi+12
	s_add_u32 s4, s4, s8
	s_addc_u32 s5, s5, s9
	s_load_dword s4, s[4:5], 0x0
	v_and_b32_e32 v2, 24, v48
	s_mov_b64 s[8:9], 0
	s_mov_b32 s19, 0x7f800000
	s_movk_i32 s20, 0x7fff
	v_mov_b32_e32 v13, v33
	v_mov_b32_e32 v12, v33
	;; [unrolled: 1-line block ×16, first 2 shown]
	scratch_store_dword off, v3, s32 offset:468 ; 4-byte Folded Spill
	s_waitcnt vmcnt(0)
	v_add_u32_e32 v0, -1, v0
	scratch_store_dword off, v0, s32 offset:380 ; 4-byte Folded Spill
	v_or_b32_e32 v0, 0x1000, v32
	scratch_store_dwordx2 off, v[0:1], s32 offset:392 ; 8-byte Folded Spill
	v_or_b32_e32 v0, 0x1200, v32
	scratch_store_dwordx2 off, v[0:1], s32 offset:400 ; 8-byte Folded Spill
	;; [unrolled: 2-line block ×8, first 2 shown]
	v_and_b32_e32 v0, 60, v49
	v_lshl_add_u64 v[0:1], v[50:51], 2, v[0:1]
	v_lshl_add_u64 v[4:5], v[36:37], 0, v[0:1]
	scratch_load_dword v1, off, s32 offset:188 ; 4-byte Folded Reload
	s_waitcnt vmcnt(0)
	v_lshlrev_b32_e32 v0, 5, v1
	v_or3_b32 v59, v0, v2, 7
	v_lshlrev_b32_e32 v0, 5, v3
	v_lshl_or_b32 v0, v1, 7, v0
	s_waitcnt lgkmcnt(0)
	v_add_u32_e32 v0, s4, v0
	s_branch .LBB352_552
.LBB352_551:                            ;   in Loop: Header=BB352_552 Depth=1
	s_or_b64 exec, exec, s[4:5]
	v_and_b32_e32 v5, 0xffff0000, v5
	v_and_b32_e32 v4, 0xffff0000, v4
	v_add_f32_e32 v4, v4, v5
	v_and_b32_e32 v5, 0xffff0000, v6
	v_and_b32_e32 v6, 0xffff0000, v55
	v_add_f32_e32 v5, v6, v5
	v_add_f32_e32 v4, v4, v5
	v_and_b32_e32 v5, 0xffff0000, v10
	v_and_b32_e32 v6, 0xffff0000, v7
	v_add_f32_e32 v5, v6, v5
	v_add_f32_e32 v4, v4, v5
	v_and_b32_e32 v5, 0xffff0000, v11
	v_and_b32_e32 v6, 0xffff0000, v40
	v_add_f32_e32 v5, v5, v6
	v_add_f32_e32 v4, v4, v5
	v_add_f32_e32 v12, v12, v4
	v_and_b32_e32 v1, 0xffff0000, v1
	v_and_b32_e32 v4, 0xffff0000, v47
	v_add_f32_e32 v1, v4, v1
	v_and_b32_e32 v4, 0xffff0000, v45
	v_and_b32_e32 v0, 0xffff0000, v0
	v_add_f32_e32 v0, v0, v4
	v_add_f32_e32 v0, v1, v0
	v_and_b32_e32 v1, 0xffff0000, v52
	v_and_b32_e32 v4, 0xffff0000, v51
	v_add_f32_e32 v1, v4, v1
	v_add_f32_e32 v0, v0, v1
	v_and_b32_e32 v1, 0xffff0000, v53
	v_and_b32_e32 v4, 0xffff0000, v54
	v_add_f32_e32 v1, v1, v4
	v_add_f32_e32 v0, v0, v1
	v_add_f32_e32 v15, v15, v0
	;; [unrolled: 16-line block ×3, first 2 shown]
	v_accvgpr_read_b32 v0, a3
	v_accvgpr_read_b32 v1, a12
	v_and_b32_e32 v0, 0xffff0000, v0
	v_and_b32_e32 v1, 0xffff0000, v1
	v_add_f32_e32 v0, v1, v0
	v_accvgpr_read_b32 v1, a11
	v_accvgpr_read_b32 v4, a10
	v_and_b32_e32 v1, 0xffff0000, v1
	v_and_b32_e32 v4, 0xffff0000, v4
	v_add_f32_e32 v1, v4, v1
	v_add_f32_e32 v0, v0, v1
	v_accvgpr_read_b32 v1, a15
	v_accvgpr_read_b32 v4, a14
	v_and_b32_e32 v1, 0xffff0000, v1
	v_and_b32_e32 v4, 0xffff0000, v4
	v_add_f32_e32 v1, v4, v1
	v_add_f32_e32 v0, v0, v1
	v_accvgpr_read_b32 v1, a16
	v_accvgpr_read_b32 v4, a17
	v_and_b32_e32 v1, 0xffff0000, v1
	v_and_b32_e32 v4, 0xffff0000, v4
	v_add_f32_e32 v1, v1, v4
	v_add_f32_e32 v0, v0, v1
	v_add_f32_e32 v17, v17, v0
	v_accvgpr_read_b32 v0, a8
	v_accvgpr_read_b32 v1, a63
	v_and_b32_e32 v0, 0xffff0000, v0
	v_and_b32_e32 v1, 0xffff0000, v1
	v_add_f32_e32 v0, v1, v0
	v_accvgpr_read_b32 v1, a7
	v_accvgpr_read_b32 v4, a9
	v_and_b32_e32 v1, 0xffff0000, v1
	v_and_b32_e32 v4, 0xffff0000, v4
	v_add_f32_e32 v1, v4, v1
	v_add_f32_e32 v0, v0, v1
	v_accvgpr_read_b32 v1, a0
	v_accvgpr_read_b32 v4, a6
	v_and_b32_e32 v1, 0xffff0000, v1
	v_and_b32_e32 v4, 0xffff0000, v4
	v_add_f32_e32 v1, v4, v1
	v_add_f32_e32 v0, v0, v1
	v_accvgpr_read_b32 v1, a1
	v_accvgpr_read_b32 v4, a2
	v_and_b32_e32 v1, 0xffff0000, v1
	v_and_b32_e32 v4, 0xffff0000, v4
	v_add_f32_e32 v1, v1, v4
	v_add_f32_e32 v0, v0, v1
	v_add_f32_e32 v16, v16, v0
	;; [unrolled: 24-line block ×7, first 2 shown]
	scratch_load_dword v0, off, s32 offset:352 ; 4-byte Folded Reload
	scratch_load_dword v4, off, s32 offset:356 ; 4-byte Folded Reload
	;; [unrolled: 1-line block ×3, first 2 shown]
	v_and_b32_e32 v2, 0xffff0000, v2
	v_add_u32_e32 v59, 64, v59
	scratch_load_dword v5, off, s32 offset:332 ; 4-byte Folded Reload
	scratch_load_dword v7, off, s32 offset:344 ; 4-byte Folded Reload
	scratch_load_dword v6, off, s32 offset:340 ; 4-byte Folded Reload
	scratch_load_dword v8, off, s32 offset:308 ; 4-byte Folded Reload
	scratch_load_dword v9, off, s32 offset:312 ; 4-byte Folded Reload
	s_waitcnt vmcnt(7)
	v_and_b32_e32 v0, 0xffff0000, v0
	s_waitcnt vmcnt(6)
	v_and_b32_e32 v4, 0xffff0000, v4
	;; [unrolled: 2-line block ×3, first 2 shown]
	v_add_f32_e32 v0, v1, v0
	scratch_load_dword v1, off, s32 offset:360 ; 4-byte Folded Reload
	s_waitcnt vmcnt(5)
	v_and_b32_e32 v5, 0xffff0000, v5
	s_waitcnt vmcnt(4)
	v_and_b32_e32 v7, 0xffff0000, v7
	;; [unrolled: 2-line block ×6, first 2 shown]
	v_add_f32_e32 v1, v4, v1
	v_add_f32_e32 v0, v0, v1
	scratch_load_dword v1, off, s32 offset:368 ; 4-byte Folded Reload
	scratch_load_dword v4, off, s32 offset:364 ; 4-byte Folded Reload
	s_waitcnt vmcnt(1)
	v_and_b32_e32 v1, 0xffff0000, v1
	s_waitcnt vmcnt(0)
	v_and_b32_e32 v4, 0xffff0000, v4
	v_add_f32_e32 v1, v4, v1
	v_add_f32_e32 v0, v0, v1
	scratch_load_dword v1, off, s32 offset:372 ; 4-byte Folded Reload
	scratch_load_dword v4, off, s32 offset:376 ; 4-byte Folded Reload
	s_waitcnt vmcnt(1)
	v_and_b32_e32 v1, 0xffff0000, v1
	s_waitcnt vmcnt(0)
	v_and_b32_e32 v4, 0xffff0000, v4
	v_add_f32_e32 v1, v1, v4
	v_add_f32_e32 v0, v0, v1
	;; [unrolled: 1-line block ×3, first 2 shown]
	scratch_load_dword v0, off, s32 offset:320 ; 4-byte Folded Reload
	scratch_load_dword v4, off, s32 offset:324 ; 4-byte Folded Reload
	;; [unrolled: 1-line block ×3, first 2 shown]
	s_waitcnt vmcnt(2)
	v_and_b32_e32 v0, 0xffff0000, v0
	s_waitcnt vmcnt(1)
	v_and_b32_e32 v4, 0xffff0000, v4
	;; [unrolled: 2-line block ×3, first 2 shown]
	v_add_f32_e32 v0, v1, v0
	scratch_load_dword v1, off, s32 offset:328 ; 4-byte Folded Reload
	s_waitcnt vmcnt(0)
	v_and_b32_e32 v1, 0xffff0000, v1
	v_add_f32_e32 v1, v4, v1
	scratch_load_dword v4, off, s32 offset:336 ; 4-byte Folded Reload
	v_add_f32_e32 v0, v0, v1
	s_waitcnt vmcnt(0)
	v_and_b32_e32 v4, 0xffff0000, v4
	v_add_f32_e32 v1, v5, v4
	v_add_f32_e32 v0, v0, v1
	;; [unrolled: 1-line block ×5, first 2 shown]
	scratch_load_dword v0, off, s32 offset:304 ; 4-byte Folded Reload
	scratch_load_dword v1, off, s32 offset:300 ; 4-byte Folded Reload
	;; [unrolled: 1-line block ×6, first 2 shown]
	s_waitcnt vmcnt(5)
	v_and_b32_e32 v0, 0xffff0000, v0
	s_waitcnt vmcnt(4)
	v_and_b32_e32 v1, 0xffff0000, v1
	;; [unrolled: 2-line block ×6, first 2 shown]
	v_add_f32_e32 v6, v7, v6
	v_add_f32_e32 v4, v5, v4
	;; [unrolled: 1-line block ×8, first 2 shown]
	scratch_load_dword v0, off, s32 offset:272 ; 4-byte Folded Reload
	scratch_load_dword v8, off, s32 offset:276 ; 4-byte Folded Reload
	;; [unrolled: 1-line block ×8, first 2 shown]
	s_waitcnt vmcnt(7)
	v_and_b32_e32 v0, 0xffff0000, v0
	s_waitcnt vmcnt(6)
	v_and_b32_e32 v8, 0xffff0000, v8
	s_waitcnt vmcnt(5)
	v_and_b32_e32 v9, 0xffff0000, v9
	s_waitcnt vmcnt(4)
	v_and_b32_e32 v1, 0xffff0000, v1
	s_waitcnt vmcnt(3)
	v_and_b32_e32 v4, 0xffff0000, v4
	s_waitcnt vmcnt(2)
	v_and_b32_e32 v5, 0xffff0000, v5
	s_waitcnt vmcnt(1)
	v_and_b32_e32 v6, 0xffff0000, v6
	s_waitcnt vmcnt(0)
	v_and_b32_e32 v7, 0xffff0000, v7
	v_add_f32_e32 v6, v7, v6
	v_add_f32_e32 v4, v5, v4
	;; [unrolled: 1-line block ×8, first 2 shown]
	scratch_load_dword v0, off, s32 offset:236 ; 4-byte Folded Reload
	scratch_load_dword v8, off, s32 offset:240 ; 4-byte Folded Reload
	;; [unrolled: 1-line block ×8, first 2 shown]
	s_waitcnt vmcnt(7)
	v_and_b32_e32 v0, 0xffff0000, v0
	s_waitcnt vmcnt(6)
	v_and_b32_e32 v8, 0xffff0000, v8
	;; [unrolled: 2-line block ×8, first 2 shown]
	v_add_f32_e32 v6, v7, v6
	v_add_f32_e32 v4, v5, v4
	;; [unrolled: 1-line block ×7, first 2 shown]
	v_and_b32_e32 v7, 0xffff0000, v35
	v_and_b32_e32 v6, 0xffff0000, v3
	;; [unrolled: 1-line block ×3, first 2 shown]
	v_add_f32_e32 v30, v30, v0
	v_and_b32_e32 v1, 0xffff0000, v39
	v_and_b32_e32 v0, 0xffff0000, v37
	;; [unrolled: 1-line block ×4, first 2 shown]
	v_pk_add_f32 v[2:3], v[2:3], v[6:7]
	v_pk_add_f32 v[0:1], v[4:5], v[0:1]
	v_add_f32_e32 v2, v2, v3
	v_add_f32_e32 v0, v2, v0
	;; [unrolled: 1-line block ×3, first 2 shown]
	scratch_load_dword v1, off, s32 offset:188 ; 4-byte Folded Reload
	v_add_f32_e32 v13, v13, v0
	scratch_load_dword v0, off, s32 offset:192 ; 4-byte Folded Reload
	scratch_load_dwordx2 v[4:5], off, s32 offset:204 ; 8-byte Folded Reload
	s_waitcnt vmcnt(2)
	v_add_u32_e32 v1, 2, v1
	scratch_store_dword off, v1, s32 offset:188 ; 4-byte Folded Spill
	s_waitcnt vmcnt(2)
	v_cmp_ge_i32_e32 vcc, v1, v0
	scratch_load_dword v0, off, s32 offset:212 ; 4-byte Folded Reload
	s_waitcnt vmcnt(2)
	v_lshl_add_u64 v[4:5], v[4:5], 0, 8
	s_or_b64 s[8:9], vcc, s[8:9]
	s_waitcnt vmcnt(0)
	v_add_u32_e32 v0, 0x100, v0
	s_andn2_b64 exec, exec, s[8:9]
	s_cbranch_execz .LBB352_1640
.LBB352_552:                            ; =>This Inner Loop Header: Depth=1
	flat_load_dword v23, v[4:5]
	ds_read2_b64 v[6:9], v0 offset1:1
	scratch_store_dwordx2 off, v[4:5], s32 offset:204 ; 8-byte Folded Spill
	ds_read2_b64 v[2:5], v0 offset0:2 offset1:3
	scratch_store_dword off, v0, s32 offset:212 ; 4-byte Folded Spill
                                        ; implicit-def: $vgpr22
	s_waitcnt lgkmcnt(0)
	v_and_b32_e32 v0, 0x7f800000, v6
	v_cmp_ne_u32_e32 vcc, s19, v0
	s_and_saveexec_b64 s[4:5], vcc
	s_xor_b64 s[4:5], exec, s[4:5]
; %bb.553:                              ;   in Loop: Header=BB352_552 Depth=1
	v_bfe_u32 v0, v6, 16, 1
	v_add3_u32 v22, v6, v0, s20
; %bb.554:                              ;   in Loop: Header=BB352_552 Depth=1
	s_andn2_saveexec_b64 s[4:5], s[4:5]
; %bb.555:                              ;   in Loop: Header=BB352_552 Depth=1
	v_or_b32_e32 v0, 0x10000, v6
	v_cmp_eq_u32_sdwa vcc, v6, v33 src0_sel:WORD_0 src1_sel:DWORD
	s_nop 1
	v_cndmask_b32_e32 v22, v0, v6, vcc
; %bb.556:                              ;   in Loop: Header=BB352_552 Depth=1
	s_or_b64 exec, exec, s[4:5]
	v_and_b32_e32 v0, 0x7f800000, v7
	v_cmp_ne_u32_e32 vcc, s19, v0
                                        ; implicit-def: $vgpr18
	s_and_saveexec_b64 s[4:5], vcc
	s_xor_b64 s[4:5], exec, s[4:5]
; %bb.557:                              ;   in Loop: Header=BB352_552 Depth=1
	v_bfe_u32 v0, v7, 16, 1
	v_add3_u32 v18, v7, v0, s20
; %bb.558:                              ;   in Loop: Header=BB352_552 Depth=1
	s_andn2_saveexec_b64 s[4:5], s[4:5]
; %bb.559:                              ;   in Loop: Header=BB352_552 Depth=1
	v_or_b32_e32 v0, 0x10000, v7
	v_cmp_eq_u32_sdwa vcc, v7, v33 src0_sel:WORD_0 src1_sel:DWORD
	s_nop 1
	v_cndmask_b32_e32 v18, v0, v7, vcc
; %bb.560:                              ;   in Loop: Header=BB352_552 Depth=1
	s_or_b64 exec, exec, s[4:5]
	v_and_b32_e32 v0, 0x7f800000, v8
	v_cmp_ne_u32_e32 vcc, s19, v0
                                        ; implicit-def: $vgpr11
	s_and_saveexec_b64 s[4:5], vcc
	s_xor_b64 s[4:5], exec, s[4:5]
; %bb.561:                              ;   in Loop: Header=BB352_552 Depth=1
	v_bfe_u32 v0, v8, 16, 1
	v_add3_u32 v11, v8, v0, s20
; %bb.562:                              ;   in Loop: Header=BB352_552 Depth=1
	s_andn2_saveexec_b64 s[4:5], s[4:5]
; %bb.563:                              ;   in Loop: Header=BB352_552 Depth=1
	v_or_b32_e32 v0, 0x10000, v8
	v_cmp_eq_u32_sdwa vcc, v8, v33 src0_sel:WORD_0 src1_sel:DWORD
	s_nop 1
	v_cndmask_b32_e32 v11, v0, v8, vcc
; %bb.564:                              ;   in Loop: Header=BB352_552 Depth=1
	s_or_b64 exec, exec, s[4:5]
	v_and_b32_e32 v0, 0x7f800000, v9
	v_cmp_ne_u32_e32 vcc, s19, v0
                                        ; implicit-def: $vgpr10
	s_and_saveexec_b64 s[4:5], vcc
	s_xor_b64 s[4:5], exec, s[4:5]
; %bb.565:                              ;   in Loop: Header=BB352_552 Depth=1
	v_bfe_u32 v0, v9, 16, 1
	v_add3_u32 v10, v9, v0, s20
                                        ; implicit-def: $vgpr6_vgpr7_vgpr8_vgpr9
; %bb.566:                              ;   in Loop: Header=BB352_552 Depth=1
	s_andn2_saveexec_b64 s[4:5], s[4:5]
; %bb.567:                              ;   in Loop: Header=BB352_552 Depth=1
	v_or_b32_e32 v0, 0x10000, v9
	v_cmp_eq_u32_sdwa vcc, v9, v33 src0_sel:WORD_0 src1_sel:DWORD
	s_nop 1
	v_cndmask_b32_e32 v10, v0, v9, vcc
; %bb.568:                              ;   in Loop: Header=BB352_552 Depth=1
	s_or_b64 exec, exec, s[4:5]
	v_and_b32_e32 v0, 0x7f800000, v2
	v_cmp_ne_u32_e32 vcc, s19, v0
                                        ; implicit-def: $vgpr9
	s_and_saveexec_b64 s[4:5], vcc
	s_xor_b64 s[4:5], exec, s[4:5]
; %bb.569:                              ;   in Loop: Header=BB352_552 Depth=1
	v_bfe_u32 v0, v2, 16, 1
	v_add3_u32 v9, v2, v0, s20
; %bb.570:                              ;   in Loop: Header=BB352_552 Depth=1
	s_andn2_saveexec_b64 s[4:5], s[4:5]
; %bb.571:                              ;   in Loop: Header=BB352_552 Depth=1
	v_or_b32_e32 v0, 0x10000, v2
	v_cmp_eq_u32_sdwa vcc, v2, v33 src0_sel:WORD_0 src1_sel:DWORD
	s_nop 1
	v_cndmask_b32_e32 v9, v0, v2, vcc
; %bb.572:                              ;   in Loop: Header=BB352_552 Depth=1
	s_or_b64 exec, exec, s[4:5]
	v_and_b32_e32 v0, 0x7f800000, v3
	v_cmp_ne_u32_e32 vcc, s19, v0
                                        ; implicit-def: $vgpr8
	s_and_saveexec_b64 s[4:5], vcc
	s_xor_b64 s[4:5], exec, s[4:5]
; %bb.573:                              ;   in Loop: Header=BB352_552 Depth=1
	v_bfe_u32 v0, v3, 16, 1
	v_add3_u32 v8, v3, v0, s20
; %bb.574:                              ;   in Loop: Header=BB352_552 Depth=1
	s_andn2_saveexec_b64 s[4:5], s[4:5]
; %bb.575:                              ;   in Loop: Header=BB352_552 Depth=1
	v_or_b32_e32 v0, 0x10000, v3
	v_cmp_eq_u32_sdwa vcc, v3, v33 src0_sel:WORD_0 src1_sel:DWORD
	s_nop 1
	v_cndmask_b32_e32 v8, v0, v3, vcc
; %bb.576:                              ;   in Loop: Header=BB352_552 Depth=1
	s_or_b64 exec, exec, s[4:5]
	v_and_b32_e32 v0, 0x7f800000, v4
	v_cmp_ne_u32_e32 vcc, s19, v0
                                        ; implicit-def: $vgpr1
	s_and_saveexec_b64 s[4:5], vcc
	s_xor_b64 s[4:5], exec, s[4:5]
; %bb.577:                              ;   in Loop: Header=BB352_552 Depth=1
	v_bfe_u32 v0, v4, 16, 1
	v_add3_u32 v1, v4, v0, s20
; %bb.578:                              ;   in Loop: Header=BB352_552 Depth=1
	s_andn2_saveexec_b64 s[4:5], s[4:5]
; %bb.579:                              ;   in Loop: Header=BB352_552 Depth=1
	v_or_b32_e32 v0, 0x10000, v4
	v_cmp_eq_u32_sdwa vcc, v4, v33 src0_sel:WORD_0 src1_sel:DWORD
	s_nop 1
	v_cndmask_b32_e32 v1, v0, v4, vcc
; %bb.580:                              ;   in Loop: Header=BB352_552 Depth=1
	s_or_b64 exec, exec, s[4:5]
	v_and_b32_e32 v0, 0x7f800000, v5
	v_cmp_ne_u32_e32 vcc, s19, v0
                                        ; implicit-def: $vgpr0
	s_and_saveexec_b64 s[4:5], vcc
	s_xor_b64 s[4:5], exec, s[4:5]
; %bb.581:                              ;   in Loop: Header=BB352_552 Depth=1
	v_bfe_u32 v0, v5, 16, 1
	v_add3_u32 v0, v5, v0, s20
                                        ; implicit-def: $vgpr2_vgpr3_vgpr4_vgpr5
; %bb.582:                              ;   in Loop: Header=BB352_552 Depth=1
	s_andn2_saveexec_b64 s[4:5], s[4:5]
; %bb.583:                              ;   in Loop: Header=BB352_552 Depth=1
	v_or_b32_e32 v0, 0x10000, v5
	v_cmp_eq_u32_sdwa vcc, v5, v33 src0_sel:WORD_0 src1_sel:DWORD
	s_nop 1
	v_cndmask_b32_e32 v0, v0, v5, vcc
; %bb.584:                              ;   in Loop: Header=BB352_552 Depth=1
	s_or_b64 exec, exec, s[4:5]
	scratch_load_dwordx2 v[4:5], off, s32 offset:384 ; 8-byte Folded Reload
	scratch_load_dwordx2 v[2:3], off, s32 offset:196 ; 8-byte Folded Reload
	s_waitcnt vmcnt(0)
	v_mad_i64_i32 v[2:3], s[4:5], v23, v2, v[4:5]
	v_lshl_add_u64 v[4:5], v[2:3], 0, v[32:33]
	flat_load_dwordx2 v[6:7], v[4:5]
	s_waitcnt vmcnt(0) lgkmcnt(0)
	v_and_b32_e32 v23, 0xff, v6
	v_cvt_f32_fp8_sdwa v23, v23 src0_sel:BYTE_0
	s_nop 0
	v_mul_f32_e32 v34, v19, v23
	v_and_b32_e32 v23, 0x7f800000, v34
	v_cmp_ne_u32_e32 vcc, s19, v23
                                        ; implicit-def: $vgpr23
	s_and_saveexec_b64 s[4:5], vcc
	s_xor_b64 s[4:5], exec, s[4:5]
; %bb.585:                              ;   in Loop: Header=BB352_552 Depth=1
	v_bfe_u32 v23, v34, 16, 1
	v_add3_u32 v23, v34, v23, s20
                                        ; implicit-def: $vgpr34
; %bb.586:                              ;   in Loop: Header=BB352_552 Depth=1
	s_andn2_saveexec_b64 s[4:5], s[4:5]
; %bb.587:                              ;   in Loop: Header=BB352_552 Depth=1
	v_or_b32_e32 v23, 0x10000, v34
	v_cmp_eq_u32_sdwa vcc, v34, v33 src0_sel:WORD_0 src1_sel:DWORD
	s_nop 1
	v_cndmask_b32_e32 v23, v23, v34, vcc
; %bb.588:                              ;   in Loop: Header=BB352_552 Depth=1
	s_or_b64 exec, exec, s[4:5]
	v_bfe_u32 v34, v6, 8, 8
	v_cvt_f32_fp8_sdwa v34, v34 src0_sel:BYTE_0
	s_nop 0
	v_mul_f32_e32 v35, v19, v34
	v_and_b32_e32 v34, 0x7f800000, v35
	v_cmp_ne_u32_e32 vcc, s19, v34
                                        ; implicit-def: $vgpr34
	s_and_saveexec_b64 s[4:5], vcc
	s_xor_b64 s[4:5], exec, s[4:5]
; %bb.589:                              ;   in Loop: Header=BB352_552 Depth=1
	v_bfe_u32 v34, v35, 16, 1
	v_add3_u32 v34, v35, v34, s20
                                        ; implicit-def: $vgpr35
; %bb.590:                              ;   in Loop: Header=BB352_552 Depth=1
	s_andn2_saveexec_b64 s[4:5], s[4:5]
; %bb.591:                              ;   in Loop: Header=BB352_552 Depth=1
	v_or_b32_e32 v34, 0x10000, v35
	v_cmp_eq_u32_sdwa vcc, v35, v33 src0_sel:WORD_0 src1_sel:DWORD
	s_nop 1
	v_cndmask_b32_e32 v34, v34, v35, vcc
; %bb.592:                              ;   in Loop: Header=BB352_552 Depth=1
	s_or_b64 exec, exec, s[4:5]
	v_bfe_u32 v35, v6, 16, 8
	v_cvt_f32_fp8_sdwa v35, v35 src0_sel:BYTE_0
	s_nop 0
	v_mul_f32_e32 v36, v19, v35
	v_and_b32_e32 v35, 0x7f800000, v36
	v_cmp_ne_u32_e32 vcc, s19, v35
                                        ; implicit-def: $vgpr35
	s_and_saveexec_b64 s[4:5], vcc
	s_xor_b64 s[4:5], exec, s[4:5]
; %bb.593:                              ;   in Loop: Header=BB352_552 Depth=1
	v_bfe_u32 v35, v36, 16, 1
	v_add3_u32 v35, v36, v35, s20
                                        ; implicit-def: $vgpr36
; %bb.594:                              ;   in Loop: Header=BB352_552 Depth=1
	s_andn2_saveexec_b64 s[4:5], s[4:5]
; %bb.595:                              ;   in Loop: Header=BB352_552 Depth=1
	v_or_b32_e32 v35, 0x10000, v36
	v_cmp_eq_u32_sdwa vcc, v36, v33 src0_sel:WORD_0 src1_sel:DWORD
	s_nop 1
	v_cndmask_b32_e32 v35, v35, v36, vcc
; %bb.596:                              ;   in Loop: Header=BB352_552 Depth=1
	s_or_b64 exec, exec, s[4:5]
	v_lshrrev_b32_e32 v6, 24, v6
	v_cvt_f32_fp8_sdwa v6, v6 src0_sel:BYTE_0
	s_nop 0
	v_mul_f32_e32 v36, v19, v6
	v_and_b32_e32 v6, 0x7f800000, v36
	v_cmp_ne_u32_e32 vcc, s19, v6
                                        ; implicit-def: $vgpr6
	s_and_saveexec_b64 s[4:5], vcc
	s_xor_b64 s[4:5], exec, s[4:5]
; %bb.597:                              ;   in Loop: Header=BB352_552 Depth=1
	v_bfe_u32 v6, v36, 16, 1
	v_add3_u32 v6, v36, v6, s20
                                        ; implicit-def: $vgpr36
; %bb.598:                              ;   in Loop: Header=BB352_552 Depth=1
	s_andn2_saveexec_b64 s[4:5], s[4:5]
; %bb.599:                              ;   in Loop: Header=BB352_552 Depth=1
	v_or_b32_e32 v6, 0x10000, v36
	v_cmp_eq_u32_sdwa vcc, v36, v33 src0_sel:WORD_0 src1_sel:DWORD
	s_nop 1
	v_cndmask_b32_e32 v6, v6, v36, vcc
; %bb.600:                              ;   in Loop: Header=BB352_552 Depth=1
	s_or_b64 exec, exec, s[4:5]
	v_and_b32_e32 v36, 0xff, v7
	v_cvt_f32_fp8_sdwa v36, v36 src0_sel:BYTE_0
	s_nop 0
	v_mul_f32_e32 v37, v19, v36
	v_and_b32_e32 v36, 0x7f800000, v37
	v_cmp_ne_u32_e32 vcc, s19, v36
                                        ; implicit-def: $vgpr36
	s_and_saveexec_b64 s[4:5], vcc
	s_xor_b64 s[4:5], exec, s[4:5]
; %bb.601:                              ;   in Loop: Header=BB352_552 Depth=1
	v_bfe_u32 v36, v37, 16, 1
	v_add3_u32 v36, v37, v36, s20
                                        ; implicit-def: $vgpr37
; %bb.602:                              ;   in Loop: Header=BB352_552 Depth=1
	s_andn2_saveexec_b64 s[4:5], s[4:5]
; %bb.603:                              ;   in Loop: Header=BB352_552 Depth=1
	v_or_b32_e32 v36, 0x10000, v37
	v_cmp_eq_u32_sdwa vcc, v37, v33 src0_sel:WORD_0 src1_sel:DWORD
	s_nop 1
	v_cndmask_b32_e32 v36, v36, v37, vcc
; %bb.604:                              ;   in Loop: Header=BB352_552 Depth=1
	s_or_b64 exec, exec, s[4:5]
	v_bfe_u32 v37, v7, 8, 8
	v_cvt_f32_fp8_sdwa v37, v37 src0_sel:BYTE_0
	s_nop 0
	v_mul_f32_e32 v38, v19, v37
	v_and_b32_e32 v37, 0x7f800000, v38
	v_cmp_ne_u32_e32 vcc, s19, v37
                                        ; implicit-def: $vgpr37
	s_and_saveexec_b64 s[4:5], vcc
	s_xor_b64 s[4:5], exec, s[4:5]
; %bb.605:                              ;   in Loop: Header=BB352_552 Depth=1
	v_bfe_u32 v37, v38, 16, 1
	v_add3_u32 v37, v38, v37, s20
                                        ; implicit-def: $vgpr38
; %bb.606:                              ;   in Loop: Header=BB352_552 Depth=1
	s_andn2_saveexec_b64 s[4:5], s[4:5]
; %bb.607:                              ;   in Loop: Header=BB352_552 Depth=1
	v_or_b32_e32 v37, 0x10000, v38
	v_cmp_eq_u32_sdwa vcc, v38, v33 src0_sel:WORD_0 src1_sel:DWORD
	s_nop 1
	v_cndmask_b32_e32 v37, v37, v38, vcc
; %bb.608:                              ;   in Loop: Header=BB352_552 Depth=1
	s_or_b64 exec, exec, s[4:5]
	v_bfe_u32 v38, v7, 16, 8
	v_cvt_f32_fp8_sdwa v38, v38 src0_sel:BYTE_0
                                        ; implicit-def: $vgpr49
	s_nop 0
	v_mul_f32_e32 v38, v19, v38
	v_and_b32_e32 v39, 0x7f800000, v38
	v_cmp_ne_u32_e32 vcc, s19, v39
	s_and_saveexec_b64 s[4:5], vcc
	s_xor_b64 s[4:5], exec, s[4:5]
; %bb.609:                              ;   in Loop: Header=BB352_552 Depth=1
	v_bfe_u32 v39, v38, 16, 1
	v_add3_u32 v49, v38, v39, s20
                                        ; implicit-def: $vgpr38
; %bb.610:                              ;   in Loop: Header=BB352_552 Depth=1
	s_andn2_saveexec_b64 s[4:5], s[4:5]
; %bb.611:                              ;   in Loop: Header=BB352_552 Depth=1
	v_or_b32_e32 v39, 0x10000, v38
	v_cmp_eq_u32_sdwa vcc, v38, v33 src0_sel:WORD_0 src1_sel:DWORD
	s_nop 1
	v_cndmask_b32_e32 v49, v39, v38, vcc
; %bb.612:                              ;   in Loop: Header=BB352_552 Depth=1
	s_or_b64 exec, exec, s[4:5]
	v_lshrrev_b32_e32 v7, 24, v7
	v_cvt_f32_fp8_sdwa v7, v7 src0_sel:BYTE_0
                                        ; implicit-def: $vgpr50
	s_nop 0
	v_mul_f32_e32 v7, v19, v7
	v_and_b32_e32 v38, 0x7f800000, v7
	v_cmp_ne_u32_e32 vcc, s19, v38
	s_and_saveexec_b64 s[4:5], vcc
	s_xor_b64 s[4:5], exec, s[4:5]
; %bb.613:                              ;   in Loop: Header=BB352_552 Depth=1
	v_bfe_u32 v38, v7, 16, 1
	v_add3_u32 v50, v7, v38, s20
                                        ; implicit-def: $vgpr7
; %bb.614:                              ;   in Loop: Header=BB352_552 Depth=1
	s_andn2_saveexec_b64 s[4:5], s[4:5]
; %bb.615:                              ;   in Loop: Header=BB352_552 Depth=1
	v_or_b32_e32 v38, 0x10000, v7
	v_cmp_eq_u32_sdwa vcc, v7, v33 src0_sel:WORD_0 src1_sel:DWORD
	s_nop 1
	v_cndmask_b32_e32 v50, v38, v7, vcc
; %bb.616:                              ;   in Loop: Header=BB352_552 Depth=1
	s_or_b64 exec, exec, s[4:5]
	scratch_load_dword v38, off, s32 offset:380 ; 4-byte Folded Reload
	scratch_load_dword v7, off, s32 offset:188 ; 4-byte Folded Reload
	v_lshrrev_b32_e32 v39, 16, v36
	v_lshrrev_b32_e32 v36, 16, v34
	v_add_u32_e32 v34, -6, v59
	v_accvgpr_write_b32 a46, v34
	v_add_u32_e32 v34, -5, v59
	v_accvgpr_write_b32 a45, v34
	v_add_u32_e32 v34, -4, v59
	v_accvgpr_write_b32 a44, v34
	v_add_u32_e32 v34, -3, v59
	v_accvgpr_write_b32 a43, v34
	v_add_u32_e32 v34, -2, v59
	v_accvgpr_write_b32 a42, v34
	v_add_u32_e32 v34, -1, v59
	v_lshrrev_b32_e32 v48, 16, v37
	v_lshrrev_b32_e32 v37, 16, v35
	v_lshrrev_b32_e32 v23, 16, v23
	v_accvgpr_write_b32 a41, v34
	s_waitcnt vmcnt(0)
	v_cmp_eq_u32_e32 vcc, v38, v7
	v_add_u32_e32 v7, -7, v59
	v_accvgpr_write_b32 a40, v7
	v_lshrrev_b32_e32 v38, 16, v6
	v_lshrrev_b32_e32 v7, 16, v49
	v_lshrrev_b32_e32 v6, 16, v50
	s_and_saveexec_b64 s[10:11], vcc
	s_cbranch_execz .LBB352_618
; %bb.617:                              ;   in Loop: Header=BB352_552 Depth=1
	v_accvgpr_read_b32 v34, a40
	v_cmp_lt_i32_e64 s[4:5], v34, v43
	v_accvgpr_read_b32 v34, a46
	s_nop 0
	v_cndmask_b32_e64 v23, 0, v23, s[4:5]
	v_cmp_lt_i32_e64 s[4:5], v34, v43
	v_accvgpr_read_b32 v34, a45
	s_nop 0
	v_cndmask_b32_e64 v36, 0, v36, s[4:5]
	v_cmp_lt_i32_e64 s[4:5], v34, v43
	v_accvgpr_read_b32 v34, a44
	s_nop 0
	v_cndmask_b32_e64 v37, 0, v37, s[4:5]
	v_cmp_lt_i32_e64 s[4:5], v34, v43
	v_accvgpr_read_b32 v34, a43
	s_nop 0
	v_cndmask_b32_e64 v38, 0, v38, s[4:5]
	v_cmp_lt_i32_e64 s[4:5], v34, v43
	v_accvgpr_read_b32 v34, a42
	s_nop 0
	v_cndmask_b32_e64 v39, 0, v39, s[4:5]
	v_cmp_lt_i32_e64 s[4:5], v34, v43
	v_accvgpr_read_b32 v34, a41
	s_nop 0
	v_cndmask_b32_e64 v48, 0, v48, s[4:5]
	v_cmp_lt_i32_e64 s[4:5], v34, v43
	s_nop 1
	v_cndmask_b32_e64 v7, 0, v7, s[4:5]
	v_cmp_lt_i32_e64 s[4:5], v59, v43
	s_nop 1
	v_cndmask_b32_e64 v6, 0, v6, s[4:5]
.LBB352_618:                            ;   in Loop: Header=BB352_552 Depth=1
	s_or_b64 exec, exec, s[10:11]
	v_and_b32_e32 v34, 0xffff0000, v22
	v_lshlrev_b32_e32 v22, 16, v23
	v_mul_f32_e32 v22, v34, v22
	v_and_b32_e32 v23, 0x7f800000, v22
	v_cmp_ne_u32_e64 s[4:5], s19, v23
                                        ; implicit-def: $vgpr23
                                        ; kill: killed $vgpr23
	s_and_saveexec_b64 s[10:11], s[4:5]
	s_xor_b64 s[4:5], exec, s[10:11]
	s_cbranch_execz .LBB352_620
; %bb.619:                              ;   in Loop: Header=BB352_552 Depth=1
	v_bfe_u32 v23, v22, 16, 1
	v_add3_u32 v22, v22, v23, s20
	scratch_store_dword off, v22, s32 offset:216 ; 4-byte Folded Spill
                                        ; implicit-def: $vgpr22
.LBB352_620:                            ;   in Loop: Header=BB352_552 Depth=1
	s_andn2_saveexec_b64 s[10:11], s[4:5]
	s_cbranch_execz .LBB352_622
; %bb.621:                              ;   in Loop: Header=BB352_552 Depth=1
	v_or_b32_e32 v23, 0x10000, v22
	v_cmp_eq_u32_sdwa s[4:5], v22, v33 src0_sel:WORD_0 src1_sel:DWORD
	s_nop 1
	v_cndmask_b32_e64 v22, v23, v22, s[4:5]
	scratch_store_dword off, v22, s32 offset:216 ; 4-byte Folded Spill
.LBB352_622:                            ;   in Loop: Header=BB352_552 Depth=1
	s_or_b64 exec, exec, s[10:11]
	v_and_b32_e32 v35, 0xffff0000, v18
	v_lshlrev_b32_e32 v18, 16, v36
	v_mul_f32_e32 v18, v35, v18
	v_and_b32_e32 v22, 0x7f800000, v18
	v_cmp_ne_u32_e64 s[4:5], s19, v22
                                        ; implicit-def: $vgpr22
                                        ; kill: killed $vgpr22
	s_and_saveexec_b64 s[10:11], s[4:5]
	s_xor_b64 s[4:5], exec, s[10:11]
	s_cbranch_execz .LBB352_624
; %bb.623:                              ;   in Loop: Header=BB352_552 Depth=1
	v_bfe_u32 v22, v18, 16, 1
	v_add3_u32 v18, v18, v22, s20
	scratch_store_dword off, v18, s32 offset:220 ; 4-byte Folded Spill
                                        ; implicit-def: $vgpr18
.LBB352_624:                            ;   in Loop: Header=BB352_552 Depth=1
	s_andn2_saveexec_b64 s[10:11], s[4:5]
	s_cbranch_execz .LBB352_626
; %bb.625:                              ;   in Loop: Header=BB352_552 Depth=1
	v_or_b32_e32 v22, 0x10000, v18
	v_cmp_eq_u32_sdwa s[4:5], v18, v33 src0_sel:WORD_0 src1_sel:DWORD
	s_nop 1
	v_cndmask_b32_e64 v18, v22, v18, s[4:5]
	scratch_store_dword off, v18, s32 offset:220 ; 4-byte Folded Spill
.LBB352_626:                            ;   in Loop: Header=BB352_552 Depth=1
	s_or_b64 exec, exec, s[10:11]
	v_and_b32_e32 v36, 0xffff0000, v11
	v_lshlrev_b32_e32 v11, 16, v37
	v_mul_f32_e32 v11, v36, v11
	v_and_b32_e32 v18, 0x7f800000, v11
	v_cmp_ne_u32_e64 s[4:5], s19, v18
                                        ; implicit-def: $vgpr18
                                        ; kill: killed $vgpr18
	s_and_saveexec_b64 s[10:11], s[4:5]
	s_xor_b64 s[4:5], exec, s[10:11]
	s_cbranch_execz .LBB352_628
; %bb.627:                              ;   in Loop: Header=BB352_552 Depth=1
	v_bfe_u32 v18, v11, 16, 1
	v_add3_u32 v11, v11, v18, s20
	scratch_store_dword off, v11, s32 offset:224 ; 4-byte Folded Spill
                                        ; implicit-def: $vgpr11
.LBB352_628:                            ;   in Loop: Header=BB352_552 Depth=1
	s_andn2_saveexec_b64 s[10:11], s[4:5]
	s_cbranch_execz .LBB352_630
; %bb.629:                              ;   in Loop: Header=BB352_552 Depth=1
	v_or_b32_e32 v18, 0x10000, v11
	v_cmp_eq_u32_sdwa s[4:5], v11, v33 src0_sel:WORD_0 src1_sel:DWORD
	s_nop 1
	v_cndmask_b32_e64 v11, v18, v11, s[4:5]
	scratch_store_dword off, v11, s32 offset:224 ; 4-byte Folded Spill
.LBB352_630:                            ;   in Loop: Header=BB352_552 Depth=1
	s_or_b64 exec, exec, s[10:11]
	v_and_b32_e32 v37, 0xffff0000, v10
	v_lshlrev_b32_e32 v10, 16, v38
	v_mul_f32_e32 v10, v37, v10
	v_and_b32_e32 v11, 0x7f800000, v10
	v_cmp_ne_u32_e64 s[4:5], s19, v11
                                        ; implicit-def: $vgpr11
                                        ; kill: killed $vgpr11
	s_and_saveexec_b64 s[10:11], s[4:5]
	s_xor_b64 s[4:5], exec, s[10:11]
	s_cbranch_execz .LBB352_632
; %bb.631:                              ;   in Loop: Header=BB352_552 Depth=1
	v_bfe_u32 v11, v10, 16, 1
	v_add3_u32 v10, v10, v11, s20
	scratch_store_dword off, v10, s32 offset:228 ; 4-byte Folded Spill
                                        ; implicit-def: $vgpr10
.LBB352_632:                            ;   in Loop: Header=BB352_552 Depth=1
	s_andn2_saveexec_b64 s[10:11], s[4:5]
	s_cbranch_execz .LBB352_634
; %bb.633:                              ;   in Loop: Header=BB352_552 Depth=1
	v_or_b32_e32 v11, 0x10000, v10
	v_cmp_eq_u32_sdwa s[4:5], v10, v33 src0_sel:WORD_0 src1_sel:DWORD
	s_nop 1
	v_cndmask_b32_e64 v10, v11, v10, s[4:5]
	scratch_store_dword off, v10, s32 offset:228 ; 4-byte Folded Spill
.LBB352_634:                            ;   in Loop: Header=BB352_552 Depth=1
	s_or_b64 exec, exec, s[10:11]
	v_and_b32_e32 v38, 0xffff0000, v9
	v_lshlrev_b32_e32 v9, 16, v39
	v_mul_f32_e32 v9, v38, v9
	v_and_b32_e32 v10, 0x7f800000, v9
	v_cmp_ne_u32_e64 s[4:5], s19, v10
                                        ; implicit-def: $vgpr10
                                        ; kill: killed $vgpr10
	s_and_saveexec_b64 s[10:11], s[4:5]
	s_xor_b64 s[4:5], exec, s[10:11]
	s_cbranch_execz .LBB352_636
; %bb.635:                              ;   in Loop: Header=BB352_552 Depth=1
	v_bfe_u32 v10, v9, 16, 1
	v_add3_u32 v9, v9, v10, s20
	scratch_store_dword off, v9, s32 offset:232 ; 4-byte Folded Spill
                                        ; implicit-def: $vgpr9
.LBB352_636:                            ;   in Loop: Header=BB352_552 Depth=1
	s_andn2_saveexec_b64 s[10:11], s[4:5]
	s_cbranch_execz .LBB352_638
; %bb.637:                              ;   in Loop: Header=BB352_552 Depth=1
	v_or_b32_e32 v10, 0x10000, v9
	v_cmp_eq_u32_sdwa s[4:5], v9, v33 src0_sel:WORD_0 src1_sel:DWORD
	s_nop 1
	v_cndmask_b32_e64 v9, v10, v9, s[4:5]
	scratch_store_dword off, v9, s32 offset:232 ; 4-byte Folded Spill
.LBB352_638:                            ;   in Loop: Header=BB352_552 Depth=1
	s_or_b64 exec, exec, s[10:11]
	v_and_b32_e32 v39, 0xffff0000, v8
	v_lshlrev_b32_e32 v8, 16, v48
	v_mul_f32_e32 v8, v39, v8
	v_and_b32_e32 v9, 0x7f800000, v8
	v_cmp_ne_u32_e64 s[4:5], s19, v9
                                        ; implicit-def: $vgpr9
                                        ; kill: killed $vgpr9
	s_and_saveexec_b64 s[10:11], s[4:5]
	s_xor_b64 s[4:5], exec, s[10:11]
	s_cbranch_execz .LBB352_640
; %bb.639:                              ;   in Loop: Header=BB352_552 Depth=1
	v_bfe_u32 v9, v8, 16, 1
	v_add3_u32 v8, v8, v9, s20
	scratch_store_dword off, v8, s32 offset:236 ; 4-byte Folded Spill
                                        ; implicit-def: $vgpr8
.LBB352_640:                            ;   in Loop: Header=BB352_552 Depth=1
	s_andn2_saveexec_b64 s[10:11], s[4:5]
	s_cbranch_execz .LBB352_642
; %bb.641:                              ;   in Loop: Header=BB352_552 Depth=1
	v_or_b32_e32 v9, 0x10000, v8
	v_cmp_eq_u32_sdwa s[4:5], v8, v33 src0_sel:WORD_0 src1_sel:DWORD
	s_nop 1
	v_cndmask_b32_e64 v8, v9, v8, s[4:5]
	scratch_store_dword off, v8, s32 offset:236 ; 4-byte Folded Spill
.LBB352_642:                            ;   in Loop: Header=BB352_552 Depth=1
	s_or_b64 exec, exec, s[10:11]
	v_and_b32_e32 v48, 0xffff0000, v1
	v_lshlrev_b32_e32 v1, 16, v7
	v_mul_f32_e32 v1, v48, v1
	v_and_b32_e32 v7, 0x7f800000, v1
	v_cmp_ne_u32_e64 s[4:5], s19, v7
                                        ; implicit-def: $vgpr7
                                        ; kill: killed $vgpr7
	s_and_saveexec_b64 s[10:11], s[4:5]
	s_xor_b64 s[4:5], exec, s[10:11]
	s_cbranch_execz .LBB352_644
; %bb.643:                              ;   in Loop: Header=BB352_552 Depth=1
	v_bfe_u32 v7, v1, 16, 1
	v_add3_u32 v1, v1, v7, s20
	scratch_store_dword off, v1, s32 offset:240 ; 4-byte Folded Spill
                                        ; implicit-def: $vgpr1
.LBB352_644:                            ;   in Loop: Header=BB352_552 Depth=1
	s_andn2_saveexec_b64 s[10:11], s[4:5]
	s_cbranch_execz .LBB352_646
; %bb.645:                              ;   in Loop: Header=BB352_552 Depth=1
	v_or_b32_e32 v7, 0x10000, v1
	v_cmp_eq_u32_sdwa s[4:5], v1, v33 src0_sel:WORD_0 src1_sel:DWORD
	s_nop 1
	v_cndmask_b32_e64 v1, v7, v1, s[4:5]
	scratch_store_dword off, v1, s32 offset:240 ; 4-byte Folded Spill
.LBB352_646:                            ;   in Loop: Header=BB352_552 Depth=1
	s_or_b64 exec, exec, s[10:11]
	v_and_b32_e32 v49, 0xffff0000, v0
	v_lshlrev_b32_e32 v0, 16, v6
	v_mul_f32_e32 v0, v49, v0
	v_and_b32_e32 v1, 0x7f800000, v0
	v_cmp_ne_u32_e64 s[4:5], s19, v1
                                        ; implicit-def: $vgpr1
                                        ; kill: killed $vgpr1
	s_and_saveexec_b64 s[10:11], s[4:5]
	s_xor_b64 s[4:5], exec, s[10:11]
	s_cbranch_execz .LBB352_648
; %bb.647:                              ;   in Loop: Header=BB352_552 Depth=1
	v_bfe_u32 v1, v0, 16, 1
	v_add3_u32 v0, v0, v1, s20
	scratch_store_dword off, v0, s32 offset:244 ; 4-byte Folded Spill
                                        ; implicit-def: $vgpr0
.LBB352_648:                            ;   in Loop: Header=BB352_552 Depth=1
	s_andn2_saveexec_b64 s[10:11], s[4:5]
	s_cbranch_execz .LBB352_650
; %bb.649:                              ;   in Loop: Header=BB352_552 Depth=1
	v_or_b32_e32 v1, 0x10000, v0
	v_cmp_eq_u32_sdwa s[4:5], v0, v33 src0_sel:WORD_0 src1_sel:DWORD
	s_nop 1
	v_cndmask_b32_e64 v0, v1, v0, s[4:5]
	scratch_store_dword off, v0, s32 offset:244 ; 4-byte Folded Spill
.LBB352_650:                            ;   in Loop: Header=BB352_552 Depth=1
	s_or_b64 exec, exec, s[10:11]
	flat_load_dwordx2 v[6:7], v[4:5] offset:512
	s_waitcnt vmcnt(0) lgkmcnt(0)
	v_and_b32_e32 v0, 0xff, v6
	v_cvt_f32_fp8_sdwa v0, v0 src0_sel:BYTE_0
	s_nop 0
	v_mul_f32_e32 v1, v19, v0
	v_and_b32_e32 v0, 0x7f800000, v1
	v_cmp_ne_u32_e64 s[4:5], s19, v0
                                        ; implicit-def: $vgpr0
	s_and_saveexec_b64 s[10:11], s[4:5]
	s_xor_b64 s[4:5], exec, s[10:11]
; %bb.651:                              ;   in Loop: Header=BB352_552 Depth=1
	v_bfe_u32 v0, v1, 16, 1
	v_add3_u32 v0, v1, v0, s20
                                        ; implicit-def: $vgpr1
; %bb.652:                              ;   in Loop: Header=BB352_552 Depth=1
	s_andn2_saveexec_b64 s[10:11], s[4:5]
; %bb.653:                              ;   in Loop: Header=BB352_552 Depth=1
	v_or_b32_e32 v0, 0x10000, v1
	v_cmp_eq_u32_sdwa s[4:5], v1, v33 src0_sel:WORD_0 src1_sel:DWORD
	s_nop 1
	v_cndmask_b32_e64 v0, v0, v1, s[4:5]
; %bb.654:                              ;   in Loop: Header=BB352_552 Depth=1
	s_or_b64 exec, exec, s[10:11]
	v_bfe_u32 v1, v6, 8, 8
	v_cvt_f32_fp8_sdwa v1, v1 src0_sel:BYTE_0
	s_nop 0
	v_mul_f32_e32 v8, v19, v1
	v_and_b32_e32 v1, 0x7f800000, v8
	v_cmp_ne_u32_e64 s[4:5], s19, v1
                                        ; implicit-def: $vgpr1
	s_and_saveexec_b64 s[10:11], s[4:5]
	s_xor_b64 s[4:5], exec, s[10:11]
; %bb.655:                              ;   in Loop: Header=BB352_552 Depth=1
	v_bfe_u32 v1, v8, 16, 1
	v_add3_u32 v1, v8, v1, s20
                                        ; implicit-def: $vgpr8
; %bb.656:                              ;   in Loop: Header=BB352_552 Depth=1
	s_andn2_saveexec_b64 s[10:11], s[4:5]
; %bb.657:                              ;   in Loop: Header=BB352_552 Depth=1
	v_or_b32_e32 v1, 0x10000, v8
	v_cmp_eq_u32_sdwa s[4:5], v8, v33 src0_sel:WORD_0 src1_sel:DWORD
	s_nop 1
	v_cndmask_b32_e64 v1, v1, v8, s[4:5]
; %bb.658:                              ;   in Loop: Header=BB352_552 Depth=1
	s_or_b64 exec, exec, s[10:11]
	v_bfe_u32 v8, v6, 16, 8
	v_cvt_f32_fp8_sdwa v8, v8 src0_sel:BYTE_0
	s_nop 0
	v_mul_f32_e32 v9, v19, v8
	v_and_b32_e32 v8, 0x7f800000, v9
	v_cmp_ne_u32_e64 s[4:5], s19, v8
                                        ; implicit-def: $vgpr8
	s_and_saveexec_b64 s[10:11], s[4:5]
	s_xor_b64 s[4:5], exec, s[10:11]
; %bb.659:                              ;   in Loop: Header=BB352_552 Depth=1
	v_bfe_u32 v8, v9, 16, 1
	v_add3_u32 v8, v9, v8, s20
                                        ; implicit-def: $vgpr9
; %bb.660:                              ;   in Loop: Header=BB352_552 Depth=1
	s_andn2_saveexec_b64 s[10:11], s[4:5]
; %bb.661:                              ;   in Loop: Header=BB352_552 Depth=1
	v_or_b32_e32 v8, 0x10000, v9
	v_cmp_eq_u32_sdwa s[4:5], v9, v33 src0_sel:WORD_0 src1_sel:DWORD
	s_nop 1
	v_cndmask_b32_e64 v8, v8, v9, s[4:5]
; %bb.662:                              ;   in Loop: Header=BB352_552 Depth=1
	s_or_b64 exec, exec, s[10:11]
	v_lshrrev_b32_e32 v6, 24, v6
	v_cvt_f32_fp8_sdwa v6, v6 src0_sel:BYTE_0
	s_nop 0
	v_mul_f32_e32 v6, v19, v6
	v_and_b32_e32 v9, 0x7f800000, v6
	v_cmp_ne_u32_e64 s[4:5], s19, v9
                                        ; implicit-def: $vgpr9
	s_and_saveexec_b64 s[10:11], s[4:5]
	s_xor_b64 s[4:5], exec, s[10:11]
; %bb.663:                              ;   in Loop: Header=BB352_552 Depth=1
	v_bfe_u32 v9, v6, 16, 1
	v_add3_u32 v9, v6, v9, s20
                                        ; implicit-def: $vgpr6
; %bb.664:                              ;   in Loop: Header=BB352_552 Depth=1
	s_andn2_saveexec_b64 s[10:11], s[4:5]
; %bb.665:                              ;   in Loop: Header=BB352_552 Depth=1
	v_or_b32_e32 v9, 0x10000, v6
	v_cmp_eq_u32_sdwa s[4:5], v6, v33 src0_sel:WORD_0 src1_sel:DWORD
	s_nop 1
	v_cndmask_b32_e64 v9, v9, v6, s[4:5]
; %bb.666:                              ;   in Loop: Header=BB352_552 Depth=1
	s_or_b64 exec, exec, s[10:11]
	v_and_b32_e32 v6, 0xff, v7
	v_cvt_f32_fp8_sdwa v6, v6 src0_sel:BYTE_0
	s_nop 0
	v_mul_f32_e32 v6, v19, v6
	v_and_b32_e32 v10, 0x7f800000, v6
	v_cmp_ne_u32_e64 s[4:5], s19, v10
                                        ; implicit-def: $vgpr10
	s_and_saveexec_b64 s[10:11], s[4:5]
	s_xor_b64 s[4:5], exec, s[10:11]
; %bb.667:                              ;   in Loop: Header=BB352_552 Depth=1
	v_bfe_u32 v10, v6, 16, 1
	v_add3_u32 v10, v6, v10, s20
                                        ; implicit-def: $vgpr6
; %bb.668:                              ;   in Loop: Header=BB352_552 Depth=1
	s_andn2_saveexec_b64 s[10:11], s[4:5]
; %bb.669:                              ;   in Loop: Header=BB352_552 Depth=1
	v_or_b32_e32 v10, 0x10000, v6
	v_cmp_eq_u32_sdwa s[4:5], v6, v33 src0_sel:WORD_0 src1_sel:DWORD
	s_nop 1
	v_cndmask_b32_e64 v10, v10, v6, s[4:5]
; %bb.670:                              ;   in Loop: Header=BB352_552 Depth=1
	s_or_b64 exec, exec, s[10:11]
	v_bfe_u32 v6, v7, 8, 8
	v_cvt_f32_fp8_sdwa v6, v6 src0_sel:BYTE_0
	s_nop 0
	v_mul_f32_e32 v11, v19, v6
	v_and_b32_e32 v6, 0x7f800000, v11
	v_cmp_ne_u32_e64 s[4:5], s19, v6
                                        ; implicit-def: $vgpr6
	s_and_saveexec_b64 s[10:11], s[4:5]
	s_xor_b64 s[4:5], exec, s[10:11]
; %bb.671:                              ;   in Loop: Header=BB352_552 Depth=1
	v_bfe_u32 v6, v11, 16, 1
	v_add3_u32 v6, v11, v6, s20
                                        ; implicit-def: $vgpr11
; %bb.672:                              ;   in Loop: Header=BB352_552 Depth=1
	s_andn2_saveexec_b64 s[10:11], s[4:5]
; %bb.673:                              ;   in Loop: Header=BB352_552 Depth=1
	v_or_b32_e32 v6, 0x10000, v11
	v_cmp_eq_u32_sdwa s[4:5], v11, v33 src0_sel:WORD_0 src1_sel:DWORD
	s_nop 1
	v_cndmask_b32_e64 v6, v6, v11, s[4:5]
; %bb.674:                              ;   in Loop: Header=BB352_552 Depth=1
	s_or_b64 exec, exec, s[10:11]
	v_bfe_u32 v11, v7, 16, 8
	v_cvt_f32_fp8_sdwa v11, v11 src0_sel:BYTE_0
	s_nop 0
	v_mul_f32_e32 v18, v19, v11
	v_and_b32_e32 v11, 0x7f800000, v18
	v_cmp_ne_u32_e64 s[4:5], s19, v11
                                        ; implicit-def: $vgpr11
	s_and_saveexec_b64 s[10:11], s[4:5]
	s_xor_b64 s[4:5], exec, s[10:11]
; %bb.675:                              ;   in Loop: Header=BB352_552 Depth=1
	v_bfe_u32 v11, v18, 16, 1
	v_add3_u32 v11, v18, v11, s20
                                        ; implicit-def: $vgpr18
; %bb.676:                              ;   in Loop: Header=BB352_552 Depth=1
	s_andn2_saveexec_b64 s[10:11], s[4:5]
; %bb.677:                              ;   in Loop: Header=BB352_552 Depth=1
	v_or_b32_e32 v11, 0x10000, v18
	v_cmp_eq_u32_sdwa s[4:5], v18, v33 src0_sel:WORD_0 src1_sel:DWORD
	s_nop 1
	v_cndmask_b32_e64 v11, v11, v18, s[4:5]
; %bb.678:                              ;   in Loop: Header=BB352_552 Depth=1
	s_or_b64 exec, exec, s[10:11]
	v_lshrrev_b32_e32 v7, 24, v7
	v_cvt_f32_fp8_sdwa v7, v7 src0_sel:BYTE_0
                                        ; implicit-def: $vgpr22
	s_nop 0
	v_mul_f32_e32 v7, v19, v7
	v_and_b32_e32 v18, 0x7f800000, v7
	v_cmp_ne_u32_e64 s[4:5], s19, v18
	s_and_saveexec_b64 s[10:11], s[4:5]
	s_xor_b64 s[4:5], exec, s[10:11]
; %bb.679:                              ;   in Loop: Header=BB352_552 Depth=1
	v_bfe_u32 v18, v7, 16, 1
	v_add3_u32 v22, v7, v18, s20
                                        ; implicit-def: $vgpr7
; %bb.680:                              ;   in Loop: Header=BB352_552 Depth=1
	s_andn2_saveexec_b64 s[10:11], s[4:5]
; %bb.681:                              ;   in Loop: Header=BB352_552 Depth=1
	v_or_b32_e32 v18, 0x10000, v7
	v_cmp_eq_u32_sdwa s[4:5], v7, v33 src0_sel:WORD_0 src1_sel:DWORD
	s_nop 1
	v_cndmask_b32_e64 v22, v18, v7, s[4:5]
; %bb.682:                              ;   in Loop: Header=BB352_552 Depth=1
	s_or_b64 exec, exec, s[10:11]
	v_lshrrev_b32_e32 v6, 16, v6
	v_lshrrev_b32_e32 v7, 16, v10
	;; [unrolled: 1-line block ×8, first 2 shown]
	s_and_saveexec_b64 s[10:11], vcc
	s_cbranch_execz .LBB352_684
; %bb.683:                              ;   in Loop: Header=BB352_552 Depth=1
	v_accvgpr_read_b32 v11, a40
	v_cmp_lt_i32_e64 s[4:5], v11, v43
	v_accvgpr_read_b32 v11, a46
	s_nop 0
	v_cndmask_b32_e64 v18, 0, v18, s[4:5]
	v_cmp_lt_i32_e64 s[4:5], v11, v43
	v_accvgpr_read_b32 v11, a45
	s_nop 0
	v_cndmask_b32_e64 v10, 0, v10, s[4:5]
	;; [unrolled: 4-line block ×6, first 2 shown]
	v_cmp_lt_i32_e64 s[4:5], v11, v43
	s_nop 1
	v_cndmask_b32_e64 v1, 0, v1, s[4:5]
	v_cmp_lt_i32_e64 s[4:5], v59, v43
	s_nop 1
	v_cndmask_b32_e64 v0, 0, v0, s[4:5]
.LBB352_684:                            ;   in Loop: Header=BB352_552 Depth=1
	s_or_b64 exec, exec, s[10:11]
	v_lshlrev_b32_e32 v11, 16, v18
	v_mul_f32_e32 v11, v34, v11
	v_and_b32_e32 v18, 0x7f800000, v11
	v_cmp_ne_u32_e64 s[4:5], s19, v18
                                        ; implicit-def: $vgpr18
                                        ; kill: killed $vgpr18
	s_and_saveexec_b64 s[10:11], s[4:5]
	s_xor_b64 s[4:5], exec, s[10:11]
	s_cbranch_execz .LBB352_686
; %bb.685:                              ;   in Loop: Header=BB352_552 Depth=1
	v_bfe_u32 v18, v11, 16, 1
	v_add3_u32 v11, v11, v18, s20
	scratch_store_dword off, v11, s32 offset:248 ; 4-byte Folded Spill
                                        ; implicit-def: $vgpr11
.LBB352_686:                            ;   in Loop: Header=BB352_552 Depth=1
	s_andn2_saveexec_b64 s[10:11], s[4:5]
	s_cbranch_execz .LBB352_688
; %bb.687:                              ;   in Loop: Header=BB352_552 Depth=1
	v_or_b32_e32 v18, 0x10000, v11
	v_cmp_eq_u32_sdwa s[4:5], v11, v33 src0_sel:WORD_0 src1_sel:DWORD
	s_nop 1
	v_cndmask_b32_e64 v11, v18, v11, s[4:5]
	scratch_store_dword off, v11, s32 offset:248 ; 4-byte Folded Spill
.LBB352_688:                            ;   in Loop: Header=BB352_552 Depth=1
	s_or_b64 exec, exec, s[10:11]
	v_lshlrev_b32_e32 v10, 16, v10
	v_mul_f32_e32 v10, v35, v10
	v_and_b32_e32 v11, 0x7f800000, v10
	v_cmp_ne_u32_e64 s[4:5], s19, v11
                                        ; implicit-def: $vgpr11
                                        ; kill: killed $vgpr11
	s_and_saveexec_b64 s[10:11], s[4:5]
	s_xor_b64 s[4:5], exec, s[10:11]
	s_cbranch_execz .LBB352_690
; %bb.689:                              ;   in Loop: Header=BB352_552 Depth=1
	v_bfe_u32 v11, v10, 16, 1
	v_add3_u32 v10, v10, v11, s20
	scratch_store_dword off, v10, s32 offset:252 ; 4-byte Folded Spill
                                        ; implicit-def: $vgpr10
.LBB352_690:                            ;   in Loop: Header=BB352_552 Depth=1
	s_andn2_saveexec_b64 s[10:11], s[4:5]
	s_cbranch_execz .LBB352_692
; %bb.691:                              ;   in Loop: Header=BB352_552 Depth=1
	v_or_b32_e32 v11, 0x10000, v10
	v_cmp_eq_u32_sdwa s[4:5], v10, v33 src0_sel:WORD_0 src1_sel:DWORD
	s_nop 1
	v_cndmask_b32_e64 v10, v11, v10, s[4:5]
	scratch_store_dword off, v10, s32 offset:252 ; 4-byte Folded Spill
.LBB352_692:                            ;   in Loop: Header=BB352_552 Depth=1
	s_or_b64 exec, exec, s[10:11]
	v_lshlrev_b32_e32 v8, 16, v8
	v_mul_f32_e32 v8, v36, v8
	v_and_b32_e32 v10, 0x7f800000, v8
	v_cmp_ne_u32_e64 s[4:5], s19, v10
                                        ; implicit-def: $vgpr10
                                        ; kill: killed $vgpr10
	s_and_saveexec_b64 s[10:11], s[4:5]
	s_xor_b64 s[4:5], exec, s[10:11]
	s_cbranch_execz .LBB352_694
; %bb.693:                              ;   in Loop: Header=BB352_552 Depth=1
	v_bfe_u32 v10, v8, 16, 1
	v_add3_u32 v8, v8, v10, s20
	scratch_store_dword off, v8, s32 offset:260 ; 4-byte Folded Spill
                                        ; implicit-def: $vgpr8
.LBB352_694:                            ;   in Loop: Header=BB352_552 Depth=1
	s_andn2_saveexec_b64 s[10:11], s[4:5]
	s_cbranch_execz .LBB352_696
; %bb.695:                              ;   in Loop: Header=BB352_552 Depth=1
	v_or_b32_e32 v10, 0x10000, v8
	v_cmp_eq_u32_sdwa s[4:5], v8, v33 src0_sel:WORD_0 src1_sel:DWORD
	s_nop 1
	v_cndmask_b32_e64 v8, v10, v8, s[4:5]
	scratch_store_dword off, v8, s32 offset:260 ; 4-byte Folded Spill
.LBB352_696:                            ;   in Loop: Header=BB352_552 Depth=1
	s_or_b64 exec, exec, s[10:11]
	v_lshlrev_b32_e32 v8, 16, v9
	v_mul_f32_e32 v8, v37, v8
	v_and_b32_e32 v9, 0x7f800000, v8
	v_cmp_ne_u32_e64 s[4:5], s19, v9
                                        ; implicit-def: $vgpr9
                                        ; kill: killed $vgpr9
	s_and_saveexec_b64 s[10:11], s[4:5]
	s_xor_b64 s[4:5], exec, s[10:11]
	s_cbranch_execz .LBB352_698
; %bb.697:                              ;   in Loop: Header=BB352_552 Depth=1
	v_bfe_u32 v9, v8, 16, 1
	v_add3_u32 v8, v8, v9, s20
	scratch_store_dword off, v8, s32 offset:264 ; 4-byte Folded Spill
                                        ; implicit-def: $vgpr8
.LBB352_698:                            ;   in Loop: Header=BB352_552 Depth=1
	s_andn2_saveexec_b64 s[10:11], s[4:5]
	s_cbranch_execz .LBB352_700
; %bb.699:                              ;   in Loop: Header=BB352_552 Depth=1
	v_or_b32_e32 v9, 0x10000, v8
	v_cmp_eq_u32_sdwa s[4:5], v8, v33 src0_sel:WORD_0 src1_sel:DWORD
	s_nop 1
	v_cndmask_b32_e64 v8, v9, v8, s[4:5]
	scratch_store_dword off, v8, s32 offset:264 ; 4-byte Folded Spill
.LBB352_700:                            ;   in Loop: Header=BB352_552 Depth=1
	s_or_b64 exec, exec, s[10:11]
	v_lshlrev_b32_e32 v7, 16, v7
	v_mul_f32_e32 v7, v38, v7
	v_and_b32_e32 v8, 0x7f800000, v7
	v_cmp_ne_u32_e64 s[4:5], s19, v8
                                        ; implicit-def: $vgpr8
                                        ; kill: killed $vgpr8
	s_and_saveexec_b64 s[10:11], s[4:5]
	s_xor_b64 s[4:5], exec, s[10:11]
	s_cbranch_execz .LBB352_702
; %bb.701:                              ;   in Loop: Header=BB352_552 Depth=1
	v_bfe_u32 v8, v7, 16, 1
	v_add3_u32 v7, v7, v8, s20
	scratch_store_dword off, v7, s32 offset:268 ; 4-byte Folded Spill
                                        ; implicit-def: $vgpr7
.LBB352_702:                            ;   in Loop: Header=BB352_552 Depth=1
	s_andn2_saveexec_b64 s[10:11], s[4:5]
	s_cbranch_execz .LBB352_704
; %bb.703:                              ;   in Loop: Header=BB352_552 Depth=1
	v_or_b32_e32 v8, 0x10000, v7
	v_cmp_eq_u32_sdwa s[4:5], v7, v33 src0_sel:WORD_0 src1_sel:DWORD
	s_nop 1
	v_cndmask_b32_e64 v7, v8, v7, s[4:5]
	scratch_store_dword off, v7, s32 offset:268 ; 4-byte Folded Spill
.LBB352_704:                            ;   in Loop: Header=BB352_552 Depth=1
	s_or_b64 exec, exec, s[10:11]
	v_lshlrev_b32_e32 v6, 16, v6
	v_mul_f32_e32 v6, v39, v6
	v_and_b32_e32 v7, 0x7f800000, v6
	v_cmp_ne_u32_e64 s[4:5], s19, v7
                                        ; implicit-def: $vgpr7
                                        ; kill: killed $vgpr7
	s_and_saveexec_b64 s[10:11], s[4:5]
	s_xor_b64 s[4:5], exec, s[10:11]
	s_cbranch_execz .LBB352_706
; %bb.705:                              ;   in Loop: Header=BB352_552 Depth=1
	v_bfe_u32 v7, v6, 16, 1
	v_add3_u32 v6, v6, v7, s20
	scratch_store_dword off, v6, s32 offset:272 ; 4-byte Folded Spill
                                        ; implicit-def: $vgpr6
.LBB352_706:                            ;   in Loop: Header=BB352_552 Depth=1
	s_andn2_saveexec_b64 s[10:11], s[4:5]
	s_cbranch_execz .LBB352_708
; %bb.707:                              ;   in Loop: Header=BB352_552 Depth=1
	v_or_b32_e32 v7, 0x10000, v6
	v_cmp_eq_u32_sdwa s[4:5], v6, v33 src0_sel:WORD_0 src1_sel:DWORD
	s_nop 1
	v_cndmask_b32_e64 v6, v7, v6, s[4:5]
	scratch_store_dword off, v6, s32 offset:272 ; 4-byte Folded Spill
.LBB352_708:                            ;   in Loop: Header=BB352_552 Depth=1
	s_or_b64 exec, exec, s[10:11]
	v_lshlrev_b32_e32 v1, 16, v1
	v_mul_f32_e32 v1, v48, v1
	v_and_b32_e32 v6, 0x7f800000, v1
	v_cmp_ne_u32_e64 s[4:5], s19, v6
                                        ; implicit-def: $vgpr6
                                        ; kill: killed $vgpr6
	s_and_saveexec_b64 s[10:11], s[4:5]
	s_xor_b64 s[4:5], exec, s[10:11]
	s_cbranch_execz .LBB352_710
; %bb.709:                              ;   in Loop: Header=BB352_552 Depth=1
	v_bfe_u32 v6, v1, 16, 1
	v_add3_u32 v1, v1, v6, s20
	scratch_store_dword off, v1, s32 offset:276 ; 4-byte Folded Spill
                                        ; implicit-def: $vgpr1
.LBB352_710:                            ;   in Loop: Header=BB352_552 Depth=1
	s_andn2_saveexec_b64 s[10:11], s[4:5]
	s_cbranch_execz .LBB352_712
; %bb.711:                              ;   in Loop: Header=BB352_552 Depth=1
	v_or_b32_e32 v6, 0x10000, v1
	v_cmp_eq_u32_sdwa s[4:5], v1, v33 src0_sel:WORD_0 src1_sel:DWORD
	s_nop 1
	v_cndmask_b32_e64 v1, v6, v1, s[4:5]
	scratch_store_dword off, v1, s32 offset:276 ; 4-byte Folded Spill
.LBB352_712:                            ;   in Loop: Header=BB352_552 Depth=1
	s_or_b64 exec, exec, s[10:11]
	v_lshlrev_b32_e32 v0, 16, v0
	v_mul_f32_e32 v0, v49, v0
	v_and_b32_e32 v1, 0x7f800000, v0
	v_cmp_ne_u32_e64 s[4:5], s19, v1
                                        ; implicit-def: $vgpr1
                                        ; kill: killed $vgpr1
	s_and_saveexec_b64 s[10:11], s[4:5]
	s_xor_b64 s[4:5], exec, s[10:11]
	s_cbranch_execz .LBB352_714
; %bb.713:                              ;   in Loop: Header=BB352_552 Depth=1
	v_bfe_u32 v1, v0, 16, 1
	v_add3_u32 v0, v0, v1, s20
	scratch_store_dword off, v0, s32 offset:280 ; 4-byte Folded Spill
                                        ; implicit-def: $vgpr0
.LBB352_714:                            ;   in Loop: Header=BB352_552 Depth=1
	s_andn2_saveexec_b64 s[10:11], s[4:5]
	s_cbranch_execz .LBB352_716
; %bb.715:                              ;   in Loop: Header=BB352_552 Depth=1
	v_or_b32_e32 v1, 0x10000, v0
	v_cmp_eq_u32_sdwa s[4:5], v0, v33 src0_sel:WORD_0 src1_sel:DWORD
	s_nop 1
	v_cndmask_b32_e64 v0, v1, v0, s[4:5]
	scratch_store_dword off, v0, s32 offset:280 ; 4-byte Folded Spill
.LBB352_716:                            ;   in Loop: Header=BB352_552 Depth=1
	s_or_b64 exec, exec, s[10:11]
	flat_load_dwordx2 v[6:7], v[4:5] offset:1024
	s_waitcnt vmcnt(0) lgkmcnt(0)
	v_and_b32_e32 v0, 0xff, v6
	v_cvt_f32_fp8_sdwa v0, v0 src0_sel:BYTE_0
	s_nop 0
	v_mul_f32_e32 v1, v19, v0
	v_and_b32_e32 v0, 0x7f800000, v1
	v_cmp_ne_u32_e64 s[4:5], s19, v0
                                        ; implicit-def: $vgpr0
	s_and_saveexec_b64 s[10:11], s[4:5]
	s_xor_b64 s[4:5], exec, s[10:11]
; %bb.717:                              ;   in Loop: Header=BB352_552 Depth=1
	v_bfe_u32 v0, v1, 16, 1
	v_add3_u32 v0, v1, v0, s20
                                        ; implicit-def: $vgpr1
; %bb.718:                              ;   in Loop: Header=BB352_552 Depth=1
	s_andn2_saveexec_b64 s[10:11], s[4:5]
; %bb.719:                              ;   in Loop: Header=BB352_552 Depth=1
	v_or_b32_e32 v0, 0x10000, v1
	v_cmp_eq_u32_sdwa s[4:5], v1, v33 src0_sel:WORD_0 src1_sel:DWORD
	s_nop 1
	v_cndmask_b32_e64 v0, v0, v1, s[4:5]
; %bb.720:                              ;   in Loop: Header=BB352_552 Depth=1
	s_or_b64 exec, exec, s[10:11]
	v_bfe_u32 v1, v6, 8, 8
	v_cvt_f32_fp8_sdwa v1, v1 src0_sel:BYTE_0
	s_nop 0
	v_mul_f32_e32 v8, v19, v1
	v_and_b32_e32 v1, 0x7f800000, v8
	v_cmp_ne_u32_e64 s[4:5], s19, v1
                                        ; implicit-def: $vgpr1
	s_and_saveexec_b64 s[10:11], s[4:5]
	s_xor_b64 s[4:5], exec, s[10:11]
; %bb.721:                              ;   in Loop: Header=BB352_552 Depth=1
	v_bfe_u32 v1, v8, 16, 1
	v_add3_u32 v1, v8, v1, s20
                                        ; implicit-def: $vgpr8
; %bb.722:                              ;   in Loop: Header=BB352_552 Depth=1
	s_andn2_saveexec_b64 s[10:11], s[4:5]
; %bb.723:                              ;   in Loop: Header=BB352_552 Depth=1
	v_or_b32_e32 v1, 0x10000, v8
	v_cmp_eq_u32_sdwa s[4:5], v8, v33 src0_sel:WORD_0 src1_sel:DWORD
	s_nop 1
	v_cndmask_b32_e64 v1, v1, v8, s[4:5]
; %bb.724:                              ;   in Loop: Header=BB352_552 Depth=1
	s_or_b64 exec, exec, s[10:11]
	v_bfe_u32 v8, v6, 16, 8
	v_cvt_f32_fp8_sdwa v8, v8 src0_sel:BYTE_0
	s_nop 0
	v_mul_f32_e32 v9, v19, v8
	v_and_b32_e32 v8, 0x7f800000, v9
	v_cmp_ne_u32_e64 s[4:5], s19, v8
                                        ; implicit-def: $vgpr8
	s_and_saveexec_b64 s[10:11], s[4:5]
	s_xor_b64 s[4:5], exec, s[10:11]
; %bb.725:                              ;   in Loop: Header=BB352_552 Depth=1
	v_bfe_u32 v8, v9, 16, 1
	v_add3_u32 v8, v9, v8, s20
                                        ; implicit-def: $vgpr9
; %bb.726:                              ;   in Loop: Header=BB352_552 Depth=1
	s_andn2_saveexec_b64 s[10:11], s[4:5]
; %bb.727:                              ;   in Loop: Header=BB352_552 Depth=1
	v_or_b32_e32 v8, 0x10000, v9
	v_cmp_eq_u32_sdwa s[4:5], v9, v33 src0_sel:WORD_0 src1_sel:DWORD
	s_nop 1
	v_cndmask_b32_e64 v8, v8, v9, s[4:5]
; %bb.728:                              ;   in Loop: Header=BB352_552 Depth=1
	s_or_b64 exec, exec, s[10:11]
	v_lshrrev_b32_e32 v6, 24, v6
	v_cvt_f32_fp8_sdwa v6, v6 src0_sel:BYTE_0
	s_nop 0
	v_mul_f32_e32 v6, v19, v6
	v_and_b32_e32 v9, 0x7f800000, v6
	v_cmp_ne_u32_e64 s[4:5], s19, v9
                                        ; implicit-def: $vgpr9
	s_and_saveexec_b64 s[10:11], s[4:5]
	s_xor_b64 s[4:5], exec, s[10:11]
; %bb.729:                              ;   in Loop: Header=BB352_552 Depth=1
	v_bfe_u32 v9, v6, 16, 1
	v_add3_u32 v9, v6, v9, s20
                                        ; implicit-def: $vgpr6
; %bb.730:                              ;   in Loop: Header=BB352_552 Depth=1
	s_andn2_saveexec_b64 s[10:11], s[4:5]
; %bb.731:                              ;   in Loop: Header=BB352_552 Depth=1
	v_or_b32_e32 v9, 0x10000, v6
	v_cmp_eq_u32_sdwa s[4:5], v6, v33 src0_sel:WORD_0 src1_sel:DWORD
	s_nop 1
	v_cndmask_b32_e64 v9, v9, v6, s[4:5]
; %bb.732:                              ;   in Loop: Header=BB352_552 Depth=1
	s_or_b64 exec, exec, s[10:11]
	v_and_b32_e32 v6, 0xff, v7
	v_cvt_f32_fp8_sdwa v6, v6 src0_sel:BYTE_0
	s_nop 0
	v_mul_f32_e32 v6, v19, v6
	v_and_b32_e32 v10, 0x7f800000, v6
	v_cmp_ne_u32_e64 s[4:5], s19, v10
                                        ; implicit-def: $vgpr10
	s_and_saveexec_b64 s[10:11], s[4:5]
	s_xor_b64 s[4:5], exec, s[10:11]
; %bb.733:                              ;   in Loop: Header=BB352_552 Depth=1
	v_bfe_u32 v10, v6, 16, 1
	v_add3_u32 v10, v6, v10, s20
                                        ; implicit-def: $vgpr6
; %bb.734:                              ;   in Loop: Header=BB352_552 Depth=1
	s_andn2_saveexec_b64 s[10:11], s[4:5]
; %bb.735:                              ;   in Loop: Header=BB352_552 Depth=1
	v_or_b32_e32 v10, 0x10000, v6
	v_cmp_eq_u32_sdwa s[4:5], v6, v33 src0_sel:WORD_0 src1_sel:DWORD
	s_nop 1
	v_cndmask_b32_e64 v10, v10, v6, s[4:5]
; %bb.736:                              ;   in Loop: Header=BB352_552 Depth=1
	s_or_b64 exec, exec, s[10:11]
	v_bfe_u32 v6, v7, 8, 8
	v_cvt_f32_fp8_sdwa v6, v6 src0_sel:BYTE_0
	s_nop 0
	v_mul_f32_e32 v11, v19, v6
	v_and_b32_e32 v6, 0x7f800000, v11
	v_cmp_ne_u32_e64 s[4:5], s19, v6
                                        ; implicit-def: $vgpr6
	s_and_saveexec_b64 s[10:11], s[4:5]
	s_xor_b64 s[4:5], exec, s[10:11]
; %bb.737:                              ;   in Loop: Header=BB352_552 Depth=1
	v_bfe_u32 v6, v11, 16, 1
	v_add3_u32 v6, v11, v6, s20
                                        ; implicit-def: $vgpr11
; %bb.738:                              ;   in Loop: Header=BB352_552 Depth=1
	s_andn2_saveexec_b64 s[10:11], s[4:5]
; %bb.739:                              ;   in Loop: Header=BB352_552 Depth=1
	v_or_b32_e32 v6, 0x10000, v11
	v_cmp_eq_u32_sdwa s[4:5], v11, v33 src0_sel:WORD_0 src1_sel:DWORD
	s_nop 1
	v_cndmask_b32_e64 v6, v6, v11, s[4:5]
; %bb.740:                              ;   in Loop: Header=BB352_552 Depth=1
	s_or_b64 exec, exec, s[10:11]
	v_bfe_u32 v11, v7, 16, 8
	v_cvt_f32_fp8_sdwa v11, v11 src0_sel:BYTE_0
	s_nop 0
	v_mul_f32_e32 v18, v19, v11
	v_and_b32_e32 v11, 0x7f800000, v18
	v_cmp_ne_u32_e64 s[4:5], s19, v11
                                        ; implicit-def: $vgpr11
	s_and_saveexec_b64 s[10:11], s[4:5]
	s_xor_b64 s[4:5], exec, s[10:11]
; %bb.741:                              ;   in Loop: Header=BB352_552 Depth=1
	v_bfe_u32 v11, v18, 16, 1
	v_add3_u32 v11, v18, v11, s20
                                        ; implicit-def: $vgpr18
; %bb.742:                              ;   in Loop: Header=BB352_552 Depth=1
	s_andn2_saveexec_b64 s[10:11], s[4:5]
; %bb.743:                              ;   in Loop: Header=BB352_552 Depth=1
	v_or_b32_e32 v11, 0x10000, v18
	v_cmp_eq_u32_sdwa s[4:5], v18, v33 src0_sel:WORD_0 src1_sel:DWORD
	s_nop 1
	v_cndmask_b32_e64 v11, v11, v18, s[4:5]
; %bb.744:                              ;   in Loop: Header=BB352_552 Depth=1
	s_or_b64 exec, exec, s[10:11]
	v_lshrrev_b32_e32 v7, 24, v7
	v_cvt_f32_fp8_sdwa v7, v7 src0_sel:BYTE_0
                                        ; implicit-def: $vgpr22
	s_nop 0
	v_mul_f32_e32 v7, v19, v7
	v_and_b32_e32 v18, 0x7f800000, v7
	v_cmp_ne_u32_e64 s[4:5], s19, v18
	s_and_saveexec_b64 s[10:11], s[4:5]
	s_xor_b64 s[4:5], exec, s[10:11]
; %bb.745:                              ;   in Loop: Header=BB352_552 Depth=1
	v_bfe_u32 v18, v7, 16, 1
	v_add3_u32 v22, v7, v18, s20
                                        ; implicit-def: $vgpr7
; %bb.746:                              ;   in Loop: Header=BB352_552 Depth=1
	s_andn2_saveexec_b64 s[10:11], s[4:5]
; %bb.747:                              ;   in Loop: Header=BB352_552 Depth=1
	v_or_b32_e32 v18, 0x10000, v7
	v_cmp_eq_u32_sdwa s[4:5], v7, v33 src0_sel:WORD_0 src1_sel:DWORD
	s_nop 1
	v_cndmask_b32_e64 v22, v18, v7, s[4:5]
; %bb.748:                              ;   in Loop: Header=BB352_552 Depth=1
	s_or_b64 exec, exec, s[10:11]
	v_lshrrev_b32_e32 v6, 16, v6
	v_lshrrev_b32_e32 v7, 16, v10
	;; [unrolled: 1-line block ×8, first 2 shown]
	s_and_saveexec_b64 s[10:11], vcc
	s_cbranch_execz .LBB352_750
; %bb.749:                              ;   in Loop: Header=BB352_552 Depth=1
	v_accvgpr_read_b32 v11, a40
	v_cmp_lt_i32_e64 s[4:5], v11, v43
	v_accvgpr_read_b32 v11, a46
	s_nop 0
	v_cndmask_b32_e64 v18, 0, v18, s[4:5]
	v_cmp_lt_i32_e64 s[4:5], v11, v43
	v_accvgpr_read_b32 v11, a45
	s_nop 0
	v_cndmask_b32_e64 v10, 0, v10, s[4:5]
	;; [unrolled: 4-line block ×6, first 2 shown]
	v_cmp_lt_i32_e64 s[4:5], v11, v43
	s_nop 1
	v_cndmask_b32_e64 v1, 0, v1, s[4:5]
	v_cmp_lt_i32_e64 s[4:5], v59, v43
	s_nop 1
	v_cndmask_b32_e64 v0, 0, v0, s[4:5]
.LBB352_750:                            ;   in Loop: Header=BB352_552 Depth=1
	s_or_b64 exec, exec, s[10:11]
	v_lshlrev_b32_e32 v11, 16, v18
	v_mul_f32_e32 v11, v34, v11
	v_and_b32_e32 v18, 0x7f800000, v11
	v_cmp_ne_u32_e64 s[4:5], s19, v18
                                        ; implicit-def: $vgpr18
                                        ; kill: killed $vgpr18
	s_and_saveexec_b64 s[10:11], s[4:5]
	s_xor_b64 s[4:5], exec, s[10:11]
	s_cbranch_execz .LBB352_752
; %bb.751:                              ;   in Loop: Header=BB352_552 Depth=1
	v_bfe_u32 v18, v11, 16, 1
	v_add3_u32 v11, v11, v18, s20
	scratch_store_dword off, v11, s32 offset:284 ; 4-byte Folded Spill
                                        ; implicit-def: $vgpr11
.LBB352_752:                            ;   in Loop: Header=BB352_552 Depth=1
	s_andn2_saveexec_b64 s[10:11], s[4:5]
	s_cbranch_execz .LBB352_754
; %bb.753:                              ;   in Loop: Header=BB352_552 Depth=1
	v_or_b32_e32 v18, 0x10000, v11
	v_cmp_eq_u32_sdwa s[4:5], v11, v33 src0_sel:WORD_0 src1_sel:DWORD
	s_nop 1
	v_cndmask_b32_e64 v11, v18, v11, s[4:5]
	scratch_store_dword off, v11, s32 offset:284 ; 4-byte Folded Spill
.LBB352_754:                            ;   in Loop: Header=BB352_552 Depth=1
	s_or_b64 exec, exec, s[10:11]
	v_lshlrev_b32_e32 v10, 16, v10
	v_mul_f32_e32 v10, v35, v10
	v_and_b32_e32 v11, 0x7f800000, v10
	v_cmp_ne_u32_e64 s[4:5], s19, v11
                                        ; implicit-def: $vgpr11
                                        ; kill: killed $vgpr11
	s_and_saveexec_b64 s[10:11], s[4:5]
	s_xor_b64 s[4:5], exec, s[10:11]
	s_cbranch_execz .LBB352_756
; %bb.755:                              ;   in Loop: Header=BB352_552 Depth=1
	v_bfe_u32 v11, v10, 16, 1
	v_add3_u32 v10, v10, v11, s20
	scratch_store_dword off, v10, s32 offset:288 ; 4-byte Folded Spill
                                        ; implicit-def: $vgpr10
.LBB352_756:                            ;   in Loop: Header=BB352_552 Depth=1
	s_andn2_saveexec_b64 s[10:11], s[4:5]
	s_cbranch_execz .LBB352_758
; %bb.757:                              ;   in Loop: Header=BB352_552 Depth=1
	v_or_b32_e32 v11, 0x10000, v10
	v_cmp_eq_u32_sdwa s[4:5], v10, v33 src0_sel:WORD_0 src1_sel:DWORD
	s_nop 1
	v_cndmask_b32_e64 v10, v11, v10, s[4:5]
	scratch_store_dword off, v10, s32 offset:288 ; 4-byte Folded Spill
.LBB352_758:                            ;   in Loop: Header=BB352_552 Depth=1
	s_or_b64 exec, exec, s[10:11]
	v_lshlrev_b32_e32 v8, 16, v8
	v_mul_f32_e32 v8, v36, v8
	v_and_b32_e32 v10, 0x7f800000, v8
	v_cmp_ne_u32_e64 s[4:5], s19, v10
                                        ; implicit-def: $vgpr10
                                        ; kill: killed $vgpr10
	s_and_saveexec_b64 s[10:11], s[4:5]
	s_xor_b64 s[4:5], exec, s[10:11]
	s_cbranch_execz .LBB352_760
; %bb.759:                              ;   in Loop: Header=BB352_552 Depth=1
	v_bfe_u32 v10, v8, 16, 1
	v_add3_u32 v8, v8, v10, s20
	scratch_store_dword off, v8, s32 offset:292 ; 4-byte Folded Spill
                                        ; implicit-def: $vgpr8
.LBB352_760:                            ;   in Loop: Header=BB352_552 Depth=1
	s_andn2_saveexec_b64 s[10:11], s[4:5]
	s_cbranch_execz .LBB352_762
; %bb.761:                              ;   in Loop: Header=BB352_552 Depth=1
	v_or_b32_e32 v10, 0x10000, v8
	v_cmp_eq_u32_sdwa s[4:5], v8, v33 src0_sel:WORD_0 src1_sel:DWORD
	s_nop 1
	v_cndmask_b32_e64 v8, v10, v8, s[4:5]
	scratch_store_dword off, v8, s32 offset:292 ; 4-byte Folded Spill
.LBB352_762:                            ;   in Loop: Header=BB352_552 Depth=1
	s_or_b64 exec, exec, s[10:11]
	v_lshlrev_b32_e32 v8, 16, v9
	v_mul_f32_e32 v8, v37, v8
	v_and_b32_e32 v9, 0x7f800000, v8
	v_cmp_ne_u32_e64 s[4:5], s19, v9
                                        ; implicit-def: $vgpr9
                                        ; kill: killed $vgpr9
	s_and_saveexec_b64 s[10:11], s[4:5]
	s_xor_b64 s[4:5], exec, s[10:11]
	s_cbranch_execz .LBB352_764
; %bb.763:                              ;   in Loop: Header=BB352_552 Depth=1
	v_bfe_u32 v9, v8, 16, 1
	v_add3_u32 v8, v8, v9, s20
	scratch_store_dword off, v8, s32 offset:296 ; 4-byte Folded Spill
                                        ; implicit-def: $vgpr8
.LBB352_764:                            ;   in Loop: Header=BB352_552 Depth=1
	s_andn2_saveexec_b64 s[10:11], s[4:5]
	s_cbranch_execz .LBB352_766
; %bb.765:                              ;   in Loop: Header=BB352_552 Depth=1
	v_or_b32_e32 v9, 0x10000, v8
	v_cmp_eq_u32_sdwa s[4:5], v8, v33 src0_sel:WORD_0 src1_sel:DWORD
	s_nop 1
	v_cndmask_b32_e64 v8, v9, v8, s[4:5]
	scratch_store_dword off, v8, s32 offset:296 ; 4-byte Folded Spill
.LBB352_766:                            ;   in Loop: Header=BB352_552 Depth=1
	s_or_b64 exec, exec, s[10:11]
	v_lshlrev_b32_e32 v7, 16, v7
	v_mul_f32_e32 v7, v38, v7
	v_and_b32_e32 v8, 0x7f800000, v7
	v_cmp_ne_u32_e64 s[4:5], s19, v8
                                        ; implicit-def: $vgpr8
                                        ; kill: killed $vgpr8
	s_and_saveexec_b64 s[10:11], s[4:5]
	s_xor_b64 s[4:5], exec, s[10:11]
	s_cbranch_execz .LBB352_768
; %bb.767:                              ;   in Loop: Header=BB352_552 Depth=1
	v_bfe_u32 v8, v7, 16, 1
	v_add3_u32 v7, v7, v8, s20
	scratch_store_dword off, v7, s32 offset:300 ; 4-byte Folded Spill
                                        ; implicit-def: $vgpr7
.LBB352_768:                            ;   in Loop: Header=BB352_552 Depth=1
	s_andn2_saveexec_b64 s[10:11], s[4:5]
	s_cbranch_execz .LBB352_770
; %bb.769:                              ;   in Loop: Header=BB352_552 Depth=1
	v_or_b32_e32 v8, 0x10000, v7
	v_cmp_eq_u32_sdwa s[4:5], v7, v33 src0_sel:WORD_0 src1_sel:DWORD
	s_nop 1
	v_cndmask_b32_e64 v7, v8, v7, s[4:5]
	scratch_store_dword off, v7, s32 offset:300 ; 4-byte Folded Spill
.LBB352_770:                            ;   in Loop: Header=BB352_552 Depth=1
	s_or_b64 exec, exec, s[10:11]
	v_lshlrev_b32_e32 v6, 16, v6
	v_mul_f32_e32 v6, v39, v6
	v_and_b32_e32 v7, 0x7f800000, v6
	v_cmp_ne_u32_e64 s[4:5], s19, v7
                                        ; implicit-def: $vgpr7
                                        ; kill: killed $vgpr7
	s_and_saveexec_b64 s[10:11], s[4:5]
	s_xor_b64 s[4:5], exec, s[10:11]
	s_cbranch_execz .LBB352_772
; %bb.771:                              ;   in Loop: Header=BB352_552 Depth=1
	v_bfe_u32 v7, v6, 16, 1
	v_add3_u32 v6, v6, v7, s20
	scratch_store_dword off, v6, s32 offset:304 ; 4-byte Folded Spill
                                        ; implicit-def: $vgpr6
.LBB352_772:                            ;   in Loop: Header=BB352_552 Depth=1
	s_andn2_saveexec_b64 s[10:11], s[4:5]
	s_cbranch_execz .LBB352_774
; %bb.773:                              ;   in Loop: Header=BB352_552 Depth=1
	v_or_b32_e32 v7, 0x10000, v6
	v_cmp_eq_u32_sdwa s[4:5], v6, v33 src0_sel:WORD_0 src1_sel:DWORD
	s_nop 1
	v_cndmask_b32_e64 v6, v7, v6, s[4:5]
	scratch_store_dword off, v6, s32 offset:304 ; 4-byte Folded Spill
.LBB352_774:                            ;   in Loop: Header=BB352_552 Depth=1
	s_or_b64 exec, exec, s[10:11]
	v_lshlrev_b32_e32 v1, 16, v1
	v_mul_f32_e32 v1, v48, v1
	v_and_b32_e32 v6, 0x7f800000, v1
	v_cmp_ne_u32_e64 s[4:5], s19, v6
                                        ; implicit-def: $vgpr6
                                        ; kill: killed $vgpr6
	s_and_saveexec_b64 s[10:11], s[4:5]
	s_xor_b64 s[4:5], exec, s[10:11]
	s_cbranch_execz .LBB352_776
; %bb.775:                              ;   in Loop: Header=BB352_552 Depth=1
	v_bfe_u32 v6, v1, 16, 1
	v_add3_u32 v1, v1, v6, s20
	scratch_store_dword off, v1, s32 offset:308 ; 4-byte Folded Spill
                                        ; implicit-def: $vgpr1
.LBB352_776:                            ;   in Loop: Header=BB352_552 Depth=1
	s_andn2_saveexec_b64 s[10:11], s[4:5]
	s_cbranch_execz .LBB352_778
; %bb.777:                              ;   in Loop: Header=BB352_552 Depth=1
	v_or_b32_e32 v6, 0x10000, v1
	v_cmp_eq_u32_sdwa s[4:5], v1, v33 src0_sel:WORD_0 src1_sel:DWORD
	s_nop 1
	v_cndmask_b32_e64 v1, v6, v1, s[4:5]
	scratch_store_dword off, v1, s32 offset:308 ; 4-byte Folded Spill
.LBB352_778:                            ;   in Loop: Header=BB352_552 Depth=1
	s_or_b64 exec, exec, s[10:11]
	v_lshlrev_b32_e32 v0, 16, v0
	v_mul_f32_e32 v0, v49, v0
	v_and_b32_e32 v1, 0x7f800000, v0
	v_cmp_ne_u32_e64 s[4:5], s19, v1
                                        ; implicit-def: $vgpr1
                                        ; kill: killed $vgpr1
	s_and_saveexec_b64 s[10:11], s[4:5]
	s_xor_b64 s[4:5], exec, s[10:11]
	s_cbranch_execz .LBB352_780
; %bb.779:                              ;   in Loop: Header=BB352_552 Depth=1
	v_bfe_u32 v1, v0, 16, 1
	v_add3_u32 v0, v0, v1, s20
	scratch_store_dword off, v0, s32 offset:312 ; 4-byte Folded Spill
                                        ; implicit-def: $vgpr0
.LBB352_780:                            ;   in Loop: Header=BB352_552 Depth=1
	s_andn2_saveexec_b64 s[10:11], s[4:5]
	s_cbranch_execz .LBB352_782
; %bb.781:                              ;   in Loop: Header=BB352_552 Depth=1
	v_or_b32_e32 v1, 0x10000, v0
	v_cmp_eq_u32_sdwa s[4:5], v0, v33 src0_sel:WORD_0 src1_sel:DWORD
	s_nop 1
	v_cndmask_b32_e64 v0, v1, v0, s[4:5]
	scratch_store_dword off, v0, s32 offset:312 ; 4-byte Folded Spill
.LBB352_782:                            ;   in Loop: Header=BB352_552 Depth=1
	s_or_b64 exec, exec, s[10:11]
	flat_load_dwordx2 v[6:7], v[4:5] offset:1536
	s_waitcnt vmcnt(0) lgkmcnt(0)
	v_and_b32_e32 v0, 0xff, v6
	v_cvt_f32_fp8_sdwa v0, v0 src0_sel:BYTE_0
	s_nop 0
	v_mul_f32_e32 v1, v19, v0
	v_and_b32_e32 v0, 0x7f800000, v1
	v_cmp_ne_u32_e64 s[4:5], s19, v0
                                        ; implicit-def: $vgpr0
	s_and_saveexec_b64 s[10:11], s[4:5]
	s_xor_b64 s[4:5], exec, s[10:11]
; %bb.783:                              ;   in Loop: Header=BB352_552 Depth=1
	v_bfe_u32 v0, v1, 16, 1
	v_add3_u32 v0, v1, v0, s20
                                        ; implicit-def: $vgpr1
; %bb.784:                              ;   in Loop: Header=BB352_552 Depth=1
	s_andn2_saveexec_b64 s[10:11], s[4:5]
; %bb.785:                              ;   in Loop: Header=BB352_552 Depth=1
	v_or_b32_e32 v0, 0x10000, v1
	v_cmp_eq_u32_sdwa s[4:5], v1, v33 src0_sel:WORD_0 src1_sel:DWORD
	s_nop 1
	v_cndmask_b32_e64 v0, v0, v1, s[4:5]
; %bb.786:                              ;   in Loop: Header=BB352_552 Depth=1
	s_or_b64 exec, exec, s[10:11]
	v_bfe_u32 v1, v6, 8, 8
	v_cvt_f32_fp8_sdwa v1, v1 src0_sel:BYTE_0
	s_nop 0
	v_mul_f32_e32 v8, v19, v1
	v_and_b32_e32 v1, 0x7f800000, v8
	v_cmp_ne_u32_e64 s[4:5], s19, v1
                                        ; implicit-def: $vgpr1
	s_and_saveexec_b64 s[10:11], s[4:5]
	s_xor_b64 s[4:5], exec, s[10:11]
; %bb.787:                              ;   in Loop: Header=BB352_552 Depth=1
	v_bfe_u32 v1, v8, 16, 1
	v_add3_u32 v1, v8, v1, s20
                                        ; implicit-def: $vgpr8
; %bb.788:                              ;   in Loop: Header=BB352_552 Depth=1
	s_andn2_saveexec_b64 s[10:11], s[4:5]
; %bb.789:                              ;   in Loop: Header=BB352_552 Depth=1
	v_or_b32_e32 v1, 0x10000, v8
	v_cmp_eq_u32_sdwa s[4:5], v8, v33 src0_sel:WORD_0 src1_sel:DWORD
	s_nop 1
	v_cndmask_b32_e64 v1, v1, v8, s[4:5]
; %bb.790:                              ;   in Loop: Header=BB352_552 Depth=1
	s_or_b64 exec, exec, s[10:11]
	v_bfe_u32 v8, v6, 16, 8
	v_cvt_f32_fp8_sdwa v8, v8 src0_sel:BYTE_0
	s_nop 0
	v_mul_f32_e32 v9, v19, v8
	v_and_b32_e32 v8, 0x7f800000, v9
	v_cmp_ne_u32_e64 s[4:5], s19, v8
                                        ; implicit-def: $vgpr8
	s_and_saveexec_b64 s[10:11], s[4:5]
	s_xor_b64 s[4:5], exec, s[10:11]
; %bb.791:                              ;   in Loop: Header=BB352_552 Depth=1
	v_bfe_u32 v8, v9, 16, 1
	v_add3_u32 v8, v9, v8, s20
                                        ; implicit-def: $vgpr9
; %bb.792:                              ;   in Loop: Header=BB352_552 Depth=1
	s_andn2_saveexec_b64 s[10:11], s[4:5]
; %bb.793:                              ;   in Loop: Header=BB352_552 Depth=1
	v_or_b32_e32 v8, 0x10000, v9
	v_cmp_eq_u32_sdwa s[4:5], v9, v33 src0_sel:WORD_0 src1_sel:DWORD
	s_nop 1
	v_cndmask_b32_e64 v8, v8, v9, s[4:5]
; %bb.794:                              ;   in Loop: Header=BB352_552 Depth=1
	s_or_b64 exec, exec, s[10:11]
	v_lshrrev_b32_e32 v6, 24, v6
	v_cvt_f32_fp8_sdwa v6, v6 src0_sel:BYTE_0
	s_nop 0
	v_mul_f32_e32 v6, v19, v6
	v_and_b32_e32 v9, 0x7f800000, v6
	v_cmp_ne_u32_e64 s[4:5], s19, v9
                                        ; implicit-def: $vgpr9
	s_and_saveexec_b64 s[10:11], s[4:5]
	s_xor_b64 s[4:5], exec, s[10:11]
; %bb.795:                              ;   in Loop: Header=BB352_552 Depth=1
	v_bfe_u32 v9, v6, 16, 1
	v_add3_u32 v9, v6, v9, s20
                                        ; implicit-def: $vgpr6
; %bb.796:                              ;   in Loop: Header=BB352_552 Depth=1
	s_andn2_saveexec_b64 s[10:11], s[4:5]
; %bb.797:                              ;   in Loop: Header=BB352_552 Depth=1
	v_or_b32_e32 v9, 0x10000, v6
	v_cmp_eq_u32_sdwa s[4:5], v6, v33 src0_sel:WORD_0 src1_sel:DWORD
	s_nop 1
	v_cndmask_b32_e64 v9, v9, v6, s[4:5]
; %bb.798:                              ;   in Loop: Header=BB352_552 Depth=1
	s_or_b64 exec, exec, s[10:11]
	v_and_b32_e32 v6, 0xff, v7
	v_cvt_f32_fp8_sdwa v6, v6 src0_sel:BYTE_0
	s_nop 0
	v_mul_f32_e32 v6, v19, v6
	v_and_b32_e32 v10, 0x7f800000, v6
	v_cmp_ne_u32_e64 s[4:5], s19, v10
                                        ; implicit-def: $vgpr10
	s_and_saveexec_b64 s[10:11], s[4:5]
	s_xor_b64 s[4:5], exec, s[10:11]
; %bb.799:                              ;   in Loop: Header=BB352_552 Depth=1
	v_bfe_u32 v10, v6, 16, 1
	v_add3_u32 v10, v6, v10, s20
                                        ; implicit-def: $vgpr6
; %bb.800:                              ;   in Loop: Header=BB352_552 Depth=1
	s_andn2_saveexec_b64 s[10:11], s[4:5]
; %bb.801:                              ;   in Loop: Header=BB352_552 Depth=1
	v_or_b32_e32 v10, 0x10000, v6
	v_cmp_eq_u32_sdwa s[4:5], v6, v33 src0_sel:WORD_0 src1_sel:DWORD
	s_nop 1
	v_cndmask_b32_e64 v10, v10, v6, s[4:5]
; %bb.802:                              ;   in Loop: Header=BB352_552 Depth=1
	s_or_b64 exec, exec, s[10:11]
	v_bfe_u32 v6, v7, 8, 8
	v_cvt_f32_fp8_sdwa v6, v6 src0_sel:BYTE_0
	s_nop 0
	v_mul_f32_e32 v11, v19, v6
	v_and_b32_e32 v6, 0x7f800000, v11
	v_cmp_ne_u32_e64 s[4:5], s19, v6
                                        ; implicit-def: $vgpr6
	s_and_saveexec_b64 s[10:11], s[4:5]
	s_xor_b64 s[4:5], exec, s[10:11]
; %bb.803:                              ;   in Loop: Header=BB352_552 Depth=1
	v_bfe_u32 v6, v11, 16, 1
	v_add3_u32 v6, v11, v6, s20
                                        ; implicit-def: $vgpr11
; %bb.804:                              ;   in Loop: Header=BB352_552 Depth=1
	s_andn2_saveexec_b64 s[10:11], s[4:5]
; %bb.805:                              ;   in Loop: Header=BB352_552 Depth=1
	v_or_b32_e32 v6, 0x10000, v11
	v_cmp_eq_u32_sdwa s[4:5], v11, v33 src0_sel:WORD_0 src1_sel:DWORD
	s_nop 1
	v_cndmask_b32_e64 v6, v6, v11, s[4:5]
; %bb.806:                              ;   in Loop: Header=BB352_552 Depth=1
	s_or_b64 exec, exec, s[10:11]
	v_bfe_u32 v11, v7, 16, 8
	v_cvt_f32_fp8_sdwa v11, v11 src0_sel:BYTE_0
	s_nop 0
	v_mul_f32_e32 v18, v19, v11
	v_and_b32_e32 v11, 0x7f800000, v18
	v_cmp_ne_u32_e64 s[4:5], s19, v11
                                        ; implicit-def: $vgpr11
	s_and_saveexec_b64 s[10:11], s[4:5]
	s_xor_b64 s[4:5], exec, s[10:11]
; %bb.807:                              ;   in Loop: Header=BB352_552 Depth=1
	v_bfe_u32 v11, v18, 16, 1
	v_add3_u32 v11, v18, v11, s20
                                        ; implicit-def: $vgpr18
; %bb.808:                              ;   in Loop: Header=BB352_552 Depth=1
	s_andn2_saveexec_b64 s[10:11], s[4:5]
; %bb.809:                              ;   in Loop: Header=BB352_552 Depth=1
	v_or_b32_e32 v11, 0x10000, v18
	v_cmp_eq_u32_sdwa s[4:5], v18, v33 src0_sel:WORD_0 src1_sel:DWORD
	s_nop 1
	v_cndmask_b32_e64 v11, v11, v18, s[4:5]
; %bb.810:                              ;   in Loop: Header=BB352_552 Depth=1
	s_or_b64 exec, exec, s[10:11]
	v_lshrrev_b32_e32 v7, 24, v7
	v_cvt_f32_fp8_sdwa v7, v7 src0_sel:BYTE_0
                                        ; implicit-def: $vgpr22
	s_nop 0
	v_mul_f32_e32 v7, v19, v7
	v_and_b32_e32 v18, 0x7f800000, v7
	v_cmp_ne_u32_e64 s[4:5], s19, v18
	s_and_saveexec_b64 s[10:11], s[4:5]
	s_xor_b64 s[4:5], exec, s[10:11]
; %bb.811:                              ;   in Loop: Header=BB352_552 Depth=1
	v_bfe_u32 v18, v7, 16, 1
	v_add3_u32 v22, v7, v18, s20
                                        ; implicit-def: $vgpr7
; %bb.812:                              ;   in Loop: Header=BB352_552 Depth=1
	s_andn2_saveexec_b64 s[10:11], s[4:5]
; %bb.813:                              ;   in Loop: Header=BB352_552 Depth=1
	v_or_b32_e32 v18, 0x10000, v7
	v_cmp_eq_u32_sdwa s[4:5], v7, v33 src0_sel:WORD_0 src1_sel:DWORD
	s_nop 1
	v_cndmask_b32_e64 v22, v18, v7, s[4:5]
; %bb.814:                              ;   in Loop: Header=BB352_552 Depth=1
	s_or_b64 exec, exec, s[10:11]
	v_lshrrev_b32_e32 v6, 16, v6
	v_lshrrev_b32_e32 v7, 16, v10
	;; [unrolled: 1-line block ×8, first 2 shown]
	s_and_saveexec_b64 s[10:11], vcc
	s_cbranch_execz .LBB352_816
; %bb.815:                              ;   in Loop: Header=BB352_552 Depth=1
	v_accvgpr_read_b32 v11, a40
	v_cmp_lt_i32_e64 s[4:5], v11, v43
	v_accvgpr_read_b32 v11, a46
	s_nop 0
	v_cndmask_b32_e64 v18, 0, v18, s[4:5]
	v_cmp_lt_i32_e64 s[4:5], v11, v43
	v_accvgpr_read_b32 v11, a45
	s_nop 0
	v_cndmask_b32_e64 v10, 0, v10, s[4:5]
	;; [unrolled: 4-line block ×6, first 2 shown]
	v_cmp_lt_i32_e64 s[4:5], v11, v43
	s_nop 1
	v_cndmask_b32_e64 v1, 0, v1, s[4:5]
	v_cmp_lt_i32_e64 s[4:5], v59, v43
	s_nop 1
	v_cndmask_b32_e64 v0, 0, v0, s[4:5]
.LBB352_816:                            ;   in Loop: Header=BB352_552 Depth=1
	s_or_b64 exec, exec, s[10:11]
	v_lshlrev_b32_e32 v11, 16, v18
	v_mul_f32_e32 v11, v34, v11
	v_and_b32_e32 v18, 0x7f800000, v11
	v_cmp_ne_u32_e64 s[4:5], s19, v18
                                        ; implicit-def: $vgpr18
                                        ; kill: killed $vgpr18
	s_and_saveexec_b64 s[10:11], s[4:5]
	s_xor_b64 s[4:5], exec, s[10:11]
	s_cbranch_execz .LBB352_818
; %bb.817:                              ;   in Loop: Header=BB352_552 Depth=1
	v_bfe_u32 v18, v11, 16, 1
	v_add3_u32 v11, v11, v18, s20
	scratch_store_dword off, v11, s32 offset:316 ; 4-byte Folded Spill
                                        ; implicit-def: $vgpr11
.LBB352_818:                            ;   in Loop: Header=BB352_552 Depth=1
	s_andn2_saveexec_b64 s[10:11], s[4:5]
	s_cbranch_execz .LBB352_820
; %bb.819:                              ;   in Loop: Header=BB352_552 Depth=1
	v_or_b32_e32 v18, 0x10000, v11
	v_cmp_eq_u32_sdwa s[4:5], v11, v33 src0_sel:WORD_0 src1_sel:DWORD
	s_nop 1
	v_cndmask_b32_e64 v11, v18, v11, s[4:5]
	scratch_store_dword off, v11, s32 offset:316 ; 4-byte Folded Spill
.LBB352_820:                            ;   in Loop: Header=BB352_552 Depth=1
	s_or_b64 exec, exec, s[10:11]
	v_lshlrev_b32_e32 v10, 16, v10
	v_mul_f32_e32 v10, v35, v10
	v_and_b32_e32 v11, 0x7f800000, v10
	v_cmp_ne_u32_e64 s[4:5], s19, v11
                                        ; implicit-def: $vgpr11
                                        ; kill: killed $vgpr11
	s_and_saveexec_b64 s[10:11], s[4:5]
	s_xor_b64 s[4:5], exec, s[10:11]
	s_cbranch_execz .LBB352_822
; %bb.821:                              ;   in Loop: Header=BB352_552 Depth=1
	v_bfe_u32 v11, v10, 16, 1
	v_add3_u32 v10, v10, v11, s20
	scratch_store_dword off, v10, s32 offset:320 ; 4-byte Folded Spill
                                        ; implicit-def: $vgpr10
.LBB352_822:                            ;   in Loop: Header=BB352_552 Depth=1
	s_andn2_saveexec_b64 s[10:11], s[4:5]
	s_cbranch_execz .LBB352_824
; %bb.823:                              ;   in Loop: Header=BB352_552 Depth=1
	v_or_b32_e32 v11, 0x10000, v10
	v_cmp_eq_u32_sdwa s[4:5], v10, v33 src0_sel:WORD_0 src1_sel:DWORD
	s_nop 1
	v_cndmask_b32_e64 v10, v11, v10, s[4:5]
	scratch_store_dword off, v10, s32 offset:320 ; 4-byte Folded Spill
.LBB352_824:                            ;   in Loop: Header=BB352_552 Depth=1
	s_or_b64 exec, exec, s[10:11]
	v_lshlrev_b32_e32 v8, 16, v8
	v_mul_f32_e32 v8, v36, v8
	v_and_b32_e32 v10, 0x7f800000, v8
	v_cmp_ne_u32_e64 s[4:5], s19, v10
                                        ; implicit-def: $vgpr10
                                        ; kill: killed $vgpr10
	s_and_saveexec_b64 s[10:11], s[4:5]
	s_xor_b64 s[4:5], exec, s[10:11]
	s_cbranch_execz .LBB352_826
; %bb.825:                              ;   in Loop: Header=BB352_552 Depth=1
	v_bfe_u32 v10, v8, 16, 1
	v_add3_u32 v8, v8, v10, s20
	scratch_store_dword off, v8, s32 offset:324 ; 4-byte Folded Spill
                                        ; implicit-def: $vgpr8
.LBB352_826:                            ;   in Loop: Header=BB352_552 Depth=1
	s_andn2_saveexec_b64 s[10:11], s[4:5]
	s_cbranch_execz .LBB352_828
; %bb.827:                              ;   in Loop: Header=BB352_552 Depth=1
	v_or_b32_e32 v10, 0x10000, v8
	v_cmp_eq_u32_sdwa s[4:5], v8, v33 src0_sel:WORD_0 src1_sel:DWORD
	s_nop 1
	v_cndmask_b32_e64 v8, v10, v8, s[4:5]
	scratch_store_dword off, v8, s32 offset:324 ; 4-byte Folded Spill
.LBB352_828:                            ;   in Loop: Header=BB352_552 Depth=1
	s_or_b64 exec, exec, s[10:11]
	v_lshlrev_b32_e32 v8, 16, v9
	v_mul_f32_e32 v8, v37, v8
	v_and_b32_e32 v9, 0x7f800000, v8
	v_cmp_ne_u32_e64 s[4:5], s19, v9
                                        ; implicit-def: $vgpr9
                                        ; kill: killed $vgpr9
	s_and_saveexec_b64 s[10:11], s[4:5]
	s_xor_b64 s[4:5], exec, s[10:11]
	s_cbranch_execz .LBB352_830
; %bb.829:                              ;   in Loop: Header=BB352_552 Depth=1
	v_bfe_u32 v9, v8, 16, 1
	v_add3_u32 v8, v8, v9, s20
	scratch_store_dword off, v8, s32 offset:328 ; 4-byte Folded Spill
                                        ; implicit-def: $vgpr8
.LBB352_830:                            ;   in Loop: Header=BB352_552 Depth=1
	s_andn2_saveexec_b64 s[10:11], s[4:5]
	s_cbranch_execz .LBB352_832
; %bb.831:                              ;   in Loop: Header=BB352_552 Depth=1
	v_or_b32_e32 v9, 0x10000, v8
	v_cmp_eq_u32_sdwa s[4:5], v8, v33 src0_sel:WORD_0 src1_sel:DWORD
	s_nop 1
	v_cndmask_b32_e64 v8, v9, v8, s[4:5]
	scratch_store_dword off, v8, s32 offset:328 ; 4-byte Folded Spill
.LBB352_832:                            ;   in Loop: Header=BB352_552 Depth=1
	s_or_b64 exec, exec, s[10:11]
	v_lshlrev_b32_e32 v7, 16, v7
	v_mul_f32_e32 v7, v38, v7
	v_and_b32_e32 v8, 0x7f800000, v7
	v_cmp_ne_u32_e64 s[4:5], s19, v8
                                        ; implicit-def: $vgpr8
                                        ; kill: killed $vgpr8
	s_and_saveexec_b64 s[10:11], s[4:5]
	s_xor_b64 s[4:5], exec, s[10:11]
	s_cbranch_execz .LBB352_834
; %bb.833:                              ;   in Loop: Header=BB352_552 Depth=1
	v_bfe_u32 v8, v7, 16, 1
	v_add3_u32 v7, v7, v8, s20
	scratch_store_dword off, v7, s32 offset:332 ; 4-byte Folded Spill
                                        ; implicit-def: $vgpr7
.LBB352_834:                            ;   in Loop: Header=BB352_552 Depth=1
	s_andn2_saveexec_b64 s[10:11], s[4:5]
	s_cbranch_execz .LBB352_836
; %bb.835:                              ;   in Loop: Header=BB352_552 Depth=1
	v_or_b32_e32 v8, 0x10000, v7
	v_cmp_eq_u32_sdwa s[4:5], v7, v33 src0_sel:WORD_0 src1_sel:DWORD
	s_nop 1
	v_cndmask_b32_e64 v7, v8, v7, s[4:5]
	scratch_store_dword off, v7, s32 offset:332 ; 4-byte Folded Spill
.LBB352_836:                            ;   in Loop: Header=BB352_552 Depth=1
	s_or_b64 exec, exec, s[10:11]
	v_lshlrev_b32_e32 v6, 16, v6
	v_mul_f32_e32 v6, v39, v6
	v_and_b32_e32 v7, 0x7f800000, v6
	v_cmp_ne_u32_e64 s[4:5], s19, v7
                                        ; implicit-def: $vgpr7
                                        ; kill: killed $vgpr7
	s_and_saveexec_b64 s[10:11], s[4:5]
	s_xor_b64 s[4:5], exec, s[10:11]
	s_cbranch_execz .LBB352_838
; %bb.837:                              ;   in Loop: Header=BB352_552 Depth=1
	v_bfe_u32 v7, v6, 16, 1
	v_add3_u32 v6, v6, v7, s20
	scratch_store_dword off, v6, s32 offset:336 ; 4-byte Folded Spill
                                        ; implicit-def: $vgpr6
.LBB352_838:                            ;   in Loop: Header=BB352_552 Depth=1
	s_andn2_saveexec_b64 s[10:11], s[4:5]
	s_cbranch_execz .LBB352_840
; %bb.839:                              ;   in Loop: Header=BB352_552 Depth=1
	v_or_b32_e32 v7, 0x10000, v6
	v_cmp_eq_u32_sdwa s[4:5], v6, v33 src0_sel:WORD_0 src1_sel:DWORD
	s_nop 1
	v_cndmask_b32_e64 v6, v7, v6, s[4:5]
	scratch_store_dword off, v6, s32 offset:336 ; 4-byte Folded Spill
.LBB352_840:                            ;   in Loop: Header=BB352_552 Depth=1
	s_or_b64 exec, exec, s[10:11]
	v_lshlrev_b32_e32 v1, 16, v1
	v_mul_f32_e32 v1, v48, v1
	v_and_b32_e32 v6, 0x7f800000, v1
	v_cmp_ne_u32_e64 s[4:5], s19, v6
                                        ; implicit-def: $vgpr6
                                        ; kill: killed $vgpr6
	s_and_saveexec_b64 s[10:11], s[4:5]
	s_xor_b64 s[4:5], exec, s[10:11]
	s_cbranch_execz .LBB352_842
; %bb.841:                              ;   in Loop: Header=BB352_552 Depth=1
	v_bfe_u32 v6, v1, 16, 1
	v_add3_u32 v1, v1, v6, s20
	scratch_store_dword off, v1, s32 offset:340 ; 4-byte Folded Spill
                                        ; implicit-def: $vgpr1
.LBB352_842:                            ;   in Loop: Header=BB352_552 Depth=1
	s_andn2_saveexec_b64 s[10:11], s[4:5]
	s_cbranch_execz .LBB352_844
; %bb.843:                              ;   in Loop: Header=BB352_552 Depth=1
	v_or_b32_e32 v6, 0x10000, v1
	v_cmp_eq_u32_sdwa s[4:5], v1, v33 src0_sel:WORD_0 src1_sel:DWORD
	s_nop 1
	v_cndmask_b32_e64 v1, v6, v1, s[4:5]
	scratch_store_dword off, v1, s32 offset:340 ; 4-byte Folded Spill
.LBB352_844:                            ;   in Loop: Header=BB352_552 Depth=1
	s_or_b64 exec, exec, s[10:11]
	v_lshlrev_b32_e32 v0, 16, v0
	v_mul_f32_e32 v0, v49, v0
	v_and_b32_e32 v1, 0x7f800000, v0
	v_cmp_ne_u32_e64 s[4:5], s19, v1
                                        ; implicit-def: $vgpr1
                                        ; kill: killed $vgpr1
	s_and_saveexec_b64 s[10:11], s[4:5]
	s_xor_b64 s[4:5], exec, s[10:11]
	s_cbranch_execz .LBB352_846
; %bb.845:                              ;   in Loop: Header=BB352_552 Depth=1
	v_bfe_u32 v1, v0, 16, 1
	v_add3_u32 v0, v0, v1, s20
	scratch_store_dword off, v0, s32 offset:344 ; 4-byte Folded Spill
                                        ; implicit-def: $vgpr0
.LBB352_846:                            ;   in Loop: Header=BB352_552 Depth=1
	s_andn2_saveexec_b64 s[10:11], s[4:5]
	s_cbranch_execz .LBB352_848
; %bb.847:                              ;   in Loop: Header=BB352_552 Depth=1
	v_or_b32_e32 v1, 0x10000, v0
	v_cmp_eq_u32_sdwa s[4:5], v0, v33 src0_sel:WORD_0 src1_sel:DWORD
	s_nop 1
	v_cndmask_b32_e64 v0, v1, v0, s[4:5]
	scratch_store_dword off, v0, s32 offset:344 ; 4-byte Folded Spill
.LBB352_848:                            ;   in Loop: Header=BB352_552 Depth=1
	s_or_b64 exec, exec, s[10:11]
	flat_load_dwordx2 v[6:7], v[4:5] offset:2048
	s_waitcnt vmcnt(0) lgkmcnt(0)
	v_and_b32_e32 v0, 0xff, v6
	v_cvt_f32_fp8_sdwa v0, v0 src0_sel:BYTE_0
	s_nop 0
	v_mul_f32_e32 v1, v19, v0
	v_and_b32_e32 v0, 0x7f800000, v1
	v_cmp_ne_u32_e64 s[4:5], s19, v0
                                        ; implicit-def: $vgpr0
	s_and_saveexec_b64 s[10:11], s[4:5]
	s_xor_b64 s[4:5], exec, s[10:11]
; %bb.849:                              ;   in Loop: Header=BB352_552 Depth=1
	v_bfe_u32 v0, v1, 16, 1
	v_add3_u32 v0, v1, v0, s20
                                        ; implicit-def: $vgpr1
; %bb.850:                              ;   in Loop: Header=BB352_552 Depth=1
	s_andn2_saveexec_b64 s[10:11], s[4:5]
; %bb.851:                              ;   in Loop: Header=BB352_552 Depth=1
	v_or_b32_e32 v0, 0x10000, v1
	v_cmp_eq_u32_sdwa s[4:5], v1, v33 src0_sel:WORD_0 src1_sel:DWORD
	s_nop 1
	v_cndmask_b32_e64 v0, v0, v1, s[4:5]
; %bb.852:                              ;   in Loop: Header=BB352_552 Depth=1
	s_or_b64 exec, exec, s[10:11]
	v_bfe_u32 v1, v6, 8, 8
	v_cvt_f32_fp8_sdwa v1, v1 src0_sel:BYTE_0
	s_nop 0
	v_mul_f32_e32 v8, v19, v1
	v_and_b32_e32 v1, 0x7f800000, v8
	v_cmp_ne_u32_e64 s[4:5], s19, v1
                                        ; implicit-def: $vgpr1
	s_and_saveexec_b64 s[10:11], s[4:5]
	s_xor_b64 s[4:5], exec, s[10:11]
; %bb.853:                              ;   in Loop: Header=BB352_552 Depth=1
	v_bfe_u32 v1, v8, 16, 1
	v_add3_u32 v1, v8, v1, s20
                                        ; implicit-def: $vgpr8
; %bb.854:                              ;   in Loop: Header=BB352_552 Depth=1
	s_andn2_saveexec_b64 s[10:11], s[4:5]
; %bb.855:                              ;   in Loop: Header=BB352_552 Depth=1
	v_or_b32_e32 v1, 0x10000, v8
	v_cmp_eq_u32_sdwa s[4:5], v8, v33 src0_sel:WORD_0 src1_sel:DWORD
	s_nop 1
	v_cndmask_b32_e64 v1, v1, v8, s[4:5]
; %bb.856:                              ;   in Loop: Header=BB352_552 Depth=1
	s_or_b64 exec, exec, s[10:11]
	v_bfe_u32 v8, v6, 16, 8
	v_cvt_f32_fp8_sdwa v8, v8 src0_sel:BYTE_0
	s_nop 0
	v_mul_f32_e32 v9, v19, v8
	v_and_b32_e32 v8, 0x7f800000, v9
	v_cmp_ne_u32_e64 s[4:5], s19, v8
                                        ; implicit-def: $vgpr8
	s_and_saveexec_b64 s[10:11], s[4:5]
	s_xor_b64 s[4:5], exec, s[10:11]
; %bb.857:                              ;   in Loop: Header=BB352_552 Depth=1
	v_bfe_u32 v8, v9, 16, 1
	v_add3_u32 v8, v9, v8, s20
                                        ; implicit-def: $vgpr9
; %bb.858:                              ;   in Loop: Header=BB352_552 Depth=1
	s_andn2_saveexec_b64 s[10:11], s[4:5]
; %bb.859:                              ;   in Loop: Header=BB352_552 Depth=1
	v_or_b32_e32 v8, 0x10000, v9
	v_cmp_eq_u32_sdwa s[4:5], v9, v33 src0_sel:WORD_0 src1_sel:DWORD
	s_nop 1
	v_cndmask_b32_e64 v8, v8, v9, s[4:5]
; %bb.860:                              ;   in Loop: Header=BB352_552 Depth=1
	s_or_b64 exec, exec, s[10:11]
	v_lshrrev_b32_e32 v6, 24, v6
	v_cvt_f32_fp8_sdwa v6, v6 src0_sel:BYTE_0
	s_nop 0
	v_mul_f32_e32 v6, v19, v6
	v_and_b32_e32 v9, 0x7f800000, v6
	v_cmp_ne_u32_e64 s[4:5], s19, v9
                                        ; implicit-def: $vgpr9
	s_and_saveexec_b64 s[10:11], s[4:5]
	s_xor_b64 s[4:5], exec, s[10:11]
; %bb.861:                              ;   in Loop: Header=BB352_552 Depth=1
	v_bfe_u32 v9, v6, 16, 1
	v_add3_u32 v9, v6, v9, s20
                                        ; implicit-def: $vgpr6
; %bb.862:                              ;   in Loop: Header=BB352_552 Depth=1
	s_andn2_saveexec_b64 s[10:11], s[4:5]
; %bb.863:                              ;   in Loop: Header=BB352_552 Depth=1
	v_or_b32_e32 v9, 0x10000, v6
	v_cmp_eq_u32_sdwa s[4:5], v6, v33 src0_sel:WORD_0 src1_sel:DWORD
	s_nop 1
	v_cndmask_b32_e64 v9, v9, v6, s[4:5]
; %bb.864:                              ;   in Loop: Header=BB352_552 Depth=1
	s_or_b64 exec, exec, s[10:11]
	v_and_b32_e32 v6, 0xff, v7
	v_cvt_f32_fp8_sdwa v6, v6 src0_sel:BYTE_0
	s_nop 0
	v_mul_f32_e32 v6, v19, v6
	v_and_b32_e32 v10, 0x7f800000, v6
	v_cmp_ne_u32_e64 s[4:5], s19, v10
                                        ; implicit-def: $vgpr10
	s_and_saveexec_b64 s[10:11], s[4:5]
	s_xor_b64 s[4:5], exec, s[10:11]
; %bb.865:                              ;   in Loop: Header=BB352_552 Depth=1
	v_bfe_u32 v10, v6, 16, 1
	v_add3_u32 v10, v6, v10, s20
                                        ; implicit-def: $vgpr6
; %bb.866:                              ;   in Loop: Header=BB352_552 Depth=1
	s_andn2_saveexec_b64 s[10:11], s[4:5]
; %bb.867:                              ;   in Loop: Header=BB352_552 Depth=1
	v_or_b32_e32 v10, 0x10000, v6
	v_cmp_eq_u32_sdwa s[4:5], v6, v33 src0_sel:WORD_0 src1_sel:DWORD
	s_nop 1
	v_cndmask_b32_e64 v10, v10, v6, s[4:5]
; %bb.868:                              ;   in Loop: Header=BB352_552 Depth=1
	s_or_b64 exec, exec, s[10:11]
	v_bfe_u32 v6, v7, 8, 8
	v_cvt_f32_fp8_sdwa v6, v6 src0_sel:BYTE_0
	s_nop 0
	v_mul_f32_e32 v11, v19, v6
	v_and_b32_e32 v6, 0x7f800000, v11
	v_cmp_ne_u32_e64 s[4:5], s19, v6
                                        ; implicit-def: $vgpr6
	s_and_saveexec_b64 s[10:11], s[4:5]
	s_xor_b64 s[4:5], exec, s[10:11]
; %bb.869:                              ;   in Loop: Header=BB352_552 Depth=1
	v_bfe_u32 v6, v11, 16, 1
	v_add3_u32 v6, v11, v6, s20
                                        ; implicit-def: $vgpr11
; %bb.870:                              ;   in Loop: Header=BB352_552 Depth=1
	s_andn2_saveexec_b64 s[10:11], s[4:5]
; %bb.871:                              ;   in Loop: Header=BB352_552 Depth=1
	v_or_b32_e32 v6, 0x10000, v11
	v_cmp_eq_u32_sdwa s[4:5], v11, v33 src0_sel:WORD_0 src1_sel:DWORD
	s_nop 1
	v_cndmask_b32_e64 v6, v6, v11, s[4:5]
; %bb.872:                              ;   in Loop: Header=BB352_552 Depth=1
	s_or_b64 exec, exec, s[10:11]
	v_bfe_u32 v11, v7, 16, 8
	v_cvt_f32_fp8_sdwa v11, v11 src0_sel:BYTE_0
	s_nop 0
	v_mul_f32_e32 v18, v19, v11
	v_and_b32_e32 v11, 0x7f800000, v18
	v_cmp_ne_u32_e64 s[4:5], s19, v11
                                        ; implicit-def: $vgpr11
	s_and_saveexec_b64 s[10:11], s[4:5]
	s_xor_b64 s[4:5], exec, s[10:11]
; %bb.873:                              ;   in Loop: Header=BB352_552 Depth=1
	v_bfe_u32 v11, v18, 16, 1
	v_add3_u32 v11, v18, v11, s20
                                        ; implicit-def: $vgpr18
; %bb.874:                              ;   in Loop: Header=BB352_552 Depth=1
	s_andn2_saveexec_b64 s[10:11], s[4:5]
; %bb.875:                              ;   in Loop: Header=BB352_552 Depth=1
	v_or_b32_e32 v11, 0x10000, v18
	v_cmp_eq_u32_sdwa s[4:5], v18, v33 src0_sel:WORD_0 src1_sel:DWORD
	s_nop 1
	v_cndmask_b32_e64 v11, v11, v18, s[4:5]
; %bb.876:                              ;   in Loop: Header=BB352_552 Depth=1
	s_or_b64 exec, exec, s[10:11]
	v_lshrrev_b32_e32 v7, 24, v7
	v_cvt_f32_fp8_sdwa v7, v7 src0_sel:BYTE_0
                                        ; implicit-def: $vgpr22
	s_nop 0
	v_mul_f32_e32 v7, v19, v7
	v_and_b32_e32 v18, 0x7f800000, v7
	v_cmp_ne_u32_e64 s[4:5], s19, v18
	s_and_saveexec_b64 s[10:11], s[4:5]
	s_xor_b64 s[4:5], exec, s[10:11]
; %bb.877:                              ;   in Loop: Header=BB352_552 Depth=1
	v_bfe_u32 v18, v7, 16, 1
	v_add3_u32 v22, v7, v18, s20
                                        ; implicit-def: $vgpr7
; %bb.878:                              ;   in Loop: Header=BB352_552 Depth=1
	s_andn2_saveexec_b64 s[10:11], s[4:5]
; %bb.879:                              ;   in Loop: Header=BB352_552 Depth=1
	v_or_b32_e32 v18, 0x10000, v7
	v_cmp_eq_u32_sdwa s[4:5], v7, v33 src0_sel:WORD_0 src1_sel:DWORD
	s_nop 1
	v_cndmask_b32_e64 v22, v18, v7, s[4:5]
; %bb.880:                              ;   in Loop: Header=BB352_552 Depth=1
	s_or_b64 exec, exec, s[10:11]
	v_lshrrev_b32_e32 v6, 16, v6
	v_lshrrev_b32_e32 v7, 16, v10
	;; [unrolled: 1-line block ×8, first 2 shown]
	s_and_saveexec_b64 s[10:11], vcc
	s_cbranch_execz .LBB352_882
; %bb.881:                              ;   in Loop: Header=BB352_552 Depth=1
	v_accvgpr_read_b32 v11, a40
	v_cmp_lt_i32_e64 s[4:5], v11, v43
	v_accvgpr_read_b32 v11, a46
	s_nop 0
	v_cndmask_b32_e64 v18, 0, v18, s[4:5]
	v_cmp_lt_i32_e64 s[4:5], v11, v43
	v_accvgpr_read_b32 v11, a45
	s_nop 0
	v_cndmask_b32_e64 v10, 0, v10, s[4:5]
	;; [unrolled: 4-line block ×6, first 2 shown]
	v_cmp_lt_i32_e64 s[4:5], v11, v43
	s_nop 1
	v_cndmask_b32_e64 v1, 0, v1, s[4:5]
	v_cmp_lt_i32_e64 s[4:5], v59, v43
	s_nop 1
	v_cndmask_b32_e64 v0, 0, v0, s[4:5]
.LBB352_882:                            ;   in Loop: Header=BB352_552 Depth=1
	s_or_b64 exec, exec, s[10:11]
	v_lshlrev_b32_e32 v11, 16, v18
	v_mul_f32_e32 v11, v34, v11
	v_and_b32_e32 v18, 0x7f800000, v11
	v_cmp_ne_u32_e64 s[4:5], s19, v18
                                        ; implicit-def: $vgpr18
                                        ; kill: killed $vgpr18
	s_and_saveexec_b64 s[10:11], s[4:5]
	s_xor_b64 s[4:5], exec, s[10:11]
	s_cbranch_execz .LBB352_884
; %bb.883:                              ;   in Loop: Header=BB352_552 Depth=1
	v_bfe_u32 v18, v11, 16, 1
	v_add3_u32 v11, v11, v18, s20
	scratch_store_dword off, v11, s32 offset:348 ; 4-byte Folded Spill
                                        ; implicit-def: $vgpr11
.LBB352_884:                            ;   in Loop: Header=BB352_552 Depth=1
	s_andn2_saveexec_b64 s[10:11], s[4:5]
	s_cbranch_execz .LBB352_886
; %bb.885:                              ;   in Loop: Header=BB352_552 Depth=1
	v_or_b32_e32 v18, 0x10000, v11
	v_cmp_eq_u32_sdwa s[4:5], v11, v33 src0_sel:WORD_0 src1_sel:DWORD
	s_nop 1
	v_cndmask_b32_e64 v11, v18, v11, s[4:5]
	scratch_store_dword off, v11, s32 offset:348 ; 4-byte Folded Spill
.LBB352_886:                            ;   in Loop: Header=BB352_552 Depth=1
	s_or_b64 exec, exec, s[10:11]
	v_lshlrev_b32_e32 v10, 16, v10
	v_mul_f32_e32 v10, v35, v10
	v_and_b32_e32 v11, 0x7f800000, v10
	v_cmp_ne_u32_e64 s[4:5], s19, v11
                                        ; implicit-def: $vgpr11
                                        ; kill: killed $vgpr11
	s_and_saveexec_b64 s[10:11], s[4:5]
	s_xor_b64 s[4:5], exec, s[10:11]
	s_cbranch_execz .LBB352_888
; %bb.887:                              ;   in Loop: Header=BB352_552 Depth=1
	v_bfe_u32 v11, v10, 16, 1
	v_add3_u32 v10, v10, v11, s20
	scratch_store_dword off, v10, s32 offset:352 ; 4-byte Folded Spill
                                        ; implicit-def: $vgpr10
.LBB352_888:                            ;   in Loop: Header=BB352_552 Depth=1
	s_andn2_saveexec_b64 s[10:11], s[4:5]
	s_cbranch_execz .LBB352_890
; %bb.889:                              ;   in Loop: Header=BB352_552 Depth=1
	v_or_b32_e32 v11, 0x10000, v10
	v_cmp_eq_u32_sdwa s[4:5], v10, v33 src0_sel:WORD_0 src1_sel:DWORD
	s_nop 1
	v_cndmask_b32_e64 v10, v11, v10, s[4:5]
	scratch_store_dword off, v10, s32 offset:352 ; 4-byte Folded Spill
.LBB352_890:                            ;   in Loop: Header=BB352_552 Depth=1
	s_or_b64 exec, exec, s[10:11]
	v_lshlrev_b32_e32 v8, 16, v8
	v_mul_f32_e32 v8, v36, v8
	v_and_b32_e32 v10, 0x7f800000, v8
	v_cmp_ne_u32_e64 s[4:5], s19, v10
                                        ; implicit-def: $vgpr10
                                        ; kill: killed $vgpr10
	s_and_saveexec_b64 s[10:11], s[4:5]
	s_xor_b64 s[4:5], exec, s[10:11]
	s_cbranch_execz .LBB352_892
; %bb.891:                              ;   in Loop: Header=BB352_552 Depth=1
	v_bfe_u32 v10, v8, 16, 1
	v_add3_u32 v8, v8, v10, s20
	scratch_store_dword off, v8, s32 offset:356 ; 4-byte Folded Spill
                                        ; implicit-def: $vgpr8
.LBB352_892:                            ;   in Loop: Header=BB352_552 Depth=1
	s_andn2_saveexec_b64 s[10:11], s[4:5]
	s_cbranch_execz .LBB352_894
; %bb.893:                              ;   in Loop: Header=BB352_552 Depth=1
	v_or_b32_e32 v10, 0x10000, v8
	v_cmp_eq_u32_sdwa s[4:5], v8, v33 src0_sel:WORD_0 src1_sel:DWORD
	s_nop 1
	v_cndmask_b32_e64 v8, v10, v8, s[4:5]
	scratch_store_dword off, v8, s32 offset:356 ; 4-byte Folded Spill
.LBB352_894:                            ;   in Loop: Header=BB352_552 Depth=1
	s_or_b64 exec, exec, s[10:11]
	v_lshlrev_b32_e32 v8, 16, v9
	v_mul_f32_e32 v8, v37, v8
	v_and_b32_e32 v9, 0x7f800000, v8
	v_cmp_ne_u32_e64 s[4:5], s19, v9
                                        ; implicit-def: $vgpr9
                                        ; kill: killed $vgpr9
	s_and_saveexec_b64 s[10:11], s[4:5]
	s_xor_b64 s[4:5], exec, s[10:11]
	s_cbranch_execz .LBB352_896
; %bb.895:                              ;   in Loop: Header=BB352_552 Depth=1
	v_bfe_u32 v9, v8, 16, 1
	v_add3_u32 v8, v8, v9, s20
	scratch_store_dword off, v8, s32 offset:360 ; 4-byte Folded Spill
                                        ; implicit-def: $vgpr8
.LBB352_896:                            ;   in Loop: Header=BB352_552 Depth=1
	s_andn2_saveexec_b64 s[10:11], s[4:5]
	s_cbranch_execz .LBB352_898
; %bb.897:                              ;   in Loop: Header=BB352_552 Depth=1
	v_or_b32_e32 v9, 0x10000, v8
	v_cmp_eq_u32_sdwa s[4:5], v8, v33 src0_sel:WORD_0 src1_sel:DWORD
	s_nop 1
	v_cndmask_b32_e64 v8, v9, v8, s[4:5]
	scratch_store_dword off, v8, s32 offset:360 ; 4-byte Folded Spill
.LBB352_898:                            ;   in Loop: Header=BB352_552 Depth=1
	s_or_b64 exec, exec, s[10:11]
	v_lshlrev_b32_e32 v7, 16, v7
	v_mul_f32_e32 v7, v38, v7
	v_and_b32_e32 v8, 0x7f800000, v7
	v_cmp_ne_u32_e64 s[4:5], s19, v8
                                        ; implicit-def: $vgpr8
                                        ; kill: killed $vgpr8
	s_and_saveexec_b64 s[10:11], s[4:5]
	s_xor_b64 s[4:5], exec, s[10:11]
	s_cbranch_execz .LBB352_900
; %bb.899:                              ;   in Loop: Header=BB352_552 Depth=1
	v_bfe_u32 v8, v7, 16, 1
	v_add3_u32 v7, v7, v8, s20
	scratch_store_dword off, v7, s32 offset:364 ; 4-byte Folded Spill
                                        ; implicit-def: $vgpr7
.LBB352_900:                            ;   in Loop: Header=BB352_552 Depth=1
	s_andn2_saveexec_b64 s[10:11], s[4:5]
	s_cbranch_execz .LBB352_902
; %bb.901:                              ;   in Loop: Header=BB352_552 Depth=1
	v_or_b32_e32 v8, 0x10000, v7
	v_cmp_eq_u32_sdwa s[4:5], v7, v33 src0_sel:WORD_0 src1_sel:DWORD
	s_nop 1
	v_cndmask_b32_e64 v7, v8, v7, s[4:5]
	scratch_store_dword off, v7, s32 offset:364 ; 4-byte Folded Spill
.LBB352_902:                            ;   in Loop: Header=BB352_552 Depth=1
	s_or_b64 exec, exec, s[10:11]
	v_lshlrev_b32_e32 v6, 16, v6
	v_mul_f32_e32 v6, v39, v6
	v_and_b32_e32 v7, 0x7f800000, v6
	v_cmp_ne_u32_e64 s[4:5], s19, v7
                                        ; implicit-def: $vgpr7
                                        ; kill: killed $vgpr7
	s_and_saveexec_b64 s[10:11], s[4:5]
	s_xor_b64 s[4:5], exec, s[10:11]
	s_cbranch_execz .LBB352_904
; %bb.903:                              ;   in Loop: Header=BB352_552 Depth=1
	v_bfe_u32 v7, v6, 16, 1
	v_add3_u32 v6, v6, v7, s20
	scratch_store_dword off, v6, s32 offset:368 ; 4-byte Folded Spill
                                        ; implicit-def: $vgpr6
.LBB352_904:                            ;   in Loop: Header=BB352_552 Depth=1
	s_andn2_saveexec_b64 s[10:11], s[4:5]
	s_cbranch_execz .LBB352_906
; %bb.905:                              ;   in Loop: Header=BB352_552 Depth=1
	v_or_b32_e32 v7, 0x10000, v6
	v_cmp_eq_u32_sdwa s[4:5], v6, v33 src0_sel:WORD_0 src1_sel:DWORD
	s_nop 1
	v_cndmask_b32_e64 v6, v7, v6, s[4:5]
	scratch_store_dword off, v6, s32 offset:368 ; 4-byte Folded Spill
.LBB352_906:                            ;   in Loop: Header=BB352_552 Depth=1
	s_or_b64 exec, exec, s[10:11]
	v_lshlrev_b32_e32 v1, 16, v1
	v_mul_f32_e32 v1, v48, v1
	v_and_b32_e32 v6, 0x7f800000, v1
	v_cmp_ne_u32_e64 s[4:5], s19, v6
                                        ; implicit-def: $vgpr6
                                        ; kill: killed $vgpr6
	s_and_saveexec_b64 s[10:11], s[4:5]
	s_xor_b64 s[4:5], exec, s[10:11]
	s_cbranch_execz .LBB352_908
; %bb.907:                              ;   in Loop: Header=BB352_552 Depth=1
	v_bfe_u32 v6, v1, 16, 1
	v_add3_u32 v1, v1, v6, s20
	scratch_store_dword off, v1, s32 offset:372 ; 4-byte Folded Spill
                                        ; implicit-def: $vgpr1
.LBB352_908:                            ;   in Loop: Header=BB352_552 Depth=1
	s_andn2_saveexec_b64 s[10:11], s[4:5]
	s_cbranch_execz .LBB352_910
; %bb.909:                              ;   in Loop: Header=BB352_552 Depth=1
	v_or_b32_e32 v6, 0x10000, v1
	v_cmp_eq_u32_sdwa s[4:5], v1, v33 src0_sel:WORD_0 src1_sel:DWORD
	s_nop 1
	v_cndmask_b32_e64 v1, v6, v1, s[4:5]
	scratch_store_dword off, v1, s32 offset:372 ; 4-byte Folded Spill
.LBB352_910:                            ;   in Loop: Header=BB352_552 Depth=1
	s_or_b64 exec, exec, s[10:11]
	v_lshlrev_b32_e32 v0, 16, v0
	v_mul_f32_e32 v0, v49, v0
	v_and_b32_e32 v1, 0x7f800000, v0
	v_cmp_ne_u32_e64 s[4:5], s19, v1
                                        ; implicit-def: $vgpr1
                                        ; kill: killed $vgpr1
	s_and_saveexec_b64 s[10:11], s[4:5]
	s_xor_b64 s[4:5], exec, s[10:11]
	s_cbranch_execz .LBB352_912
; %bb.911:                              ;   in Loop: Header=BB352_552 Depth=1
	v_bfe_u32 v1, v0, 16, 1
	v_add3_u32 v0, v0, v1, s20
	scratch_store_dword off, v0, s32 offset:376 ; 4-byte Folded Spill
                                        ; implicit-def: $vgpr0
.LBB352_912:                            ;   in Loop: Header=BB352_552 Depth=1
	s_andn2_saveexec_b64 s[10:11], s[4:5]
	s_cbranch_execz .LBB352_914
; %bb.913:                              ;   in Loop: Header=BB352_552 Depth=1
	v_or_b32_e32 v1, 0x10000, v0
	v_cmp_eq_u32_sdwa s[4:5], v0, v33 src0_sel:WORD_0 src1_sel:DWORD
	s_nop 1
	v_cndmask_b32_e64 v0, v1, v0, s[4:5]
	scratch_store_dword off, v0, s32 offset:376 ; 4-byte Folded Spill
.LBB352_914:                            ;   in Loop: Header=BB352_552 Depth=1
	s_or_b64 exec, exec, s[10:11]
	flat_load_dwordx2 v[6:7], v[4:5] offset:2560
	s_waitcnt vmcnt(0) lgkmcnt(0)
	v_and_b32_e32 v0, 0xff, v6
	v_cvt_f32_fp8_sdwa v0, v0 src0_sel:BYTE_0
	s_nop 0
	v_mul_f32_e32 v1, v19, v0
	v_and_b32_e32 v0, 0x7f800000, v1
	v_cmp_ne_u32_e64 s[4:5], s19, v0
                                        ; implicit-def: $vgpr0
	s_and_saveexec_b64 s[10:11], s[4:5]
	s_xor_b64 s[4:5], exec, s[10:11]
; %bb.915:                              ;   in Loop: Header=BB352_552 Depth=1
	v_bfe_u32 v0, v1, 16, 1
	v_add3_u32 v0, v1, v0, s20
                                        ; implicit-def: $vgpr1
; %bb.916:                              ;   in Loop: Header=BB352_552 Depth=1
	s_andn2_saveexec_b64 s[10:11], s[4:5]
; %bb.917:                              ;   in Loop: Header=BB352_552 Depth=1
	v_or_b32_e32 v0, 0x10000, v1
	v_cmp_eq_u32_sdwa s[4:5], v1, v33 src0_sel:WORD_0 src1_sel:DWORD
	s_nop 1
	v_cndmask_b32_e64 v0, v0, v1, s[4:5]
; %bb.918:                              ;   in Loop: Header=BB352_552 Depth=1
	s_or_b64 exec, exec, s[10:11]
	v_bfe_u32 v1, v6, 8, 8
	v_cvt_f32_fp8_sdwa v1, v1 src0_sel:BYTE_0
	s_nop 0
	v_mul_f32_e32 v8, v19, v1
	v_and_b32_e32 v1, 0x7f800000, v8
	v_cmp_ne_u32_e64 s[4:5], s19, v1
                                        ; implicit-def: $vgpr1
	s_and_saveexec_b64 s[10:11], s[4:5]
	s_xor_b64 s[4:5], exec, s[10:11]
; %bb.919:                              ;   in Loop: Header=BB352_552 Depth=1
	v_bfe_u32 v1, v8, 16, 1
	v_add3_u32 v1, v8, v1, s20
                                        ; implicit-def: $vgpr8
; %bb.920:                              ;   in Loop: Header=BB352_552 Depth=1
	s_andn2_saveexec_b64 s[10:11], s[4:5]
; %bb.921:                              ;   in Loop: Header=BB352_552 Depth=1
	v_or_b32_e32 v1, 0x10000, v8
	v_cmp_eq_u32_sdwa s[4:5], v8, v33 src0_sel:WORD_0 src1_sel:DWORD
	s_nop 1
	v_cndmask_b32_e64 v1, v1, v8, s[4:5]
; %bb.922:                              ;   in Loop: Header=BB352_552 Depth=1
	s_or_b64 exec, exec, s[10:11]
	v_bfe_u32 v8, v6, 16, 8
	v_cvt_f32_fp8_sdwa v8, v8 src0_sel:BYTE_0
	s_nop 0
	v_mul_f32_e32 v9, v19, v8
	v_and_b32_e32 v8, 0x7f800000, v9
	v_cmp_ne_u32_e64 s[4:5], s19, v8
                                        ; implicit-def: $vgpr8
	s_and_saveexec_b64 s[10:11], s[4:5]
	s_xor_b64 s[4:5], exec, s[10:11]
; %bb.923:                              ;   in Loop: Header=BB352_552 Depth=1
	v_bfe_u32 v8, v9, 16, 1
	v_add3_u32 v8, v9, v8, s20
                                        ; implicit-def: $vgpr9
; %bb.924:                              ;   in Loop: Header=BB352_552 Depth=1
	s_andn2_saveexec_b64 s[10:11], s[4:5]
; %bb.925:                              ;   in Loop: Header=BB352_552 Depth=1
	v_or_b32_e32 v8, 0x10000, v9
	v_cmp_eq_u32_sdwa s[4:5], v9, v33 src0_sel:WORD_0 src1_sel:DWORD
	s_nop 1
	v_cndmask_b32_e64 v8, v8, v9, s[4:5]
; %bb.926:                              ;   in Loop: Header=BB352_552 Depth=1
	s_or_b64 exec, exec, s[10:11]
	v_lshrrev_b32_e32 v6, 24, v6
	v_cvt_f32_fp8_sdwa v6, v6 src0_sel:BYTE_0
	s_nop 0
	v_mul_f32_e32 v6, v19, v6
	v_and_b32_e32 v9, 0x7f800000, v6
	v_cmp_ne_u32_e64 s[4:5], s19, v9
                                        ; implicit-def: $vgpr9
	s_and_saveexec_b64 s[10:11], s[4:5]
	s_xor_b64 s[4:5], exec, s[10:11]
; %bb.927:                              ;   in Loop: Header=BB352_552 Depth=1
	v_bfe_u32 v9, v6, 16, 1
	v_add3_u32 v9, v6, v9, s20
                                        ; implicit-def: $vgpr6
; %bb.928:                              ;   in Loop: Header=BB352_552 Depth=1
	s_andn2_saveexec_b64 s[10:11], s[4:5]
; %bb.929:                              ;   in Loop: Header=BB352_552 Depth=1
	v_or_b32_e32 v9, 0x10000, v6
	v_cmp_eq_u32_sdwa s[4:5], v6, v33 src0_sel:WORD_0 src1_sel:DWORD
	s_nop 1
	v_cndmask_b32_e64 v9, v9, v6, s[4:5]
; %bb.930:                              ;   in Loop: Header=BB352_552 Depth=1
	s_or_b64 exec, exec, s[10:11]
	v_and_b32_e32 v6, 0xff, v7
	v_cvt_f32_fp8_sdwa v6, v6 src0_sel:BYTE_0
	s_nop 0
	v_mul_f32_e32 v6, v19, v6
	v_and_b32_e32 v10, 0x7f800000, v6
	v_cmp_ne_u32_e64 s[4:5], s19, v10
                                        ; implicit-def: $vgpr10
	s_and_saveexec_b64 s[10:11], s[4:5]
	s_xor_b64 s[4:5], exec, s[10:11]
; %bb.931:                              ;   in Loop: Header=BB352_552 Depth=1
	v_bfe_u32 v10, v6, 16, 1
	v_add3_u32 v10, v6, v10, s20
                                        ; implicit-def: $vgpr6
; %bb.932:                              ;   in Loop: Header=BB352_552 Depth=1
	s_andn2_saveexec_b64 s[10:11], s[4:5]
; %bb.933:                              ;   in Loop: Header=BB352_552 Depth=1
	v_or_b32_e32 v10, 0x10000, v6
	v_cmp_eq_u32_sdwa s[4:5], v6, v33 src0_sel:WORD_0 src1_sel:DWORD
	s_nop 1
	v_cndmask_b32_e64 v10, v10, v6, s[4:5]
; %bb.934:                              ;   in Loop: Header=BB352_552 Depth=1
	s_or_b64 exec, exec, s[10:11]
	v_bfe_u32 v6, v7, 8, 8
	v_cvt_f32_fp8_sdwa v6, v6 src0_sel:BYTE_0
	s_nop 0
	v_mul_f32_e32 v11, v19, v6
	v_and_b32_e32 v6, 0x7f800000, v11
	v_cmp_ne_u32_e64 s[4:5], s19, v6
                                        ; implicit-def: $vgpr6
	s_and_saveexec_b64 s[10:11], s[4:5]
	s_xor_b64 s[4:5], exec, s[10:11]
; %bb.935:                              ;   in Loop: Header=BB352_552 Depth=1
	v_bfe_u32 v6, v11, 16, 1
	v_add3_u32 v6, v11, v6, s20
                                        ; implicit-def: $vgpr11
; %bb.936:                              ;   in Loop: Header=BB352_552 Depth=1
	s_andn2_saveexec_b64 s[10:11], s[4:5]
; %bb.937:                              ;   in Loop: Header=BB352_552 Depth=1
	v_or_b32_e32 v6, 0x10000, v11
	v_cmp_eq_u32_sdwa s[4:5], v11, v33 src0_sel:WORD_0 src1_sel:DWORD
	s_nop 1
	v_cndmask_b32_e64 v6, v6, v11, s[4:5]
; %bb.938:                              ;   in Loop: Header=BB352_552 Depth=1
	s_or_b64 exec, exec, s[10:11]
	v_bfe_u32 v11, v7, 16, 8
	v_cvt_f32_fp8_sdwa v11, v11 src0_sel:BYTE_0
	s_nop 0
	v_mul_f32_e32 v18, v19, v11
	v_and_b32_e32 v11, 0x7f800000, v18
	v_cmp_ne_u32_e64 s[4:5], s19, v11
                                        ; implicit-def: $vgpr11
	s_and_saveexec_b64 s[10:11], s[4:5]
	s_xor_b64 s[4:5], exec, s[10:11]
; %bb.939:                              ;   in Loop: Header=BB352_552 Depth=1
	v_bfe_u32 v11, v18, 16, 1
	v_add3_u32 v11, v18, v11, s20
                                        ; implicit-def: $vgpr18
; %bb.940:                              ;   in Loop: Header=BB352_552 Depth=1
	s_andn2_saveexec_b64 s[10:11], s[4:5]
; %bb.941:                              ;   in Loop: Header=BB352_552 Depth=1
	v_or_b32_e32 v11, 0x10000, v18
	v_cmp_eq_u32_sdwa s[4:5], v18, v33 src0_sel:WORD_0 src1_sel:DWORD
	s_nop 1
	v_cndmask_b32_e64 v11, v11, v18, s[4:5]
; %bb.942:                              ;   in Loop: Header=BB352_552 Depth=1
	s_or_b64 exec, exec, s[10:11]
	v_lshrrev_b32_e32 v7, 24, v7
	v_cvt_f32_fp8_sdwa v7, v7 src0_sel:BYTE_0
                                        ; implicit-def: $vgpr22
	s_nop 0
	v_mul_f32_e32 v7, v19, v7
	v_and_b32_e32 v18, 0x7f800000, v7
	v_cmp_ne_u32_e64 s[4:5], s19, v18
	s_and_saveexec_b64 s[10:11], s[4:5]
	s_xor_b64 s[4:5], exec, s[10:11]
; %bb.943:                              ;   in Loop: Header=BB352_552 Depth=1
	v_bfe_u32 v18, v7, 16, 1
	v_add3_u32 v22, v7, v18, s20
                                        ; implicit-def: $vgpr7
; %bb.944:                              ;   in Loop: Header=BB352_552 Depth=1
	s_andn2_saveexec_b64 s[10:11], s[4:5]
; %bb.945:                              ;   in Loop: Header=BB352_552 Depth=1
	v_or_b32_e32 v18, 0x10000, v7
	v_cmp_eq_u32_sdwa s[4:5], v7, v33 src0_sel:WORD_0 src1_sel:DWORD
	s_nop 1
	v_cndmask_b32_e64 v22, v18, v7, s[4:5]
; %bb.946:                              ;   in Loop: Header=BB352_552 Depth=1
	s_or_b64 exec, exec, s[10:11]
	v_lshrrev_b32_e32 v6, 16, v6
	v_lshrrev_b32_e32 v7, 16, v10
	;; [unrolled: 1-line block ×8, first 2 shown]
	s_and_saveexec_b64 s[10:11], vcc
	s_cbranch_execz .LBB352_948
; %bb.947:                              ;   in Loop: Header=BB352_552 Depth=1
	v_accvgpr_read_b32 v11, a40
	v_cmp_lt_i32_e64 s[4:5], v11, v43
	v_accvgpr_read_b32 v11, a46
	s_nop 0
	v_cndmask_b32_e64 v18, 0, v18, s[4:5]
	v_cmp_lt_i32_e64 s[4:5], v11, v43
	v_accvgpr_read_b32 v11, a45
	s_nop 0
	v_cndmask_b32_e64 v10, 0, v10, s[4:5]
	;; [unrolled: 4-line block ×6, first 2 shown]
	v_cmp_lt_i32_e64 s[4:5], v11, v43
	s_nop 1
	v_cndmask_b32_e64 v1, 0, v1, s[4:5]
	v_cmp_lt_i32_e64 s[4:5], v59, v43
	s_nop 1
	v_cndmask_b32_e64 v0, 0, v0, s[4:5]
.LBB352_948:                            ;   in Loop: Header=BB352_552 Depth=1
	s_or_b64 exec, exec, s[10:11]
	v_lshlrev_b32_e32 v11, 16, v18
	v_mul_f32_e32 v11, v34, v11
	v_and_b32_e32 v18, 0x7f800000, v11
	v_cmp_ne_u32_e64 s[4:5], s19, v18
                                        ; implicit-def: $agpr18
	s_and_saveexec_b64 s[10:11], s[4:5]
	s_xor_b64 s[4:5], exec, s[10:11]
; %bb.949:                              ;   in Loop: Header=BB352_552 Depth=1
	v_bfe_u32 v18, v11, 16, 1
	v_add3_u32 v11, v11, v18, s20
	v_accvgpr_write_b32 a18, v11
                                        ; implicit-def: $vgpr11
; %bb.950:                              ;   in Loop: Header=BB352_552 Depth=1
	s_andn2_saveexec_b64 s[10:11], s[4:5]
; %bb.951:                              ;   in Loop: Header=BB352_552 Depth=1
	v_or_b32_e32 v18, 0x10000, v11
	v_cmp_eq_u32_sdwa s[4:5], v11, v33 src0_sel:WORD_0 src1_sel:DWORD
	s_nop 1
	v_cndmask_b32_e64 v11, v18, v11, s[4:5]
	v_accvgpr_write_b32 a18, v11
; %bb.952:                              ;   in Loop: Header=BB352_552 Depth=1
	s_or_b64 exec, exec, s[10:11]
	v_lshlrev_b32_e32 v10, 16, v10
	v_mul_f32_e32 v10, v35, v10
	v_and_b32_e32 v11, 0x7f800000, v10
	v_cmp_ne_u32_e64 s[4:5], s19, v11
                                        ; implicit-def: $agpr19
	s_and_saveexec_b64 s[10:11], s[4:5]
	s_xor_b64 s[4:5], exec, s[10:11]
; %bb.953:                              ;   in Loop: Header=BB352_552 Depth=1
	v_bfe_u32 v11, v10, 16, 1
	v_add3_u32 v10, v10, v11, s20
	v_accvgpr_write_b32 a19, v10
                                        ; implicit-def: $vgpr10
; %bb.954:                              ;   in Loop: Header=BB352_552 Depth=1
	s_andn2_saveexec_b64 s[10:11], s[4:5]
; %bb.955:                              ;   in Loop: Header=BB352_552 Depth=1
	v_or_b32_e32 v11, 0x10000, v10
	v_cmp_eq_u32_sdwa s[4:5], v10, v33 src0_sel:WORD_0 src1_sel:DWORD
	s_nop 1
	v_cndmask_b32_e64 v10, v11, v10, s[4:5]
	v_accvgpr_write_b32 a19, v10
; %bb.956:                              ;   in Loop: Header=BB352_552 Depth=1
	s_or_b64 exec, exec, s[10:11]
	v_lshlrev_b32_e32 v8, 16, v8
	v_mul_f32_e32 v8, v36, v8
	v_and_b32_e32 v10, 0x7f800000, v8
	v_cmp_ne_u32_e64 s[4:5], s19, v10
                                        ; implicit-def: $agpr20
	s_and_saveexec_b64 s[10:11], s[4:5]
	s_xor_b64 s[4:5], exec, s[10:11]
; %bb.957:                              ;   in Loop: Header=BB352_552 Depth=1
	v_bfe_u32 v10, v8, 16, 1
	v_add3_u32 v8, v8, v10, s20
	v_accvgpr_write_b32 a20, v8
                                        ; implicit-def: $vgpr8
; %bb.958:                              ;   in Loop: Header=BB352_552 Depth=1
	s_andn2_saveexec_b64 s[10:11], s[4:5]
; %bb.959:                              ;   in Loop: Header=BB352_552 Depth=1
	v_or_b32_e32 v10, 0x10000, v8
	v_cmp_eq_u32_sdwa s[4:5], v8, v33 src0_sel:WORD_0 src1_sel:DWORD
	s_nop 1
	v_cndmask_b32_e64 v8, v10, v8, s[4:5]
	v_accvgpr_write_b32 a20, v8
; %bb.960:                              ;   in Loop: Header=BB352_552 Depth=1
	s_or_b64 exec, exec, s[10:11]
	v_lshlrev_b32_e32 v8, 16, v9
	v_mul_f32_e32 v8, v37, v8
	v_and_b32_e32 v9, 0x7f800000, v8
	v_cmp_ne_u32_e64 s[4:5], s19, v9
                                        ; implicit-def: $agpr21
	s_and_saveexec_b64 s[10:11], s[4:5]
	s_xor_b64 s[4:5], exec, s[10:11]
; %bb.961:                              ;   in Loop: Header=BB352_552 Depth=1
	v_bfe_u32 v9, v8, 16, 1
	v_add3_u32 v8, v8, v9, s20
	v_accvgpr_write_b32 a21, v8
                                        ; implicit-def: $vgpr8
; %bb.962:                              ;   in Loop: Header=BB352_552 Depth=1
	s_andn2_saveexec_b64 s[10:11], s[4:5]
; %bb.963:                              ;   in Loop: Header=BB352_552 Depth=1
	v_or_b32_e32 v9, 0x10000, v8
	v_cmp_eq_u32_sdwa s[4:5], v8, v33 src0_sel:WORD_0 src1_sel:DWORD
	s_nop 1
	v_cndmask_b32_e64 v8, v9, v8, s[4:5]
	v_accvgpr_write_b32 a21, v8
; %bb.964:                              ;   in Loop: Header=BB352_552 Depth=1
	s_or_b64 exec, exec, s[10:11]
	v_lshlrev_b32_e32 v7, 16, v7
	v_mul_f32_e32 v7, v38, v7
	v_and_b32_e32 v8, 0x7f800000, v7
	v_cmp_ne_u32_e64 s[4:5], s19, v8
                                        ; implicit-def: $agpr22
	s_and_saveexec_b64 s[10:11], s[4:5]
	s_xor_b64 s[4:5], exec, s[10:11]
; %bb.965:                              ;   in Loop: Header=BB352_552 Depth=1
	v_bfe_u32 v8, v7, 16, 1
	v_add3_u32 v7, v7, v8, s20
	v_accvgpr_write_b32 a22, v7
                                        ; implicit-def: $vgpr7
; %bb.966:                              ;   in Loop: Header=BB352_552 Depth=1
	s_andn2_saveexec_b64 s[10:11], s[4:5]
; %bb.967:                              ;   in Loop: Header=BB352_552 Depth=1
	v_or_b32_e32 v8, 0x10000, v7
	v_cmp_eq_u32_sdwa s[4:5], v7, v33 src0_sel:WORD_0 src1_sel:DWORD
	s_nop 1
	v_cndmask_b32_e64 v7, v8, v7, s[4:5]
	v_accvgpr_write_b32 a22, v7
; %bb.968:                              ;   in Loop: Header=BB352_552 Depth=1
	s_or_b64 exec, exec, s[10:11]
	v_lshlrev_b32_e32 v6, 16, v6
	v_mul_f32_e32 v6, v39, v6
	v_and_b32_e32 v7, 0x7f800000, v6
	v_cmp_ne_u32_e64 s[4:5], s19, v7
                                        ; implicit-def: $agpr23
	s_and_saveexec_b64 s[10:11], s[4:5]
	s_xor_b64 s[4:5], exec, s[10:11]
; %bb.969:                              ;   in Loop: Header=BB352_552 Depth=1
	v_bfe_u32 v7, v6, 16, 1
	v_add3_u32 v6, v6, v7, s20
	v_accvgpr_write_b32 a23, v6
                                        ; implicit-def: $vgpr6
; %bb.970:                              ;   in Loop: Header=BB352_552 Depth=1
	s_andn2_saveexec_b64 s[10:11], s[4:5]
; %bb.971:                              ;   in Loop: Header=BB352_552 Depth=1
	v_or_b32_e32 v7, 0x10000, v6
	v_cmp_eq_u32_sdwa s[4:5], v6, v33 src0_sel:WORD_0 src1_sel:DWORD
	s_nop 1
	v_cndmask_b32_e64 v6, v7, v6, s[4:5]
	v_accvgpr_write_b32 a23, v6
; %bb.972:                              ;   in Loop: Header=BB352_552 Depth=1
	s_or_b64 exec, exec, s[10:11]
	v_lshlrev_b32_e32 v1, 16, v1
	v_mul_f32_e32 v1, v48, v1
	v_and_b32_e32 v6, 0x7f800000, v1
	v_cmp_ne_u32_e64 s[4:5], s19, v6
                                        ; implicit-def: $agpr24
	s_and_saveexec_b64 s[10:11], s[4:5]
	s_xor_b64 s[4:5], exec, s[10:11]
; %bb.973:                              ;   in Loop: Header=BB352_552 Depth=1
	v_bfe_u32 v6, v1, 16, 1
	v_add3_u32 v1, v1, v6, s20
	v_accvgpr_write_b32 a24, v1
                                        ; implicit-def: $vgpr1
; %bb.974:                              ;   in Loop: Header=BB352_552 Depth=1
	s_andn2_saveexec_b64 s[10:11], s[4:5]
; %bb.975:                              ;   in Loop: Header=BB352_552 Depth=1
	v_or_b32_e32 v6, 0x10000, v1
	v_cmp_eq_u32_sdwa s[4:5], v1, v33 src0_sel:WORD_0 src1_sel:DWORD
	s_nop 1
	v_cndmask_b32_e64 v1, v6, v1, s[4:5]
	v_accvgpr_write_b32 a24, v1
; %bb.976:                              ;   in Loop: Header=BB352_552 Depth=1
	s_or_b64 exec, exec, s[10:11]
	v_lshlrev_b32_e32 v0, 16, v0
	v_mul_f32_e32 v0, v49, v0
	v_and_b32_e32 v1, 0x7f800000, v0
	v_cmp_ne_u32_e64 s[4:5], s19, v1
                                        ; implicit-def: $agpr25
	s_and_saveexec_b64 s[10:11], s[4:5]
	s_xor_b64 s[4:5], exec, s[10:11]
; %bb.977:                              ;   in Loop: Header=BB352_552 Depth=1
	v_bfe_u32 v1, v0, 16, 1
	v_add3_u32 v0, v0, v1, s20
	v_accvgpr_write_b32 a25, v0
                                        ; implicit-def: $vgpr0
; %bb.978:                              ;   in Loop: Header=BB352_552 Depth=1
	s_andn2_saveexec_b64 s[10:11], s[4:5]
; %bb.979:                              ;   in Loop: Header=BB352_552 Depth=1
	v_or_b32_e32 v1, 0x10000, v0
	v_cmp_eq_u32_sdwa s[4:5], v0, v33 src0_sel:WORD_0 src1_sel:DWORD
	s_nop 1
	v_cndmask_b32_e64 v0, v1, v0, s[4:5]
	v_accvgpr_write_b32 a25, v0
; %bb.980:                              ;   in Loop: Header=BB352_552 Depth=1
	s_or_b64 exec, exec, s[10:11]
	flat_load_dwordx2 v[6:7], v[4:5] offset:3072
	s_waitcnt vmcnt(0) lgkmcnt(0)
	v_and_b32_e32 v0, 0xff, v6
	v_cvt_f32_fp8_sdwa v0, v0 src0_sel:BYTE_0
	s_nop 0
	v_mul_f32_e32 v1, v19, v0
	v_and_b32_e32 v0, 0x7f800000, v1
	v_cmp_ne_u32_e64 s[4:5], s19, v0
                                        ; implicit-def: $vgpr0
	s_and_saveexec_b64 s[10:11], s[4:5]
	s_xor_b64 s[4:5], exec, s[10:11]
; %bb.981:                              ;   in Loop: Header=BB352_552 Depth=1
	v_bfe_u32 v0, v1, 16, 1
	v_add3_u32 v0, v1, v0, s20
                                        ; implicit-def: $vgpr1
; %bb.982:                              ;   in Loop: Header=BB352_552 Depth=1
	s_andn2_saveexec_b64 s[10:11], s[4:5]
; %bb.983:                              ;   in Loop: Header=BB352_552 Depth=1
	v_or_b32_e32 v0, 0x10000, v1
	v_cmp_eq_u32_sdwa s[4:5], v1, v33 src0_sel:WORD_0 src1_sel:DWORD
	s_nop 1
	v_cndmask_b32_e64 v0, v0, v1, s[4:5]
; %bb.984:                              ;   in Loop: Header=BB352_552 Depth=1
	s_or_b64 exec, exec, s[10:11]
	v_bfe_u32 v1, v6, 8, 8
	v_cvt_f32_fp8_sdwa v1, v1 src0_sel:BYTE_0
	s_nop 0
	v_mul_f32_e32 v8, v19, v1
	v_and_b32_e32 v1, 0x7f800000, v8
	v_cmp_ne_u32_e64 s[4:5], s19, v1
                                        ; implicit-def: $vgpr1
	s_and_saveexec_b64 s[10:11], s[4:5]
	s_xor_b64 s[4:5], exec, s[10:11]
; %bb.985:                              ;   in Loop: Header=BB352_552 Depth=1
	v_bfe_u32 v1, v8, 16, 1
	v_add3_u32 v1, v8, v1, s20
                                        ; implicit-def: $vgpr8
; %bb.986:                              ;   in Loop: Header=BB352_552 Depth=1
	s_andn2_saveexec_b64 s[10:11], s[4:5]
; %bb.987:                              ;   in Loop: Header=BB352_552 Depth=1
	v_or_b32_e32 v1, 0x10000, v8
	v_cmp_eq_u32_sdwa s[4:5], v8, v33 src0_sel:WORD_0 src1_sel:DWORD
	s_nop 1
	v_cndmask_b32_e64 v1, v1, v8, s[4:5]
; %bb.988:                              ;   in Loop: Header=BB352_552 Depth=1
	s_or_b64 exec, exec, s[10:11]
	v_bfe_u32 v8, v6, 16, 8
	v_cvt_f32_fp8_sdwa v8, v8 src0_sel:BYTE_0
	s_nop 0
	v_mul_f32_e32 v9, v19, v8
	v_and_b32_e32 v8, 0x7f800000, v9
	v_cmp_ne_u32_e64 s[4:5], s19, v8
                                        ; implicit-def: $vgpr8
	s_and_saveexec_b64 s[10:11], s[4:5]
	s_xor_b64 s[4:5], exec, s[10:11]
; %bb.989:                              ;   in Loop: Header=BB352_552 Depth=1
	v_bfe_u32 v8, v9, 16, 1
	v_add3_u32 v8, v9, v8, s20
                                        ; implicit-def: $vgpr9
; %bb.990:                              ;   in Loop: Header=BB352_552 Depth=1
	s_andn2_saveexec_b64 s[10:11], s[4:5]
; %bb.991:                              ;   in Loop: Header=BB352_552 Depth=1
	v_or_b32_e32 v8, 0x10000, v9
	v_cmp_eq_u32_sdwa s[4:5], v9, v33 src0_sel:WORD_0 src1_sel:DWORD
	s_nop 1
	v_cndmask_b32_e64 v8, v8, v9, s[4:5]
; %bb.992:                              ;   in Loop: Header=BB352_552 Depth=1
	s_or_b64 exec, exec, s[10:11]
	v_lshrrev_b32_e32 v6, 24, v6
	v_cvt_f32_fp8_sdwa v6, v6 src0_sel:BYTE_0
	s_nop 0
	v_mul_f32_e32 v6, v19, v6
	v_and_b32_e32 v9, 0x7f800000, v6
	v_cmp_ne_u32_e64 s[4:5], s19, v9
                                        ; implicit-def: $vgpr9
	s_and_saveexec_b64 s[10:11], s[4:5]
	s_xor_b64 s[4:5], exec, s[10:11]
; %bb.993:                              ;   in Loop: Header=BB352_552 Depth=1
	v_bfe_u32 v9, v6, 16, 1
	v_add3_u32 v9, v6, v9, s20
                                        ; implicit-def: $vgpr6
; %bb.994:                              ;   in Loop: Header=BB352_552 Depth=1
	s_andn2_saveexec_b64 s[10:11], s[4:5]
; %bb.995:                              ;   in Loop: Header=BB352_552 Depth=1
	v_or_b32_e32 v9, 0x10000, v6
	v_cmp_eq_u32_sdwa s[4:5], v6, v33 src0_sel:WORD_0 src1_sel:DWORD
	s_nop 1
	v_cndmask_b32_e64 v9, v9, v6, s[4:5]
; %bb.996:                              ;   in Loop: Header=BB352_552 Depth=1
	s_or_b64 exec, exec, s[10:11]
	v_and_b32_e32 v6, 0xff, v7
	v_cvt_f32_fp8_sdwa v6, v6 src0_sel:BYTE_0
	s_nop 0
	v_mul_f32_e32 v6, v19, v6
	v_and_b32_e32 v10, 0x7f800000, v6
	v_cmp_ne_u32_e64 s[4:5], s19, v10
                                        ; implicit-def: $vgpr10
	s_and_saveexec_b64 s[10:11], s[4:5]
	s_xor_b64 s[4:5], exec, s[10:11]
; %bb.997:                              ;   in Loop: Header=BB352_552 Depth=1
	v_bfe_u32 v10, v6, 16, 1
	v_add3_u32 v10, v6, v10, s20
                                        ; implicit-def: $vgpr6
; %bb.998:                              ;   in Loop: Header=BB352_552 Depth=1
	s_andn2_saveexec_b64 s[10:11], s[4:5]
; %bb.999:                              ;   in Loop: Header=BB352_552 Depth=1
	v_or_b32_e32 v10, 0x10000, v6
	v_cmp_eq_u32_sdwa s[4:5], v6, v33 src0_sel:WORD_0 src1_sel:DWORD
	s_nop 1
	v_cndmask_b32_e64 v10, v10, v6, s[4:5]
; %bb.1000:                             ;   in Loop: Header=BB352_552 Depth=1
	s_or_b64 exec, exec, s[10:11]
	v_bfe_u32 v6, v7, 8, 8
	v_cvt_f32_fp8_sdwa v6, v6 src0_sel:BYTE_0
	s_nop 0
	v_mul_f32_e32 v11, v19, v6
	v_and_b32_e32 v6, 0x7f800000, v11
	v_cmp_ne_u32_e64 s[4:5], s19, v6
                                        ; implicit-def: $vgpr6
	s_and_saveexec_b64 s[10:11], s[4:5]
	s_xor_b64 s[4:5], exec, s[10:11]
; %bb.1001:                             ;   in Loop: Header=BB352_552 Depth=1
	v_bfe_u32 v6, v11, 16, 1
	v_add3_u32 v6, v11, v6, s20
                                        ; implicit-def: $vgpr11
; %bb.1002:                             ;   in Loop: Header=BB352_552 Depth=1
	s_andn2_saveexec_b64 s[10:11], s[4:5]
; %bb.1003:                             ;   in Loop: Header=BB352_552 Depth=1
	v_or_b32_e32 v6, 0x10000, v11
	v_cmp_eq_u32_sdwa s[4:5], v11, v33 src0_sel:WORD_0 src1_sel:DWORD
	s_nop 1
	v_cndmask_b32_e64 v6, v6, v11, s[4:5]
; %bb.1004:                             ;   in Loop: Header=BB352_552 Depth=1
	s_or_b64 exec, exec, s[10:11]
	v_bfe_u32 v11, v7, 16, 8
	v_cvt_f32_fp8_sdwa v11, v11 src0_sel:BYTE_0
	s_nop 0
	v_mul_f32_e32 v18, v19, v11
	v_and_b32_e32 v11, 0x7f800000, v18
	v_cmp_ne_u32_e64 s[4:5], s19, v11
                                        ; implicit-def: $vgpr11
	s_and_saveexec_b64 s[10:11], s[4:5]
	s_xor_b64 s[4:5], exec, s[10:11]
; %bb.1005:                             ;   in Loop: Header=BB352_552 Depth=1
	v_bfe_u32 v11, v18, 16, 1
	v_add3_u32 v11, v18, v11, s20
                                        ; implicit-def: $vgpr18
; %bb.1006:                             ;   in Loop: Header=BB352_552 Depth=1
	s_andn2_saveexec_b64 s[10:11], s[4:5]
; %bb.1007:                             ;   in Loop: Header=BB352_552 Depth=1
	v_or_b32_e32 v11, 0x10000, v18
	v_cmp_eq_u32_sdwa s[4:5], v18, v33 src0_sel:WORD_0 src1_sel:DWORD
	s_nop 1
	v_cndmask_b32_e64 v11, v11, v18, s[4:5]
; %bb.1008:                             ;   in Loop: Header=BB352_552 Depth=1
	s_or_b64 exec, exec, s[10:11]
	v_lshrrev_b32_e32 v7, 24, v7
	v_cvt_f32_fp8_sdwa v7, v7 src0_sel:BYTE_0
                                        ; implicit-def: $vgpr22
	s_nop 0
	v_mul_f32_e32 v7, v19, v7
	v_and_b32_e32 v18, 0x7f800000, v7
	v_cmp_ne_u32_e64 s[4:5], s19, v18
	s_and_saveexec_b64 s[10:11], s[4:5]
	s_xor_b64 s[4:5], exec, s[10:11]
; %bb.1009:                             ;   in Loop: Header=BB352_552 Depth=1
	v_bfe_u32 v18, v7, 16, 1
	v_add3_u32 v22, v7, v18, s20
                                        ; implicit-def: $vgpr7
; %bb.1010:                             ;   in Loop: Header=BB352_552 Depth=1
	s_andn2_saveexec_b64 s[10:11], s[4:5]
; %bb.1011:                             ;   in Loop: Header=BB352_552 Depth=1
	v_or_b32_e32 v18, 0x10000, v7
	v_cmp_eq_u32_sdwa s[4:5], v7, v33 src0_sel:WORD_0 src1_sel:DWORD
	s_nop 1
	v_cndmask_b32_e64 v22, v18, v7, s[4:5]
; %bb.1012:                             ;   in Loop: Header=BB352_552 Depth=1
	s_or_b64 exec, exec, s[10:11]
	v_lshrrev_b32_e32 v6, 16, v6
	v_lshrrev_b32_e32 v7, 16, v10
	v_lshrrev_b32_e32 v9, 16, v9
	v_lshrrev_b32_e32 v8, 16, v8
	v_lshrrev_b32_e32 v10, 16, v1
	v_lshrrev_b32_e32 v18, 16, v0
	v_lshrrev_b32_e32 v1, 16, v11
	v_lshrrev_b32_e32 v0, 16, v22
	s_and_saveexec_b64 s[10:11], vcc
	s_cbranch_execz .LBB352_1014
; %bb.1013:                             ;   in Loop: Header=BB352_552 Depth=1
	v_accvgpr_read_b32 v11, a40
	v_cmp_lt_i32_e64 s[4:5], v11, v43
	v_accvgpr_read_b32 v11, a46
	s_nop 0
	v_cndmask_b32_e64 v18, 0, v18, s[4:5]
	v_cmp_lt_i32_e64 s[4:5], v11, v43
	v_accvgpr_read_b32 v11, a45
	s_nop 0
	v_cndmask_b32_e64 v10, 0, v10, s[4:5]
	;; [unrolled: 4-line block ×6, first 2 shown]
	v_cmp_lt_i32_e64 s[4:5], v11, v43
	s_nop 1
	v_cndmask_b32_e64 v1, 0, v1, s[4:5]
	v_cmp_lt_i32_e64 s[4:5], v59, v43
	s_nop 1
	v_cndmask_b32_e64 v0, 0, v0, s[4:5]
.LBB352_1014:                           ;   in Loop: Header=BB352_552 Depth=1
	s_or_b64 exec, exec, s[10:11]
	v_lshlrev_b32_e32 v11, 16, v18
	v_mul_f32_e32 v11, v34, v11
	v_and_b32_e32 v18, 0x7f800000, v11
	v_cmp_ne_u32_e64 s[4:5], s19, v18
                                        ; implicit-def: $agpr26
	s_and_saveexec_b64 s[10:11], s[4:5]
	s_xor_b64 s[4:5], exec, s[10:11]
; %bb.1015:                             ;   in Loop: Header=BB352_552 Depth=1
	v_bfe_u32 v18, v11, 16, 1
	v_add3_u32 v11, v11, v18, s20
	v_accvgpr_write_b32 a26, v11
                                        ; implicit-def: $vgpr11
; %bb.1016:                             ;   in Loop: Header=BB352_552 Depth=1
	s_andn2_saveexec_b64 s[10:11], s[4:5]
; %bb.1017:                             ;   in Loop: Header=BB352_552 Depth=1
	v_or_b32_e32 v18, 0x10000, v11
	v_cmp_eq_u32_sdwa s[4:5], v11, v33 src0_sel:WORD_0 src1_sel:DWORD
	s_nop 1
	v_cndmask_b32_e64 v11, v18, v11, s[4:5]
	v_accvgpr_write_b32 a26, v11
; %bb.1018:                             ;   in Loop: Header=BB352_552 Depth=1
	s_or_b64 exec, exec, s[10:11]
	v_lshlrev_b32_e32 v10, 16, v10
	v_mul_f32_e32 v10, v35, v10
	v_and_b32_e32 v11, 0x7f800000, v10
	v_cmp_ne_u32_e64 s[4:5], s19, v11
                                        ; implicit-def: $agpr27
	s_and_saveexec_b64 s[10:11], s[4:5]
	s_xor_b64 s[4:5], exec, s[10:11]
; %bb.1019:                             ;   in Loop: Header=BB352_552 Depth=1
	v_bfe_u32 v11, v10, 16, 1
	v_add3_u32 v10, v10, v11, s20
	v_accvgpr_write_b32 a27, v10
                                        ; implicit-def: $vgpr10
; %bb.1020:                             ;   in Loop: Header=BB352_552 Depth=1
	s_andn2_saveexec_b64 s[10:11], s[4:5]
; %bb.1021:                             ;   in Loop: Header=BB352_552 Depth=1
	v_or_b32_e32 v11, 0x10000, v10
	v_cmp_eq_u32_sdwa s[4:5], v10, v33 src0_sel:WORD_0 src1_sel:DWORD
	s_nop 1
	v_cndmask_b32_e64 v10, v11, v10, s[4:5]
	v_accvgpr_write_b32 a27, v10
; %bb.1022:                             ;   in Loop: Header=BB352_552 Depth=1
	s_or_b64 exec, exec, s[10:11]
	v_lshlrev_b32_e32 v8, 16, v8
	v_mul_f32_e32 v8, v36, v8
	v_and_b32_e32 v10, 0x7f800000, v8
	v_cmp_ne_u32_e64 s[4:5], s19, v10
                                        ; implicit-def: $agpr28
	s_and_saveexec_b64 s[10:11], s[4:5]
	s_xor_b64 s[4:5], exec, s[10:11]
; %bb.1023:                             ;   in Loop: Header=BB352_552 Depth=1
	v_bfe_u32 v10, v8, 16, 1
	v_add3_u32 v8, v8, v10, s20
	v_accvgpr_write_b32 a28, v8
                                        ; implicit-def: $vgpr8
; %bb.1024:                             ;   in Loop: Header=BB352_552 Depth=1
	s_andn2_saveexec_b64 s[10:11], s[4:5]
; %bb.1025:                             ;   in Loop: Header=BB352_552 Depth=1
	v_or_b32_e32 v10, 0x10000, v8
	v_cmp_eq_u32_sdwa s[4:5], v8, v33 src0_sel:WORD_0 src1_sel:DWORD
	s_nop 1
	v_cndmask_b32_e64 v8, v10, v8, s[4:5]
	v_accvgpr_write_b32 a28, v8
; %bb.1026:                             ;   in Loop: Header=BB352_552 Depth=1
	s_or_b64 exec, exec, s[10:11]
	v_lshlrev_b32_e32 v8, 16, v9
	v_mul_f32_e32 v8, v37, v8
	v_and_b32_e32 v9, 0x7f800000, v8
	v_cmp_ne_u32_e64 s[4:5], s19, v9
                                        ; implicit-def: $agpr29
	s_and_saveexec_b64 s[10:11], s[4:5]
	s_xor_b64 s[4:5], exec, s[10:11]
; %bb.1027:                             ;   in Loop: Header=BB352_552 Depth=1
	v_bfe_u32 v9, v8, 16, 1
	v_add3_u32 v8, v8, v9, s20
	v_accvgpr_write_b32 a29, v8
                                        ; implicit-def: $vgpr8
; %bb.1028:                             ;   in Loop: Header=BB352_552 Depth=1
	s_andn2_saveexec_b64 s[10:11], s[4:5]
; %bb.1029:                             ;   in Loop: Header=BB352_552 Depth=1
	v_or_b32_e32 v9, 0x10000, v8
	v_cmp_eq_u32_sdwa s[4:5], v8, v33 src0_sel:WORD_0 src1_sel:DWORD
	s_nop 1
	v_cndmask_b32_e64 v8, v9, v8, s[4:5]
	v_accvgpr_write_b32 a29, v8
; %bb.1030:                             ;   in Loop: Header=BB352_552 Depth=1
	s_or_b64 exec, exec, s[10:11]
	v_lshlrev_b32_e32 v7, 16, v7
	v_mul_f32_e32 v7, v38, v7
	v_and_b32_e32 v8, 0x7f800000, v7
	v_cmp_ne_u32_e64 s[4:5], s19, v8
                                        ; implicit-def: $agpr4
	s_and_saveexec_b64 s[10:11], s[4:5]
	s_xor_b64 s[4:5], exec, s[10:11]
; %bb.1031:                             ;   in Loop: Header=BB352_552 Depth=1
	v_bfe_u32 v8, v7, 16, 1
	v_add3_u32 v7, v7, v8, s20
	v_accvgpr_write_b32 a4, v7
                                        ; implicit-def: $vgpr7
; %bb.1032:                             ;   in Loop: Header=BB352_552 Depth=1
	s_andn2_saveexec_b64 s[10:11], s[4:5]
; %bb.1033:                             ;   in Loop: Header=BB352_552 Depth=1
	v_or_b32_e32 v8, 0x10000, v7
	v_cmp_eq_u32_sdwa s[4:5], v7, v33 src0_sel:WORD_0 src1_sel:DWORD
	s_nop 1
	v_cndmask_b32_e64 v7, v8, v7, s[4:5]
	v_accvgpr_write_b32 a4, v7
; %bb.1034:                             ;   in Loop: Header=BB352_552 Depth=1
	s_or_b64 exec, exec, s[10:11]
	v_lshlrev_b32_e32 v6, 16, v6
	v_mul_f32_e32 v6, v39, v6
	v_and_b32_e32 v7, 0x7f800000, v6
	v_cmp_ne_u32_e64 s[4:5], s19, v7
                                        ; implicit-def: $agpr30
	s_and_saveexec_b64 s[10:11], s[4:5]
	s_xor_b64 s[4:5], exec, s[10:11]
; %bb.1035:                             ;   in Loop: Header=BB352_552 Depth=1
	v_bfe_u32 v7, v6, 16, 1
	v_add3_u32 v6, v6, v7, s20
	v_accvgpr_write_b32 a30, v6
                                        ; implicit-def: $vgpr6
; %bb.1036:                             ;   in Loop: Header=BB352_552 Depth=1
	s_andn2_saveexec_b64 s[10:11], s[4:5]
; %bb.1037:                             ;   in Loop: Header=BB352_552 Depth=1
	v_or_b32_e32 v7, 0x10000, v6
	v_cmp_eq_u32_sdwa s[4:5], v6, v33 src0_sel:WORD_0 src1_sel:DWORD
	s_nop 1
	v_cndmask_b32_e64 v6, v7, v6, s[4:5]
	v_accvgpr_write_b32 a30, v6
; %bb.1038:                             ;   in Loop: Header=BB352_552 Depth=1
	s_or_b64 exec, exec, s[10:11]
	v_lshlrev_b32_e32 v1, 16, v1
	v_mul_f32_e32 v1, v48, v1
	v_and_b32_e32 v6, 0x7f800000, v1
	v_cmp_ne_u32_e64 s[4:5], s19, v6
                                        ; implicit-def: $agpr31
	s_and_saveexec_b64 s[10:11], s[4:5]
	s_xor_b64 s[4:5], exec, s[10:11]
; %bb.1039:                             ;   in Loop: Header=BB352_552 Depth=1
	v_bfe_u32 v6, v1, 16, 1
	v_add3_u32 v1, v1, v6, s20
	v_accvgpr_write_b32 a31, v1
                                        ; implicit-def: $vgpr1
; %bb.1040:                             ;   in Loop: Header=BB352_552 Depth=1
	s_andn2_saveexec_b64 s[10:11], s[4:5]
; %bb.1041:                             ;   in Loop: Header=BB352_552 Depth=1
	v_or_b32_e32 v6, 0x10000, v1
	v_cmp_eq_u32_sdwa s[4:5], v1, v33 src0_sel:WORD_0 src1_sel:DWORD
	s_nop 1
	v_cndmask_b32_e64 v1, v6, v1, s[4:5]
	v_accvgpr_write_b32 a31, v1
; %bb.1042:                             ;   in Loop: Header=BB352_552 Depth=1
	s_or_b64 exec, exec, s[10:11]
	v_lshlrev_b32_e32 v0, 16, v0
	v_mul_f32_e32 v0, v49, v0
	v_and_b32_e32 v1, 0x7f800000, v0
	v_cmp_ne_u32_e64 s[4:5], s19, v1
                                        ; implicit-def: $agpr13
	s_and_saveexec_b64 s[10:11], s[4:5]
	s_xor_b64 s[4:5], exec, s[10:11]
; %bb.1043:                             ;   in Loop: Header=BB352_552 Depth=1
	v_bfe_u32 v1, v0, 16, 1
	v_add3_u32 v0, v0, v1, s20
	v_accvgpr_write_b32 a13, v0
                                        ; implicit-def: $vgpr0
; %bb.1044:                             ;   in Loop: Header=BB352_552 Depth=1
	s_andn2_saveexec_b64 s[10:11], s[4:5]
; %bb.1045:                             ;   in Loop: Header=BB352_552 Depth=1
	v_or_b32_e32 v1, 0x10000, v0
	v_cmp_eq_u32_sdwa s[4:5], v0, v33 src0_sel:WORD_0 src1_sel:DWORD
	s_nop 1
	v_cndmask_b32_e64 v0, v1, v0, s[4:5]
	v_accvgpr_write_b32 a13, v0
; %bb.1046:                             ;   in Loop: Header=BB352_552 Depth=1
	s_or_b64 exec, exec, s[10:11]
	flat_load_dwordx2 v[4:5], v[4:5] offset:3584
	s_waitcnt vmcnt(0) lgkmcnt(0)
	v_and_b32_e32 v0, 0xff, v4
	v_cvt_f32_fp8_sdwa v0, v0 src0_sel:BYTE_0
	s_nop 0
	v_mul_f32_e32 v1, v19, v0
	v_and_b32_e32 v0, 0x7f800000, v1
	v_cmp_ne_u32_e64 s[4:5], s19, v0
                                        ; implicit-def: $vgpr0
	s_and_saveexec_b64 s[10:11], s[4:5]
	s_xor_b64 s[4:5], exec, s[10:11]
; %bb.1047:                             ;   in Loop: Header=BB352_552 Depth=1
	v_bfe_u32 v0, v1, 16, 1
	v_add3_u32 v0, v1, v0, s20
                                        ; implicit-def: $vgpr1
; %bb.1048:                             ;   in Loop: Header=BB352_552 Depth=1
	s_andn2_saveexec_b64 s[10:11], s[4:5]
; %bb.1049:                             ;   in Loop: Header=BB352_552 Depth=1
	v_or_b32_e32 v0, 0x10000, v1
	v_cmp_eq_u32_sdwa s[4:5], v1, v33 src0_sel:WORD_0 src1_sel:DWORD
	s_nop 1
	v_cndmask_b32_e64 v0, v0, v1, s[4:5]
; %bb.1050:                             ;   in Loop: Header=BB352_552 Depth=1
	s_or_b64 exec, exec, s[10:11]
	v_bfe_u32 v1, v4, 8, 8
	v_cvt_f32_fp8_sdwa v1, v1 src0_sel:BYTE_0
	s_nop 0
	v_mul_f32_e32 v6, v19, v1
	v_and_b32_e32 v1, 0x7f800000, v6
	v_cmp_ne_u32_e64 s[4:5], s19, v1
                                        ; implicit-def: $vgpr1
	s_and_saveexec_b64 s[10:11], s[4:5]
	s_xor_b64 s[4:5], exec, s[10:11]
; %bb.1051:                             ;   in Loop: Header=BB352_552 Depth=1
	v_bfe_u32 v1, v6, 16, 1
	v_add3_u32 v1, v6, v1, s20
                                        ; implicit-def: $vgpr6
; %bb.1052:                             ;   in Loop: Header=BB352_552 Depth=1
	s_andn2_saveexec_b64 s[10:11], s[4:5]
; %bb.1053:                             ;   in Loop: Header=BB352_552 Depth=1
	v_or_b32_e32 v1, 0x10000, v6
	v_cmp_eq_u32_sdwa s[4:5], v6, v33 src0_sel:WORD_0 src1_sel:DWORD
	s_nop 1
	v_cndmask_b32_e64 v1, v1, v6, s[4:5]
; %bb.1054:                             ;   in Loop: Header=BB352_552 Depth=1
	s_or_b64 exec, exec, s[10:11]
	v_bfe_u32 v6, v4, 16, 8
	v_cvt_f32_fp8_sdwa v6, v6 src0_sel:BYTE_0
	s_nop 0
	v_mul_f32_e32 v7, v19, v6
	v_and_b32_e32 v6, 0x7f800000, v7
	v_cmp_ne_u32_e64 s[4:5], s19, v6
                                        ; implicit-def: $vgpr6
	s_and_saveexec_b64 s[10:11], s[4:5]
	s_xor_b64 s[4:5], exec, s[10:11]
; %bb.1055:                             ;   in Loop: Header=BB352_552 Depth=1
	v_bfe_u32 v6, v7, 16, 1
	v_add3_u32 v6, v7, v6, s20
                                        ; implicit-def: $vgpr7
; %bb.1056:                             ;   in Loop: Header=BB352_552 Depth=1
	s_andn2_saveexec_b64 s[10:11], s[4:5]
; %bb.1057:                             ;   in Loop: Header=BB352_552 Depth=1
	v_or_b32_e32 v6, 0x10000, v7
	v_cmp_eq_u32_sdwa s[4:5], v7, v33 src0_sel:WORD_0 src1_sel:DWORD
	s_nop 1
	v_cndmask_b32_e64 v6, v6, v7, s[4:5]
; %bb.1058:                             ;   in Loop: Header=BB352_552 Depth=1
	s_or_b64 exec, exec, s[10:11]
	v_lshrrev_b32_e32 v4, 24, v4
	v_cvt_f32_fp8_sdwa v4, v4 src0_sel:BYTE_0
	s_nop 0
	v_mul_f32_e32 v4, v19, v4
	v_and_b32_e32 v7, 0x7f800000, v4
	v_cmp_ne_u32_e64 s[4:5], s19, v7
                                        ; implicit-def: $vgpr7
	s_and_saveexec_b64 s[10:11], s[4:5]
	s_xor_b64 s[4:5], exec, s[10:11]
; %bb.1059:                             ;   in Loop: Header=BB352_552 Depth=1
	v_bfe_u32 v7, v4, 16, 1
	v_add3_u32 v7, v4, v7, s20
                                        ; implicit-def: $vgpr4
; %bb.1060:                             ;   in Loop: Header=BB352_552 Depth=1
	s_andn2_saveexec_b64 s[10:11], s[4:5]
; %bb.1061:                             ;   in Loop: Header=BB352_552 Depth=1
	v_or_b32_e32 v7, 0x10000, v4
	v_cmp_eq_u32_sdwa s[4:5], v4, v33 src0_sel:WORD_0 src1_sel:DWORD
	s_nop 1
	v_cndmask_b32_e64 v7, v7, v4, s[4:5]
; %bb.1062:                             ;   in Loop: Header=BB352_552 Depth=1
	s_or_b64 exec, exec, s[10:11]
	v_and_b32_e32 v4, 0xff, v5
	v_cvt_f32_fp8_sdwa v4, v4 src0_sel:BYTE_0
	s_nop 0
	v_mul_f32_e32 v4, v19, v4
	v_and_b32_e32 v8, 0x7f800000, v4
	v_cmp_ne_u32_e64 s[4:5], s19, v8
                                        ; implicit-def: $vgpr8
	s_and_saveexec_b64 s[10:11], s[4:5]
	s_xor_b64 s[4:5], exec, s[10:11]
; %bb.1063:                             ;   in Loop: Header=BB352_552 Depth=1
	v_bfe_u32 v8, v4, 16, 1
	v_add3_u32 v8, v4, v8, s20
                                        ; implicit-def: $vgpr4
; %bb.1064:                             ;   in Loop: Header=BB352_552 Depth=1
	s_andn2_saveexec_b64 s[10:11], s[4:5]
; %bb.1065:                             ;   in Loop: Header=BB352_552 Depth=1
	v_or_b32_e32 v8, 0x10000, v4
	v_cmp_eq_u32_sdwa s[4:5], v4, v33 src0_sel:WORD_0 src1_sel:DWORD
	s_nop 1
	v_cndmask_b32_e64 v8, v8, v4, s[4:5]
; %bb.1066:                             ;   in Loop: Header=BB352_552 Depth=1
	s_or_b64 exec, exec, s[10:11]
	v_bfe_u32 v4, v5, 8, 8
	v_cvt_f32_fp8_sdwa v4, v4 src0_sel:BYTE_0
	s_nop 0
	v_mul_f32_e32 v9, v19, v4
	v_and_b32_e32 v4, 0x7f800000, v9
	v_cmp_ne_u32_e64 s[4:5], s19, v4
                                        ; implicit-def: $vgpr4
	s_and_saveexec_b64 s[10:11], s[4:5]
	s_xor_b64 s[4:5], exec, s[10:11]
; %bb.1067:                             ;   in Loop: Header=BB352_552 Depth=1
	v_bfe_u32 v4, v9, 16, 1
	v_add3_u32 v4, v9, v4, s20
                                        ; implicit-def: $vgpr9
; %bb.1068:                             ;   in Loop: Header=BB352_552 Depth=1
	s_andn2_saveexec_b64 s[10:11], s[4:5]
; %bb.1069:                             ;   in Loop: Header=BB352_552 Depth=1
	v_or_b32_e32 v4, 0x10000, v9
	v_cmp_eq_u32_sdwa s[4:5], v9, v33 src0_sel:WORD_0 src1_sel:DWORD
	s_nop 1
	v_cndmask_b32_e64 v4, v4, v9, s[4:5]
; %bb.1070:                             ;   in Loop: Header=BB352_552 Depth=1
	s_or_b64 exec, exec, s[10:11]
	v_bfe_u32 v9, v5, 16, 8
	v_cvt_f32_fp8_sdwa v9, v9 src0_sel:BYTE_0
	s_nop 0
	v_mul_f32_e32 v10, v19, v9
	v_and_b32_e32 v9, 0x7f800000, v10
	v_cmp_ne_u32_e64 s[4:5], s19, v9
                                        ; implicit-def: $vgpr9
	s_and_saveexec_b64 s[10:11], s[4:5]
	s_xor_b64 s[4:5], exec, s[10:11]
; %bb.1071:                             ;   in Loop: Header=BB352_552 Depth=1
	v_bfe_u32 v9, v10, 16, 1
	v_add3_u32 v9, v10, v9, s20
                                        ; implicit-def: $vgpr10
; %bb.1072:                             ;   in Loop: Header=BB352_552 Depth=1
	s_andn2_saveexec_b64 s[10:11], s[4:5]
; %bb.1073:                             ;   in Loop: Header=BB352_552 Depth=1
	v_or_b32_e32 v9, 0x10000, v10
	v_cmp_eq_u32_sdwa s[4:5], v10, v33 src0_sel:WORD_0 src1_sel:DWORD
	s_nop 1
	v_cndmask_b32_e64 v9, v9, v10, s[4:5]
; %bb.1074:                             ;   in Loop: Header=BB352_552 Depth=1
	s_or_b64 exec, exec, s[10:11]
	v_lshrrev_b32_e32 v5, 24, v5
	v_cvt_f32_fp8_sdwa v5, v5 src0_sel:BYTE_0
                                        ; implicit-def: $vgpr11
	s_nop 0
	v_mul_f32_e32 v5, v19, v5
	v_and_b32_e32 v10, 0x7f800000, v5
	v_cmp_ne_u32_e64 s[4:5], s19, v10
	s_and_saveexec_b64 s[10:11], s[4:5]
	s_xor_b64 s[4:5], exec, s[10:11]
; %bb.1075:                             ;   in Loop: Header=BB352_552 Depth=1
	v_bfe_u32 v10, v5, 16, 1
	v_add3_u32 v11, v5, v10, s20
                                        ; implicit-def: $vgpr5
; %bb.1076:                             ;   in Loop: Header=BB352_552 Depth=1
	s_andn2_saveexec_b64 s[10:11], s[4:5]
; %bb.1077:                             ;   in Loop: Header=BB352_552 Depth=1
	v_or_b32_e32 v10, 0x10000, v5
	v_cmp_eq_u32_sdwa s[4:5], v5, v33 src0_sel:WORD_0 src1_sel:DWORD
	s_nop 1
	v_cndmask_b32_e64 v11, v10, v5, s[4:5]
; %bb.1078:                             ;   in Loop: Header=BB352_552 Depth=1
	s_or_b64 exec, exec, s[10:11]
	v_lshrrev_b32_e32 v4, 16, v4
	v_lshrrev_b32_e32 v5, 16, v8
	v_lshrrev_b32_e32 v7, 16, v7
	v_lshrrev_b32_e32 v6, 16, v6
	v_lshrrev_b32_e32 v8, 16, v1
	v_lshrrev_b32_e32 v10, 16, v0
	v_lshrrev_b32_e32 v1, 16, v9
	v_lshrrev_b32_e32 v0, 16, v11
	s_and_saveexec_b64 s[10:11], vcc
	s_cbranch_execz .LBB352_1080
; %bb.1079:                             ;   in Loop: Header=BB352_552 Depth=1
	v_accvgpr_read_b32 v9, a40
	v_cmp_lt_i32_e64 s[4:5], v9, v43
	v_accvgpr_read_b32 v9, a46
	s_nop 0
	v_cndmask_b32_e64 v10, 0, v10, s[4:5]
	v_cmp_lt_i32_e64 s[4:5], v9, v43
	v_accvgpr_read_b32 v9, a45
	s_nop 0
	v_cndmask_b32_e64 v8, 0, v8, s[4:5]
	;; [unrolled: 4-line block ×6, first 2 shown]
	v_cmp_lt_i32_e64 s[4:5], v9, v43
	s_nop 1
	v_cndmask_b32_e64 v1, 0, v1, s[4:5]
	v_cmp_lt_i32_e64 s[4:5], v59, v43
	s_nop 1
	v_cndmask_b32_e64 v0, 0, v0, s[4:5]
.LBB352_1080:                           ;   in Loop: Header=BB352_552 Depth=1
	s_or_b64 exec, exec, s[10:11]
	v_lshlrev_b32_e32 v9, 16, v10
	v_mul_f32_e32 v9, v34, v9
	v_and_b32_e32 v10, 0x7f800000, v9
	v_cmp_ne_u32_e64 s[4:5], s19, v10
                                        ; implicit-def: $agpr32
	s_and_saveexec_b64 s[10:11], s[4:5]
	s_xor_b64 s[4:5], exec, s[10:11]
; %bb.1081:                             ;   in Loop: Header=BB352_552 Depth=1
	v_bfe_u32 v10, v9, 16, 1
	v_add3_u32 v9, v9, v10, s20
	v_accvgpr_write_b32 a32, v9
                                        ; implicit-def: $vgpr9
; %bb.1082:                             ;   in Loop: Header=BB352_552 Depth=1
	s_andn2_saveexec_b64 s[10:11], s[4:5]
; %bb.1083:                             ;   in Loop: Header=BB352_552 Depth=1
	v_or_b32_e32 v10, 0x10000, v9
	v_cmp_eq_u32_sdwa s[4:5], v9, v33 src0_sel:WORD_0 src1_sel:DWORD
	s_nop 1
	v_cndmask_b32_e64 v9, v10, v9, s[4:5]
	v_accvgpr_write_b32 a32, v9
; %bb.1084:                             ;   in Loop: Header=BB352_552 Depth=1
	s_or_b64 exec, exec, s[10:11]
	v_lshlrev_b32_e32 v8, 16, v8
	v_mul_f32_e32 v8, v35, v8
	v_and_b32_e32 v9, 0x7f800000, v8
	v_cmp_ne_u32_e64 s[4:5], s19, v9
                                        ; implicit-def: $agpr33
	s_and_saveexec_b64 s[10:11], s[4:5]
	s_xor_b64 s[4:5], exec, s[10:11]
; %bb.1085:                             ;   in Loop: Header=BB352_552 Depth=1
	v_bfe_u32 v9, v8, 16, 1
	v_add3_u32 v8, v8, v9, s20
	v_accvgpr_write_b32 a33, v8
                                        ; implicit-def: $vgpr8
; %bb.1086:                             ;   in Loop: Header=BB352_552 Depth=1
	s_andn2_saveexec_b64 s[10:11], s[4:5]
; %bb.1087:                             ;   in Loop: Header=BB352_552 Depth=1
	v_or_b32_e32 v9, 0x10000, v8
	v_cmp_eq_u32_sdwa s[4:5], v8, v33 src0_sel:WORD_0 src1_sel:DWORD
	s_nop 1
	v_cndmask_b32_e64 v8, v9, v8, s[4:5]
	v_accvgpr_write_b32 a33, v8
; %bb.1088:                             ;   in Loop: Header=BB352_552 Depth=1
	s_or_b64 exec, exec, s[10:11]
	v_lshlrev_b32_e32 v6, 16, v6
	v_mul_f32_e32 v6, v36, v6
	v_and_b32_e32 v8, 0x7f800000, v6
	v_cmp_ne_u32_e64 s[4:5], s19, v8
                                        ; implicit-def: $agpr34
	s_and_saveexec_b64 s[10:11], s[4:5]
	s_xor_b64 s[4:5], exec, s[10:11]
; %bb.1089:                             ;   in Loop: Header=BB352_552 Depth=1
	v_bfe_u32 v8, v6, 16, 1
	v_add3_u32 v6, v6, v8, s20
	v_accvgpr_write_b32 a34, v6
                                        ; implicit-def: $vgpr6
; %bb.1090:                             ;   in Loop: Header=BB352_552 Depth=1
	s_andn2_saveexec_b64 s[10:11], s[4:5]
; %bb.1091:                             ;   in Loop: Header=BB352_552 Depth=1
	v_or_b32_e32 v8, 0x10000, v6
	v_cmp_eq_u32_sdwa s[4:5], v6, v33 src0_sel:WORD_0 src1_sel:DWORD
	s_nop 1
	v_cndmask_b32_e64 v6, v8, v6, s[4:5]
	v_accvgpr_write_b32 a34, v6
; %bb.1092:                             ;   in Loop: Header=BB352_552 Depth=1
	s_or_b64 exec, exec, s[10:11]
	v_lshlrev_b32_e32 v6, 16, v7
	v_mul_f32_e32 v6, v37, v6
	v_and_b32_e32 v7, 0x7f800000, v6
	v_cmp_ne_u32_e64 s[4:5], s19, v7
                                        ; implicit-def: $agpr35
	s_and_saveexec_b64 s[10:11], s[4:5]
	s_xor_b64 s[4:5], exec, s[10:11]
; %bb.1093:                             ;   in Loop: Header=BB352_552 Depth=1
	v_bfe_u32 v7, v6, 16, 1
	v_add3_u32 v6, v6, v7, s20
	v_accvgpr_write_b32 a35, v6
                                        ; implicit-def: $vgpr6
; %bb.1094:                             ;   in Loop: Header=BB352_552 Depth=1
	s_andn2_saveexec_b64 s[10:11], s[4:5]
; %bb.1095:                             ;   in Loop: Header=BB352_552 Depth=1
	v_or_b32_e32 v7, 0x10000, v6
	v_cmp_eq_u32_sdwa s[4:5], v6, v33 src0_sel:WORD_0 src1_sel:DWORD
	s_nop 1
	v_cndmask_b32_e64 v6, v7, v6, s[4:5]
	v_accvgpr_write_b32 a35, v6
; %bb.1096:                             ;   in Loop: Header=BB352_552 Depth=1
	s_or_b64 exec, exec, s[10:11]
	v_lshlrev_b32_e32 v5, 16, v5
	v_mul_f32_e32 v5, v38, v5
	v_and_b32_e32 v6, 0x7f800000, v5
	v_cmp_ne_u32_e64 s[4:5], s19, v6
                                        ; implicit-def: $agpr36
	s_and_saveexec_b64 s[10:11], s[4:5]
	s_xor_b64 s[4:5], exec, s[10:11]
; %bb.1097:                             ;   in Loop: Header=BB352_552 Depth=1
	v_bfe_u32 v6, v5, 16, 1
	v_add3_u32 v5, v5, v6, s20
	v_accvgpr_write_b32 a36, v5
                                        ; implicit-def: $vgpr5
; %bb.1098:                             ;   in Loop: Header=BB352_552 Depth=1
	s_andn2_saveexec_b64 s[10:11], s[4:5]
; %bb.1099:                             ;   in Loop: Header=BB352_552 Depth=1
	v_or_b32_e32 v6, 0x10000, v5
	v_cmp_eq_u32_sdwa s[4:5], v5, v33 src0_sel:WORD_0 src1_sel:DWORD
	s_nop 1
	v_cndmask_b32_e64 v5, v6, v5, s[4:5]
	v_accvgpr_write_b32 a36, v5
; %bb.1100:                             ;   in Loop: Header=BB352_552 Depth=1
	s_or_b64 exec, exec, s[10:11]
	v_lshlrev_b32_e32 v4, 16, v4
	v_mul_f32_e32 v4, v39, v4
	v_and_b32_e32 v5, 0x7f800000, v4
	v_cmp_ne_u32_e64 s[4:5], s19, v5
                                        ; implicit-def: $agpr37
	s_and_saveexec_b64 s[10:11], s[4:5]
	s_xor_b64 s[4:5], exec, s[10:11]
; %bb.1101:                             ;   in Loop: Header=BB352_552 Depth=1
	v_bfe_u32 v5, v4, 16, 1
	v_add3_u32 v4, v4, v5, s20
	v_accvgpr_write_b32 a37, v4
                                        ; implicit-def: $vgpr4
; %bb.1102:                             ;   in Loop: Header=BB352_552 Depth=1
	s_andn2_saveexec_b64 s[10:11], s[4:5]
; %bb.1103:                             ;   in Loop: Header=BB352_552 Depth=1
	v_or_b32_e32 v5, 0x10000, v4
	v_cmp_eq_u32_sdwa s[4:5], v4, v33 src0_sel:WORD_0 src1_sel:DWORD
	s_nop 1
	v_cndmask_b32_e64 v4, v5, v4, s[4:5]
	v_accvgpr_write_b32 a37, v4
; %bb.1104:                             ;   in Loop: Header=BB352_552 Depth=1
	s_or_b64 exec, exec, s[10:11]
	v_lshlrev_b32_e32 v1, 16, v1
	v_mul_f32_e32 v1, v48, v1
	v_and_b32_e32 v4, 0x7f800000, v1
	v_cmp_ne_u32_e64 s[4:5], s19, v4
                                        ; implicit-def: $agpr38
	s_and_saveexec_b64 s[10:11], s[4:5]
	s_xor_b64 s[4:5], exec, s[10:11]
; %bb.1105:                             ;   in Loop: Header=BB352_552 Depth=1
	v_bfe_u32 v4, v1, 16, 1
	v_add3_u32 v1, v1, v4, s20
	v_accvgpr_write_b32 a38, v1
                                        ; implicit-def: $vgpr1
; %bb.1106:                             ;   in Loop: Header=BB352_552 Depth=1
	s_andn2_saveexec_b64 s[10:11], s[4:5]
; %bb.1107:                             ;   in Loop: Header=BB352_552 Depth=1
	v_or_b32_e32 v4, 0x10000, v1
	v_cmp_eq_u32_sdwa s[4:5], v1, v33 src0_sel:WORD_0 src1_sel:DWORD
	s_nop 1
	v_cndmask_b32_e64 v1, v4, v1, s[4:5]
	v_accvgpr_write_b32 a38, v1
; %bb.1108:                             ;   in Loop: Header=BB352_552 Depth=1
	s_or_b64 exec, exec, s[10:11]
	v_lshlrev_b32_e32 v0, 16, v0
	v_mul_f32_e32 v0, v49, v0
	v_and_b32_e32 v1, 0x7f800000, v0
	v_cmp_ne_u32_e64 s[4:5], s19, v1
                                        ; implicit-def: $agpr39
	s_and_saveexec_b64 s[10:11], s[4:5]
	s_xor_b64 s[4:5], exec, s[10:11]
; %bb.1109:                             ;   in Loop: Header=BB352_552 Depth=1
	v_bfe_u32 v1, v0, 16, 1
	v_add3_u32 v0, v0, v1, s20
	v_accvgpr_write_b32 a39, v0
                                        ; implicit-def: $vgpr0
; %bb.1110:                             ;   in Loop: Header=BB352_552 Depth=1
	s_andn2_saveexec_b64 s[10:11], s[4:5]
; %bb.1111:                             ;   in Loop: Header=BB352_552 Depth=1
	v_or_b32_e32 v1, 0x10000, v0
	v_cmp_eq_u32_sdwa s[4:5], v0, v33 src0_sel:WORD_0 src1_sel:DWORD
	s_nop 1
	v_cndmask_b32_e64 v0, v1, v0, s[4:5]
	v_accvgpr_write_b32 a39, v0
; %bb.1112:                             ;   in Loop: Header=BB352_552 Depth=1
	s_or_b64 exec, exec, s[10:11]
	scratch_load_dwordx2 v[0:1], off, s32 offset:392 ; 8-byte Folded Reload
	s_waitcnt vmcnt(0)
	v_lshl_add_u64 v[0:1], v[2:3], 0, v[0:1]
	flat_load_dwordx2 v[4:5], v[0:1]
	s_waitcnt vmcnt(0) lgkmcnt(0)
	v_and_b32_e32 v0, 0xff, v4
	v_cvt_f32_fp8_sdwa v0, v0 src0_sel:BYTE_0
	s_nop 0
	v_mul_f32_e32 v1, v19, v0
	v_and_b32_e32 v0, 0x7f800000, v1
	v_cmp_ne_u32_e64 s[4:5], s19, v0
                                        ; implicit-def: $vgpr0
	s_and_saveexec_b64 s[10:11], s[4:5]
	s_xor_b64 s[4:5], exec, s[10:11]
; %bb.1113:                             ;   in Loop: Header=BB352_552 Depth=1
	v_bfe_u32 v0, v1, 16, 1
	v_add3_u32 v0, v1, v0, s20
                                        ; implicit-def: $vgpr1
; %bb.1114:                             ;   in Loop: Header=BB352_552 Depth=1
	s_andn2_saveexec_b64 s[10:11], s[4:5]
; %bb.1115:                             ;   in Loop: Header=BB352_552 Depth=1
	v_or_b32_e32 v0, 0x10000, v1
	v_cmp_eq_u32_sdwa s[4:5], v1, v33 src0_sel:WORD_0 src1_sel:DWORD
	s_nop 1
	v_cndmask_b32_e64 v0, v0, v1, s[4:5]
; %bb.1116:                             ;   in Loop: Header=BB352_552 Depth=1
	s_or_b64 exec, exec, s[10:11]
	v_bfe_u32 v1, v4, 8, 8
	v_cvt_f32_fp8_sdwa v1, v1 src0_sel:BYTE_0
	s_nop 0
	v_mul_f32_e32 v6, v19, v1
	v_and_b32_e32 v1, 0x7f800000, v6
	v_cmp_ne_u32_e64 s[4:5], s19, v1
                                        ; implicit-def: $vgpr1
	s_and_saveexec_b64 s[10:11], s[4:5]
	s_xor_b64 s[4:5], exec, s[10:11]
; %bb.1117:                             ;   in Loop: Header=BB352_552 Depth=1
	v_bfe_u32 v1, v6, 16, 1
	v_add3_u32 v1, v6, v1, s20
                                        ; implicit-def: $vgpr6
; %bb.1118:                             ;   in Loop: Header=BB352_552 Depth=1
	s_andn2_saveexec_b64 s[10:11], s[4:5]
; %bb.1119:                             ;   in Loop: Header=BB352_552 Depth=1
	v_or_b32_e32 v1, 0x10000, v6
	v_cmp_eq_u32_sdwa s[4:5], v6, v33 src0_sel:WORD_0 src1_sel:DWORD
	s_nop 1
	v_cndmask_b32_e64 v1, v1, v6, s[4:5]
; %bb.1120:                             ;   in Loop: Header=BB352_552 Depth=1
	s_or_b64 exec, exec, s[10:11]
	v_bfe_u32 v6, v4, 16, 8
	v_cvt_f32_fp8_sdwa v6, v6 src0_sel:BYTE_0
	s_nop 0
	v_mul_f32_e32 v7, v19, v6
	v_and_b32_e32 v6, 0x7f800000, v7
	v_cmp_ne_u32_e64 s[4:5], s19, v6
                                        ; implicit-def: $vgpr6
	s_and_saveexec_b64 s[10:11], s[4:5]
	s_xor_b64 s[4:5], exec, s[10:11]
; %bb.1121:                             ;   in Loop: Header=BB352_552 Depth=1
	v_bfe_u32 v6, v7, 16, 1
	v_add3_u32 v6, v7, v6, s20
                                        ; implicit-def: $vgpr7
; %bb.1122:                             ;   in Loop: Header=BB352_552 Depth=1
	s_andn2_saveexec_b64 s[10:11], s[4:5]
; %bb.1123:                             ;   in Loop: Header=BB352_552 Depth=1
	v_or_b32_e32 v6, 0x10000, v7
	v_cmp_eq_u32_sdwa s[4:5], v7, v33 src0_sel:WORD_0 src1_sel:DWORD
	s_nop 1
	v_cndmask_b32_e64 v6, v6, v7, s[4:5]
; %bb.1124:                             ;   in Loop: Header=BB352_552 Depth=1
	s_or_b64 exec, exec, s[10:11]
	v_lshrrev_b32_e32 v4, 24, v4
	v_cvt_f32_fp8_sdwa v4, v4 src0_sel:BYTE_0
	s_nop 0
	v_mul_f32_e32 v4, v19, v4
	v_and_b32_e32 v7, 0x7f800000, v4
	v_cmp_ne_u32_e64 s[4:5], s19, v7
                                        ; implicit-def: $vgpr7
	s_and_saveexec_b64 s[10:11], s[4:5]
	s_xor_b64 s[4:5], exec, s[10:11]
; %bb.1125:                             ;   in Loop: Header=BB352_552 Depth=1
	v_bfe_u32 v7, v4, 16, 1
	v_add3_u32 v7, v4, v7, s20
                                        ; implicit-def: $vgpr4
; %bb.1126:                             ;   in Loop: Header=BB352_552 Depth=1
	s_andn2_saveexec_b64 s[10:11], s[4:5]
; %bb.1127:                             ;   in Loop: Header=BB352_552 Depth=1
	v_or_b32_e32 v7, 0x10000, v4
	v_cmp_eq_u32_sdwa s[4:5], v4, v33 src0_sel:WORD_0 src1_sel:DWORD
	s_nop 1
	v_cndmask_b32_e64 v7, v7, v4, s[4:5]
; %bb.1128:                             ;   in Loop: Header=BB352_552 Depth=1
	s_or_b64 exec, exec, s[10:11]
	v_and_b32_e32 v4, 0xff, v5
	v_cvt_f32_fp8_sdwa v4, v4 src0_sel:BYTE_0
	s_nop 0
	v_mul_f32_e32 v4, v19, v4
	v_and_b32_e32 v8, 0x7f800000, v4
	v_cmp_ne_u32_e64 s[4:5], s19, v8
                                        ; implicit-def: $vgpr8
	s_and_saveexec_b64 s[10:11], s[4:5]
	s_xor_b64 s[4:5], exec, s[10:11]
; %bb.1129:                             ;   in Loop: Header=BB352_552 Depth=1
	v_bfe_u32 v8, v4, 16, 1
	v_add3_u32 v8, v4, v8, s20
                                        ; implicit-def: $vgpr4
; %bb.1130:                             ;   in Loop: Header=BB352_552 Depth=1
	s_andn2_saveexec_b64 s[10:11], s[4:5]
; %bb.1131:                             ;   in Loop: Header=BB352_552 Depth=1
	v_or_b32_e32 v8, 0x10000, v4
	v_cmp_eq_u32_sdwa s[4:5], v4, v33 src0_sel:WORD_0 src1_sel:DWORD
	s_nop 1
	v_cndmask_b32_e64 v8, v8, v4, s[4:5]
; %bb.1132:                             ;   in Loop: Header=BB352_552 Depth=1
	s_or_b64 exec, exec, s[10:11]
	v_bfe_u32 v4, v5, 8, 8
	v_cvt_f32_fp8_sdwa v4, v4 src0_sel:BYTE_0
	s_nop 0
	v_mul_f32_e32 v9, v19, v4
	v_and_b32_e32 v4, 0x7f800000, v9
	v_cmp_ne_u32_e64 s[4:5], s19, v4
                                        ; implicit-def: $vgpr4
	s_and_saveexec_b64 s[10:11], s[4:5]
	s_xor_b64 s[4:5], exec, s[10:11]
; %bb.1133:                             ;   in Loop: Header=BB352_552 Depth=1
	v_bfe_u32 v4, v9, 16, 1
	v_add3_u32 v4, v9, v4, s20
                                        ; implicit-def: $vgpr9
; %bb.1134:                             ;   in Loop: Header=BB352_552 Depth=1
	s_andn2_saveexec_b64 s[10:11], s[4:5]
; %bb.1135:                             ;   in Loop: Header=BB352_552 Depth=1
	v_or_b32_e32 v4, 0x10000, v9
	v_cmp_eq_u32_sdwa s[4:5], v9, v33 src0_sel:WORD_0 src1_sel:DWORD
	s_nop 1
	v_cndmask_b32_e64 v4, v4, v9, s[4:5]
; %bb.1136:                             ;   in Loop: Header=BB352_552 Depth=1
	s_or_b64 exec, exec, s[10:11]
	v_bfe_u32 v9, v5, 16, 8
	v_cvt_f32_fp8_sdwa v9, v9 src0_sel:BYTE_0
	s_nop 0
	v_mul_f32_e32 v10, v19, v9
	v_and_b32_e32 v9, 0x7f800000, v10
	v_cmp_ne_u32_e64 s[4:5], s19, v9
                                        ; implicit-def: $vgpr9
	s_and_saveexec_b64 s[10:11], s[4:5]
	s_xor_b64 s[4:5], exec, s[10:11]
; %bb.1137:                             ;   in Loop: Header=BB352_552 Depth=1
	v_bfe_u32 v9, v10, 16, 1
	v_add3_u32 v9, v10, v9, s20
                                        ; implicit-def: $vgpr10
; %bb.1138:                             ;   in Loop: Header=BB352_552 Depth=1
	s_andn2_saveexec_b64 s[10:11], s[4:5]
; %bb.1139:                             ;   in Loop: Header=BB352_552 Depth=1
	v_or_b32_e32 v9, 0x10000, v10
	v_cmp_eq_u32_sdwa s[4:5], v10, v33 src0_sel:WORD_0 src1_sel:DWORD
	s_nop 1
	v_cndmask_b32_e64 v9, v9, v10, s[4:5]
; %bb.1140:                             ;   in Loop: Header=BB352_552 Depth=1
	s_or_b64 exec, exec, s[10:11]
	v_lshrrev_b32_e32 v5, 24, v5
	v_cvt_f32_fp8_sdwa v5, v5 src0_sel:BYTE_0
                                        ; implicit-def: $vgpr11
	s_nop 0
	v_mul_f32_e32 v5, v19, v5
	v_and_b32_e32 v10, 0x7f800000, v5
	v_cmp_ne_u32_e64 s[4:5], s19, v10
	s_and_saveexec_b64 s[10:11], s[4:5]
	s_xor_b64 s[4:5], exec, s[10:11]
; %bb.1141:                             ;   in Loop: Header=BB352_552 Depth=1
	v_bfe_u32 v10, v5, 16, 1
	v_add3_u32 v11, v5, v10, s20
                                        ; implicit-def: $vgpr5
; %bb.1142:                             ;   in Loop: Header=BB352_552 Depth=1
	s_andn2_saveexec_b64 s[10:11], s[4:5]
; %bb.1143:                             ;   in Loop: Header=BB352_552 Depth=1
	v_or_b32_e32 v10, 0x10000, v5
	v_cmp_eq_u32_sdwa s[4:5], v5, v33 src0_sel:WORD_0 src1_sel:DWORD
	s_nop 1
	v_cndmask_b32_e64 v11, v10, v5, s[4:5]
; %bb.1144:                             ;   in Loop: Header=BB352_552 Depth=1
	s_or_b64 exec, exec, s[10:11]
	v_lshrrev_b32_e32 v4, 16, v4
	v_lshrrev_b32_e32 v5, 16, v8
	;; [unrolled: 1-line block ×8, first 2 shown]
	s_and_saveexec_b64 s[10:11], vcc
	s_cbranch_execz .LBB352_1146
; %bb.1145:                             ;   in Loop: Header=BB352_552 Depth=1
	v_accvgpr_read_b32 v9, a40
	v_cmp_lt_i32_e64 s[4:5], v9, v43
	v_accvgpr_read_b32 v9, a46
	s_nop 0
	v_cndmask_b32_e64 v10, 0, v10, s[4:5]
	v_cmp_lt_i32_e64 s[4:5], v9, v43
	v_accvgpr_read_b32 v9, a45
	s_nop 0
	v_cndmask_b32_e64 v8, 0, v8, s[4:5]
	;; [unrolled: 4-line block ×6, first 2 shown]
	v_cmp_lt_i32_e64 s[4:5], v9, v43
	s_nop 1
	v_cndmask_b32_e64 v1, 0, v1, s[4:5]
	v_cmp_lt_i32_e64 s[4:5], v59, v43
	s_nop 1
	v_cndmask_b32_e64 v0, 0, v0, s[4:5]
.LBB352_1146:                           ;   in Loop: Header=BB352_552 Depth=1
	s_or_b64 exec, exec, s[10:11]
	v_lshlrev_b32_e32 v9, 16, v10
	v_mul_f32_e32 v9, v34, v9
	v_and_b32_e32 v10, 0x7f800000, v9
	v_cmp_ne_u32_e64 s[4:5], s19, v10
                                        ; implicit-def: $agpr47
	s_and_saveexec_b64 s[10:11], s[4:5]
	s_xor_b64 s[4:5], exec, s[10:11]
; %bb.1147:                             ;   in Loop: Header=BB352_552 Depth=1
	v_bfe_u32 v10, v9, 16, 1
	v_add3_u32 v9, v9, v10, s20
	v_accvgpr_write_b32 a47, v9
                                        ; implicit-def: $vgpr9
; %bb.1148:                             ;   in Loop: Header=BB352_552 Depth=1
	s_andn2_saveexec_b64 s[10:11], s[4:5]
; %bb.1149:                             ;   in Loop: Header=BB352_552 Depth=1
	v_or_b32_e32 v10, 0x10000, v9
	v_cmp_eq_u32_sdwa s[4:5], v9, v33 src0_sel:WORD_0 src1_sel:DWORD
	s_nop 1
	v_cndmask_b32_e64 v9, v10, v9, s[4:5]
	v_accvgpr_write_b32 a47, v9
; %bb.1150:                             ;   in Loop: Header=BB352_552 Depth=1
	s_or_b64 exec, exec, s[10:11]
	v_lshlrev_b32_e32 v8, 16, v8
	v_mul_f32_e32 v8, v35, v8
	v_and_b32_e32 v9, 0x7f800000, v8
	v_cmp_ne_u32_e64 s[4:5], s19, v9
                                        ; implicit-def: $agpr48
	s_and_saveexec_b64 s[10:11], s[4:5]
	s_xor_b64 s[4:5], exec, s[10:11]
; %bb.1151:                             ;   in Loop: Header=BB352_552 Depth=1
	v_bfe_u32 v9, v8, 16, 1
	v_add3_u32 v8, v8, v9, s20
	v_accvgpr_write_b32 a48, v8
                                        ; implicit-def: $vgpr8
; %bb.1152:                             ;   in Loop: Header=BB352_552 Depth=1
	s_andn2_saveexec_b64 s[10:11], s[4:5]
; %bb.1153:                             ;   in Loop: Header=BB352_552 Depth=1
	v_or_b32_e32 v9, 0x10000, v8
	v_cmp_eq_u32_sdwa s[4:5], v8, v33 src0_sel:WORD_0 src1_sel:DWORD
	s_nop 1
	v_cndmask_b32_e64 v8, v9, v8, s[4:5]
	v_accvgpr_write_b32 a48, v8
; %bb.1154:                             ;   in Loop: Header=BB352_552 Depth=1
	s_or_b64 exec, exec, s[10:11]
	v_lshlrev_b32_e32 v6, 16, v6
	v_mul_f32_e32 v6, v36, v6
	v_and_b32_e32 v8, 0x7f800000, v6
	v_cmp_ne_u32_e64 s[4:5], s19, v8
                                        ; implicit-def: $agpr49
	s_and_saveexec_b64 s[10:11], s[4:5]
	s_xor_b64 s[4:5], exec, s[10:11]
; %bb.1155:                             ;   in Loop: Header=BB352_552 Depth=1
	v_bfe_u32 v8, v6, 16, 1
	v_add3_u32 v6, v6, v8, s20
	v_accvgpr_write_b32 a49, v6
                                        ; implicit-def: $vgpr6
; %bb.1156:                             ;   in Loop: Header=BB352_552 Depth=1
	s_andn2_saveexec_b64 s[10:11], s[4:5]
; %bb.1157:                             ;   in Loop: Header=BB352_552 Depth=1
	v_or_b32_e32 v8, 0x10000, v6
	v_cmp_eq_u32_sdwa s[4:5], v6, v33 src0_sel:WORD_0 src1_sel:DWORD
	s_nop 1
	v_cndmask_b32_e64 v6, v8, v6, s[4:5]
	v_accvgpr_write_b32 a49, v6
; %bb.1158:                             ;   in Loop: Header=BB352_552 Depth=1
	s_or_b64 exec, exec, s[10:11]
	v_lshlrev_b32_e32 v6, 16, v7
	v_mul_f32_e32 v6, v37, v6
	v_and_b32_e32 v7, 0x7f800000, v6
	v_cmp_ne_u32_e64 s[4:5], s19, v7
                                        ; implicit-def: $agpr50
	s_and_saveexec_b64 s[10:11], s[4:5]
	s_xor_b64 s[4:5], exec, s[10:11]
; %bb.1159:                             ;   in Loop: Header=BB352_552 Depth=1
	v_bfe_u32 v7, v6, 16, 1
	v_add3_u32 v6, v6, v7, s20
	v_accvgpr_write_b32 a50, v6
                                        ; implicit-def: $vgpr6
; %bb.1160:                             ;   in Loop: Header=BB352_552 Depth=1
	s_andn2_saveexec_b64 s[10:11], s[4:5]
; %bb.1161:                             ;   in Loop: Header=BB352_552 Depth=1
	v_or_b32_e32 v7, 0x10000, v6
	v_cmp_eq_u32_sdwa s[4:5], v6, v33 src0_sel:WORD_0 src1_sel:DWORD
	s_nop 1
	v_cndmask_b32_e64 v6, v7, v6, s[4:5]
	v_accvgpr_write_b32 a50, v6
; %bb.1162:                             ;   in Loop: Header=BB352_552 Depth=1
	s_or_b64 exec, exec, s[10:11]
	v_lshlrev_b32_e32 v5, 16, v5
	v_mul_f32_e32 v5, v38, v5
	v_and_b32_e32 v6, 0x7f800000, v5
	v_cmp_ne_u32_e64 s[4:5], s19, v6
                                        ; implicit-def: $agpr51
	s_and_saveexec_b64 s[10:11], s[4:5]
	s_xor_b64 s[4:5], exec, s[10:11]
; %bb.1163:                             ;   in Loop: Header=BB352_552 Depth=1
	v_bfe_u32 v6, v5, 16, 1
	v_add3_u32 v5, v5, v6, s20
	v_accvgpr_write_b32 a51, v5
                                        ; implicit-def: $vgpr5
; %bb.1164:                             ;   in Loop: Header=BB352_552 Depth=1
	s_andn2_saveexec_b64 s[10:11], s[4:5]
; %bb.1165:                             ;   in Loop: Header=BB352_552 Depth=1
	v_or_b32_e32 v6, 0x10000, v5
	v_cmp_eq_u32_sdwa s[4:5], v5, v33 src0_sel:WORD_0 src1_sel:DWORD
	s_nop 1
	v_cndmask_b32_e64 v5, v6, v5, s[4:5]
	v_accvgpr_write_b32 a51, v5
; %bb.1166:                             ;   in Loop: Header=BB352_552 Depth=1
	s_or_b64 exec, exec, s[10:11]
	v_lshlrev_b32_e32 v4, 16, v4
	v_mul_f32_e32 v4, v39, v4
	v_and_b32_e32 v5, 0x7f800000, v4
	v_cmp_ne_u32_e64 s[4:5], s19, v5
                                        ; implicit-def: $agpr52
	s_and_saveexec_b64 s[10:11], s[4:5]
	s_xor_b64 s[4:5], exec, s[10:11]
; %bb.1167:                             ;   in Loop: Header=BB352_552 Depth=1
	v_bfe_u32 v5, v4, 16, 1
	v_add3_u32 v4, v4, v5, s20
	v_accvgpr_write_b32 a52, v4
                                        ; implicit-def: $vgpr4
; %bb.1168:                             ;   in Loop: Header=BB352_552 Depth=1
	s_andn2_saveexec_b64 s[10:11], s[4:5]
; %bb.1169:                             ;   in Loop: Header=BB352_552 Depth=1
	v_or_b32_e32 v5, 0x10000, v4
	v_cmp_eq_u32_sdwa s[4:5], v4, v33 src0_sel:WORD_0 src1_sel:DWORD
	s_nop 1
	v_cndmask_b32_e64 v4, v5, v4, s[4:5]
	v_accvgpr_write_b32 a52, v4
; %bb.1170:                             ;   in Loop: Header=BB352_552 Depth=1
	s_or_b64 exec, exec, s[10:11]
	v_lshlrev_b32_e32 v1, 16, v1
	v_mul_f32_e32 v1, v48, v1
	v_and_b32_e32 v4, 0x7f800000, v1
	v_cmp_ne_u32_e64 s[4:5], s19, v4
                                        ; implicit-def: $agpr53
	s_and_saveexec_b64 s[10:11], s[4:5]
	s_xor_b64 s[4:5], exec, s[10:11]
; %bb.1171:                             ;   in Loop: Header=BB352_552 Depth=1
	v_bfe_u32 v4, v1, 16, 1
	v_add3_u32 v1, v1, v4, s20
	v_accvgpr_write_b32 a53, v1
                                        ; implicit-def: $vgpr1
; %bb.1172:                             ;   in Loop: Header=BB352_552 Depth=1
	s_andn2_saveexec_b64 s[10:11], s[4:5]
; %bb.1173:                             ;   in Loop: Header=BB352_552 Depth=1
	v_or_b32_e32 v4, 0x10000, v1
	v_cmp_eq_u32_sdwa s[4:5], v1, v33 src0_sel:WORD_0 src1_sel:DWORD
	s_nop 1
	v_cndmask_b32_e64 v1, v4, v1, s[4:5]
	v_accvgpr_write_b32 a53, v1
; %bb.1174:                             ;   in Loop: Header=BB352_552 Depth=1
	s_or_b64 exec, exec, s[10:11]
	v_lshlrev_b32_e32 v0, 16, v0
	v_mul_f32_e32 v0, v49, v0
	v_and_b32_e32 v1, 0x7f800000, v0
	v_cmp_ne_u32_e64 s[4:5], s19, v1
                                        ; implicit-def: $agpr54
	s_and_saveexec_b64 s[10:11], s[4:5]
	s_xor_b64 s[4:5], exec, s[10:11]
; %bb.1175:                             ;   in Loop: Header=BB352_552 Depth=1
	v_bfe_u32 v1, v0, 16, 1
	v_add3_u32 v0, v0, v1, s20
	v_accvgpr_write_b32 a54, v0
                                        ; implicit-def: $vgpr0
; %bb.1176:                             ;   in Loop: Header=BB352_552 Depth=1
	s_andn2_saveexec_b64 s[10:11], s[4:5]
; %bb.1177:                             ;   in Loop: Header=BB352_552 Depth=1
	v_or_b32_e32 v1, 0x10000, v0
	v_cmp_eq_u32_sdwa s[4:5], v0, v33 src0_sel:WORD_0 src1_sel:DWORD
	s_nop 1
	v_cndmask_b32_e64 v0, v1, v0, s[4:5]
	v_accvgpr_write_b32 a54, v0
; %bb.1178:                             ;   in Loop: Header=BB352_552 Depth=1
	s_or_b64 exec, exec, s[10:11]
	scratch_load_dwordx2 v[0:1], off, s32 offset:400 ; 8-byte Folded Reload
	s_waitcnt vmcnt(0)
	v_lshl_add_u64 v[0:1], v[2:3], 0, v[0:1]
	flat_load_dwordx2 v[4:5], v[0:1]
	s_waitcnt vmcnt(0) lgkmcnt(0)
	v_and_b32_e32 v0, 0xff, v4
	v_cvt_f32_fp8_sdwa v0, v0 src0_sel:BYTE_0
	s_nop 0
	v_mul_f32_e32 v1, v19, v0
	v_and_b32_e32 v0, 0x7f800000, v1
	v_cmp_ne_u32_e64 s[4:5], s19, v0
                                        ; implicit-def: $vgpr0
	s_and_saveexec_b64 s[10:11], s[4:5]
	s_xor_b64 s[4:5], exec, s[10:11]
; %bb.1179:                             ;   in Loop: Header=BB352_552 Depth=1
	v_bfe_u32 v0, v1, 16, 1
	v_add3_u32 v0, v1, v0, s20
                                        ; implicit-def: $vgpr1
; %bb.1180:                             ;   in Loop: Header=BB352_552 Depth=1
	s_andn2_saveexec_b64 s[10:11], s[4:5]
; %bb.1181:                             ;   in Loop: Header=BB352_552 Depth=1
	v_or_b32_e32 v0, 0x10000, v1
	v_cmp_eq_u32_sdwa s[4:5], v1, v33 src0_sel:WORD_0 src1_sel:DWORD
	s_nop 1
	v_cndmask_b32_e64 v0, v0, v1, s[4:5]
; %bb.1182:                             ;   in Loop: Header=BB352_552 Depth=1
	s_or_b64 exec, exec, s[10:11]
	v_bfe_u32 v1, v4, 8, 8
	v_cvt_f32_fp8_sdwa v1, v1 src0_sel:BYTE_0
	s_nop 0
	v_mul_f32_e32 v6, v19, v1
	v_and_b32_e32 v1, 0x7f800000, v6
	v_cmp_ne_u32_e64 s[4:5], s19, v1
                                        ; implicit-def: $vgpr1
	s_and_saveexec_b64 s[10:11], s[4:5]
	s_xor_b64 s[4:5], exec, s[10:11]
; %bb.1183:                             ;   in Loop: Header=BB352_552 Depth=1
	v_bfe_u32 v1, v6, 16, 1
	v_add3_u32 v1, v6, v1, s20
                                        ; implicit-def: $vgpr6
; %bb.1184:                             ;   in Loop: Header=BB352_552 Depth=1
	s_andn2_saveexec_b64 s[10:11], s[4:5]
; %bb.1185:                             ;   in Loop: Header=BB352_552 Depth=1
	v_or_b32_e32 v1, 0x10000, v6
	v_cmp_eq_u32_sdwa s[4:5], v6, v33 src0_sel:WORD_0 src1_sel:DWORD
	s_nop 1
	v_cndmask_b32_e64 v1, v1, v6, s[4:5]
; %bb.1186:                             ;   in Loop: Header=BB352_552 Depth=1
	s_or_b64 exec, exec, s[10:11]
	v_bfe_u32 v6, v4, 16, 8
	v_cvt_f32_fp8_sdwa v6, v6 src0_sel:BYTE_0
	s_nop 0
	v_mul_f32_e32 v7, v19, v6
	v_and_b32_e32 v6, 0x7f800000, v7
	v_cmp_ne_u32_e64 s[4:5], s19, v6
                                        ; implicit-def: $vgpr6
	s_and_saveexec_b64 s[10:11], s[4:5]
	s_xor_b64 s[4:5], exec, s[10:11]
; %bb.1187:                             ;   in Loop: Header=BB352_552 Depth=1
	v_bfe_u32 v6, v7, 16, 1
	v_add3_u32 v6, v7, v6, s20
                                        ; implicit-def: $vgpr7
; %bb.1188:                             ;   in Loop: Header=BB352_552 Depth=1
	s_andn2_saveexec_b64 s[10:11], s[4:5]
; %bb.1189:                             ;   in Loop: Header=BB352_552 Depth=1
	v_or_b32_e32 v6, 0x10000, v7
	v_cmp_eq_u32_sdwa s[4:5], v7, v33 src0_sel:WORD_0 src1_sel:DWORD
	s_nop 1
	v_cndmask_b32_e64 v6, v6, v7, s[4:5]
; %bb.1190:                             ;   in Loop: Header=BB352_552 Depth=1
	s_or_b64 exec, exec, s[10:11]
	v_lshrrev_b32_e32 v4, 24, v4
	v_cvt_f32_fp8_sdwa v4, v4 src0_sel:BYTE_0
	s_nop 0
	v_mul_f32_e32 v4, v19, v4
	v_and_b32_e32 v7, 0x7f800000, v4
	v_cmp_ne_u32_e64 s[4:5], s19, v7
                                        ; implicit-def: $vgpr7
	s_and_saveexec_b64 s[10:11], s[4:5]
	s_xor_b64 s[4:5], exec, s[10:11]
; %bb.1191:                             ;   in Loop: Header=BB352_552 Depth=1
	v_bfe_u32 v7, v4, 16, 1
	v_add3_u32 v7, v4, v7, s20
                                        ; implicit-def: $vgpr4
; %bb.1192:                             ;   in Loop: Header=BB352_552 Depth=1
	s_andn2_saveexec_b64 s[10:11], s[4:5]
; %bb.1193:                             ;   in Loop: Header=BB352_552 Depth=1
	v_or_b32_e32 v7, 0x10000, v4
	v_cmp_eq_u32_sdwa s[4:5], v4, v33 src0_sel:WORD_0 src1_sel:DWORD
	s_nop 1
	v_cndmask_b32_e64 v7, v7, v4, s[4:5]
; %bb.1194:                             ;   in Loop: Header=BB352_552 Depth=1
	s_or_b64 exec, exec, s[10:11]
	v_and_b32_e32 v4, 0xff, v5
	v_cvt_f32_fp8_sdwa v4, v4 src0_sel:BYTE_0
	s_nop 0
	v_mul_f32_e32 v4, v19, v4
	v_and_b32_e32 v8, 0x7f800000, v4
	v_cmp_ne_u32_e64 s[4:5], s19, v8
                                        ; implicit-def: $vgpr8
	s_and_saveexec_b64 s[10:11], s[4:5]
	s_xor_b64 s[4:5], exec, s[10:11]
; %bb.1195:                             ;   in Loop: Header=BB352_552 Depth=1
	v_bfe_u32 v8, v4, 16, 1
	v_add3_u32 v8, v4, v8, s20
                                        ; implicit-def: $vgpr4
; %bb.1196:                             ;   in Loop: Header=BB352_552 Depth=1
	s_andn2_saveexec_b64 s[10:11], s[4:5]
; %bb.1197:                             ;   in Loop: Header=BB352_552 Depth=1
	v_or_b32_e32 v8, 0x10000, v4
	v_cmp_eq_u32_sdwa s[4:5], v4, v33 src0_sel:WORD_0 src1_sel:DWORD
	s_nop 1
	v_cndmask_b32_e64 v8, v8, v4, s[4:5]
; %bb.1198:                             ;   in Loop: Header=BB352_552 Depth=1
	s_or_b64 exec, exec, s[10:11]
	v_bfe_u32 v4, v5, 8, 8
	v_cvt_f32_fp8_sdwa v4, v4 src0_sel:BYTE_0
	s_nop 0
	v_mul_f32_e32 v9, v19, v4
	v_and_b32_e32 v4, 0x7f800000, v9
	v_cmp_ne_u32_e64 s[4:5], s19, v4
                                        ; implicit-def: $vgpr4
	s_and_saveexec_b64 s[10:11], s[4:5]
	s_xor_b64 s[4:5], exec, s[10:11]
; %bb.1199:                             ;   in Loop: Header=BB352_552 Depth=1
	v_bfe_u32 v4, v9, 16, 1
	v_add3_u32 v4, v9, v4, s20
                                        ; implicit-def: $vgpr9
; %bb.1200:                             ;   in Loop: Header=BB352_552 Depth=1
	s_andn2_saveexec_b64 s[10:11], s[4:5]
; %bb.1201:                             ;   in Loop: Header=BB352_552 Depth=1
	v_or_b32_e32 v4, 0x10000, v9
	v_cmp_eq_u32_sdwa s[4:5], v9, v33 src0_sel:WORD_0 src1_sel:DWORD
	s_nop 1
	v_cndmask_b32_e64 v4, v4, v9, s[4:5]
; %bb.1202:                             ;   in Loop: Header=BB352_552 Depth=1
	s_or_b64 exec, exec, s[10:11]
	v_bfe_u32 v9, v5, 16, 8
	v_cvt_f32_fp8_sdwa v9, v9 src0_sel:BYTE_0
	s_nop 0
	v_mul_f32_e32 v10, v19, v9
	v_and_b32_e32 v9, 0x7f800000, v10
	v_cmp_ne_u32_e64 s[4:5], s19, v9
                                        ; implicit-def: $vgpr9
	s_and_saveexec_b64 s[10:11], s[4:5]
	s_xor_b64 s[4:5], exec, s[10:11]
; %bb.1203:                             ;   in Loop: Header=BB352_552 Depth=1
	v_bfe_u32 v9, v10, 16, 1
	v_add3_u32 v9, v10, v9, s20
                                        ; implicit-def: $vgpr10
; %bb.1204:                             ;   in Loop: Header=BB352_552 Depth=1
	s_andn2_saveexec_b64 s[10:11], s[4:5]
; %bb.1205:                             ;   in Loop: Header=BB352_552 Depth=1
	v_or_b32_e32 v9, 0x10000, v10
	v_cmp_eq_u32_sdwa s[4:5], v10, v33 src0_sel:WORD_0 src1_sel:DWORD
	s_nop 1
	v_cndmask_b32_e64 v9, v9, v10, s[4:5]
; %bb.1206:                             ;   in Loop: Header=BB352_552 Depth=1
	s_or_b64 exec, exec, s[10:11]
	v_lshrrev_b32_e32 v5, 24, v5
	v_cvt_f32_fp8_sdwa v5, v5 src0_sel:BYTE_0
                                        ; implicit-def: $vgpr11
	s_nop 0
	v_mul_f32_e32 v5, v19, v5
	v_and_b32_e32 v10, 0x7f800000, v5
	v_cmp_ne_u32_e64 s[4:5], s19, v10
	s_and_saveexec_b64 s[10:11], s[4:5]
	s_xor_b64 s[4:5], exec, s[10:11]
; %bb.1207:                             ;   in Loop: Header=BB352_552 Depth=1
	v_bfe_u32 v10, v5, 16, 1
	v_add3_u32 v11, v5, v10, s20
                                        ; implicit-def: $vgpr5
; %bb.1208:                             ;   in Loop: Header=BB352_552 Depth=1
	s_andn2_saveexec_b64 s[10:11], s[4:5]
; %bb.1209:                             ;   in Loop: Header=BB352_552 Depth=1
	v_or_b32_e32 v10, 0x10000, v5
	v_cmp_eq_u32_sdwa s[4:5], v5, v33 src0_sel:WORD_0 src1_sel:DWORD
	s_nop 1
	v_cndmask_b32_e64 v11, v10, v5, s[4:5]
; %bb.1210:                             ;   in Loop: Header=BB352_552 Depth=1
	s_or_b64 exec, exec, s[10:11]
	v_lshrrev_b32_e32 v4, 16, v4
	v_lshrrev_b32_e32 v5, 16, v8
	;; [unrolled: 1-line block ×8, first 2 shown]
	s_and_saveexec_b64 s[10:11], vcc
	s_cbranch_execz .LBB352_1212
; %bb.1211:                             ;   in Loop: Header=BB352_552 Depth=1
	v_accvgpr_read_b32 v9, a40
	v_cmp_lt_i32_e64 s[4:5], v9, v43
	v_accvgpr_read_b32 v9, a46
	s_nop 0
	v_cndmask_b32_e64 v10, 0, v10, s[4:5]
	v_cmp_lt_i32_e64 s[4:5], v9, v43
	v_accvgpr_read_b32 v9, a45
	s_nop 0
	v_cndmask_b32_e64 v8, 0, v8, s[4:5]
	;; [unrolled: 4-line block ×6, first 2 shown]
	v_cmp_lt_i32_e64 s[4:5], v9, v43
	s_nop 1
	v_cndmask_b32_e64 v1, 0, v1, s[4:5]
	v_cmp_lt_i32_e64 s[4:5], v59, v43
	s_nop 1
	v_cndmask_b32_e64 v0, 0, v0, s[4:5]
.LBB352_1212:                           ;   in Loop: Header=BB352_552 Depth=1
	s_or_b64 exec, exec, s[10:11]
	v_lshlrev_b32_e32 v9, 16, v10
	v_mul_f32_e32 v9, v34, v9
	v_and_b32_e32 v10, 0x7f800000, v9
	v_cmp_ne_u32_e64 s[4:5], s19, v10
                                        ; implicit-def: $agpr55
	s_and_saveexec_b64 s[10:11], s[4:5]
	s_xor_b64 s[4:5], exec, s[10:11]
; %bb.1213:                             ;   in Loop: Header=BB352_552 Depth=1
	v_bfe_u32 v10, v9, 16, 1
	v_add3_u32 v9, v9, v10, s20
	v_accvgpr_write_b32 a55, v9
                                        ; implicit-def: $vgpr9
; %bb.1214:                             ;   in Loop: Header=BB352_552 Depth=1
	s_andn2_saveexec_b64 s[10:11], s[4:5]
; %bb.1215:                             ;   in Loop: Header=BB352_552 Depth=1
	v_or_b32_e32 v10, 0x10000, v9
	v_cmp_eq_u32_sdwa s[4:5], v9, v33 src0_sel:WORD_0 src1_sel:DWORD
	s_nop 1
	v_cndmask_b32_e64 v9, v10, v9, s[4:5]
	v_accvgpr_write_b32 a55, v9
; %bb.1216:                             ;   in Loop: Header=BB352_552 Depth=1
	s_or_b64 exec, exec, s[10:11]
	v_lshlrev_b32_e32 v8, 16, v8
	v_mul_f32_e32 v8, v35, v8
	v_and_b32_e32 v9, 0x7f800000, v8
	v_cmp_ne_u32_e64 s[4:5], s19, v9
                                        ; implicit-def: $agpr56
	s_and_saveexec_b64 s[10:11], s[4:5]
	s_xor_b64 s[4:5], exec, s[10:11]
; %bb.1217:                             ;   in Loop: Header=BB352_552 Depth=1
	v_bfe_u32 v9, v8, 16, 1
	v_add3_u32 v8, v8, v9, s20
	v_accvgpr_write_b32 a56, v8
                                        ; implicit-def: $vgpr8
; %bb.1218:                             ;   in Loop: Header=BB352_552 Depth=1
	s_andn2_saveexec_b64 s[10:11], s[4:5]
; %bb.1219:                             ;   in Loop: Header=BB352_552 Depth=1
	v_or_b32_e32 v9, 0x10000, v8
	v_cmp_eq_u32_sdwa s[4:5], v8, v33 src0_sel:WORD_0 src1_sel:DWORD
	s_nop 1
	v_cndmask_b32_e64 v8, v9, v8, s[4:5]
	v_accvgpr_write_b32 a56, v8
; %bb.1220:                             ;   in Loop: Header=BB352_552 Depth=1
	s_or_b64 exec, exec, s[10:11]
	v_lshlrev_b32_e32 v6, 16, v6
	v_mul_f32_e32 v6, v36, v6
	v_and_b32_e32 v8, 0x7f800000, v6
	v_cmp_ne_u32_e64 s[4:5], s19, v8
                                        ; implicit-def: $agpr57
	s_and_saveexec_b64 s[10:11], s[4:5]
	s_xor_b64 s[4:5], exec, s[10:11]
; %bb.1221:                             ;   in Loop: Header=BB352_552 Depth=1
	v_bfe_u32 v8, v6, 16, 1
	v_add3_u32 v6, v6, v8, s20
	v_accvgpr_write_b32 a57, v6
                                        ; implicit-def: $vgpr6
; %bb.1222:                             ;   in Loop: Header=BB352_552 Depth=1
	s_andn2_saveexec_b64 s[10:11], s[4:5]
; %bb.1223:                             ;   in Loop: Header=BB352_552 Depth=1
	v_or_b32_e32 v8, 0x10000, v6
	v_cmp_eq_u32_sdwa s[4:5], v6, v33 src0_sel:WORD_0 src1_sel:DWORD
	s_nop 1
	v_cndmask_b32_e64 v6, v8, v6, s[4:5]
	v_accvgpr_write_b32 a57, v6
; %bb.1224:                             ;   in Loop: Header=BB352_552 Depth=1
	s_or_b64 exec, exec, s[10:11]
	v_lshlrev_b32_e32 v6, 16, v7
	v_mul_f32_e32 v6, v37, v6
	v_and_b32_e32 v7, 0x7f800000, v6
	v_cmp_ne_u32_e64 s[4:5], s19, v7
                                        ; implicit-def: $agpr58
	s_and_saveexec_b64 s[10:11], s[4:5]
	s_xor_b64 s[4:5], exec, s[10:11]
; %bb.1225:                             ;   in Loop: Header=BB352_552 Depth=1
	v_bfe_u32 v7, v6, 16, 1
	v_add3_u32 v6, v6, v7, s20
	v_accvgpr_write_b32 a58, v6
                                        ; implicit-def: $vgpr6
; %bb.1226:                             ;   in Loop: Header=BB352_552 Depth=1
	s_andn2_saveexec_b64 s[10:11], s[4:5]
; %bb.1227:                             ;   in Loop: Header=BB352_552 Depth=1
	v_or_b32_e32 v7, 0x10000, v6
	v_cmp_eq_u32_sdwa s[4:5], v6, v33 src0_sel:WORD_0 src1_sel:DWORD
	s_nop 1
	v_cndmask_b32_e64 v6, v7, v6, s[4:5]
	v_accvgpr_write_b32 a58, v6
; %bb.1228:                             ;   in Loop: Header=BB352_552 Depth=1
	s_or_b64 exec, exec, s[10:11]
	v_lshlrev_b32_e32 v5, 16, v5
	v_mul_f32_e32 v5, v38, v5
	v_and_b32_e32 v6, 0x7f800000, v5
	v_cmp_ne_u32_e64 s[4:5], s19, v6
                                        ; implicit-def: $agpr59
	s_and_saveexec_b64 s[10:11], s[4:5]
	s_xor_b64 s[4:5], exec, s[10:11]
; %bb.1229:                             ;   in Loop: Header=BB352_552 Depth=1
	v_bfe_u32 v6, v5, 16, 1
	v_add3_u32 v5, v5, v6, s20
	v_accvgpr_write_b32 a59, v5
                                        ; implicit-def: $vgpr5
; %bb.1230:                             ;   in Loop: Header=BB352_552 Depth=1
	s_andn2_saveexec_b64 s[10:11], s[4:5]
; %bb.1231:                             ;   in Loop: Header=BB352_552 Depth=1
	v_or_b32_e32 v6, 0x10000, v5
	v_cmp_eq_u32_sdwa s[4:5], v5, v33 src0_sel:WORD_0 src1_sel:DWORD
	s_nop 1
	v_cndmask_b32_e64 v5, v6, v5, s[4:5]
	v_accvgpr_write_b32 a59, v5
; %bb.1232:                             ;   in Loop: Header=BB352_552 Depth=1
	s_or_b64 exec, exec, s[10:11]
	v_lshlrev_b32_e32 v4, 16, v4
	v_mul_f32_e32 v4, v39, v4
	v_and_b32_e32 v5, 0x7f800000, v4
	v_cmp_ne_u32_e64 s[4:5], s19, v5
                                        ; implicit-def: $agpr60
	s_and_saveexec_b64 s[10:11], s[4:5]
	s_xor_b64 s[4:5], exec, s[10:11]
; %bb.1233:                             ;   in Loop: Header=BB352_552 Depth=1
	v_bfe_u32 v5, v4, 16, 1
	v_add3_u32 v4, v4, v5, s20
	v_accvgpr_write_b32 a60, v4
                                        ; implicit-def: $vgpr4
; %bb.1234:                             ;   in Loop: Header=BB352_552 Depth=1
	s_andn2_saveexec_b64 s[10:11], s[4:5]
; %bb.1235:                             ;   in Loop: Header=BB352_552 Depth=1
	v_or_b32_e32 v5, 0x10000, v4
	v_cmp_eq_u32_sdwa s[4:5], v4, v33 src0_sel:WORD_0 src1_sel:DWORD
	s_nop 1
	v_cndmask_b32_e64 v4, v5, v4, s[4:5]
	v_accvgpr_write_b32 a60, v4
; %bb.1236:                             ;   in Loop: Header=BB352_552 Depth=1
	s_or_b64 exec, exec, s[10:11]
	v_lshlrev_b32_e32 v1, 16, v1
	v_mul_f32_e32 v1, v48, v1
	v_and_b32_e32 v4, 0x7f800000, v1
	v_cmp_ne_u32_e64 s[4:5], s19, v4
                                        ; implicit-def: $agpr61
	s_and_saveexec_b64 s[10:11], s[4:5]
	s_xor_b64 s[4:5], exec, s[10:11]
; %bb.1237:                             ;   in Loop: Header=BB352_552 Depth=1
	v_bfe_u32 v4, v1, 16, 1
	v_add3_u32 v1, v1, v4, s20
	v_accvgpr_write_b32 a61, v1
                                        ; implicit-def: $vgpr1
; %bb.1238:                             ;   in Loop: Header=BB352_552 Depth=1
	s_andn2_saveexec_b64 s[10:11], s[4:5]
; %bb.1239:                             ;   in Loop: Header=BB352_552 Depth=1
	v_or_b32_e32 v4, 0x10000, v1
	v_cmp_eq_u32_sdwa s[4:5], v1, v33 src0_sel:WORD_0 src1_sel:DWORD
	s_nop 1
	v_cndmask_b32_e64 v1, v4, v1, s[4:5]
	v_accvgpr_write_b32 a61, v1
; %bb.1240:                             ;   in Loop: Header=BB352_552 Depth=1
	s_or_b64 exec, exec, s[10:11]
	v_lshlrev_b32_e32 v0, 16, v0
	v_mul_f32_e32 v0, v49, v0
	v_and_b32_e32 v1, 0x7f800000, v0
	v_cmp_ne_u32_e64 s[4:5], s19, v1
                                        ; implicit-def: $agpr62
	s_and_saveexec_b64 s[10:11], s[4:5]
	s_xor_b64 s[4:5], exec, s[10:11]
; %bb.1241:                             ;   in Loop: Header=BB352_552 Depth=1
	v_bfe_u32 v1, v0, 16, 1
	v_add3_u32 v0, v0, v1, s20
	v_accvgpr_write_b32 a62, v0
                                        ; implicit-def: $vgpr0
; %bb.1242:                             ;   in Loop: Header=BB352_552 Depth=1
	s_andn2_saveexec_b64 s[10:11], s[4:5]
; %bb.1243:                             ;   in Loop: Header=BB352_552 Depth=1
	v_or_b32_e32 v1, 0x10000, v0
	v_cmp_eq_u32_sdwa s[4:5], v0, v33 src0_sel:WORD_0 src1_sel:DWORD
	s_nop 1
	v_cndmask_b32_e64 v0, v1, v0, s[4:5]
	v_accvgpr_write_b32 a62, v0
; %bb.1244:                             ;   in Loop: Header=BB352_552 Depth=1
	s_or_b64 exec, exec, s[10:11]
	scratch_load_dwordx2 v[0:1], off, s32 offset:408 ; 8-byte Folded Reload
	s_waitcnt vmcnt(0)
	v_lshl_add_u64 v[0:1], v[2:3], 0, v[0:1]
	flat_load_dwordx2 v[4:5], v[0:1]
	s_waitcnt vmcnt(0) lgkmcnt(0)
	v_and_b32_e32 v0, 0xff, v4
	v_cvt_f32_fp8_sdwa v0, v0 src0_sel:BYTE_0
	s_nop 0
	v_mul_f32_e32 v1, v19, v0
	v_and_b32_e32 v0, 0x7f800000, v1
	v_cmp_ne_u32_e64 s[4:5], s19, v0
                                        ; implicit-def: $vgpr0
	s_and_saveexec_b64 s[10:11], s[4:5]
	s_xor_b64 s[4:5], exec, s[10:11]
; %bb.1245:                             ;   in Loop: Header=BB352_552 Depth=1
	v_bfe_u32 v0, v1, 16, 1
	v_add3_u32 v0, v1, v0, s20
                                        ; implicit-def: $vgpr1
; %bb.1246:                             ;   in Loop: Header=BB352_552 Depth=1
	s_andn2_saveexec_b64 s[10:11], s[4:5]
; %bb.1247:                             ;   in Loop: Header=BB352_552 Depth=1
	v_or_b32_e32 v0, 0x10000, v1
	v_cmp_eq_u32_sdwa s[4:5], v1, v33 src0_sel:WORD_0 src1_sel:DWORD
	s_nop 1
	v_cndmask_b32_e64 v0, v0, v1, s[4:5]
; %bb.1248:                             ;   in Loop: Header=BB352_552 Depth=1
	s_or_b64 exec, exec, s[10:11]
	v_bfe_u32 v1, v4, 8, 8
	v_cvt_f32_fp8_sdwa v1, v1 src0_sel:BYTE_0
	s_nop 0
	v_mul_f32_e32 v6, v19, v1
	v_and_b32_e32 v1, 0x7f800000, v6
	v_cmp_ne_u32_e64 s[4:5], s19, v1
                                        ; implicit-def: $vgpr1
	s_and_saveexec_b64 s[10:11], s[4:5]
	s_xor_b64 s[4:5], exec, s[10:11]
; %bb.1249:                             ;   in Loop: Header=BB352_552 Depth=1
	v_bfe_u32 v1, v6, 16, 1
	v_add3_u32 v1, v6, v1, s20
                                        ; implicit-def: $vgpr6
; %bb.1250:                             ;   in Loop: Header=BB352_552 Depth=1
	s_andn2_saveexec_b64 s[10:11], s[4:5]
; %bb.1251:                             ;   in Loop: Header=BB352_552 Depth=1
	v_or_b32_e32 v1, 0x10000, v6
	v_cmp_eq_u32_sdwa s[4:5], v6, v33 src0_sel:WORD_0 src1_sel:DWORD
	s_nop 1
	v_cndmask_b32_e64 v1, v1, v6, s[4:5]
; %bb.1252:                             ;   in Loop: Header=BB352_552 Depth=1
	s_or_b64 exec, exec, s[10:11]
	v_bfe_u32 v6, v4, 16, 8
	v_cvt_f32_fp8_sdwa v6, v6 src0_sel:BYTE_0
	s_nop 0
	v_mul_f32_e32 v7, v19, v6
	v_and_b32_e32 v6, 0x7f800000, v7
	v_cmp_ne_u32_e64 s[4:5], s19, v6
                                        ; implicit-def: $vgpr6
	s_and_saveexec_b64 s[10:11], s[4:5]
	s_xor_b64 s[4:5], exec, s[10:11]
; %bb.1253:                             ;   in Loop: Header=BB352_552 Depth=1
	v_bfe_u32 v6, v7, 16, 1
	v_add3_u32 v6, v7, v6, s20
                                        ; implicit-def: $vgpr7
; %bb.1254:                             ;   in Loop: Header=BB352_552 Depth=1
	s_andn2_saveexec_b64 s[10:11], s[4:5]
; %bb.1255:                             ;   in Loop: Header=BB352_552 Depth=1
	v_or_b32_e32 v6, 0x10000, v7
	v_cmp_eq_u32_sdwa s[4:5], v7, v33 src0_sel:WORD_0 src1_sel:DWORD
	s_nop 1
	v_cndmask_b32_e64 v6, v6, v7, s[4:5]
; %bb.1256:                             ;   in Loop: Header=BB352_552 Depth=1
	s_or_b64 exec, exec, s[10:11]
	v_lshrrev_b32_e32 v4, 24, v4
	v_cvt_f32_fp8_sdwa v4, v4 src0_sel:BYTE_0
	s_nop 0
	v_mul_f32_e32 v4, v19, v4
	v_and_b32_e32 v7, 0x7f800000, v4
	v_cmp_ne_u32_e64 s[4:5], s19, v7
                                        ; implicit-def: $vgpr7
	s_and_saveexec_b64 s[10:11], s[4:5]
	s_xor_b64 s[4:5], exec, s[10:11]
; %bb.1257:                             ;   in Loop: Header=BB352_552 Depth=1
	v_bfe_u32 v7, v4, 16, 1
	v_add3_u32 v7, v4, v7, s20
                                        ; implicit-def: $vgpr4
; %bb.1258:                             ;   in Loop: Header=BB352_552 Depth=1
	s_andn2_saveexec_b64 s[10:11], s[4:5]
; %bb.1259:                             ;   in Loop: Header=BB352_552 Depth=1
	v_or_b32_e32 v7, 0x10000, v4
	v_cmp_eq_u32_sdwa s[4:5], v4, v33 src0_sel:WORD_0 src1_sel:DWORD
	s_nop 1
	v_cndmask_b32_e64 v7, v7, v4, s[4:5]
; %bb.1260:                             ;   in Loop: Header=BB352_552 Depth=1
	s_or_b64 exec, exec, s[10:11]
	v_and_b32_e32 v4, 0xff, v5
	v_cvt_f32_fp8_sdwa v4, v4 src0_sel:BYTE_0
	s_nop 0
	v_mul_f32_e32 v4, v19, v4
	v_and_b32_e32 v8, 0x7f800000, v4
	v_cmp_ne_u32_e64 s[4:5], s19, v8
                                        ; implicit-def: $vgpr8
	s_and_saveexec_b64 s[10:11], s[4:5]
	s_xor_b64 s[4:5], exec, s[10:11]
; %bb.1261:                             ;   in Loop: Header=BB352_552 Depth=1
	v_bfe_u32 v8, v4, 16, 1
	v_add3_u32 v8, v4, v8, s20
                                        ; implicit-def: $vgpr4
; %bb.1262:                             ;   in Loop: Header=BB352_552 Depth=1
	s_andn2_saveexec_b64 s[10:11], s[4:5]
; %bb.1263:                             ;   in Loop: Header=BB352_552 Depth=1
	v_or_b32_e32 v8, 0x10000, v4
	v_cmp_eq_u32_sdwa s[4:5], v4, v33 src0_sel:WORD_0 src1_sel:DWORD
	s_nop 1
	v_cndmask_b32_e64 v8, v8, v4, s[4:5]
; %bb.1264:                             ;   in Loop: Header=BB352_552 Depth=1
	s_or_b64 exec, exec, s[10:11]
	v_bfe_u32 v4, v5, 8, 8
	v_cvt_f32_fp8_sdwa v4, v4 src0_sel:BYTE_0
	s_nop 0
	v_mul_f32_e32 v9, v19, v4
	v_and_b32_e32 v4, 0x7f800000, v9
	v_cmp_ne_u32_e64 s[4:5], s19, v4
                                        ; implicit-def: $vgpr4
	s_and_saveexec_b64 s[10:11], s[4:5]
	s_xor_b64 s[4:5], exec, s[10:11]
; %bb.1265:                             ;   in Loop: Header=BB352_552 Depth=1
	v_bfe_u32 v4, v9, 16, 1
	v_add3_u32 v4, v9, v4, s20
                                        ; implicit-def: $vgpr9
; %bb.1266:                             ;   in Loop: Header=BB352_552 Depth=1
	s_andn2_saveexec_b64 s[10:11], s[4:5]
; %bb.1267:                             ;   in Loop: Header=BB352_552 Depth=1
	v_or_b32_e32 v4, 0x10000, v9
	v_cmp_eq_u32_sdwa s[4:5], v9, v33 src0_sel:WORD_0 src1_sel:DWORD
	s_nop 1
	v_cndmask_b32_e64 v4, v4, v9, s[4:5]
; %bb.1268:                             ;   in Loop: Header=BB352_552 Depth=1
	s_or_b64 exec, exec, s[10:11]
	v_bfe_u32 v9, v5, 16, 8
	v_cvt_f32_fp8_sdwa v9, v9 src0_sel:BYTE_0
	s_nop 0
	v_mul_f32_e32 v10, v19, v9
	v_and_b32_e32 v9, 0x7f800000, v10
	v_cmp_ne_u32_e64 s[4:5], s19, v9
                                        ; implicit-def: $vgpr9
	s_and_saveexec_b64 s[10:11], s[4:5]
	s_xor_b64 s[4:5], exec, s[10:11]
; %bb.1269:                             ;   in Loop: Header=BB352_552 Depth=1
	v_bfe_u32 v9, v10, 16, 1
	v_add3_u32 v9, v10, v9, s20
                                        ; implicit-def: $vgpr10
; %bb.1270:                             ;   in Loop: Header=BB352_552 Depth=1
	s_andn2_saveexec_b64 s[10:11], s[4:5]
; %bb.1271:                             ;   in Loop: Header=BB352_552 Depth=1
	v_or_b32_e32 v9, 0x10000, v10
	v_cmp_eq_u32_sdwa s[4:5], v10, v33 src0_sel:WORD_0 src1_sel:DWORD
	s_nop 1
	v_cndmask_b32_e64 v9, v9, v10, s[4:5]
; %bb.1272:                             ;   in Loop: Header=BB352_552 Depth=1
	s_or_b64 exec, exec, s[10:11]
	v_lshrrev_b32_e32 v5, 24, v5
	v_cvt_f32_fp8_sdwa v5, v5 src0_sel:BYTE_0
                                        ; implicit-def: $vgpr11
	s_nop 0
	v_mul_f32_e32 v5, v19, v5
	v_and_b32_e32 v10, 0x7f800000, v5
	v_cmp_ne_u32_e64 s[4:5], s19, v10
	s_and_saveexec_b64 s[10:11], s[4:5]
	s_xor_b64 s[4:5], exec, s[10:11]
; %bb.1273:                             ;   in Loop: Header=BB352_552 Depth=1
	v_bfe_u32 v10, v5, 16, 1
	v_add3_u32 v11, v5, v10, s20
                                        ; implicit-def: $vgpr5
; %bb.1274:                             ;   in Loop: Header=BB352_552 Depth=1
	s_andn2_saveexec_b64 s[10:11], s[4:5]
; %bb.1275:                             ;   in Loop: Header=BB352_552 Depth=1
	v_or_b32_e32 v10, 0x10000, v5
	v_cmp_eq_u32_sdwa s[4:5], v5, v33 src0_sel:WORD_0 src1_sel:DWORD
	s_nop 1
	v_cndmask_b32_e64 v11, v10, v5, s[4:5]
; %bb.1276:                             ;   in Loop: Header=BB352_552 Depth=1
	s_or_b64 exec, exec, s[10:11]
	v_lshrrev_b32_e32 v4, 16, v4
	v_lshrrev_b32_e32 v5, 16, v8
	;; [unrolled: 1-line block ×8, first 2 shown]
	s_and_saveexec_b64 s[10:11], vcc
	s_cbranch_execz .LBB352_1278
; %bb.1277:                             ;   in Loop: Header=BB352_552 Depth=1
	v_accvgpr_read_b32 v9, a40
	v_cmp_lt_i32_e64 s[4:5], v9, v43
	v_accvgpr_read_b32 v9, a46
	s_nop 0
	v_cndmask_b32_e64 v10, 0, v10, s[4:5]
	v_cmp_lt_i32_e64 s[4:5], v9, v43
	v_accvgpr_read_b32 v9, a45
	s_nop 0
	v_cndmask_b32_e64 v8, 0, v8, s[4:5]
	v_cmp_lt_i32_e64 s[4:5], v9, v43
	v_accvgpr_read_b32 v9, a44
	s_nop 0
	v_cndmask_b32_e64 v6, 0, v6, s[4:5]
	v_cmp_lt_i32_e64 s[4:5], v9, v43
	v_accvgpr_read_b32 v9, a43
	s_nop 0
	v_cndmask_b32_e64 v7, 0, v7, s[4:5]
	v_cmp_lt_i32_e64 s[4:5], v9, v43
	v_accvgpr_read_b32 v9, a42
	s_nop 0
	v_cndmask_b32_e64 v5, 0, v5, s[4:5]
	v_cmp_lt_i32_e64 s[4:5], v9, v43
	v_accvgpr_read_b32 v9, a41
	s_nop 0
	v_cndmask_b32_e64 v4, 0, v4, s[4:5]
	v_cmp_lt_i32_e64 s[4:5], v9, v43
	s_nop 1
	v_cndmask_b32_e64 v1, 0, v1, s[4:5]
	v_cmp_lt_i32_e64 s[4:5], v59, v43
	s_nop 1
	v_cndmask_b32_e64 v0, 0, v0, s[4:5]
.LBB352_1278:                           ;   in Loop: Header=BB352_552 Depth=1
	s_or_b64 exec, exec, s[10:11]
	v_lshlrev_b32_e32 v9, 16, v10
	v_mul_f32_e32 v9, v34, v9
	v_and_b32_e32 v10, 0x7f800000, v9
	v_cmp_ne_u32_e64 s[4:5], s19, v10
                                        ; implicit-def: $agpr63
	s_and_saveexec_b64 s[10:11], s[4:5]
	s_xor_b64 s[4:5], exec, s[10:11]
; %bb.1279:                             ;   in Loop: Header=BB352_552 Depth=1
	v_bfe_u32 v10, v9, 16, 1
	v_add3_u32 v9, v9, v10, s20
	v_accvgpr_write_b32 a63, v9
                                        ; implicit-def: $vgpr9
; %bb.1280:                             ;   in Loop: Header=BB352_552 Depth=1
	s_andn2_saveexec_b64 s[10:11], s[4:5]
; %bb.1281:                             ;   in Loop: Header=BB352_552 Depth=1
	v_or_b32_e32 v10, 0x10000, v9
	v_cmp_eq_u32_sdwa s[4:5], v9, v33 src0_sel:WORD_0 src1_sel:DWORD
	s_nop 1
	v_cndmask_b32_e64 v9, v10, v9, s[4:5]
	v_accvgpr_write_b32 a63, v9
; %bb.1282:                             ;   in Loop: Header=BB352_552 Depth=1
	s_or_b64 exec, exec, s[10:11]
	v_lshlrev_b32_e32 v8, 16, v8
	v_mul_f32_e32 v8, v35, v8
	v_and_b32_e32 v9, 0x7f800000, v8
	v_cmp_ne_u32_e64 s[4:5], s19, v9
                                        ; implicit-def: $agpr8
	s_and_saveexec_b64 s[10:11], s[4:5]
	s_xor_b64 s[4:5], exec, s[10:11]
; %bb.1283:                             ;   in Loop: Header=BB352_552 Depth=1
	v_bfe_u32 v9, v8, 16, 1
	v_add3_u32 v8, v8, v9, s20
	v_accvgpr_write_b32 a8, v8
                                        ; implicit-def: $vgpr8
; %bb.1284:                             ;   in Loop: Header=BB352_552 Depth=1
	s_andn2_saveexec_b64 s[10:11], s[4:5]
; %bb.1285:                             ;   in Loop: Header=BB352_552 Depth=1
	v_or_b32_e32 v9, 0x10000, v8
	v_cmp_eq_u32_sdwa s[4:5], v8, v33 src0_sel:WORD_0 src1_sel:DWORD
	s_nop 1
	v_cndmask_b32_e64 v8, v9, v8, s[4:5]
	v_accvgpr_write_b32 a8, v8
; %bb.1286:                             ;   in Loop: Header=BB352_552 Depth=1
	s_or_b64 exec, exec, s[10:11]
	v_lshlrev_b32_e32 v6, 16, v6
	v_mul_f32_e32 v6, v36, v6
	v_and_b32_e32 v8, 0x7f800000, v6
	v_cmp_ne_u32_e64 s[4:5], s19, v8
                                        ; implicit-def: $agpr9
	s_and_saveexec_b64 s[10:11], s[4:5]
	s_xor_b64 s[4:5], exec, s[10:11]
; %bb.1287:                             ;   in Loop: Header=BB352_552 Depth=1
	v_bfe_u32 v8, v6, 16, 1
	v_add3_u32 v6, v6, v8, s20
	v_accvgpr_write_b32 a9, v6
                                        ; implicit-def: $vgpr6
; %bb.1288:                             ;   in Loop: Header=BB352_552 Depth=1
	s_andn2_saveexec_b64 s[10:11], s[4:5]
; %bb.1289:                             ;   in Loop: Header=BB352_552 Depth=1
	v_or_b32_e32 v8, 0x10000, v6
	v_cmp_eq_u32_sdwa s[4:5], v6, v33 src0_sel:WORD_0 src1_sel:DWORD
	s_nop 1
	v_cndmask_b32_e64 v6, v8, v6, s[4:5]
	v_accvgpr_write_b32 a9, v6
; %bb.1290:                             ;   in Loop: Header=BB352_552 Depth=1
	s_or_b64 exec, exec, s[10:11]
	v_lshlrev_b32_e32 v6, 16, v7
	v_mul_f32_e32 v6, v37, v6
	v_and_b32_e32 v7, 0x7f800000, v6
	v_cmp_ne_u32_e64 s[4:5], s19, v7
                                        ; implicit-def: $agpr7
	s_and_saveexec_b64 s[10:11], s[4:5]
	s_xor_b64 s[4:5], exec, s[10:11]
; %bb.1291:                             ;   in Loop: Header=BB352_552 Depth=1
	v_bfe_u32 v7, v6, 16, 1
	v_add3_u32 v6, v6, v7, s20
	v_accvgpr_write_b32 a7, v6
                                        ; implicit-def: $vgpr6
; %bb.1292:                             ;   in Loop: Header=BB352_552 Depth=1
	s_andn2_saveexec_b64 s[10:11], s[4:5]
; %bb.1293:                             ;   in Loop: Header=BB352_552 Depth=1
	v_or_b32_e32 v7, 0x10000, v6
	v_cmp_eq_u32_sdwa s[4:5], v6, v33 src0_sel:WORD_0 src1_sel:DWORD
	s_nop 1
	v_cndmask_b32_e64 v6, v7, v6, s[4:5]
	v_accvgpr_write_b32 a7, v6
; %bb.1294:                             ;   in Loop: Header=BB352_552 Depth=1
	s_or_b64 exec, exec, s[10:11]
	v_lshlrev_b32_e32 v5, 16, v5
	v_mul_f32_e32 v5, v38, v5
	v_and_b32_e32 v6, 0x7f800000, v5
	v_cmp_ne_u32_e64 s[4:5], s19, v6
                                        ; implicit-def: $agpr6
	s_and_saveexec_b64 s[10:11], s[4:5]
	s_xor_b64 s[4:5], exec, s[10:11]
; %bb.1295:                             ;   in Loop: Header=BB352_552 Depth=1
	v_bfe_u32 v6, v5, 16, 1
	v_add3_u32 v5, v5, v6, s20
	v_accvgpr_write_b32 a6, v5
                                        ; implicit-def: $vgpr5
; %bb.1296:                             ;   in Loop: Header=BB352_552 Depth=1
	s_andn2_saveexec_b64 s[10:11], s[4:5]
; %bb.1297:                             ;   in Loop: Header=BB352_552 Depth=1
	v_or_b32_e32 v6, 0x10000, v5
	v_cmp_eq_u32_sdwa s[4:5], v5, v33 src0_sel:WORD_0 src1_sel:DWORD
	s_nop 1
	v_cndmask_b32_e64 v5, v6, v5, s[4:5]
	v_accvgpr_write_b32 a6, v5
; %bb.1298:                             ;   in Loop: Header=BB352_552 Depth=1
	s_or_b64 exec, exec, s[10:11]
	v_lshlrev_b32_e32 v4, 16, v4
	v_mul_f32_e32 v4, v39, v4
	v_and_b32_e32 v5, 0x7f800000, v4
	v_cmp_ne_u32_e64 s[4:5], s19, v5
                                        ; implicit-def: $agpr0
	s_and_saveexec_b64 s[10:11], s[4:5]
	s_xor_b64 s[4:5], exec, s[10:11]
; %bb.1299:                             ;   in Loop: Header=BB352_552 Depth=1
	v_bfe_u32 v5, v4, 16, 1
	v_add3_u32 v4, v4, v5, s20
	v_accvgpr_write_b32 a0, v4
                                        ; implicit-def: $vgpr4
; %bb.1300:                             ;   in Loop: Header=BB352_552 Depth=1
	s_andn2_saveexec_b64 s[10:11], s[4:5]
; %bb.1301:                             ;   in Loop: Header=BB352_552 Depth=1
	v_or_b32_e32 v5, 0x10000, v4
	v_cmp_eq_u32_sdwa s[4:5], v4, v33 src0_sel:WORD_0 src1_sel:DWORD
	s_nop 1
	v_cndmask_b32_e64 v4, v5, v4, s[4:5]
	v_accvgpr_write_b32 a0, v4
; %bb.1302:                             ;   in Loop: Header=BB352_552 Depth=1
	s_or_b64 exec, exec, s[10:11]
	v_lshlrev_b32_e32 v1, 16, v1
	v_mul_f32_e32 v1, v48, v1
	v_and_b32_e32 v4, 0x7f800000, v1
	v_cmp_ne_u32_e64 s[4:5], s19, v4
                                        ; implicit-def: $agpr1
	s_and_saveexec_b64 s[10:11], s[4:5]
	s_xor_b64 s[4:5], exec, s[10:11]
; %bb.1303:                             ;   in Loop: Header=BB352_552 Depth=1
	v_bfe_u32 v4, v1, 16, 1
	v_add3_u32 v1, v1, v4, s20
	v_accvgpr_write_b32 a1, v1
                                        ; implicit-def: $vgpr1
; %bb.1304:                             ;   in Loop: Header=BB352_552 Depth=1
	s_andn2_saveexec_b64 s[10:11], s[4:5]
; %bb.1305:                             ;   in Loop: Header=BB352_552 Depth=1
	v_or_b32_e32 v4, 0x10000, v1
	v_cmp_eq_u32_sdwa s[4:5], v1, v33 src0_sel:WORD_0 src1_sel:DWORD
	s_nop 1
	v_cndmask_b32_e64 v1, v4, v1, s[4:5]
	v_accvgpr_write_b32 a1, v1
; %bb.1306:                             ;   in Loop: Header=BB352_552 Depth=1
	s_or_b64 exec, exec, s[10:11]
	v_lshlrev_b32_e32 v0, 16, v0
	v_mul_f32_e32 v0, v49, v0
	v_and_b32_e32 v1, 0x7f800000, v0
	v_cmp_ne_u32_e64 s[4:5], s19, v1
                                        ; implicit-def: $agpr2
	s_and_saveexec_b64 s[10:11], s[4:5]
	s_xor_b64 s[4:5], exec, s[10:11]
; %bb.1307:                             ;   in Loop: Header=BB352_552 Depth=1
	v_bfe_u32 v1, v0, 16, 1
	v_add3_u32 v0, v0, v1, s20
	v_accvgpr_write_b32 a2, v0
                                        ; implicit-def: $vgpr0
; %bb.1308:                             ;   in Loop: Header=BB352_552 Depth=1
	s_andn2_saveexec_b64 s[10:11], s[4:5]
; %bb.1309:                             ;   in Loop: Header=BB352_552 Depth=1
	v_or_b32_e32 v1, 0x10000, v0
	v_cmp_eq_u32_sdwa s[4:5], v0, v33 src0_sel:WORD_0 src1_sel:DWORD
	s_nop 1
	v_cndmask_b32_e64 v0, v1, v0, s[4:5]
	v_accvgpr_write_b32 a2, v0
; %bb.1310:                             ;   in Loop: Header=BB352_552 Depth=1
	s_or_b64 exec, exec, s[10:11]
	scratch_load_dwordx2 v[0:1], off, s32 offset:416 ; 8-byte Folded Reload
	s_waitcnt vmcnt(0)
	v_lshl_add_u64 v[0:1], v[2:3], 0, v[0:1]
	flat_load_dwordx2 v[4:5], v[0:1]
	s_waitcnt vmcnt(0) lgkmcnt(0)
	v_and_b32_e32 v0, 0xff, v4
	v_cvt_f32_fp8_sdwa v0, v0 src0_sel:BYTE_0
	s_nop 0
	v_mul_f32_e32 v1, v19, v0
	v_and_b32_e32 v0, 0x7f800000, v1
	v_cmp_ne_u32_e64 s[4:5], s19, v0
                                        ; implicit-def: $vgpr0
	s_and_saveexec_b64 s[10:11], s[4:5]
	s_xor_b64 s[4:5], exec, s[10:11]
; %bb.1311:                             ;   in Loop: Header=BB352_552 Depth=1
	v_bfe_u32 v0, v1, 16, 1
	v_add3_u32 v0, v1, v0, s20
                                        ; implicit-def: $vgpr1
; %bb.1312:                             ;   in Loop: Header=BB352_552 Depth=1
	s_andn2_saveexec_b64 s[10:11], s[4:5]
; %bb.1313:                             ;   in Loop: Header=BB352_552 Depth=1
	v_or_b32_e32 v0, 0x10000, v1
	v_cmp_eq_u32_sdwa s[4:5], v1, v33 src0_sel:WORD_0 src1_sel:DWORD
	s_nop 1
	v_cndmask_b32_e64 v0, v0, v1, s[4:5]
; %bb.1314:                             ;   in Loop: Header=BB352_552 Depth=1
	s_or_b64 exec, exec, s[10:11]
	v_bfe_u32 v1, v4, 8, 8
	v_cvt_f32_fp8_sdwa v1, v1 src0_sel:BYTE_0
	s_nop 0
	v_mul_f32_e32 v6, v19, v1
	v_and_b32_e32 v1, 0x7f800000, v6
	v_cmp_ne_u32_e64 s[4:5], s19, v1
                                        ; implicit-def: $vgpr1
	s_and_saveexec_b64 s[10:11], s[4:5]
	s_xor_b64 s[4:5], exec, s[10:11]
; %bb.1315:                             ;   in Loop: Header=BB352_552 Depth=1
	v_bfe_u32 v1, v6, 16, 1
	v_add3_u32 v1, v6, v1, s20
                                        ; implicit-def: $vgpr6
; %bb.1316:                             ;   in Loop: Header=BB352_552 Depth=1
	s_andn2_saveexec_b64 s[10:11], s[4:5]
; %bb.1317:                             ;   in Loop: Header=BB352_552 Depth=1
	v_or_b32_e32 v1, 0x10000, v6
	v_cmp_eq_u32_sdwa s[4:5], v6, v33 src0_sel:WORD_0 src1_sel:DWORD
	s_nop 1
	v_cndmask_b32_e64 v1, v1, v6, s[4:5]
; %bb.1318:                             ;   in Loop: Header=BB352_552 Depth=1
	s_or_b64 exec, exec, s[10:11]
	v_bfe_u32 v6, v4, 16, 8
	v_cvt_f32_fp8_sdwa v6, v6 src0_sel:BYTE_0
	s_nop 0
	v_mul_f32_e32 v7, v19, v6
	v_and_b32_e32 v6, 0x7f800000, v7
	v_cmp_ne_u32_e64 s[4:5], s19, v6
                                        ; implicit-def: $vgpr6
	s_and_saveexec_b64 s[10:11], s[4:5]
	s_xor_b64 s[4:5], exec, s[10:11]
; %bb.1319:                             ;   in Loop: Header=BB352_552 Depth=1
	v_bfe_u32 v6, v7, 16, 1
	v_add3_u32 v6, v7, v6, s20
                                        ; implicit-def: $vgpr7
; %bb.1320:                             ;   in Loop: Header=BB352_552 Depth=1
	s_andn2_saveexec_b64 s[10:11], s[4:5]
; %bb.1321:                             ;   in Loop: Header=BB352_552 Depth=1
	v_or_b32_e32 v6, 0x10000, v7
	v_cmp_eq_u32_sdwa s[4:5], v7, v33 src0_sel:WORD_0 src1_sel:DWORD
	s_nop 1
	v_cndmask_b32_e64 v6, v6, v7, s[4:5]
; %bb.1322:                             ;   in Loop: Header=BB352_552 Depth=1
	s_or_b64 exec, exec, s[10:11]
	v_lshrrev_b32_e32 v4, 24, v4
	v_cvt_f32_fp8_sdwa v4, v4 src0_sel:BYTE_0
	s_nop 0
	v_mul_f32_e32 v4, v19, v4
	v_and_b32_e32 v7, 0x7f800000, v4
	v_cmp_ne_u32_e64 s[4:5], s19, v7
                                        ; implicit-def: $vgpr7
	s_and_saveexec_b64 s[10:11], s[4:5]
	s_xor_b64 s[4:5], exec, s[10:11]
; %bb.1323:                             ;   in Loop: Header=BB352_552 Depth=1
	v_bfe_u32 v7, v4, 16, 1
	v_add3_u32 v7, v4, v7, s20
                                        ; implicit-def: $vgpr4
; %bb.1324:                             ;   in Loop: Header=BB352_552 Depth=1
	s_andn2_saveexec_b64 s[10:11], s[4:5]
; %bb.1325:                             ;   in Loop: Header=BB352_552 Depth=1
	v_or_b32_e32 v7, 0x10000, v4
	v_cmp_eq_u32_sdwa s[4:5], v4, v33 src0_sel:WORD_0 src1_sel:DWORD
	s_nop 1
	v_cndmask_b32_e64 v7, v7, v4, s[4:5]
; %bb.1326:                             ;   in Loop: Header=BB352_552 Depth=1
	s_or_b64 exec, exec, s[10:11]
	v_and_b32_e32 v4, 0xff, v5
	v_cvt_f32_fp8_sdwa v4, v4 src0_sel:BYTE_0
	s_nop 0
	v_mul_f32_e32 v4, v19, v4
	v_and_b32_e32 v8, 0x7f800000, v4
	v_cmp_ne_u32_e64 s[4:5], s19, v8
                                        ; implicit-def: $vgpr8
	s_and_saveexec_b64 s[10:11], s[4:5]
	s_xor_b64 s[4:5], exec, s[10:11]
; %bb.1327:                             ;   in Loop: Header=BB352_552 Depth=1
	v_bfe_u32 v8, v4, 16, 1
	v_add3_u32 v8, v4, v8, s20
                                        ; implicit-def: $vgpr4
; %bb.1328:                             ;   in Loop: Header=BB352_552 Depth=1
	s_andn2_saveexec_b64 s[10:11], s[4:5]
; %bb.1329:                             ;   in Loop: Header=BB352_552 Depth=1
	v_or_b32_e32 v8, 0x10000, v4
	v_cmp_eq_u32_sdwa s[4:5], v4, v33 src0_sel:WORD_0 src1_sel:DWORD
	s_nop 1
	v_cndmask_b32_e64 v8, v8, v4, s[4:5]
; %bb.1330:                             ;   in Loop: Header=BB352_552 Depth=1
	s_or_b64 exec, exec, s[10:11]
	v_bfe_u32 v4, v5, 8, 8
	v_cvt_f32_fp8_sdwa v4, v4 src0_sel:BYTE_0
	s_nop 0
	v_mul_f32_e32 v9, v19, v4
	v_and_b32_e32 v4, 0x7f800000, v9
	v_cmp_ne_u32_e64 s[4:5], s19, v4
                                        ; implicit-def: $vgpr4
	s_and_saveexec_b64 s[10:11], s[4:5]
	s_xor_b64 s[4:5], exec, s[10:11]
; %bb.1331:                             ;   in Loop: Header=BB352_552 Depth=1
	v_bfe_u32 v4, v9, 16, 1
	v_add3_u32 v4, v9, v4, s20
                                        ; implicit-def: $vgpr9
; %bb.1332:                             ;   in Loop: Header=BB352_552 Depth=1
	s_andn2_saveexec_b64 s[10:11], s[4:5]
; %bb.1333:                             ;   in Loop: Header=BB352_552 Depth=1
	v_or_b32_e32 v4, 0x10000, v9
	v_cmp_eq_u32_sdwa s[4:5], v9, v33 src0_sel:WORD_0 src1_sel:DWORD
	s_nop 1
	v_cndmask_b32_e64 v4, v4, v9, s[4:5]
; %bb.1334:                             ;   in Loop: Header=BB352_552 Depth=1
	s_or_b64 exec, exec, s[10:11]
	v_bfe_u32 v9, v5, 16, 8
	v_cvt_f32_fp8_sdwa v9, v9 src0_sel:BYTE_0
	s_nop 0
	v_mul_f32_e32 v10, v19, v9
	v_and_b32_e32 v9, 0x7f800000, v10
	v_cmp_ne_u32_e64 s[4:5], s19, v9
                                        ; implicit-def: $vgpr9
	s_and_saveexec_b64 s[10:11], s[4:5]
	s_xor_b64 s[4:5], exec, s[10:11]
; %bb.1335:                             ;   in Loop: Header=BB352_552 Depth=1
	v_bfe_u32 v9, v10, 16, 1
	v_add3_u32 v9, v10, v9, s20
                                        ; implicit-def: $vgpr10
; %bb.1336:                             ;   in Loop: Header=BB352_552 Depth=1
	s_andn2_saveexec_b64 s[10:11], s[4:5]
; %bb.1337:                             ;   in Loop: Header=BB352_552 Depth=1
	v_or_b32_e32 v9, 0x10000, v10
	v_cmp_eq_u32_sdwa s[4:5], v10, v33 src0_sel:WORD_0 src1_sel:DWORD
	s_nop 1
	v_cndmask_b32_e64 v9, v9, v10, s[4:5]
; %bb.1338:                             ;   in Loop: Header=BB352_552 Depth=1
	s_or_b64 exec, exec, s[10:11]
	v_lshrrev_b32_e32 v5, 24, v5
	v_cvt_f32_fp8_sdwa v5, v5 src0_sel:BYTE_0
                                        ; implicit-def: $vgpr11
	s_nop 0
	v_mul_f32_e32 v5, v19, v5
	v_and_b32_e32 v10, 0x7f800000, v5
	v_cmp_ne_u32_e64 s[4:5], s19, v10
	s_and_saveexec_b64 s[10:11], s[4:5]
	s_xor_b64 s[4:5], exec, s[10:11]
; %bb.1339:                             ;   in Loop: Header=BB352_552 Depth=1
	v_bfe_u32 v10, v5, 16, 1
	v_add3_u32 v11, v5, v10, s20
                                        ; implicit-def: $vgpr5
; %bb.1340:                             ;   in Loop: Header=BB352_552 Depth=1
	s_andn2_saveexec_b64 s[10:11], s[4:5]
; %bb.1341:                             ;   in Loop: Header=BB352_552 Depth=1
	v_or_b32_e32 v10, 0x10000, v5
	v_cmp_eq_u32_sdwa s[4:5], v5, v33 src0_sel:WORD_0 src1_sel:DWORD
	s_nop 1
	v_cndmask_b32_e64 v11, v10, v5, s[4:5]
; %bb.1342:                             ;   in Loop: Header=BB352_552 Depth=1
	s_or_b64 exec, exec, s[10:11]
	v_lshrrev_b32_e32 v4, 16, v4
	v_lshrrev_b32_e32 v5, 16, v8
	;; [unrolled: 1-line block ×8, first 2 shown]
	s_and_saveexec_b64 s[10:11], vcc
	s_cbranch_execz .LBB352_1344
; %bb.1343:                             ;   in Loop: Header=BB352_552 Depth=1
	v_accvgpr_read_b32 v9, a40
	v_cmp_lt_i32_e64 s[4:5], v9, v43
	v_accvgpr_read_b32 v9, a46
	s_nop 0
	v_cndmask_b32_e64 v10, 0, v10, s[4:5]
	v_cmp_lt_i32_e64 s[4:5], v9, v43
	v_accvgpr_read_b32 v9, a45
	s_nop 0
	v_cndmask_b32_e64 v8, 0, v8, s[4:5]
	;; [unrolled: 4-line block ×6, first 2 shown]
	v_cmp_lt_i32_e64 s[4:5], v9, v43
	s_nop 1
	v_cndmask_b32_e64 v1, 0, v1, s[4:5]
	v_cmp_lt_i32_e64 s[4:5], v59, v43
	s_nop 1
	v_cndmask_b32_e64 v0, 0, v0, s[4:5]
.LBB352_1344:                           ;   in Loop: Header=BB352_552 Depth=1
	s_or_b64 exec, exec, s[10:11]
	v_lshlrev_b32_e32 v9, 16, v10
	v_mul_f32_e32 v9, v34, v9
	v_and_b32_e32 v10, 0x7f800000, v9
	v_cmp_ne_u32_e64 s[4:5], s19, v10
                                        ; implicit-def: $agpr12
	s_and_saveexec_b64 s[10:11], s[4:5]
	s_xor_b64 s[4:5], exec, s[10:11]
; %bb.1345:                             ;   in Loop: Header=BB352_552 Depth=1
	v_bfe_u32 v10, v9, 16, 1
	v_add3_u32 v9, v9, v10, s20
	v_accvgpr_write_b32 a12, v9
                                        ; implicit-def: $vgpr9
; %bb.1346:                             ;   in Loop: Header=BB352_552 Depth=1
	s_andn2_saveexec_b64 s[10:11], s[4:5]
; %bb.1347:                             ;   in Loop: Header=BB352_552 Depth=1
	v_or_b32_e32 v10, 0x10000, v9
	v_cmp_eq_u32_sdwa s[4:5], v9, v33 src0_sel:WORD_0 src1_sel:DWORD
	s_nop 1
	v_cndmask_b32_e64 v9, v10, v9, s[4:5]
	v_accvgpr_write_b32 a12, v9
; %bb.1348:                             ;   in Loop: Header=BB352_552 Depth=1
	s_or_b64 exec, exec, s[10:11]
	v_lshlrev_b32_e32 v8, 16, v8
	v_mul_f32_e32 v8, v35, v8
	v_and_b32_e32 v9, 0x7f800000, v8
	v_cmp_ne_u32_e64 s[4:5], s19, v9
                                        ; implicit-def: $agpr3
	s_and_saveexec_b64 s[10:11], s[4:5]
	s_xor_b64 s[4:5], exec, s[10:11]
; %bb.1349:                             ;   in Loop: Header=BB352_552 Depth=1
	v_bfe_u32 v9, v8, 16, 1
	v_add3_u32 v8, v8, v9, s20
	v_accvgpr_write_b32 a3, v8
                                        ; implicit-def: $vgpr8
; %bb.1350:                             ;   in Loop: Header=BB352_552 Depth=1
	s_andn2_saveexec_b64 s[10:11], s[4:5]
; %bb.1351:                             ;   in Loop: Header=BB352_552 Depth=1
	v_or_b32_e32 v9, 0x10000, v8
	v_cmp_eq_u32_sdwa s[4:5], v8, v33 src0_sel:WORD_0 src1_sel:DWORD
	s_nop 1
	v_cndmask_b32_e64 v8, v9, v8, s[4:5]
	v_accvgpr_write_b32 a3, v8
; %bb.1352:                             ;   in Loop: Header=BB352_552 Depth=1
	s_or_b64 exec, exec, s[10:11]
	v_lshlrev_b32_e32 v6, 16, v6
	v_mul_f32_e32 v6, v36, v6
	v_and_b32_e32 v8, 0x7f800000, v6
	v_cmp_ne_u32_e64 s[4:5], s19, v8
                                        ; implicit-def: $agpr10
	s_and_saveexec_b64 s[10:11], s[4:5]
	s_xor_b64 s[4:5], exec, s[10:11]
; %bb.1353:                             ;   in Loop: Header=BB352_552 Depth=1
	v_bfe_u32 v8, v6, 16, 1
	v_add3_u32 v6, v6, v8, s20
	v_accvgpr_write_b32 a10, v6
                                        ; implicit-def: $vgpr6
; %bb.1354:                             ;   in Loop: Header=BB352_552 Depth=1
	s_andn2_saveexec_b64 s[10:11], s[4:5]
; %bb.1355:                             ;   in Loop: Header=BB352_552 Depth=1
	v_or_b32_e32 v8, 0x10000, v6
	v_cmp_eq_u32_sdwa s[4:5], v6, v33 src0_sel:WORD_0 src1_sel:DWORD
	s_nop 1
	v_cndmask_b32_e64 v6, v8, v6, s[4:5]
	v_accvgpr_write_b32 a10, v6
; %bb.1356:                             ;   in Loop: Header=BB352_552 Depth=1
	s_or_b64 exec, exec, s[10:11]
	v_lshlrev_b32_e32 v6, 16, v7
	v_mul_f32_e32 v6, v37, v6
	v_and_b32_e32 v7, 0x7f800000, v6
	v_cmp_ne_u32_e64 s[4:5], s19, v7
                                        ; implicit-def: $agpr11
	s_and_saveexec_b64 s[10:11], s[4:5]
	s_xor_b64 s[4:5], exec, s[10:11]
; %bb.1357:                             ;   in Loop: Header=BB352_552 Depth=1
	v_bfe_u32 v7, v6, 16, 1
	v_add3_u32 v6, v6, v7, s20
	v_accvgpr_write_b32 a11, v6
                                        ; implicit-def: $vgpr6
; %bb.1358:                             ;   in Loop: Header=BB352_552 Depth=1
	s_andn2_saveexec_b64 s[10:11], s[4:5]
; %bb.1359:                             ;   in Loop: Header=BB352_552 Depth=1
	v_or_b32_e32 v7, 0x10000, v6
	v_cmp_eq_u32_sdwa s[4:5], v6, v33 src0_sel:WORD_0 src1_sel:DWORD
	s_nop 1
	v_cndmask_b32_e64 v6, v7, v6, s[4:5]
	v_accvgpr_write_b32 a11, v6
; %bb.1360:                             ;   in Loop: Header=BB352_552 Depth=1
	s_or_b64 exec, exec, s[10:11]
	v_lshlrev_b32_e32 v5, 16, v5
	v_mul_f32_e32 v5, v38, v5
	v_and_b32_e32 v6, 0x7f800000, v5
	v_cmp_ne_u32_e64 s[4:5], s19, v6
                                        ; implicit-def: $agpr14
	s_and_saveexec_b64 s[10:11], s[4:5]
	s_xor_b64 s[4:5], exec, s[10:11]
; %bb.1361:                             ;   in Loop: Header=BB352_552 Depth=1
	v_bfe_u32 v6, v5, 16, 1
	v_add3_u32 v5, v5, v6, s20
	v_accvgpr_write_b32 a14, v5
                                        ; implicit-def: $vgpr5
; %bb.1362:                             ;   in Loop: Header=BB352_552 Depth=1
	s_andn2_saveexec_b64 s[10:11], s[4:5]
; %bb.1363:                             ;   in Loop: Header=BB352_552 Depth=1
	v_or_b32_e32 v6, 0x10000, v5
	v_cmp_eq_u32_sdwa s[4:5], v5, v33 src0_sel:WORD_0 src1_sel:DWORD
	s_nop 1
	v_cndmask_b32_e64 v5, v6, v5, s[4:5]
	v_accvgpr_write_b32 a14, v5
; %bb.1364:                             ;   in Loop: Header=BB352_552 Depth=1
	s_or_b64 exec, exec, s[10:11]
	v_lshlrev_b32_e32 v4, 16, v4
	v_mul_f32_e32 v4, v39, v4
	v_and_b32_e32 v5, 0x7f800000, v4
	v_cmp_ne_u32_e64 s[4:5], s19, v5
                                        ; implicit-def: $agpr15
	s_and_saveexec_b64 s[10:11], s[4:5]
	s_xor_b64 s[4:5], exec, s[10:11]
; %bb.1365:                             ;   in Loop: Header=BB352_552 Depth=1
	v_bfe_u32 v5, v4, 16, 1
	v_add3_u32 v4, v4, v5, s20
	v_accvgpr_write_b32 a15, v4
                                        ; implicit-def: $vgpr4
; %bb.1366:                             ;   in Loop: Header=BB352_552 Depth=1
	s_andn2_saveexec_b64 s[10:11], s[4:5]
; %bb.1367:                             ;   in Loop: Header=BB352_552 Depth=1
	v_or_b32_e32 v5, 0x10000, v4
	v_cmp_eq_u32_sdwa s[4:5], v4, v33 src0_sel:WORD_0 src1_sel:DWORD
	s_nop 1
	v_cndmask_b32_e64 v4, v5, v4, s[4:5]
	v_accvgpr_write_b32 a15, v4
; %bb.1368:                             ;   in Loop: Header=BB352_552 Depth=1
	s_or_b64 exec, exec, s[10:11]
	v_lshlrev_b32_e32 v1, 16, v1
	v_mul_f32_e32 v1, v48, v1
	v_and_b32_e32 v4, 0x7f800000, v1
	v_cmp_ne_u32_e64 s[4:5], s19, v4
                                        ; implicit-def: $agpr16
	s_and_saveexec_b64 s[10:11], s[4:5]
	s_xor_b64 s[4:5], exec, s[10:11]
; %bb.1369:                             ;   in Loop: Header=BB352_552 Depth=1
	v_bfe_u32 v4, v1, 16, 1
	v_add3_u32 v1, v1, v4, s20
	v_accvgpr_write_b32 a16, v1
                                        ; implicit-def: $vgpr1
; %bb.1370:                             ;   in Loop: Header=BB352_552 Depth=1
	s_andn2_saveexec_b64 s[10:11], s[4:5]
; %bb.1371:                             ;   in Loop: Header=BB352_552 Depth=1
	v_or_b32_e32 v4, 0x10000, v1
	v_cmp_eq_u32_sdwa s[4:5], v1, v33 src0_sel:WORD_0 src1_sel:DWORD
	s_nop 1
	v_cndmask_b32_e64 v1, v4, v1, s[4:5]
	v_accvgpr_write_b32 a16, v1
; %bb.1372:                             ;   in Loop: Header=BB352_552 Depth=1
	s_or_b64 exec, exec, s[10:11]
	v_lshlrev_b32_e32 v0, 16, v0
	v_mul_f32_e32 v0, v49, v0
	v_and_b32_e32 v1, 0x7f800000, v0
	v_cmp_ne_u32_e64 s[4:5], s19, v1
                                        ; implicit-def: $agpr17
	s_and_saveexec_b64 s[10:11], s[4:5]
	s_xor_b64 s[4:5], exec, s[10:11]
; %bb.1373:                             ;   in Loop: Header=BB352_552 Depth=1
	v_bfe_u32 v1, v0, 16, 1
	v_add3_u32 v0, v0, v1, s20
	v_accvgpr_write_b32 a17, v0
                                        ; implicit-def: $vgpr0
; %bb.1374:                             ;   in Loop: Header=BB352_552 Depth=1
	s_andn2_saveexec_b64 s[10:11], s[4:5]
; %bb.1375:                             ;   in Loop: Header=BB352_552 Depth=1
	v_or_b32_e32 v1, 0x10000, v0
	v_cmp_eq_u32_sdwa s[4:5], v0, v33 src0_sel:WORD_0 src1_sel:DWORD
	s_nop 1
	v_cndmask_b32_e64 v0, v1, v0, s[4:5]
	v_accvgpr_write_b32 a17, v0
; %bb.1376:                             ;   in Loop: Header=BB352_552 Depth=1
	s_or_b64 exec, exec, s[10:11]
	scratch_load_dwordx2 v[0:1], off, s32 offset:424 ; 8-byte Folded Reload
	s_waitcnt vmcnt(0)
	v_lshl_add_u64 v[0:1], v[2:3], 0, v[0:1]
	flat_load_dwordx2 v[4:5], v[0:1]
	s_waitcnt vmcnt(0) lgkmcnt(0)
	v_and_b32_e32 v0, 0xff, v4
	v_cvt_f32_fp8_sdwa v0, v0 src0_sel:BYTE_0
	s_nop 0
	v_mul_f32_e32 v1, v19, v0
	v_and_b32_e32 v0, 0x7f800000, v1
	v_cmp_ne_u32_e64 s[4:5], s19, v0
                                        ; implicit-def: $vgpr0
	s_and_saveexec_b64 s[10:11], s[4:5]
	s_xor_b64 s[4:5], exec, s[10:11]
; %bb.1377:                             ;   in Loop: Header=BB352_552 Depth=1
	v_bfe_u32 v0, v1, 16, 1
	v_add3_u32 v0, v1, v0, s20
                                        ; implicit-def: $vgpr1
; %bb.1378:                             ;   in Loop: Header=BB352_552 Depth=1
	s_andn2_saveexec_b64 s[10:11], s[4:5]
; %bb.1379:                             ;   in Loop: Header=BB352_552 Depth=1
	v_or_b32_e32 v0, 0x10000, v1
	v_cmp_eq_u32_sdwa s[4:5], v1, v33 src0_sel:WORD_0 src1_sel:DWORD
	s_nop 1
	v_cndmask_b32_e64 v0, v0, v1, s[4:5]
; %bb.1380:                             ;   in Loop: Header=BB352_552 Depth=1
	s_or_b64 exec, exec, s[10:11]
	v_bfe_u32 v1, v4, 8, 8
	v_cvt_f32_fp8_sdwa v1, v1 src0_sel:BYTE_0
	s_nop 0
	v_mul_f32_e32 v6, v19, v1
	v_and_b32_e32 v1, 0x7f800000, v6
	v_cmp_ne_u32_e64 s[4:5], s19, v1
                                        ; implicit-def: $vgpr1
	s_and_saveexec_b64 s[10:11], s[4:5]
	s_xor_b64 s[4:5], exec, s[10:11]
; %bb.1381:                             ;   in Loop: Header=BB352_552 Depth=1
	v_bfe_u32 v1, v6, 16, 1
	v_add3_u32 v1, v6, v1, s20
                                        ; implicit-def: $vgpr6
; %bb.1382:                             ;   in Loop: Header=BB352_552 Depth=1
	s_andn2_saveexec_b64 s[10:11], s[4:5]
; %bb.1383:                             ;   in Loop: Header=BB352_552 Depth=1
	v_or_b32_e32 v1, 0x10000, v6
	v_cmp_eq_u32_sdwa s[4:5], v6, v33 src0_sel:WORD_0 src1_sel:DWORD
	s_nop 1
	v_cndmask_b32_e64 v1, v1, v6, s[4:5]
; %bb.1384:                             ;   in Loop: Header=BB352_552 Depth=1
	s_or_b64 exec, exec, s[10:11]
	v_bfe_u32 v6, v4, 16, 8
	v_cvt_f32_fp8_sdwa v6, v6 src0_sel:BYTE_0
	s_nop 0
	v_mul_f32_e32 v7, v19, v6
	v_and_b32_e32 v6, 0x7f800000, v7
	v_cmp_ne_u32_e64 s[4:5], s19, v6
                                        ; implicit-def: $vgpr6
	s_and_saveexec_b64 s[10:11], s[4:5]
	s_xor_b64 s[4:5], exec, s[10:11]
; %bb.1385:                             ;   in Loop: Header=BB352_552 Depth=1
	v_bfe_u32 v6, v7, 16, 1
	v_add3_u32 v6, v7, v6, s20
                                        ; implicit-def: $vgpr7
; %bb.1386:                             ;   in Loop: Header=BB352_552 Depth=1
	s_andn2_saveexec_b64 s[10:11], s[4:5]
; %bb.1387:                             ;   in Loop: Header=BB352_552 Depth=1
	v_or_b32_e32 v6, 0x10000, v7
	v_cmp_eq_u32_sdwa s[4:5], v7, v33 src0_sel:WORD_0 src1_sel:DWORD
	s_nop 1
	v_cndmask_b32_e64 v6, v6, v7, s[4:5]
; %bb.1388:                             ;   in Loop: Header=BB352_552 Depth=1
	s_or_b64 exec, exec, s[10:11]
	v_lshrrev_b32_e32 v4, 24, v4
	v_cvt_f32_fp8_sdwa v4, v4 src0_sel:BYTE_0
	s_nop 0
	v_mul_f32_e32 v4, v19, v4
	v_and_b32_e32 v7, 0x7f800000, v4
	v_cmp_ne_u32_e64 s[4:5], s19, v7
                                        ; implicit-def: $vgpr7
	s_and_saveexec_b64 s[10:11], s[4:5]
	s_xor_b64 s[4:5], exec, s[10:11]
; %bb.1389:                             ;   in Loop: Header=BB352_552 Depth=1
	v_bfe_u32 v7, v4, 16, 1
	v_add3_u32 v7, v4, v7, s20
                                        ; implicit-def: $vgpr4
; %bb.1390:                             ;   in Loop: Header=BB352_552 Depth=1
	s_andn2_saveexec_b64 s[10:11], s[4:5]
; %bb.1391:                             ;   in Loop: Header=BB352_552 Depth=1
	v_or_b32_e32 v7, 0x10000, v4
	v_cmp_eq_u32_sdwa s[4:5], v4, v33 src0_sel:WORD_0 src1_sel:DWORD
	s_nop 1
	v_cndmask_b32_e64 v7, v7, v4, s[4:5]
; %bb.1392:                             ;   in Loop: Header=BB352_552 Depth=1
	s_or_b64 exec, exec, s[10:11]
	v_and_b32_e32 v4, 0xff, v5
	v_cvt_f32_fp8_sdwa v4, v4 src0_sel:BYTE_0
	s_nop 0
	v_mul_f32_e32 v4, v19, v4
	v_and_b32_e32 v8, 0x7f800000, v4
	v_cmp_ne_u32_e64 s[4:5], s19, v8
                                        ; implicit-def: $vgpr8
	s_and_saveexec_b64 s[10:11], s[4:5]
	s_xor_b64 s[4:5], exec, s[10:11]
; %bb.1393:                             ;   in Loop: Header=BB352_552 Depth=1
	v_bfe_u32 v8, v4, 16, 1
	v_add3_u32 v8, v4, v8, s20
                                        ; implicit-def: $vgpr4
; %bb.1394:                             ;   in Loop: Header=BB352_552 Depth=1
	s_andn2_saveexec_b64 s[10:11], s[4:5]
; %bb.1395:                             ;   in Loop: Header=BB352_552 Depth=1
	v_or_b32_e32 v8, 0x10000, v4
	v_cmp_eq_u32_sdwa s[4:5], v4, v33 src0_sel:WORD_0 src1_sel:DWORD
	s_nop 1
	v_cndmask_b32_e64 v8, v8, v4, s[4:5]
; %bb.1396:                             ;   in Loop: Header=BB352_552 Depth=1
	s_or_b64 exec, exec, s[10:11]
	v_bfe_u32 v4, v5, 8, 8
	v_cvt_f32_fp8_sdwa v4, v4 src0_sel:BYTE_0
	s_nop 0
	v_mul_f32_e32 v9, v19, v4
	v_and_b32_e32 v4, 0x7f800000, v9
	v_cmp_ne_u32_e64 s[4:5], s19, v4
                                        ; implicit-def: $vgpr4
	s_and_saveexec_b64 s[10:11], s[4:5]
	s_xor_b64 s[4:5], exec, s[10:11]
; %bb.1397:                             ;   in Loop: Header=BB352_552 Depth=1
	v_bfe_u32 v4, v9, 16, 1
	v_add3_u32 v4, v9, v4, s20
                                        ; implicit-def: $vgpr9
; %bb.1398:                             ;   in Loop: Header=BB352_552 Depth=1
	s_andn2_saveexec_b64 s[10:11], s[4:5]
; %bb.1399:                             ;   in Loop: Header=BB352_552 Depth=1
	v_or_b32_e32 v4, 0x10000, v9
	v_cmp_eq_u32_sdwa s[4:5], v9, v33 src0_sel:WORD_0 src1_sel:DWORD
	s_nop 1
	v_cndmask_b32_e64 v4, v4, v9, s[4:5]
; %bb.1400:                             ;   in Loop: Header=BB352_552 Depth=1
	s_or_b64 exec, exec, s[10:11]
	v_bfe_u32 v9, v5, 16, 8
	v_cvt_f32_fp8_sdwa v9, v9 src0_sel:BYTE_0
	s_nop 0
	v_mul_f32_e32 v10, v19, v9
	v_and_b32_e32 v9, 0x7f800000, v10
	v_cmp_ne_u32_e64 s[4:5], s19, v9
                                        ; implicit-def: $vgpr9
	s_and_saveexec_b64 s[10:11], s[4:5]
	s_xor_b64 s[4:5], exec, s[10:11]
; %bb.1401:                             ;   in Loop: Header=BB352_552 Depth=1
	v_bfe_u32 v9, v10, 16, 1
	v_add3_u32 v9, v10, v9, s20
                                        ; implicit-def: $vgpr10
; %bb.1402:                             ;   in Loop: Header=BB352_552 Depth=1
	s_andn2_saveexec_b64 s[10:11], s[4:5]
; %bb.1403:                             ;   in Loop: Header=BB352_552 Depth=1
	v_or_b32_e32 v9, 0x10000, v10
	v_cmp_eq_u32_sdwa s[4:5], v10, v33 src0_sel:WORD_0 src1_sel:DWORD
	s_nop 1
	v_cndmask_b32_e64 v9, v9, v10, s[4:5]
; %bb.1404:                             ;   in Loop: Header=BB352_552 Depth=1
	s_or_b64 exec, exec, s[10:11]
	v_lshrrev_b32_e32 v5, 24, v5
	v_cvt_f32_fp8_sdwa v5, v5 src0_sel:BYTE_0
                                        ; implicit-def: $vgpr11
	s_nop 0
	v_mul_f32_e32 v5, v19, v5
	v_and_b32_e32 v10, 0x7f800000, v5
	v_cmp_ne_u32_e64 s[4:5], s19, v10
	s_and_saveexec_b64 s[10:11], s[4:5]
	s_xor_b64 s[4:5], exec, s[10:11]
; %bb.1405:                             ;   in Loop: Header=BB352_552 Depth=1
	v_bfe_u32 v10, v5, 16, 1
	v_add3_u32 v11, v5, v10, s20
                                        ; implicit-def: $vgpr5
; %bb.1406:                             ;   in Loop: Header=BB352_552 Depth=1
	s_andn2_saveexec_b64 s[10:11], s[4:5]
; %bb.1407:                             ;   in Loop: Header=BB352_552 Depth=1
	v_or_b32_e32 v10, 0x10000, v5
	v_cmp_eq_u32_sdwa s[4:5], v5, v33 src0_sel:WORD_0 src1_sel:DWORD
	s_nop 1
	v_cndmask_b32_e64 v11, v10, v5, s[4:5]
; %bb.1408:                             ;   in Loop: Header=BB352_552 Depth=1
	s_or_b64 exec, exec, s[10:11]
	v_lshrrev_b32_e32 v4, 16, v4
	v_lshrrev_b32_e32 v5, 16, v8
	;; [unrolled: 1-line block ×8, first 2 shown]
	s_and_saveexec_b64 s[10:11], vcc
	s_cbranch_execz .LBB352_1410
; %bb.1409:                             ;   in Loop: Header=BB352_552 Depth=1
	v_accvgpr_read_b32 v9, a40
	v_cmp_lt_i32_e64 s[4:5], v9, v43
	v_accvgpr_read_b32 v9, a46
	s_nop 0
	v_cndmask_b32_e64 v10, 0, v10, s[4:5]
	v_cmp_lt_i32_e64 s[4:5], v9, v43
	v_accvgpr_read_b32 v9, a45
	s_nop 0
	v_cndmask_b32_e64 v8, 0, v8, s[4:5]
	;; [unrolled: 4-line block ×6, first 2 shown]
	v_cmp_lt_i32_e64 s[4:5], v9, v43
	s_nop 1
	v_cndmask_b32_e64 v1, 0, v1, s[4:5]
	v_cmp_lt_i32_e64 s[4:5], v59, v43
	s_nop 1
	v_cndmask_b32_e64 v0, 0, v0, s[4:5]
.LBB352_1410:                           ;   in Loop: Header=BB352_552 Depth=1
	s_or_b64 exec, exec, s[10:11]
	v_lshlrev_b32_e32 v9, 16, v10
	v_mul_f32_e32 v9, v34, v9
	v_and_b32_e32 v10, 0x7f800000, v9
	v_cmp_ne_u32_e64 s[4:5], s19, v10
                                        ; implicit-def: $vgpr50
	s_and_saveexec_b64 s[10:11], s[4:5]
	s_xor_b64 s[4:5], exec, s[10:11]
; %bb.1411:                             ;   in Loop: Header=BB352_552 Depth=1
	v_bfe_u32 v10, v9, 16, 1
	v_add3_u32 v50, v9, v10, s20
                                        ; implicit-def: $vgpr9
; %bb.1412:                             ;   in Loop: Header=BB352_552 Depth=1
	s_andn2_saveexec_b64 s[10:11], s[4:5]
; %bb.1413:                             ;   in Loop: Header=BB352_552 Depth=1
	v_or_b32_e32 v10, 0x10000, v9
	v_cmp_eq_u32_sdwa s[4:5], v9, v33 src0_sel:WORD_0 src1_sel:DWORD
	s_nop 1
	v_cndmask_b32_e64 v50, v10, v9, s[4:5]
; %bb.1414:                             ;   in Loop: Header=BB352_552 Depth=1
	s_or_b64 exec, exec, s[10:11]
	v_lshlrev_b32_e32 v8, 16, v8
	v_mul_f32_e32 v8, v35, v8
	v_and_b32_e32 v9, 0x7f800000, v8
	v_cmp_ne_u32_e64 s[4:5], s19, v9
                                        ; implicit-def: $vgpr22
	s_and_saveexec_b64 s[10:11], s[4:5]
	s_xor_b64 s[4:5], exec, s[10:11]
; %bb.1415:                             ;   in Loop: Header=BB352_552 Depth=1
	v_bfe_u32 v9, v8, 16, 1
	v_add3_u32 v22, v8, v9, s20
                                        ; implicit-def: $vgpr8
; %bb.1416:                             ;   in Loop: Header=BB352_552 Depth=1
	s_andn2_saveexec_b64 s[10:11], s[4:5]
; %bb.1417:                             ;   in Loop: Header=BB352_552 Depth=1
	v_or_b32_e32 v9, 0x10000, v8
	v_cmp_eq_u32_sdwa s[4:5], v8, v33 src0_sel:WORD_0 src1_sel:DWORD
	s_nop 1
	v_cndmask_b32_e64 v22, v9, v8, s[4:5]
; %bb.1418:                             ;   in Loop: Header=BB352_552 Depth=1
	s_or_b64 exec, exec, s[10:11]
	v_lshlrev_b32_e32 v6, 16, v6
	v_mul_f32_e32 v6, v36, v6
	v_and_b32_e32 v8, 0x7f800000, v6
	v_cmp_ne_u32_e64 s[4:5], s19, v8
                                        ; implicit-def: $vgpr23
	s_and_saveexec_b64 s[10:11], s[4:5]
	s_xor_b64 s[4:5], exec, s[10:11]
; %bb.1419:                             ;   in Loop: Header=BB352_552 Depth=1
	v_bfe_u32 v8, v6, 16, 1
	v_add3_u32 v23, v6, v8, s20
                                        ; implicit-def: $vgpr6
; %bb.1420:                             ;   in Loop: Header=BB352_552 Depth=1
	s_andn2_saveexec_b64 s[10:11], s[4:5]
; %bb.1421:                             ;   in Loop: Header=BB352_552 Depth=1
	v_or_b32_e32 v8, 0x10000, v6
	v_cmp_eq_u32_sdwa s[4:5], v6, v33 src0_sel:WORD_0 src1_sel:DWORD
	s_nop 1
	v_cndmask_b32_e64 v23, v8, v6, s[4:5]
; %bb.1422:                             ;   in Loop: Header=BB352_552 Depth=1
	s_or_b64 exec, exec, s[10:11]
	v_lshlrev_b32_e32 v6, 16, v7
	v_mul_f32_e32 v6, v37, v6
	v_and_b32_e32 v7, 0x7f800000, v6
	v_cmp_ne_u32_e64 s[4:5], s19, v7
                                        ; implicit-def: $vgpr18
	s_and_saveexec_b64 s[10:11], s[4:5]
	s_xor_b64 s[4:5], exec, s[10:11]
; %bb.1423:                             ;   in Loop: Header=BB352_552 Depth=1
	v_bfe_u32 v7, v6, 16, 1
	v_add3_u32 v18, v6, v7, s20
                                        ; implicit-def: $vgpr6
; %bb.1424:                             ;   in Loop: Header=BB352_552 Depth=1
	s_andn2_saveexec_b64 s[10:11], s[4:5]
; %bb.1425:                             ;   in Loop: Header=BB352_552 Depth=1
	v_or_b32_e32 v7, 0x10000, v6
	v_cmp_eq_u32_sdwa s[4:5], v6, v33 src0_sel:WORD_0 src1_sel:DWORD
	s_nop 1
	v_cndmask_b32_e64 v18, v7, v6, s[4:5]
; %bb.1426:                             ;   in Loop: Header=BB352_552 Depth=1
	s_or_b64 exec, exec, s[10:11]
	v_lshlrev_b32_e32 v5, 16, v5
	v_mul_f32_e32 v5, v38, v5
	v_and_b32_e32 v6, 0x7f800000, v5
	v_cmp_ne_u32_e64 s[4:5], s19, v6
                                        ; implicit-def: $vgpr9
	s_and_saveexec_b64 s[10:11], s[4:5]
	s_xor_b64 s[4:5], exec, s[10:11]
; %bb.1427:                             ;   in Loop: Header=BB352_552 Depth=1
	v_bfe_u32 v6, v5, 16, 1
	v_add3_u32 v9, v5, v6, s20
                                        ; implicit-def: $vgpr5
; %bb.1428:                             ;   in Loop: Header=BB352_552 Depth=1
	s_andn2_saveexec_b64 s[10:11], s[4:5]
; %bb.1429:                             ;   in Loop: Header=BB352_552 Depth=1
	v_or_b32_e32 v6, 0x10000, v5
	v_cmp_eq_u32_sdwa s[4:5], v5, v33 src0_sel:WORD_0 src1_sel:DWORD
	s_nop 1
	v_cndmask_b32_e64 v9, v6, v5, s[4:5]
; %bb.1430:                             ;   in Loop: Header=BB352_552 Depth=1
	s_or_b64 exec, exec, s[10:11]
	v_lshlrev_b32_e32 v4, 16, v4
	v_mul_f32_e32 v4, v39, v4
	v_and_b32_e32 v5, 0x7f800000, v4
	v_cmp_ne_u32_e64 s[4:5], s19, v5
                                        ; implicit-def: $vgpr61
	s_and_saveexec_b64 s[10:11], s[4:5]
	s_xor_b64 s[4:5], exec, s[10:11]
; %bb.1431:                             ;   in Loop: Header=BB352_552 Depth=1
	v_bfe_u32 v5, v4, 16, 1
	v_add3_u32 v61, v4, v5, s20
                                        ; implicit-def: $vgpr4
; %bb.1432:                             ;   in Loop: Header=BB352_552 Depth=1
	s_andn2_saveexec_b64 s[10:11], s[4:5]
; %bb.1433:                             ;   in Loop: Header=BB352_552 Depth=1
	v_or_b32_e32 v5, 0x10000, v4
	v_cmp_eq_u32_sdwa s[4:5], v4, v33 src0_sel:WORD_0 src1_sel:DWORD
	s_nop 1
	v_cndmask_b32_e64 v61, v5, v4, s[4:5]
; %bb.1434:                             ;   in Loop: Header=BB352_552 Depth=1
	s_or_b64 exec, exec, s[10:11]
	v_lshlrev_b32_e32 v1, 16, v1
	v_mul_f32_e32 v1, v48, v1
	v_and_b32_e32 v4, 0x7f800000, v1
	v_cmp_ne_u32_e64 s[4:5], s19, v4
                                        ; implicit-def: $vgpr62
	s_and_saveexec_b64 s[10:11], s[4:5]
	s_xor_b64 s[4:5], exec, s[10:11]
; %bb.1435:                             ;   in Loop: Header=BB352_552 Depth=1
	v_bfe_u32 v4, v1, 16, 1
	v_add3_u32 v62, v1, v4, s20
                                        ; implicit-def: $vgpr1
; %bb.1436:                             ;   in Loop: Header=BB352_552 Depth=1
	s_andn2_saveexec_b64 s[10:11], s[4:5]
; %bb.1437:                             ;   in Loop: Header=BB352_552 Depth=1
	v_or_b32_e32 v4, 0x10000, v1
	v_cmp_eq_u32_sdwa s[4:5], v1, v33 src0_sel:WORD_0 src1_sel:DWORD
	s_nop 1
	v_cndmask_b32_e64 v62, v4, v1, s[4:5]
; %bb.1438:                             ;   in Loop: Header=BB352_552 Depth=1
	s_or_b64 exec, exec, s[10:11]
	v_lshlrev_b32_e32 v0, 16, v0
	v_mul_f32_e32 v0, v49, v0
	v_and_b32_e32 v1, 0x7f800000, v0
	v_cmp_ne_u32_e64 s[4:5], s19, v1
                                        ; implicit-def: $vgpr46
	s_and_saveexec_b64 s[10:11], s[4:5]
	s_xor_b64 s[4:5], exec, s[10:11]
; %bb.1439:                             ;   in Loop: Header=BB352_552 Depth=1
	v_bfe_u32 v1, v0, 16, 1
	v_add3_u32 v46, v0, v1, s20
                                        ; implicit-def: $vgpr0
; %bb.1440:                             ;   in Loop: Header=BB352_552 Depth=1
	s_andn2_saveexec_b64 s[10:11], s[4:5]
; %bb.1441:                             ;   in Loop: Header=BB352_552 Depth=1
	v_or_b32_e32 v1, 0x10000, v0
	v_cmp_eq_u32_sdwa s[4:5], v0, v33 src0_sel:WORD_0 src1_sel:DWORD
	s_nop 1
	v_cndmask_b32_e64 v46, v1, v0, s[4:5]
; %bb.1442:                             ;   in Loop: Header=BB352_552 Depth=1
	s_or_b64 exec, exec, s[10:11]
	scratch_load_dwordx2 v[0:1], off, s32 offset:432 ; 8-byte Folded Reload
	s_waitcnt vmcnt(0)
	v_lshl_add_u64 v[0:1], v[2:3], 0, v[0:1]
	flat_load_dwordx2 v[4:5], v[0:1]
	s_waitcnt vmcnt(0) lgkmcnt(0)
	v_and_b32_e32 v0, 0xff, v4
	v_cvt_f32_fp8_sdwa v0, v0 src0_sel:BYTE_0
	s_nop 0
	v_mul_f32_e32 v1, v19, v0
	v_and_b32_e32 v0, 0x7f800000, v1
	v_cmp_ne_u32_e64 s[4:5], s19, v0
                                        ; implicit-def: $vgpr0
	s_and_saveexec_b64 s[10:11], s[4:5]
	s_xor_b64 s[4:5], exec, s[10:11]
; %bb.1443:                             ;   in Loop: Header=BB352_552 Depth=1
	v_bfe_u32 v0, v1, 16, 1
	v_add3_u32 v0, v1, v0, s20
                                        ; implicit-def: $vgpr1
; %bb.1444:                             ;   in Loop: Header=BB352_552 Depth=1
	s_andn2_saveexec_b64 s[10:11], s[4:5]
; %bb.1445:                             ;   in Loop: Header=BB352_552 Depth=1
	v_or_b32_e32 v0, 0x10000, v1
	v_cmp_eq_u32_sdwa s[4:5], v1, v33 src0_sel:WORD_0 src1_sel:DWORD
	s_nop 1
	v_cndmask_b32_e64 v0, v0, v1, s[4:5]
; %bb.1446:                             ;   in Loop: Header=BB352_552 Depth=1
	s_or_b64 exec, exec, s[10:11]
	v_bfe_u32 v1, v4, 8, 8
	v_cvt_f32_fp8_sdwa v1, v1 src0_sel:BYTE_0
	s_nop 0
	v_mul_f32_e32 v6, v19, v1
	v_and_b32_e32 v1, 0x7f800000, v6
	v_cmp_ne_u32_e64 s[4:5], s19, v1
                                        ; implicit-def: $vgpr1
	s_and_saveexec_b64 s[10:11], s[4:5]
	s_xor_b64 s[4:5], exec, s[10:11]
; %bb.1447:                             ;   in Loop: Header=BB352_552 Depth=1
	v_bfe_u32 v1, v6, 16, 1
	v_add3_u32 v1, v6, v1, s20
                                        ; implicit-def: $vgpr6
; %bb.1448:                             ;   in Loop: Header=BB352_552 Depth=1
	s_andn2_saveexec_b64 s[10:11], s[4:5]
; %bb.1449:                             ;   in Loop: Header=BB352_552 Depth=1
	v_or_b32_e32 v1, 0x10000, v6
	v_cmp_eq_u32_sdwa s[4:5], v6, v33 src0_sel:WORD_0 src1_sel:DWORD
	s_nop 1
	v_cndmask_b32_e64 v1, v1, v6, s[4:5]
; %bb.1450:                             ;   in Loop: Header=BB352_552 Depth=1
	s_or_b64 exec, exec, s[10:11]
	v_bfe_u32 v6, v4, 16, 8
	v_cvt_f32_fp8_sdwa v6, v6 src0_sel:BYTE_0
	s_nop 0
	v_mul_f32_e32 v6, v19, v6
	v_and_b32_e32 v7, 0x7f800000, v6
	v_cmp_ne_u32_e64 s[4:5], s19, v7
                                        ; implicit-def: $vgpr7
	s_and_saveexec_b64 s[10:11], s[4:5]
	s_xor_b64 s[4:5], exec, s[10:11]
; %bb.1451:                             ;   in Loop: Header=BB352_552 Depth=1
	v_bfe_u32 v7, v6, 16, 1
	v_add3_u32 v7, v6, v7, s20
                                        ; implicit-def: $vgpr6
; %bb.1452:                             ;   in Loop: Header=BB352_552 Depth=1
	s_andn2_saveexec_b64 s[10:11], s[4:5]
; %bb.1453:                             ;   in Loop: Header=BB352_552 Depth=1
	v_or_b32_e32 v7, 0x10000, v6
	v_cmp_eq_u32_sdwa s[4:5], v6, v33 src0_sel:WORD_0 src1_sel:DWORD
	s_nop 1
	v_cndmask_b32_e64 v7, v7, v6, s[4:5]
; %bb.1454:                             ;   in Loop: Header=BB352_552 Depth=1
	s_or_b64 exec, exec, s[10:11]
	v_lshrrev_b32_e32 v4, 24, v4
	v_cvt_f32_fp8_sdwa v4, v4 src0_sel:BYTE_0
	s_nop 0
	v_mul_f32_e32 v6, v19, v4
	v_and_b32_e32 v4, 0x7f800000, v6
	v_cmp_ne_u32_e64 s[4:5], s19, v4
                                        ; implicit-def: $vgpr4
	s_and_saveexec_b64 s[10:11], s[4:5]
	s_xor_b64 s[4:5], exec, s[10:11]
; %bb.1455:                             ;   in Loop: Header=BB352_552 Depth=1
	v_bfe_u32 v4, v6, 16, 1
	v_add3_u32 v4, v6, v4, s20
                                        ; implicit-def: $vgpr6
; %bb.1456:                             ;   in Loop: Header=BB352_552 Depth=1
	s_andn2_saveexec_b64 s[10:11], s[4:5]
; %bb.1457:                             ;   in Loop: Header=BB352_552 Depth=1
	v_or_b32_e32 v4, 0x10000, v6
	v_cmp_eq_u32_sdwa s[4:5], v6, v33 src0_sel:WORD_0 src1_sel:DWORD
	s_nop 1
	v_cndmask_b32_e64 v4, v4, v6, s[4:5]
; %bb.1458:                             ;   in Loop: Header=BB352_552 Depth=1
	s_or_b64 exec, exec, s[10:11]
	v_and_b32_e32 v6, 0xff, v5
	v_cvt_f32_fp8_sdwa v6, v6 src0_sel:BYTE_0
	s_nop 0
	v_mul_f32_e32 v6, v19, v6
	v_and_b32_e32 v8, 0x7f800000, v6
	v_cmp_ne_u32_e64 s[4:5], s19, v8
                                        ; implicit-def: $vgpr8
	s_and_saveexec_b64 s[10:11], s[4:5]
	s_xor_b64 s[4:5], exec, s[10:11]
; %bb.1459:                             ;   in Loop: Header=BB352_552 Depth=1
	v_bfe_u32 v8, v6, 16, 1
	v_add3_u32 v8, v6, v8, s20
                                        ; implicit-def: $vgpr6
; %bb.1460:                             ;   in Loop: Header=BB352_552 Depth=1
	s_andn2_saveexec_b64 s[10:11], s[4:5]
; %bb.1461:                             ;   in Loop: Header=BB352_552 Depth=1
	v_or_b32_e32 v8, 0x10000, v6
	v_cmp_eq_u32_sdwa s[4:5], v6, v33 src0_sel:WORD_0 src1_sel:DWORD
	s_nop 1
	v_cndmask_b32_e64 v8, v8, v6, s[4:5]
; %bb.1462:                             ;   in Loop: Header=BB352_552 Depth=1
	s_or_b64 exec, exec, s[10:11]
	v_bfe_u32 v6, v5, 8, 8
	v_cvt_f32_fp8_sdwa v6, v6 src0_sel:BYTE_0
	s_nop 0
	v_mul_f32_e32 v10, v19, v6
	v_and_b32_e32 v6, 0x7f800000, v10
	v_cmp_ne_u32_e64 s[4:5], s19, v6
                                        ; implicit-def: $vgpr6
	s_and_saveexec_b64 s[10:11], s[4:5]
	s_xor_b64 s[4:5], exec, s[10:11]
; %bb.1463:                             ;   in Loop: Header=BB352_552 Depth=1
	v_bfe_u32 v6, v10, 16, 1
	v_add3_u32 v6, v10, v6, s20
                                        ; implicit-def: $vgpr10
; %bb.1464:                             ;   in Loop: Header=BB352_552 Depth=1
	s_andn2_saveexec_b64 s[10:11], s[4:5]
; %bb.1465:                             ;   in Loop: Header=BB352_552 Depth=1
	v_or_b32_e32 v6, 0x10000, v10
	v_cmp_eq_u32_sdwa s[4:5], v10, v33 src0_sel:WORD_0 src1_sel:DWORD
	s_nop 1
	v_cndmask_b32_e64 v6, v6, v10, s[4:5]
; %bb.1466:                             ;   in Loop: Header=BB352_552 Depth=1
	s_or_b64 exec, exec, s[10:11]
	v_bfe_u32 v10, v5, 16, 8
	v_cvt_f32_fp8_sdwa v10, v10 src0_sel:BYTE_0
	s_nop 0
	v_mul_f32_e32 v10, v19, v10
	v_and_b32_e32 v11, 0x7f800000, v10
	v_cmp_ne_u32_e64 s[4:5], s19, v11
                                        ; implicit-def: $vgpr11
	s_and_saveexec_b64 s[10:11], s[4:5]
	s_xor_b64 s[4:5], exec, s[10:11]
; %bb.1467:                             ;   in Loop: Header=BB352_552 Depth=1
	v_bfe_u32 v11, v10, 16, 1
	v_add3_u32 v11, v10, v11, s20
                                        ; implicit-def: $vgpr10
; %bb.1468:                             ;   in Loop: Header=BB352_552 Depth=1
	s_andn2_saveexec_b64 s[10:11], s[4:5]
; %bb.1469:                             ;   in Loop: Header=BB352_552 Depth=1
	v_or_b32_e32 v11, 0x10000, v10
	v_cmp_eq_u32_sdwa s[4:5], v10, v33 src0_sel:WORD_0 src1_sel:DWORD
	s_nop 1
	v_cndmask_b32_e64 v11, v11, v10, s[4:5]
; %bb.1470:                             ;   in Loop: Header=BB352_552 Depth=1
	s_or_b64 exec, exec, s[10:11]
	v_lshrrev_b32_e32 v5, 24, v5
	v_cvt_f32_fp8_sdwa v5, v5 src0_sel:BYTE_0
                                        ; implicit-def: $vgpr51
	s_nop 0
	v_mul_f32_e32 v5, v19, v5
	v_and_b32_e32 v10, 0x7f800000, v5
	v_cmp_ne_u32_e64 s[4:5], s19, v10
	s_and_saveexec_b64 s[10:11], s[4:5]
	s_xor_b64 s[4:5], exec, s[10:11]
; %bb.1471:                             ;   in Loop: Header=BB352_552 Depth=1
	v_bfe_u32 v10, v5, 16, 1
	v_add3_u32 v51, v5, v10, s20
                                        ; implicit-def: $vgpr5
; %bb.1472:                             ;   in Loop: Header=BB352_552 Depth=1
	s_andn2_saveexec_b64 s[10:11], s[4:5]
; %bb.1473:                             ;   in Loop: Header=BB352_552 Depth=1
	v_or_b32_e32 v10, 0x10000, v5
	v_cmp_eq_u32_sdwa s[4:5], v5, v33 src0_sel:WORD_0 src1_sel:DWORD
	s_nop 1
	v_cndmask_b32_e64 v51, v10, v5, s[4:5]
; %bb.1474:                             ;   in Loop: Header=BB352_552 Depth=1
	s_or_b64 exec, exec, s[10:11]
	v_lshrrev_b32_e32 v6, 16, v6
	v_lshrrev_b32_e32 v8, 16, v8
	;; [unrolled: 1-line block ×8, first 2 shown]
	s_and_saveexec_b64 s[10:11], vcc
	s_cbranch_execz .LBB352_1476
; %bb.1475:                             ;   in Loop: Header=BB352_552 Depth=1
	v_accvgpr_read_b32 v11, a40
	v_cmp_lt_i32_e64 s[4:5], v11, v43
	v_accvgpr_read_b32 v11, a46
	s_nop 0
	v_cndmask_b32_e64 v0, 0, v0, s[4:5]
	v_cmp_lt_i32_e64 s[4:5], v11, v43
	v_accvgpr_read_b32 v11, a45
	s_nop 0
	v_cndmask_b32_e64 v1, 0, v1, s[4:5]
	;; [unrolled: 4-line block ×6, first 2 shown]
	v_cmp_lt_i32_e64 s[4:5], v11, v43
	s_nop 1
	v_cndmask_b32_e64 v5, 0, v5, s[4:5]
	v_cmp_lt_i32_e64 s[4:5], v59, v43
	s_nop 1
	v_cndmask_b32_e64 v4, 0, v4, s[4:5]
.LBB352_1476:                           ;   in Loop: Header=BB352_552 Depth=1
	s_or_b64 exec, exec, s[10:11]
	v_lshlrev_b32_e32 v0, 16, v0
	v_mul_f32_e32 v0, v34, v0
	v_and_b32_e32 v11, 0x7f800000, v0
	v_cmp_ne_u32_e64 s[4:5], s19, v11
                                        ; implicit-def: $vgpr47
	s_and_saveexec_b64 s[10:11], s[4:5]
	s_xor_b64 s[4:5], exec, s[10:11]
; %bb.1477:                             ;   in Loop: Header=BB352_552 Depth=1
	v_bfe_u32 v11, v0, 16, 1
	v_add3_u32 v47, v0, v11, s20
                                        ; implicit-def: $vgpr0
; %bb.1478:                             ;   in Loop: Header=BB352_552 Depth=1
	s_andn2_saveexec_b64 s[10:11], s[4:5]
; %bb.1479:                             ;   in Loop: Header=BB352_552 Depth=1
	v_or_b32_e32 v11, 0x10000, v0
	v_cmp_eq_u32_sdwa s[4:5], v0, v33 src0_sel:WORD_0 src1_sel:DWORD
	s_nop 1
	v_cndmask_b32_e64 v47, v11, v0, s[4:5]
; %bb.1480:                             ;   in Loop: Header=BB352_552 Depth=1
	s_or_b64 exec, exec, s[10:11]
	v_lshlrev_b32_e32 v0, 16, v1
	v_mul_f32_e32 v0, v35, v0
	v_and_b32_e32 v1, 0x7f800000, v0
	v_cmp_ne_u32_e64 s[4:5], s19, v1
                                        ; implicit-def: $vgpr1
	s_and_saveexec_b64 s[10:11], s[4:5]
	s_xor_b64 s[4:5], exec, s[10:11]
; %bb.1481:                             ;   in Loop: Header=BB352_552 Depth=1
	v_bfe_u32 v1, v0, 16, 1
	v_add3_u32 v1, v0, v1, s20
                                        ; implicit-def: $vgpr0
; %bb.1482:                             ;   in Loop: Header=BB352_552 Depth=1
	s_andn2_saveexec_b64 s[10:11], s[4:5]
; %bb.1483:                             ;   in Loop: Header=BB352_552 Depth=1
	v_or_b32_e32 v1, 0x10000, v0
	v_cmp_eq_u32_sdwa s[4:5], v0, v33 src0_sel:WORD_0 src1_sel:DWORD
	s_nop 1
	v_cndmask_b32_e64 v1, v1, v0, s[4:5]
; %bb.1484:                             ;   in Loop: Header=BB352_552 Depth=1
	s_or_b64 exec, exec, s[10:11]
	v_lshlrev_b32_e32 v0, 16, v7
	v_mul_f32_e32 v7, v36, v0
	v_and_b32_e32 v0, 0x7f800000, v7
	v_cmp_ne_u32_e64 s[4:5], s19, v0
                                        ; implicit-def: $vgpr0
	s_and_saveexec_b64 s[10:11], s[4:5]
	s_xor_b64 s[4:5], exec, s[10:11]
; %bb.1485:                             ;   in Loop: Header=BB352_552 Depth=1
	v_bfe_u32 v0, v7, 16, 1
	v_add3_u32 v0, v7, v0, s20
                                        ; implicit-def: $vgpr7
; %bb.1486:                             ;   in Loop: Header=BB352_552 Depth=1
	s_andn2_saveexec_b64 s[10:11], s[4:5]
; %bb.1487:                             ;   in Loop: Header=BB352_552 Depth=1
	v_or_b32_e32 v0, 0x10000, v7
	v_cmp_eq_u32_sdwa s[4:5], v7, v33 src0_sel:WORD_0 src1_sel:DWORD
	s_nop 1
	v_cndmask_b32_e64 v0, v0, v7, s[4:5]
; %bb.1488:                             ;   in Loop: Header=BB352_552 Depth=1
	s_or_b64 exec, exec, s[10:11]
	v_lshlrev_b32_e32 v7, 16, v10
	v_mul_f32_e32 v7, v37, v7
	v_and_b32_e32 v10, 0x7f800000, v7
	v_cmp_ne_u32_e64 s[4:5], s19, v10
                                        ; implicit-def: $vgpr45
	s_and_saveexec_b64 s[10:11], s[4:5]
	s_xor_b64 s[4:5], exec, s[10:11]
; %bb.1489:                             ;   in Loop: Header=BB352_552 Depth=1
	v_bfe_u32 v10, v7, 16, 1
	v_add3_u32 v45, v7, v10, s20
                                        ; implicit-def: $vgpr7
; %bb.1490:                             ;   in Loop: Header=BB352_552 Depth=1
	s_andn2_saveexec_b64 s[10:11], s[4:5]
; %bb.1491:                             ;   in Loop: Header=BB352_552 Depth=1
	v_or_b32_e32 v10, 0x10000, v7
	v_cmp_eq_u32_sdwa s[4:5], v7, v33 src0_sel:WORD_0 src1_sel:DWORD
	s_nop 1
	v_cndmask_b32_e64 v45, v10, v7, s[4:5]
; %bb.1492:                             ;   in Loop: Header=BB352_552 Depth=1
	s_or_b64 exec, exec, s[10:11]
	v_lshlrev_b32_e32 v7, 16, v8
	v_mul_f32_e32 v7, v38, v7
	v_and_b32_e32 v8, 0x7f800000, v7
	v_cmp_ne_u32_e64 s[4:5], s19, v8
                                        ; implicit-def: $vgpr51
	s_and_saveexec_b64 s[10:11], s[4:5]
	s_xor_b64 s[4:5], exec, s[10:11]
; %bb.1493:                             ;   in Loop: Header=BB352_552 Depth=1
	v_bfe_u32 v8, v7, 16, 1
	v_add3_u32 v51, v7, v8, s20
                                        ; implicit-def: $vgpr7
; %bb.1494:                             ;   in Loop: Header=BB352_552 Depth=1
	s_andn2_saveexec_b64 s[10:11], s[4:5]
; %bb.1495:                             ;   in Loop: Header=BB352_552 Depth=1
	v_or_b32_e32 v8, 0x10000, v7
	v_cmp_eq_u32_sdwa s[4:5], v7, v33 src0_sel:WORD_0 src1_sel:DWORD
	s_nop 1
	v_cndmask_b32_e64 v51, v8, v7, s[4:5]
; %bb.1496:                             ;   in Loop: Header=BB352_552 Depth=1
	s_or_b64 exec, exec, s[10:11]
	v_lshlrev_b32_e32 v6, 16, v6
	v_mul_f32_e32 v6, v39, v6
	v_and_b32_e32 v7, 0x7f800000, v6
	v_cmp_ne_u32_e64 s[4:5], s19, v7
                                        ; implicit-def: $vgpr52
	s_and_saveexec_b64 s[10:11], s[4:5]
	s_xor_b64 s[4:5], exec, s[10:11]
; %bb.1497:                             ;   in Loop: Header=BB352_552 Depth=1
	v_bfe_u32 v7, v6, 16, 1
	v_add3_u32 v52, v6, v7, s20
                                        ; implicit-def: $vgpr6
; %bb.1498:                             ;   in Loop: Header=BB352_552 Depth=1
	s_andn2_saveexec_b64 s[10:11], s[4:5]
; %bb.1499:                             ;   in Loop: Header=BB352_552 Depth=1
	v_or_b32_e32 v7, 0x10000, v6
	v_cmp_eq_u32_sdwa s[4:5], v6, v33 src0_sel:WORD_0 src1_sel:DWORD
	s_nop 1
	v_cndmask_b32_e64 v52, v7, v6, s[4:5]
; %bb.1500:                             ;   in Loop: Header=BB352_552 Depth=1
	s_or_b64 exec, exec, s[10:11]
	v_lshlrev_b32_e32 v5, 16, v5
	v_mul_f32_e32 v5, v48, v5
	v_and_b32_e32 v6, 0x7f800000, v5
	v_cmp_ne_u32_e64 s[4:5], s19, v6
                                        ; implicit-def: $vgpr53
	s_and_saveexec_b64 s[10:11], s[4:5]
	s_xor_b64 s[4:5], exec, s[10:11]
; %bb.1501:                             ;   in Loop: Header=BB352_552 Depth=1
	v_bfe_u32 v6, v5, 16, 1
	v_add3_u32 v53, v5, v6, s20
                                        ; implicit-def: $vgpr5
; %bb.1502:                             ;   in Loop: Header=BB352_552 Depth=1
	s_andn2_saveexec_b64 s[10:11], s[4:5]
; %bb.1503:                             ;   in Loop: Header=BB352_552 Depth=1
	v_or_b32_e32 v6, 0x10000, v5
	v_cmp_eq_u32_sdwa s[4:5], v5, v33 src0_sel:WORD_0 src1_sel:DWORD
	s_nop 1
	v_cndmask_b32_e64 v53, v6, v5, s[4:5]
; %bb.1504:                             ;   in Loop: Header=BB352_552 Depth=1
	s_or_b64 exec, exec, s[10:11]
	v_lshlrev_b32_e32 v4, 16, v4
	v_mul_f32_e32 v4, v49, v4
	v_and_b32_e32 v5, 0x7f800000, v4
	v_cmp_ne_u32_e64 s[4:5], s19, v5
                                        ; implicit-def: $vgpr54
	s_and_saveexec_b64 s[10:11], s[4:5]
	s_xor_b64 s[4:5], exec, s[10:11]
; %bb.1505:                             ;   in Loop: Header=BB352_552 Depth=1
	v_bfe_u32 v5, v4, 16, 1
	v_add3_u32 v54, v4, v5, s20
                                        ; implicit-def: $vgpr4
; %bb.1506:                             ;   in Loop: Header=BB352_552 Depth=1
	s_andn2_saveexec_b64 s[10:11], s[4:5]
; %bb.1507:                             ;   in Loop: Header=BB352_552 Depth=1
	v_or_b32_e32 v5, 0x10000, v4
	v_cmp_eq_u32_sdwa s[4:5], v4, v33 src0_sel:WORD_0 src1_sel:DWORD
	s_nop 1
	v_cndmask_b32_e64 v54, v5, v4, s[4:5]
; %bb.1508:                             ;   in Loop: Header=BB352_552 Depth=1
	s_or_b64 exec, exec, s[10:11]
	scratch_load_dwordx2 v[4:5], off, s32 offset:440 ; 8-byte Folded Reload
	s_waitcnt vmcnt(0)
	v_lshl_add_u64 v[4:5], v[2:3], 0, v[4:5]
	flat_load_dwordx2 v[4:5], v[4:5]
	s_waitcnt vmcnt(0) lgkmcnt(0)
	v_and_b32_e32 v6, 0xff, v4
	v_cvt_f32_fp8_sdwa v6, v6 src0_sel:BYTE_0
	s_nop 0
	v_mul_f32_e32 v7, v19, v6
	v_and_b32_e32 v6, 0x7f800000, v7
	v_cmp_ne_u32_e64 s[4:5], s19, v6
                                        ; implicit-def: $vgpr6
	s_and_saveexec_b64 s[10:11], s[4:5]
	s_xor_b64 s[4:5], exec, s[10:11]
; %bb.1509:                             ;   in Loop: Header=BB352_552 Depth=1
	v_bfe_u32 v6, v7, 16, 1
	v_add3_u32 v6, v7, v6, s20
                                        ; implicit-def: $vgpr7
; %bb.1510:                             ;   in Loop: Header=BB352_552 Depth=1
	s_andn2_saveexec_b64 s[10:11], s[4:5]
; %bb.1511:                             ;   in Loop: Header=BB352_552 Depth=1
	v_or_b32_e32 v6, 0x10000, v7
	v_cmp_eq_u32_sdwa s[4:5], v7, v33 src0_sel:WORD_0 src1_sel:DWORD
	s_nop 1
	v_cndmask_b32_e64 v6, v6, v7, s[4:5]
; %bb.1512:                             ;   in Loop: Header=BB352_552 Depth=1
	s_or_b64 exec, exec, s[10:11]
	v_bfe_u32 v7, v4, 8, 8
	v_cvt_f32_fp8_sdwa v7, v7 src0_sel:BYTE_0
	s_nop 0
	v_mul_f32_e32 v8, v19, v7
	v_and_b32_e32 v7, 0x7f800000, v8
	v_cmp_ne_u32_e64 s[4:5], s19, v7
                                        ; implicit-def: $vgpr7
	s_and_saveexec_b64 s[10:11], s[4:5]
	s_xor_b64 s[4:5], exec, s[10:11]
; %bb.1513:                             ;   in Loop: Header=BB352_552 Depth=1
	v_bfe_u32 v7, v8, 16, 1
	v_add3_u32 v7, v8, v7, s20
                                        ; implicit-def: $vgpr8
; %bb.1514:                             ;   in Loop: Header=BB352_552 Depth=1
	s_andn2_saveexec_b64 s[10:11], s[4:5]
; %bb.1515:                             ;   in Loop: Header=BB352_552 Depth=1
	v_or_b32_e32 v7, 0x10000, v8
	v_cmp_eq_u32_sdwa s[4:5], v8, v33 src0_sel:WORD_0 src1_sel:DWORD
	s_nop 1
	v_cndmask_b32_e64 v7, v7, v8, s[4:5]
; %bb.1516:                             ;   in Loop: Header=BB352_552 Depth=1
	s_or_b64 exec, exec, s[10:11]
	v_bfe_u32 v8, v4, 16, 8
	v_cvt_f32_fp8_sdwa v8, v8 src0_sel:BYTE_0
	s_nop 0
	v_mul_f32_e32 v8, v19, v8
	v_and_b32_e32 v10, 0x7f800000, v8
	v_cmp_ne_u32_e64 s[4:5], s19, v10
                                        ; implicit-def: $vgpr10
	s_and_saveexec_b64 s[10:11], s[4:5]
	s_xor_b64 s[4:5], exec, s[10:11]
; %bb.1517:                             ;   in Loop: Header=BB352_552 Depth=1
	v_bfe_u32 v10, v8, 16, 1
	v_add3_u32 v10, v8, v10, s20
                                        ; implicit-def: $vgpr8
; %bb.1518:                             ;   in Loop: Header=BB352_552 Depth=1
	s_andn2_saveexec_b64 s[10:11], s[4:5]
; %bb.1519:                             ;   in Loop: Header=BB352_552 Depth=1
	v_or_b32_e32 v10, 0x10000, v8
	v_cmp_eq_u32_sdwa s[4:5], v8, v33 src0_sel:WORD_0 src1_sel:DWORD
	s_nop 1
	v_cndmask_b32_e64 v10, v10, v8, s[4:5]
; %bb.1520:                             ;   in Loop: Header=BB352_552 Depth=1
	s_or_b64 exec, exec, s[10:11]
	v_lshrrev_b32_e32 v4, 24, v4
	v_cvt_f32_fp8_sdwa v4, v4 src0_sel:BYTE_0
	s_nop 0
	v_mul_f32_e32 v8, v19, v4
	v_and_b32_e32 v4, 0x7f800000, v8
	v_cmp_ne_u32_e64 s[4:5], s19, v4
                                        ; implicit-def: $vgpr4
	s_and_saveexec_b64 s[10:11], s[4:5]
	s_xor_b64 s[4:5], exec, s[10:11]
; %bb.1521:                             ;   in Loop: Header=BB352_552 Depth=1
	v_bfe_u32 v4, v8, 16, 1
	v_add3_u32 v4, v8, v4, s20
                                        ; implicit-def: $vgpr8
; %bb.1522:                             ;   in Loop: Header=BB352_552 Depth=1
	s_andn2_saveexec_b64 s[10:11], s[4:5]
; %bb.1523:                             ;   in Loop: Header=BB352_552 Depth=1
	v_or_b32_e32 v4, 0x10000, v8
	v_cmp_eq_u32_sdwa s[4:5], v8, v33 src0_sel:WORD_0 src1_sel:DWORD
	s_nop 1
	v_cndmask_b32_e64 v4, v4, v8, s[4:5]
; %bb.1524:                             ;   in Loop: Header=BB352_552 Depth=1
	s_or_b64 exec, exec, s[10:11]
	v_and_b32_e32 v8, 0xff, v5
	v_cvt_f32_fp8_sdwa v8, v8 src0_sel:BYTE_0
	s_nop 0
	v_mul_f32_e32 v8, v19, v8
	v_and_b32_e32 v11, 0x7f800000, v8
	v_cmp_ne_u32_e64 s[4:5], s19, v11
                                        ; implicit-def: $vgpr11
	s_and_saveexec_b64 s[10:11], s[4:5]
	s_xor_b64 s[4:5], exec, s[10:11]
; %bb.1525:                             ;   in Loop: Header=BB352_552 Depth=1
	v_bfe_u32 v11, v8, 16, 1
	v_add3_u32 v11, v8, v11, s20
                                        ; implicit-def: $vgpr8
; %bb.1526:                             ;   in Loop: Header=BB352_552 Depth=1
	s_andn2_saveexec_b64 s[10:11], s[4:5]
; %bb.1527:                             ;   in Loop: Header=BB352_552 Depth=1
	v_or_b32_e32 v11, 0x10000, v8
	v_cmp_eq_u32_sdwa s[4:5], v8, v33 src0_sel:WORD_0 src1_sel:DWORD
	s_nop 1
	v_cndmask_b32_e64 v11, v11, v8, s[4:5]
; %bb.1528:                             ;   in Loop: Header=BB352_552 Depth=1
	s_or_b64 exec, exec, s[10:11]
	v_bfe_u32 v8, v5, 8, 8
	v_cvt_f32_fp8_sdwa v8, v8 src0_sel:BYTE_0
	s_nop 0
	v_mul_f32_e32 v55, v19, v8
	v_and_b32_e32 v8, 0x7f800000, v55
	v_cmp_ne_u32_e64 s[4:5], s19, v8
                                        ; implicit-def: $vgpr8
	s_and_saveexec_b64 s[10:11], s[4:5]
	s_xor_b64 s[4:5], exec, s[10:11]
; %bb.1529:                             ;   in Loop: Header=BB352_552 Depth=1
	v_bfe_u32 v8, v55, 16, 1
	v_add3_u32 v8, v55, v8, s20
                                        ; implicit-def: $vgpr55
; %bb.1530:                             ;   in Loop: Header=BB352_552 Depth=1
	s_andn2_saveexec_b64 s[10:11], s[4:5]
; %bb.1531:                             ;   in Loop: Header=BB352_552 Depth=1
	v_or_b32_e32 v8, 0x10000, v55
	v_cmp_eq_u32_sdwa s[4:5], v55, v33 src0_sel:WORD_0 src1_sel:DWORD
	s_nop 1
	v_cndmask_b32_e64 v8, v8, v55, s[4:5]
; %bb.1532:                             ;   in Loop: Header=BB352_552 Depth=1
	s_or_b64 exec, exec, s[10:11]
	v_bfe_u32 v55, v5, 16, 8
	v_cvt_f32_fp8_sdwa v55, v55 src0_sel:BYTE_0
	s_nop 0
	v_mul_f32_e32 v40, v19, v55
	v_and_b32_e32 v55, 0x7f800000, v40
	v_cmp_ne_u32_e64 s[4:5], s19, v55
                                        ; implicit-def: $vgpr55
	s_and_saveexec_b64 s[10:11], s[4:5]
	s_xor_b64 s[4:5], exec, s[10:11]
; %bb.1533:                             ;   in Loop: Header=BB352_552 Depth=1
	v_bfe_u32 v55, v40, 16, 1
	v_add3_u32 v55, v40, v55, s20
                                        ; implicit-def: $vgpr40
; %bb.1534:                             ;   in Loop: Header=BB352_552 Depth=1
	s_andn2_saveexec_b64 s[10:11], s[4:5]
; %bb.1535:                             ;   in Loop: Header=BB352_552 Depth=1
	v_or_b32_e32 v55, 0x10000, v40
	v_cmp_eq_u32_sdwa s[4:5], v40, v33 src0_sel:WORD_0 src1_sel:DWORD
	s_nop 1
	v_cndmask_b32_e64 v55, v55, v40, s[4:5]
; %bb.1536:                             ;   in Loop: Header=BB352_552 Depth=1
	s_or_b64 exec, exec, s[10:11]
	v_lshrrev_b32_e32 v5, 24, v5
	v_cvt_f32_fp8_sdwa v5, v5 src0_sel:BYTE_0
	s_nop 0
	v_mul_f32_e32 v5, v19, v5
	v_and_b32_e32 v40, 0x7f800000, v5
	v_cmp_ne_u32_e64 s[4:5], s19, v40
                                        ; implicit-def: $vgpr40
	s_and_saveexec_b64 s[10:11], s[4:5]
	s_xor_b64 s[4:5], exec, s[10:11]
; %bb.1537:                             ;   in Loop: Header=BB352_552 Depth=1
	v_bfe_u32 v40, v5, 16, 1
	v_add3_u32 v40, v5, v40, s20
                                        ; implicit-def: $vgpr5
; %bb.1538:                             ;   in Loop: Header=BB352_552 Depth=1
	s_andn2_saveexec_b64 s[10:11], s[4:5]
; %bb.1539:                             ;   in Loop: Header=BB352_552 Depth=1
	v_or_b32_e32 v40, 0x10000, v5
	v_cmp_eq_u32_sdwa s[4:5], v5, v33 src0_sel:WORD_0 src1_sel:DWORD
	s_nop 1
	v_cndmask_b32_e64 v40, v40, v5, s[4:5]
; %bb.1540:                             ;   in Loop: Header=BB352_552 Depth=1
	s_or_b64 exec, exec, s[10:11]
	v_lshrrev_b32_e32 v8, 16, v8
	v_lshrrev_b32_e32 v41, 16, v11
	;; [unrolled: 1-line block ×8, first 2 shown]
	s_and_saveexec_b64 s[10:11], vcc
	s_cbranch_execz .LBB352_1542
; %bb.1541:                             ;   in Loop: Header=BB352_552 Depth=1
	v_accvgpr_read_b32 v6, a40
	v_cmp_lt_i32_e64 s[4:5], v6, v43
	v_accvgpr_read_b32 v6, a46
	s_nop 0
	v_cndmask_b32_e64 v4, 0, v4, s[4:5]
	v_cmp_lt_i32_e64 s[4:5], v6, v43
	v_accvgpr_read_b32 v6, a45
	s_nop 0
	v_cndmask_b32_e64 v5, 0, v5, s[4:5]
	;; [unrolled: 4-line block ×6, first 2 shown]
	v_cmp_lt_i32_e64 s[4:5], v6, v43
	s_nop 1
	v_cndmask_b32_e64 v11, 0, v11, s[4:5]
	v_cmp_lt_i32_e64 s[4:5], v59, v43
	s_nop 1
	v_cndmask_b32_e64 v40, 0, v40, s[4:5]
.LBB352_1542:                           ;   in Loop: Header=BB352_552 Depth=1
	s_or_b64 exec, exec, s[10:11]
	v_lshlrev_b32_e32 v4, 16, v4
	v_mul_f32_e32 v6, v34, v4
	v_and_b32_e32 v4, 0x7f800000, v6
	v_cmp_ne_u32_e64 s[4:5], s19, v4
                                        ; implicit-def: $vgpr4
	s_and_saveexec_b64 s[10:11], s[4:5]
	s_xor_b64 s[4:5], exec, s[10:11]
; %bb.1543:                             ;   in Loop: Header=BB352_552 Depth=1
	v_bfe_u32 v4, v6, 16, 1
	v_add3_u32 v4, v6, v4, s20
                                        ; implicit-def: $vgpr6
; %bb.1544:                             ;   in Loop: Header=BB352_552 Depth=1
	s_andn2_saveexec_b64 s[10:11], s[4:5]
; %bb.1545:                             ;   in Loop: Header=BB352_552 Depth=1
	v_or_b32_e32 v4, 0x10000, v6
	v_cmp_eq_u32_sdwa s[4:5], v6, v33 src0_sel:WORD_0 src1_sel:DWORD
	s_nop 1
	v_cndmask_b32_e64 v4, v4, v6, s[4:5]
; %bb.1546:                             ;   in Loop: Header=BB352_552 Depth=1
	s_or_b64 exec, exec, s[10:11]
	v_lshlrev_b32_e32 v5, 16, v5
	v_mul_f32_e32 v6, v35, v5
	v_and_b32_e32 v5, 0x7f800000, v6
	v_cmp_ne_u32_e64 s[4:5], s19, v5
                                        ; implicit-def: $vgpr5
	s_and_saveexec_b64 s[10:11], s[4:5]
	s_xor_b64 s[4:5], exec, s[10:11]
; %bb.1547:                             ;   in Loop: Header=BB352_552 Depth=1
	v_bfe_u32 v5, v6, 16, 1
	v_add3_u32 v5, v6, v5, s20
                                        ; implicit-def: $vgpr6
; %bb.1548:                             ;   in Loop: Header=BB352_552 Depth=1
	s_andn2_saveexec_b64 s[10:11], s[4:5]
; %bb.1549:                             ;   in Loop: Header=BB352_552 Depth=1
	v_or_b32_e32 v5, 0x10000, v6
	v_cmp_eq_u32_sdwa s[4:5], v6, v33 src0_sel:WORD_0 src1_sel:DWORD
	s_nop 1
	v_cndmask_b32_e64 v5, v5, v6, s[4:5]
; %bb.1550:                             ;   in Loop: Header=BB352_552 Depth=1
	s_or_b64 exec, exec, s[10:11]
	v_lshlrev_b32_e32 v6, 16, v10
	v_mul_f32_e32 v6, v36, v6
	v_and_b32_e32 v7, 0x7f800000, v6
	v_cmp_ne_u32_e64 s[4:5], s19, v7
                                        ; implicit-def: $vgpr55
	s_and_saveexec_b64 s[10:11], s[4:5]
	s_xor_b64 s[4:5], exec, s[10:11]
; %bb.1551:                             ;   in Loop: Header=BB352_552 Depth=1
	v_bfe_u32 v7, v6, 16, 1
	v_add3_u32 v55, v6, v7, s20
                                        ; implicit-def: $vgpr6
; %bb.1552:                             ;   in Loop: Header=BB352_552 Depth=1
	s_andn2_saveexec_b64 s[10:11], s[4:5]
; %bb.1553:                             ;   in Loop: Header=BB352_552 Depth=1
	v_or_b32_e32 v7, 0x10000, v6
	v_cmp_eq_u32_sdwa s[4:5], v6, v33 src0_sel:WORD_0 src1_sel:DWORD
	s_nop 1
	v_cndmask_b32_e64 v55, v7, v6, s[4:5]
; %bb.1554:                             ;   in Loop: Header=BB352_552 Depth=1
	s_or_b64 exec, exec, s[10:11]
	v_lshlrev_b32_e32 v6, 16, v42
	v_mul_f32_e32 v7, v37, v6
	v_and_b32_e32 v6, 0x7f800000, v7
	v_cmp_ne_u32_e64 s[4:5], s19, v6
                                        ; implicit-def: $vgpr6
	s_and_saveexec_b64 s[10:11], s[4:5]
	s_xor_b64 s[4:5], exec, s[10:11]
; %bb.1555:                             ;   in Loop: Header=BB352_552 Depth=1
	v_bfe_u32 v6, v7, 16, 1
	v_add3_u32 v6, v7, v6, s20
                                        ; implicit-def: $vgpr7
; %bb.1556:                             ;   in Loop: Header=BB352_552 Depth=1
	s_andn2_saveexec_b64 s[10:11], s[4:5]
; %bb.1557:                             ;   in Loop: Header=BB352_552 Depth=1
	v_or_b32_e32 v6, 0x10000, v7
	v_cmp_eq_u32_sdwa s[4:5], v7, v33 src0_sel:WORD_0 src1_sel:DWORD
	s_nop 1
	v_cndmask_b32_e64 v6, v6, v7, s[4:5]
; %bb.1558:                             ;   in Loop: Header=BB352_552 Depth=1
	s_or_b64 exec, exec, s[10:11]
	v_lshlrev_b32_e32 v7, 16, v41
	v_mul_f32_e32 v10, v38, v7
	v_and_b32_e32 v7, 0x7f800000, v10
	v_cmp_ne_u32_e64 s[4:5], s19, v7
                                        ; implicit-def: $vgpr7
	s_and_saveexec_b64 s[10:11], s[4:5]
	s_xor_b64 s[4:5], exec, s[10:11]
; %bb.1559:                             ;   in Loop: Header=BB352_552 Depth=1
	v_bfe_u32 v7, v10, 16, 1
	v_add3_u32 v7, v10, v7, s20
                                        ; implicit-def: $vgpr10
; %bb.1560:                             ;   in Loop: Header=BB352_552 Depth=1
	s_andn2_saveexec_b64 s[10:11], s[4:5]
; %bb.1561:                             ;   in Loop: Header=BB352_552 Depth=1
	v_or_b32_e32 v7, 0x10000, v10
	v_cmp_eq_u32_sdwa s[4:5], v10, v33 src0_sel:WORD_0 src1_sel:DWORD
	s_nop 1
	v_cndmask_b32_e64 v7, v7, v10, s[4:5]
; %bb.1562:                             ;   in Loop: Header=BB352_552 Depth=1
	s_or_b64 exec, exec, s[10:11]
	v_lshlrev_b32_e32 v8, 16, v8
	v_mul_f32_e32 v8, v39, v8
	v_and_b32_e32 v10, 0x7f800000, v8
	v_cmp_ne_u32_e64 s[4:5], s19, v10
                                        ; implicit-def: $vgpr10
	s_and_saveexec_b64 s[10:11], s[4:5]
	s_xor_b64 s[4:5], exec, s[10:11]
; %bb.1563:                             ;   in Loop: Header=BB352_552 Depth=1
	v_bfe_u32 v10, v8, 16, 1
	v_add3_u32 v10, v8, v10, s20
                                        ; implicit-def: $vgpr8
; %bb.1564:                             ;   in Loop: Header=BB352_552 Depth=1
	s_andn2_saveexec_b64 s[10:11], s[4:5]
; %bb.1565:                             ;   in Loop: Header=BB352_552 Depth=1
	v_or_b32_e32 v10, 0x10000, v8
	v_cmp_eq_u32_sdwa s[4:5], v8, v33 src0_sel:WORD_0 src1_sel:DWORD
	s_nop 1
	v_cndmask_b32_e64 v10, v10, v8, s[4:5]
; %bb.1566:                             ;   in Loop: Header=BB352_552 Depth=1
	s_or_b64 exec, exec, s[10:11]
	v_lshlrev_b32_e32 v8, 16, v11
	v_mul_f32_e32 v8, v48, v8
	v_and_b32_e32 v11, 0x7f800000, v8
	v_cmp_ne_u32_e64 s[4:5], s19, v11
                                        ; implicit-def: $vgpr11
	s_and_saveexec_b64 s[10:11], s[4:5]
	s_xor_b64 s[4:5], exec, s[10:11]
; %bb.1567:                             ;   in Loop: Header=BB352_552 Depth=1
	v_bfe_u32 v11, v8, 16, 1
	v_add3_u32 v11, v8, v11, s20
                                        ; implicit-def: $vgpr8
; %bb.1568:                             ;   in Loop: Header=BB352_552 Depth=1
	s_andn2_saveexec_b64 s[10:11], s[4:5]
; %bb.1569:                             ;   in Loop: Header=BB352_552 Depth=1
	v_or_b32_e32 v11, 0x10000, v8
	v_cmp_eq_u32_sdwa s[4:5], v8, v33 src0_sel:WORD_0 src1_sel:DWORD
	s_nop 1
	v_cndmask_b32_e64 v11, v11, v8, s[4:5]
; %bb.1570:                             ;   in Loop: Header=BB352_552 Depth=1
	s_or_b64 exec, exec, s[10:11]
	v_lshlrev_b32_e32 v8, 16, v40
	v_mul_f32_e32 v8, v49, v8
	v_and_b32_e32 v40, 0x7f800000, v8
	v_cmp_ne_u32_e64 s[4:5], s19, v40
                                        ; implicit-def: $vgpr40
	s_and_saveexec_b64 s[10:11], s[4:5]
	s_xor_b64 s[4:5], exec, s[10:11]
; %bb.1571:                             ;   in Loop: Header=BB352_552 Depth=1
	v_bfe_u32 v40, v8, 16, 1
	v_add3_u32 v40, v8, v40, s20
                                        ; implicit-def: $vgpr8
; %bb.1572:                             ;   in Loop: Header=BB352_552 Depth=1
	s_andn2_saveexec_b64 s[10:11], s[4:5]
; %bb.1573:                             ;   in Loop: Header=BB352_552 Depth=1
	v_or_b32_e32 v40, 0x10000, v8
	v_cmp_eq_u32_sdwa s[4:5], v8, v33 src0_sel:WORD_0 src1_sel:DWORD
	s_nop 1
	v_cndmask_b32_e64 v40, v40, v8, s[4:5]
; %bb.1574:                             ;   in Loop: Header=BB352_552 Depth=1
	s_or_b64 exec, exec, s[10:11]
	scratch_load_dwordx2 v[56:57], off, s32 offset:448 ; 8-byte Folded Reload
	s_waitcnt vmcnt(0)
	v_lshl_add_u64 v[2:3], v[2:3], 0, v[56:57]
	flat_load_dwordx2 v[2:3], v[2:3]
	s_waitcnt vmcnt(0) lgkmcnt(0)
	v_and_b32_e32 v8, 0xff, v2
	v_cvt_f32_fp8_sdwa v8, v8 src0_sel:BYTE_0
	s_nop 0
	v_mul_f32_e32 v8, v19, v8
	v_and_b32_e32 v41, 0x7f800000, v8
	v_cmp_ne_u32_e64 s[4:5], s19, v41
                                        ; implicit-def: $vgpr41
	s_and_saveexec_b64 s[10:11], s[4:5]
	s_xor_b64 s[4:5], exec, s[10:11]
; %bb.1575:                             ;   in Loop: Header=BB352_552 Depth=1
	v_bfe_u32 v41, v8, 16, 1
	v_add3_u32 v41, v8, v41, s20
                                        ; implicit-def: $vgpr8
; %bb.1576:                             ;   in Loop: Header=BB352_552 Depth=1
	s_andn2_saveexec_b64 s[10:11], s[4:5]
; %bb.1577:                             ;   in Loop: Header=BB352_552 Depth=1
	v_or_b32_e32 v41, 0x10000, v8
	v_cmp_eq_u32_sdwa s[4:5], v8, v33 src0_sel:WORD_0 src1_sel:DWORD
	s_nop 1
	v_cndmask_b32_e64 v41, v41, v8, s[4:5]
; %bb.1578:                             ;   in Loop: Header=BB352_552 Depth=1
	s_or_b64 exec, exec, s[10:11]
	v_bfe_u32 v8, v2, 8, 8
	v_cvt_f32_fp8_sdwa v8, v8 src0_sel:BYTE_0
	s_nop 0
	v_mul_f32_e32 v42, v19, v8
	v_and_b32_e32 v8, 0x7f800000, v42
	v_cmp_ne_u32_e64 s[4:5], s19, v8
                                        ; implicit-def: $vgpr8
	s_and_saveexec_b64 s[10:11], s[4:5]
	s_xor_b64 s[4:5], exec, s[10:11]
; %bb.1579:                             ;   in Loop: Header=BB352_552 Depth=1
	v_bfe_u32 v8, v42, 16, 1
	v_add3_u32 v8, v42, v8, s20
                                        ; implicit-def: $vgpr42
; %bb.1580:                             ;   in Loop: Header=BB352_552 Depth=1
	s_andn2_saveexec_b64 s[10:11], s[4:5]
; %bb.1581:                             ;   in Loop: Header=BB352_552 Depth=1
	v_or_b32_e32 v8, 0x10000, v42
	v_cmp_eq_u32_sdwa s[4:5], v42, v33 src0_sel:WORD_0 src1_sel:DWORD
	s_nop 1
	v_cndmask_b32_e64 v8, v8, v42, s[4:5]
; %bb.1582:                             ;   in Loop: Header=BB352_552 Depth=1
	s_or_b64 exec, exec, s[10:11]
	v_bfe_u32 v42, v2, 16, 8
	v_cvt_f32_fp8_sdwa v42, v42 src0_sel:BYTE_0
                                        ; implicit-def: $vgpr58
	s_nop 0
	v_mul_f32_e32 v42, v19, v42
	v_and_b32_e32 v44, 0x7f800000, v42
	v_cmp_ne_u32_e64 s[4:5], s19, v44
	s_and_saveexec_b64 s[10:11], s[4:5]
	s_xor_b64 s[4:5], exec, s[10:11]
; %bb.1583:                             ;   in Loop: Header=BB352_552 Depth=1
	v_bfe_u32 v44, v42, 16, 1
	v_add3_u32 v58, v42, v44, s20
                                        ; implicit-def: $vgpr42
; %bb.1584:                             ;   in Loop: Header=BB352_552 Depth=1
	s_andn2_saveexec_b64 s[10:11], s[4:5]
; %bb.1585:                             ;   in Loop: Header=BB352_552 Depth=1
	v_or_b32_e32 v44, 0x10000, v42
	v_cmp_eq_u32_sdwa s[4:5], v42, v33 src0_sel:WORD_0 src1_sel:DWORD
	s_nop 1
	v_cndmask_b32_e64 v58, v44, v42, s[4:5]
; %bb.1586:                             ;   in Loop: Header=BB352_552 Depth=1
	s_or_b64 exec, exec, s[10:11]
	v_lshrrev_b32_e32 v2, 24, v2
	v_cvt_f32_fp8_sdwa v2, v2 src0_sel:BYTE_0
	s_nop 0
	v_mul_f32_e32 v42, v19, v2
	v_and_b32_e32 v2, 0x7f800000, v42
	v_cmp_ne_u32_e64 s[4:5], s19, v2
                                        ; implicit-def: $vgpr2
	s_and_saveexec_b64 s[10:11], s[4:5]
	s_xor_b64 s[4:5], exec, s[10:11]
; %bb.1587:                             ;   in Loop: Header=BB352_552 Depth=1
	v_bfe_u32 v2, v42, 16, 1
	v_add3_u32 v2, v42, v2, s20
                                        ; implicit-def: $vgpr42
; %bb.1588:                             ;   in Loop: Header=BB352_552 Depth=1
	s_andn2_saveexec_b64 s[10:11], s[4:5]
; %bb.1589:                             ;   in Loop: Header=BB352_552 Depth=1
	v_or_b32_e32 v2, 0x10000, v42
	v_cmp_eq_u32_sdwa s[4:5], v42, v33 src0_sel:WORD_0 src1_sel:DWORD
	s_nop 1
	v_cndmask_b32_e64 v2, v2, v42, s[4:5]
; %bb.1590:                             ;   in Loop: Header=BB352_552 Depth=1
	s_or_b64 exec, exec, s[10:11]
	v_and_b32_e32 v42, 0xff, v3
	v_cvt_f32_fp8_sdwa v42, v42 src0_sel:BYTE_0
                                        ; implicit-def: $vgpr56
	s_nop 0
	v_mul_f32_e32 v42, v19, v42
	v_and_b32_e32 v44, 0x7f800000, v42
	v_cmp_ne_u32_e64 s[4:5], s19, v44
	s_and_saveexec_b64 s[10:11], s[4:5]
	s_xor_b64 s[4:5], exec, s[10:11]
; %bb.1591:                             ;   in Loop: Header=BB352_552 Depth=1
	v_bfe_u32 v44, v42, 16, 1
	v_add3_u32 v56, v42, v44, s20
                                        ; implicit-def: $vgpr42
; %bb.1592:                             ;   in Loop: Header=BB352_552 Depth=1
	s_andn2_saveexec_b64 s[10:11], s[4:5]
; %bb.1593:                             ;   in Loop: Header=BB352_552 Depth=1
	v_or_b32_e32 v44, 0x10000, v42
	v_cmp_eq_u32_sdwa s[4:5], v42, v33 src0_sel:WORD_0 src1_sel:DWORD
	s_nop 1
	v_cndmask_b32_e64 v56, v44, v42, s[4:5]
; %bb.1594:                             ;   in Loop: Header=BB352_552 Depth=1
	s_or_b64 exec, exec, s[10:11]
	v_bfe_u32 v42, v3, 8, 8
	v_cvt_f32_fp8_sdwa v42, v42 src0_sel:BYTE_0
	s_nop 0
	v_mul_f32_e32 v44, v19, v42
	v_and_b32_e32 v42, 0x7f800000, v44
	v_cmp_ne_u32_e64 s[4:5], s19, v42
                                        ; implicit-def: $vgpr42
	s_and_saveexec_b64 s[10:11], s[4:5]
	s_xor_b64 s[4:5], exec, s[10:11]
; %bb.1595:                             ;   in Loop: Header=BB352_552 Depth=1
	v_bfe_u32 v42, v44, 16, 1
	v_add3_u32 v42, v44, v42, s20
                                        ; implicit-def: $vgpr44
; %bb.1596:                             ;   in Loop: Header=BB352_552 Depth=1
	s_andn2_saveexec_b64 s[10:11], s[4:5]
; %bb.1597:                             ;   in Loop: Header=BB352_552 Depth=1
	v_or_b32_e32 v42, 0x10000, v44
	v_cmp_eq_u32_sdwa s[4:5], v44, v33 src0_sel:WORD_0 src1_sel:DWORD
	s_nop 1
	v_cndmask_b32_e64 v42, v42, v44, s[4:5]
; %bb.1598:                             ;   in Loop: Header=BB352_552 Depth=1
	s_or_b64 exec, exec, s[10:11]
	v_bfe_u32 v44, v3, 16, 8
	v_cvt_f32_fp8_sdwa v44, v44 src0_sel:BYTE_0
	s_nop 0
	v_mul_f32_e32 v44, v19, v44
	v_and_b32_e32 v57, 0x7f800000, v44
	v_cmp_ne_u32_e64 s[4:5], s19, v57
                                        ; implicit-def: $vgpr57
	s_and_saveexec_b64 s[10:11], s[4:5]
	s_xor_b64 s[4:5], exec, s[10:11]
; %bb.1599:                             ;   in Loop: Header=BB352_552 Depth=1
	v_bfe_u32 v57, v44, 16, 1
	v_add3_u32 v57, v44, v57, s20
                                        ; implicit-def: $vgpr44
; %bb.1600:                             ;   in Loop: Header=BB352_552 Depth=1
	s_andn2_saveexec_b64 s[10:11], s[4:5]
; %bb.1601:                             ;   in Loop: Header=BB352_552 Depth=1
	v_or_b32_e32 v57, 0x10000, v44
	v_cmp_eq_u32_sdwa s[4:5], v44, v33 src0_sel:WORD_0 src1_sel:DWORD
	s_nop 1
	v_cndmask_b32_e64 v57, v57, v44, s[4:5]
; %bb.1602:                             ;   in Loop: Header=BB352_552 Depth=1
	s_or_b64 exec, exec, s[10:11]
	v_lshrrev_b32_e32 v3, 24, v3
	v_cvt_f32_fp8_sdwa v3, v3 src0_sel:BYTE_0
	s_nop 0
	v_mul_f32_e32 v3, v19, v3
	v_and_b32_e32 v44, 0x7f800000, v3
	v_cmp_ne_u32_e64 s[4:5], s19, v44
                                        ; implicit-def: $vgpr44
	s_and_saveexec_b64 s[10:11], s[4:5]
	s_xor_b64 s[4:5], exec, s[10:11]
; %bb.1603:                             ;   in Loop: Header=BB352_552 Depth=1
	v_bfe_u32 v44, v3, 16, 1
	v_add3_u32 v44, v3, v44, s20
                                        ; implicit-def: $vgpr3
; %bb.1604:                             ;   in Loop: Header=BB352_552 Depth=1
	s_andn2_saveexec_b64 s[10:11], s[4:5]
; %bb.1605:                             ;   in Loop: Header=BB352_552 Depth=1
	v_or_b32_e32 v44, 0x10000, v3
	v_cmp_eq_u32_sdwa s[4:5], v3, v33 src0_sel:WORD_0 src1_sel:DWORD
	s_nop 1
	v_cndmask_b32_e64 v44, v44, v3, s[4:5]
; %bb.1606:                             ;   in Loop: Header=BB352_552 Depth=1
	s_or_b64 exec, exec, s[10:11]
	v_lshrrev_b32_e32 v42, 16, v42
	v_lshrrev_b32_e32 v56, 16, v56
	;; [unrolled: 1-line block ×8, first 2 shown]
	s_and_saveexec_b64 s[4:5], vcc
	s_cbranch_execz .LBB352_1608
; %bb.1607:                             ;   in Loop: Header=BB352_552 Depth=1
	v_accvgpr_read_b32 v44, a40
	v_cmp_lt_i32_e32 vcc, v44, v43
	v_accvgpr_read_b32 v44, a46
	s_nop 0
	v_cndmask_b32_e32 v2, 0, v2, vcc
	v_cmp_lt_i32_e32 vcc, v44, v43
	v_accvgpr_read_b32 v44, a45
	s_nop 0
	v_cndmask_b32_e32 v3, 0, v3, vcc
	;; [unrolled: 4-line block ×6, first 2 shown]
	v_cmp_lt_i32_e32 vcc, v44, v43
	s_nop 1
	v_cndmask_b32_e32 v8, 0, v8, vcc
	v_cmp_lt_i32_e32 vcc, v59, v43
	s_nop 1
	v_cndmask_b32_e32 v41, 0, v41, vcc
.LBB352_1608:                           ;   in Loop: Header=BB352_552 Depth=1
	s_or_b64 exec, exec, s[4:5]
	v_lshlrev_b32_e32 v2, 16, v2
	v_mul_f32_e32 v34, v34, v2
	v_and_b32_e32 v2, 0x7f800000, v34
	v_cmp_ne_u32_e32 vcc, s19, v2
                                        ; implicit-def: $vgpr2
	s_and_saveexec_b64 s[4:5], vcc
	s_xor_b64 s[4:5], exec, s[4:5]
; %bb.1609:                             ;   in Loop: Header=BB352_552 Depth=1
	v_bfe_u32 v2, v34, 16, 1
	v_add3_u32 v2, v34, v2, s20
                                        ; implicit-def: $vgpr34
; %bb.1610:                             ;   in Loop: Header=BB352_552 Depth=1
	s_andn2_saveexec_b64 s[4:5], s[4:5]
; %bb.1611:                             ;   in Loop: Header=BB352_552 Depth=1
	v_or_b32_e32 v2, 0x10000, v34
	v_cmp_eq_u32_sdwa vcc, v34, v33 src0_sel:WORD_0 src1_sel:DWORD
	s_nop 1
	v_cndmask_b32_e32 v2, v2, v34, vcc
; %bb.1612:                             ;   in Loop: Header=BB352_552 Depth=1
	s_or_b64 exec, exec, s[4:5]
	v_lshlrev_b32_e32 v3, 16, v3
	v_mul_f32_e32 v34, v35, v3
	v_and_b32_e32 v3, 0x7f800000, v34
	v_cmp_ne_u32_e32 vcc, s19, v3
                                        ; implicit-def: $vgpr3
	s_and_saveexec_b64 s[4:5], vcc
	s_xor_b64 s[4:5], exec, s[4:5]
; %bb.1613:                             ;   in Loop: Header=BB352_552 Depth=1
	v_bfe_u32 v3, v34, 16, 1
	v_add3_u32 v3, v34, v3, s20
                                        ; implicit-def: $vgpr34
; %bb.1614:                             ;   in Loop: Header=BB352_552 Depth=1
	s_andn2_saveexec_b64 s[4:5], s[4:5]
; %bb.1615:                             ;   in Loop: Header=BB352_552 Depth=1
	v_or_b32_e32 v3, 0x10000, v34
	v_cmp_eq_u32_sdwa vcc, v34, v33 src0_sel:WORD_0 src1_sel:DWORD
	s_nop 1
	v_cndmask_b32_e32 v3, v3, v34, vcc
; %bb.1616:                             ;   in Loop: Header=BB352_552 Depth=1
	s_or_b64 exec, exec, s[4:5]
	v_lshlrev_b32_e32 v34, 16, v58
	v_mul_f32_e32 v35, v36, v34
	v_and_b32_e32 v34, 0x7f800000, v35
	v_cmp_ne_u32_e32 vcc, s19, v34
                                        ; implicit-def: $vgpr34
	s_and_saveexec_b64 s[4:5], vcc
	s_xor_b64 s[4:5], exec, s[4:5]
; %bb.1617:                             ;   in Loop: Header=BB352_552 Depth=1
	v_bfe_u32 v34, v35, 16, 1
	v_add3_u32 v34, v35, v34, s20
                                        ; implicit-def: $vgpr35
; %bb.1618:                             ;   in Loop: Header=BB352_552 Depth=1
	s_andn2_saveexec_b64 s[4:5], s[4:5]
; %bb.1619:                             ;   in Loop: Header=BB352_552 Depth=1
	v_or_b32_e32 v34, 0x10000, v35
	v_cmp_eq_u32_sdwa vcc, v35, v33 src0_sel:WORD_0 src1_sel:DWORD
	s_nop 1
	v_cndmask_b32_e32 v34, v34, v35, vcc
; %bb.1620:                             ;   in Loop: Header=BB352_552 Depth=1
	s_or_b64 exec, exec, s[4:5]
	v_lshlrev_b32_e32 v35, 16, v60
	v_mul_f32_e32 v36, v37, v35
	v_and_b32_e32 v35, 0x7f800000, v36
	v_cmp_ne_u32_e32 vcc, s19, v35
                                        ; implicit-def: $vgpr35
	s_and_saveexec_b64 s[4:5], vcc
	s_xor_b64 s[4:5], exec, s[4:5]
; %bb.1621:                             ;   in Loop: Header=BB352_552 Depth=1
	v_bfe_u32 v35, v36, 16, 1
	v_add3_u32 v35, v36, v35, s20
                                        ; implicit-def: $vgpr36
; %bb.1622:                             ;   in Loop: Header=BB352_552 Depth=1
	s_andn2_saveexec_b64 s[4:5], s[4:5]
; %bb.1623:                             ;   in Loop: Header=BB352_552 Depth=1
	v_or_b32_e32 v35, 0x10000, v36
	v_cmp_eq_u32_sdwa vcc, v36, v33 src0_sel:WORD_0 src1_sel:DWORD
	s_nop 1
	v_cndmask_b32_e32 v35, v35, v36, vcc
; %bb.1624:                             ;   in Loop: Header=BB352_552 Depth=1
	s_or_b64 exec, exec, s[4:5]
	v_lshlrev_b32_e32 v36, 16, v56
	v_mul_f32_e32 v37, v38, v36
	v_and_b32_e32 v36, 0x7f800000, v37
	v_cmp_ne_u32_e32 vcc, s19, v36
                                        ; implicit-def: $vgpr36
	s_and_saveexec_b64 s[4:5], vcc
	s_xor_b64 s[4:5], exec, s[4:5]
; %bb.1625:                             ;   in Loop: Header=BB352_552 Depth=1
	v_bfe_u32 v36, v37, 16, 1
	v_add3_u32 v36, v37, v36, s20
                                        ; implicit-def: $vgpr37
; %bb.1626:                             ;   in Loop: Header=BB352_552 Depth=1
	s_andn2_saveexec_b64 s[4:5], s[4:5]
; %bb.1627:                             ;   in Loop: Header=BB352_552 Depth=1
	v_or_b32_e32 v36, 0x10000, v37
	v_cmp_eq_u32_sdwa vcc, v37, v33 src0_sel:WORD_0 src1_sel:DWORD
	s_nop 1
	v_cndmask_b32_e32 v36, v36, v37, vcc
; %bb.1628:                             ;   in Loop: Header=BB352_552 Depth=1
	s_or_b64 exec, exec, s[4:5]
	v_lshlrev_b32_e32 v37, 16, v42
	v_mul_f32_e32 v38, v39, v37
	v_and_b32_e32 v37, 0x7f800000, v38
	v_cmp_ne_u32_e32 vcc, s19, v37
                                        ; implicit-def: $vgpr37
	s_and_saveexec_b64 s[4:5], vcc
	s_xor_b64 s[4:5], exec, s[4:5]
; %bb.1629:                             ;   in Loop: Header=BB352_552 Depth=1
	v_bfe_u32 v37, v38, 16, 1
	v_add3_u32 v37, v38, v37, s20
                                        ; implicit-def: $vgpr38
; %bb.1630:                             ;   in Loop: Header=BB352_552 Depth=1
	s_andn2_saveexec_b64 s[4:5], s[4:5]
; %bb.1631:                             ;   in Loop: Header=BB352_552 Depth=1
	v_or_b32_e32 v37, 0x10000, v38
	v_cmp_eq_u32_sdwa vcc, v38, v33 src0_sel:WORD_0 src1_sel:DWORD
	s_nop 1
	v_cndmask_b32_e32 v37, v37, v38, vcc
; %bb.1632:                             ;   in Loop: Header=BB352_552 Depth=1
	s_or_b64 exec, exec, s[4:5]
	v_lshlrev_b32_e32 v8, 16, v8
	v_mul_f32_e32 v8, v48, v8
	v_and_b32_e32 v38, 0x7f800000, v8
	v_cmp_ne_u32_e32 vcc, s19, v38
                                        ; implicit-def: $vgpr38
	s_and_saveexec_b64 s[4:5], vcc
	s_xor_b64 s[4:5], exec, s[4:5]
; %bb.1633:                             ;   in Loop: Header=BB352_552 Depth=1
	v_bfe_u32 v38, v8, 16, 1
	v_add3_u32 v38, v8, v38, s20
                                        ; implicit-def: $vgpr8
; %bb.1634:                             ;   in Loop: Header=BB352_552 Depth=1
	s_andn2_saveexec_b64 s[4:5], s[4:5]
; %bb.1635:                             ;   in Loop: Header=BB352_552 Depth=1
	v_or_b32_e32 v38, 0x10000, v8
	v_cmp_eq_u32_sdwa vcc, v8, v33 src0_sel:WORD_0 src1_sel:DWORD
	s_nop 1
	v_cndmask_b32_e32 v38, v38, v8, vcc
; %bb.1636:                             ;   in Loop: Header=BB352_552 Depth=1
	s_or_b64 exec, exec, s[4:5]
	v_lshlrev_b32_e32 v8, 16, v41
	v_mul_f32_e32 v8, v49, v8
	v_and_b32_e32 v39, 0x7f800000, v8
	v_cmp_ne_u32_e32 vcc, s19, v39
                                        ; implicit-def: $vgpr39
	s_and_saveexec_b64 s[4:5], vcc
	s_xor_b64 s[4:5], exec, s[4:5]
; %bb.1637:                             ;   in Loop: Header=BB352_552 Depth=1
	v_bfe_u32 v39, v8, 16, 1
	v_add3_u32 v39, v8, v39, s20
                                        ; implicit-def: $vgpr8
; %bb.1638:                             ;   in Loop: Header=BB352_552 Depth=1
	s_andn2_saveexec_b64 s[4:5], s[4:5]
	s_cbranch_execz .LBB352_551
; %bb.1639:                             ;   in Loop: Header=BB352_552 Depth=1
	v_or_b32_e32 v39, 0x10000, v8
	v_cmp_eq_u32_sdwa vcc, v8, v33 src0_sel:WORD_0 src1_sel:DWORD
	s_nop 1
	v_cndmask_b32_e32 v39, v39, v8, vcc
	s_branch .LBB352_551
.LBB352_1640:
	s_or_b64 exec, exec, s[8:9]
	scratch_load_dword v32, off, s32 offset:468 ; 4-byte Folded Reload
	scratch_load_dword v33, off, s32 offset:464 ; 4-byte Folded Reload
	scratch_load_dword v34, off, s32 offset:456 ; 4-byte Folded Reload
	scratch_load_dword v35, off, s32 offset:460 ; 4-byte Folded Reload
.LBB352_1641:
	s_or_b64 exec, exec, s[6:7]
	s_waitcnt vmcnt(1)
	ds_bpermute_b32 v2, v34, v28
	ds_bpermute_b32 v3, v34, v29
	;; [unrolled: 1-line block ×4, first 2 shown]
	s_waitcnt lgkmcnt(0)
	s_barrier
	v_pk_add_f32 v[2:3], v[28:29], v[2:3]
	s_waitcnt vmcnt(0)
	ds_bpermute_b32 v8, v35, v2
	ds_bpermute_b32 v9, v35, v3
	v_pk_add_f32 v[14:15], v[14:15], v[10:11]
	s_waitcnt lgkmcnt(0)
	ds_bpermute_b32 v0, v34, v30
	ds_bpermute_b32 v1, v34, v31
	v_pk_add_f32 v[22:23], v[2:3], v[8:9]
	ds_bpermute_b32 v2, v34, v20
	ds_bpermute_b32 v3, v34, v21
	;; [unrolled: 1-line block ×3, first 2 shown]
	s_waitcnt lgkmcnt(3)
	v_pk_add_f32 v[0:1], v[30:31], v[0:1]
	ds_bpermute_b32 v4, v35, v0
	ds_bpermute_b32 v5, v35, v1
	s_waitcnt lgkmcnt(3)
	v_pk_add_f32 v[2:3], v[20:21], v[2:3]
	ds_bpermute_b32 v8, v35, v2
	ds_bpermute_b32 v9, v35, v3
	;; [unrolled: 1-line block ×5, first 2 shown]
	s_waitcnt lgkmcnt(5)
	v_pk_add_f32 v[28:29], v[0:1], v[4:5]
	s_waitcnt lgkmcnt(3)
	v_pk_add_f32 v[8:9], v[2:3], v[8:9]
	;; [unrolled: 2-line block ×3, first 2 shown]
	scratch_load_dword v14, off, s32 offset:832 ; 4-byte Folded Reload
	s_waitcnt lgkmcnt(0)
	v_pk_add_f32 v[0:1], v[26:27], v[6:7]
	ds_bpermute_b32 v4, v35, v0
	ds_bpermute_b32 v5, v35, v1
	;; [unrolled: 1-line block ×4, first 2 shown]
	s_waitcnt lgkmcnt(2)
	v_pk_add_f32 v[18:19], v[0:1], v[4:5]
	s_waitcnt lgkmcnt(0)
	v_pk_add_f32 v[0:1], v[24:25], v[6:7]
	ds_bpermute_b32 v6, v34, v16
	ds_bpermute_b32 v7, v34, v17
	;; [unrolled: 1-line block ×6, first 2 shown]
	s_waitcnt lgkmcnt(4)
	v_pk_add_f32 v[6:7], v[16:17], v[6:7]
	ds_bpermute_b32 v16, v35, v6
	ds_bpermute_b32 v17, v35, v7
	s_waitcnt lgkmcnt(4)
	v_pk_add_f32 v[10:11], v[0:1], v[4:5]
	s_waitcnt lgkmcnt(2)
	v_pk_add_f32 v[4:5], v[12:13], v[24:25]
	ds_bpermute_b32 v12, v35, v4
	ds_bpermute_b32 v13, v35, v5
	s_waitcnt lgkmcnt(2)
	v_pk_add_f32 v[6:7], v[6:7], v[16:17]
	s_waitcnt vmcnt(0)
	v_and_b32_e32 v0, 0x3c3, v14
	v_cmp_ne_u32_e32 vcc, 64, v0
	s_and_saveexec_b64 s[4:5], vcc
	s_xor_b64 s[4:5], exec, s[4:5]
; %bb.1642:
                                        ; implicit-def: $vgpr33
; %bb.1643:
	s_or_saveexec_b64 s[4:5], s[4:5]
	s_waitcnt lgkmcnt(0)
	v_pk_add_f32 v[4:5], v[4:5], v[12:13]
	s_xor_b64 exec, exec, s[4:5]
	s_cbranch_execz .LBB352_1645
; %bb.1644:
	s_ashr_i32 s19, s18, 31
	s_lshl_b64 s[6:7], s[18:19], 2
	s_getpc_b64 s[8:9]
	s_add_u32 s8, s8, llvm.amdgcn.dynlds.offset.table@rel32@lo+4
	s_addc_u32 s9, s9, llvm.amdgcn.dynlds.offset.table@rel32@hi+12
	s_add_u32 s6, s6, s8
	s_addc_u32 s7, s7, s9
	s_load_dword s6, s[6:7], 0x0
	s_waitcnt lgkmcnt(0)
	v_add_u32_e32 v0, s6, v33
	ds_write2_b32 v0, v28, v29 offset1:16
	ds_write2_b32 v0, v22, v23 offset0:32 offset1:48
	ds_write2_b32 v0, v18, v19 offset0:64 offset1:80
	;; [unrolled: 1-line block ×7, first 2 shown]
.LBB352_1645:
	s_or_b64 exec, exec, s[4:5]
	s_waitcnt lgkmcnt(0)
	s_barrier
	s_and_saveexec_b64 s[4:5], s[2:3]
	s_xor_b64 s[2:3], exec, s[4:5]
	s_andn2_saveexec_b64 s[2:3], s[2:3]
	s_cbranch_execz .LBB352_1664
; %bb.1646:
	v_cmp_eq_u32_e32 vcc, 0, v32
	v_lshrrev_b32_e32 v0, 2, v14
	s_and_saveexec_b64 s[4:5], vcc
	s_cbranch_execnz .LBB352_1732
; %bb.1647:
	s_or_b64 exec, exec, s[4:5]
	s_and_saveexec_b64 s[4:5], vcc
	s_cbranch_execnz .LBB352_1733
.LBB352_1648:
	s_or_b64 exec, exec, s[4:5]
	s_and_saveexec_b64 s[4:5], vcc
	s_cbranch_execnz .LBB352_1734
.LBB352_1649:
	s_or_b64 exec, exec, s[4:5]
	s_and_saveexec_b64 s[4:5], vcc
	s_cbranch_execnz .LBB352_1735
.LBB352_1650:
	s_or_b64 exec, exec, s[4:5]
	s_and_saveexec_b64 s[4:5], vcc
	s_cbranch_execnz .LBB352_1736
.LBB352_1651:
	s_or_b64 exec, exec, s[4:5]
	s_and_saveexec_b64 s[4:5], vcc
	s_cbranch_execnz .LBB352_1737
.LBB352_1652:
	s_or_b64 exec, exec, s[4:5]
	s_and_saveexec_b64 s[4:5], vcc
	s_cbranch_execnz .LBB352_1738
.LBB352_1653:
	s_or_b64 exec, exec, s[4:5]
	s_and_saveexec_b64 s[4:5], vcc
	s_cbranch_execnz .LBB352_1739
.LBB352_1654:
	s_or_b64 exec, exec, s[4:5]
	s_and_saveexec_b64 s[4:5], vcc
	s_cbranch_execnz .LBB352_1740
.LBB352_1655:
	s_or_b64 exec, exec, s[4:5]
	s_and_saveexec_b64 s[4:5], vcc
	s_cbranch_execnz .LBB352_1741
.LBB352_1656:
	s_or_b64 exec, exec, s[4:5]
	s_and_saveexec_b64 s[4:5], vcc
	s_cbranch_execnz .LBB352_1742
.LBB352_1657:
	s_or_b64 exec, exec, s[4:5]
	s_and_saveexec_b64 s[4:5], vcc
	s_cbranch_execnz .LBB352_1743
.LBB352_1658:
	s_or_b64 exec, exec, s[4:5]
	s_and_saveexec_b64 s[4:5], vcc
	s_cbranch_execnz .LBB352_1744
.LBB352_1659:
	s_or_b64 exec, exec, s[4:5]
	s_and_saveexec_b64 s[4:5], vcc
	s_cbranch_execnz .LBB352_1745
.LBB352_1660:
	s_or_b64 exec, exec, s[4:5]
	s_and_saveexec_b64 s[4:5], vcc
	s_cbranch_execnz .LBB352_1746
.LBB352_1661:
	s_or_b64 exec, exec, s[4:5]
	s_and_saveexec_b64 s[4:5], vcc
	s_cbranch_execz .LBB352_1663
.LBB352_1662:
	s_ashr_i32 s19, s18, 31
	s_lshl_b64 s[6:7], s[18:19], 2
	s_getpc_b64 s[8:9]
	s_add_u32 s8, s8, llvm.amdgcn.dynlds.offset.table@rel32@lo+4
	s_addc_u32 s9, s9, llvm.amdgcn.dynlds.offset.table@rel32@hi+12
	s_add_u32 s6, s6, s8
	s_addc_u32 s7, s7, s9
	s_load_dword s6, s[6:7], 0x0
	s_waitcnt lgkmcnt(0)
	v_lshl_add_u32 v0, v0, 2, s6
	ds_read_b32 v0, v0 offset:960
	s_waitcnt lgkmcnt(0)
	v_add_f32_e32 v5, v0, v5
.LBB352_1663:
	s_or_b64 exec, exec, s[4:5]
.LBB352_1664:
	s_or_b64 exec, exec, s[2:3]
	s_barrier
	s_and_saveexec_b64 s[2:3], s[0:1]
	s_cbranch_execz .LBB352_1731
; %bb.1665:
	v_cmp_eq_u32_e32 vcc, 0, v32
	s_and_b64 exec, exec, vcc
	s_cbranch_execz .LBB352_1731
; %bb.1666:
	s_mov_b32 s0, 0x7f800000
	v_and_b32_e32 v0, 0x7f800000, v28
	v_cmp_ne_u32_e32 vcc, s0, v0
                                        ; implicit-def: $vgpr12
	s_and_saveexec_b64 s[0:1], vcc
	s_xor_b64 s[0:1], exec, s[0:1]
; %bb.1667:
	v_bfe_u32 v0, v28, 16, 1
	s_movk_i32 s4, 0x7fff
	v_add3_u32 v12, v28, v0, s4
; %bb.1668:
	s_andn2_saveexec_b64 s[0:1], s[0:1]
; %bb.1669:
	v_mov_b32_e32 v0, 0
	v_or_b32_e32 v1, 0x10000, v28
	v_cmp_eq_u32_sdwa vcc, v28, v0 src0_sel:WORD_0 src1_sel:DWORD
	s_nop 1
	v_cndmask_b32_e32 v12, v1, v28, vcc
; %bb.1670:
	s_or_b64 exec, exec, s[0:1]
	scratch_load_dwordx2 v[0:1], off, s32 offset:836 ; 8-byte Folded Reload
	v_cmp_ne_u16_e64 s[0:1], s17, 0
	s_cmp_lg_u64 s[0:1], 0
	s_addc_u32 s4, s13, 0
	s_mul_i32 s0, s16, s4
	s_mul_i32 s0, s0, s15
	s_lshl_b32 s0, s0, 8
	s_mul_i32 s4, s12, s4
	s_lshl_b32 s6, s14, 8
	s_ashr_i32 s1, s0, 31
	s_ashr_i32 s5, s4, 31
	;; [unrolled: 1-line block ×3, first 2 shown]
	s_lshl_b64 s[0:1], s[0:1], 1
	s_lshl_b64 s[4:5], s[4:5], 1
	;; [unrolled: 1-line block ×3, first 2 shown]
	s_add_u32 s4, s6, s4
	s_addc_u32 s5, s7, s5
	s_add_u32 s0, s4, s0
	s_addc_u32 s1, s5, s1
	v_lshrrev_b32_e32 v13, 1, v14
	v_and_b32_e32 v14, 0x1fe, v13
	v_mov_b32_e32 v15, 0
	s_waitcnt vmcnt(0)
	v_lshl_add_u64 v[0:1], s[0:1], 0, v[0:1]
	v_lshl_add_u64 v[0:1], v[0:1], 0, v[14:15]
	flat_store_short_d16_hi v[0:1], v12
	s_mov_b32 s0, 0x7f800000
	v_and_b32_e32 v12, 0x7f800000, v29
	v_cmp_ne_u32_e32 vcc, s0, v12
                                        ; implicit-def: $vgpr12
	s_and_saveexec_b64 s[0:1], vcc
	s_xor_b64 s[0:1], exec, s[0:1]
; %bb.1671:
	v_bfe_u32 v12, v29, 16, 1
	s_movk_i32 s4, 0x7fff
	v_add3_u32 v12, v29, v12, s4
                                        ; implicit-def: $vgpr28_vgpr29
; %bb.1672:
	s_andn2_saveexec_b64 s[0:1], s[0:1]
; %bb.1673:
	v_mov_b32_e32 v12, 0
	v_or_b32_e32 v13, 0x10000, v29
	v_cmp_eq_u32_sdwa vcc, v29, v12 src0_sel:WORD_0 src1_sel:DWORD
	s_nop 1
	v_cndmask_b32_e32 v12, v13, v29, vcc
; %bb.1674:
	s_or_b64 exec, exec, s[0:1]
	flat_store_short_d16_hi v[0:1], v12 offset:32
	s_mov_b32 s0, 0x7f800000
	v_and_b32_e32 v12, 0x7f800000, v22
	v_cmp_ne_u32_e32 vcc, s0, v12
                                        ; implicit-def: $vgpr12
	s_and_saveexec_b64 s[0:1], vcc
	s_xor_b64 s[0:1], exec, s[0:1]
; %bb.1675:
	v_bfe_u32 v12, v22, 16, 1
	s_movk_i32 s4, 0x7fff
	v_add3_u32 v12, v22, v12, s4
; %bb.1676:
	s_andn2_saveexec_b64 s[0:1], s[0:1]
; %bb.1677:
	v_mov_b32_e32 v12, 0
	v_or_b32_e32 v13, 0x10000, v22
	v_cmp_eq_u32_sdwa vcc, v22, v12 src0_sel:WORD_0 src1_sel:DWORD
	s_nop 1
	v_cndmask_b32_e32 v12, v13, v22, vcc
; %bb.1678:
	s_or_b64 exec, exec, s[0:1]
	flat_store_short_d16_hi v[0:1], v12 offset:64
	s_mov_b32 s0, 0x7f800000
	v_and_b32_e32 v12, 0x7f800000, v23
	v_cmp_ne_u32_e32 vcc, s0, v12
                                        ; implicit-def: $vgpr12
	s_and_saveexec_b64 s[0:1], vcc
	s_xor_b64 s[0:1], exec, s[0:1]
; %bb.1679:
	v_bfe_u32 v12, v23, 16, 1
	s_movk_i32 s4, 0x7fff
	v_add3_u32 v12, v23, v12, s4
                                        ; implicit-def: $vgpr22_vgpr23
; %bb.1680:
	s_andn2_saveexec_b64 s[0:1], s[0:1]
; %bb.1681:
	v_mov_b32_e32 v12, 0
	v_or_b32_e32 v13, 0x10000, v23
	v_cmp_eq_u32_sdwa vcc, v23, v12 src0_sel:WORD_0 src1_sel:DWORD
	s_nop 1
	v_cndmask_b32_e32 v12, v13, v23, vcc
; %bb.1682:
	s_or_b64 exec, exec, s[0:1]
	flat_store_short_d16_hi v[0:1], v12 offset:96
	s_mov_b32 s0, 0x7f800000
	v_and_b32_e32 v12, 0x7f800000, v18
	v_cmp_ne_u32_e32 vcc, s0, v12
                                        ; implicit-def: $vgpr12
	s_and_saveexec_b64 s[0:1], vcc
	s_xor_b64 s[0:1], exec, s[0:1]
; %bb.1683:
	v_bfe_u32 v12, v18, 16, 1
	s_movk_i32 s4, 0x7fff
	v_add3_u32 v12, v18, v12, s4
; %bb.1684:
	s_andn2_saveexec_b64 s[0:1], s[0:1]
; %bb.1685:
	v_mov_b32_e32 v12, 0
	v_or_b32_e32 v13, 0x10000, v18
	v_cmp_eq_u32_sdwa vcc, v18, v12 src0_sel:WORD_0 src1_sel:DWORD
	s_nop 1
	v_cndmask_b32_e32 v12, v13, v18, vcc
; %bb.1686:
	s_or_b64 exec, exec, s[0:1]
	flat_store_short_d16_hi v[0:1], v12 offset:128
	s_mov_b32 s0, 0x7f800000
	v_and_b32_e32 v12, 0x7f800000, v19
	v_cmp_ne_u32_e32 vcc, s0, v12
                                        ; implicit-def: $vgpr12
	s_and_saveexec_b64 s[0:1], vcc
	s_xor_b64 s[0:1], exec, s[0:1]
; %bb.1687:
	v_bfe_u32 v12, v19, 16, 1
	s_movk_i32 s4, 0x7fff
	v_add3_u32 v12, v19, v12, s4
                                        ; implicit-def: $vgpr18_vgpr19
; %bb.1688:
	s_andn2_saveexec_b64 s[0:1], s[0:1]
; %bb.1689:
	v_mov_b32_e32 v12, 0
	v_or_b32_e32 v13, 0x10000, v19
	v_cmp_eq_u32_sdwa vcc, v19, v12 src0_sel:WORD_0 src1_sel:DWORD
	s_nop 1
	v_cndmask_b32_e32 v12, v13, v19, vcc
; %bb.1690:
	s_or_b64 exec, exec, s[0:1]
	flat_store_short_d16_hi v[0:1], v12 offset:160
	s_mov_b32 s0, 0x7f800000
	v_and_b32_e32 v12, 0x7f800000, v10
	v_cmp_ne_u32_e32 vcc, s0, v12
                                        ; implicit-def: $vgpr12
	s_and_saveexec_b64 s[0:1], vcc
	s_xor_b64 s[0:1], exec, s[0:1]
; %bb.1691:
	v_bfe_u32 v12, v10, 16, 1
	s_movk_i32 s4, 0x7fff
	v_add3_u32 v12, v10, v12, s4
; %bb.1692:
	s_andn2_saveexec_b64 s[0:1], s[0:1]
; %bb.1693:
	v_mov_b32_e32 v12, 0
	v_or_b32_e32 v13, 0x10000, v10
	v_cmp_eq_u32_sdwa vcc, v10, v12 src0_sel:WORD_0 src1_sel:DWORD
	s_nop 1
	v_cndmask_b32_e32 v12, v13, v10, vcc
; %bb.1694:
	s_or_b64 exec, exec, s[0:1]
	s_mov_b32 s0, 0x7f800000
	v_and_b32_e32 v10, 0x7f800000, v11
	v_cmp_ne_u32_e32 vcc, s0, v10
	flat_store_short_d16_hi v[0:1], v12 offset:192
                                        ; implicit-def: $vgpr12
	s_and_saveexec_b64 s[0:1], vcc
	s_xor_b64 s[0:1], exec, s[0:1]
; %bb.1695:
	v_bfe_u32 v10, v11, 16, 1
	s_movk_i32 s4, 0x7fff
	v_add3_u32 v12, v11, v10, s4
                                        ; implicit-def: $vgpr10_vgpr11
; %bb.1696:
	s_andn2_saveexec_b64 s[0:1], s[0:1]
; %bb.1697:
	v_mov_b32_e32 v10, 0
	v_or_b32_e32 v12, 0x10000, v11
	v_cmp_eq_u32_sdwa vcc, v11, v10 src0_sel:WORD_0 src1_sel:DWORD
	s_nop 1
	v_cndmask_b32_e32 v12, v12, v11, vcc
; %bb.1698:
	s_or_b64 exec, exec, s[0:1]
	s_mov_b32 s0, 0x7f800000
	v_and_b32_e32 v10, 0x7f800000, v8
	v_cmp_ne_u32_e32 vcc, s0, v10
	flat_store_short_d16_hi v[0:1], v12 offset:224
                                        ; implicit-def: $vgpr10
	s_and_saveexec_b64 s[0:1], vcc
	s_xor_b64 s[0:1], exec, s[0:1]
; %bb.1699:
	v_bfe_u32 v10, v8, 16, 1
	s_movk_i32 s4, 0x7fff
	v_add3_u32 v10, v8, v10, s4
; %bb.1700:
	s_andn2_saveexec_b64 s[0:1], s[0:1]
; %bb.1701:
	v_mov_b32_e32 v10, 0
	v_or_b32_e32 v11, 0x10000, v8
	v_cmp_eq_u32_sdwa vcc, v8, v10 src0_sel:WORD_0 src1_sel:DWORD
	s_nop 1
	v_cndmask_b32_e32 v10, v11, v8, vcc
; %bb.1702:
	s_or_b64 exec, exec, s[0:1]
	s_mov_b32 s0, 0x7f800000
	v_and_b32_e32 v8, 0x7f800000, v9
	v_cmp_ne_u32_e32 vcc, s0, v8
	flat_store_short_d16_hi v[0:1], v10 offset:256
                                        ; implicit-def: $vgpr10
	s_and_saveexec_b64 s[0:1], vcc
	s_xor_b64 s[0:1], exec, s[0:1]
; %bb.1703:
	v_bfe_u32 v8, v9, 16, 1
	s_movk_i32 s4, 0x7fff
	v_add3_u32 v10, v9, v8, s4
                                        ; implicit-def: $vgpr8_vgpr9
; %bb.1704:
	s_andn2_saveexec_b64 s[0:1], s[0:1]
; %bb.1705:
	v_mov_b32_e32 v8, 0
	v_or_b32_e32 v10, 0x10000, v9
	v_cmp_eq_u32_sdwa vcc, v9, v8 src0_sel:WORD_0 src1_sel:DWORD
	s_nop 1
	v_cndmask_b32_e32 v10, v10, v9, vcc
; %bb.1706:
	s_or_b64 exec, exec, s[0:1]
	s_mov_b32 s0, 0x7f800000
	v_and_b32_e32 v8, 0x7f800000, v6
	v_cmp_ne_u32_e32 vcc, s0, v8
	flat_store_short_d16_hi v[0:1], v10 offset:288
                                        ; implicit-def: $vgpr8
	s_and_saveexec_b64 s[0:1], vcc
	s_xor_b64 s[0:1], exec, s[0:1]
; %bb.1707:
	v_bfe_u32 v8, v6, 16, 1
	s_movk_i32 s4, 0x7fff
	v_add3_u32 v8, v6, v8, s4
; %bb.1708:
	s_andn2_saveexec_b64 s[0:1], s[0:1]
; %bb.1709:
	v_mov_b32_e32 v8, 0
	v_or_b32_e32 v9, 0x10000, v6
	v_cmp_eq_u32_sdwa vcc, v6, v8 src0_sel:WORD_0 src1_sel:DWORD
	s_nop 1
	v_cndmask_b32_e32 v8, v9, v6, vcc
; %bb.1710:
	s_or_b64 exec, exec, s[0:1]
	s_mov_b32 s0, 0x7f800000
	v_and_b32_e32 v6, 0x7f800000, v7
	v_cmp_ne_u32_e32 vcc, s0, v6
	flat_store_short_d16_hi v[0:1], v8 offset:320
                                        ; implicit-def: $vgpr8
	s_and_saveexec_b64 s[0:1], vcc
	s_xor_b64 s[0:1], exec, s[0:1]
; %bb.1711:
	v_bfe_u32 v6, v7, 16, 1
	s_movk_i32 s4, 0x7fff
	v_add3_u32 v8, v7, v6, s4
                                        ; implicit-def: $vgpr6_vgpr7
; %bb.1712:
	s_andn2_saveexec_b64 s[0:1], s[0:1]
; %bb.1713:
	v_mov_b32_e32 v6, 0
	v_or_b32_e32 v8, 0x10000, v7
	v_cmp_eq_u32_sdwa vcc, v7, v6 src0_sel:WORD_0 src1_sel:DWORD
	s_nop 1
	v_cndmask_b32_e32 v8, v8, v7, vcc
; %bb.1714:
	s_or_b64 exec, exec, s[0:1]
	s_mov_b32 s0, 0x7f800000
	v_and_b32_e32 v6, 0x7f800000, v2
	v_cmp_ne_u32_e32 vcc, s0, v6
	flat_store_short_d16_hi v[0:1], v8 offset:352
                                        ; implicit-def: $vgpr6
	s_and_saveexec_b64 s[0:1], vcc
	s_xor_b64 s[0:1], exec, s[0:1]
; %bb.1715:
	v_bfe_u32 v6, v2, 16, 1
	s_movk_i32 s4, 0x7fff
	v_add3_u32 v6, v2, v6, s4
; %bb.1716:
	s_andn2_saveexec_b64 s[0:1], s[0:1]
; %bb.1717:
	v_mov_b32_e32 v6, 0
	v_or_b32_e32 v7, 0x10000, v2
	v_cmp_eq_u32_sdwa vcc, v2, v6 src0_sel:WORD_0 src1_sel:DWORD
	s_nop 1
	v_cndmask_b32_e32 v6, v7, v2, vcc
; %bb.1718:
	s_or_b64 exec, exec, s[0:1]
	s_mov_b32 s0, 0x7f800000
	v_and_b32_e32 v2, 0x7f800000, v3
	v_cmp_ne_u32_e32 vcc, s0, v2
	flat_store_short_d16_hi v[0:1], v6 offset:384
                                        ; implicit-def: $vgpr6
	s_and_saveexec_b64 s[0:1], vcc
	s_xor_b64 s[0:1], exec, s[0:1]
; %bb.1719:
	v_bfe_u32 v2, v3, 16, 1
	s_movk_i32 s4, 0x7fff
	v_add3_u32 v6, v3, v2, s4
                                        ; implicit-def: $vgpr2_vgpr3
; %bb.1720:
	s_andn2_saveexec_b64 s[0:1], s[0:1]
; %bb.1721:
	v_mov_b32_e32 v2, 0
	v_or_b32_e32 v6, 0x10000, v3
	v_cmp_eq_u32_sdwa vcc, v3, v2 src0_sel:WORD_0 src1_sel:DWORD
	s_nop 1
	v_cndmask_b32_e32 v6, v6, v3, vcc
; %bb.1722:
	s_or_b64 exec, exec, s[0:1]
	s_mov_b32 s0, 0x7f800000
	v_and_b32_e32 v2, 0x7f800000, v4
	v_cmp_ne_u32_e32 vcc, s0, v2
	flat_store_short_d16_hi v[0:1], v6 offset:416
                                        ; implicit-def: $vgpr2
	s_and_saveexec_b64 s[0:1], vcc
	s_xor_b64 s[0:1], exec, s[0:1]
; %bb.1723:
	v_bfe_u32 v2, v4, 16, 1
	s_movk_i32 s4, 0x7fff
	v_add3_u32 v2, v4, v2, s4
; %bb.1724:
	s_andn2_saveexec_b64 s[0:1], s[0:1]
; %bb.1725:
	v_mov_b32_e32 v2, 0
	v_or_b32_e32 v3, 0x10000, v4
	v_cmp_eq_u32_sdwa vcc, v4, v2 src0_sel:WORD_0 src1_sel:DWORD
	s_nop 1
	v_cndmask_b32_e32 v2, v3, v4, vcc
; %bb.1726:
	s_or_b64 exec, exec, s[0:1]
	flat_store_short_d16_hi v[0:1], v2 offset:448
	s_mov_b32 s0, 0x7f800000
	v_and_b32_e32 v2, 0x7f800000, v5
	v_cmp_ne_u32_e32 vcc, s0, v2
                                        ; implicit-def: $vgpr2
	s_and_saveexec_b64 s[0:1], vcc
	s_xor_b64 s[0:1], exec, s[0:1]
; %bb.1727:
	v_bfe_u32 v2, v5, 16, 1
	s_movk_i32 s4, 0x7fff
	v_add3_u32 v2, v5, v2, s4
                                        ; implicit-def: $vgpr4_vgpr5
; %bb.1728:
	s_andn2_saveexec_b64 s[0:1], s[0:1]
; %bb.1729:
	v_mov_b32_e32 v2, 0
	v_or_b32_e32 v3, 0x10000, v5
	v_cmp_eq_u32_sdwa vcc, v5, v2 src0_sel:WORD_0 src1_sel:DWORD
	s_nop 1
	v_cndmask_b32_e32 v2, v3, v5, vcc
; %bb.1730:
	s_or_b64 exec, exec, s[0:1]
	flat_store_short_d16_hi v[0:1], v2 offset:480
.LBB352_1731:
	s_or_b64 exec, exec, s[2:3]
	scratch_load_dword a63, off, s32        ; 4-byte Folded Reload
	scratch_load_dword a62, off, s32 offset:4 ; 4-byte Folded Reload
	scratch_load_dword a61, off, s32 offset:8 ; 4-byte Folded Reload
	;; [unrolled: 1-line block ×46, first 2 shown]
	v_readlane_b32 s30, v63, 13
	v_readlane_b32 s31, v63, 14
	;; [unrolled: 1-line block ×15, first 2 shown]
	s_or_saveexec_b64 s[0:1], -1
	scratch_load_dword v63, off, s32 offset:904 ; 4-byte Folded Reload
	s_mov_b64 exec, s[0:1]
	s_waitcnt vmcnt(0) lgkmcnt(0)
	s_setpc_b64 s[30:31]
.LBB352_1732:
	s_ashr_i32 s19, s18, 31
	s_lshl_b64 s[6:7], s[18:19], 2
	s_getpc_b64 s[8:9]
	s_add_u32 s8, s8, llvm.amdgcn.dynlds.offset.table@rel32@lo+4
	s_addc_u32 s9, s9, llvm.amdgcn.dynlds.offset.table@rel32@hi+12
	s_add_u32 s6, s6, s8
	s_addc_u32 s7, s7, s9
	s_load_dword s6, s[6:7], 0x0
	s_waitcnt lgkmcnt(0)
	v_lshl_add_u32 v1, v0, 2, s6
	ds_read_b32 v1, v1
	s_waitcnt lgkmcnt(0)
	v_add_f32_e32 v28, v1, v28
	s_or_b64 exec, exec, s[4:5]
	s_and_saveexec_b64 s[4:5], vcc
	s_cbranch_execz .LBB352_1648
.LBB352_1733:
	s_ashr_i32 s19, s18, 31
	s_lshl_b64 s[6:7], s[18:19], 2
	s_getpc_b64 s[8:9]
	s_add_u32 s8, s8, llvm.amdgcn.dynlds.offset.table@rel32@lo+4
	s_addc_u32 s9, s9, llvm.amdgcn.dynlds.offset.table@rel32@hi+12
	s_add_u32 s6, s6, s8
	s_addc_u32 s7, s7, s9
	s_load_dword s6, s[6:7], 0x0
	s_waitcnt lgkmcnt(0)
	v_lshl_add_u32 v1, v0, 2, s6
	ds_read_b32 v1, v1 offset:64
	s_waitcnt lgkmcnt(0)
	v_add_f32_e32 v29, v1, v29
	s_or_b64 exec, exec, s[4:5]
	s_and_saveexec_b64 s[4:5], vcc
	s_cbranch_execz .LBB352_1649
.LBB352_1734:
	s_ashr_i32 s19, s18, 31
	s_lshl_b64 s[6:7], s[18:19], 2
	s_getpc_b64 s[8:9]
	s_add_u32 s8, s8, llvm.amdgcn.dynlds.offset.table@rel32@lo+4
	s_addc_u32 s9, s9, llvm.amdgcn.dynlds.offset.table@rel32@hi+12
	s_add_u32 s6, s6, s8
	s_addc_u32 s7, s7, s9
	s_load_dword s6, s[6:7], 0x0
	s_waitcnt lgkmcnt(0)
	v_lshl_add_u32 v1, v0, 2, s6
	ds_read_b32 v1, v1 offset:128
	s_waitcnt lgkmcnt(0)
	v_add_f32_e32 v22, v1, v22
	s_or_b64 exec, exec, s[4:5]
	s_and_saveexec_b64 s[4:5], vcc
	s_cbranch_execz .LBB352_1650
.LBB352_1735:
	s_ashr_i32 s19, s18, 31
	s_lshl_b64 s[6:7], s[18:19], 2
	s_getpc_b64 s[8:9]
	s_add_u32 s8, s8, llvm.amdgcn.dynlds.offset.table@rel32@lo+4
	s_addc_u32 s9, s9, llvm.amdgcn.dynlds.offset.table@rel32@hi+12
	s_add_u32 s6, s6, s8
	s_addc_u32 s7, s7, s9
	s_load_dword s6, s[6:7], 0x0
	s_waitcnt lgkmcnt(0)
	v_lshl_add_u32 v1, v0, 2, s6
	ds_read_b32 v1, v1 offset:192
	s_waitcnt lgkmcnt(0)
	v_add_f32_e32 v23, v1, v23
	s_or_b64 exec, exec, s[4:5]
	s_and_saveexec_b64 s[4:5], vcc
	s_cbranch_execz .LBB352_1651
.LBB352_1736:
	s_ashr_i32 s19, s18, 31
	s_lshl_b64 s[6:7], s[18:19], 2
	s_getpc_b64 s[8:9]
	s_add_u32 s8, s8, llvm.amdgcn.dynlds.offset.table@rel32@lo+4
	s_addc_u32 s9, s9, llvm.amdgcn.dynlds.offset.table@rel32@hi+12
	s_add_u32 s6, s6, s8
	s_addc_u32 s7, s7, s9
	s_load_dword s6, s[6:7], 0x0
	s_waitcnt lgkmcnt(0)
	v_lshl_add_u32 v1, v0, 2, s6
	ds_read_b32 v1, v1 offset:256
	s_waitcnt lgkmcnt(0)
	v_add_f32_e32 v18, v1, v18
	s_or_b64 exec, exec, s[4:5]
	s_and_saveexec_b64 s[4:5], vcc
	s_cbranch_execz .LBB352_1652
.LBB352_1737:
	s_ashr_i32 s19, s18, 31
	s_lshl_b64 s[6:7], s[18:19], 2
	s_getpc_b64 s[8:9]
	s_add_u32 s8, s8, llvm.amdgcn.dynlds.offset.table@rel32@lo+4
	s_addc_u32 s9, s9, llvm.amdgcn.dynlds.offset.table@rel32@hi+12
	s_add_u32 s6, s6, s8
	s_addc_u32 s7, s7, s9
	s_load_dword s6, s[6:7], 0x0
	s_waitcnt lgkmcnt(0)
	v_lshl_add_u32 v1, v0, 2, s6
	ds_read_b32 v1, v1 offset:320
	s_waitcnt lgkmcnt(0)
	v_add_f32_e32 v19, v1, v19
	s_or_b64 exec, exec, s[4:5]
	s_and_saveexec_b64 s[4:5], vcc
	s_cbranch_execz .LBB352_1653
.LBB352_1738:
	s_ashr_i32 s19, s18, 31
	s_lshl_b64 s[6:7], s[18:19], 2
	s_getpc_b64 s[8:9]
	s_add_u32 s8, s8, llvm.amdgcn.dynlds.offset.table@rel32@lo+4
	s_addc_u32 s9, s9, llvm.amdgcn.dynlds.offset.table@rel32@hi+12
	s_add_u32 s6, s6, s8
	s_addc_u32 s7, s7, s9
	s_load_dword s6, s[6:7], 0x0
	s_waitcnt lgkmcnt(0)
	v_lshl_add_u32 v1, v0, 2, s6
	ds_read_b32 v1, v1 offset:384
	s_waitcnt lgkmcnt(0)
	v_add_f32_e32 v10, v1, v10
	s_or_b64 exec, exec, s[4:5]
	s_and_saveexec_b64 s[4:5], vcc
	s_cbranch_execz .LBB352_1654
.LBB352_1739:
	s_ashr_i32 s19, s18, 31
	s_lshl_b64 s[6:7], s[18:19], 2
	s_getpc_b64 s[8:9]
	s_add_u32 s8, s8, llvm.amdgcn.dynlds.offset.table@rel32@lo+4
	s_addc_u32 s9, s9, llvm.amdgcn.dynlds.offset.table@rel32@hi+12
	s_add_u32 s6, s6, s8
	s_addc_u32 s7, s7, s9
	s_load_dword s6, s[6:7], 0x0
	s_waitcnt lgkmcnt(0)
	v_lshl_add_u32 v1, v0, 2, s6
	ds_read_b32 v1, v1 offset:448
	s_waitcnt lgkmcnt(0)
	v_add_f32_e32 v11, v1, v11
	s_or_b64 exec, exec, s[4:5]
	s_and_saveexec_b64 s[4:5], vcc
	s_cbranch_execz .LBB352_1655
.LBB352_1740:
	s_ashr_i32 s19, s18, 31
	s_lshl_b64 s[6:7], s[18:19], 2
	s_getpc_b64 s[8:9]
	s_add_u32 s8, s8, llvm.amdgcn.dynlds.offset.table@rel32@lo+4
	s_addc_u32 s9, s9, llvm.amdgcn.dynlds.offset.table@rel32@hi+12
	s_add_u32 s6, s6, s8
	s_addc_u32 s7, s7, s9
	s_load_dword s6, s[6:7], 0x0
	s_waitcnt lgkmcnt(0)
	v_lshl_add_u32 v1, v0, 2, s6
	ds_read_b32 v1, v1 offset:512
	s_waitcnt lgkmcnt(0)
	v_add_f32_e32 v8, v1, v8
	s_or_b64 exec, exec, s[4:5]
	s_and_saveexec_b64 s[4:5], vcc
	s_cbranch_execz .LBB352_1656
.LBB352_1741:
	s_ashr_i32 s19, s18, 31
	s_lshl_b64 s[6:7], s[18:19], 2
	s_getpc_b64 s[8:9]
	s_add_u32 s8, s8, llvm.amdgcn.dynlds.offset.table@rel32@lo+4
	s_addc_u32 s9, s9, llvm.amdgcn.dynlds.offset.table@rel32@hi+12
	s_add_u32 s6, s6, s8
	s_addc_u32 s7, s7, s9
	s_load_dword s6, s[6:7], 0x0
	s_waitcnt lgkmcnt(0)
	v_lshl_add_u32 v1, v0, 2, s6
	ds_read_b32 v1, v1 offset:576
	s_waitcnt lgkmcnt(0)
	v_add_f32_e32 v9, v1, v9
	s_or_b64 exec, exec, s[4:5]
	s_and_saveexec_b64 s[4:5], vcc
	s_cbranch_execz .LBB352_1657
.LBB352_1742:
	s_ashr_i32 s19, s18, 31
	s_lshl_b64 s[6:7], s[18:19], 2
	s_getpc_b64 s[8:9]
	s_add_u32 s8, s8, llvm.amdgcn.dynlds.offset.table@rel32@lo+4
	s_addc_u32 s9, s9, llvm.amdgcn.dynlds.offset.table@rel32@hi+12
	s_add_u32 s6, s6, s8
	s_addc_u32 s7, s7, s9
	s_load_dword s6, s[6:7], 0x0
	s_waitcnt lgkmcnt(0)
	v_lshl_add_u32 v1, v0, 2, s6
	ds_read_b32 v1, v1 offset:640
	s_waitcnt lgkmcnt(0)
	v_add_f32_e32 v6, v1, v6
	s_or_b64 exec, exec, s[4:5]
	s_and_saveexec_b64 s[4:5], vcc
	s_cbranch_execz .LBB352_1658
.LBB352_1743:
	s_ashr_i32 s19, s18, 31
	s_lshl_b64 s[6:7], s[18:19], 2
	s_getpc_b64 s[8:9]
	s_add_u32 s8, s8, llvm.amdgcn.dynlds.offset.table@rel32@lo+4
	s_addc_u32 s9, s9, llvm.amdgcn.dynlds.offset.table@rel32@hi+12
	s_add_u32 s6, s6, s8
	s_addc_u32 s7, s7, s9
	s_load_dword s6, s[6:7], 0x0
	s_waitcnt lgkmcnt(0)
	v_lshl_add_u32 v1, v0, 2, s6
	ds_read_b32 v1, v1 offset:704
	s_waitcnt lgkmcnt(0)
	v_add_f32_e32 v7, v1, v7
	s_or_b64 exec, exec, s[4:5]
	s_and_saveexec_b64 s[4:5], vcc
	s_cbranch_execz .LBB352_1659
.LBB352_1744:
	s_ashr_i32 s19, s18, 31
	s_lshl_b64 s[6:7], s[18:19], 2
	s_getpc_b64 s[8:9]
	s_add_u32 s8, s8, llvm.amdgcn.dynlds.offset.table@rel32@lo+4
	s_addc_u32 s9, s9, llvm.amdgcn.dynlds.offset.table@rel32@hi+12
	s_add_u32 s6, s6, s8
	s_addc_u32 s7, s7, s9
	s_load_dword s6, s[6:7], 0x0
	s_waitcnt lgkmcnt(0)
	v_lshl_add_u32 v1, v0, 2, s6
	ds_read_b32 v1, v1 offset:768
	s_waitcnt lgkmcnt(0)
	v_add_f32_e32 v2, v1, v2
	s_or_b64 exec, exec, s[4:5]
	s_and_saveexec_b64 s[4:5], vcc
	s_cbranch_execz .LBB352_1660
.LBB352_1745:
	s_ashr_i32 s19, s18, 31
	s_lshl_b64 s[6:7], s[18:19], 2
	s_getpc_b64 s[8:9]
	s_add_u32 s8, s8, llvm.amdgcn.dynlds.offset.table@rel32@lo+4
	s_addc_u32 s9, s9, llvm.amdgcn.dynlds.offset.table@rel32@hi+12
	s_add_u32 s6, s6, s8
	s_addc_u32 s7, s7, s9
	s_load_dword s6, s[6:7], 0x0
	s_waitcnt lgkmcnt(0)
	v_lshl_add_u32 v1, v0, 2, s6
	ds_read_b32 v1, v1 offset:832
	s_waitcnt lgkmcnt(0)
	v_add_f32_e32 v3, v1, v3
	s_or_b64 exec, exec, s[4:5]
	s_and_saveexec_b64 s[4:5], vcc
	s_cbranch_execz .LBB352_1661
.LBB352_1746:
	s_ashr_i32 s19, s18, 31
	s_lshl_b64 s[6:7], s[18:19], 2
	s_getpc_b64 s[8:9]
	s_add_u32 s8, s8, llvm.amdgcn.dynlds.offset.table@rel32@lo+4
	s_addc_u32 s9, s9, llvm.amdgcn.dynlds.offset.table@rel32@hi+12
	s_add_u32 s6, s6, s8
	s_addc_u32 s7, s7, s9
	s_load_dword s6, s[6:7], 0x0
	s_waitcnt lgkmcnt(0)
	v_lshl_add_u32 v1, v0, 2, s6
	ds_read_b32 v1, v1 offset:896
	s_waitcnt lgkmcnt(0)
	v_add_f32_e32 v4, v1, v4
	s_or_b64 exec, exec, s[4:5]
	s_and_saveexec_b64 s[4:5], vcc
	s_cbranch_execnz .LBB352_1662
	s_branch .LBB352_1663
.Lfunc_end352:
	.size	_ZN4vllm22paged_attention_kernelI14__hip_bfloat16hLi256ELi32ELi128ELNS_18Fp8KVCacheDataTypeE1ELb0ELi0EEEvPfS3_PT_PKS4_PKT0_SA_ifPKiSC_iPKfiiiSE_SE_iiiii, .Lfunc_end352-_ZN4vllm22paged_attention_kernelI14__hip_bfloat16hLi256ELi32ELi128ELNS_18Fp8KVCacheDataTypeE1ELb0ELi0EEEvPfS3_PT_PKS4_PKT0_SA_ifPKiSC_iPKfiiiSE_SE_iiiii
                                        ; -- End function
	.section	.AMDGPU.csdata,"",@progbits
; Function info:
; codeLenInByte = 60628
; NumSgprs: 54
; NumVgprs: 64
; NumAgprs: 64
; TotalNumVgprs: 128
; ScratchSize: 912
; MemoryBound: 0
	.section	.text._ZN4vllm25paged_attention_v1_kernelI14__hip_bfloat16hLi256ELi32ELi128ELNS_18Fp8KVCacheDataTypeE1ELb0EEEvPT_PKS3_PKT0_S9_ifPKiSB_iPKfiiiSD_SD_iiiii,"axG",@progbits,_ZN4vllm25paged_attention_v1_kernelI14__hip_bfloat16hLi256ELi32ELi128ELNS_18Fp8KVCacheDataTypeE1ELb0EEEvPT_PKS3_PKT0_S9_ifPKiSB_iPKfiiiSD_SD_iiiii,comdat
	.protected	_ZN4vllm25paged_attention_v1_kernelI14__hip_bfloat16hLi256ELi32ELi128ELNS_18Fp8KVCacheDataTypeE1ELb0EEEvPT_PKS3_PKT0_S9_ifPKiSB_iPKfiiiSD_SD_iiiii ; -- Begin function _ZN4vllm25paged_attention_v1_kernelI14__hip_bfloat16hLi256ELi32ELi128ELNS_18Fp8KVCacheDataTypeE1ELb0EEEvPT_PKS3_PKT0_S9_ifPKiSB_iPKfiiiSD_SD_iiiii
	.globl	_ZN4vllm25paged_attention_v1_kernelI14__hip_bfloat16hLi256ELi32ELi128ELNS_18Fp8KVCacheDataTypeE1ELb0EEEvPT_PKS3_PKT0_S9_ifPKiSB_iPKfiiiSD_SD_iiiii
	.p2align	8
	.type	_ZN4vllm25paged_attention_v1_kernelI14__hip_bfloat16hLi256ELi32ELi128ELNS_18Fp8KVCacheDataTypeE1ELb0EEEvPT_PKS3_PKT0_S9_ifPKiSB_iPKfiiiSD_SD_iiiii,@function
_ZN4vllm25paged_attention_v1_kernelI14__hip_bfloat16hLi256ELi32ELi128ELNS_18Fp8KVCacheDataTypeE1ELb0EEEvPT_PKS3_PKT0_S9_ifPKiSB_iPKfiiiSD_SD_iiiii: ; @_ZN4vllm25paged_attention_v1_kernelI14__hip_bfloat16hLi256ELi32ELi128ELNS_18Fp8KVCacheDataTypeE1ELb0EEEvPT_PKS3_PKT0_S9_ifPKiSB_iPKfiiiSD_SD_iiiii
; %bb.0:
	s_load_dwordx8 s[16:23], s[0:1], 0x0
	s_load_dwordx4 s[36:39], s[0:1], 0x20
	s_load_dwordx2 s[6:7], s[0:1], 0x30
	s_load_dword s5, s[0:1], 0x38
	s_load_dwordx2 s[10:11], s[0:1], 0x40
	s_load_dwordx8 s[24:31], s[0:1], 0x48
	s_add_u32 s8, s0, 0x80
	s_addc_u32 s9, s1, 0
	s_mov_b32 s12, s2
	s_mov_b32 s13, s3
	;; [unrolled: 1-line block ×4, first 2 shown]
	v_mov_b32_e32 v31, v0
	s_waitcnt lgkmcnt(0)
	v_mov_b32_e32 v0, s16
	v_mov_b32_e32 v1, s17
	;; [unrolled: 1-line block ×24, first 2 shown]
	s_mov_b32 s32, 0
	s_getpc_b64 s[0:1]
	s_add_u32 s0, s0, _ZN4vllm22paged_attention_kernelI14__hip_bfloat16hLi256ELi32ELi128ELNS_18Fp8KVCacheDataTypeE1ELb0ELi0EEEvPfS3_PT_PKS4_PKT0_SA_ifPKiSC_iPKfiiiSE_SE_iiiii@rel32@lo+4
	s_addc_u32 s1, s1, _ZN4vllm22paged_attention_kernelI14__hip_bfloat16hLi256ELi32ELi128ELNS_18Fp8KVCacheDataTypeE1ELb0ELi0EEEvPfS3_PT_PKS4_PKT0_SA_ifPKiSC_iPKfiiiSE_SE_iiiii@rel32@hi+12
	s_swappc_b64 s[30:31], s[0:1]
	s_endpgm
	.section	.rodata,"a",@progbits
	.p2align	6, 0x0
	.amdhsa_kernel _ZN4vllm25paged_attention_v1_kernelI14__hip_bfloat16hLi256ELi32ELi128ELNS_18Fp8KVCacheDataTypeE1ELb0EEEvPT_PKS3_PKT0_S9_ifPKiSB_iPKfiiiSD_SD_iiiii
		.amdhsa_group_segment_fixed_size 528
		.amdhsa_private_segment_fixed_size 912
		.amdhsa_kernarg_size 384
		.amdhsa_user_sgpr_count 2
		.amdhsa_user_sgpr_dispatch_ptr 0
		.amdhsa_user_sgpr_queue_ptr 0
		.amdhsa_user_sgpr_kernarg_segment_ptr 1
		.amdhsa_user_sgpr_dispatch_id 0
		.amdhsa_user_sgpr_kernarg_preload_length 0
		.amdhsa_user_sgpr_kernarg_preload_offset 0
		.amdhsa_user_sgpr_private_segment_size 0
		.amdhsa_uses_dynamic_stack 0
		.amdhsa_enable_private_segment 1
		.amdhsa_system_sgpr_workgroup_id_x 1
		.amdhsa_system_sgpr_workgroup_id_y 1
		.amdhsa_system_sgpr_workgroup_id_z 1
		.amdhsa_system_sgpr_workgroup_info 0
		.amdhsa_system_vgpr_workitem_id 0
		.amdhsa_next_free_vgpr 128
		.amdhsa_next_free_sgpr 48
		.amdhsa_accum_offset 64
		.amdhsa_reserve_vcc 1
		.amdhsa_float_round_mode_32 0
		.amdhsa_float_round_mode_16_64 0
		.amdhsa_float_denorm_mode_32 3
		.amdhsa_float_denorm_mode_16_64 3
		.amdhsa_dx10_clamp 1
		.amdhsa_ieee_mode 1
		.amdhsa_fp16_overflow 0
		.amdhsa_tg_split 0
		.amdhsa_exception_fp_ieee_invalid_op 0
		.amdhsa_exception_fp_denorm_src 0
		.amdhsa_exception_fp_ieee_div_zero 0
		.amdhsa_exception_fp_ieee_overflow 0
		.amdhsa_exception_fp_ieee_underflow 0
		.amdhsa_exception_fp_ieee_inexact 0
		.amdhsa_exception_int_div_zero 0
	.end_amdhsa_kernel
	.section	.text._ZN4vllm25paged_attention_v1_kernelI14__hip_bfloat16hLi256ELi32ELi128ELNS_18Fp8KVCacheDataTypeE1ELb0EEEvPT_PKS3_PKT0_S9_ifPKiSB_iPKfiiiSD_SD_iiiii,"axG",@progbits,_ZN4vllm25paged_attention_v1_kernelI14__hip_bfloat16hLi256ELi32ELi128ELNS_18Fp8KVCacheDataTypeE1ELb0EEEvPT_PKS3_PKT0_S9_ifPKiSB_iPKfiiiSD_SD_iiiii,comdat
.Lfunc_end353:
	.size	_ZN4vllm25paged_attention_v1_kernelI14__hip_bfloat16hLi256ELi32ELi128ELNS_18Fp8KVCacheDataTypeE1ELb0EEEvPT_PKS3_PKT0_S9_ifPKiSB_iPKfiiiSD_SD_iiiii, .Lfunc_end353-_ZN4vllm25paged_attention_v1_kernelI14__hip_bfloat16hLi256ELi32ELi128ELNS_18Fp8KVCacheDataTypeE1ELb0EEEvPT_PKS3_PKT0_S9_ifPKiSB_iPKfiiiSD_SD_iiiii
                                        ; -- End function
	.section	.AMDGPU.csdata,"",@progbits
; Kernel info:
; codeLenInByte = 212
; NumSgprs: 54
; NumVgprs: 64
; NumAgprs: 64
; TotalNumVgprs: 128
; ScratchSize: 912
; MemoryBound: 0
; FloatMode: 240
; IeeeMode: 1
; LDSByteSize: 528 bytes/workgroup (compile time only)
; SGPRBlocks: 6
; VGPRBlocks: 15
; NumSGPRsForWavesPerEU: 54
; NumVGPRsForWavesPerEU: 128
; AccumOffset: 64
; Occupancy: 4
; WaveLimiterHint : 1
; COMPUTE_PGM_RSRC2:SCRATCH_EN: 1
; COMPUTE_PGM_RSRC2:USER_SGPR: 2
; COMPUTE_PGM_RSRC2:TRAP_HANDLER: 0
; COMPUTE_PGM_RSRC2:TGID_X_EN: 1
; COMPUTE_PGM_RSRC2:TGID_Y_EN: 1
; COMPUTE_PGM_RSRC2:TGID_Z_EN: 1
; COMPUTE_PGM_RSRC2:TIDIG_COMP_CNT: 0
; COMPUTE_PGM_RSRC3_GFX90A:ACCUM_OFFSET: 15
; COMPUTE_PGM_RSRC3_GFX90A:TG_SPLIT: 0
	.text
	.p2alignl 6, 3212836864
	.fill 256, 4, 3212836864
	.type	__hip_cuid_35d4cf5606b2244e,@object ; @__hip_cuid_35d4cf5606b2244e
	.section	.bss,"aw",@nobits
	.globl	__hip_cuid_35d4cf5606b2244e
__hip_cuid_35d4cf5606b2244e:
	.byte	0                               ; 0x0
	.size	__hip_cuid_35d4cf5606b2244e, 1

	.type	llvm.amdgcn.dynlds.offset.table,@object ; @llvm.amdgcn.dynlds.offset.table
	.section	.data.rel.ro,"aw",@progbits
	.p2align	4, 0x0
llvm.amdgcn.dynlds.offset.table:
	.long	528
	.long	528
	;; [unrolled: 1-line block ×30, first 2 shown]
	.size	llvm.amdgcn.dynlds.offset.table, 120

	.ident	"AMD clang version 19.0.0git (https://github.com/RadeonOpenCompute/llvm-project roc-6.4.0 25133 c7fe45cf4b819c5991fe208aaa96edf142730f1d)"
	.section	".note.GNU-stack","",@progbits
	.addrsig
	.addrsig_sym __hip_cuid_35d4cf5606b2244e
	.amdgpu_metadata
---
amdhsa.kernels:
  - .agpr_count:     0
    .args:
      - .actual_access:  write_only
        .address_space:  global
        .offset:         0
        .size:           8
        .value_kind:     global_buffer
      - .actual_access:  read_only
        .address_space:  global
        .offset:         8
        .size:           8
        .value_kind:     global_buffer
      - .actual_access:  read_only
        .address_space:  global
        .offset:         16
        .size:           8
        .value_kind:     global_buffer
      - .actual_access:  read_only
        .address_space:  global
        .offset:         24
        .size:           8
        .value_kind:     global_buffer
      - .offset:         32
        .size:           4
        .value_kind:     by_value
      - .offset:         36
        .size:           4
        .value_kind:     by_value
      - .actual_access:  read_only
        .address_space:  global
        .offset:         40
        .size:           8
        .value_kind:     global_buffer
      - .actual_access:  read_only
        .address_space:  global
        .offset:         48
        .size:           8
        .value_kind:     global_buffer
      - .offset:         56
        .size:           4
        .value_kind:     by_value
      - .actual_access:  read_only
        .address_space:  global
        .offset:         64
        .size:           8
        .value_kind:     global_buffer
      - .offset:         72
        .size:           4
        .value_kind:     by_value
      - .offset:         76
        .size:           4
        .value_kind:     by_value
      - .offset:         80
        .size:           4
        .value_kind:     by_value
      - .address_space:  global
        .offset:         88
        .size:           8
        .value_kind:     global_buffer
      - .address_space:  global
        .offset:         96
        .size:           8
        .value_kind:     global_buffer
      - .offset:         104
        .size:           4
        .value_kind:     by_value
      - .offset:         108
        .size:           4
        .value_kind:     by_value
      - .offset:         112
        .size:           4
        .value_kind:     by_value
      - .offset:         116
        .size:           4
        .value_kind:     by_value
      - .offset:         120
        .size:           4
        .value_kind:     by_value
      - .offset:         128
        .size:           4
        .value_kind:     hidden_block_count_x
      - .offset:         132
        .size:           4
        .value_kind:     hidden_block_count_y
      - .offset:         136
        .size:           4
        .value_kind:     hidden_block_count_z
      - .offset:         140
        .size:           2
        .value_kind:     hidden_group_size_x
      - .offset:         142
        .size:           2
        .value_kind:     hidden_group_size_y
      - .offset:         144
        .size:           2
        .value_kind:     hidden_group_size_z
      - .offset:         146
        .size:           2
        .value_kind:     hidden_remainder_x
      - .offset:         148
        .size:           2
        .value_kind:     hidden_remainder_y
      - .offset:         150
        .size:           2
        .value_kind:     hidden_remainder_z
      - .offset:         168
        .size:           8
        .value_kind:     hidden_global_offset_x
      - .offset:         176
        .size:           8
        .value_kind:     hidden_global_offset_y
      - .offset:         184
        .size:           8
        .value_kind:     hidden_global_offset_z
      - .offset:         192
        .size:           2
        .value_kind:     hidden_grid_dims
      - .offset:         248
        .size:           4
        .value_kind:     hidden_dynamic_lds_size
    .group_segment_fixed_size: 144
    .kernarg_segment_align: 8
    .kernarg_segment_size: 384
    .language:       OpenCL C
    .language_version:
      - 2
      - 0
    .max_flat_workgroup_size: 1024
    .name:           _ZN4vllm25paged_attention_v1_kernelIffLi32ELi8ELi128ELNS_18Fp8KVCacheDataTypeE0ELb1EEEvPT_PKS2_PKT0_S8_ifPKiSA_iPKfiiiSC_SC_iiiii
    .private_segment_fixed_size: 0
    .sgpr_count:     50
    .sgpr_spill_count: 0
    .symbol:         _ZN4vllm25paged_attention_v1_kernelIffLi32ELi8ELi128ELNS_18Fp8KVCacheDataTypeE0ELb1EEEvPT_PKS2_PKT0_S8_ifPKiSA_iPKfiiiSC_SC_iiiii.kd
    .uniform_work_group_size: 1
    .uses_dynamic_stack: false
    .vgpr_count:     33
    .vgpr_spill_count: 0
    .wavefront_size: 64
  - .agpr_count:     0
    .args:
      - .actual_access:  write_only
        .address_space:  global
        .offset:         0
        .size:           8
        .value_kind:     global_buffer
      - .actual_access:  read_only
        .address_space:  global
        .offset:         8
        .size:           8
        .value_kind:     global_buffer
      - .actual_access:  read_only
        .address_space:  global
        .offset:         16
        .size:           8
        .value_kind:     global_buffer
      - .actual_access:  read_only
        .address_space:  global
        .offset:         24
        .size:           8
        .value_kind:     global_buffer
      - .offset:         32
        .size:           4
        .value_kind:     by_value
      - .offset:         36
        .size:           4
        .value_kind:     by_value
      - .actual_access:  read_only
        .address_space:  global
        .offset:         40
        .size:           8
        .value_kind:     global_buffer
      - .actual_access:  read_only
        .address_space:  global
        .offset:         48
        .size:           8
        .value_kind:     global_buffer
      - .offset:         56
        .size:           4
        .value_kind:     by_value
      - .actual_access:  read_only
        .address_space:  global
        .offset:         64
        .size:           8
        .value_kind:     global_buffer
      - .offset:         72
        .size:           4
        .value_kind:     by_value
      - .offset:         76
        .size:           4
        .value_kind:     by_value
      - .offset:         80
        .size:           4
        .value_kind:     by_value
      - .address_space:  global
        .offset:         88
        .size:           8
        .value_kind:     global_buffer
      - .address_space:  global
        .offset:         96
        .size:           8
        .value_kind:     global_buffer
      - .offset:         104
        .size:           4
        .value_kind:     by_value
      - .offset:         108
        .size:           4
        .value_kind:     by_value
      - .offset:         112
        .size:           4
        .value_kind:     by_value
      - .offset:         116
        .size:           4
        .value_kind:     by_value
      - .offset:         120
        .size:           4
        .value_kind:     by_value
      - .offset:         128
        .size:           4
        .value_kind:     hidden_block_count_x
      - .offset:         132
        .size:           4
        .value_kind:     hidden_block_count_y
      - .offset:         136
        .size:           4
        .value_kind:     hidden_block_count_z
      - .offset:         140
        .size:           2
        .value_kind:     hidden_group_size_x
      - .offset:         142
        .size:           2
        .value_kind:     hidden_group_size_y
      - .offset:         144
        .size:           2
        .value_kind:     hidden_group_size_z
      - .offset:         146
        .size:           2
        .value_kind:     hidden_remainder_x
      - .offset:         148
        .size:           2
        .value_kind:     hidden_remainder_y
      - .offset:         150
        .size:           2
        .value_kind:     hidden_remainder_z
      - .offset:         168
        .size:           8
        .value_kind:     hidden_global_offset_x
      - .offset:         176
        .size:           8
        .value_kind:     hidden_global_offset_y
      - .offset:         184
        .size:           8
        .value_kind:     hidden_global_offset_z
      - .offset:         192
        .size:           2
        .value_kind:     hidden_grid_dims
      - .offset:         248
        .size:           4
        .value_kind:     hidden_dynamic_lds_size
    .group_segment_fixed_size: 272
    .kernarg_segment_align: 8
    .kernarg_segment_size: 384
    .language:       OpenCL C
    .language_version:
      - 2
      - 0
    .max_flat_workgroup_size: 1024
    .name:           _ZN4vllm25paged_attention_v1_kernelIffLi64ELi8ELi128ELNS_18Fp8KVCacheDataTypeE0ELb1EEEvPT_PKS2_PKT0_S8_ifPKiSA_iPKfiiiSC_SC_iiiii
    .private_segment_fixed_size: 0
    .sgpr_count:     52
    .sgpr_spill_count: 0
    .symbol:         _ZN4vllm25paged_attention_v1_kernelIffLi64ELi8ELi128ELNS_18Fp8KVCacheDataTypeE0ELb1EEEvPT_PKS2_PKT0_S8_ifPKiSA_iPKfiiiSC_SC_iiiii.kd
    .uniform_work_group_size: 1
    .uses_dynamic_stack: false
    .vgpr_count:     42
    .vgpr_spill_count: 0
    .wavefront_size: 64
  - .agpr_count:     0
    .args:
      - .actual_access:  write_only
        .address_space:  global
        .offset:         0
        .size:           8
        .value_kind:     global_buffer
      - .actual_access:  read_only
        .address_space:  global
        .offset:         8
        .size:           8
        .value_kind:     global_buffer
      - .actual_access:  read_only
        .address_space:  global
        .offset:         16
        .size:           8
        .value_kind:     global_buffer
      - .actual_access:  read_only
        .address_space:  global
        .offset:         24
        .size:           8
        .value_kind:     global_buffer
      - .offset:         32
        .size:           4
        .value_kind:     by_value
      - .offset:         36
        .size:           4
        .value_kind:     by_value
      - .actual_access:  read_only
        .address_space:  global
        .offset:         40
        .size:           8
        .value_kind:     global_buffer
      - .actual_access:  read_only
        .address_space:  global
        .offset:         48
        .size:           8
        .value_kind:     global_buffer
      - .offset:         56
        .size:           4
        .value_kind:     by_value
      - .actual_access:  read_only
        .address_space:  global
        .offset:         64
        .size:           8
        .value_kind:     global_buffer
      - .offset:         72
        .size:           4
        .value_kind:     by_value
      - .offset:         76
        .size:           4
        .value_kind:     by_value
      - .offset:         80
        .size:           4
        .value_kind:     by_value
      - .address_space:  global
        .offset:         88
        .size:           8
        .value_kind:     global_buffer
      - .address_space:  global
        .offset:         96
        .size:           8
        .value_kind:     global_buffer
      - .offset:         104
        .size:           4
        .value_kind:     by_value
      - .offset:         108
        .size:           4
        .value_kind:     by_value
      - .offset:         112
        .size:           4
        .value_kind:     by_value
      - .offset:         116
        .size:           4
        .value_kind:     by_value
      - .offset:         120
        .size:           4
        .value_kind:     by_value
      - .offset:         128
        .size:           4
        .value_kind:     hidden_block_count_x
      - .offset:         132
        .size:           4
        .value_kind:     hidden_block_count_y
      - .offset:         136
        .size:           4
        .value_kind:     hidden_block_count_z
      - .offset:         140
        .size:           2
        .value_kind:     hidden_group_size_x
      - .offset:         142
        .size:           2
        .value_kind:     hidden_group_size_y
      - .offset:         144
        .size:           2
        .value_kind:     hidden_group_size_z
      - .offset:         146
        .size:           2
        .value_kind:     hidden_remainder_x
      - .offset:         148
        .size:           2
        .value_kind:     hidden_remainder_y
      - .offset:         150
        .size:           2
        .value_kind:     hidden_remainder_z
      - .offset:         168
        .size:           8
        .value_kind:     hidden_global_offset_x
      - .offset:         176
        .size:           8
        .value_kind:     hidden_global_offset_y
      - .offset:         184
        .size:           8
        .value_kind:     hidden_global_offset_z
      - .offset:         192
        .size:           2
        .value_kind:     hidden_grid_dims
      - .offset:         248
        .size:           4
        .value_kind:     hidden_dynamic_lds_size
    .group_segment_fixed_size: 336
    .kernarg_segment_align: 8
    .kernarg_segment_size: 384
    .language:       OpenCL C
    .language_version:
      - 2
      - 0
    .max_flat_workgroup_size: 1024
    .name:           _ZN4vllm25paged_attention_v1_kernelIffLi80ELi8ELi128ELNS_18Fp8KVCacheDataTypeE0ELb1EEEvPT_PKS2_PKT0_S8_ifPKiSA_iPKfiiiSC_SC_iiiii
    .private_segment_fixed_size: 0
    .sgpr_count:     50
    .sgpr_spill_count: 0
    .symbol:         _ZN4vllm25paged_attention_v1_kernelIffLi80ELi8ELi128ELNS_18Fp8KVCacheDataTypeE0ELb1EEEvPT_PKS2_PKT0_S8_ifPKiSA_iPKfiiiSC_SC_iiiii.kd
    .uniform_work_group_size: 1
    .uses_dynamic_stack: false
    .vgpr_count:     46
    .vgpr_spill_count: 0
    .wavefront_size: 64
  - .agpr_count:     0
    .args:
      - .actual_access:  write_only
        .address_space:  global
        .offset:         0
        .size:           8
        .value_kind:     global_buffer
      - .actual_access:  read_only
        .address_space:  global
        .offset:         8
        .size:           8
        .value_kind:     global_buffer
      - .actual_access:  read_only
        .address_space:  global
        .offset:         16
        .size:           8
        .value_kind:     global_buffer
      - .actual_access:  read_only
        .address_space:  global
        .offset:         24
        .size:           8
        .value_kind:     global_buffer
      - .offset:         32
        .size:           4
        .value_kind:     by_value
      - .offset:         36
        .size:           4
        .value_kind:     by_value
      - .actual_access:  read_only
        .address_space:  global
        .offset:         40
        .size:           8
        .value_kind:     global_buffer
      - .actual_access:  read_only
        .address_space:  global
        .offset:         48
        .size:           8
        .value_kind:     global_buffer
      - .offset:         56
        .size:           4
        .value_kind:     by_value
      - .actual_access:  read_only
        .address_space:  global
        .offset:         64
        .size:           8
        .value_kind:     global_buffer
      - .offset:         72
        .size:           4
        .value_kind:     by_value
      - .offset:         76
        .size:           4
        .value_kind:     by_value
      - .offset:         80
        .size:           4
        .value_kind:     by_value
      - .address_space:  global
        .offset:         88
        .size:           8
        .value_kind:     global_buffer
      - .address_space:  global
        .offset:         96
        .size:           8
        .value_kind:     global_buffer
      - .offset:         104
        .size:           4
        .value_kind:     by_value
      - .offset:         108
        .size:           4
        .value_kind:     by_value
      - .offset:         112
        .size:           4
        .value_kind:     by_value
      - .offset:         116
        .size:           4
        .value_kind:     by_value
      - .offset:         120
        .size:           4
        .value_kind:     by_value
      - .offset:         128
        .size:           4
        .value_kind:     hidden_block_count_x
      - .offset:         132
        .size:           4
        .value_kind:     hidden_block_count_y
      - .offset:         136
        .size:           4
        .value_kind:     hidden_block_count_z
      - .offset:         140
        .size:           2
        .value_kind:     hidden_group_size_x
      - .offset:         142
        .size:           2
        .value_kind:     hidden_group_size_y
      - .offset:         144
        .size:           2
        .value_kind:     hidden_group_size_z
      - .offset:         146
        .size:           2
        .value_kind:     hidden_remainder_x
      - .offset:         148
        .size:           2
        .value_kind:     hidden_remainder_y
      - .offset:         150
        .size:           2
        .value_kind:     hidden_remainder_z
      - .offset:         168
        .size:           8
        .value_kind:     hidden_global_offset_x
      - .offset:         176
        .size:           8
        .value_kind:     hidden_global_offset_y
      - .offset:         184
        .size:           8
        .value_kind:     hidden_global_offset_z
      - .offset:         192
        .size:           2
        .value_kind:     hidden_grid_dims
      - .offset:         248
        .size:           4
        .value_kind:     hidden_dynamic_lds_size
    .group_segment_fixed_size: 400
    .kernarg_segment_align: 8
    .kernarg_segment_size: 384
    .language:       OpenCL C
    .language_version:
      - 2
      - 0
    .max_flat_workgroup_size: 1024
    .name:           _ZN4vllm25paged_attention_v1_kernelIffLi96ELi8ELi128ELNS_18Fp8KVCacheDataTypeE0ELb1EEEvPT_PKS2_PKT0_S8_ifPKiSA_iPKfiiiSC_SC_iiiii
    .private_segment_fixed_size: 0
    .sgpr_count:     50
    .sgpr_spill_count: 0
    .symbol:         _ZN4vllm25paged_attention_v1_kernelIffLi96ELi8ELi128ELNS_18Fp8KVCacheDataTypeE0ELb1EEEvPT_PKS2_PKT0_S8_ifPKiSA_iPKfiiiSC_SC_iiiii.kd
    .uniform_work_group_size: 1
    .uses_dynamic_stack: false
    .vgpr_count:     51
    .vgpr_spill_count: 0
    .wavefront_size: 64
  - .agpr_count:     0
    .args:
      - .actual_access:  write_only
        .address_space:  global
        .offset:         0
        .size:           8
        .value_kind:     global_buffer
      - .actual_access:  read_only
        .address_space:  global
        .offset:         8
        .size:           8
        .value_kind:     global_buffer
      - .actual_access:  read_only
        .address_space:  global
        .offset:         16
        .size:           8
        .value_kind:     global_buffer
      - .actual_access:  read_only
        .address_space:  global
        .offset:         24
        .size:           8
        .value_kind:     global_buffer
      - .offset:         32
        .size:           4
        .value_kind:     by_value
      - .offset:         36
        .size:           4
        .value_kind:     by_value
      - .actual_access:  read_only
        .address_space:  global
        .offset:         40
        .size:           8
        .value_kind:     global_buffer
      - .actual_access:  read_only
        .address_space:  global
        .offset:         48
        .size:           8
        .value_kind:     global_buffer
      - .offset:         56
        .size:           4
        .value_kind:     by_value
      - .actual_access:  read_only
        .address_space:  global
        .offset:         64
        .size:           8
        .value_kind:     global_buffer
      - .offset:         72
        .size:           4
        .value_kind:     by_value
      - .offset:         76
        .size:           4
        .value_kind:     by_value
      - .offset:         80
        .size:           4
        .value_kind:     by_value
      - .address_space:  global
        .offset:         88
        .size:           8
        .value_kind:     global_buffer
      - .address_space:  global
        .offset:         96
        .size:           8
        .value_kind:     global_buffer
      - .offset:         104
        .size:           4
        .value_kind:     by_value
      - .offset:         108
        .size:           4
        .value_kind:     by_value
      - .offset:         112
        .size:           4
        .value_kind:     by_value
      - .offset:         116
        .size:           4
        .value_kind:     by_value
      - .offset:         120
        .size:           4
        .value_kind:     by_value
      - .offset:         128
        .size:           4
        .value_kind:     hidden_block_count_x
      - .offset:         132
        .size:           4
        .value_kind:     hidden_block_count_y
      - .offset:         136
        .size:           4
        .value_kind:     hidden_block_count_z
      - .offset:         140
        .size:           2
        .value_kind:     hidden_group_size_x
      - .offset:         142
        .size:           2
        .value_kind:     hidden_group_size_y
      - .offset:         144
        .size:           2
        .value_kind:     hidden_group_size_z
      - .offset:         146
        .size:           2
        .value_kind:     hidden_remainder_x
      - .offset:         148
        .size:           2
        .value_kind:     hidden_remainder_y
      - .offset:         150
        .size:           2
        .value_kind:     hidden_remainder_z
      - .offset:         168
        .size:           8
        .value_kind:     hidden_global_offset_x
      - .offset:         176
        .size:           8
        .value_kind:     hidden_global_offset_y
      - .offset:         184
        .size:           8
        .value_kind:     hidden_global_offset_z
      - .offset:         192
        .size:           2
        .value_kind:     hidden_grid_dims
      - .offset:         248
        .size:           4
        .value_kind:     hidden_dynamic_lds_size
    .group_segment_fixed_size: 464
    .kernarg_segment_align: 8
    .kernarg_segment_size: 384
    .language:       OpenCL C
    .language_version:
      - 2
      - 0
    .max_flat_workgroup_size: 1024
    .name:           _ZN4vllm25paged_attention_v1_kernelIffLi112ELi8ELi128ELNS_18Fp8KVCacheDataTypeE0ELb1EEEvPT_PKS2_PKT0_S8_ifPKiSA_iPKfiiiSC_SC_iiiii
    .private_segment_fixed_size: 0
    .sgpr_count:     50
    .sgpr_spill_count: 0
    .symbol:         _ZN4vllm25paged_attention_v1_kernelIffLi112ELi8ELi128ELNS_18Fp8KVCacheDataTypeE0ELb1EEEvPT_PKS2_PKT0_S8_ifPKiSA_iPKfiiiSC_SC_iiiii.kd
    .uniform_work_group_size: 1
    .uses_dynamic_stack: false
    .vgpr_count:     54
    .vgpr_spill_count: 0
    .wavefront_size: 64
  - .agpr_count:     0
    .args:
      - .actual_access:  write_only
        .address_space:  global
        .offset:         0
        .size:           8
        .value_kind:     global_buffer
      - .actual_access:  read_only
        .address_space:  global
        .offset:         8
        .size:           8
        .value_kind:     global_buffer
      - .actual_access:  read_only
        .address_space:  global
        .offset:         16
        .size:           8
        .value_kind:     global_buffer
      - .actual_access:  read_only
        .address_space:  global
        .offset:         24
        .size:           8
        .value_kind:     global_buffer
      - .offset:         32
        .size:           4
        .value_kind:     by_value
      - .offset:         36
        .size:           4
        .value_kind:     by_value
      - .actual_access:  read_only
        .address_space:  global
        .offset:         40
        .size:           8
        .value_kind:     global_buffer
      - .actual_access:  read_only
        .address_space:  global
        .offset:         48
        .size:           8
        .value_kind:     global_buffer
      - .offset:         56
        .size:           4
        .value_kind:     by_value
      - .actual_access:  read_only
        .address_space:  global
        .offset:         64
        .size:           8
        .value_kind:     global_buffer
      - .offset:         72
        .size:           4
        .value_kind:     by_value
      - .offset:         76
        .size:           4
        .value_kind:     by_value
      - .offset:         80
        .size:           4
        .value_kind:     by_value
      - .address_space:  global
        .offset:         88
        .size:           8
        .value_kind:     global_buffer
      - .address_space:  global
        .offset:         96
        .size:           8
        .value_kind:     global_buffer
      - .offset:         104
        .size:           4
        .value_kind:     by_value
      - .offset:         108
        .size:           4
        .value_kind:     by_value
      - .offset:         112
        .size:           4
        .value_kind:     by_value
      - .offset:         116
        .size:           4
        .value_kind:     by_value
      - .offset:         120
        .size:           4
        .value_kind:     by_value
      - .offset:         128
        .size:           4
        .value_kind:     hidden_block_count_x
      - .offset:         132
        .size:           4
        .value_kind:     hidden_block_count_y
      - .offset:         136
        .size:           4
        .value_kind:     hidden_block_count_z
      - .offset:         140
        .size:           2
        .value_kind:     hidden_group_size_x
      - .offset:         142
        .size:           2
        .value_kind:     hidden_group_size_y
      - .offset:         144
        .size:           2
        .value_kind:     hidden_group_size_z
      - .offset:         146
        .size:           2
        .value_kind:     hidden_remainder_x
      - .offset:         148
        .size:           2
        .value_kind:     hidden_remainder_y
      - .offset:         150
        .size:           2
        .value_kind:     hidden_remainder_z
      - .offset:         168
        .size:           8
        .value_kind:     hidden_global_offset_x
      - .offset:         176
        .size:           8
        .value_kind:     hidden_global_offset_y
      - .offset:         184
        .size:           8
        .value_kind:     hidden_global_offset_z
      - .offset:         192
        .size:           2
        .value_kind:     hidden_grid_dims
      - .offset:         248
        .size:           4
        .value_kind:     hidden_dynamic_lds_size
    .group_segment_fixed_size: 496
    .kernarg_segment_align: 8
    .kernarg_segment_size: 384
    .language:       OpenCL C
    .language_version:
      - 2
      - 0
    .max_flat_workgroup_size: 1024
    .name:           _ZN4vllm25paged_attention_v1_kernelIffLi120ELi8ELi128ELNS_18Fp8KVCacheDataTypeE0ELb1EEEvPT_PKS2_PKT0_S8_ifPKiSA_iPKfiiiSC_SC_iiiii
    .private_segment_fixed_size: 0
    .sgpr_count:     50
    .sgpr_spill_count: 0
    .symbol:         _ZN4vllm25paged_attention_v1_kernelIffLi120ELi8ELi128ELNS_18Fp8KVCacheDataTypeE0ELb1EEEvPT_PKS2_PKT0_S8_ifPKiSA_iPKfiiiSC_SC_iiiii.kd
    .uniform_work_group_size: 1
    .uses_dynamic_stack: false
    .vgpr_count:     56
    .vgpr_spill_count: 0
    .wavefront_size: 64
  - .agpr_count:     0
    .args:
      - .actual_access:  write_only
        .address_space:  global
        .offset:         0
        .size:           8
        .value_kind:     global_buffer
      - .actual_access:  read_only
        .address_space:  global
        .offset:         8
        .size:           8
        .value_kind:     global_buffer
      - .actual_access:  read_only
        .address_space:  global
        .offset:         16
        .size:           8
        .value_kind:     global_buffer
      - .actual_access:  read_only
        .address_space:  global
        .offset:         24
        .size:           8
        .value_kind:     global_buffer
      - .offset:         32
        .size:           4
        .value_kind:     by_value
      - .offset:         36
        .size:           4
        .value_kind:     by_value
      - .actual_access:  read_only
        .address_space:  global
        .offset:         40
        .size:           8
        .value_kind:     global_buffer
      - .actual_access:  read_only
        .address_space:  global
        .offset:         48
        .size:           8
        .value_kind:     global_buffer
      - .offset:         56
        .size:           4
        .value_kind:     by_value
      - .actual_access:  read_only
        .address_space:  global
        .offset:         64
        .size:           8
        .value_kind:     global_buffer
      - .offset:         72
        .size:           4
        .value_kind:     by_value
      - .offset:         76
        .size:           4
        .value_kind:     by_value
      - .offset:         80
        .size:           4
        .value_kind:     by_value
      - .address_space:  global
        .offset:         88
        .size:           8
        .value_kind:     global_buffer
      - .address_space:  global
        .offset:         96
        .size:           8
        .value_kind:     global_buffer
      - .offset:         104
        .size:           4
        .value_kind:     by_value
      - .offset:         108
        .size:           4
        .value_kind:     by_value
      - .offset:         112
        .size:           4
        .value_kind:     by_value
      - .offset:         116
        .size:           4
        .value_kind:     by_value
      - .offset:         120
        .size:           4
        .value_kind:     by_value
      - .offset:         128
        .size:           4
        .value_kind:     hidden_block_count_x
      - .offset:         132
        .size:           4
        .value_kind:     hidden_block_count_y
      - .offset:         136
        .size:           4
        .value_kind:     hidden_block_count_z
      - .offset:         140
        .size:           2
        .value_kind:     hidden_group_size_x
      - .offset:         142
        .size:           2
        .value_kind:     hidden_group_size_y
      - .offset:         144
        .size:           2
        .value_kind:     hidden_group_size_z
      - .offset:         146
        .size:           2
        .value_kind:     hidden_remainder_x
      - .offset:         148
        .size:           2
        .value_kind:     hidden_remainder_y
      - .offset:         150
        .size:           2
        .value_kind:     hidden_remainder_z
      - .offset:         168
        .size:           8
        .value_kind:     hidden_global_offset_x
      - .offset:         176
        .size:           8
        .value_kind:     hidden_global_offset_y
      - .offset:         184
        .size:           8
        .value_kind:     hidden_global_offset_z
      - .offset:         192
        .size:           2
        .value_kind:     hidden_grid_dims
      - .offset:         248
        .size:           4
        .value_kind:     hidden_dynamic_lds_size
    .group_segment_fixed_size: 528
    .kernarg_segment_align: 8
    .kernarg_segment_size: 384
    .language:       OpenCL C
    .language_version:
      - 2
      - 0
    .max_flat_workgroup_size: 1024
    .name:           _ZN4vllm25paged_attention_v1_kernelIffLi128ELi8ELi128ELNS_18Fp8KVCacheDataTypeE0ELb1EEEvPT_PKS2_PKT0_S8_ifPKiSA_iPKfiiiSC_SC_iiiii
    .private_segment_fixed_size: 0
    .sgpr_count:     50
    .sgpr_spill_count: 0
    .symbol:         _ZN4vllm25paged_attention_v1_kernelIffLi128ELi8ELi128ELNS_18Fp8KVCacheDataTypeE0ELb1EEEvPT_PKS2_PKT0_S8_ifPKiSA_iPKfiiiSC_SC_iiiii.kd
    .uniform_work_group_size: 1
    .uses_dynamic_stack: false
    .vgpr_count:     58
    .vgpr_spill_count: 0
    .wavefront_size: 64
  - .agpr_count:     0
    .args:
      - .actual_access:  write_only
        .address_space:  global
        .offset:         0
        .size:           8
        .value_kind:     global_buffer
      - .actual_access:  read_only
        .address_space:  global
        .offset:         8
        .size:           8
        .value_kind:     global_buffer
      - .actual_access:  read_only
        .address_space:  global
        .offset:         16
        .size:           8
        .value_kind:     global_buffer
      - .actual_access:  read_only
        .address_space:  global
        .offset:         24
        .size:           8
        .value_kind:     global_buffer
      - .offset:         32
        .size:           4
        .value_kind:     by_value
      - .offset:         36
        .size:           4
        .value_kind:     by_value
      - .actual_access:  read_only
        .address_space:  global
        .offset:         40
        .size:           8
        .value_kind:     global_buffer
      - .actual_access:  read_only
        .address_space:  global
        .offset:         48
        .size:           8
        .value_kind:     global_buffer
      - .offset:         56
        .size:           4
        .value_kind:     by_value
      - .actual_access:  read_only
        .address_space:  global
        .offset:         64
        .size:           8
        .value_kind:     global_buffer
      - .offset:         72
        .size:           4
        .value_kind:     by_value
      - .offset:         76
        .size:           4
        .value_kind:     by_value
      - .offset:         80
        .size:           4
        .value_kind:     by_value
      - .address_space:  global
        .offset:         88
        .size:           8
        .value_kind:     global_buffer
      - .address_space:  global
        .offset:         96
        .size:           8
        .value_kind:     global_buffer
      - .offset:         104
        .size:           4
        .value_kind:     by_value
      - .offset:         108
        .size:           4
        .value_kind:     by_value
      - .offset:         112
        .size:           4
        .value_kind:     by_value
      - .offset:         116
        .size:           4
        .value_kind:     by_value
      - .offset:         120
        .size:           4
        .value_kind:     by_value
      - .offset:         128
        .size:           4
        .value_kind:     hidden_block_count_x
      - .offset:         132
        .size:           4
        .value_kind:     hidden_block_count_y
      - .offset:         136
        .size:           4
        .value_kind:     hidden_block_count_z
      - .offset:         140
        .size:           2
        .value_kind:     hidden_group_size_x
      - .offset:         142
        .size:           2
        .value_kind:     hidden_group_size_y
      - .offset:         144
        .size:           2
        .value_kind:     hidden_group_size_z
      - .offset:         146
        .size:           2
        .value_kind:     hidden_remainder_x
      - .offset:         148
        .size:           2
        .value_kind:     hidden_remainder_y
      - .offset:         150
        .size:           2
        .value_kind:     hidden_remainder_z
      - .offset:         168
        .size:           8
        .value_kind:     hidden_global_offset_x
      - .offset:         176
        .size:           8
        .value_kind:     hidden_global_offset_y
      - .offset:         184
        .size:           8
        .value_kind:     hidden_global_offset_z
      - .offset:         192
        .size:           2
        .value_kind:     hidden_grid_dims
      - .offset:         248
        .size:           4
        .value_kind:     hidden_dynamic_lds_size
    .group_segment_fixed_size: 784
    .kernarg_segment_align: 8
    .kernarg_segment_size: 384
    .language:       OpenCL C
    .language_version:
      - 2
      - 0
    .max_flat_workgroup_size: 1024
    .name:           _ZN4vllm25paged_attention_v1_kernelIffLi192ELi8ELi128ELNS_18Fp8KVCacheDataTypeE0ELb1EEEvPT_PKS2_PKT0_S8_ifPKiSA_iPKfiiiSC_SC_iiiii
    .private_segment_fixed_size: 0
    .sgpr_count:     50
    .sgpr_spill_count: 0
    .symbol:         _ZN4vllm25paged_attention_v1_kernelIffLi192ELi8ELi128ELNS_18Fp8KVCacheDataTypeE0ELb1EEEvPT_PKS2_PKT0_S8_ifPKiSA_iPKfiiiSC_SC_iiiii.kd
    .uniform_work_group_size: 1
    .uses_dynamic_stack: false
    .vgpr_count:     66
    .vgpr_spill_count: 0
    .wavefront_size: 64
  - .agpr_count:     0
    .args:
      - .actual_access:  write_only
        .address_space:  global
        .offset:         0
        .size:           8
        .value_kind:     global_buffer
      - .actual_access:  read_only
        .address_space:  global
        .offset:         8
        .size:           8
        .value_kind:     global_buffer
      - .actual_access:  read_only
        .address_space:  global
        .offset:         16
        .size:           8
        .value_kind:     global_buffer
      - .actual_access:  read_only
        .address_space:  global
        .offset:         24
        .size:           8
        .value_kind:     global_buffer
      - .offset:         32
        .size:           4
        .value_kind:     by_value
      - .offset:         36
        .size:           4
        .value_kind:     by_value
      - .actual_access:  read_only
        .address_space:  global
        .offset:         40
        .size:           8
        .value_kind:     global_buffer
      - .actual_access:  read_only
        .address_space:  global
        .offset:         48
        .size:           8
        .value_kind:     global_buffer
      - .offset:         56
        .size:           4
        .value_kind:     by_value
      - .actual_access:  read_only
        .address_space:  global
        .offset:         64
        .size:           8
        .value_kind:     global_buffer
      - .offset:         72
        .size:           4
        .value_kind:     by_value
      - .offset:         76
        .size:           4
        .value_kind:     by_value
      - .offset:         80
        .size:           4
        .value_kind:     by_value
      - .address_space:  global
        .offset:         88
        .size:           8
        .value_kind:     global_buffer
      - .address_space:  global
        .offset:         96
        .size:           8
        .value_kind:     global_buffer
      - .offset:         104
        .size:           4
        .value_kind:     by_value
      - .offset:         108
        .size:           4
        .value_kind:     by_value
      - .offset:         112
        .size:           4
        .value_kind:     by_value
      - .offset:         116
        .size:           4
        .value_kind:     by_value
      - .offset:         120
        .size:           4
        .value_kind:     by_value
      - .offset:         128
        .size:           4
        .value_kind:     hidden_block_count_x
      - .offset:         132
        .size:           4
        .value_kind:     hidden_block_count_y
      - .offset:         136
        .size:           4
        .value_kind:     hidden_block_count_z
      - .offset:         140
        .size:           2
        .value_kind:     hidden_group_size_x
      - .offset:         142
        .size:           2
        .value_kind:     hidden_group_size_y
      - .offset:         144
        .size:           2
        .value_kind:     hidden_group_size_z
      - .offset:         146
        .size:           2
        .value_kind:     hidden_remainder_x
      - .offset:         148
        .size:           2
        .value_kind:     hidden_remainder_y
      - .offset:         150
        .size:           2
        .value_kind:     hidden_remainder_z
      - .offset:         168
        .size:           8
        .value_kind:     hidden_global_offset_x
      - .offset:         176
        .size:           8
        .value_kind:     hidden_global_offset_y
      - .offset:         184
        .size:           8
        .value_kind:     hidden_global_offset_z
      - .offset:         192
        .size:           2
        .value_kind:     hidden_grid_dims
      - .offset:         248
        .size:           4
        .value_kind:     hidden_dynamic_lds_size
    .group_segment_fixed_size: 1040
    .kernarg_segment_align: 8
    .kernarg_segment_size: 384
    .language:       OpenCL C
    .language_version:
      - 2
      - 0
    .max_flat_workgroup_size: 1024
    .name:           _ZN4vllm25paged_attention_v1_kernelIffLi256ELi8ELi128ELNS_18Fp8KVCacheDataTypeE0ELb1EEEvPT_PKS2_PKT0_S8_ifPKiSA_iPKfiiiSC_SC_iiiii
    .private_segment_fixed_size: 0
    .sgpr_count:     50
    .sgpr_spill_count: 0
    .symbol:         _ZN4vllm25paged_attention_v1_kernelIffLi256ELi8ELi128ELNS_18Fp8KVCacheDataTypeE0ELb1EEEvPT_PKS2_PKT0_S8_ifPKiSA_iPKfiiiSC_SC_iiiii.kd
    .uniform_work_group_size: 1
    .uses_dynamic_stack: false
    .vgpr_count:     80
    .vgpr_spill_count: 0
    .wavefront_size: 64
  - .agpr_count:     0
    .args:
      - .actual_access:  write_only
        .address_space:  global
        .offset:         0
        .size:           8
        .value_kind:     global_buffer
      - .actual_access:  read_only
        .address_space:  global
        .offset:         8
        .size:           8
        .value_kind:     global_buffer
      - .actual_access:  read_only
        .address_space:  global
        .offset:         16
        .size:           8
        .value_kind:     global_buffer
      - .actual_access:  read_only
        .address_space:  global
        .offset:         24
        .size:           8
        .value_kind:     global_buffer
      - .offset:         32
        .size:           4
        .value_kind:     by_value
      - .offset:         36
        .size:           4
        .value_kind:     by_value
      - .actual_access:  read_only
        .address_space:  global
        .offset:         40
        .size:           8
        .value_kind:     global_buffer
      - .actual_access:  read_only
        .address_space:  global
        .offset:         48
        .size:           8
        .value_kind:     global_buffer
      - .offset:         56
        .size:           4
        .value_kind:     by_value
      - .actual_access:  read_only
        .address_space:  global
        .offset:         64
        .size:           8
        .value_kind:     global_buffer
      - .offset:         72
        .size:           4
        .value_kind:     by_value
      - .offset:         76
        .size:           4
        .value_kind:     by_value
      - .offset:         80
        .size:           4
        .value_kind:     by_value
      - .address_space:  global
        .offset:         88
        .size:           8
        .value_kind:     global_buffer
      - .address_space:  global
        .offset:         96
        .size:           8
        .value_kind:     global_buffer
      - .offset:         104
        .size:           4
        .value_kind:     by_value
      - .offset:         108
        .size:           4
        .value_kind:     by_value
      - .offset:         112
        .size:           4
        .value_kind:     by_value
      - .offset:         116
        .size:           4
        .value_kind:     by_value
      - .offset:         120
        .size:           4
        .value_kind:     by_value
      - .offset:         128
        .size:           4
        .value_kind:     hidden_block_count_x
      - .offset:         132
        .size:           4
        .value_kind:     hidden_block_count_y
      - .offset:         136
        .size:           4
        .value_kind:     hidden_block_count_z
      - .offset:         140
        .size:           2
        .value_kind:     hidden_group_size_x
      - .offset:         142
        .size:           2
        .value_kind:     hidden_group_size_y
      - .offset:         144
        .size:           2
        .value_kind:     hidden_group_size_z
      - .offset:         146
        .size:           2
        .value_kind:     hidden_remainder_x
      - .offset:         148
        .size:           2
        .value_kind:     hidden_remainder_y
      - .offset:         150
        .size:           2
        .value_kind:     hidden_remainder_z
      - .offset:         168
        .size:           8
        .value_kind:     hidden_global_offset_x
      - .offset:         176
        .size:           8
        .value_kind:     hidden_global_offset_y
      - .offset:         184
        .size:           8
        .value_kind:     hidden_global_offset_z
      - .offset:         192
        .size:           2
        .value_kind:     hidden_grid_dims
      - .offset:         248
        .size:           4
        .value_kind:     hidden_dynamic_lds_size
    .group_segment_fixed_size: 144
    .kernarg_segment_align: 8
    .kernarg_segment_size: 384
    .language:       OpenCL C
    .language_version:
      - 2
      - 0
    .max_flat_workgroup_size: 1024
    .name:           _ZN4vllm25paged_attention_v1_kernelIffLi32ELi8ELi128ELNS_18Fp8KVCacheDataTypeE0ELb0EEEvPT_PKS2_PKT0_S8_ifPKiSA_iPKfiiiSC_SC_iiiii
    .private_segment_fixed_size: 0
    .sgpr_count:     40
    .sgpr_spill_count: 0
    .symbol:         _ZN4vllm25paged_attention_v1_kernelIffLi32ELi8ELi128ELNS_18Fp8KVCacheDataTypeE0ELb0EEEvPT_PKS2_PKT0_S8_ifPKiSA_iPKfiiiSC_SC_iiiii.kd
    .uniform_work_group_size: 1
    .uses_dynamic_stack: false
    .vgpr_count:     27
    .vgpr_spill_count: 0
    .wavefront_size: 64
  - .agpr_count:     0
    .args:
      - .actual_access:  write_only
        .address_space:  global
        .offset:         0
        .size:           8
        .value_kind:     global_buffer
      - .actual_access:  read_only
        .address_space:  global
        .offset:         8
        .size:           8
        .value_kind:     global_buffer
      - .actual_access:  read_only
        .address_space:  global
        .offset:         16
        .size:           8
        .value_kind:     global_buffer
      - .actual_access:  read_only
        .address_space:  global
        .offset:         24
        .size:           8
        .value_kind:     global_buffer
      - .offset:         32
        .size:           4
        .value_kind:     by_value
      - .offset:         36
        .size:           4
        .value_kind:     by_value
      - .actual_access:  read_only
        .address_space:  global
        .offset:         40
        .size:           8
        .value_kind:     global_buffer
      - .actual_access:  read_only
        .address_space:  global
        .offset:         48
        .size:           8
        .value_kind:     global_buffer
      - .offset:         56
        .size:           4
        .value_kind:     by_value
      - .actual_access:  read_only
        .address_space:  global
        .offset:         64
        .size:           8
        .value_kind:     global_buffer
      - .offset:         72
        .size:           4
        .value_kind:     by_value
      - .offset:         76
        .size:           4
        .value_kind:     by_value
      - .offset:         80
        .size:           4
        .value_kind:     by_value
      - .address_space:  global
        .offset:         88
        .size:           8
        .value_kind:     global_buffer
      - .address_space:  global
        .offset:         96
        .size:           8
        .value_kind:     global_buffer
      - .offset:         104
        .size:           4
        .value_kind:     by_value
      - .offset:         108
        .size:           4
        .value_kind:     by_value
      - .offset:         112
        .size:           4
        .value_kind:     by_value
      - .offset:         116
        .size:           4
        .value_kind:     by_value
      - .offset:         120
        .size:           4
        .value_kind:     by_value
      - .offset:         128
        .size:           4
        .value_kind:     hidden_block_count_x
      - .offset:         132
        .size:           4
        .value_kind:     hidden_block_count_y
      - .offset:         136
        .size:           4
        .value_kind:     hidden_block_count_z
      - .offset:         140
        .size:           2
        .value_kind:     hidden_group_size_x
      - .offset:         142
        .size:           2
        .value_kind:     hidden_group_size_y
      - .offset:         144
        .size:           2
        .value_kind:     hidden_group_size_z
      - .offset:         146
        .size:           2
        .value_kind:     hidden_remainder_x
      - .offset:         148
        .size:           2
        .value_kind:     hidden_remainder_y
      - .offset:         150
        .size:           2
        .value_kind:     hidden_remainder_z
      - .offset:         168
        .size:           8
        .value_kind:     hidden_global_offset_x
      - .offset:         176
        .size:           8
        .value_kind:     hidden_global_offset_y
      - .offset:         184
        .size:           8
        .value_kind:     hidden_global_offset_z
      - .offset:         192
        .size:           2
        .value_kind:     hidden_grid_dims
      - .offset:         248
        .size:           4
        .value_kind:     hidden_dynamic_lds_size
    .group_segment_fixed_size: 272
    .kernarg_segment_align: 8
    .kernarg_segment_size: 384
    .language:       OpenCL C
    .language_version:
      - 2
      - 0
    .max_flat_workgroup_size: 1024
    .name:           _ZN4vllm25paged_attention_v1_kernelIffLi64ELi8ELi128ELNS_18Fp8KVCacheDataTypeE0ELb0EEEvPT_PKS2_PKT0_S8_ifPKiSA_iPKfiiiSC_SC_iiiii
    .private_segment_fixed_size: 0
    .sgpr_count:     42
    .sgpr_spill_count: 0
    .symbol:         _ZN4vllm25paged_attention_v1_kernelIffLi64ELi8ELi128ELNS_18Fp8KVCacheDataTypeE0ELb0EEEvPT_PKS2_PKT0_S8_ifPKiSA_iPKfiiiSC_SC_iiiii.kd
    .uniform_work_group_size: 1
    .uses_dynamic_stack: false
    .vgpr_count:     36
    .vgpr_spill_count: 0
    .wavefront_size: 64
  - .agpr_count:     0
    .args:
      - .actual_access:  write_only
        .address_space:  global
        .offset:         0
        .size:           8
        .value_kind:     global_buffer
      - .actual_access:  read_only
        .address_space:  global
        .offset:         8
        .size:           8
        .value_kind:     global_buffer
      - .actual_access:  read_only
        .address_space:  global
        .offset:         16
        .size:           8
        .value_kind:     global_buffer
      - .actual_access:  read_only
        .address_space:  global
        .offset:         24
        .size:           8
        .value_kind:     global_buffer
      - .offset:         32
        .size:           4
        .value_kind:     by_value
      - .offset:         36
        .size:           4
        .value_kind:     by_value
      - .actual_access:  read_only
        .address_space:  global
        .offset:         40
        .size:           8
        .value_kind:     global_buffer
      - .actual_access:  read_only
        .address_space:  global
        .offset:         48
        .size:           8
        .value_kind:     global_buffer
      - .offset:         56
        .size:           4
        .value_kind:     by_value
      - .actual_access:  read_only
        .address_space:  global
        .offset:         64
        .size:           8
        .value_kind:     global_buffer
      - .offset:         72
        .size:           4
        .value_kind:     by_value
      - .offset:         76
        .size:           4
        .value_kind:     by_value
      - .offset:         80
        .size:           4
        .value_kind:     by_value
      - .address_space:  global
        .offset:         88
        .size:           8
        .value_kind:     global_buffer
      - .address_space:  global
        .offset:         96
        .size:           8
        .value_kind:     global_buffer
      - .offset:         104
        .size:           4
        .value_kind:     by_value
      - .offset:         108
        .size:           4
        .value_kind:     by_value
      - .offset:         112
        .size:           4
        .value_kind:     by_value
      - .offset:         116
        .size:           4
        .value_kind:     by_value
      - .offset:         120
        .size:           4
        .value_kind:     by_value
      - .offset:         128
        .size:           4
        .value_kind:     hidden_block_count_x
      - .offset:         132
        .size:           4
        .value_kind:     hidden_block_count_y
      - .offset:         136
        .size:           4
        .value_kind:     hidden_block_count_z
      - .offset:         140
        .size:           2
        .value_kind:     hidden_group_size_x
      - .offset:         142
        .size:           2
        .value_kind:     hidden_group_size_y
      - .offset:         144
        .size:           2
        .value_kind:     hidden_group_size_z
      - .offset:         146
        .size:           2
        .value_kind:     hidden_remainder_x
      - .offset:         148
        .size:           2
        .value_kind:     hidden_remainder_y
      - .offset:         150
        .size:           2
        .value_kind:     hidden_remainder_z
      - .offset:         168
        .size:           8
        .value_kind:     hidden_global_offset_x
      - .offset:         176
        .size:           8
        .value_kind:     hidden_global_offset_y
      - .offset:         184
        .size:           8
        .value_kind:     hidden_global_offset_z
      - .offset:         192
        .size:           2
        .value_kind:     hidden_grid_dims
      - .offset:         248
        .size:           4
        .value_kind:     hidden_dynamic_lds_size
    .group_segment_fixed_size: 336
    .kernarg_segment_align: 8
    .kernarg_segment_size: 384
    .language:       OpenCL C
    .language_version:
      - 2
      - 0
    .max_flat_workgroup_size: 1024
    .name:           _ZN4vllm25paged_attention_v1_kernelIffLi80ELi8ELi128ELNS_18Fp8KVCacheDataTypeE0ELb0EEEvPT_PKS2_PKT0_S8_ifPKiSA_iPKfiiiSC_SC_iiiii
    .private_segment_fixed_size: 0
    .sgpr_count:     40
    .sgpr_spill_count: 0
    .symbol:         _ZN4vllm25paged_attention_v1_kernelIffLi80ELi8ELi128ELNS_18Fp8KVCacheDataTypeE0ELb0EEEvPT_PKS2_PKT0_S8_ifPKiSA_iPKfiiiSC_SC_iiiii.kd
    .uniform_work_group_size: 1
    .uses_dynamic_stack: false
    .vgpr_count:     40
    .vgpr_spill_count: 0
    .wavefront_size: 64
  - .agpr_count:     0
    .args:
      - .actual_access:  write_only
        .address_space:  global
        .offset:         0
        .size:           8
        .value_kind:     global_buffer
      - .actual_access:  read_only
        .address_space:  global
        .offset:         8
        .size:           8
        .value_kind:     global_buffer
      - .actual_access:  read_only
        .address_space:  global
        .offset:         16
        .size:           8
        .value_kind:     global_buffer
      - .actual_access:  read_only
        .address_space:  global
        .offset:         24
        .size:           8
        .value_kind:     global_buffer
      - .offset:         32
        .size:           4
        .value_kind:     by_value
      - .offset:         36
        .size:           4
        .value_kind:     by_value
      - .actual_access:  read_only
        .address_space:  global
        .offset:         40
        .size:           8
        .value_kind:     global_buffer
      - .actual_access:  read_only
        .address_space:  global
        .offset:         48
        .size:           8
        .value_kind:     global_buffer
      - .offset:         56
        .size:           4
        .value_kind:     by_value
      - .actual_access:  read_only
        .address_space:  global
        .offset:         64
        .size:           8
        .value_kind:     global_buffer
      - .offset:         72
        .size:           4
        .value_kind:     by_value
      - .offset:         76
        .size:           4
        .value_kind:     by_value
      - .offset:         80
        .size:           4
        .value_kind:     by_value
      - .address_space:  global
        .offset:         88
        .size:           8
        .value_kind:     global_buffer
      - .address_space:  global
        .offset:         96
        .size:           8
        .value_kind:     global_buffer
      - .offset:         104
        .size:           4
        .value_kind:     by_value
      - .offset:         108
        .size:           4
        .value_kind:     by_value
      - .offset:         112
        .size:           4
        .value_kind:     by_value
      - .offset:         116
        .size:           4
        .value_kind:     by_value
      - .offset:         120
        .size:           4
        .value_kind:     by_value
      - .offset:         128
        .size:           4
        .value_kind:     hidden_block_count_x
      - .offset:         132
        .size:           4
        .value_kind:     hidden_block_count_y
      - .offset:         136
        .size:           4
        .value_kind:     hidden_block_count_z
      - .offset:         140
        .size:           2
        .value_kind:     hidden_group_size_x
      - .offset:         142
        .size:           2
        .value_kind:     hidden_group_size_y
      - .offset:         144
        .size:           2
        .value_kind:     hidden_group_size_z
      - .offset:         146
        .size:           2
        .value_kind:     hidden_remainder_x
      - .offset:         148
        .size:           2
        .value_kind:     hidden_remainder_y
      - .offset:         150
        .size:           2
        .value_kind:     hidden_remainder_z
      - .offset:         168
        .size:           8
        .value_kind:     hidden_global_offset_x
      - .offset:         176
        .size:           8
        .value_kind:     hidden_global_offset_y
      - .offset:         184
        .size:           8
        .value_kind:     hidden_global_offset_z
      - .offset:         192
        .size:           2
        .value_kind:     hidden_grid_dims
      - .offset:         248
        .size:           4
        .value_kind:     hidden_dynamic_lds_size
    .group_segment_fixed_size: 400
    .kernarg_segment_align: 8
    .kernarg_segment_size: 384
    .language:       OpenCL C
    .language_version:
      - 2
      - 0
    .max_flat_workgroup_size: 1024
    .name:           _ZN4vllm25paged_attention_v1_kernelIffLi96ELi8ELi128ELNS_18Fp8KVCacheDataTypeE0ELb0EEEvPT_PKS2_PKT0_S8_ifPKiSA_iPKfiiiSC_SC_iiiii
    .private_segment_fixed_size: 0
    .sgpr_count:     40
    .sgpr_spill_count: 0
    .symbol:         _ZN4vllm25paged_attention_v1_kernelIffLi96ELi8ELi128ELNS_18Fp8KVCacheDataTypeE0ELb0EEEvPT_PKS2_PKT0_S8_ifPKiSA_iPKfiiiSC_SC_iiiii.kd
    .uniform_work_group_size: 1
    .uses_dynamic_stack: false
    .vgpr_count:     44
    .vgpr_spill_count: 0
    .wavefront_size: 64
  - .agpr_count:     0
    .args:
      - .actual_access:  write_only
        .address_space:  global
        .offset:         0
        .size:           8
        .value_kind:     global_buffer
      - .actual_access:  read_only
        .address_space:  global
        .offset:         8
        .size:           8
        .value_kind:     global_buffer
      - .actual_access:  read_only
        .address_space:  global
        .offset:         16
        .size:           8
        .value_kind:     global_buffer
      - .actual_access:  read_only
        .address_space:  global
        .offset:         24
        .size:           8
        .value_kind:     global_buffer
      - .offset:         32
        .size:           4
        .value_kind:     by_value
      - .offset:         36
        .size:           4
        .value_kind:     by_value
      - .actual_access:  read_only
        .address_space:  global
        .offset:         40
        .size:           8
        .value_kind:     global_buffer
      - .actual_access:  read_only
        .address_space:  global
        .offset:         48
        .size:           8
        .value_kind:     global_buffer
      - .offset:         56
        .size:           4
        .value_kind:     by_value
      - .actual_access:  read_only
        .address_space:  global
        .offset:         64
        .size:           8
        .value_kind:     global_buffer
      - .offset:         72
        .size:           4
        .value_kind:     by_value
      - .offset:         76
        .size:           4
        .value_kind:     by_value
      - .offset:         80
        .size:           4
        .value_kind:     by_value
      - .address_space:  global
        .offset:         88
        .size:           8
        .value_kind:     global_buffer
      - .address_space:  global
        .offset:         96
        .size:           8
        .value_kind:     global_buffer
      - .offset:         104
        .size:           4
        .value_kind:     by_value
      - .offset:         108
        .size:           4
        .value_kind:     by_value
      - .offset:         112
        .size:           4
        .value_kind:     by_value
      - .offset:         116
        .size:           4
        .value_kind:     by_value
      - .offset:         120
        .size:           4
        .value_kind:     by_value
      - .offset:         128
        .size:           4
        .value_kind:     hidden_block_count_x
      - .offset:         132
        .size:           4
        .value_kind:     hidden_block_count_y
      - .offset:         136
        .size:           4
        .value_kind:     hidden_block_count_z
      - .offset:         140
        .size:           2
        .value_kind:     hidden_group_size_x
      - .offset:         142
        .size:           2
        .value_kind:     hidden_group_size_y
      - .offset:         144
        .size:           2
        .value_kind:     hidden_group_size_z
      - .offset:         146
        .size:           2
        .value_kind:     hidden_remainder_x
      - .offset:         148
        .size:           2
        .value_kind:     hidden_remainder_y
      - .offset:         150
        .size:           2
        .value_kind:     hidden_remainder_z
      - .offset:         168
        .size:           8
        .value_kind:     hidden_global_offset_x
      - .offset:         176
        .size:           8
        .value_kind:     hidden_global_offset_y
      - .offset:         184
        .size:           8
        .value_kind:     hidden_global_offset_z
      - .offset:         192
        .size:           2
        .value_kind:     hidden_grid_dims
      - .offset:         248
        .size:           4
        .value_kind:     hidden_dynamic_lds_size
    .group_segment_fixed_size: 464
    .kernarg_segment_align: 8
    .kernarg_segment_size: 384
    .language:       OpenCL C
    .language_version:
      - 2
      - 0
    .max_flat_workgroup_size: 1024
    .name:           _ZN4vllm25paged_attention_v1_kernelIffLi112ELi8ELi128ELNS_18Fp8KVCacheDataTypeE0ELb0EEEvPT_PKS2_PKT0_S8_ifPKiSA_iPKfiiiSC_SC_iiiii
    .private_segment_fixed_size: 0
    .sgpr_count:     40
    .sgpr_spill_count: 0
    .symbol:         _ZN4vllm25paged_attention_v1_kernelIffLi112ELi8ELi128ELNS_18Fp8KVCacheDataTypeE0ELb0EEEvPT_PKS2_PKT0_S8_ifPKiSA_iPKfiiiSC_SC_iiiii.kd
    .uniform_work_group_size: 1
    .uses_dynamic_stack: false
    .vgpr_count:     48
    .vgpr_spill_count: 0
    .wavefront_size: 64
  - .agpr_count:     0
    .args:
      - .actual_access:  write_only
        .address_space:  global
        .offset:         0
        .size:           8
        .value_kind:     global_buffer
      - .actual_access:  read_only
        .address_space:  global
        .offset:         8
        .size:           8
        .value_kind:     global_buffer
      - .actual_access:  read_only
        .address_space:  global
        .offset:         16
        .size:           8
        .value_kind:     global_buffer
      - .actual_access:  read_only
        .address_space:  global
        .offset:         24
        .size:           8
        .value_kind:     global_buffer
      - .offset:         32
        .size:           4
        .value_kind:     by_value
      - .offset:         36
        .size:           4
        .value_kind:     by_value
      - .actual_access:  read_only
        .address_space:  global
        .offset:         40
        .size:           8
        .value_kind:     global_buffer
      - .actual_access:  read_only
        .address_space:  global
        .offset:         48
        .size:           8
        .value_kind:     global_buffer
      - .offset:         56
        .size:           4
        .value_kind:     by_value
      - .actual_access:  read_only
        .address_space:  global
        .offset:         64
        .size:           8
        .value_kind:     global_buffer
      - .offset:         72
        .size:           4
        .value_kind:     by_value
      - .offset:         76
        .size:           4
        .value_kind:     by_value
      - .offset:         80
        .size:           4
        .value_kind:     by_value
      - .address_space:  global
        .offset:         88
        .size:           8
        .value_kind:     global_buffer
      - .address_space:  global
        .offset:         96
        .size:           8
        .value_kind:     global_buffer
      - .offset:         104
        .size:           4
        .value_kind:     by_value
      - .offset:         108
        .size:           4
        .value_kind:     by_value
      - .offset:         112
        .size:           4
        .value_kind:     by_value
      - .offset:         116
        .size:           4
        .value_kind:     by_value
      - .offset:         120
        .size:           4
        .value_kind:     by_value
      - .offset:         128
        .size:           4
        .value_kind:     hidden_block_count_x
      - .offset:         132
        .size:           4
        .value_kind:     hidden_block_count_y
      - .offset:         136
        .size:           4
        .value_kind:     hidden_block_count_z
      - .offset:         140
        .size:           2
        .value_kind:     hidden_group_size_x
      - .offset:         142
        .size:           2
        .value_kind:     hidden_group_size_y
      - .offset:         144
        .size:           2
        .value_kind:     hidden_group_size_z
      - .offset:         146
        .size:           2
        .value_kind:     hidden_remainder_x
      - .offset:         148
        .size:           2
        .value_kind:     hidden_remainder_y
      - .offset:         150
        .size:           2
        .value_kind:     hidden_remainder_z
      - .offset:         168
        .size:           8
        .value_kind:     hidden_global_offset_x
      - .offset:         176
        .size:           8
        .value_kind:     hidden_global_offset_y
      - .offset:         184
        .size:           8
        .value_kind:     hidden_global_offset_z
      - .offset:         192
        .size:           2
        .value_kind:     hidden_grid_dims
      - .offset:         248
        .size:           4
        .value_kind:     hidden_dynamic_lds_size
    .group_segment_fixed_size: 496
    .kernarg_segment_align: 8
    .kernarg_segment_size: 384
    .language:       OpenCL C
    .language_version:
      - 2
      - 0
    .max_flat_workgroup_size: 1024
    .name:           _ZN4vllm25paged_attention_v1_kernelIffLi120ELi8ELi128ELNS_18Fp8KVCacheDataTypeE0ELb0EEEvPT_PKS2_PKT0_S8_ifPKiSA_iPKfiiiSC_SC_iiiii
    .private_segment_fixed_size: 0
    .sgpr_count:     40
    .sgpr_spill_count: 0
    .symbol:         _ZN4vllm25paged_attention_v1_kernelIffLi120ELi8ELi128ELNS_18Fp8KVCacheDataTypeE0ELb0EEEvPT_PKS2_PKT0_S8_ifPKiSA_iPKfiiiSC_SC_iiiii.kd
    .uniform_work_group_size: 1
    .uses_dynamic_stack: false
    .vgpr_count:     50
    .vgpr_spill_count: 0
    .wavefront_size: 64
  - .agpr_count:     0
    .args:
      - .actual_access:  write_only
        .address_space:  global
        .offset:         0
        .size:           8
        .value_kind:     global_buffer
      - .actual_access:  read_only
        .address_space:  global
        .offset:         8
        .size:           8
        .value_kind:     global_buffer
      - .actual_access:  read_only
        .address_space:  global
        .offset:         16
        .size:           8
        .value_kind:     global_buffer
      - .actual_access:  read_only
        .address_space:  global
        .offset:         24
        .size:           8
        .value_kind:     global_buffer
      - .offset:         32
        .size:           4
        .value_kind:     by_value
      - .offset:         36
        .size:           4
        .value_kind:     by_value
      - .actual_access:  read_only
        .address_space:  global
        .offset:         40
        .size:           8
        .value_kind:     global_buffer
      - .actual_access:  read_only
        .address_space:  global
        .offset:         48
        .size:           8
        .value_kind:     global_buffer
      - .offset:         56
        .size:           4
        .value_kind:     by_value
      - .actual_access:  read_only
        .address_space:  global
        .offset:         64
        .size:           8
        .value_kind:     global_buffer
      - .offset:         72
        .size:           4
        .value_kind:     by_value
      - .offset:         76
        .size:           4
        .value_kind:     by_value
      - .offset:         80
        .size:           4
        .value_kind:     by_value
      - .address_space:  global
        .offset:         88
        .size:           8
        .value_kind:     global_buffer
      - .address_space:  global
        .offset:         96
        .size:           8
        .value_kind:     global_buffer
      - .offset:         104
        .size:           4
        .value_kind:     by_value
      - .offset:         108
        .size:           4
        .value_kind:     by_value
      - .offset:         112
        .size:           4
        .value_kind:     by_value
      - .offset:         116
        .size:           4
        .value_kind:     by_value
      - .offset:         120
        .size:           4
        .value_kind:     by_value
      - .offset:         128
        .size:           4
        .value_kind:     hidden_block_count_x
      - .offset:         132
        .size:           4
        .value_kind:     hidden_block_count_y
      - .offset:         136
        .size:           4
        .value_kind:     hidden_block_count_z
      - .offset:         140
        .size:           2
        .value_kind:     hidden_group_size_x
      - .offset:         142
        .size:           2
        .value_kind:     hidden_group_size_y
      - .offset:         144
        .size:           2
        .value_kind:     hidden_group_size_z
      - .offset:         146
        .size:           2
        .value_kind:     hidden_remainder_x
      - .offset:         148
        .size:           2
        .value_kind:     hidden_remainder_y
      - .offset:         150
        .size:           2
        .value_kind:     hidden_remainder_z
      - .offset:         168
        .size:           8
        .value_kind:     hidden_global_offset_x
      - .offset:         176
        .size:           8
        .value_kind:     hidden_global_offset_y
      - .offset:         184
        .size:           8
        .value_kind:     hidden_global_offset_z
      - .offset:         192
        .size:           2
        .value_kind:     hidden_grid_dims
      - .offset:         248
        .size:           4
        .value_kind:     hidden_dynamic_lds_size
    .group_segment_fixed_size: 528
    .kernarg_segment_align: 8
    .kernarg_segment_size: 384
    .language:       OpenCL C
    .language_version:
      - 2
      - 0
    .max_flat_workgroup_size: 1024
    .name:           _ZN4vllm25paged_attention_v1_kernelIffLi128ELi8ELi128ELNS_18Fp8KVCacheDataTypeE0ELb0EEEvPT_PKS2_PKT0_S8_ifPKiSA_iPKfiiiSC_SC_iiiii
    .private_segment_fixed_size: 0
    .sgpr_count:     40
    .sgpr_spill_count: 0
    .symbol:         _ZN4vllm25paged_attention_v1_kernelIffLi128ELi8ELi128ELNS_18Fp8KVCacheDataTypeE0ELb0EEEvPT_PKS2_PKT0_S8_ifPKiSA_iPKfiiiSC_SC_iiiii.kd
    .uniform_work_group_size: 1
    .uses_dynamic_stack: false
    .vgpr_count:     51
    .vgpr_spill_count: 0
    .wavefront_size: 64
  - .agpr_count:     0
    .args:
      - .actual_access:  write_only
        .address_space:  global
        .offset:         0
        .size:           8
        .value_kind:     global_buffer
      - .actual_access:  read_only
        .address_space:  global
        .offset:         8
        .size:           8
        .value_kind:     global_buffer
      - .actual_access:  read_only
        .address_space:  global
        .offset:         16
        .size:           8
        .value_kind:     global_buffer
      - .actual_access:  read_only
        .address_space:  global
        .offset:         24
        .size:           8
        .value_kind:     global_buffer
      - .offset:         32
        .size:           4
        .value_kind:     by_value
      - .offset:         36
        .size:           4
        .value_kind:     by_value
      - .actual_access:  read_only
        .address_space:  global
        .offset:         40
        .size:           8
        .value_kind:     global_buffer
      - .actual_access:  read_only
        .address_space:  global
        .offset:         48
        .size:           8
        .value_kind:     global_buffer
      - .offset:         56
        .size:           4
        .value_kind:     by_value
      - .actual_access:  read_only
        .address_space:  global
        .offset:         64
        .size:           8
        .value_kind:     global_buffer
      - .offset:         72
        .size:           4
        .value_kind:     by_value
      - .offset:         76
        .size:           4
        .value_kind:     by_value
      - .offset:         80
        .size:           4
        .value_kind:     by_value
      - .address_space:  global
        .offset:         88
        .size:           8
        .value_kind:     global_buffer
      - .address_space:  global
        .offset:         96
        .size:           8
        .value_kind:     global_buffer
      - .offset:         104
        .size:           4
        .value_kind:     by_value
      - .offset:         108
        .size:           4
        .value_kind:     by_value
      - .offset:         112
        .size:           4
        .value_kind:     by_value
      - .offset:         116
        .size:           4
        .value_kind:     by_value
      - .offset:         120
        .size:           4
        .value_kind:     by_value
      - .offset:         128
        .size:           4
        .value_kind:     hidden_block_count_x
      - .offset:         132
        .size:           4
        .value_kind:     hidden_block_count_y
      - .offset:         136
        .size:           4
        .value_kind:     hidden_block_count_z
      - .offset:         140
        .size:           2
        .value_kind:     hidden_group_size_x
      - .offset:         142
        .size:           2
        .value_kind:     hidden_group_size_y
      - .offset:         144
        .size:           2
        .value_kind:     hidden_group_size_z
      - .offset:         146
        .size:           2
        .value_kind:     hidden_remainder_x
      - .offset:         148
        .size:           2
        .value_kind:     hidden_remainder_y
      - .offset:         150
        .size:           2
        .value_kind:     hidden_remainder_z
      - .offset:         168
        .size:           8
        .value_kind:     hidden_global_offset_x
      - .offset:         176
        .size:           8
        .value_kind:     hidden_global_offset_y
      - .offset:         184
        .size:           8
        .value_kind:     hidden_global_offset_z
      - .offset:         192
        .size:           2
        .value_kind:     hidden_grid_dims
      - .offset:         248
        .size:           4
        .value_kind:     hidden_dynamic_lds_size
    .group_segment_fixed_size: 784
    .kernarg_segment_align: 8
    .kernarg_segment_size: 384
    .language:       OpenCL C
    .language_version:
      - 2
      - 0
    .max_flat_workgroup_size: 1024
    .name:           _ZN4vllm25paged_attention_v1_kernelIffLi192ELi8ELi128ELNS_18Fp8KVCacheDataTypeE0ELb0EEEvPT_PKS2_PKT0_S8_ifPKiSA_iPKfiiiSC_SC_iiiii
    .private_segment_fixed_size: 0
    .sgpr_count:     44
    .sgpr_spill_count: 0
    .symbol:         _ZN4vllm25paged_attention_v1_kernelIffLi192ELi8ELi128ELNS_18Fp8KVCacheDataTypeE0ELb0EEEvPT_PKS2_PKT0_S8_ifPKiSA_iPKfiiiSC_SC_iiiii.kd
    .uniform_work_group_size: 1
    .uses_dynamic_stack: false
    .vgpr_count:     90
    .vgpr_spill_count: 0
    .wavefront_size: 64
  - .agpr_count:     0
    .args:
      - .actual_access:  write_only
        .address_space:  global
        .offset:         0
        .size:           8
        .value_kind:     global_buffer
      - .actual_access:  read_only
        .address_space:  global
        .offset:         8
        .size:           8
        .value_kind:     global_buffer
      - .actual_access:  read_only
        .address_space:  global
        .offset:         16
        .size:           8
        .value_kind:     global_buffer
      - .actual_access:  read_only
        .address_space:  global
        .offset:         24
        .size:           8
        .value_kind:     global_buffer
      - .offset:         32
        .size:           4
        .value_kind:     by_value
      - .offset:         36
        .size:           4
        .value_kind:     by_value
      - .actual_access:  read_only
        .address_space:  global
        .offset:         40
        .size:           8
        .value_kind:     global_buffer
      - .actual_access:  read_only
        .address_space:  global
        .offset:         48
        .size:           8
        .value_kind:     global_buffer
      - .offset:         56
        .size:           4
        .value_kind:     by_value
      - .actual_access:  read_only
        .address_space:  global
        .offset:         64
        .size:           8
        .value_kind:     global_buffer
      - .offset:         72
        .size:           4
        .value_kind:     by_value
      - .offset:         76
        .size:           4
        .value_kind:     by_value
      - .offset:         80
        .size:           4
        .value_kind:     by_value
      - .address_space:  global
        .offset:         88
        .size:           8
        .value_kind:     global_buffer
      - .address_space:  global
        .offset:         96
        .size:           8
        .value_kind:     global_buffer
      - .offset:         104
        .size:           4
        .value_kind:     by_value
      - .offset:         108
        .size:           4
        .value_kind:     by_value
      - .offset:         112
        .size:           4
        .value_kind:     by_value
      - .offset:         116
        .size:           4
        .value_kind:     by_value
      - .offset:         120
        .size:           4
        .value_kind:     by_value
      - .offset:         128
        .size:           4
        .value_kind:     hidden_block_count_x
      - .offset:         132
        .size:           4
        .value_kind:     hidden_block_count_y
      - .offset:         136
        .size:           4
        .value_kind:     hidden_block_count_z
      - .offset:         140
        .size:           2
        .value_kind:     hidden_group_size_x
      - .offset:         142
        .size:           2
        .value_kind:     hidden_group_size_y
      - .offset:         144
        .size:           2
        .value_kind:     hidden_group_size_z
      - .offset:         146
        .size:           2
        .value_kind:     hidden_remainder_x
      - .offset:         148
        .size:           2
        .value_kind:     hidden_remainder_y
      - .offset:         150
        .size:           2
        .value_kind:     hidden_remainder_z
      - .offset:         168
        .size:           8
        .value_kind:     hidden_global_offset_x
      - .offset:         176
        .size:           8
        .value_kind:     hidden_global_offset_y
      - .offset:         184
        .size:           8
        .value_kind:     hidden_global_offset_z
      - .offset:         192
        .size:           2
        .value_kind:     hidden_grid_dims
      - .offset:         248
        .size:           4
        .value_kind:     hidden_dynamic_lds_size
    .group_segment_fixed_size: 1040
    .kernarg_segment_align: 8
    .kernarg_segment_size: 384
    .language:       OpenCL C
    .language_version:
      - 2
      - 0
    .max_flat_workgroup_size: 1024
    .name:           _ZN4vllm25paged_attention_v1_kernelIffLi256ELi8ELi128ELNS_18Fp8KVCacheDataTypeE0ELb0EEEvPT_PKS2_PKT0_S8_ifPKiSA_iPKfiiiSC_SC_iiiii
    .private_segment_fixed_size: 0
    .sgpr_count:     44
    .sgpr_spill_count: 0
    .symbol:         _ZN4vllm25paged_attention_v1_kernelIffLi256ELi8ELi128ELNS_18Fp8KVCacheDataTypeE0ELb0EEEvPT_PKS2_PKT0_S8_ifPKiSA_iPKfiiiSC_SC_iiiii.kd
    .uniform_work_group_size: 1
    .uses_dynamic_stack: false
    .vgpr_count:     116
    .vgpr_spill_count: 0
    .wavefront_size: 64
  - .agpr_count:     0
    .args:
      - .actual_access:  write_only
        .address_space:  global
        .offset:         0
        .size:           8
        .value_kind:     global_buffer
      - .actual_access:  read_only
        .address_space:  global
        .offset:         8
        .size:           8
        .value_kind:     global_buffer
      - .actual_access:  read_only
        .address_space:  global
        .offset:         16
        .size:           8
        .value_kind:     global_buffer
      - .actual_access:  read_only
        .address_space:  global
        .offset:         24
        .size:           8
        .value_kind:     global_buffer
      - .offset:         32
        .size:           4
        .value_kind:     by_value
      - .offset:         36
        .size:           4
        .value_kind:     by_value
      - .actual_access:  read_only
        .address_space:  global
        .offset:         40
        .size:           8
        .value_kind:     global_buffer
      - .actual_access:  read_only
        .address_space:  global
        .offset:         48
        .size:           8
        .value_kind:     global_buffer
      - .offset:         56
        .size:           4
        .value_kind:     by_value
      - .actual_access:  read_only
        .address_space:  global
        .offset:         64
        .size:           8
        .value_kind:     global_buffer
      - .offset:         72
        .size:           4
        .value_kind:     by_value
      - .offset:         76
        .size:           4
        .value_kind:     by_value
      - .offset:         80
        .size:           4
        .value_kind:     by_value
      - .address_space:  global
        .offset:         88
        .size:           8
        .value_kind:     global_buffer
      - .address_space:  global
        .offset:         96
        .size:           8
        .value_kind:     global_buffer
      - .offset:         104
        .size:           4
        .value_kind:     by_value
      - .offset:         108
        .size:           4
        .value_kind:     by_value
      - .offset:         112
        .size:           4
        .value_kind:     by_value
      - .offset:         116
        .size:           4
        .value_kind:     by_value
      - .offset:         120
        .size:           4
        .value_kind:     by_value
      - .offset:         128
        .size:           4
        .value_kind:     hidden_block_count_x
      - .offset:         132
        .size:           4
        .value_kind:     hidden_block_count_y
      - .offset:         136
        .size:           4
        .value_kind:     hidden_block_count_z
      - .offset:         140
        .size:           2
        .value_kind:     hidden_group_size_x
      - .offset:         142
        .size:           2
        .value_kind:     hidden_group_size_y
      - .offset:         144
        .size:           2
        .value_kind:     hidden_group_size_z
      - .offset:         146
        .size:           2
        .value_kind:     hidden_remainder_x
      - .offset:         148
        .size:           2
        .value_kind:     hidden_remainder_y
      - .offset:         150
        .size:           2
        .value_kind:     hidden_remainder_z
      - .offset:         168
        .size:           8
        .value_kind:     hidden_global_offset_x
      - .offset:         176
        .size:           8
        .value_kind:     hidden_global_offset_y
      - .offset:         184
        .size:           8
        .value_kind:     hidden_global_offset_z
      - .offset:         192
        .size:           2
        .value_kind:     hidden_grid_dims
      - .offset:         248
        .size:           4
        .value_kind:     hidden_dynamic_lds_size
    .group_segment_fixed_size: 144
    .kernarg_segment_align: 8
    .kernarg_segment_size: 384
    .language:       OpenCL C
    .language_version:
      - 2
      - 0
    .max_flat_workgroup_size: 1024
    .name:           _ZN4vllm25paged_attention_v1_kernelIffLi32ELi16ELi128ELNS_18Fp8KVCacheDataTypeE0ELb1EEEvPT_PKS2_PKT0_S8_ifPKiSA_iPKfiiiSC_SC_iiiii
    .private_segment_fixed_size: 0
    .sgpr_count:     50
    .sgpr_spill_count: 0
    .symbol:         _ZN4vllm25paged_attention_v1_kernelIffLi32ELi16ELi128ELNS_18Fp8KVCacheDataTypeE0ELb1EEEvPT_PKS2_PKT0_S8_ifPKiSA_iPKfiiiSC_SC_iiiii.kd
    .uniform_work_group_size: 1
    .uses_dynamic_stack: false
    .vgpr_count:     43
    .vgpr_spill_count: 0
    .wavefront_size: 64
  - .agpr_count:     0
    .args:
      - .actual_access:  write_only
        .address_space:  global
        .offset:         0
        .size:           8
        .value_kind:     global_buffer
      - .actual_access:  read_only
        .address_space:  global
        .offset:         8
        .size:           8
        .value_kind:     global_buffer
      - .actual_access:  read_only
        .address_space:  global
        .offset:         16
        .size:           8
        .value_kind:     global_buffer
      - .actual_access:  read_only
        .address_space:  global
        .offset:         24
        .size:           8
        .value_kind:     global_buffer
      - .offset:         32
        .size:           4
        .value_kind:     by_value
      - .offset:         36
        .size:           4
        .value_kind:     by_value
      - .actual_access:  read_only
        .address_space:  global
        .offset:         40
        .size:           8
        .value_kind:     global_buffer
      - .actual_access:  read_only
        .address_space:  global
        .offset:         48
        .size:           8
        .value_kind:     global_buffer
      - .offset:         56
        .size:           4
        .value_kind:     by_value
      - .actual_access:  read_only
        .address_space:  global
        .offset:         64
        .size:           8
        .value_kind:     global_buffer
      - .offset:         72
        .size:           4
        .value_kind:     by_value
      - .offset:         76
        .size:           4
        .value_kind:     by_value
      - .offset:         80
        .size:           4
        .value_kind:     by_value
      - .address_space:  global
        .offset:         88
        .size:           8
        .value_kind:     global_buffer
      - .address_space:  global
        .offset:         96
        .size:           8
        .value_kind:     global_buffer
      - .offset:         104
        .size:           4
        .value_kind:     by_value
      - .offset:         108
        .size:           4
        .value_kind:     by_value
      - .offset:         112
        .size:           4
        .value_kind:     by_value
      - .offset:         116
        .size:           4
        .value_kind:     by_value
      - .offset:         120
        .size:           4
        .value_kind:     by_value
      - .offset:         128
        .size:           4
        .value_kind:     hidden_block_count_x
      - .offset:         132
        .size:           4
        .value_kind:     hidden_block_count_y
      - .offset:         136
        .size:           4
        .value_kind:     hidden_block_count_z
      - .offset:         140
        .size:           2
        .value_kind:     hidden_group_size_x
      - .offset:         142
        .size:           2
        .value_kind:     hidden_group_size_y
      - .offset:         144
        .size:           2
        .value_kind:     hidden_group_size_z
      - .offset:         146
        .size:           2
        .value_kind:     hidden_remainder_x
      - .offset:         148
        .size:           2
        .value_kind:     hidden_remainder_y
      - .offset:         150
        .size:           2
        .value_kind:     hidden_remainder_z
      - .offset:         168
        .size:           8
        .value_kind:     hidden_global_offset_x
      - .offset:         176
        .size:           8
        .value_kind:     hidden_global_offset_y
      - .offset:         184
        .size:           8
        .value_kind:     hidden_global_offset_z
      - .offset:         192
        .size:           2
        .value_kind:     hidden_grid_dims
      - .offset:         248
        .size:           4
        .value_kind:     hidden_dynamic_lds_size
    .group_segment_fixed_size: 272
    .kernarg_segment_align: 8
    .kernarg_segment_size: 384
    .language:       OpenCL C
    .language_version:
      - 2
      - 0
    .max_flat_workgroup_size: 1024
    .name:           _ZN4vllm25paged_attention_v1_kernelIffLi64ELi16ELi128ELNS_18Fp8KVCacheDataTypeE0ELb1EEEvPT_PKS2_PKT0_S8_ifPKiSA_iPKfiiiSC_SC_iiiii
    .private_segment_fixed_size: 0
    .sgpr_count:     52
    .sgpr_spill_count: 0
    .symbol:         _ZN4vllm25paged_attention_v1_kernelIffLi64ELi16ELi128ELNS_18Fp8KVCacheDataTypeE0ELb1EEEvPT_PKS2_PKT0_S8_ifPKiSA_iPKfiiiSC_SC_iiiii.kd
    .uniform_work_group_size: 1
    .uses_dynamic_stack: false
    .vgpr_count:     59
    .vgpr_spill_count: 0
    .wavefront_size: 64
  - .agpr_count:     0
    .args:
      - .actual_access:  write_only
        .address_space:  global
        .offset:         0
        .size:           8
        .value_kind:     global_buffer
      - .actual_access:  read_only
        .address_space:  global
        .offset:         8
        .size:           8
        .value_kind:     global_buffer
      - .actual_access:  read_only
        .address_space:  global
        .offset:         16
        .size:           8
        .value_kind:     global_buffer
      - .actual_access:  read_only
        .address_space:  global
        .offset:         24
        .size:           8
        .value_kind:     global_buffer
      - .offset:         32
        .size:           4
        .value_kind:     by_value
      - .offset:         36
        .size:           4
        .value_kind:     by_value
      - .actual_access:  read_only
        .address_space:  global
        .offset:         40
        .size:           8
        .value_kind:     global_buffer
      - .actual_access:  read_only
        .address_space:  global
        .offset:         48
        .size:           8
        .value_kind:     global_buffer
      - .offset:         56
        .size:           4
        .value_kind:     by_value
      - .actual_access:  read_only
        .address_space:  global
        .offset:         64
        .size:           8
        .value_kind:     global_buffer
      - .offset:         72
        .size:           4
        .value_kind:     by_value
      - .offset:         76
        .size:           4
        .value_kind:     by_value
      - .offset:         80
        .size:           4
        .value_kind:     by_value
      - .address_space:  global
        .offset:         88
        .size:           8
        .value_kind:     global_buffer
      - .address_space:  global
        .offset:         96
        .size:           8
        .value_kind:     global_buffer
      - .offset:         104
        .size:           4
        .value_kind:     by_value
      - .offset:         108
        .size:           4
        .value_kind:     by_value
      - .offset:         112
        .size:           4
        .value_kind:     by_value
      - .offset:         116
        .size:           4
        .value_kind:     by_value
      - .offset:         120
        .size:           4
        .value_kind:     by_value
      - .offset:         128
        .size:           4
        .value_kind:     hidden_block_count_x
      - .offset:         132
        .size:           4
        .value_kind:     hidden_block_count_y
      - .offset:         136
        .size:           4
        .value_kind:     hidden_block_count_z
      - .offset:         140
        .size:           2
        .value_kind:     hidden_group_size_x
      - .offset:         142
        .size:           2
        .value_kind:     hidden_group_size_y
      - .offset:         144
        .size:           2
        .value_kind:     hidden_group_size_z
      - .offset:         146
        .size:           2
        .value_kind:     hidden_remainder_x
      - .offset:         148
        .size:           2
        .value_kind:     hidden_remainder_y
      - .offset:         150
        .size:           2
        .value_kind:     hidden_remainder_z
      - .offset:         168
        .size:           8
        .value_kind:     hidden_global_offset_x
      - .offset:         176
        .size:           8
        .value_kind:     hidden_global_offset_y
      - .offset:         184
        .size:           8
        .value_kind:     hidden_global_offset_z
      - .offset:         192
        .size:           2
        .value_kind:     hidden_grid_dims
      - .offset:         248
        .size:           4
        .value_kind:     hidden_dynamic_lds_size
    .group_segment_fixed_size: 336
    .kernarg_segment_align: 8
    .kernarg_segment_size: 384
    .language:       OpenCL C
    .language_version:
      - 2
      - 0
    .max_flat_workgroup_size: 1024
    .name:           _ZN4vllm25paged_attention_v1_kernelIffLi80ELi16ELi128ELNS_18Fp8KVCacheDataTypeE0ELb1EEEvPT_PKS2_PKT0_S8_ifPKiSA_iPKfiiiSC_SC_iiiii
    .private_segment_fixed_size: 0
    .sgpr_count:     51
    .sgpr_spill_count: 0
    .symbol:         _ZN4vllm25paged_attention_v1_kernelIffLi80ELi16ELi128ELNS_18Fp8KVCacheDataTypeE0ELb1EEEvPT_PKS2_PKT0_S8_ifPKiSA_iPKfiiiSC_SC_iiiii.kd
    .uniform_work_group_size: 1
    .uses_dynamic_stack: false
    .vgpr_count:     67
    .vgpr_spill_count: 0
    .wavefront_size: 64
  - .agpr_count:     0
    .args:
      - .actual_access:  write_only
        .address_space:  global
        .offset:         0
        .size:           8
        .value_kind:     global_buffer
      - .actual_access:  read_only
        .address_space:  global
        .offset:         8
        .size:           8
        .value_kind:     global_buffer
      - .actual_access:  read_only
        .address_space:  global
        .offset:         16
        .size:           8
        .value_kind:     global_buffer
      - .actual_access:  read_only
        .address_space:  global
        .offset:         24
        .size:           8
        .value_kind:     global_buffer
      - .offset:         32
        .size:           4
        .value_kind:     by_value
      - .offset:         36
        .size:           4
        .value_kind:     by_value
      - .actual_access:  read_only
        .address_space:  global
        .offset:         40
        .size:           8
        .value_kind:     global_buffer
      - .actual_access:  read_only
        .address_space:  global
        .offset:         48
        .size:           8
        .value_kind:     global_buffer
      - .offset:         56
        .size:           4
        .value_kind:     by_value
      - .actual_access:  read_only
        .address_space:  global
        .offset:         64
        .size:           8
        .value_kind:     global_buffer
      - .offset:         72
        .size:           4
        .value_kind:     by_value
      - .offset:         76
        .size:           4
        .value_kind:     by_value
      - .offset:         80
        .size:           4
        .value_kind:     by_value
      - .address_space:  global
        .offset:         88
        .size:           8
        .value_kind:     global_buffer
      - .address_space:  global
        .offset:         96
        .size:           8
        .value_kind:     global_buffer
      - .offset:         104
        .size:           4
        .value_kind:     by_value
      - .offset:         108
        .size:           4
        .value_kind:     by_value
      - .offset:         112
        .size:           4
        .value_kind:     by_value
      - .offset:         116
        .size:           4
        .value_kind:     by_value
      - .offset:         120
        .size:           4
        .value_kind:     by_value
      - .offset:         128
        .size:           4
        .value_kind:     hidden_block_count_x
      - .offset:         132
        .size:           4
        .value_kind:     hidden_block_count_y
      - .offset:         136
        .size:           4
        .value_kind:     hidden_block_count_z
      - .offset:         140
        .size:           2
        .value_kind:     hidden_group_size_x
      - .offset:         142
        .size:           2
        .value_kind:     hidden_group_size_y
      - .offset:         144
        .size:           2
        .value_kind:     hidden_group_size_z
      - .offset:         146
        .size:           2
        .value_kind:     hidden_remainder_x
      - .offset:         148
        .size:           2
        .value_kind:     hidden_remainder_y
      - .offset:         150
        .size:           2
        .value_kind:     hidden_remainder_z
      - .offset:         168
        .size:           8
        .value_kind:     hidden_global_offset_x
      - .offset:         176
        .size:           8
        .value_kind:     hidden_global_offset_y
      - .offset:         184
        .size:           8
        .value_kind:     hidden_global_offset_z
      - .offset:         192
        .size:           2
        .value_kind:     hidden_grid_dims
      - .offset:         248
        .size:           4
        .value_kind:     hidden_dynamic_lds_size
    .group_segment_fixed_size: 400
    .kernarg_segment_align: 8
    .kernarg_segment_size: 384
    .language:       OpenCL C
    .language_version:
      - 2
      - 0
    .max_flat_workgroup_size: 1024
    .name:           _ZN4vllm25paged_attention_v1_kernelIffLi96ELi16ELi128ELNS_18Fp8KVCacheDataTypeE0ELb1EEEvPT_PKS2_PKT0_S8_ifPKiSA_iPKfiiiSC_SC_iiiii
    .private_segment_fixed_size: 0
    .sgpr_count:     51
    .sgpr_spill_count: 0
    .symbol:         _ZN4vllm25paged_attention_v1_kernelIffLi96ELi16ELi128ELNS_18Fp8KVCacheDataTypeE0ELb1EEEvPT_PKS2_PKT0_S8_ifPKiSA_iPKfiiiSC_SC_iiiii.kd
    .uniform_work_group_size: 1
    .uses_dynamic_stack: false
    .vgpr_count:     75
    .vgpr_spill_count: 0
    .wavefront_size: 64
  - .agpr_count:     0
    .args:
      - .actual_access:  write_only
        .address_space:  global
        .offset:         0
        .size:           8
        .value_kind:     global_buffer
      - .actual_access:  read_only
        .address_space:  global
        .offset:         8
        .size:           8
        .value_kind:     global_buffer
      - .actual_access:  read_only
        .address_space:  global
        .offset:         16
        .size:           8
        .value_kind:     global_buffer
      - .actual_access:  read_only
        .address_space:  global
        .offset:         24
        .size:           8
        .value_kind:     global_buffer
      - .offset:         32
        .size:           4
        .value_kind:     by_value
      - .offset:         36
        .size:           4
        .value_kind:     by_value
      - .actual_access:  read_only
        .address_space:  global
        .offset:         40
        .size:           8
        .value_kind:     global_buffer
      - .actual_access:  read_only
        .address_space:  global
        .offset:         48
        .size:           8
        .value_kind:     global_buffer
      - .offset:         56
        .size:           4
        .value_kind:     by_value
      - .actual_access:  read_only
        .address_space:  global
        .offset:         64
        .size:           8
        .value_kind:     global_buffer
      - .offset:         72
        .size:           4
        .value_kind:     by_value
      - .offset:         76
        .size:           4
        .value_kind:     by_value
      - .offset:         80
        .size:           4
        .value_kind:     by_value
      - .address_space:  global
        .offset:         88
        .size:           8
        .value_kind:     global_buffer
      - .address_space:  global
        .offset:         96
        .size:           8
        .value_kind:     global_buffer
      - .offset:         104
        .size:           4
        .value_kind:     by_value
      - .offset:         108
        .size:           4
        .value_kind:     by_value
      - .offset:         112
        .size:           4
        .value_kind:     by_value
      - .offset:         116
        .size:           4
        .value_kind:     by_value
      - .offset:         120
        .size:           4
        .value_kind:     by_value
      - .offset:         128
        .size:           4
        .value_kind:     hidden_block_count_x
      - .offset:         132
        .size:           4
        .value_kind:     hidden_block_count_y
      - .offset:         136
        .size:           4
        .value_kind:     hidden_block_count_z
      - .offset:         140
        .size:           2
        .value_kind:     hidden_group_size_x
      - .offset:         142
        .size:           2
        .value_kind:     hidden_group_size_y
      - .offset:         144
        .size:           2
        .value_kind:     hidden_group_size_z
      - .offset:         146
        .size:           2
        .value_kind:     hidden_remainder_x
      - .offset:         148
        .size:           2
        .value_kind:     hidden_remainder_y
      - .offset:         150
        .size:           2
        .value_kind:     hidden_remainder_z
      - .offset:         168
        .size:           8
        .value_kind:     hidden_global_offset_x
      - .offset:         176
        .size:           8
        .value_kind:     hidden_global_offset_y
      - .offset:         184
        .size:           8
        .value_kind:     hidden_global_offset_z
      - .offset:         192
        .size:           2
        .value_kind:     hidden_grid_dims
      - .offset:         248
        .size:           4
        .value_kind:     hidden_dynamic_lds_size
    .group_segment_fixed_size: 464
    .kernarg_segment_align: 8
    .kernarg_segment_size: 384
    .language:       OpenCL C
    .language_version:
      - 2
      - 0
    .max_flat_workgroup_size: 1024
    .name:           _ZN4vllm25paged_attention_v1_kernelIffLi112ELi16ELi128ELNS_18Fp8KVCacheDataTypeE0ELb1EEEvPT_PKS2_PKT0_S8_ifPKiSA_iPKfiiiSC_SC_iiiii
    .private_segment_fixed_size: 0
    .sgpr_count:     51
    .sgpr_spill_count: 0
    .symbol:         _ZN4vllm25paged_attention_v1_kernelIffLi112ELi16ELi128ELNS_18Fp8KVCacheDataTypeE0ELb1EEEvPT_PKS2_PKT0_S8_ifPKiSA_iPKfiiiSC_SC_iiiii.kd
    .uniform_work_group_size: 1
    .uses_dynamic_stack: false
    .vgpr_count:     83
    .vgpr_spill_count: 0
    .wavefront_size: 64
  - .agpr_count:     0
    .args:
      - .actual_access:  write_only
        .address_space:  global
        .offset:         0
        .size:           8
        .value_kind:     global_buffer
      - .actual_access:  read_only
        .address_space:  global
        .offset:         8
        .size:           8
        .value_kind:     global_buffer
      - .actual_access:  read_only
        .address_space:  global
        .offset:         16
        .size:           8
        .value_kind:     global_buffer
      - .actual_access:  read_only
        .address_space:  global
        .offset:         24
        .size:           8
        .value_kind:     global_buffer
      - .offset:         32
        .size:           4
        .value_kind:     by_value
      - .offset:         36
        .size:           4
        .value_kind:     by_value
      - .actual_access:  read_only
        .address_space:  global
        .offset:         40
        .size:           8
        .value_kind:     global_buffer
      - .actual_access:  read_only
        .address_space:  global
        .offset:         48
        .size:           8
        .value_kind:     global_buffer
      - .offset:         56
        .size:           4
        .value_kind:     by_value
      - .actual_access:  read_only
        .address_space:  global
        .offset:         64
        .size:           8
        .value_kind:     global_buffer
      - .offset:         72
        .size:           4
        .value_kind:     by_value
      - .offset:         76
        .size:           4
        .value_kind:     by_value
      - .offset:         80
        .size:           4
        .value_kind:     by_value
      - .address_space:  global
        .offset:         88
        .size:           8
        .value_kind:     global_buffer
      - .address_space:  global
        .offset:         96
        .size:           8
        .value_kind:     global_buffer
      - .offset:         104
        .size:           4
        .value_kind:     by_value
      - .offset:         108
        .size:           4
        .value_kind:     by_value
      - .offset:         112
        .size:           4
        .value_kind:     by_value
      - .offset:         116
        .size:           4
        .value_kind:     by_value
      - .offset:         120
        .size:           4
        .value_kind:     by_value
      - .offset:         128
        .size:           4
        .value_kind:     hidden_block_count_x
      - .offset:         132
        .size:           4
        .value_kind:     hidden_block_count_y
      - .offset:         136
        .size:           4
        .value_kind:     hidden_block_count_z
      - .offset:         140
        .size:           2
        .value_kind:     hidden_group_size_x
      - .offset:         142
        .size:           2
        .value_kind:     hidden_group_size_y
      - .offset:         144
        .size:           2
        .value_kind:     hidden_group_size_z
      - .offset:         146
        .size:           2
        .value_kind:     hidden_remainder_x
      - .offset:         148
        .size:           2
        .value_kind:     hidden_remainder_y
      - .offset:         150
        .size:           2
        .value_kind:     hidden_remainder_z
      - .offset:         168
        .size:           8
        .value_kind:     hidden_global_offset_x
      - .offset:         176
        .size:           8
        .value_kind:     hidden_global_offset_y
      - .offset:         184
        .size:           8
        .value_kind:     hidden_global_offset_z
      - .offset:         192
        .size:           2
        .value_kind:     hidden_grid_dims
      - .offset:         248
        .size:           4
        .value_kind:     hidden_dynamic_lds_size
    .group_segment_fixed_size: 496
    .kernarg_segment_align: 8
    .kernarg_segment_size: 384
    .language:       OpenCL C
    .language_version:
      - 2
      - 0
    .max_flat_workgroup_size: 1024
    .name:           _ZN4vllm25paged_attention_v1_kernelIffLi120ELi16ELi128ELNS_18Fp8KVCacheDataTypeE0ELb1EEEvPT_PKS2_PKT0_S8_ifPKiSA_iPKfiiiSC_SC_iiiii
    .private_segment_fixed_size: 0
    .sgpr_count:     51
    .sgpr_spill_count: 0
    .symbol:         _ZN4vllm25paged_attention_v1_kernelIffLi120ELi16ELi128ELNS_18Fp8KVCacheDataTypeE0ELb1EEEvPT_PKS2_PKT0_S8_ifPKiSA_iPKfiiiSC_SC_iiiii.kd
    .uniform_work_group_size: 1
    .uses_dynamic_stack: false
    .vgpr_count:     87
    .vgpr_spill_count: 0
    .wavefront_size: 64
  - .agpr_count:     0
    .args:
      - .actual_access:  write_only
        .address_space:  global
        .offset:         0
        .size:           8
        .value_kind:     global_buffer
      - .actual_access:  read_only
        .address_space:  global
        .offset:         8
        .size:           8
        .value_kind:     global_buffer
      - .actual_access:  read_only
        .address_space:  global
        .offset:         16
        .size:           8
        .value_kind:     global_buffer
      - .actual_access:  read_only
        .address_space:  global
        .offset:         24
        .size:           8
        .value_kind:     global_buffer
      - .offset:         32
        .size:           4
        .value_kind:     by_value
      - .offset:         36
        .size:           4
        .value_kind:     by_value
      - .actual_access:  read_only
        .address_space:  global
        .offset:         40
        .size:           8
        .value_kind:     global_buffer
      - .actual_access:  read_only
        .address_space:  global
        .offset:         48
        .size:           8
        .value_kind:     global_buffer
      - .offset:         56
        .size:           4
        .value_kind:     by_value
      - .actual_access:  read_only
        .address_space:  global
        .offset:         64
        .size:           8
        .value_kind:     global_buffer
      - .offset:         72
        .size:           4
        .value_kind:     by_value
      - .offset:         76
        .size:           4
        .value_kind:     by_value
      - .offset:         80
        .size:           4
        .value_kind:     by_value
      - .address_space:  global
        .offset:         88
        .size:           8
        .value_kind:     global_buffer
      - .address_space:  global
        .offset:         96
        .size:           8
        .value_kind:     global_buffer
      - .offset:         104
        .size:           4
        .value_kind:     by_value
      - .offset:         108
        .size:           4
        .value_kind:     by_value
      - .offset:         112
        .size:           4
        .value_kind:     by_value
      - .offset:         116
        .size:           4
        .value_kind:     by_value
      - .offset:         120
        .size:           4
        .value_kind:     by_value
      - .offset:         128
        .size:           4
        .value_kind:     hidden_block_count_x
      - .offset:         132
        .size:           4
        .value_kind:     hidden_block_count_y
      - .offset:         136
        .size:           4
        .value_kind:     hidden_block_count_z
      - .offset:         140
        .size:           2
        .value_kind:     hidden_group_size_x
      - .offset:         142
        .size:           2
        .value_kind:     hidden_group_size_y
      - .offset:         144
        .size:           2
        .value_kind:     hidden_group_size_z
      - .offset:         146
        .size:           2
        .value_kind:     hidden_remainder_x
      - .offset:         148
        .size:           2
        .value_kind:     hidden_remainder_y
      - .offset:         150
        .size:           2
        .value_kind:     hidden_remainder_z
      - .offset:         168
        .size:           8
        .value_kind:     hidden_global_offset_x
      - .offset:         176
        .size:           8
        .value_kind:     hidden_global_offset_y
      - .offset:         184
        .size:           8
        .value_kind:     hidden_global_offset_z
      - .offset:         192
        .size:           2
        .value_kind:     hidden_grid_dims
      - .offset:         248
        .size:           4
        .value_kind:     hidden_dynamic_lds_size
    .group_segment_fixed_size: 528
    .kernarg_segment_align: 8
    .kernarg_segment_size: 384
    .language:       OpenCL C
    .language_version:
      - 2
      - 0
    .max_flat_workgroup_size: 1024
    .name:           _ZN4vllm25paged_attention_v1_kernelIffLi128ELi16ELi128ELNS_18Fp8KVCacheDataTypeE0ELb1EEEvPT_PKS2_PKT0_S8_ifPKiSA_iPKfiiiSC_SC_iiiii
    .private_segment_fixed_size: 0
    .sgpr_count:     51
    .sgpr_spill_count: 0
    .symbol:         _ZN4vllm25paged_attention_v1_kernelIffLi128ELi16ELi128ELNS_18Fp8KVCacheDataTypeE0ELb1EEEvPT_PKS2_PKT0_S8_ifPKiSA_iPKfiiiSC_SC_iiiii.kd
    .uniform_work_group_size: 1
    .uses_dynamic_stack: false
    .vgpr_count:     91
    .vgpr_spill_count: 0
    .wavefront_size: 64
  - .agpr_count:     0
    .args:
      - .actual_access:  write_only
        .address_space:  global
        .offset:         0
        .size:           8
        .value_kind:     global_buffer
      - .actual_access:  read_only
        .address_space:  global
        .offset:         8
        .size:           8
        .value_kind:     global_buffer
      - .actual_access:  read_only
        .address_space:  global
        .offset:         16
        .size:           8
        .value_kind:     global_buffer
      - .actual_access:  read_only
        .address_space:  global
        .offset:         24
        .size:           8
        .value_kind:     global_buffer
      - .offset:         32
        .size:           4
        .value_kind:     by_value
      - .offset:         36
        .size:           4
        .value_kind:     by_value
      - .actual_access:  read_only
        .address_space:  global
        .offset:         40
        .size:           8
        .value_kind:     global_buffer
      - .actual_access:  read_only
        .address_space:  global
        .offset:         48
        .size:           8
        .value_kind:     global_buffer
      - .offset:         56
        .size:           4
        .value_kind:     by_value
      - .actual_access:  read_only
        .address_space:  global
        .offset:         64
        .size:           8
        .value_kind:     global_buffer
      - .offset:         72
        .size:           4
        .value_kind:     by_value
      - .offset:         76
        .size:           4
        .value_kind:     by_value
      - .offset:         80
        .size:           4
        .value_kind:     by_value
      - .address_space:  global
        .offset:         88
        .size:           8
        .value_kind:     global_buffer
      - .address_space:  global
        .offset:         96
        .size:           8
        .value_kind:     global_buffer
      - .offset:         104
        .size:           4
        .value_kind:     by_value
      - .offset:         108
        .size:           4
        .value_kind:     by_value
      - .offset:         112
        .size:           4
        .value_kind:     by_value
      - .offset:         116
        .size:           4
        .value_kind:     by_value
      - .offset:         120
        .size:           4
        .value_kind:     by_value
      - .offset:         128
        .size:           4
        .value_kind:     hidden_block_count_x
      - .offset:         132
        .size:           4
        .value_kind:     hidden_block_count_y
      - .offset:         136
        .size:           4
        .value_kind:     hidden_block_count_z
      - .offset:         140
        .size:           2
        .value_kind:     hidden_group_size_x
      - .offset:         142
        .size:           2
        .value_kind:     hidden_group_size_y
      - .offset:         144
        .size:           2
        .value_kind:     hidden_group_size_z
      - .offset:         146
        .size:           2
        .value_kind:     hidden_remainder_x
      - .offset:         148
        .size:           2
        .value_kind:     hidden_remainder_y
      - .offset:         150
        .size:           2
        .value_kind:     hidden_remainder_z
      - .offset:         168
        .size:           8
        .value_kind:     hidden_global_offset_x
      - .offset:         176
        .size:           8
        .value_kind:     hidden_global_offset_y
      - .offset:         184
        .size:           8
        .value_kind:     hidden_global_offset_z
      - .offset:         192
        .size:           2
        .value_kind:     hidden_grid_dims
      - .offset:         248
        .size:           4
        .value_kind:     hidden_dynamic_lds_size
    .group_segment_fixed_size: 784
    .kernarg_segment_align: 8
    .kernarg_segment_size: 384
    .language:       OpenCL C
    .language_version:
      - 2
      - 0
    .max_flat_workgroup_size: 1024
    .name:           _ZN4vllm25paged_attention_v1_kernelIffLi192ELi16ELi128ELNS_18Fp8KVCacheDataTypeE0ELb1EEEvPT_PKS2_PKT0_S8_ifPKiSA_iPKfiiiSC_SC_iiiii
    .private_segment_fixed_size: 0
    .sgpr_count:     52
    .sgpr_spill_count: 0
    .symbol:         _ZN4vllm25paged_attention_v1_kernelIffLi192ELi16ELi128ELNS_18Fp8KVCacheDataTypeE0ELb1EEEvPT_PKS2_PKT0_S8_ifPKiSA_iPKfiiiSC_SC_iiiii.kd
    .uniform_work_group_size: 1
    .uses_dynamic_stack: false
    .vgpr_count:     107
    .vgpr_spill_count: 0
    .wavefront_size: 64
  - .agpr_count:     0
    .args:
      - .actual_access:  write_only
        .address_space:  global
        .offset:         0
        .size:           8
        .value_kind:     global_buffer
      - .actual_access:  read_only
        .address_space:  global
        .offset:         8
        .size:           8
        .value_kind:     global_buffer
      - .actual_access:  read_only
        .address_space:  global
        .offset:         16
        .size:           8
        .value_kind:     global_buffer
      - .actual_access:  read_only
        .address_space:  global
        .offset:         24
        .size:           8
        .value_kind:     global_buffer
      - .offset:         32
        .size:           4
        .value_kind:     by_value
      - .offset:         36
        .size:           4
        .value_kind:     by_value
      - .actual_access:  read_only
        .address_space:  global
        .offset:         40
        .size:           8
        .value_kind:     global_buffer
      - .actual_access:  read_only
        .address_space:  global
        .offset:         48
        .size:           8
        .value_kind:     global_buffer
      - .offset:         56
        .size:           4
        .value_kind:     by_value
      - .actual_access:  read_only
        .address_space:  global
        .offset:         64
        .size:           8
        .value_kind:     global_buffer
      - .offset:         72
        .size:           4
        .value_kind:     by_value
      - .offset:         76
        .size:           4
        .value_kind:     by_value
      - .offset:         80
        .size:           4
        .value_kind:     by_value
      - .address_space:  global
        .offset:         88
        .size:           8
        .value_kind:     global_buffer
      - .address_space:  global
        .offset:         96
        .size:           8
        .value_kind:     global_buffer
      - .offset:         104
        .size:           4
        .value_kind:     by_value
      - .offset:         108
        .size:           4
        .value_kind:     by_value
      - .offset:         112
        .size:           4
        .value_kind:     by_value
      - .offset:         116
        .size:           4
        .value_kind:     by_value
      - .offset:         120
        .size:           4
        .value_kind:     by_value
      - .offset:         128
        .size:           4
        .value_kind:     hidden_block_count_x
      - .offset:         132
        .size:           4
        .value_kind:     hidden_block_count_y
      - .offset:         136
        .size:           4
        .value_kind:     hidden_block_count_z
      - .offset:         140
        .size:           2
        .value_kind:     hidden_group_size_x
      - .offset:         142
        .size:           2
        .value_kind:     hidden_group_size_y
      - .offset:         144
        .size:           2
        .value_kind:     hidden_group_size_z
      - .offset:         146
        .size:           2
        .value_kind:     hidden_remainder_x
      - .offset:         148
        .size:           2
        .value_kind:     hidden_remainder_y
      - .offset:         150
        .size:           2
        .value_kind:     hidden_remainder_z
      - .offset:         168
        .size:           8
        .value_kind:     hidden_global_offset_x
      - .offset:         176
        .size:           8
        .value_kind:     hidden_global_offset_y
      - .offset:         184
        .size:           8
        .value_kind:     hidden_global_offset_z
      - .offset:         192
        .size:           2
        .value_kind:     hidden_grid_dims
      - .offset:         248
        .size:           4
        .value_kind:     hidden_dynamic_lds_size
    .group_segment_fixed_size: 1040
    .kernarg_segment_align: 8
    .kernarg_segment_size: 384
    .language:       OpenCL C
    .language_version:
      - 2
      - 0
    .max_flat_workgroup_size: 1024
    .name:           _ZN4vllm25paged_attention_v1_kernelIffLi256ELi16ELi128ELNS_18Fp8KVCacheDataTypeE0ELb1EEEvPT_PKS2_PKT0_S8_ifPKiSA_iPKfiiiSC_SC_iiiii
    .private_segment_fixed_size: 0
    .sgpr_count:     53
    .sgpr_spill_count: 0
    .symbol:         _ZN4vllm25paged_attention_v1_kernelIffLi256ELi16ELi128ELNS_18Fp8KVCacheDataTypeE0ELb1EEEvPT_PKS2_PKT0_S8_ifPKiSA_iPKfiiiSC_SC_iiiii.kd
    .uniform_work_group_size: 1
    .uses_dynamic_stack: false
    .vgpr_count:     127
    .vgpr_spill_count: 0
    .wavefront_size: 64
  - .agpr_count:     0
    .args:
      - .actual_access:  write_only
        .address_space:  global
        .offset:         0
        .size:           8
        .value_kind:     global_buffer
      - .actual_access:  read_only
        .address_space:  global
        .offset:         8
        .size:           8
        .value_kind:     global_buffer
      - .actual_access:  read_only
        .address_space:  global
        .offset:         16
        .size:           8
        .value_kind:     global_buffer
      - .actual_access:  read_only
        .address_space:  global
        .offset:         24
        .size:           8
        .value_kind:     global_buffer
      - .offset:         32
        .size:           4
        .value_kind:     by_value
      - .offset:         36
        .size:           4
        .value_kind:     by_value
      - .actual_access:  read_only
        .address_space:  global
        .offset:         40
        .size:           8
        .value_kind:     global_buffer
      - .actual_access:  read_only
        .address_space:  global
        .offset:         48
        .size:           8
        .value_kind:     global_buffer
      - .offset:         56
        .size:           4
        .value_kind:     by_value
      - .actual_access:  read_only
        .address_space:  global
        .offset:         64
        .size:           8
        .value_kind:     global_buffer
      - .offset:         72
        .size:           4
        .value_kind:     by_value
      - .offset:         76
        .size:           4
        .value_kind:     by_value
      - .offset:         80
        .size:           4
        .value_kind:     by_value
      - .address_space:  global
        .offset:         88
        .size:           8
        .value_kind:     global_buffer
      - .address_space:  global
        .offset:         96
        .size:           8
        .value_kind:     global_buffer
      - .offset:         104
        .size:           4
        .value_kind:     by_value
      - .offset:         108
        .size:           4
        .value_kind:     by_value
      - .offset:         112
        .size:           4
        .value_kind:     by_value
      - .offset:         116
        .size:           4
        .value_kind:     by_value
      - .offset:         120
        .size:           4
        .value_kind:     by_value
      - .offset:         128
        .size:           4
        .value_kind:     hidden_block_count_x
      - .offset:         132
        .size:           4
        .value_kind:     hidden_block_count_y
      - .offset:         136
        .size:           4
        .value_kind:     hidden_block_count_z
      - .offset:         140
        .size:           2
        .value_kind:     hidden_group_size_x
      - .offset:         142
        .size:           2
        .value_kind:     hidden_group_size_y
      - .offset:         144
        .size:           2
        .value_kind:     hidden_group_size_z
      - .offset:         146
        .size:           2
        .value_kind:     hidden_remainder_x
      - .offset:         148
        .size:           2
        .value_kind:     hidden_remainder_y
      - .offset:         150
        .size:           2
        .value_kind:     hidden_remainder_z
      - .offset:         168
        .size:           8
        .value_kind:     hidden_global_offset_x
      - .offset:         176
        .size:           8
        .value_kind:     hidden_global_offset_y
      - .offset:         184
        .size:           8
        .value_kind:     hidden_global_offset_z
      - .offset:         192
        .size:           2
        .value_kind:     hidden_grid_dims
      - .offset:         248
        .size:           4
        .value_kind:     hidden_dynamic_lds_size
    .group_segment_fixed_size: 144
    .kernarg_segment_align: 8
    .kernarg_segment_size: 384
    .language:       OpenCL C
    .language_version:
      - 2
      - 0
    .max_flat_workgroup_size: 1024
    .name:           _ZN4vllm25paged_attention_v1_kernelIffLi32ELi16ELi128ELNS_18Fp8KVCacheDataTypeE0ELb0EEEvPT_PKS2_PKT0_S8_ifPKiSA_iPKfiiiSC_SC_iiiii
    .private_segment_fixed_size: 0
    .sgpr_count:     40
    .sgpr_spill_count: 0
    .symbol:         _ZN4vllm25paged_attention_v1_kernelIffLi32ELi16ELi128ELNS_18Fp8KVCacheDataTypeE0ELb0EEEvPT_PKS2_PKT0_S8_ifPKiSA_iPKfiiiSC_SC_iiiii.kd
    .uniform_work_group_size: 1
    .uses_dynamic_stack: false
    .vgpr_count:     37
    .vgpr_spill_count: 0
    .wavefront_size: 64
  - .agpr_count:     0
    .args:
      - .actual_access:  write_only
        .address_space:  global
        .offset:         0
        .size:           8
        .value_kind:     global_buffer
      - .actual_access:  read_only
        .address_space:  global
        .offset:         8
        .size:           8
        .value_kind:     global_buffer
      - .actual_access:  read_only
        .address_space:  global
        .offset:         16
        .size:           8
        .value_kind:     global_buffer
      - .actual_access:  read_only
        .address_space:  global
        .offset:         24
        .size:           8
        .value_kind:     global_buffer
      - .offset:         32
        .size:           4
        .value_kind:     by_value
      - .offset:         36
        .size:           4
        .value_kind:     by_value
      - .actual_access:  read_only
        .address_space:  global
        .offset:         40
        .size:           8
        .value_kind:     global_buffer
      - .actual_access:  read_only
        .address_space:  global
        .offset:         48
        .size:           8
        .value_kind:     global_buffer
      - .offset:         56
        .size:           4
        .value_kind:     by_value
      - .actual_access:  read_only
        .address_space:  global
        .offset:         64
        .size:           8
        .value_kind:     global_buffer
      - .offset:         72
        .size:           4
        .value_kind:     by_value
      - .offset:         76
        .size:           4
        .value_kind:     by_value
      - .offset:         80
        .size:           4
        .value_kind:     by_value
      - .address_space:  global
        .offset:         88
        .size:           8
        .value_kind:     global_buffer
      - .address_space:  global
        .offset:         96
        .size:           8
        .value_kind:     global_buffer
      - .offset:         104
        .size:           4
        .value_kind:     by_value
      - .offset:         108
        .size:           4
        .value_kind:     by_value
      - .offset:         112
        .size:           4
        .value_kind:     by_value
      - .offset:         116
        .size:           4
        .value_kind:     by_value
      - .offset:         120
        .size:           4
        .value_kind:     by_value
      - .offset:         128
        .size:           4
        .value_kind:     hidden_block_count_x
      - .offset:         132
        .size:           4
        .value_kind:     hidden_block_count_y
      - .offset:         136
        .size:           4
        .value_kind:     hidden_block_count_z
      - .offset:         140
        .size:           2
        .value_kind:     hidden_group_size_x
      - .offset:         142
        .size:           2
        .value_kind:     hidden_group_size_y
      - .offset:         144
        .size:           2
        .value_kind:     hidden_group_size_z
      - .offset:         146
        .size:           2
        .value_kind:     hidden_remainder_x
      - .offset:         148
        .size:           2
        .value_kind:     hidden_remainder_y
      - .offset:         150
        .size:           2
        .value_kind:     hidden_remainder_z
      - .offset:         168
        .size:           8
        .value_kind:     hidden_global_offset_x
      - .offset:         176
        .size:           8
        .value_kind:     hidden_global_offset_y
      - .offset:         184
        .size:           8
        .value_kind:     hidden_global_offset_z
      - .offset:         192
        .size:           2
        .value_kind:     hidden_grid_dims
      - .offset:         248
        .size:           4
        .value_kind:     hidden_dynamic_lds_size
    .group_segment_fixed_size: 272
    .kernarg_segment_align: 8
    .kernarg_segment_size: 384
    .language:       OpenCL C
    .language_version:
      - 2
      - 0
    .max_flat_workgroup_size: 1024
    .name:           _ZN4vllm25paged_attention_v1_kernelIffLi64ELi16ELi128ELNS_18Fp8KVCacheDataTypeE0ELb0EEEvPT_PKS2_PKT0_S8_ifPKiSA_iPKfiiiSC_SC_iiiii
    .private_segment_fixed_size: 0
    .sgpr_count:     42
    .sgpr_spill_count: 0
    .symbol:         _ZN4vllm25paged_attention_v1_kernelIffLi64ELi16ELi128ELNS_18Fp8KVCacheDataTypeE0ELb0EEEvPT_PKS2_PKT0_S8_ifPKiSA_iPKfiiiSC_SC_iiiii.kd
    .uniform_work_group_size: 1
    .uses_dynamic_stack: false
    .vgpr_count:     52
    .vgpr_spill_count: 0
    .wavefront_size: 64
  - .agpr_count:     0
    .args:
      - .actual_access:  write_only
        .address_space:  global
        .offset:         0
        .size:           8
        .value_kind:     global_buffer
      - .actual_access:  read_only
        .address_space:  global
        .offset:         8
        .size:           8
        .value_kind:     global_buffer
      - .actual_access:  read_only
        .address_space:  global
        .offset:         16
        .size:           8
        .value_kind:     global_buffer
      - .actual_access:  read_only
        .address_space:  global
        .offset:         24
        .size:           8
        .value_kind:     global_buffer
      - .offset:         32
        .size:           4
        .value_kind:     by_value
      - .offset:         36
        .size:           4
        .value_kind:     by_value
      - .actual_access:  read_only
        .address_space:  global
        .offset:         40
        .size:           8
        .value_kind:     global_buffer
      - .actual_access:  read_only
        .address_space:  global
        .offset:         48
        .size:           8
        .value_kind:     global_buffer
      - .offset:         56
        .size:           4
        .value_kind:     by_value
      - .actual_access:  read_only
        .address_space:  global
        .offset:         64
        .size:           8
        .value_kind:     global_buffer
      - .offset:         72
        .size:           4
        .value_kind:     by_value
      - .offset:         76
        .size:           4
        .value_kind:     by_value
      - .offset:         80
        .size:           4
        .value_kind:     by_value
      - .address_space:  global
        .offset:         88
        .size:           8
        .value_kind:     global_buffer
      - .address_space:  global
        .offset:         96
        .size:           8
        .value_kind:     global_buffer
      - .offset:         104
        .size:           4
        .value_kind:     by_value
      - .offset:         108
        .size:           4
        .value_kind:     by_value
      - .offset:         112
        .size:           4
        .value_kind:     by_value
      - .offset:         116
        .size:           4
        .value_kind:     by_value
      - .offset:         120
        .size:           4
        .value_kind:     by_value
      - .offset:         128
        .size:           4
        .value_kind:     hidden_block_count_x
      - .offset:         132
        .size:           4
        .value_kind:     hidden_block_count_y
      - .offset:         136
        .size:           4
        .value_kind:     hidden_block_count_z
      - .offset:         140
        .size:           2
        .value_kind:     hidden_group_size_x
      - .offset:         142
        .size:           2
        .value_kind:     hidden_group_size_y
      - .offset:         144
        .size:           2
        .value_kind:     hidden_group_size_z
      - .offset:         146
        .size:           2
        .value_kind:     hidden_remainder_x
      - .offset:         148
        .size:           2
        .value_kind:     hidden_remainder_y
      - .offset:         150
        .size:           2
        .value_kind:     hidden_remainder_z
      - .offset:         168
        .size:           8
        .value_kind:     hidden_global_offset_x
      - .offset:         176
        .size:           8
        .value_kind:     hidden_global_offset_y
      - .offset:         184
        .size:           8
        .value_kind:     hidden_global_offset_z
      - .offset:         192
        .size:           2
        .value_kind:     hidden_grid_dims
      - .offset:         248
        .size:           4
        .value_kind:     hidden_dynamic_lds_size
    .group_segment_fixed_size: 336
    .kernarg_segment_align: 8
    .kernarg_segment_size: 384
    .language:       OpenCL C
    .language_version:
      - 2
      - 0
    .max_flat_workgroup_size: 1024
    .name:           _ZN4vllm25paged_attention_v1_kernelIffLi80ELi16ELi128ELNS_18Fp8KVCacheDataTypeE0ELb0EEEvPT_PKS2_PKT0_S8_ifPKiSA_iPKfiiiSC_SC_iiiii
    .private_segment_fixed_size: 0
    .sgpr_count:     41
    .sgpr_spill_count: 0
    .symbol:         _ZN4vllm25paged_attention_v1_kernelIffLi80ELi16ELi128ELNS_18Fp8KVCacheDataTypeE0ELb0EEEvPT_PKS2_PKT0_S8_ifPKiSA_iPKfiiiSC_SC_iiiii.kd
    .uniform_work_group_size: 1
    .uses_dynamic_stack: false
    .vgpr_count:     61
    .vgpr_spill_count: 0
    .wavefront_size: 64
  - .agpr_count:     0
    .args:
      - .actual_access:  write_only
        .address_space:  global
        .offset:         0
        .size:           8
        .value_kind:     global_buffer
      - .actual_access:  read_only
        .address_space:  global
        .offset:         8
        .size:           8
        .value_kind:     global_buffer
      - .actual_access:  read_only
        .address_space:  global
        .offset:         16
        .size:           8
        .value_kind:     global_buffer
      - .actual_access:  read_only
        .address_space:  global
        .offset:         24
        .size:           8
        .value_kind:     global_buffer
      - .offset:         32
        .size:           4
        .value_kind:     by_value
      - .offset:         36
        .size:           4
        .value_kind:     by_value
      - .actual_access:  read_only
        .address_space:  global
        .offset:         40
        .size:           8
        .value_kind:     global_buffer
      - .actual_access:  read_only
        .address_space:  global
        .offset:         48
        .size:           8
        .value_kind:     global_buffer
      - .offset:         56
        .size:           4
        .value_kind:     by_value
      - .actual_access:  read_only
        .address_space:  global
        .offset:         64
        .size:           8
        .value_kind:     global_buffer
      - .offset:         72
        .size:           4
        .value_kind:     by_value
      - .offset:         76
        .size:           4
        .value_kind:     by_value
      - .offset:         80
        .size:           4
        .value_kind:     by_value
      - .address_space:  global
        .offset:         88
        .size:           8
        .value_kind:     global_buffer
      - .address_space:  global
        .offset:         96
        .size:           8
        .value_kind:     global_buffer
      - .offset:         104
        .size:           4
        .value_kind:     by_value
      - .offset:         108
        .size:           4
        .value_kind:     by_value
      - .offset:         112
        .size:           4
        .value_kind:     by_value
      - .offset:         116
        .size:           4
        .value_kind:     by_value
      - .offset:         120
        .size:           4
        .value_kind:     by_value
      - .offset:         128
        .size:           4
        .value_kind:     hidden_block_count_x
      - .offset:         132
        .size:           4
        .value_kind:     hidden_block_count_y
      - .offset:         136
        .size:           4
        .value_kind:     hidden_block_count_z
      - .offset:         140
        .size:           2
        .value_kind:     hidden_group_size_x
      - .offset:         142
        .size:           2
        .value_kind:     hidden_group_size_y
      - .offset:         144
        .size:           2
        .value_kind:     hidden_group_size_z
      - .offset:         146
        .size:           2
        .value_kind:     hidden_remainder_x
      - .offset:         148
        .size:           2
        .value_kind:     hidden_remainder_y
      - .offset:         150
        .size:           2
        .value_kind:     hidden_remainder_z
      - .offset:         168
        .size:           8
        .value_kind:     hidden_global_offset_x
      - .offset:         176
        .size:           8
        .value_kind:     hidden_global_offset_y
      - .offset:         184
        .size:           8
        .value_kind:     hidden_global_offset_z
      - .offset:         192
        .size:           2
        .value_kind:     hidden_grid_dims
      - .offset:         248
        .size:           4
        .value_kind:     hidden_dynamic_lds_size
    .group_segment_fixed_size: 400
    .kernarg_segment_align: 8
    .kernarg_segment_size: 384
    .language:       OpenCL C
    .language_version:
      - 2
      - 0
    .max_flat_workgroup_size: 1024
    .name:           _ZN4vllm25paged_attention_v1_kernelIffLi96ELi16ELi128ELNS_18Fp8KVCacheDataTypeE0ELb0EEEvPT_PKS2_PKT0_S8_ifPKiSA_iPKfiiiSC_SC_iiiii
    .private_segment_fixed_size: 0
    .sgpr_count:     41
    .sgpr_spill_count: 0
    .symbol:         _ZN4vllm25paged_attention_v1_kernelIffLi96ELi16ELi128ELNS_18Fp8KVCacheDataTypeE0ELb0EEEvPT_PKS2_PKT0_S8_ifPKiSA_iPKfiiiSC_SC_iiiii.kd
    .uniform_work_group_size: 1
    .uses_dynamic_stack: false
    .vgpr_count:     68
    .vgpr_spill_count: 0
    .wavefront_size: 64
  - .agpr_count:     0
    .args:
      - .actual_access:  write_only
        .address_space:  global
        .offset:         0
        .size:           8
        .value_kind:     global_buffer
      - .actual_access:  read_only
        .address_space:  global
        .offset:         8
        .size:           8
        .value_kind:     global_buffer
      - .actual_access:  read_only
        .address_space:  global
        .offset:         16
        .size:           8
        .value_kind:     global_buffer
      - .actual_access:  read_only
        .address_space:  global
        .offset:         24
        .size:           8
        .value_kind:     global_buffer
      - .offset:         32
        .size:           4
        .value_kind:     by_value
      - .offset:         36
        .size:           4
        .value_kind:     by_value
      - .actual_access:  read_only
        .address_space:  global
        .offset:         40
        .size:           8
        .value_kind:     global_buffer
      - .actual_access:  read_only
        .address_space:  global
        .offset:         48
        .size:           8
        .value_kind:     global_buffer
      - .offset:         56
        .size:           4
        .value_kind:     by_value
      - .actual_access:  read_only
        .address_space:  global
        .offset:         64
        .size:           8
        .value_kind:     global_buffer
      - .offset:         72
        .size:           4
        .value_kind:     by_value
      - .offset:         76
        .size:           4
        .value_kind:     by_value
      - .offset:         80
        .size:           4
        .value_kind:     by_value
      - .address_space:  global
        .offset:         88
        .size:           8
        .value_kind:     global_buffer
      - .address_space:  global
        .offset:         96
        .size:           8
        .value_kind:     global_buffer
      - .offset:         104
        .size:           4
        .value_kind:     by_value
      - .offset:         108
        .size:           4
        .value_kind:     by_value
      - .offset:         112
        .size:           4
        .value_kind:     by_value
      - .offset:         116
        .size:           4
        .value_kind:     by_value
      - .offset:         120
        .size:           4
        .value_kind:     by_value
      - .offset:         128
        .size:           4
        .value_kind:     hidden_block_count_x
      - .offset:         132
        .size:           4
        .value_kind:     hidden_block_count_y
      - .offset:         136
        .size:           4
        .value_kind:     hidden_block_count_z
      - .offset:         140
        .size:           2
        .value_kind:     hidden_group_size_x
      - .offset:         142
        .size:           2
        .value_kind:     hidden_group_size_y
      - .offset:         144
        .size:           2
        .value_kind:     hidden_group_size_z
      - .offset:         146
        .size:           2
        .value_kind:     hidden_remainder_x
      - .offset:         148
        .size:           2
        .value_kind:     hidden_remainder_y
      - .offset:         150
        .size:           2
        .value_kind:     hidden_remainder_z
      - .offset:         168
        .size:           8
        .value_kind:     hidden_global_offset_x
      - .offset:         176
        .size:           8
        .value_kind:     hidden_global_offset_y
      - .offset:         184
        .size:           8
        .value_kind:     hidden_global_offset_z
      - .offset:         192
        .size:           2
        .value_kind:     hidden_grid_dims
      - .offset:         248
        .size:           4
        .value_kind:     hidden_dynamic_lds_size
    .group_segment_fixed_size: 464
    .kernarg_segment_align: 8
    .kernarg_segment_size: 384
    .language:       OpenCL C
    .language_version:
      - 2
      - 0
    .max_flat_workgroup_size: 1024
    .name:           _ZN4vllm25paged_attention_v1_kernelIffLi112ELi16ELi128ELNS_18Fp8KVCacheDataTypeE0ELb0EEEvPT_PKS2_PKT0_S8_ifPKiSA_iPKfiiiSC_SC_iiiii
    .private_segment_fixed_size: 0
    .sgpr_count:     41
    .sgpr_spill_count: 0
    .symbol:         _ZN4vllm25paged_attention_v1_kernelIffLi112ELi16ELi128ELNS_18Fp8KVCacheDataTypeE0ELb0EEEvPT_PKS2_PKT0_S8_ifPKiSA_iPKfiiiSC_SC_iiiii.kd
    .uniform_work_group_size: 1
    .uses_dynamic_stack: false
    .vgpr_count:     76
    .vgpr_spill_count: 0
    .wavefront_size: 64
  - .agpr_count:     0
    .args:
      - .actual_access:  write_only
        .address_space:  global
        .offset:         0
        .size:           8
        .value_kind:     global_buffer
      - .actual_access:  read_only
        .address_space:  global
        .offset:         8
        .size:           8
        .value_kind:     global_buffer
      - .actual_access:  read_only
        .address_space:  global
        .offset:         16
        .size:           8
        .value_kind:     global_buffer
      - .actual_access:  read_only
        .address_space:  global
        .offset:         24
        .size:           8
        .value_kind:     global_buffer
      - .offset:         32
        .size:           4
        .value_kind:     by_value
      - .offset:         36
        .size:           4
        .value_kind:     by_value
      - .actual_access:  read_only
        .address_space:  global
        .offset:         40
        .size:           8
        .value_kind:     global_buffer
      - .actual_access:  read_only
        .address_space:  global
        .offset:         48
        .size:           8
        .value_kind:     global_buffer
      - .offset:         56
        .size:           4
        .value_kind:     by_value
      - .actual_access:  read_only
        .address_space:  global
        .offset:         64
        .size:           8
        .value_kind:     global_buffer
      - .offset:         72
        .size:           4
        .value_kind:     by_value
      - .offset:         76
        .size:           4
        .value_kind:     by_value
      - .offset:         80
        .size:           4
        .value_kind:     by_value
      - .address_space:  global
        .offset:         88
        .size:           8
        .value_kind:     global_buffer
      - .address_space:  global
        .offset:         96
        .size:           8
        .value_kind:     global_buffer
      - .offset:         104
        .size:           4
        .value_kind:     by_value
      - .offset:         108
        .size:           4
        .value_kind:     by_value
      - .offset:         112
        .size:           4
        .value_kind:     by_value
      - .offset:         116
        .size:           4
        .value_kind:     by_value
      - .offset:         120
        .size:           4
        .value_kind:     by_value
      - .offset:         128
        .size:           4
        .value_kind:     hidden_block_count_x
      - .offset:         132
        .size:           4
        .value_kind:     hidden_block_count_y
      - .offset:         136
        .size:           4
        .value_kind:     hidden_block_count_z
      - .offset:         140
        .size:           2
        .value_kind:     hidden_group_size_x
      - .offset:         142
        .size:           2
        .value_kind:     hidden_group_size_y
      - .offset:         144
        .size:           2
        .value_kind:     hidden_group_size_z
      - .offset:         146
        .size:           2
        .value_kind:     hidden_remainder_x
      - .offset:         148
        .size:           2
        .value_kind:     hidden_remainder_y
      - .offset:         150
        .size:           2
        .value_kind:     hidden_remainder_z
      - .offset:         168
        .size:           8
        .value_kind:     hidden_global_offset_x
      - .offset:         176
        .size:           8
        .value_kind:     hidden_global_offset_y
      - .offset:         184
        .size:           8
        .value_kind:     hidden_global_offset_z
      - .offset:         192
        .size:           2
        .value_kind:     hidden_grid_dims
      - .offset:         248
        .size:           4
        .value_kind:     hidden_dynamic_lds_size
    .group_segment_fixed_size: 496
    .kernarg_segment_align: 8
    .kernarg_segment_size: 384
    .language:       OpenCL C
    .language_version:
      - 2
      - 0
    .max_flat_workgroup_size: 1024
    .name:           _ZN4vllm25paged_attention_v1_kernelIffLi120ELi16ELi128ELNS_18Fp8KVCacheDataTypeE0ELb0EEEvPT_PKS2_PKT0_S8_ifPKiSA_iPKfiiiSC_SC_iiiii
    .private_segment_fixed_size: 0
    .sgpr_count:     41
    .sgpr_spill_count: 0
    .symbol:         _ZN4vllm25paged_attention_v1_kernelIffLi120ELi16ELi128ELNS_18Fp8KVCacheDataTypeE0ELb0EEEvPT_PKS2_PKT0_S8_ifPKiSA_iPKfiiiSC_SC_iiiii.kd
    .uniform_work_group_size: 1
    .uses_dynamic_stack: false
    .vgpr_count:     80
    .vgpr_spill_count: 0
    .wavefront_size: 64
  - .agpr_count:     0
    .args:
      - .actual_access:  write_only
        .address_space:  global
        .offset:         0
        .size:           8
        .value_kind:     global_buffer
      - .actual_access:  read_only
        .address_space:  global
        .offset:         8
        .size:           8
        .value_kind:     global_buffer
      - .actual_access:  read_only
        .address_space:  global
        .offset:         16
        .size:           8
        .value_kind:     global_buffer
      - .actual_access:  read_only
        .address_space:  global
        .offset:         24
        .size:           8
        .value_kind:     global_buffer
      - .offset:         32
        .size:           4
        .value_kind:     by_value
      - .offset:         36
        .size:           4
        .value_kind:     by_value
      - .actual_access:  read_only
        .address_space:  global
        .offset:         40
        .size:           8
        .value_kind:     global_buffer
      - .actual_access:  read_only
        .address_space:  global
        .offset:         48
        .size:           8
        .value_kind:     global_buffer
      - .offset:         56
        .size:           4
        .value_kind:     by_value
      - .actual_access:  read_only
        .address_space:  global
        .offset:         64
        .size:           8
        .value_kind:     global_buffer
      - .offset:         72
        .size:           4
        .value_kind:     by_value
      - .offset:         76
        .size:           4
        .value_kind:     by_value
      - .offset:         80
        .size:           4
        .value_kind:     by_value
      - .address_space:  global
        .offset:         88
        .size:           8
        .value_kind:     global_buffer
      - .address_space:  global
        .offset:         96
        .size:           8
        .value_kind:     global_buffer
      - .offset:         104
        .size:           4
        .value_kind:     by_value
      - .offset:         108
        .size:           4
        .value_kind:     by_value
      - .offset:         112
        .size:           4
        .value_kind:     by_value
      - .offset:         116
        .size:           4
        .value_kind:     by_value
      - .offset:         120
        .size:           4
        .value_kind:     by_value
      - .offset:         128
        .size:           4
        .value_kind:     hidden_block_count_x
      - .offset:         132
        .size:           4
        .value_kind:     hidden_block_count_y
      - .offset:         136
        .size:           4
        .value_kind:     hidden_block_count_z
      - .offset:         140
        .size:           2
        .value_kind:     hidden_group_size_x
      - .offset:         142
        .size:           2
        .value_kind:     hidden_group_size_y
      - .offset:         144
        .size:           2
        .value_kind:     hidden_group_size_z
      - .offset:         146
        .size:           2
        .value_kind:     hidden_remainder_x
      - .offset:         148
        .size:           2
        .value_kind:     hidden_remainder_y
      - .offset:         150
        .size:           2
        .value_kind:     hidden_remainder_z
      - .offset:         168
        .size:           8
        .value_kind:     hidden_global_offset_x
      - .offset:         176
        .size:           8
        .value_kind:     hidden_global_offset_y
      - .offset:         184
        .size:           8
        .value_kind:     hidden_global_offset_z
      - .offset:         192
        .size:           2
        .value_kind:     hidden_grid_dims
      - .offset:         248
        .size:           4
        .value_kind:     hidden_dynamic_lds_size
    .group_segment_fixed_size: 528
    .kernarg_segment_align: 8
    .kernarg_segment_size: 384
    .language:       OpenCL C
    .language_version:
      - 2
      - 0
    .max_flat_workgroup_size: 1024
    .name:           _ZN4vllm25paged_attention_v1_kernelIffLi128ELi16ELi128ELNS_18Fp8KVCacheDataTypeE0ELb0EEEvPT_PKS2_PKT0_S8_ifPKiSA_iPKfiiiSC_SC_iiiii
    .private_segment_fixed_size: 0
    .sgpr_count:     41
    .sgpr_spill_count: 0
    .symbol:         _ZN4vllm25paged_attention_v1_kernelIffLi128ELi16ELi128ELNS_18Fp8KVCacheDataTypeE0ELb0EEEvPT_PKS2_PKT0_S8_ifPKiSA_iPKfiiiSC_SC_iiiii.kd
    .uniform_work_group_size: 1
    .uses_dynamic_stack: false
    .vgpr_count:     84
    .vgpr_spill_count: 0
    .wavefront_size: 64
  - .agpr_count:     0
    .args:
      - .actual_access:  write_only
        .address_space:  global
        .offset:         0
        .size:           8
        .value_kind:     global_buffer
      - .actual_access:  read_only
        .address_space:  global
        .offset:         8
        .size:           8
        .value_kind:     global_buffer
      - .actual_access:  read_only
        .address_space:  global
        .offset:         16
        .size:           8
        .value_kind:     global_buffer
      - .actual_access:  read_only
        .address_space:  global
        .offset:         24
        .size:           8
        .value_kind:     global_buffer
      - .offset:         32
        .size:           4
        .value_kind:     by_value
      - .offset:         36
        .size:           4
        .value_kind:     by_value
      - .actual_access:  read_only
        .address_space:  global
        .offset:         40
        .size:           8
        .value_kind:     global_buffer
      - .actual_access:  read_only
        .address_space:  global
        .offset:         48
        .size:           8
        .value_kind:     global_buffer
      - .offset:         56
        .size:           4
        .value_kind:     by_value
      - .actual_access:  read_only
        .address_space:  global
        .offset:         64
        .size:           8
        .value_kind:     global_buffer
      - .offset:         72
        .size:           4
        .value_kind:     by_value
      - .offset:         76
        .size:           4
        .value_kind:     by_value
      - .offset:         80
        .size:           4
        .value_kind:     by_value
      - .address_space:  global
        .offset:         88
        .size:           8
        .value_kind:     global_buffer
      - .address_space:  global
        .offset:         96
        .size:           8
        .value_kind:     global_buffer
      - .offset:         104
        .size:           4
        .value_kind:     by_value
      - .offset:         108
        .size:           4
        .value_kind:     by_value
      - .offset:         112
        .size:           4
        .value_kind:     by_value
      - .offset:         116
        .size:           4
        .value_kind:     by_value
      - .offset:         120
        .size:           4
        .value_kind:     by_value
      - .offset:         128
        .size:           4
        .value_kind:     hidden_block_count_x
      - .offset:         132
        .size:           4
        .value_kind:     hidden_block_count_y
      - .offset:         136
        .size:           4
        .value_kind:     hidden_block_count_z
      - .offset:         140
        .size:           2
        .value_kind:     hidden_group_size_x
      - .offset:         142
        .size:           2
        .value_kind:     hidden_group_size_y
      - .offset:         144
        .size:           2
        .value_kind:     hidden_group_size_z
      - .offset:         146
        .size:           2
        .value_kind:     hidden_remainder_x
      - .offset:         148
        .size:           2
        .value_kind:     hidden_remainder_y
      - .offset:         150
        .size:           2
        .value_kind:     hidden_remainder_z
      - .offset:         168
        .size:           8
        .value_kind:     hidden_global_offset_x
      - .offset:         176
        .size:           8
        .value_kind:     hidden_global_offset_y
      - .offset:         184
        .size:           8
        .value_kind:     hidden_global_offset_z
      - .offset:         192
        .size:           2
        .value_kind:     hidden_grid_dims
      - .offset:         248
        .size:           4
        .value_kind:     hidden_dynamic_lds_size
    .group_segment_fixed_size: 784
    .kernarg_segment_align: 8
    .kernarg_segment_size: 384
    .language:       OpenCL C
    .language_version:
      - 2
      - 0
    .max_flat_workgroup_size: 1024
    .name:           _ZN4vllm25paged_attention_v1_kernelIffLi192ELi16ELi128ELNS_18Fp8KVCacheDataTypeE0ELb0EEEvPT_PKS2_PKT0_S8_ifPKiSA_iPKfiiiSC_SC_iiiii
    .private_segment_fixed_size: 0
    .sgpr_count:     44
    .sgpr_spill_count: 0
    .symbol:         _ZN4vllm25paged_attention_v1_kernelIffLi192ELi16ELi128ELNS_18Fp8KVCacheDataTypeE0ELb0EEEvPT_PKS2_PKT0_S8_ifPKiSA_iPKfiiiSC_SC_iiiii.kd
    .uniform_work_group_size: 1
    .uses_dynamic_stack: false
    .vgpr_count:     115
    .vgpr_spill_count: 0
    .wavefront_size: 64
  - .agpr_count:     0
    .args:
      - .actual_access:  write_only
        .address_space:  global
        .offset:         0
        .size:           8
        .value_kind:     global_buffer
      - .actual_access:  read_only
        .address_space:  global
        .offset:         8
        .size:           8
        .value_kind:     global_buffer
      - .actual_access:  read_only
        .address_space:  global
        .offset:         16
        .size:           8
        .value_kind:     global_buffer
      - .actual_access:  read_only
        .address_space:  global
        .offset:         24
        .size:           8
        .value_kind:     global_buffer
      - .offset:         32
        .size:           4
        .value_kind:     by_value
      - .offset:         36
        .size:           4
        .value_kind:     by_value
      - .actual_access:  read_only
        .address_space:  global
        .offset:         40
        .size:           8
        .value_kind:     global_buffer
      - .actual_access:  read_only
        .address_space:  global
        .offset:         48
        .size:           8
        .value_kind:     global_buffer
      - .offset:         56
        .size:           4
        .value_kind:     by_value
      - .actual_access:  read_only
        .address_space:  global
        .offset:         64
        .size:           8
        .value_kind:     global_buffer
      - .offset:         72
        .size:           4
        .value_kind:     by_value
      - .offset:         76
        .size:           4
        .value_kind:     by_value
      - .offset:         80
        .size:           4
        .value_kind:     by_value
      - .address_space:  global
        .offset:         88
        .size:           8
        .value_kind:     global_buffer
      - .address_space:  global
        .offset:         96
        .size:           8
        .value_kind:     global_buffer
      - .offset:         104
        .size:           4
        .value_kind:     by_value
      - .offset:         108
        .size:           4
        .value_kind:     by_value
      - .offset:         112
        .size:           4
        .value_kind:     by_value
      - .offset:         116
        .size:           4
        .value_kind:     by_value
      - .offset:         120
        .size:           4
        .value_kind:     by_value
      - .offset:         128
        .size:           4
        .value_kind:     hidden_block_count_x
      - .offset:         132
        .size:           4
        .value_kind:     hidden_block_count_y
      - .offset:         136
        .size:           4
        .value_kind:     hidden_block_count_z
      - .offset:         140
        .size:           2
        .value_kind:     hidden_group_size_x
      - .offset:         142
        .size:           2
        .value_kind:     hidden_group_size_y
      - .offset:         144
        .size:           2
        .value_kind:     hidden_group_size_z
      - .offset:         146
        .size:           2
        .value_kind:     hidden_remainder_x
      - .offset:         148
        .size:           2
        .value_kind:     hidden_remainder_y
      - .offset:         150
        .size:           2
        .value_kind:     hidden_remainder_z
      - .offset:         168
        .size:           8
        .value_kind:     hidden_global_offset_x
      - .offset:         176
        .size:           8
        .value_kind:     hidden_global_offset_y
      - .offset:         184
        .size:           8
        .value_kind:     hidden_global_offset_z
      - .offset:         192
        .size:           2
        .value_kind:     hidden_grid_dims
      - .offset:         248
        .size:           4
        .value_kind:     hidden_dynamic_lds_size
    .group_segment_fixed_size: 1040
    .kernarg_segment_align: 8
    .kernarg_segment_size: 384
    .language:       OpenCL C
    .language_version:
      - 2
      - 0
    .max_flat_workgroup_size: 1024
    .name:           _ZN4vllm25paged_attention_v1_kernelIffLi256ELi16ELi128ELNS_18Fp8KVCacheDataTypeE0ELb0EEEvPT_PKS2_PKT0_S8_ifPKiSA_iPKfiiiSC_SC_iiiii
    .private_segment_fixed_size: 100
    .sgpr_count:     44
    .sgpr_spill_count: 0
    .symbol:         _ZN4vllm25paged_attention_v1_kernelIffLi256ELi16ELi128ELNS_18Fp8KVCacheDataTypeE0ELb0EEEvPT_PKS2_PKT0_S8_ifPKiSA_iPKfiiiSC_SC_iiiii.kd
    .uniform_work_group_size: 1
    .uses_dynamic_stack: false
    .vgpr_count:     128
    .vgpr_spill_count: 24
    .wavefront_size: 64
  - .agpr_count:     0
    .args:
      - .actual_access:  write_only
        .address_space:  global
        .offset:         0
        .size:           8
        .value_kind:     global_buffer
      - .actual_access:  read_only
        .address_space:  global
        .offset:         8
        .size:           8
        .value_kind:     global_buffer
      - .actual_access:  read_only
        .address_space:  global
        .offset:         16
        .size:           8
        .value_kind:     global_buffer
      - .actual_access:  read_only
        .address_space:  global
        .offset:         24
        .size:           8
        .value_kind:     global_buffer
      - .offset:         32
        .size:           4
        .value_kind:     by_value
      - .offset:         36
        .size:           4
        .value_kind:     by_value
      - .actual_access:  read_only
        .address_space:  global
        .offset:         40
        .size:           8
        .value_kind:     global_buffer
      - .actual_access:  read_only
        .address_space:  global
        .offset:         48
        .size:           8
        .value_kind:     global_buffer
      - .offset:         56
        .size:           4
        .value_kind:     by_value
      - .actual_access:  read_only
        .address_space:  global
        .offset:         64
        .size:           8
        .value_kind:     global_buffer
      - .offset:         72
        .size:           4
        .value_kind:     by_value
      - .offset:         76
        .size:           4
        .value_kind:     by_value
      - .offset:         80
        .size:           4
        .value_kind:     by_value
      - .address_space:  global
        .offset:         88
        .size:           8
        .value_kind:     global_buffer
      - .address_space:  global
        .offset:         96
        .size:           8
        .value_kind:     global_buffer
      - .offset:         104
        .size:           4
        .value_kind:     by_value
      - .offset:         108
        .size:           4
        .value_kind:     by_value
      - .offset:         112
        .size:           4
        .value_kind:     by_value
      - .offset:         116
        .size:           4
        .value_kind:     by_value
      - .offset:         120
        .size:           4
        .value_kind:     by_value
      - .offset:         128
        .size:           4
        .value_kind:     hidden_block_count_x
      - .offset:         132
        .size:           4
        .value_kind:     hidden_block_count_y
      - .offset:         136
        .size:           4
        .value_kind:     hidden_block_count_z
      - .offset:         140
        .size:           2
        .value_kind:     hidden_group_size_x
      - .offset:         142
        .size:           2
        .value_kind:     hidden_group_size_y
      - .offset:         144
        .size:           2
        .value_kind:     hidden_group_size_z
      - .offset:         146
        .size:           2
        .value_kind:     hidden_remainder_x
      - .offset:         148
        .size:           2
        .value_kind:     hidden_remainder_y
      - .offset:         150
        .size:           2
        .value_kind:     hidden_remainder_z
      - .offset:         168
        .size:           8
        .value_kind:     hidden_global_offset_x
      - .offset:         176
        .size:           8
        .value_kind:     hidden_global_offset_y
      - .offset:         184
        .size:           8
        .value_kind:     hidden_global_offset_z
      - .offset:         192
        .size:           2
        .value_kind:     hidden_grid_dims
      - .offset:         248
        .size:           4
        .value_kind:     hidden_dynamic_lds_size
    .group_segment_fixed_size: 144
    .kernarg_segment_align: 8
    .kernarg_segment_size: 384
    .language:       OpenCL C
    .language_version:
      - 2
      - 0
    .max_flat_workgroup_size: 1024
    .name:           _ZN4vllm25paged_attention_v1_kernelIffLi32ELi32ELi128ELNS_18Fp8KVCacheDataTypeE0ELb1EEEvPT_PKS2_PKT0_S8_ifPKiSA_iPKfiiiSC_SC_iiiii
    .private_segment_fixed_size: 0
    .sgpr_count:     50
    .sgpr_spill_count: 0
    .symbol:         _ZN4vllm25paged_attention_v1_kernelIffLi32ELi32ELi128ELNS_18Fp8KVCacheDataTypeE0ELb1EEEvPT_PKS2_PKT0_S8_ifPKiSA_iPKfiiiSC_SC_iiiii.kd
    .uniform_work_group_size: 1
    .uses_dynamic_stack: false
    .vgpr_count:     56
    .vgpr_spill_count: 0
    .wavefront_size: 64
  - .agpr_count:     0
    .args:
      - .actual_access:  write_only
        .address_space:  global
        .offset:         0
        .size:           8
        .value_kind:     global_buffer
      - .actual_access:  read_only
        .address_space:  global
        .offset:         8
        .size:           8
        .value_kind:     global_buffer
      - .actual_access:  read_only
        .address_space:  global
        .offset:         16
        .size:           8
        .value_kind:     global_buffer
      - .actual_access:  read_only
        .address_space:  global
        .offset:         24
        .size:           8
        .value_kind:     global_buffer
      - .offset:         32
        .size:           4
        .value_kind:     by_value
      - .offset:         36
        .size:           4
        .value_kind:     by_value
      - .actual_access:  read_only
        .address_space:  global
        .offset:         40
        .size:           8
        .value_kind:     global_buffer
      - .actual_access:  read_only
        .address_space:  global
        .offset:         48
        .size:           8
        .value_kind:     global_buffer
      - .offset:         56
        .size:           4
        .value_kind:     by_value
      - .actual_access:  read_only
        .address_space:  global
        .offset:         64
        .size:           8
        .value_kind:     global_buffer
      - .offset:         72
        .size:           4
        .value_kind:     by_value
      - .offset:         76
        .size:           4
        .value_kind:     by_value
      - .offset:         80
        .size:           4
        .value_kind:     by_value
      - .address_space:  global
        .offset:         88
        .size:           8
        .value_kind:     global_buffer
      - .address_space:  global
        .offset:         96
        .size:           8
        .value_kind:     global_buffer
      - .offset:         104
        .size:           4
        .value_kind:     by_value
      - .offset:         108
        .size:           4
        .value_kind:     by_value
      - .offset:         112
        .size:           4
        .value_kind:     by_value
      - .offset:         116
        .size:           4
        .value_kind:     by_value
      - .offset:         120
        .size:           4
        .value_kind:     by_value
      - .offset:         128
        .size:           4
        .value_kind:     hidden_block_count_x
      - .offset:         132
        .size:           4
        .value_kind:     hidden_block_count_y
      - .offset:         136
        .size:           4
        .value_kind:     hidden_block_count_z
      - .offset:         140
        .size:           2
        .value_kind:     hidden_group_size_x
      - .offset:         142
        .size:           2
        .value_kind:     hidden_group_size_y
      - .offset:         144
        .size:           2
        .value_kind:     hidden_group_size_z
      - .offset:         146
        .size:           2
        .value_kind:     hidden_remainder_x
      - .offset:         148
        .size:           2
        .value_kind:     hidden_remainder_y
      - .offset:         150
        .size:           2
        .value_kind:     hidden_remainder_z
      - .offset:         168
        .size:           8
        .value_kind:     hidden_global_offset_x
      - .offset:         176
        .size:           8
        .value_kind:     hidden_global_offset_y
      - .offset:         184
        .size:           8
        .value_kind:     hidden_global_offset_z
      - .offset:         192
        .size:           2
        .value_kind:     hidden_grid_dims
      - .offset:         248
        .size:           4
        .value_kind:     hidden_dynamic_lds_size
    .group_segment_fixed_size: 272
    .kernarg_segment_align: 8
    .kernarg_segment_size: 384
    .language:       OpenCL C
    .language_version:
      - 2
      - 0
    .max_flat_workgroup_size: 1024
    .name:           _ZN4vllm25paged_attention_v1_kernelIffLi64ELi32ELi128ELNS_18Fp8KVCacheDataTypeE0ELb1EEEvPT_PKS2_PKT0_S8_ifPKiSA_iPKfiiiSC_SC_iiiii
    .private_segment_fixed_size: 0
    .sgpr_count:     51
    .sgpr_spill_count: 0
    .symbol:         _ZN4vllm25paged_attention_v1_kernelIffLi64ELi32ELi128ELNS_18Fp8KVCacheDataTypeE0ELb1EEEvPT_PKS2_PKT0_S8_ifPKiSA_iPKfiiiSC_SC_iiiii.kd
    .uniform_work_group_size: 1
    .uses_dynamic_stack: false
    .vgpr_count:     88
    .vgpr_spill_count: 0
    .wavefront_size: 64
  - .agpr_count:     0
    .args:
      - .actual_access:  write_only
        .address_space:  global
        .offset:         0
        .size:           8
        .value_kind:     global_buffer
      - .actual_access:  read_only
        .address_space:  global
        .offset:         8
        .size:           8
        .value_kind:     global_buffer
      - .actual_access:  read_only
        .address_space:  global
        .offset:         16
        .size:           8
        .value_kind:     global_buffer
      - .actual_access:  read_only
        .address_space:  global
        .offset:         24
        .size:           8
        .value_kind:     global_buffer
      - .offset:         32
        .size:           4
        .value_kind:     by_value
      - .offset:         36
        .size:           4
        .value_kind:     by_value
      - .actual_access:  read_only
        .address_space:  global
        .offset:         40
        .size:           8
        .value_kind:     global_buffer
      - .actual_access:  read_only
        .address_space:  global
        .offset:         48
        .size:           8
        .value_kind:     global_buffer
      - .offset:         56
        .size:           4
        .value_kind:     by_value
      - .actual_access:  read_only
        .address_space:  global
        .offset:         64
        .size:           8
        .value_kind:     global_buffer
      - .offset:         72
        .size:           4
        .value_kind:     by_value
      - .offset:         76
        .size:           4
        .value_kind:     by_value
      - .offset:         80
        .size:           4
        .value_kind:     by_value
      - .address_space:  global
        .offset:         88
        .size:           8
        .value_kind:     global_buffer
      - .address_space:  global
        .offset:         96
        .size:           8
        .value_kind:     global_buffer
      - .offset:         104
        .size:           4
        .value_kind:     by_value
      - .offset:         108
        .size:           4
        .value_kind:     by_value
      - .offset:         112
        .size:           4
        .value_kind:     by_value
      - .offset:         116
        .size:           4
        .value_kind:     by_value
      - .offset:         120
        .size:           4
        .value_kind:     by_value
      - .offset:         128
        .size:           4
        .value_kind:     hidden_block_count_x
      - .offset:         132
        .size:           4
        .value_kind:     hidden_block_count_y
      - .offset:         136
        .size:           4
        .value_kind:     hidden_block_count_z
      - .offset:         140
        .size:           2
        .value_kind:     hidden_group_size_x
      - .offset:         142
        .size:           2
        .value_kind:     hidden_group_size_y
      - .offset:         144
        .size:           2
        .value_kind:     hidden_group_size_z
      - .offset:         146
        .size:           2
        .value_kind:     hidden_remainder_x
      - .offset:         148
        .size:           2
        .value_kind:     hidden_remainder_y
      - .offset:         150
        .size:           2
        .value_kind:     hidden_remainder_z
      - .offset:         168
        .size:           8
        .value_kind:     hidden_global_offset_x
      - .offset:         176
        .size:           8
        .value_kind:     hidden_global_offset_y
      - .offset:         184
        .size:           8
        .value_kind:     hidden_global_offset_z
      - .offset:         192
        .size:           2
        .value_kind:     hidden_grid_dims
      - .offset:         248
        .size:           4
        .value_kind:     hidden_dynamic_lds_size
    .group_segment_fixed_size: 336
    .kernarg_segment_align: 8
    .kernarg_segment_size: 384
    .language:       OpenCL C
    .language_version:
      - 2
      - 0
    .max_flat_workgroup_size: 1024
    .name:           _ZN4vllm25paged_attention_v1_kernelIffLi80ELi32ELi128ELNS_18Fp8KVCacheDataTypeE0ELb1EEEvPT_PKS2_PKT0_S8_ifPKiSA_iPKfiiiSC_SC_iiiii
    .private_segment_fixed_size: 0
    .sgpr_count:     52
    .sgpr_spill_count: 0
    .symbol:         _ZN4vllm25paged_attention_v1_kernelIffLi80ELi32ELi128ELNS_18Fp8KVCacheDataTypeE0ELb1EEEvPT_PKS2_PKT0_S8_ifPKiSA_iPKfiiiSC_SC_iiiii.kd
    .uniform_work_group_size: 1
    .uses_dynamic_stack: false
    .vgpr_count:     104
    .vgpr_spill_count: 0
    .wavefront_size: 64
  - .agpr_count:     0
    .args:
      - .actual_access:  write_only
        .address_space:  global
        .offset:         0
        .size:           8
        .value_kind:     global_buffer
      - .actual_access:  read_only
        .address_space:  global
        .offset:         8
        .size:           8
        .value_kind:     global_buffer
      - .actual_access:  read_only
        .address_space:  global
        .offset:         16
        .size:           8
        .value_kind:     global_buffer
      - .actual_access:  read_only
        .address_space:  global
        .offset:         24
        .size:           8
        .value_kind:     global_buffer
      - .offset:         32
        .size:           4
        .value_kind:     by_value
      - .offset:         36
        .size:           4
        .value_kind:     by_value
      - .actual_access:  read_only
        .address_space:  global
        .offset:         40
        .size:           8
        .value_kind:     global_buffer
      - .actual_access:  read_only
        .address_space:  global
        .offset:         48
        .size:           8
        .value_kind:     global_buffer
      - .offset:         56
        .size:           4
        .value_kind:     by_value
      - .actual_access:  read_only
        .address_space:  global
        .offset:         64
        .size:           8
        .value_kind:     global_buffer
      - .offset:         72
        .size:           4
        .value_kind:     by_value
      - .offset:         76
        .size:           4
        .value_kind:     by_value
      - .offset:         80
        .size:           4
        .value_kind:     by_value
      - .address_space:  global
        .offset:         88
        .size:           8
        .value_kind:     global_buffer
      - .address_space:  global
        .offset:         96
        .size:           8
        .value_kind:     global_buffer
      - .offset:         104
        .size:           4
        .value_kind:     by_value
      - .offset:         108
        .size:           4
        .value_kind:     by_value
      - .offset:         112
        .size:           4
        .value_kind:     by_value
      - .offset:         116
        .size:           4
        .value_kind:     by_value
      - .offset:         120
        .size:           4
        .value_kind:     by_value
      - .offset:         128
        .size:           4
        .value_kind:     hidden_block_count_x
      - .offset:         132
        .size:           4
        .value_kind:     hidden_block_count_y
      - .offset:         136
        .size:           4
        .value_kind:     hidden_block_count_z
      - .offset:         140
        .size:           2
        .value_kind:     hidden_group_size_x
      - .offset:         142
        .size:           2
        .value_kind:     hidden_group_size_y
      - .offset:         144
        .size:           2
        .value_kind:     hidden_group_size_z
      - .offset:         146
        .size:           2
        .value_kind:     hidden_remainder_x
      - .offset:         148
        .size:           2
        .value_kind:     hidden_remainder_y
      - .offset:         150
        .size:           2
        .value_kind:     hidden_remainder_z
      - .offset:         168
        .size:           8
        .value_kind:     hidden_global_offset_x
      - .offset:         176
        .size:           8
        .value_kind:     hidden_global_offset_y
      - .offset:         184
        .size:           8
        .value_kind:     hidden_global_offset_z
      - .offset:         192
        .size:           2
        .value_kind:     hidden_grid_dims
      - .offset:         248
        .size:           4
        .value_kind:     hidden_dynamic_lds_size
    .group_segment_fixed_size: 400
    .kernarg_segment_align: 8
    .kernarg_segment_size: 384
    .language:       OpenCL C
    .language_version:
      - 2
      - 0
    .max_flat_workgroup_size: 1024
    .name:           _ZN4vllm25paged_attention_v1_kernelIffLi96ELi32ELi128ELNS_18Fp8KVCacheDataTypeE0ELb1EEEvPT_PKS2_PKT0_S8_ifPKiSA_iPKfiiiSC_SC_iiiii
    .private_segment_fixed_size: 0
    .sgpr_count:     52
    .sgpr_spill_count: 0
    .symbol:         _ZN4vllm25paged_attention_v1_kernelIffLi96ELi32ELi128ELNS_18Fp8KVCacheDataTypeE0ELb1EEEvPT_PKS2_PKT0_S8_ifPKiSA_iPKfiiiSC_SC_iiiii.kd
    .uniform_work_group_size: 1
    .uses_dynamic_stack: false
    .vgpr_count:     105
    .vgpr_spill_count: 0
    .wavefront_size: 64
  - .agpr_count:     0
    .args:
      - .actual_access:  write_only
        .address_space:  global
        .offset:         0
        .size:           8
        .value_kind:     global_buffer
      - .actual_access:  read_only
        .address_space:  global
        .offset:         8
        .size:           8
        .value_kind:     global_buffer
      - .actual_access:  read_only
        .address_space:  global
        .offset:         16
        .size:           8
        .value_kind:     global_buffer
      - .actual_access:  read_only
        .address_space:  global
        .offset:         24
        .size:           8
        .value_kind:     global_buffer
      - .offset:         32
        .size:           4
        .value_kind:     by_value
      - .offset:         36
        .size:           4
        .value_kind:     by_value
      - .actual_access:  read_only
        .address_space:  global
        .offset:         40
        .size:           8
        .value_kind:     global_buffer
      - .actual_access:  read_only
        .address_space:  global
        .offset:         48
        .size:           8
        .value_kind:     global_buffer
      - .offset:         56
        .size:           4
        .value_kind:     by_value
      - .actual_access:  read_only
        .address_space:  global
        .offset:         64
        .size:           8
        .value_kind:     global_buffer
      - .offset:         72
        .size:           4
        .value_kind:     by_value
      - .offset:         76
        .size:           4
        .value_kind:     by_value
      - .offset:         80
        .size:           4
        .value_kind:     by_value
      - .address_space:  global
        .offset:         88
        .size:           8
        .value_kind:     global_buffer
      - .address_space:  global
        .offset:         96
        .size:           8
        .value_kind:     global_buffer
      - .offset:         104
        .size:           4
        .value_kind:     by_value
      - .offset:         108
        .size:           4
        .value_kind:     by_value
      - .offset:         112
        .size:           4
        .value_kind:     by_value
      - .offset:         116
        .size:           4
        .value_kind:     by_value
      - .offset:         120
        .size:           4
        .value_kind:     by_value
      - .offset:         128
        .size:           4
        .value_kind:     hidden_block_count_x
      - .offset:         132
        .size:           4
        .value_kind:     hidden_block_count_y
      - .offset:         136
        .size:           4
        .value_kind:     hidden_block_count_z
      - .offset:         140
        .size:           2
        .value_kind:     hidden_group_size_x
      - .offset:         142
        .size:           2
        .value_kind:     hidden_group_size_y
      - .offset:         144
        .size:           2
        .value_kind:     hidden_group_size_z
      - .offset:         146
        .size:           2
        .value_kind:     hidden_remainder_x
      - .offset:         148
        .size:           2
        .value_kind:     hidden_remainder_y
      - .offset:         150
        .size:           2
        .value_kind:     hidden_remainder_z
      - .offset:         168
        .size:           8
        .value_kind:     hidden_global_offset_x
      - .offset:         176
        .size:           8
        .value_kind:     hidden_global_offset_y
      - .offset:         184
        .size:           8
        .value_kind:     hidden_global_offset_z
      - .offset:         192
        .size:           2
        .value_kind:     hidden_grid_dims
      - .offset:         248
        .size:           4
        .value_kind:     hidden_dynamic_lds_size
    .group_segment_fixed_size: 464
    .kernarg_segment_align: 8
    .kernarg_segment_size: 384
    .language:       OpenCL C
    .language_version:
      - 2
      - 0
    .max_flat_workgroup_size: 1024
    .name:           _ZN4vllm25paged_attention_v1_kernelIffLi112ELi32ELi128ELNS_18Fp8KVCacheDataTypeE0ELb1EEEvPT_PKS2_PKT0_S8_ifPKiSA_iPKfiiiSC_SC_iiiii
    .private_segment_fixed_size: 0
    .sgpr_count:     53
    .sgpr_spill_count: 0
    .symbol:         _ZN4vllm25paged_attention_v1_kernelIffLi112ELi32ELi128ELNS_18Fp8KVCacheDataTypeE0ELb1EEEvPT_PKS2_PKT0_S8_ifPKiSA_iPKfiiiSC_SC_iiiii.kd
    .uniform_work_group_size: 1
    .uses_dynamic_stack: false
    .vgpr_count:     112
    .vgpr_spill_count: 0
    .wavefront_size: 64
  - .agpr_count:     0
    .args:
      - .actual_access:  write_only
        .address_space:  global
        .offset:         0
        .size:           8
        .value_kind:     global_buffer
      - .actual_access:  read_only
        .address_space:  global
        .offset:         8
        .size:           8
        .value_kind:     global_buffer
      - .actual_access:  read_only
        .address_space:  global
        .offset:         16
        .size:           8
        .value_kind:     global_buffer
      - .actual_access:  read_only
        .address_space:  global
        .offset:         24
        .size:           8
        .value_kind:     global_buffer
      - .offset:         32
        .size:           4
        .value_kind:     by_value
      - .offset:         36
        .size:           4
        .value_kind:     by_value
      - .actual_access:  read_only
        .address_space:  global
        .offset:         40
        .size:           8
        .value_kind:     global_buffer
      - .actual_access:  read_only
        .address_space:  global
        .offset:         48
        .size:           8
        .value_kind:     global_buffer
      - .offset:         56
        .size:           4
        .value_kind:     by_value
      - .actual_access:  read_only
        .address_space:  global
        .offset:         64
        .size:           8
        .value_kind:     global_buffer
      - .offset:         72
        .size:           4
        .value_kind:     by_value
      - .offset:         76
        .size:           4
        .value_kind:     by_value
      - .offset:         80
        .size:           4
        .value_kind:     by_value
      - .address_space:  global
        .offset:         88
        .size:           8
        .value_kind:     global_buffer
      - .address_space:  global
        .offset:         96
        .size:           8
        .value_kind:     global_buffer
      - .offset:         104
        .size:           4
        .value_kind:     by_value
      - .offset:         108
        .size:           4
        .value_kind:     by_value
      - .offset:         112
        .size:           4
        .value_kind:     by_value
      - .offset:         116
        .size:           4
        .value_kind:     by_value
      - .offset:         120
        .size:           4
        .value_kind:     by_value
      - .offset:         128
        .size:           4
        .value_kind:     hidden_block_count_x
      - .offset:         132
        .size:           4
        .value_kind:     hidden_block_count_y
      - .offset:         136
        .size:           4
        .value_kind:     hidden_block_count_z
      - .offset:         140
        .size:           2
        .value_kind:     hidden_group_size_x
      - .offset:         142
        .size:           2
        .value_kind:     hidden_group_size_y
      - .offset:         144
        .size:           2
        .value_kind:     hidden_group_size_z
      - .offset:         146
        .size:           2
        .value_kind:     hidden_remainder_x
      - .offset:         148
        .size:           2
        .value_kind:     hidden_remainder_y
      - .offset:         150
        .size:           2
        .value_kind:     hidden_remainder_z
      - .offset:         168
        .size:           8
        .value_kind:     hidden_global_offset_x
      - .offset:         176
        .size:           8
        .value_kind:     hidden_global_offset_y
      - .offset:         184
        .size:           8
        .value_kind:     hidden_global_offset_z
      - .offset:         192
        .size:           2
        .value_kind:     hidden_grid_dims
      - .offset:         248
        .size:           4
        .value_kind:     hidden_dynamic_lds_size
    .group_segment_fixed_size: 496
    .kernarg_segment_align: 8
    .kernarg_segment_size: 384
    .language:       OpenCL C
    .language_version:
      - 2
      - 0
    .max_flat_workgroup_size: 1024
    .name:           _ZN4vllm25paged_attention_v1_kernelIffLi120ELi32ELi128ELNS_18Fp8KVCacheDataTypeE0ELb1EEEvPT_PKS2_PKT0_S8_ifPKiSA_iPKfiiiSC_SC_iiiii
    .private_segment_fixed_size: 0
    .sgpr_count:     53
    .sgpr_spill_count: 0
    .symbol:         _ZN4vllm25paged_attention_v1_kernelIffLi120ELi32ELi128ELNS_18Fp8KVCacheDataTypeE0ELb1EEEvPT_PKS2_PKT0_S8_ifPKiSA_iPKfiiiSC_SC_iiiii.kd
    .uniform_work_group_size: 1
    .uses_dynamic_stack: false
    .vgpr_count:     119
    .vgpr_spill_count: 0
    .wavefront_size: 64
  - .agpr_count:     0
    .args:
      - .actual_access:  write_only
        .address_space:  global
        .offset:         0
        .size:           8
        .value_kind:     global_buffer
      - .actual_access:  read_only
        .address_space:  global
        .offset:         8
        .size:           8
        .value_kind:     global_buffer
      - .actual_access:  read_only
        .address_space:  global
        .offset:         16
        .size:           8
        .value_kind:     global_buffer
      - .actual_access:  read_only
        .address_space:  global
        .offset:         24
        .size:           8
        .value_kind:     global_buffer
      - .offset:         32
        .size:           4
        .value_kind:     by_value
      - .offset:         36
        .size:           4
        .value_kind:     by_value
      - .actual_access:  read_only
        .address_space:  global
        .offset:         40
        .size:           8
        .value_kind:     global_buffer
      - .actual_access:  read_only
        .address_space:  global
        .offset:         48
        .size:           8
        .value_kind:     global_buffer
      - .offset:         56
        .size:           4
        .value_kind:     by_value
      - .actual_access:  read_only
        .address_space:  global
        .offset:         64
        .size:           8
        .value_kind:     global_buffer
      - .offset:         72
        .size:           4
        .value_kind:     by_value
      - .offset:         76
        .size:           4
        .value_kind:     by_value
      - .offset:         80
        .size:           4
        .value_kind:     by_value
      - .address_space:  global
        .offset:         88
        .size:           8
        .value_kind:     global_buffer
      - .address_space:  global
        .offset:         96
        .size:           8
        .value_kind:     global_buffer
      - .offset:         104
        .size:           4
        .value_kind:     by_value
      - .offset:         108
        .size:           4
        .value_kind:     by_value
      - .offset:         112
        .size:           4
        .value_kind:     by_value
      - .offset:         116
        .size:           4
        .value_kind:     by_value
      - .offset:         120
        .size:           4
        .value_kind:     by_value
      - .offset:         128
        .size:           4
        .value_kind:     hidden_block_count_x
      - .offset:         132
        .size:           4
        .value_kind:     hidden_block_count_y
      - .offset:         136
        .size:           4
        .value_kind:     hidden_block_count_z
      - .offset:         140
        .size:           2
        .value_kind:     hidden_group_size_x
      - .offset:         142
        .size:           2
        .value_kind:     hidden_group_size_y
      - .offset:         144
        .size:           2
        .value_kind:     hidden_group_size_z
      - .offset:         146
        .size:           2
        .value_kind:     hidden_remainder_x
      - .offset:         148
        .size:           2
        .value_kind:     hidden_remainder_y
      - .offset:         150
        .size:           2
        .value_kind:     hidden_remainder_z
      - .offset:         168
        .size:           8
        .value_kind:     hidden_global_offset_x
      - .offset:         176
        .size:           8
        .value_kind:     hidden_global_offset_y
      - .offset:         184
        .size:           8
        .value_kind:     hidden_global_offset_z
      - .offset:         192
        .size:           2
        .value_kind:     hidden_grid_dims
      - .offset:         248
        .size:           4
        .value_kind:     hidden_dynamic_lds_size
    .group_segment_fixed_size: 528
    .kernarg_segment_align: 8
    .kernarg_segment_size: 384
    .language:       OpenCL C
    .language_version:
      - 2
      - 0
    .max_flat_workgroup_size: 1024
    .name:           _ZN4vllm25paged_attention_v1_kernelIffLi128ELi32ELi128ELNS_18Fp8KVCacheDataTypeE0ELb1EEEvPT_PKS2_PKT0_S8_ifPKiSA_iPKfiiiSC_SC_iiiii
    .private_segment_fixed_size: 0
    .sgpr_count:     55
    .sgpr_spill_count: 0
    .symbol:         _ZN4vllm25paged_attention_v1_kernelIffLi128ELi32ELi128ELNS_18Fp8KVCacheDataTypeE0ELb1EEEvPT_PKS2_PKT0_S8_ifPKiSA_iPKfiiiSC_SC_iiiii.kd
    .uniform_work_group_size: 1
    .uses_dynamic_stack: false
    .vgpr_count:     126
    .vgpr_spill_count: 0
    .wavefront_size: 64
  - .agpr_count:     0
    .args:
      - .actual_access:  write_only
        .address_space:  global
        .offset:         0
        .size:           8
        .value_kind:     global_buffer
      - .actual_access:  read_only
        .address_space:  global
        .offset:         8
        .size:           8
        .value_kind:     global_buffer
      - .actual_access:  read_only
        .address_space:  global
        .offset:         16
        .size:           8
        .value_kind:     global_buffer
      - .actual_access:  read_only
        .address_space:  global
        .offset:         24
        .size:           8
        .value_kind:     global_buffer
      - .offset:         32
        .size:           4
        .value_kind:     by_value
      - .offset:         36
        .size:           4
        .value_kind:     by_value
      - .actual_access:  read_only
        .address_space:  global
        .offset:         40
        .size:           8
        .value_kind:     global_buffer
      - .actual_access:  read_only
        .address_space:  global
        .offset:         48
        .size:           8
        .value_kind:     global_buffer
      - .offset:         56
        .size:           4
        .value_kind:     by_value
      - .actual_access:  read_only
        .address_space:  global
        .offset:         64
        .size:           8
        .value_kind:     global_buffer
      - .offset:         72
        .size:           4
        .value_kind:     by_value
      - .offset:         76
        .size:           4
        .value_kind:     by_value
      - .offset:         80
        .size:           4
        .value_kind:     by_value
      - .address_space:  global
        .offset:         88
        .size:           8
        .value_kind:     global_buffer
      - .address_space:  global
        .offset:         96
        .size:           8
        .value_kind:     global_buffer
      - .offset:         104
        .size:           4
        .value_kind:     by_value
      - .offset:         108
        .size:           4
        .value_kind:     by_value
      - .offset:         112
        .size:           4
        .value_kind:     by_value
      - .offset:         116
        .size:           4
        .value_kind:     by_value
      - .offset:         120
        .size:           4
        .value_kind:     by_value
      - .offset:         128
        .size:           4
        .value_kind:     hidden_block_count_x
      - .offset:         132
        .size:           4
        .value_kind:     hidden_block_count_y
      - .offset:         136
        .size:           4
        .value_kind:     hidden_block_count_z
      - .offset:         140
        .size:           2
        .value_kind:     hidden_group_size_x
      - .offset:         142
        .size:           2
        .value_kind:     hidden_group_size_y
      - .offset:         144
        .size:           2
        .value_kind:     hidden_group_size_z
      - .offset:         146
        .size:           2
        .value_kind:     hidden_remainder_x
      - .offset:         148
        .size:           2
        .value_kind:     hidden_remainder_y
      - .offset:         150
        .size:           2
        .value_kind:     hidden_remainder_z
      - .offset:         168
        .size:           8
        .value_kind:     hidden_global_offset_x
      - .offset:         176
        .size:           8
        .value_kind:     hidden_global_offset_y
      - .offset:         184
        .size:           8
        .value_kind:     hidden_global_offset_z
      - .offset:         192
        .size:           2
        .value_kind:     hidden_grid_dims
      - .offset:         248
        .size:           4
        .value_kind:     hidden_dynamic_lds_size
    .group_segment_fixed_size: 784
    .kernarg_segment_align: 8
    .kernarg_segment_size: 384
    .language:       OpenCL C
    .language_version:
      - 2
      - 0
    .max_flat_workgroup_size: 1024
    .name:           _ZN4vllm25paged_attention_v1_kernelIffLi192ELi32ELi128ELNS_18Fp8KVCacheDataTypeE0ELb1EEEvPT_PKS2_PKT0_S8_ifPKiSA_iPKfiiiSC_SC_iiiii
    .private_segment_fixed_size: 224
    .sgpr_count:     55
    .sgpr_spill_count: 0
    .symbol:         _ZN4vllm25paged_attention_v1_kernelIffLi192ELi32ELi128ELNS_18Fp8KVCacheDataTypeE0ELb1EEEvPT_PKS2_PKT0_S8_ifPKiSA_iPKfiiiSC_SC_iiiii.kd
    .uniform_work_group_size: 1
    .uses_dynamic_stack: false
    .vgpr_count:     128
    .vgpr_spill_count: 105
    .wavefront_size: 64
  - .agpr_count:     0
    .args:
      - .actual_access:  write_only
        .address_space:  global
        .offset:         0
        .size:           8
        .value_kind:     global_buffer
      - .actual_access:  read_only
        .address_space:  global
        .offset:         8
        .size:           8
        .value_kind:     global_buffer
      - .actual_access:  read_only
        .address_space:  global
        .offset:         16
        .size:           8
        .value_kind:     global_buffer
      - .actual_access:  read_only
        .address_space:  global
        .offset:         24
        .size:           8
        .value_kind:     global_buffer
      - .offset:         32
        .size:           4
        .value_kind:     by_value
      - .offset:         36
        .size:           4
        .value_kind:     by_value
      - .actual_access:  read_only
        .address_space:  global
        .offset:         40
        .size:           8
        .value_kind:     global_buffer
      - .actual_access:  read_only
        .address_space:  global
        .offset:         48
        .size:           8
        .value_kind:     global_buffer
      - .offset:         56
        .size:           4
        .value_kind:     by_value
      - .actual_access:  read_only
        .address_space:  global
        .offset:         64
        .size:           8
        .value_kind:     global_buffer
      - .offset:         72
        .size:           4
        .value_kind:     by_value
      - .offset:         76
        .size:           4
        .value_kind:     by_value
      - .offset:         80
        .size:           4
        .value_kind:     by_value
      - .address_space:  global
        .offset:         88
        .size:           8
        .value_kind:     global_buffer
      - .address_space:  global
        .offset:         96
        .size:           8
        .value_kind:     global_buffer
      - .offset:         104
        .size:           4
        .value_kind:     by_value
      - .offset:         108
        .size:           4
        .value_kind:     by_value
      - .offset:         112
        .size:           4
        .value_kind:     by_value
      - .offset:         116
        .size:           4
        .value_kind:     by_value
      - .offset:         120
        .size:           4
        .value_kind:     by_value
      - .offset:         128
        .size:           4
        .value_kind:     hidden_block_count_x
      - .offset:         132
        .size:           4
        .value_kind:     hidden_block_count_y
      - .offset:         136
        .size:           4
        .value_kind:     hidden_block_count_z
      - .offset:         140
        .size:           2
        .value_kind:     hidden_group_size_x
      - .offset:         142
        .size:           2
        .value_kind:     hidden_group_size_y
      - .offset:         144
        .size:           2
        .value_kind:     hidden_group_size_z
      - .offset:         146
        .size:           2
        .value_kind:     hidden_remainder_x
      - .offset:         148
        .size:           2
        .value_kind:     hidden_remainder_y
      - .offset:         150
        .size:           2
        .value_kind:     hidden_remainder_z
      - .offset:         168
        .size:           8
        .value_kind:     hidden_global_offset_x
      - .offset:         176
        .size:           8
        .value_kind:     hidden_global_offset_y
      - .offset:         184
        .size:           8
        .value_kind:     hidden_global_offset_z
      - .offset:         192
        .size:           2
        .value_kind:     hidden_grid_dims
      - .offset:         248
        .size:           4
        .value_kind:     hidden_dynamic_lds_size
    .group_segment_fixed_size: 1040
    .kernarg_segment_align: 8
    .kernarg_segment_size: 384
    .language:       OpenCL C
    .language_version:
      - 2
      - 0
    .max_flat_workgroup_size: 1024
    .name:           _ZN4vllm25paged_attention_v1_kernelIffLi256ELi32ELi128ELNS_18Fp8KVCacheDataTypeE0ELb1EEEvPT_PKS2_PKT0_S8_ifPKiSA_iPKfiiiSC_SC_iiiii
    .private_segment_fixed_size: 456
    .sgpr_count:     57
    .sgpr_spill_count: 0
    .symbol:         _ZN4vllm25paged_attention_v1_kernelIffLi256ELi32ELi128ELNS_18Fp8KVCacheDataTypeE0ELb1EEEvPT_PKS2_PKT0_S8_ifPKiSA_iPKfiiiSC_SC_iiiii.kd
    .uniform_work_group_size: 1
    .uses_dynamic_stack: false
    .vgpr_count:     128
    .vgpr_spill_count: 214
    .wavefront_size: 64
  - .agpr_count:     0
    .args:
      - .actual_access:  write_only
        .address_space:  global
        .offset:         0
        .size:           8
        .value_kind:     global_buffer
      - .actual_access:  read_only
        .address_space:  global
        .offset:         8
        .size:           8
        .value_kind:     global_buffer
      - .actual_access:  read_only
        .address_space:  global
        .offset:         16
        .size:           8
        .value_kind:     global_buffer
      - .actual_access:  read_only
        .address_space:  global
        .offset:         24
        .size:           8
        .value_kind:     global_buffer
      - .offset:         32
        .size:           4
        .value_kind:     by_value
      - .offset:         36
        .size:           4
        .value_kind:     by_value
      - .actual_access:  read_only
        .address_space:  global
        .offset:         40
        .size:           8
        .value_kind:     global_buffer
      - .actual_access:  read_only
        .address_space:  global
        .offset:         48
        .size:           8
        .value_kind:     global_buffer
      - .offset:         56
        .size:           4
        .value_kind:     by_value
      - .actual_access:  read_only
        .address_space:  global
        .offset:         64
        .size:           8
        .value_kind:     global_buffer
      - .offset:         72
        .size:           4
        .value_kind:     by_value
      - .offset:         76
        .size:           4
        .value_kind:     by_value
      - .offset:         80
        .size:           4
        .value_kind:     by_value
      - .address_space:  global
        .offset:         88
        .size:           8
        .value_kind:     global_buffer
      - .address_space:  global
        .offset:         96
        .size:           8
        .value_kind:     global_buffer
      - .offset:         104
        .size:           4
        .value_kind:     by_value
      - .offset:         108
        .size:           4
        .value_kind:     by_value
      - .offset:         112
        .size:           4
        .value_kind:     by_value
      - .offset:         116
        .size:           4
        .value_kind:     by_value
      - .offset:         120
        .size:           4
        .value_kind:     by_value
      - .offset:         128
        .size:           4
        .value_kind:     hidden_block_count_x
      - .offset:         132
        .size:           4
        .value_kind:     hidden_block_count_y
      - .offset:         136
        .size:           4
        .value_kind:     hidden_block_count_z
      - .offset:         140
        .size:           2
        .value_kind:     hidden_group_size_x
      - .offset:         142
        .size:           2
        .value_kind:     hidden_group_size_y
      - .offset:         144
        .size:           2
        .value_kind:     hidden_group_size_z
      - .offset:         146
        .size:           2
        .value_kind:     hidden_remainder_x
      - .offset:         148
        .size:           2
        .value_kind:     hidden_remainder_y
      - .offset:         150
        .size:           2
        .value_kind:     hidden_remainder_z
      - .offset:         168
        .size:           8
        .value_kind:     hidden_global_offset_x
      - .offset:         176
        .size:           8
        .value_kind:     hidden_global_offset_y
      - .offset:         184
        .size:           8
        .value_kind:     hidden_global_offset_z
      - .offset:         192
        .size:           2
        .value_kind:     hidden_grid_dims
      - .offset:         248
        .size:           4
        .value_kind:     hidden_dynamic_lds_size
    .group_segment_fixed_size: 144
    .kernarg_segment_align: 8
    .kernarg_segment_size: 384
    .language:       OpenCL C
    .language_version:
      - 2
      - 0
    .max_flat_workgroup_size: 1024
    .name:           _ZN4vllm25paged_attention_v1_kernelIffLi32ELi32ELi128ELNS_18Fp8KVCacheDataTypeE0ELb0EEEvPT_PKS2_PKT0_S8_ifPKiSA_iPKfiiiSC_SC_iiiii
    .private_segment_fixed_size: 0
    .sgpr_count:     40
    .sgpr_spill_count: 0
    .symbol:         _ZN4vllm25paged_attention_v1_kernelIffLi32ELi32ELi128ELNS_18Fp8KVCacheDataTypeE0ELb0EEEvPT_PKS2_PKT0_S8_ifPKiSA_iPKfiiiSC_SC_iiiii.kd
    .uniform_work_group_size: 1
    .uses_dynamic_stack: false
    .vgpr_count:     50
    .vgpr_spill_count: 0
    .wavefront_size: 64
  - .agpr_count:     0
    .args:
      - .actual_access:  write_only
        .address_space:  global
        .offset:         0
        .size:           8
        .value_kind:     global_buffer
      - .actual_access:  read_only
        .address_space:  global
        .offset:         8
        .size:           8
        .value_kind:     global_buffer
      - .actual_access:  read_only
        .address_space:  global
        .offset:         16
        .size:           8
        .value_kind:     global_buffer
      - .actual_access:  read_only
        .address_space:  global
        .offset:         24
        .size:           8
        .value_kind:     global_buffer
      - .offset:         32
        .size:           4
        .value_kind:     by_value
      - .offset:         36
        .size:           4
        .value_kind:     by_value
      - .actual_access:  read_only
        .address_space:  global
        .offset:         40
        .size:           8
        .value_kind:     global_buffer
      - .actual_access:  read_only
        .address_space:  global
        .offset:         48
        .size:           8
        .value_kind:     global_buffer
      - .offset:         56
        .size:           4
        .value_kind:     by_value
      - .actual_access:  read_only
        .address_space:  global
        .offset:         64
        .size:           8
        .value_kind:     global_buffer
      - .offset:         72
        .size:           4
        .value_kind:     by_value
      - .offset:         76
        .size:           4
        .value_kind:     by_value
      - .offset:         80
        .size:           4
        .value_kind:     by_value
      - .address_space:  global
        .offset:         88
        .size:           8
        .value_kind:     global_buffer
      - .address_space:  global
        .offset:         96
        .size:           8
        .value_kind:     global_buffer
      - .offset:         104
        .size:           4
        .value_kind:     by_value
      - .offset:         108
        .size:           4
        .value_kind:     by_value
      - .offset:         112
        .size:           4
        .value_kind:     by_value
      - .offset:         116
        .size:           4
        .value_kind:     by_value
      - .offset:         120
        .size:           4
        .value_kind:     by_value
      - .offset:         128
        .size:           4
        .value_kind:     hidden_block_count_x
      - .offset:         132
        .size:           4
        .value_kind:     hidden_block_count_y
      - .offset:         136
        .size:           4
        .value_kind:     hidden_block_count_z
      - .offset:         140
        .size:           2
        .value_kind:     hidden_group_size_x
      - .offset:         142
        .size:           2
        .value_kind:     hidden_group_size_y
      - .offset:         144
        .size:           2
        .value_kind:     hidden_group_size_z
      - .offset:         146
        .size:           2
        .value_kind:     hidden_remainder_x
      - .offset:         148
        .size:           2
        .value_kind:     hidden_remainder_y
      - .offset:         150
        .size:           2
        .value_kind:     hidden_remainder_z
      - .offset:         168
        .size:           8
        .value_kind:     hidden_global_offset_x
      - .offset:         176
        .size:           8
        .value_kind:     hidden_global_offset_y
      - .offset:         184
        .size:           8
        .value_kind:     hidden_global_offset_z
      - .offset:         192
        .size:           2
        .value_kind:     hidden_grid_dims
      - .offset:         248
        .size:           4
        .value_kind:     hidden_dynamic_lds_size
    .group_segment_fixed_size: 272
    .kernarg_segment_align: 8
    .kernarg_segment_size: 384
    .language:       OpenCL C
    .language_version:
      - 2
      - 0
    .max_flat_workgroup_size: 1024
    .name:           _ZN4vllm25paged_attention_v1_kernelIffLi64ELi32ELi128ELNS_18Fp8KVCacheDataTypeE0ELb0EEEvPT_PKS2_PKT0_S8_ifPKiSA_iPKfiiiSC_SC_iiiii
    .private_segment_fixed_size: 0
    .sgpr_count:     41
    .sgpr_spill_count: 0
    .symbol:         _ZN4vllm25paged_attention_v1_kernelIffLi64ELi32ELi128ELNS_18Fp8KVCacheDataTypeE0ELb0EEEvPT_PKS2_PKT0_S8_ifPKiSA_iPKfiiiSC_SC_iiiii.kd
    .uniform_work_group_size: 1
    .uses_dynamic_stack: false
    .vgpr_count:     78
    .vgpr_spill_count: 0
    .wavefront_size: 64
  - .agpr_count:     0
    .args:
      - .actual_access:  write_only
        .address_space:  global
        .offset:         0
        .size:           8
        .value_kind:     global_buffer
      - .actual_access:  read_only
        .address_space:  global
        .offset:         8
        .size:           8
        .value_kind:     global_buffer
      - .actual_access:  read_only
        .address_space:  global
        .offset:         16
        .size:           8
        .value_kind:     global_buffer
      - .actual_access:  read_only
        .address_space:  global
        .offset:         24
        .size:           8
        .value_kind:     global_buffer
      - .offset:         32
        .size:           4
        .value_kind:     by_value
      - .offset:         36
        .size:           4
        .value_kind:     by_value
      - .actual_access:  read_only
        .address_space:  global
        .offset:         40
        .size:           8
        .value_kind:     global_buffer
      - .actual_access:  read_only
        .address_space:  global
        .offset:         48
        .size:           8
        .value_kind:     global_buffer
      - .offset:         56
        .size:           4
        .value_kind:     by_value
      - .actual_access:  read_only
        .address_space:  global
        .offset:         64
        .size:           8
        .value_kind:     global_buffer
      - .offset:         72
        .size:           4
        .value_kind:     by_value
      - .offset:         76
        .size:           4
        .value_kind:     by_value
      - .offset:         80
        .size:           4
        .value_kind:     by_value
      - .address_space:  global
        .offset:         88
        .size:           8
        .value_kind:     global_buffer
      - .address_space:  global
        .offset:         96
        .size:           8
        .value_kind:     global_buffer
      - .offset:         104
        .size:           4
        .value_kind:     by_value
      - .offset:         108
        .size:           4
        .value_kind:     by_value
      - .offset:         112
        .size:           4
        .value_kind:     by_value
      - .offset:         116
        .size:           4
        .value_kind:     by_value
      - .offset:         120
        .size:           4
        .value_kind:     by_value
      - .offset:         128
        .size:           4
        .value_kind:     hidden_block_count_x
      - .offset:         132
        .size:           4
        .value_kind:     hidden_block_count_y
      - .offset:         136
        .size:           4
        .value_kind:     hidden_block_count_z
      - .offset:         140
        .size:           2
        .value_kind:     hidden_group_size_x
      - .offset:         142
        .size:           2
        .value_kind:     hidden_group_size_y
      - .offset:         144
        .size:           2
        .value_kind:     hidden_group_size_z
      - .offset:         146
        .size:           2
        .value_kind:     hidden_remainder_x
      - .offset:         148
        .size:           2
        .value_kind:     hidden_remainder_y
      - .offset:         150
        .size:           2
        .value_kind:     hidden_remainder_z
      - .offset:         168
        .size:           8
        .value_kind:     hidden_global_offset_x
      - .offset:         176
        .size:           8
        .value_kind:     hidden_global_offset_y
      - .offset:         184
        .size:           8
        .value_kind:     hidden_global_offset_z
      - .offset:         192
        .size:           2
        .value_kind:     hidden_grid_dims
      - .offset:         248
        .size:           4
        .value_kind:     hidden_dynamic_lds_size
    .group_segment_fixed_size: 336
    .kernarg_segment_align: 8
    .kernarg_segment_size: 384
    .language:       OpenCL C
    .language_version:
      - 2
      - 0
    .max_flat_workgroup_size: 1024
    .name:           _ZN4vllm25paged_attention_v1_kernelIffLi80ELi32ELi128ELNS_18Fp8KVCacheDataTypeE0ELb0EEEvPT_PKS2_PKT0_S8_ifPKiSA_iPKfiiiSC_SC_iiiii
    .private_segment_fixed_size: 0
    .sgpr_count:     42
    .sgpr_spill_count: 0
    .symbol:         _ZN4vllm25paged_attention_v1_kernelIffLi80ELi32ELi128ELNS_18Fp8KVCacheDataTypeE0ELb0EEEvPT_PKS2_PKT0_S8_ifPKiSA_iPKfiiiSC_SC_iiiii.kd
    .uniform_work_group_size: 1
    .uses_dynamic_stack: false
    .vgpr_count:     88
    .vgpr_spill_count: 0
    .wavefront_size: 64
  - .agpr_count:     0
    .args:
      - .actual_access:  write_only
        .address_space:  global
        .offset:         0
        .size:           8
        .value_kind:     global_buffer
      - .actual_access:  read_only
        .address_space:  global
        .offset:         8
        .size:           8
        .value_kind:     global_buffer
      - .actual_access:  read_only
        .address_space:  global
        .offset:         16
        .size:           8
        .value_kind:     global_buffer
      - .actual_access:  read_only
        .address_space:  global
        .offset:         24
        .size:           8
        .value_kind:     global_buffer
      - .offset:         32
        .size:           4
        .value_kind:     by_value
      - .offset:         36
        .size:           4
        .value_kind:     by_value
      - .actual_access:  read_only
        .address_space:  global
        .offset:         40
        .size:           8
        .value_kind:     global_buffer
      - .actual_access:  read_only
        .address_space:  global
        .offset:         48
        .size:           8
        .value_kind:     global_buffer
      - .offset:         56
        .size:           4
        .value_kind:     by_value
      - .actual_access:  read_only
        .address_space:  global
        .offset:         64
        .size:           8
        .value_kind:     global_buffer
      - .offset:         72
        .size:           4
        .value_kind:     by_value
      - .offset:         76
        .size:           4
        .value_kind:     by_value
      - .offset:         80
        .size:           4
        .value_kind:     by_value
      - .address_space:  global
        .offset:         88
        .size:           8
        .value_kind:     global_buffer
      - .address_space:  global
        .offset:         96
        .size:           8
        .value_kind:     global_buffer
      - .offset:         104
        .size:           4
        .value_kind:     by_value
      - .offset:         108
        .size:           4
        .value_kind:     by_value
      - .offset:         112
        .size:           4
        .value_kind:     by_value
      - .offset:         116
        .size:           4
        .value_kind:     by_value
      - .offset:         120
        .size:           4
        .value_kind:     by_value
      - .offset:         128
        .size:           4
        .value_kind:     hidden_block_count_x
      - .offset:         132
        .size:           4
        .value_kind:     hidden_block_count_y
      - .offset:         136
        .size:           4
        .value_kind:     hidden_block_count_z
      - .offset:         140
        .size:           2
        .value_kind:     hidden_group_size_x
      - .offset:         142
        .size:           2
        .value_kind:     hidden_group_size_y
      - .offset:         144
        .size:           2
        .value_kind:     hidden_group_size_z
      - .offset:         146
        .size:           2
        .value_kind:     hidden_remainder_x
      - .offset:         148
        .size:           2
        .value_kind:     hidden_remainder_y
      - .offset:         150
        .size:           2
        .value_kind:     hidden_remainder_z
      - .offset:         168
        .size:           8
        .value_kind:     hidden_global_offset_x
      - .offset:         176
        .size:           8
        .value_kind:     hidden_global_offset_y
      - .offset:         184
        .size:           8
        .value_kind:     hidden_global_offset_z
      - .offset:         192
        .size:           2
        .value_kind:     hidden_grid_dims
      - .offset:         248
        .size:           4
        .value_kind:     hidden_dynamic_lds_size
    .group_segment_fixed_size: 400
    .kernarg_segment_align: 8
    .kernarg_segment_size: 384
    .language:       OpenCL C
    .language_version:
      - 2
      - 0
    .max_flat_workgroup_size: 1024
    .name:           _ZN4vllm25paged_attention_v1_kernelIffLi96ELi32ELi128ELNS_18Fp8KVCacheDataTypeE0ELb0EEEvPT_PKS2_PKT0_S8_ifPKiSA_iPKfiiiSC_SC_iiiii
    .private_segment_fixed_size: 0
    .sgpr_count:     42
    .sgpr_spill_count: 0
    .symbol:         _ZN4vllm25paged_attention_v1_kernelIffLi96ELi32ELi128ELNS_18Fp8KVCacheDataTypeE0ELb0EEEvPT_PKS2_PKT0_S8_ifPKiSA_iPKfiiiSC_SC_iiiii.kd
    .uniform_work_group_size: 1
    .uses_dynamic_stack: false
    .vgpr_count:     102
    .vgpr_spill_count: 0
    .wavefront_size: 64
  - .agpr_count:     0
    .args:
      - .actual_access:  write_only
        .address_space:  global
        .offset:         0
        .size:           8
        .value_kind:     global_buffer
      - .actual_access:  read_only
        .address_space:  global
        .offset:         8
        .size:           8
        .value_kind:     global_buffer
      - .actual_access:  read_only
        .address_space:  global
        .offset:         16
        .size:           8
        .value_kind:     global_buffer
      - .actual_access:  read_only
        .address_space:  global
        .offset:         24
        .size:           8
        .value_kind:     global_buffer
      - .offset:         32
        .size:           4
        .value_kind:     by_value
      - .offset:         36
        .size:           4
        .value_kind:     by_value
      - .actual_access:  read_only
        .address_space:  global
        .offset:         40
        .size:           8
        .value_kind:     global_buffer
      - .actual_access:  read_only
        .address_space:  global
        .offset:         48
        .size:           8
        .value_kind:     global_buffer
      - .offset:         56
        .size:           4
        .value_kind:     by_value
      - .actual_access:  read_only
        .address_space:  global
        .offset:         64
        .size:           8
        .value_kind:     global_buffer
      - .offset:         72
        .size:           4
        .value_kind:     by_value
      - .offset:         76
        .size:           4
        .value_kind:     by_value
      - .offset:         80
        .size:           4
        .value_kind:     by_value
      - .address_space:  global
        .offset:         88
        .size:           8
        .value_kind:     global_buffer
      - .address_space:  global
        .offset:         96
        .size:           8
        .value_kind:     global_buffer
      - .offset:         104
        .size:           4
        .value_kind:     by_value
      - .offset:         108
        .size:           4
        .value_kind:     by_value
      - .offset:         112
        .size:           4
        .value_kind:     by_value
      - .offset:         116
        .size:           4
        .value_kind:     by_value
      - .offset:         120
        .size:           4
        .value_kind:     by_value
      - .offset:         128
        .size:           4
        .value_kind:     hidden_block_count_x
      - .offset:         132
        .size:           4
        .value_kind:     hidden_block_count_y
      - .offset:         136
        .size:           4
        .value_kind:     hidden_block_count_z
      - .offset:         140
        .size:           2
        .value_kind:     hidden_group_size_x
      - .offset:         142
        .size:           2
        .value_kind:     hidden_group_size_y
      - .offset:         144
        .size:           2
        .value_kind:     hidden_group_size_z
      - .offset:         146
        .size:           2
        .value_kind:     hidden_remainder_x
      - .offset:         148
        .size:           2
        .value_kind:     hidden_remainder_y
      - .offset:         150
        .size:           2
        .value_kind:     hidden_remainder_z
      - .offset:         168
        .size:           8
        .value_kind:     hidden_global_offset_x
      - .offset:         176
        .size:           8
        .value_kind:     hidden_global_offset_y
      - .offset:         184
        .size:           8
        .value_kind:     hidden_global_offset_z
      - .offset:         192
        .size:           2
        .value_kind:     hidden_grid_dims
      - .offset:         248
        .size:           4
        .value_kind:     hidden_dynamic_lds_size
    .group_segment_fixed_size: 464
    .kernarg_segment_align: 8
    .kernarg_segment_size: 384
    .language:       OpenCL C
    .language_version:
      - 2
      - 0
    .max_flat_workgroup_size: 1024
    .name:           _ZN4vllm25paged_attention_v1_kernelIffLi112ELi32ELi128ELNS_18Fp8KVCacheDataTypeE0ELb0EEEvPT_PKS2_PKT0_S8_ifPKiSA_iPKfiiiSC_SC_iiiii
    .private_segment_fixed_size: 0
    .sgpr_count:     43
    .sgpr_spill_count: 0
    .symbol:         _ZN4vllm25paged_attention_v1_kernelIffLi112ELi32ELi128ELNS_18Fp8KVCacheDataTypeE0ELb0EEEvPT_PKS2_PKT0_S8_ifPKiSA_iPKfiiiSC_SC_iiiii.kd
    .uniform_work_group_size: 1
    .uses_dynamic_stack: false
    .vgpr_count:     110
    .vgpr_spill_count: 0
    .wavefront_size: 64
  - .agpr_count:     0
    .args:
      - .actual_access:  write_only
        .address_space:  global
        .offset:         0
        .size:           8
        .value_kind:     global_buffer
      - .actual_access:  read_only
        .address_space:  global
        .offset:         8
        .size:           8
        .value_kind:     global_buffer
      - .actual_access:  read_only
        .address_space:  global
        .offset:         16
        .size:           8
        .value_kind:     global_buffer
      - .actual_access:  read_only
        .address_space:  global
        .offset:         24
        .size:           8
        .value_kind:     global_buffer
      - .offset:         32
        .size:           4
        .value_kind:     by_value
      - .offset:         36
        .size:           4
        .value_kind:     by_value
      - .actual_access:  read_only
        .address_space:  global
        .offset:         40
        .size:           8
        .value_kind:     global_buffer
      - .actual_access:  read_only
        .address_space:  global
        .offset:         48
        .size:           8
        .value_kind:     global_buffer
      - .offset:         56
        .size:           4
        .value_kind:     by_value
      - .actual_access:  read_only
        .address_space:  global
        .offset:         64
        .size:           8
        .value_kind:     global_buffer
      - .offset:         72
        .size:           4
        .value_kind:     by_value
      - .offset:         76
        .size:           4
        .value_kind:     by_value
      - .offset:         80
        .size:           4
        .value_kind:     by_value
      - .address_space:  global
        .offset:         88
        .size:           8
        .value_kind:     global_buffer
      - .address_space:  global
        .offset:         96
        .size:           8
        .value_kind:     global_buffer
      - .offset:         104
        .size:           4
        .value_kind:     by_value
      - .offset:         108
        .size:           4
        .value_kind:     by_value
      - .offset:         112
        .size:           4
        .value_kind:     by_value
      - .offset:         116
        .size:           4
        .value_kind:     by_value
      - .offset:         120
        .size:           4
        .value_kind:     by_value
      - .offset:         128
        .size:           4
        .value_kind:     hidden_block_count_x
      - .offset:         132
        .size:           4
        .value_kind:     hidden_block_count_y
      - .offset:         136
        .size:           4
        .value_kind:     hidden_block_count_z
      - .offset:         140
        .size:           2
        .value_kind:     hidden_group_size_x
      - .offset:         142
        .size:           2
        .value_kind:     hidden_group_size_y
      - .offset:         144
        .size:           2
        .value_kind:     hidden_group_size_z
      - .offset:         146
        .size:           2
        .value_kind:     hidden_remainder_x
      - .offset:         148
        .size:           2
        .value_kind:     hidden_remainder_y
      - .offset:         150
        .size:           2
        .value_kind:     hidden_remainder_z
      - .offset:         168
        .size:           8
        .value_kind:     hidden_global_offset_x
      - .offset:         176
        .size:           8
        .value_kind:     hidden_global_offset_y
      - .offset:         184
        .size:           8
        .value_kind:     hidden_global_offset_z
      - .offset:         192
        .size:           2
        .value_kind:     hidden_grid_dims
      - .offset:         248
        .size:           4
        .value_kind:     hidden_dynamic_lds_size
    .group_segment_fixed_size: 496
    .kernarg_segment_align: 8
    .kernarg_segment_size: 384
    .language:       OpenCL C
    .language_version:
      - 2
      - 0
    .max_flat_workgroup_size: 1024
    .name:           _ZN4vllm25paged_attention_v1_kernelIffLi120ELi32ELi128ELNS_18Fp8KVCacheDataTypeE0ELb0EEEvPT_PKS2_PKT0_S8_ifPKiSA_iPKfiiiSC_SC_iiiii
    .private_segment_fixed_size: 0
    .sgpr_count:     45
    .sgpr_spill_count: 0
    .symbol:         _ZN4vllm25paged_attention_v1_kernelIffLi120ELi32ELi128ELNS_18Fp8KVCacheDataTypeE0ELb0EEEvPT_PKS2_PKT0_S8_ifPKiSA_iPKfiiiSC_SC_iiiii.kd
    .uniform_work_group_size: 1
    .uses_dynamic_stack: false
    .vgpr_count:     117
    .vgpr_spill_count: 0
    .wavefront_size: 64
  - .agpr_count:     0
    .args:
      - .actual_access:  write_only
        .address_space:  global
        .offset:         0
        .size:           8
        .value_kind:     global_buffer
      - .actual_access:  read_only
        .address_space:  global
        .offset:         8
        .size:           8
        .value_kind:     global_buffer
      - .actual_access:  read_only
        .address_space:  global
        .offset:         16
        .size:           8
        .value_kind:     global_buffer
      - .actual_access:  read_only
        .address_space:  global
        .offset:         24
        .size:           8
        .value_kind:     global_buffer
      - .offset:         32
        .size:           4
        .value_kind:     by_value
      - .offset:         36
        .size:           4
        .value_kind:     by_value
      - .actual_access:  read_only
        .address_space:  global
        .offset:         40
        .size:           8
        .value_kind:     global_buffer
      - .actual_access:  read_only
        .address_space:  global
        .offset:         48
        .size:           8
        .value_kind:     global_buffer
      - .offset:         56
        .size:           4
        .value_kind:     by_value
      - .actual_access:  read_only
        .address_space:  global
        .offset:         64
        .size:           8
        .value_kind:     global_buffer
      - .offset:         72
        .size:           4
        .value_kind:     by_value
      - .offset:         76
        .size:           4
        .value_kind:     by_value
      - .offset:         80
        .size:           4
        .value_kind:     by_value
      - .address_space:  global
        .offset:         88
        .size:           8
        .value_kind:     global_buffer
      - .address_space:  global
        .offset:         96
        .size:           8
        .value_kind:     global_buffer
      - .offset:         104
        .size:           4
        .value_kind:     by_value
      - .offset:         108
        .size:           4
        .value_kind:     by_value
      - .offset:         112
        .size:           4
        .value_kind:     by_value
      - .offset:         116
        .size:           4
        .value_kind:     by_value
      - .offset:         120
        .size:           4
        .value_kind:     by_value
      - .offset:         128
        .size:           4
        .value_kind:     hidden_block_count_x
      - .offset:         132
        .size:           4
        .value_kind:     hidden_block_count_y
      - .offset:         136
        .size:           4
        .value_kind:     hidden_block_count_z
      - .offset:         140
        .size:           2
        .value_kind:     hidden_group_size_x
      - .offset:         142
        .size:           2
        .value_kind:     hidden_group_size_y
      - .offset:         144
        .size:           2
        .value_kind:     hidden_group_size_z
      - .offset:         146
        .size:           2
        .value_kind:     hidden_remainder_x
      - .offset:         148
        .size:           2
        .value_kind:     hidden_remainder_y
      - .offset:         150
        .size:           2
        .value_kind:     hidden_remainder_z
      - .offset:         168
        .size:           8
        .value_kind:     hidden_global_offset_x
      - .offset:         176
        .size:           8
        .value_kind:     hidden_global_offset_y
      - .offset:         184
        .size:           8
        .value_kind:     hidden_global_offset_z
      - .offset:         192
        .size:           2
        .value_kind:     hidden_grid_dims
      - .offset:         248
        .size:           4
        .value_kind:     hidden_dynamic_lds_size
    .group_segment_fixed_size: 528
    .kernarg_segment_align: 8
    .kernarg_segment_size: 384
    .language:       OpenCL C
    .language_version:
      - 2
      - 0
    .max_flat_workgroup_size: 1024
    .name:           _ZN4vllm25paged_attention_v1_kernelIffLi128ELi32ELi128ELNS_18Fp8KVCacheDataTypeE0ELb0EEEvPT_PKS2_PKT0_S8_ifPKiSA_iPKfiiiSC_SC_iiiii
    .private_segment_fixed_size: 0
    .sgpr_count:     47
    .sgpr_spill_count: 0
    .symbol:         _ZN4vllm25paged_attention_v1_kernelIffLi128ELi32ELi128ELNS_18Fp8KVCacheDataTypeE0ELb0EEEvPT_PKS2_PKT0_S8_ifPKiSA_iPKfiiiSC_SC_iiiii.kd
    .uniform_work_group_size: 1
    .uses_dynamic_stack: false
    .vgpr_count:     124
    .vgpr_spill_count: 0
    .wavefront_size: 64
  - .agpr_count:     0
    .args:
      - .actual_access:  write_only
        .address_space:  global
        .offset:         0
        .size:           8
        .value_kind:     global_buffer
      - .actual_access:  read_only
        .address_space:  global
        .offset:         8
        .size:           8
        .value_kind:     global_buffer
      - .actual_access:  read_only
        .address_space:  global
        .offset:         16
        .size:           8
        .value_kind:     global_buffer
      - .actual_access:  read_only
        .address_space:  global
        .offset:         24
        .size:           8
        .value_kind:     global_buffer
      - .offset:         32
        .size:           4
        .value_kind:     by_value
      - .offset:         36
        .size:           4
        .value_kind:     by_value
      - .actual_access:  read_only
        .address_space:  global
        .offset:         40
        .size:           8
        .value_kind:     global_buffer
      - .actual_access:  read_only
        .address_space:  global
        .offset:         48
        .size:           8
        .value_kind:     global_buffer
      - .offset:         56
        .size:           4
        .value_kind:     by_value
      - .actual_access:  read_only
        .address_space:  global
        .offset:         64
        .size:           8
        .value_kind:     global_buffer
      - .offset:         72
        .size:           4
        .value_kind:     by_value
      - .offset:         76
        .size:           4
        .value_kind:     by_value
      - .offset:         80
        .size:           4
        .value_kind:     by_value
      - .address_space:  global
        .offset:         88
        .size:           8
        .value_kind:     global_buffer
      - .address_space:  global
        .offset:         96
        .size:           8
        .value_kind:     global_buffer
      - .offset:         104
        .size:           4
        .value_kind:     by_value
      - .offset:         108
        .size:           4
        .value_kind:     by_value
      - .offset:         112
        .size:           4
        .value_kind:     by_value
      - .offset:         116
        .size:           4
        .value_kind:     by_value
      - .offset:         120
        .size:           4
        .value_kind:     by_value
      - .offset:         128
        .size:           4
        .value_kind:     hidden_block_count_x
      - .offset:         132
        .size:           4
        .value_kind:     hidden_block_count_y
      - .offset:         136
        .size:           4
        .value_kind:     hidden_block_count_z
      - .offset:         140
        .size:           2
        .value_kind:     hidden_group_size_x
      - .offset:         142
        .size:           2
        .value_kind:     hidden_group_size_y
      - .offset:         144
        .size:           2
        .value_kind:     hidden_group_size_z
      - .offset:         146
        .size:           2
        .value_kind:     hidden_remainder_x
      - .offset:         148
        .size:           2
        .value_kind:     hidden_remainder_y
      - .offset:         150
        .size:           2
        .value_kind:     hidden_remainder_z
      - .offset:         168
        .size:           8
        .value_kind:     hidden_global_offset_x
      - .offset:         176
        .size:           8
        .value_kind:     hidden_global_offset_y
      - .offset:         184
        .size:           8
        .value_kind:     hidden_global_offset_z
      - .offset:         192
        .size:           2
        .value_kind:     hidden_grid_dims
      - .offset:         248
        .size:           4
        .value_kind:     hidden_dynamic_lds_size
    .group_segment_fixed_size: 784
    .kernarg_segment_align: 8
    .kernarg_segment_size: 384
    .language:       OpenCL C
    .language_version:
      - 2
      - 0
    .max_flat_workgroup_size: 1024
    .name:           _ZN4vllm25paged_attention_v1_kernelIffLi192ELi32ELi128ELNS_18Fp8KVCacheDataTypeE0ELb0EEEvPT_PKS2_PKT0_S8_ifPKiSA_iPKfiiiSC_SC_iiiii
    .private_segment_fixed_size: 220
    .sgpr_count:     51
    .sgpr_spill_count: 0
    .symbol:         _ZN4vllm25paged_attention_v1_kernelIffLi192ELi32ELi128ELNS_18Fp8KVCacheDataTypeE0ELb0EEEvPT_PKS2_PKT0_S8_ifPKiSA_iPKfiiiSC_SC_iiiii.kd
    .uniform_work_group_size: 1
    .uses_dynamic_stack: false
    .vgpr_count:     128
    .vgpr_spill_count: 100
    .wavefront_size: 64
  - .agpr_count:     0
    .args:
      - .actual_access:  write_only
        .address_space:  global
        .offset:         0
        .size:           8
        .value_kind:     global_buffer
      - .actual_access:  read_only
        .address_space:  global
        .offset:         8
        .size:           8
        .value_kind:     global_buffer
      - .actual_access:  read_only
        .address_space:  global
        .offset:         16
        .size:           8
        .value_kind:     global_buffer
      - .actual_access:  read_only
        .address_space:  global
        .offset:         24
        .size:           8
        .value_kind:     global_buffer
      - .offset:         32
        .size:           4
        .value_kind:     by_value
      - .offset:         36
        .size:           4
        .value_kind:     by_value
      - .actual_access:  read_only
        .address_space:  global
        .offset:         40
        .size:           8
        .value_kind:     global_buffer
      - .actual_access:  read_only
        .address_space:  global
        .offset:         48
        .size:           8
        .value_kind:     global_buffer
      - .offset:         56
        .size:           4
        .value_kind:     by_value
      - .actual_access:  read_only
        .address_space:  global
        .offset:         64
        .size:           8
        .value_kind:     global_buffer
      - .offset:         72
        .size:           4
        .value_kind:     by_value
      - .offset:         76
        .size:           4
        .value_kind:     by_value
      - .offset:         80
        .size:           4
        .value_kind:     by_value
      - .address_space:  global
        .offset:         88
        .size:           8
        .value_kind:     global_buffer
      - .address_space:  global
        .offset:         96
        .size:           8
        .value_kind:     global_buffer
      - .offset:         104
        .size:           4
        .value_kind:     by_value
      - .offset:         108
        .size:           4
        .value_kind:     by_value
      - .offset:         112
        .size:           4
        .value_kind:     by_value
      - .offset:         116
        .size:           4
        .value_kind:     by_value
      - .offset:         120
        .size:           4
        .value_kind:     by_value
      - .offset:         128
        .size:           4
        .value_kind:     hidden_block_count_x
      - .offset:         132
        .size:           4
        .value_kind:     hidden_block_count_y
      - .offset:         136
        .size:           4
        .value_kind:     hidden_block_count_z
      - .offset:         140
        .size:           2
        .value_kind:     hidden_group_size_x
      - .offset:         142
        .size:           2
        .value_kind:     hidden_group_size_y
      - .offset:         144
        .size:           2
        .value_kind:     hidden_group_size_z
      - .offset:         146
        .size:           2
        .value_kind:     hidden_remainder_x
      - .offset:         148
        .size:           2
        .value_kind:     hidden_remainder_y
      - .offset:         150
        .size:           2
        .value_kind:     hidden_remainder_z
      - .offset:         168
        .size:           8
        .value_kind:     hidden_global_offset_x
      - .offset:         176
        .size:           8
        .value_kind:     hidden_global_offset_y
      - .offset:         184
        .size:           8
        .value_kind:     hidden_global_offset_z
      - .offset:         192
        .size:           2
        .value_kind:     hidden_grid_dims
      - .offset:         248
        .size:           4
        .value_kind:     hidden_dynamic_lds_size
    .group_segment_fixed_size: 1040
    .kernarg_segment_align: 8
    .kernarg_segment_size: 384
    .language:       OpenCL C
    .language_version:
      - 2
      - 0
    .max_flat_workgroup_size: 1024
    .name:           _ZN4vllm25paged_attention_v1_kernelIffLi256ELi32ELi128ELNS_18Fp8KVCacheDataTypeE0ELb0EEEvPT_PKS2_PKT0_S8_ifPKiSA_iPKfiiiSC_SC_iiiii
    .private_segment_fixed_size: 468
    .sgpr_count:     47
    .sgpr_spill_count: 0
    .symbol:         _ZN4vllm25paged_attention_v1_kernelIffLi256ELi32ELi128ELNS_18Fp8KVCacheDataTypeE0ELb0EEEvPT_PKS2_PKT0_S8_ifPKiSA_iPKfiiiSC_SC_iiiii.kd
    .uniform_work_group_size: 1
    .uses_dynamic_stack: false
    .vgpr_count:     128
    .vgpr_spill_count: 246
    .wavefront_size: 64
  - .agpr_count:     0
    .args:
      - .actual_access:  write_only
        .address_space:  global
        .offset:         0
        .size:           8
        .value_kind:     global_buffer
      - .actual_access:  read_only
        .address_space:  global
        .offset:         8
        .size:           8
        .value_kind:     global_buffer
      - .actual_access:  read_only
        .address_space:  global
        .offset:         16
        .size:           8
        .value_kind:     global_buffer
      - .actual_access:  read_only
        .address_space:  global
        .offset:         24
        .size:           8
        .value_kind:     global_buffer
      - .offset:         32
        .size:           4
        .value_kind:     by_value
      - .offset:         36
        .size:           4
        .value_kind:     by_value
      - .actual_access:  read_only
        .address_space:  global
        .offset:         40
        .size:           8
        .value_kind:     global_buffer
      - .actual_access:  read_only
        .address_space:  global
        .offset:         48
        .size:           8
        .value_kind:     global_buffer
      - .offset:         56
        .size:           4
        .value_kind:     by_value
      - .actual_access:  read_only
        .address_space:  global
        .offset:         64
        .size:           8
        .value_kind:     global_buffer
      - .offset:         72
        .size:           4
        .value_kind:     by_value
      - .offset:         76
        .size:           4
        .value_kind:     by_value
      - .offset:         80
        .size:           4
        .value_kind:     by_value
      - .address_space:  global
        .offset:         88
        .size:           8
        .value_kind:     global_buffer
      - .address_space:  global
        .offset:         96
        .size:           8
        .value_kind:     global_buffer
      - .offset:         104
        .size:           4
        .value_kind:     by_value
      - .offset:         108
        .size:           4
        .value_kind:     by_value
      - .offset:         112
        .size:           4
        .value_kind:     by_value
      - .offset:         116
        .size:           4
        .value_kind:     by_value
      - .offset:         120
        .size:           4
        .value_kind:     by_value
      - .offset:         128
        .size:           4
        .value_kind:     hidden_block_count_x
      - .offset:         132
        .size:           4
        .value_kind:     hidden_block_count_y
      - .offset:         136
        .size:           4
        .value_kind:     hidden_block_count_z
      - .offset:         140
        .size:           2
        .value_kind:     hidden_group_size_x
      - .offset:         142
        .size:           2
        .value_kind:     hidden_group_size_y
      - .offset:         144
        .size:           2
        .value_kind:     hidden_group_size_z
      - .offset:         146
        .size:           2
        .value_kind:     hidden_remainder_x
      - .offset:         148
        .size:           2
        .value_kind:     hidden_remainder_y
      - .offset:         150
        .size:           2
        .value_kind:     hidden_remainder_z
      - .offset:         168
        .size:           8
        .value_kind:     hidden_global_offset_x
      - .offset:         176
        .size:           8
        .value_kind:     hidden_global_offset_y
      - .offset:         184
        .size:           8
        .value_kind:     hidden_global_offset_z
      - .offset:         192
        .size:           2
        .value_kind:     hidden_grid_dims
      - .offset:         248
        .size:           4
        .value_kind:     hidden_dynamic_lds_size
    .group_segment_fixed_size: 80
    .kernarg_segment_align: 8
    .kernarg_segment_size: 384
    .language:       OpenCL C
    .language_version:
      - 2
      - 0
    .max_flat_workgroup_size: 1024
    .name:           _ZN4vllm25paged_attention_v1_kernelIttLi32ELi8ELi128ELNS_18Fp8KVCacheDataTypeE0ELb1EEEvPT_PKS2_PKT0_S8_ifPKiSA_iPKfiiiSC_SC_iiiii
    .private_segment_fixed_size: 0
    .sgpr_count:     50
    .sgpr_spill_count: 0
    .symbol:         _ZN4vllm25paged_attention_v1_kernelIttLi32ELi8ELi128ELNS_18Fp8KVCacheDataTypeE0ELb1EEEvPT_PKS2_PKT0_S8_ifPKiSA_iPKfiiiSC_SC_iiiii.kd
    .uniform_work_group_size: 1
    .uses_dynamic_stack: false
    .vgpr_count:     32
    .vgpr_spill_count: 0
    .wavefront_size: 64
  - .agpr_count:     0
    .args:
      - .actual_access:  write_only
        .address_space:  global
        .offset:         0
        .size:           8
        .value_kind:     global_buffer
      - .actual_access:  read_only
        .address_space:  global
        .offset:         8
        .size:           8
        .value_kind:     global_buffer
      - .actual_access:  read_only
        .address_space:  global
        .offset:         16
        .size:           8
        .value_kind:     global_buffer
      - .actual_access:  read_only
        .address_space:  global
        .offset:         24
        .size:           8
        .value_kind:     global_buffer
      - .offset:         32
        .size:           4
        .value_kind:     by_value
      - .offset:         36
        .size:           4
        .value_kind:     by_value
      - .actual_access:  read_only
        .address_space:  global
        .offset:         40
        .size:           8
        .value_kind:     global_buffer
      - .actual_access:  read_only
        .address_space:  global
        .offset:         48
        .size:           8
        .value_kind:     global_buffer
      - .offset:         56
        .size:           4
        .value_kind:     by_value
      - .actual_access:  read_only
        .address_space:  global
        .offset:         64
        .size:           8
        .value_kind:     global_buffer
      - .offset:         72
        .size:           4
        .value_kind:     by_value
      - .offset:         76
        .size:           4
        .value_kind:     by_value
      - .offset:         80
        .size:           4
        .value_kind:     by_value
      - .address_space:  global
        .offset:         88
        .size:           8
        .value_kind:     global_buffer
      - .address_space:  global
        .offset:         96
        .size:           8
        .value_kind:     global_buffer
      - .offset:         104
        .size:           4
        .value_kind:     by_value
      - .offset:         108
        .size:           4
        .value_kind:     by_value
      - .offset:         112
        .size:           4
        .value_kind:     by_value
      - .offset:         116
        .size:           4
        .value_kind:     by_value
      - .offset:         120
        .size:           4
        .value_kind:     by_value
      - .offset:         128
        .size:           4
        .value_kind:     hidden_block_count_x
      - .offset:         132
        .size:           4
        .value_kind:     hidden_block_count_y
      - .offset:         136
        .size:           4
        .value_kind:     hidden_block_count_z
      - .offset:         140
        .size:           2
        .value_kind:     hidden_group_size_x
      - .offset:         142
        .size:           2
        .value_kind:     hidden_group_size_y
      - .offset:         144
        .size:           2
        .value_kind:     hidden_group_size_z
      - .offset:         146
        .size:           2
        .value_kind:     hidden_remainder_x
      - .offset:         148
        .size:           2
        .value_kind:     hidden_remainder_y
      - .offset:         150
        .size:           2
        .value_kind:     hidden_remainder_z
      - .offset:         168
        .size:           8
        .value_kind:     hidden_global_offset_x
      - .offset:         176
        .size:           8
        .value_kind:     hidden_global_offset_y
      - .offset:         184
        .size:           8
        .value_kind:     hidden_global_offset_z
      - .offset:         192
        .size:           2
        .value_kind:     hidden_grid_dims
      - .offset:         248
        .size:           4
        .value_kind:     hidden_dynamic_lds_size
    .group_segment_fixed_size: 144
    .kernarg_segment_align: 8
    .kernarg_segment_size: 384
    .language:       OpenCL C
    .language_version:
      - 2
      - 0
    .max_flat_workgroup_size: 1024
    .name:           _ZN4vllm25paged_attention_v1_kernelIttLi64ELi8ELi128ELNS_18Fp8KVCacheDataTypeE0ELb1EEEvPT_PKS2_PKT0_S8_ifPKiSA_iPKfiiiSC_SC_iiiii
    .private_segment_fixed_size: 0
    .sgpr_count:     52
    .sgpr_spill_count: 0
    .symbol:         _ZN4vllm25paged_attention_v1_kernelIttLi64ELi8ELi128ELNS_18Fp8KVCacheDataTypeE0ELb1EEEvPT_PKS2_PKT0_S8_ifPKiSA_iPKfiiiSC_SC_iiiii.kd
    .uniform_work_group_size: 1
    .uses_dynamic_stack: false
    .vgpr_count:     39
    .vgpr_spill_count: 0
    .wavefront_size: 64
  - .agpr_count:     0
    .args:
      - .actual_access:  write_only
        .address_space:  global
        .offset:         0
        .size:           8
        .value_kind:     global_buffer
      - .actual_access:  read_only
        .address_space:  global
        .offset:         8
        .size:           8
        .value_kind:     global_buffer
      - .actual_access:  read_only
        .address_space:  global
        .offset:         16
        .size:           8
        .value_kind:     global_buffer
      - .actual_access:  read_only
        .address_space:  global
        .offset:         24
        .size:           8
        .value_kind:     global_buffer
      - .offset:         32
        .size:           4
        .value_kind:     by_value
      - .offset:         36
        .size:           4
        .value_kind:     by_value
      - .actual_access:  read_only
        .address_space:  global
        .offset:         40
        .size:           8
        .value_kind:     global_buffer
      - .actual_access:  read_only
        .address_space:  global
        .offset:         48
        .size:           8
        .value_kind:     global_buffer
      - .offset:         56
        .size:           4
        .value_kind:     by_value
      - .actual_access:  read_only
        .address_space:  global
        .offset:         64
        .size:           8
        .value_kind:     global_buffer
      - .offset:         72
        .size:           4
        .value_kind:     by_value
      - .offset:         76
        .size:           4
        .value_kind:     by_value
      - .offset:         80
        .size:           4
        .value_kind:     by_value
      - .address_space:  global
        .offset:         88
        .size:           8
        .value_kind:     global_buffer
      - .address_space:  global
        .offset:         96
        .size:           8
        .value_kind:     global_buffer
      - .offset:         104
        .size:           4
        .value_kind:     by_value
      - .offset:         108
        .size:           4
        .value_kind:     by_value
      - .offset:         112
        .size:           4
        .value_kind:     by_value
      - .offset:         116
        .size:           4
        .value_kind:     by_value
      - .offset:         120
        .size:           4
        .value_kind:     by_value
      - .offset:         128
        .size:           4
        .value_kind:     hidden_block_count_x
      - .offset:         132
        .size:           4
        .value_kind:     hidden_block_count_y
      - .offset:         136
        .size:           4
        .value_kind:     hidden_block_count_z
      - .offset:         140
        .size:           2
        .value_kind:     hidden_group_size_x
      - .offset:         142
        .size:           2
        .value_kind:     hidden_group_size_y
      - .offset:         144
        .size:           2
        .value_kind:     hidden_group_size_z
      - .offset:         146
        .size:           2
        .value_kind:     hidden_remainder_x
      - .offset:         148
        .size:           2
        .value_kind:     hidden_remainder_y
      - .offset:         150
        .size:           2
        .value_kind:     hidden_remainder_z
      - .offset:         168
        .size:           8
        .value_kind:     hidden_global_offset_x
      - .offset:         176
        .size:           8
        .value_kind:     hidden_global_offset_y
      - .offset:         184
        .size:           8
        .value_kind:     hidden_global_offset_z
      - .offset:         192
        .size:           2
        .value_kind:     hidden_grid_dims
      - .offset:         248
        .size:           4
        .value_kind:     hidden_dynamic_lds_size
    .group_segment_fixed_size: 176
    .kernarg_segment_align: 8
    .kernarg_segment_size: 384
    .language:       OpenCL C
    .language_version:
      - 2
      - 0
    .max_flat_workgroup_size: 1024
    .name:           _ZN4vllm25paged_attention_v1_kernelIttLi80ELi8ELi128ELNS_18Fp8KVCacheDataTypeE0ELb1EEEvPT_PKS2_PKT0_S8_ifPKiSA_iPKfiiiSC_SC_iiiii
    .private_segment_fixed_size: 0
    .sgpr_count:     52
    .sgpr_spill_count: 0
    .symbol:         _ZN4vllm25paged_attention_v1_kernelIttLi80ELi8ELi128ELNS_18Fp8KVCacheDataTypeE0ELb1EEEvPT_PKS2_PKT0_S8_ifPKiSA_iPKfiiiSC_SC_iiiii.kd
    .uniform_work_group_size: 1
    .uses_dynamic_stack: false
    .vgpr_count:     43
    .vgpr_spill_count: 0
    .wavefront_size: 64
  - .agpr_count:     0
    .args:
      - .actual_access:  write_only
        .address_space:  global
        .offset:         0
        .size:           8
        .value_kind:     global_buffer
      - .actual_access:  read_only
        .address_space:  global
        .offset:         8
        .size:           8
        .value_kind:     global_buffer
      - .actual_access:  read_only
        .address_space:  global
        .offset:         16
        .size:           8
        .value_kind:     global_buffer
      - .actual_access:  read_only
        .address_space:  global
        .offset:         24
        .size:           8
        .value_kind:     global_buffer
      - .offset:         32
        .size:           4
        .value_kind:     by_value
      - .offset:         36
        .size:           4
        .value_kind:     by_value
      - .actual_access:  read_only
        .address_space:  global
        .offset:         40
        .size:           8
        .value_kind:     global_buffer
      - .actual_access:  read_only
        .address_space:  global
        .offset:         48
        .size:           8
        .value_kind:     global_buffer
      - .offset:         56
        .size:           4
        .value_kind:     by_value
      - .actual_access:  read_only
        .address_space:  global
        .offset:         64
        .size:           8
        .value_kind:     global_buffer
      - .offset:         72
        .size:           4
        .value_kind:     by_value
      - .offset:         76
        .size:           4
        .value_kind:     by_value
      - .offset:         80
        .size:           4
        .value_kind:     by_value
      - .address_space:  global
        .offset:         88
        .size:           8
        .value_kind:     global_buffer
      - .address_space:  global
        .offset:         96
        .size:           8
        .value_kind:     global_buffer
      - .offset:         104
        .size:           4
        .value_kind:     by_value
      - .offset:         108
        .size:           4
        .value_kind:     by_value
      - .offset:         112
        .size:           4
        .value_kind:     by_value
      - .offset:         116
        .size:           4
        .value_kind:     by_value
      - .offset:         120
        .size:           4
        .value_kind:     by_value
      - .offset:         128
        .size:           4
        .value_kind:     hidden_block_count_x
      - .offset:         132
        .size:           4
        .value_kind:     hidden_block_count_y
      - .offset:         136
        .size:           4
        .value_kind:     hidden_block_count_z
      - .offset:         140
        .size:           2
        .value_kind:     hidden_group_size_x
      - .offset:         142
        .size:           2
        .value_kind:     hidden_group_size_y
      - .offset:         144
        .size:           2
        .value_kind:     hidden_group_size_z
      - .offset:         146
        .size:           2
        .value_kind:     hidden_remainder_x
      - .offset:         148
        .size:           2
        .value_kind:     hidden_remainder_y
      - .offset:         150
        .size:           2
        .value_kind:     hidden_remainder_z
      - .offset:         168
        .size:           8
        .value_kind:     hidden_global_offset_x
      - .offset:         176
        .size:           8
        .value_kind:     hidden_global_offset_y
      - .offset:         184
        .size:           8
        .value_kind:     hidden_global_offset_z
      - .offset:         192
        .size:           2
        .value_kind:     hidden_grid_dims
      - .offset:         248
        .size:           4
        .value_kind:     hidden_dynamic_lds_size
    .group_segment_fixed_size: 208
    .kernarg_segment_align: 8
    .kernarg_segment_size: 384
    .language:       OpenCL C
    .language_version:
      - 2
      - 0
    .max_flat_workgroup_size: 1024
    .name:           _ZN4vllm25paged_attention_v1_kernelIttLi96ELi8ELi128ELNS_18Fp8KVCacheDataTypeE0ELb1EEEvPT_PKS2_PKT0_S8_ifPKiSA_iPKfiiiSC_SC_iiiii
    .private_segment_fixed_size: 0
    .sgpr_count:     52
    .sgpr_spill_count: 0
    .symbol:         _ZN4vllm25paged_attention_v1_kernelIttLi96ELi8ELi128ELNS_18Fp8KVCacheDataTypeE0ELb1EEEvPT_PKS2_PKT0_S8_ifPKiSA_iPKfiiiSC_SC_iiiii.kd
    .uniform_work_group_size: 1
    .uses_dynamic_stack: false
    .vgpr_count:     47
    .vgpr_spill_count: 0
    .wavefront_size: 64
  - .agpr_count:     0
    .args:
      - .actual_access:  write_only
        .address_space:  global
        .offset:         0
        .size:           8
        .value_kind:     global_buffer
      - .actual_access:  read_only
        .address_space:  global
        .offset:         8
        .size:           8
        .value_kind:     global_buffer
      - .actual_access:  read_only
        .address_space:  global
        .offset:         16
        .size:           8
        .value_kind:     global_buffer
      - .actual_access:  read_only
        .address_space:  global
        .offset:         24
        .size:           8
        .value_kind:     global_buffer
      - .offset:         32
        .size:           4
        .value_kind:     by_value
      - .offset:         36
        .size:           4
        .value_kind:     by_value
      - .actual_access:  read_only
        .address_space:  global
        .offset:         40
        .size:           8
        .value_kind:     global_buffer
      - .actual_access:  read_only
        .address_space:  global
        .offset:         48
        .size:           8
        .value_kind:     global_buffer
      - .offset:         56
        .size:           4
        .value_kind:     by_value
      - .actual_access:  read_only
        .address_space:  global
        .offset:         64
        .size:           8
        .value_kind:     global_buffer
      - .offset:         72
        .size:           4
        .value_kind:     by_value
      - .offset:         76
        .size:           4
        .value_kind:     by_value
      - .offset:         80
        .size:           4
        .value_kind:     by_value
      - .address_space:  global
        .offset:         88
        .size:           8
        .value_kind:     global_buffer
      - .address_space:  global
        .offset:         96
        .size:           8
        .value_kind:     global_buffer
      - .offset:         104
        .size:           4
        .value_kind:     by_value
      - .offset:         108
        .size:           4
        .value_kind:     by_value
      - .offset:         112
        .size:           4
        .value_kind:     by_value
      - .offset:         116
        .size:           4
        .value_kind:     by_value
      - .offset:         120
        .size:           4
        .value_kind:     by_value
      - .offset:         128
        .size:           4
        .value_kind:     hidden_block_count_x
      - .offset:         132
        .size:           4
        .value_kind:     hidden_block_count_y
      - .offset:         136
        .size:           4
        .value_kind:     hidden_block_count_z
      - .offset:         140
        .size:           2
        .value_kind:     hidden_group_size_x
      - .offset:         142
        .size:           2
        .value_kind:     hidden_group_size_y
      - .offset:         144
        .size:           2
        .value_kind:     hidden_group_size_z
      - .offset:         146
        .size:           2
        .value_kind:     hidden_remainder_x
      - .offset:         148
        .size:           2
        .value_kind:     hidden_remainder_y
      - .offset:         150
        .size:           2
        .value_kind:     hidden_remainder_z
      - .offset:         168
        .size:           8
        .value_kind:     hidden_global_offset_x
      - .offset:         176
        .size:           8
        .value_kind:     hidden_global_offset_y
      - .offset:         184
        .size:           8
        .value_kind:     hidden_global_offset_z
      - .offset:         192
        .size:           2
        .value_kind:     hidden_grid_dims
      - .offset:         248
        .size:           4
        .value_kind:     hidden_dynamic_lds_size
    .group_segment_fixed_size: 240
    .kernarg_segment_align: 8
    .kernarg_segment_size: 384
    .language:       OpenCL C
    .language_version:
      - 2
      - 0
    .max_flat_workgroup_size: 1024
    .name:           _ZN4vllm25paged_attention_v1_kernelIttLi112ELi8ELi128ELNS_18Fp8KVCacheDataTypeE0ELb1EEEvPT_PKS2_PKT0_S8_ifPKiSA_iPKfiiiSC_SC_iiiii
    .private_segment_fixed_size: 0
    .sgpr_count:     52
    .sgpr_spill_count: 0
    .symbol:         _ZN4vllm25paged_attention_v1_kernelIttLi112ELi8ELi128ELNS_18Fp8KVCacheDataTypeE0ELb1EEEvPT_PKS2_PKT0_S8_ifPKiSA_iPKfiiiSC_SC_iiiii.kd
    .uniform_work_group_size: 1
    .uses_dynamic_stack: false
    .vgpr_count:     50
    .vgpr_spill_count: 0
    .wavefront_size: 64
  - .agpr_count:     0
    .args:
      - .actual_access:  write_only
        .address_space:  global
        .offset:         0
        .size:           8
        .value_kind:     global_buffer
      - .actual_access:  read_only
        .address_space:  global
        .offset:         8
        .size:           8
        .value_kind:     global_buffer
      - .actual_access:  read_only
        .address_space:  global
        .offset:         16
        .size:           8
        .value_kind:     global_buffer
      - .actual_access:  read_only
        .address_space:  global
        .offset:         24
        .size:           8
        .value_kind:     global_buffer
      - .offset:         32
        .size:           4
        .value_kind:     by_value
      - .offset:         36
        .size:           4
        .value_kind:     by_value
      - .actual_access:  read_only
        .address_space:  global
        .offset:         40
        .size:           8
        .value_kind:     global_buffer
      - .actual_access:  read_only
        .address_space:  global
        .offset:         48
        .size:           8
        .value_kind:     global_buffer
      - .offset:         56
        .size:           4
        .value_kind:     by_value
      - .actual_access:  read_only
        .address_space:  global
        .offset:         64
        .size:           8
        .value_kind:     global_buffer
      - .offset:         72
        .size:           4
        .value_kind:     by_value
      - .offset:         76
        .size:           4
        .value_kind:     by_value
      - .offset:         80
        .size:           4
        .value_kind:     by_value
      - .address_space:  global
        .offset:         88
        .size:           8
        .value_kind:     global_buffer
      - .address_space:  global
        .offset:         96
        .size:           8
        .value_kind:     global_buffer
      - .offset:         104
        .size:           4
        .value_kind:     by_value
      - .offset:         108
        .size:           4
        .value_kind:     by_value
      - .offset:         112
        .size:           4
        .value_kind:     by_value
      - .offset:         116
        .size:           4
        .value_kind:     by_value
      - .offset:         120
        .size:           4
        .value_kind:     by_value
      - .offset:         128
        .size:           4
        .value_kind:     hidden_block_count_x
      - .offset:         132
        .size:           4
        .value_kind:     hidden_block_count_y
      - .offset:         136
        .size:           4
        .value_kind:     hidden_block_count_z
      - .offset:         140
        .size:           2
        .value_kind:     hidden_group_size_x
      - .offset:         142
        .size:           2
        .value_kind:     hidden_group_size_y
      - .offset:         144
        .size:           2
        .value_kind:     hidden_group_size_z
      - .offset:         146
        .size:           2
        .value_kind:     hidden_remainder_x
      - .offset:         148
        .size:           2
        .value_kind:     hidden_remainder_y
      - .offset:         150
        .size:           2
        .value_kind:     hidden_remainder_z
      - .offset:         168
        .size:           8
        .value_kind:     hidden_global_offset_x
      - .offset:         176
        .size:           8
        .value_kind:     hidden_global_offset_y
      - .offset:         184
        .size:           8
        .value_kind:     hidden_global_offset_z
      - .offset:         192
        .size:           2
        .value_kind:     hidden_grid_dims
      - .offset:         248
        .size:           4
        .value_kind:     hidden_dynamic_lds_size
    .group_segment_fixed_size: 256
    .kernarg_segment_align: 8
    .kernarg_segment_size: 384
    .language:       OpenCL C
    .language_version:
      - 2
      - 0
    .max_flat_workgroup_size: 1024
    .name:           _ZN4vllm25paged_attention_v1_kernelIttLi120ELi8ELi128ELNS_18Fp8KVCacheDataTypeE0ELb1EEEvPT_PKS2_PKT0_S8_ifPKiSA_iPKfiiiSC_SC_iiiii
    .private_segment_fixed_size: 0
    .sgpr_count:     52
    .sgpr_spill_count: 0
    .symbol:         _ZN4vllm25paged_attention_v1_kernelIttLi120ELi8ELi128ELNS_18Fp8KVCacheDataTypeE0ELb1EEEvPT_PKS2_PKT0_S8_ifPKiSA_iPKfiiiSC_SC_iiiii.kd
    .uniform_work_group_size: 1
    .uses_dynamic_stack: false
    .vgpr_count:     52
    .vgpr_spill_count: 0
    .wavefront_size: 64
  - .agpr_count:     0
    .args:
      - .actual_access:  write_only
        .address_space:  global
        .offset:         0
        .size:           8
        .value_kind:     global_buffer
      - .actual_access:  read_only
        .address_space:  global
        .offset:         8
        .size:           8
        .value_kind:     global_buffer
      - .actual_access:  read_only
        .address_space:  global
        .offset:         16
        .size:           8
        .value_kind:     global_buffer
      - .actual_access:  read_only
        .address_space:  global
        .offset:         24
        .size:           8
        .value_kind:     global_buffer
      - .offset:         32
        .size:           4
        .value_kind:     by_value
      - .offset:         36
        .size:           4
        .value_kind:     by_value
      - .actual_access:  read_only
        .address_space:  global
        .offset:         40
        .size:           8
        .value_kind:     global_buffer
      - .actual_access:  read_only
        .address_space:  global
        .offset:         48
        .size:           8
        .value_kind:     global_buffer
      - .offset:         56
        .size:           4
        .value_kind:     by_value
      - .actual_access:  read_only
        .address_space:  global
        .offset:         64
        .size:           8
        .value_kind:     global_buffer
      - .offset:         72
        .size:           4
        .value_kind:     by_value
      - .offset:         76
        .size:           4
        .value_kind:     by_value
      - .offset:         80
        .size:           4
        .value_kind:     by_value
      - .address_space:  global
        .offset:         88
        .size:           8
        .value_kind:     global_buffer
      - .address_space:  global
        .offset:         96
        .size:           8
        .value_kind:     global_buffer
      - .offset:         104
        .size:           4
        .value_kind:     by_value
      - .offset:         108
        .size:           4
        .value_kind:     by_value
      - .offset:         112
        .size:           4
        .value_kind:     by_value
      - .offset:         116
        .size:           4
        .value_kind:     by_value
      - .offset:         120
        .size:           4
        .value_kind:     by_value
      - .offset:         128
        .size:           4
        .value_kind:     hidden_block_count_x
      - .offset:         132
        .size:           4
        .value_kind:     hidden_block_count_y
      - .offset:         136
        .size:           4
        .value_kind:     hidden_block_count_z
      - .offset:         140
        .size:           2
        .value_kind:     hidden_group_size_x
      - .offset:         142
        .size:           2
        .value_kind:     hidden_group_size_y
      - .offset:         144
        .size:           2
        .value_kind:     hidden_group_size_z
      - .offset:         146
        .size:           2
        .value_kind:     hidden_remainder_x
      - .offset:         148
        .size:           2
        .value_kind:     hidden_remainder_y
      - .offset:         150
        .size:           2
        .value_kind:     hidden_remainder_z
      - .offset:         168
        .size:           8
        .value_kind:     hidden_global_offset_x
      - .offset:         176
        .size:           8
        .value_kind:     hidden_global_offset_y
      - .offset:         184
        .size:           8
        .value_kind:     hidden_global_offset_z
      - .offset:         192
        .size:           2
        .value_kind:     hidden_grid_dims
      - .offset:         248
        .size:           4
        .value_kind:     hidden_dynamic_lds_size
    .group_segment_fixed_size: 272
    .kernarg_segment_align: 8
    .kernarg_segment_size: 384
    .language:       OpenCL C
    .language_version:
      - 2
      - 0
    .max_flat_workgroup_size: 1024
    .name:           _ZN4vllm25paged_attention_v1_kernelIttLi128ELi8ELi128ELNS_18Fp8KVCacheDataTypeE0ELb1EEEvPT_PKS2_PKT0_S8_ifPKiSA_iPKfiiiSC_SC_iiiii
    .private_segment_fixed_size: 0
    .sgpr_count:     50
    .sgpr_spill_count: 0
    .symbol:         _ZN4vllm25paged_attention_v1_kernelIttLi128ELi8ELi128ELNS_18Fp8KVCacheDataTypeE0ELb1EEEvPT_PKS2_PKT0_S8_ifPKiSA_iPKfiiiSC_SC_iiiii.kd
    .uniform_work_group_size: 1
    .uses_dynamic_stack: false
    .vgpr_count:     54
    .vgpr_spill_count: 0
    .wavefront_size: 64
  - .agpr_count:     0
    .args:
      - .actual_access:  write_only
        .address_space:  global
        .offset:         0
        .size:           8
        .value_kind:     global_buffer
      - .actual_access:  read_only
        .address_space:  global
        .offset:         8
        .size:           8
        .value_kind:     global_buffer
      - .actual_access:  read_only
        .address_space:  global
        .offset:         16
        .size:           8
        .value_kind:     global_buffer
      - .actual_access:  read_only
        .address_space:  global
        .offset:         24
        .size:           8
        .value_kind:     global_buffer
      - .offset:         32
        .size:           4
        .value_kind:     by_value
      - .offset:         36
        .size:           4
        .value_kind:     by_value
      - .actual_access:  read_only
        .address_space:  global
        .offset:         40
        .size:           8
        .value_kind:     global_buffer
      - .actual_access:  read_only
        .address_space:  global
        .offset:         48
        .size:           8
        .value_kind:     global_buffer
      - .offset:         56
        .size:           4
        .value_kind:     by_value
      - .actual_access:  read_only
        .address_space:  global
        .offset:         64
        .size:           8
        .value_kind:     global_buffer
      - .offset:         72
        .size:           4
        .value_kind:     by_value
      - .offset:         76
        .size:           4
        .value_kind:     by_value
      - .offset:         80
        .size:           4
        .value_kind:     by_value
      - .address_space:  global
        .offset:         88
        .size:           8
        .value_kind:     global_buffer
      - .address_space:  global
        .offset:         96
        .size:           8
        .value_kind:     global_buffer
      - .offset:         104
        .size:           4
        .value_kind:     by_value
      - .offset:         108
        .size:           4
        .value_kind:     by_value
      - .offset:         112
        .size:           4
        .value_kind:     by_value
      - .offset:         116
        .size:           4
        .value_kind:     by_value
      - .offset:         120
        .size:           4
        .value_kind:     by_value
      - .offset:         128
        .size:           4
        .value_kind:     hidden_block_count_x
      - .offset:         132
        .size:           4
        .value_kind:     hidden_block_count_y
      - .offset:         136
        .size:           4
        .value_kind:     hidden_block_count_z
      - .offset:         140
        .size:           2
        .value_kind:     hidden_group_size_x
      - .offset:         142
        .size:           2
        .value_kind:     hidden_group_size_y
      - .offset:         144
        .size:           2
        .value_kind:     hidden_group_size_z
      - .offset:         146
        .size:           2
        .value_kind:     hidden_remainder_x
      - .offset:         148
        .size:           2
        .value_kind:     hidden_remainder_y
      - .offset:         150
        .size:           2
        .value_kind:     hidden_remainder_z
      - .offset:         168
        .size:           8
        .value_kind:     hidden_global_offset_x
      - .offset:         176
        .size:           8
        .value_kind:     hidden_global_offset_y
      - .offset:         184
        .size:           8
        .value_kind:     hidden_global_offset_z
      - .offset:         192
        .size:           2
        .value_kind:     hidden_grid_dims
      - .offset:         248
        .size:           4
        .value_kind:     hidden_dynamic_lds_size
    .group_segment_fixed_size: 400
    .kernarg_segment_align: 8
    .kernarg_segment_size: 384
    .language:       OpenCL C
    .language_version:
      - 2
      - 0
    .max_flat_workgroup_size: 1024
    .name:           _ZN4vllm25paged_attention_v1_kernelIttLi192ELi8ELi128ELNS_18Fp8KVCacheDataTypeE0ELb1EEEvPT_PKS2_PKT0_S8_ifPKiSA_iPKfiiiSC_SC_iiiii
    .private_segment_fixed_size: 0
    .sgpr_count:     50
    .sgpr_spill_count: 0
    .symbol:         _ZN4vllm25paged_attention_v1_kernelIttLi192ELi8ELi128ELNS_18Fp8KVCacheDataTypeE0ELb1EEEvPT_PKS2_PKT0_S8_ifPKiSA_iPKfiiiSC_SC_iiiii.kd
    .uniform_work_group_size: 1
    .uses_dynamic_stack: false
    .vgpr_count:     67
    .vgpr_spill_count: 0
    .wavefront_size: 64
  - .agpr_count:     0
    .args:
      - .actual_access:  write_only
        .address_space:  global
        .offset:         0
        .size:           8
        .value_kind:     global_buffer
      - .actual_access:  read_only
        .address_space:  global
        .offset:         8
        .size:           8
        .value_kind:     global_buffer
      - .actual_access:  read_only
        .address_space:  global
        .offset:         16
        .size:           8
        .value_kind:     global_buffer
      - .actual_access:  read_only
        .address_space:  global
        .offset:         24
        .size:           8
        .value_kind:     global_buffer
      - .offset:         32
        .size:           4
        .value_kind:     by_value
      - .offset:         36
        .size:           4
        .value_kind:     by_value
      - .actual_access:  read_only
        .address_space:  global
        .offset:         40
        .size:           8
        .value_kind:     global_buffer
      - .actual_access:  read_only
        .address_space:  global
        .offset:         48
        .size:           8
        .value_kind:     global_buffer
      - .offset:         56
        .size:           4
        .value_kind:     by_value
      - .actual_access:  read_only
        .address_space:  global
        .offset:         64
        .size:           8
        .value_kind:     global_buffer
      - .offset:         72
        .size:           4
        .value_kind:     by_value
      - .offset:         76
        .size:           4
        .value_kind:     by_value
      - .offset:         80
        .size:           4
        .value_kind:     by_value
      - .address_space:  global
        .offset:         88
        .size:           8
        .value_kind:     global_buffer
      - .address_space:  global
        .offset:         96
        .size:           8
        .value_kind:     global_buffer
      - .offset:         104
        .size:           4
        .value_kind:     by_value
      - .offset:         108
        .size:           4
        .value_kind:     by_value
      - .offset:         112
        .size:           4
        .value_kind:     by_value
      - .offset:         116
        .size:           4
        .value_kind:     by_value
      - .offset:         120
        .size:           4
        .value_kind:     by_value
      - .offset:         128
        .size:           4
        .value_kind:     hidden_block_count_x
      - .offset:         132
        .size:           4
        .value_kind:     hidden_block_count_y
      - .offset:         136
        .size:           4
        .value_kind:     hidden_block_count_z
      - .offset:         140
        .size:           2
        .value_kind:     hidden_group_size_x
      - .offset:         142
        .size:           2
        .value_kind:     hidden_group_size_y
      - .offset:         144
        .size:           2
        .value_kind:     hidden_group_size_z
      - .offset:         146
        .size:           2
        .value_kind:     hidden_remainder_x
      - .offset:         148
        .size:           2
        .value_kind:     hidden_remainder_y
      - .offset:         150
        .size:           2
        .value_kind:     hidden_remainder_z
      - .offset:         168
        .size:           8
        .value_kind:     hidden_global_offset_x
      - .offset:         176
        .size:           8
        .value_kind:     hidden_global_offset_y
      - .offset:         184
        .size:           8
        .value_kind:     hidden_global_offset_z
      - .offset:         192
        .size:           2
        .value_kind:     hidden_grid_dims
      - .offset:         248
        .size:           4
        .value_kind:     hidden_dynamic_lds_size
    .group_segment_fixed_size: 528
    .kernarg_segment_align: 8
    .kernarg_segment_size: 384
    .language:       OpenCL C
    .language_version:
      - 2
      - 0
    .max_flat_workgroup_size: 1024
    .name:           _ZN4vllm25paged_attention_v1_kernelIttLi256ELi8ELi128ELNS_18Fp8KVCacheDataTypeE0ELb1EEEvPT_PKS2_PKT0_S8_ifPKiSA_iPKfiiiSC_SC_iiiii
    .private_segment_fixed_size: 0
    .sgpr_count:     50
    .sgpr_spill_count: 0
    .symbol:         _ZN4vllm25paged_attention_v1_kernelIttLi256ELi8ELi128ELNS_18Fp8KVCacheDataTypeE0ELb1EEEvPT_PKS2_PKT0_S8_ifPKiSA_iPKfiiiSC_SC_iiiii.kd
    .uniform_work_group_size: 1
    .uses_dynamic_stack: false
    .vgpr_count:     81
    .vgpr_spill_count: 0
    .wavefront_size: 64
  - .agpr_count:     0
    .args:
      - .actual_access:  write_only
        .address_space:  global
        .offset:         0
        .size:           8
        .value_kind:     global_buffer
      - .actual_access:  read_only
        .address_space:  global
        .offset:         8
        .size:           8
        .value_kind:     global_buffer
      - .actual_access:  read_only
        .address_space:  global
        .offset:         16
        .size:           8
        .value_kind:     global_buffer
      - .actual_access:  read_only
        .address_space:  global
        .offset:         24
        .size:           8
        .value_kind:     global_buffer
      - .offset:         32
        .size:           4
        .value_kind:     by_value
      - .offset:         36
        .size:           4
        .value_kind:     by_value
      - .actual_access:  read_only
        .address_space:  global
        .offset:         40
        .size:           8
        .value_kind:     global_buffer
      - .actual_access:  read_only
        .address_space:  global
        .offset:         48
        .size:           8
        .value_kind:     global_buffer
      - .offset:         56
        .size:           4
        .value_kind:     by_value
      - .actual_access:  read_only
        .address_space:  global
        .offset:         64
        .size:           8
        .value_kind:     global_buffer
      - .offset:         72
        .size:           4
        .value_kind:     by_value
      - .offset:         76
        .size:           4
        .value_kind:     by_value
      - .offset:         80
        .size:           4
        .value_kind:     by_value
      - .address_space:  global
        .offset:         88
        .size:           8
        .value_kind:     global_buffer
      - .address_space:  global
        .offset:         96
        .size:           8
        .value_kind:     global_buffer
      - .offset:         104
        .size:           4
        .value_kind:     by_value
      - .offset:         108
        .size:           4
        .value_kind:     by_value
      - .offset:         112
        .size:           4
        .value_kind:     by_value
      - .offset:         116
        .size:           4
        .value_kind:     by_value
      - .offset:         120
        .size:           4
        .value_kind:     by_value
      - .offset:         128
        .size:           4
        .value_kind:     hidden_block_count_x
      - .offset:         132
        .size:           4
        .value_kind:     hidden_block_count_y
      - .offset:         136
        .size:           4
        .value_kind:     hidden_block_count_z
      - .offset:         140
        .size:           2
        .value_kind:     hidden_group_size_x
      - .offset:         142
        .size:           2
        .value_kind:     hidden_group_size_y
      - .offset:         144
        .size:           2
        .value_kind:     hidden_group_size_z
      - .offset:         146
        .size:           2
        .value_kind:     hidden_remainder_x
      - .offset:         148
        .size:           2
        .value_kind:     hidden_remainder_y
      - .offset:         150
        .size:           2
        .value_kind:     hidden_remainder_z
      - .offset:         168
        .size:           8
        .value_kind:     hidden_global_offset_x
      - .offset:         176
        .size:           8
        .value_kind:     hidden_global_offset_y
      - .offset:         184
        .size:           8
        .value_kind:     hidden_global_offset_z
      - .offset:         192
        .size:           2
        .value_kind:     hidden_grid_dims
      - .offset:         248
        .size:           4
        .value_kind:     hidden_dynamic_lds_size
    .group_segment_fixed_size: 80
    .kernarg_segment_align: 8
    .kernarg_segment_size: 384
    .language:       OpenCL C
    .language_version:
      - 2
      - 0
    .max_flat_workgroup_size: 1024
    .name:           _ZN4vllm25paged_attention_v1_kernelIttLi32ELi8ELi128ELNS_18Fp8KVCacheDataTypeE0ELb0EEEvPT_PKS2_PKT0_S8_ifPKiSA_iPKfiiiSC_SC_iiiii
    .private_segment_fixed_size: 0
    .sgpr_count:     40
    .sgpr_spill_count: 0
    .symbol:         _ZN4vllm25paged_attention_v1_kernelIttLi32ELi8ELi128ELNS_18Fp8KVCacheDataTypeE0ELb0EEEvPT_PKS2_PKT0_S8_ifPKiSA_iPKfiiiSC_SC_iiiii.kd
    .uniform_work_group_size: 1
    .uses_dynamic_stack: false
    .vgpr_count:     30
    .vgpr_spill_count: 0
    .wavefront_size: 64
  - .agpr_count:     0
    .args:
      - .actual_access:  write_only
        .address_space:  global
        .offset:         0
        .size:           8
        .value_kind:     global_buffer
      - .actual_access:  read_only
        .address_space:  global
        .offset:         8
        .size:           8
        .value_kind:     global_buffer
      - .actual_access:  read_only
        .address_space:  global
        .offset:         16
        .size:           8
        .value_kind:     global_buffer
      - .actual_access:  read_only
        .address_space:  global
        .offset:         24
        .size:           8
        .value_kind:     global_buffer
      - .offset:         32
        .size:           4
        .value_kind:     by_value
      - .offset:         36
        .size:           4
        .value_kind:     by_value
      - .actual_access:  read_only
        .address_space:  global
        .offset:         40
        .size:           8
        .value_kind:     global_buffer
      - .actual_access:  read_only
        .address_space:  global
        .offset:         48
        .size:           8
        .value_kind:     global_buffer
      - .offset:         56
        .size:           4
        .value_kind:     by_value
      - .actual_access:  read_only
        .address_space:  global
        .offset:         64
        .size:           8
        .value_kind:     global_buffer
      - .offset:         72
        .size:           4
        .value_kind:     by_value
      - .offset:         76
        .size:           4
        .value_kind:     by_value
      - .offset:         80
        .size:           4
        .value_kind:     by_value
      - .address_space:  global
        .offset:         88
        .size:           8
        .value_kind:     global_buffer
      - .address_space:  global
        .offset:         96
        .size:           8
        .value_kind:     global_buffer
      - .offset:         104
        .size:           4
        .value_kind:     by_value
      - .offset:         108
        .size:           4
        .value_kind:     by_value
      - .offset:         112
        .size:           4
        .value_kind:     by_value
      - .offset:         116
        .size:           4
        .value_kind:     by_value
      - .offset:         120
        .size:           4
        .value_kind:     by_value
      - .offset:         128
        .size:           4
        .value_kind:     hidden_block_count_x
      - .offset:         132
        .size:           4
        .value_kind:     hidden_block_count_y
      - .offset:         136
        .size:           4
        .value_kind:     hidden_block_count_z
      - .offset:         140
        .size:           2
        .value_kind:     hidden_group_size_x
      - .offset:         142
        .size:           2
        .value_kind:     hidden_group_size_y
      - .offset:         144
        .size:           2
        .value_kind:     hidden_group_size_z
      - .offset:         146
        .size:           2
        .value_kind:     hidden_remainder_x
      - .offset:         148
        .size:           2
        .value_kind:     hidden_remainder_y
      - .offset:         150
        .size:           2
        .value_kind:     hidden_remainder_z
      - .offset:         168
        .size:           8
        .value_kind:     hidden_global_offset_x
      - .offset:         176
        .size:           8
        .value_kind:     hidden_global_offset_y
      - .offset:         184
        .size:           8
        .value_kind:     hidden_global_offset_z
      - .offset:         192
        .size:           2
        .value_kind:     hidden_grid_dims
      - .offset:         248
        .size:           4
        .value_kind:     hidden_dynamic_lds_size
    .group_segment_fixed_size: 144
    .kernarg_segment_align: 8
    .kernarg_segment_size: 384
    .language:       OpenCL C
    .language_version:
      - 2
      - 0
    .max_flat_workgroup_size: 1024
    .name:           _ZN4vllm25paged_attention_v1_kernelIttLi64ELi8ELi128ELNS_18Fp8KVCacheDataTypeE0ELb0EEEvPT_PKS2_PKT0_S8_ifPKiSA_iPKfiiiSC_SC_iiiii
    .private_segment_fixed_size: 0
    .sgpr_count:     42
    .sgpr_spill_count: 0
    .symbol:         _ZN4vllm25paged_attention_v1_kernelIttLi64ELi8ELi128ELNS_18Fp8KVCacheDataTypeE0ELb0EEEvPT_PKS2_PKT0_S8_ifPKiSA_iPKfiiiSC_SC_iiiii.kd
    .uniform_work_group_size: 1
    .uses_dynamic_stack: false
    .vgpr_count:     33
    .vgpr_spill_count: 0
    .wavefront_size: 64
  - .agpr_count:     0
    .args:
      - .actual_access:  write_only
        .address_space:  global
        .offset:         0
        .size:           8
        .value_kind:     global_buffer
      - .actual_access:  read_only
        .address_space:  global
        .offset:         8
        .size:           8
        .value_kind:     global_buffer
      - .actual_access:  read_only
        .address_space:  global
        .offset:         16
        .size:           8
        .value_kind:     global_buffer
      - .actual_access:  read_only
        .address_space:  global
        .offset:         24
        .size:           8
        .value_kind:     global_buffer
      - .offset:         32
        .size:           4
        .value_kind:     by_value
      - .offset:         36
        .size:           4
        .value_kind:     by_value
      - .actual_access:  read_only
        .address_space:  global
        .offset:         40
        .size:           8
        .value_kind:     global_buffer
      - .actual_access:  read_only
        .address_space:  global
        .offset:         48
        .size:           8
        .value_kind:     global_buffer
      - .offset:         56
        .size:           4
        .value_kind:     by_value
      - .actual_access:  read_only
        .address_space:  global
        .offset:         64
        .size:           8
        .value_kind:     global_buffer
      - .offset:         72
        .size:           4
        .value_kind:     by_value
      - .offset:         76
        .size:           4
        .value_kind:     by_value
      - .offset:         80
        .size:           4
        .value_kind:     by_value
      - .address_space:  global
        .offset:         88
        .size:           8
        .value_kind:     global_buffer
      - .address_space:  global
        .offset:         96
        .size:           8
        .value_kind:     global_buffer
      - .offset:         104
        .size:           4
        .value_kind:     by_value
      - .offset:         108
        .size:           4
        .value_kind:     by_value
      - .offset:         112
        .size:           4
        .value_kind:     by_value
      - .offset:         116
        .size:           4
        .value_kind:     by_value
      - .offset:         120
        .size:           4
        .value_kind:     by_value
      - .offset:         128
        .size:           4
        .value_kind:     hidden_block_count_x
      - .offset:         132
        .size:           4
        .value_kind:     hidden_block_count_y
      - .offset:         136
        .size:           4
        .value_kind:     hidden_block_count_z
      - .offset:         140
        .size:           2
        .value_kind:     hidden_group_size_x
      - .offset:         142
        .size:           2
        .value_kind:     hidden_group_size_y
      - .offset:         144
        .size:           2
        .value_kind:     hidden_group_size_z
      - .offset:         146
        .size:           2
        .value_kind:     hidden_remainder_x
      - .offset:         148
        .size:           2
        .value_kind:     hidden_remainder_y
      - .offset:         150
        .size:           2
        .value_kind:     hidden_remainder_z
      - .offset:         168
        .size:           8
        .value_kind:     hidden_global_offset_x
      - .offset:         176
        .size:           8
        .value_kind:     hidden_global_offset_y
      - .offset:         184
        .size:           8
        .value_kind:     hidden_global_offset_z
      - .offset:         192
        .size:           2
        .value_kind:     hidden_grid_dims
      - .offset:         248
        .size:           4
        .value_kind:     hidden_dynamic_lds_size
    .group_segment_fixed_size: 176
    .kernarg_segment_align: 8
    .kernarg_segment_size: 384
    .language:       OpenCL C
    .language_version:
      - 2
      - 0
    .max_flat_workgroup_size: 1024
    .name:           _ZN4vllm25paged_attention_v1_kernelIttLi80ELi8ELi128ELNS_18Fp8KVCacheDataTypeE0ELb0EEEvPT_PKS2_PKT0_S8_ifPKiSA_iPKfiiiSC_SC_iiiii
    .private_segment_fixed_size: 0
    .sgpr_count:     43
    .sgpr_spill_count: 0
    .symbol:         _ZN4vllm25paged_attention_v1_kernelIttLi80ELi8ELi128ELNS_18Fp8KVCacheDataTypeE0ELb0EEEvPT_PKS2_PKT0_S8_ifPKiSA_iPKfiiiSC_SC_iiiii.kd
    .uniform_work_group_size: 1
    .uses_dynamic_stack: false
    .vgpr_count:     37
    .vgpr_spill_count: 0
    .wavefront_size: 64
  - .agpr_count:     0
    .args:
      - .actual_access:  write_only
        .address_space:  global
        .offset:         0
        .size:           8
        .value_kind:     global_buffer
      - .actual_access:  read_only
        .address_space:  global
        .offset:         8
        .size:           8
        .value_kind:     global_buffer
      - .actual_access:  read_only
        .address_space:  global
        .offset:         16
        .size:           8
        .value_kind:     global_buffer
      - .actual_access:  read_only
        .address_space:  global
        .offset:         24
        .size:           8
        .value_kind:     global_buffer
      - .offset:         32
        .size:           4
        .value_kind:     by_value
      - .offset:         36
        .size:           4
        .value_kind:     by_value
      - .actual_access:  read_only
        .address_space:  global
        .offset:         40
        .size:           8
        .value_kind:     global_buffer
      - .actual_access:  read_only
        .address_space:  global
        .offset:         48
        .size:           8
        .value_kind:     global_buffer
      - .offset:         56
        .size:           4
        .value_kind:     by_value
      - .actual_access:  read_only
        .address_space:  global
        .offset:         64
        .size:           8
        .value_kind:     global_buffer
      - .offset:         72
        .size:           4
        .value_kind:     by_value
      - .offset:         76
        .size:           4
        .value_kind:     by_value
      - .offset:         80
        .size:           4
        .value_kind:     by_value
      - .address_space:  global
        .offset:         88
        .size:           8
        .value_kind:     global_buffer
      - .address_space:  global
        .offset:         96
        .size:           8
        .value_kind:     global_buffer
      - .offset:         104
        .size:           4
        .value_kind:     by_value
      - .offset:         108
        .size:           4
        .value_kind:     by_value
      - .offset:         112
        .size:           4
        .value_kind:     by_value
      - .offset:         116
        .size:           4
        .value_kind:     by_value
      - .offset:         120
        .size:           4
        .value_kind:     by_value
      - .offset:         128
        .size:           4
        .value_kind:     hidden_block_count_x
      - .offset:         132
        .size:           4
        .value_kind:     hidden_block_count_y
      - .offset:         136
        .size:           4
        .value_kind:     hidden_block_count_z
      - .offset:         140
        .size:           2
        .value_kind:     hidden_group_size_x
      - .offset:         142
        .size:           2
        .value_kind:     hidden_group_size_y
      - .offset:         144
        .size:           2
        .value_kind:     hidden_group_size_z
      - .offset:         146
        .size:           2
        .value_kind:     hidden_remainder_x
      - .offset:         148
        .size:           2
        .value_kind:     hidden_remainder_y
      - .offset:         150
        .size:           2
        .value_kind:     hidden_remainder_z
      - .offset:         168
        .size:           8
        .value_kind:     hidden_global_offset_x
      - .offset:         176
        .size:           8
        .value_kind:     hidden_global_offset_y
      - .offset:         184
        .size:           8
        .value_kind:     hidden_global_offset_z
      - .offset:         192
        .size:           2
        .value_kind:     hidden_grid_dims
      - .offset:         248
        .size:           4
        .value_kind:     hidden_dynamic_lds_size
    .group_segment_fixed_size: 208
    .kernarg_segment_align: 8
    .kernarg_segment_size: 384
    .language:       OpenCL C
    .language_version:
      - 2
      - 0
    .max_flat_workgroup_size: 1024
    .name:           _ZN4vllm25paged_attention_v1_kernelIttLi96ELi8ELi128ELNS_18Fp8KVCacheDataTypeE0ELb0EEEvPT_PKS2_PKT0_S8_ifPKiSA_iPKfiiiSC_SC_iiiii
    .private_segment_fixed_size: 0
    .sgpr_count:     43
    .sgpr_spill_count: 0
    .symbol:         _ZN4vllm25paged_attention_v1_kernelIttLi96ELi8ELi128ELNS_18Fp8KVCacheDataTypeE0ELb0EEEvPT_PKS2_PKT0_S8_ifPKiSA_iPKfiiiSC_SC_iiiii.kd
    .uniform_work_group_size: 1
    .uses_dynamic_stack: false
    .vgpr_count:     41
    .vgpr_spill_count: 0
    .wavefront_size: 64
  - .agpr_count:     0
    .args:
      - .actual_access:  write_only
        .address_space:  global
        .offset:         0
        .size:           8
        .value_kind:     global_buffer
      - .actual_access:  read_only
        .address_space:  global
        .offset:         8
        .size:           8
        .value_kind:     global_buffer
      - .actual_access:  read_only
        .address_space:  global
        .offset:         16
        .size:           8
        .value_kind:     global_buffer
      - .actual_access:  read_only
        .address_space:  global
        .offset:         24
        .size:           8
        .value_kind:     global_buffer
      - .offset:         32
        .size:           4
        .value_kind:     by_value
      - .offset:         36
        .size:           4
        .value_kind:     by_value
      - .actual_access:  read_only
        .address_space:  global
        .offset:         40
        .size:           8
        .value_kind:     global_buffer
      - .actual_access:  read_only
        .address_space:  global
        .offset:         48
        .size:           8
        .value_kind:     global_buffer
      - .offset:         56
        .size:           4
        .value_kind:     by_value
      - .actual_access:  read_only
        .address_space:  global
        .offset:         64
        .size:           8
        .value_kind:     global_buffer
      - .offset:         72
        .size:           4
        .value_kind:     by_value
      - .offset:         76
        .size:           4
        .value_kind:     by_value
      - .offset:         80
        .size:           4
        .value_kind:     by_value
      - .address_space:  global
        .offset:         88
        .size:           8
        .value_kind:     global_buffer
      - .address_space:  global
        .offset:         96
        .size:           8
        .value_kind:     global_buffer
      - .offset:         104
        .size:           4
        .value_kind:     by_value
      - .offset:         108
        .size:           4
        .value_kind:     by_value
      - .offset:         112
        .size:           4
        .value_kind:     by_value
      - .offset:         116
        .size:           4
        .value_kind:     by_value
      - .offset:         120
        .size:           4
        .value_kind:     by_value
      - .offset:         128
        .size:           4
        .value_kind:     hidden_block_count_x
      - .offset:         132
        .size:           4
        .value_kind:     hidden_block_count_y
      - .offset:         136
        .size:           4
        .value_kind:     hidden_block_count_z
      - .offset:         140
        .size:           2
        .value_kind:     hidden_group_size_x
      - .offset:         142
        .size:           2
        .value_kind:     hidden_group_size_y
      - .offset:         144
        .size:           2
        .value_kind:     hidden_group_size_z
      - .offset:         146
        .size:           2
        .value_kind:     hidden_remainder_x
      - .offset:         148
        .size:           2
        .value_kind:     hidden_remainder_y
      - .offset:         150
        .size:           2
        .value_kind:     hidden_remainder_z
      - .offset:         168
        .size:           8
        .value_kind:     hidden_global_offset_x
      - .offset:         176
        .size:           8
        .value_kind:     hidden_global_offset_y
      - .offset:         184
        .size:           8
        .value_kind:     hidden_global_offset_z
      - .offset:         192
        .size:           2
        .value_kind:     hidden_grid_dims
      - .offset:         248
        .size:           4
        .value_kind:     hidden_dynamic_lds_size
    .group_segment_fixed_size: 240
    .kernarg_segment_align: 8
    .kernarg_segment_size: 384
    .language:       OpenCL C
    .language_version:
      - 2
      - 0
    .max_flat_workgroup_size: 1024
    .name:           _ZN4vllm25paged_attention_v1_kernelIttLi112ELi8ELi128ELNS_18Fp8KVCacheDataTypeE0ELb0EEEvPT_PKS2_PKT0_S8_ifPKiSA_iPKfiiiSC_SC_iiiii
    .private_segment_fixed_size: 0
    .sgpr_count:     43
    .sgpr_spill_count: 0
    .symbol:         _ZN4vllm25paged_attention_v1_kernelIttLi112ELi8ELi128ELNS_18Fp8KVCacheDataTypeE0ELb0EEEvPT_PKS2_PKT0_S8_ifPKiSA_iPKfiiiSC_SC_iiiii.kd
    .uniform_work_group_size: 1
    .uses_dynamic_stack: false
    .vgpr_count:     44
    .vgpr_spill_count: 0
    .wavefront_size: 64
  - .agpr_count:     0
    .args:
      - .actual_access:  write_only
        .address_space:  global
        .offset:         0
        .size:           8
        .value_kind:     global_buffer
      - .actual_access:  read_only
        .address_space:  global
        .offset:         8
        .size:           8
        .value_kind:     global_buffer
      - .actual_access:  read_only
        .address_space:  global
        .offset:         16
        .size:           8
        .value_kind:     global_buffer
      - .actual_access:  read_only
        .address_space:  global
        .offset:         24
        .size:           8
        .value_kind:     global_buffer
      - .offset:         32
        .size:           4
        .value_kind:     by_value
      - .offset:         36
        .size:           4
        .value_kind:     by_value
      - .actual_access:  read_only
        .address_space:  global
        .offset:         40
        .size:           8
        .value_kind:     global_buffer
      - .actual_access:  read_only
        .address_space:  global
        .offset:         48
        .size:           8
        .value_kind:     global_buffer
      - .offset:         56
        .size:           4
        .value_kind:     by_value
      - .actual_access:  read_only
        .address_space:  global
        .offset:         64
        .size:           8
        .value_kind:     global_buffer
      - .offset:         72
        .size:           4
        .value_kind:     by_value
      - .offset:         76
        .size:           4
        .value_kind:     by_value
      - .offset:         80
        .size:           4
        .value_kind:     by_value
      - .address_space:  global
        .offset:         88
        .size:           8
        .value_kind:     global_buffer
      - .address_space:  global
        .offset:         96
        .size:           8
        .value_kind:     global_buffer
      - .offset:         104
        .size:           4
        .value_kind:     by_value
      - .offset:         108
        .size:           4
        .value_kind:     by_value
      - .offset:         112
        .size:           4
        .value_kind:     by_value
      - .offset:         116
        .size:           4
        .value_kind:     by_value
      - .offset:         120
        .size:           4
        .value_kind:     by_value
      - .offset:         128
        .size:           4
        .value_kind:     hidden_block_count_x
      - .offset:         132
        .size:           4
        .value_kind:     hidden_block_count_y
      - .offset:         136
        .size:           4
        .value_kind:     hidden_block_count_z
      - .offset:         140
        .size:           2
        .value_kind:     hidden_group_size_x
      - .offset:         142
        .size:           2
        .value_kind:     hidden_group_size_y
      - .offset:         144
        .size:           2
        .value_kind:     hidden_group_size_z
      - .offset:         146
        .size:           2
        .value_kind:     hidden_remainder_x
      - .offset:         148
        .size:           2
        .value_kind:     hidden_remainder_y
      - .offset:         150
        .size:           2
        .value_kind:     hidden_remainder_z
      - .offset:         168
        .size:           8
        .value_kind:     hidden_global_offset_x
      - .offset:         176
        .size:           8
        .value_kind:     hidden_global_offset_y
      - .offset:         184
        .size:           8
        .value_kind:     hidden_global_offset_z
      - .offset:         192
        .size:           2
        .value_kind:     hidden_grid_dims
      - .offset:         248
        .size:           4
        .value_kind:     hidden_dynamic_lds_size
    .group_segment_fixed_size: 256
    .kernarg_segment_align: 8
    .kernarg_segment_size: 384
    .language:       OpenCL C
    .language_version:
      - 2
      - 0
    .max_flat_workgroup_size: 1024
    .name:           _ZN4vllm25paged_attention_v1_kernelIttLi120ELi8ELi128ELNS_18Fp8KVCacheDataTypeE0ELb0EEEvPT_PKS2_PKT0_S8_ifPKiSA_iPKfiiiSC_SC_iiiii
    .private_segment_fixed_size: 0
    .sgpr_count:     43
    .sgpr_spill_count: 0
    .symbol:         _ZN4vllm25paged_attention_v1_kernelIttLi120ELi8ELi128ELNS_18Fp8KVCacheDataTypeE0ELb0EEEvPT_PKS2_PKT0_S8_ifPKiSA_iPKfiiiSC_SC_iiiii.kd
    .uniform_work_group_size: 1
    .uses_dynamic_stack: false
    .vgpr_count:     46
    .vgpr_spill_count: 0
    .wavefront_size: 64
  - .agpr_count:     0
    .args:
      - .actual_access:  write_only
        .address_space:  global
        .offset:         0
        .size:           8
        .value_kind:     global_buffer
      - .actual_access:  read_only
        .address_space:  global
        .offset:         8
        .size:           8
        .value_kind:     global_buffer
      - .actual_access:  read_only
        .address_space:  global
        .offset:         16
        .size:           8
        .value_kind:     global_buffer
      - .actual_access:  read_only
        .address_space:  global
        .offset:         24
        .size:           8
        .value_kind:     global_buffer
      - .offset:         32
        .size:           4
        .value_kind:     by_value
      - .offset:         36
        .size:           4
        .value_kind:     by_value
      - .actual_access:  read_only
        .address_space:  global
        .offset:         40
        .size:           8
        .value_kind:     global_buffer
      - .actual_access:  read_only
        .address_space:  global
        .offset:         48
        .size:           8
        .value_kind:     global_buffer
      - .offset:         56
        .size:           4
        .value_kind:     by_value
      - .actual_access:  read_only
        .address_space:  global
        .offset:         64
        .size:           8
        .value_kind:     global_buffer
      - .offset:         72
        .size:           4
        .value_kind:     by_value
      - .offset:         76
        .size:           4
        .value_kind:     by_value
      - .offset:         80
        .size:           4
        .value_kind:     by_value
      - .address_space:  global
        .offset:         88
        .size:           8
        .value_kind:     global_buffer
      - .address_space:  global
        .offset:         96
        .size:           8
        .value_kind:     global_buffer
      - .offset:         104
        .size:           4
        .value_kind:     by_value
      - .offset:         108
        .size:           4
        .value_kind:     by_value
      - .offset:         112
        .size:           4
        .value_kind:     by_value
      - .offset:         116
        .size:           4
        .value_kind:     by_value
      - .offset:         120
        .size:           4
        .value_kind:     by_value
      - .offset:         128
        .size:           4
        .value_kind:     hidden_block_count_x
      - .offset:         132
        .size:           4
        .value_kind:     hidden_block_count_y
      - .offset:         136
        .size:           4
        .value_kind:     hidden_block_count_z
      - .offset:         140
        .size:           2
        .value_kind:     hidden_group_size_x
      - .offset:         142
        .size:           2
        .value_kind:     hidden_group_size_y
      - .offset:         144
        .size:           2
        .value_kind:     hidden_group_size_z
      - .offset:         146
        .size:           2
        .value_kind:     hidden_remainder_x
      - .offset:         148
        .size:           2
        .value_kind:     hidden_remainder_y
      - .offset:         150
        .size:           2
        .value_kind:     hidden_remainder_z
      - .offset:         168
        .size:           8
        .value_kind:     hidden_global_offset_x
      - .offset:         176
        .size:           8
        .value_kind:     hidden_global_offset_y
      - .offset:         184
        .size:           8
        .value_kind:     hidden_global_offset_z
      - .offset:         192
        .size:           2
        .value_kind:     hidden_grid_dims
      - .offset:         248
        .size:           4
        .value_kind:     hidden_dynamic_lds_size
    .group_segment_fixed_size: 272
    .kernarg_segment_align: 8
    .kernarg_segment_size: 384
    .language:       OpenCL C
    .language_version:
      - 2
      - 0
    .max_flat_workgroup_size: 1024
    .name:           _ZN4vllm25paged_attention_v1_kernelIttLi128ELi8ELi128ELNS_18Fp8KVCacheDataTypeE0ELb0EEEvPT_PKS2_PKT0_S8_ifPKiSA_iPKfiiiSC_SC_iiiii
    .private_segment_fixed_size: 0
    .sgpr_count:     40
    .sgpr_spill_count: 0
    .symbol:         _ZN4vllm25paged_attention_v1_kernelIttLi128ELi8ELi128ELNS_18Fp8KVCacheDataTypeE0ELb0EEEvPT_PKS2_PKT0_S8_ifPKiSA_iPKfiiiSC_SC_iiiii.kd
    .uniform_work_group_size: 1
    .uses_dynamic_stack: false
    .vgpr_count:     48
    .vgpr_spill_count: 0
    .wavefront_size: 64
  - .agpr_count:     0
    .args:
      - .actual_access:  write_only
        .address_space:  global
        .offset:         0
        .size:           8
        .value_kind:     global_buffer
      - .actual_access:  read_only
        .address_space:  global
        .offset:         8
        .size:           8
        .value_kind:     global_buffer
      - .actual_access:  read_only
        .address_space:  global
        .offset:         16
        .size:           8
        .value_kind:     global_buffer
      - .actual_access:  read_only
        .address_space:  global
        .offset:         24
        .size:           8
        .value_kind:     global_buffer
      - .offset:         32
        .size:           4
        .value_kind:     by_value
      - .offset:         36
        .size:           4
        .value_kind:     by_value
      - .actual_access:  read_only
        .address_space:  global
        .offset:         40
        .size:           8
        .value_kind:     global_buffer
      - .actual_access:  read_only
        .address_space:  global
        .offset:         48
        .size:           8
        .value_kind:     global_buffer
      - .offset:         56
        .size:           4
        .value_kind:     by_value
      - .actual_access:  read_only
        .address_space:  global
        .offset:         64
        .size:           8
        .value_kind:     global_buffer
      - .offset:         72
        .size:           4
        .value_kind:     by_value
      - .offset:         76
        .size:           4
        .value_kind:     by_value
      - .offset:         80
        .size:           4
        .value_kind:     by_value
      - .address_space:  global
        .offset:         88
        .size:           8
        .value_kind:     global_buffer
      - .address_space:  global
        .offset:         96
        .size:           8
        .value_kind:     global_buffer
      - .offset:         104
        .size:           4
        .value_kind:     by_value
      - .offset:         108
        .size:           4
        .value_kind:     by_value
      - .offset:         112
        .size:           4
        .value_kind:     by_value
      - .offset:         116
        .size:           4
        .value_kind:     by_value
      - .offset:         120
        .size:           4
        .value_kind:     by_value
      - .offset:         128
        .size:           4
        .value_kind:     hidden_block_count_x
      - .offset:         132
        .size:           4
        .value_kind:     hidden_block_count_y
      - .offset:         136
        .size:           4
        .value_kind:     hidden_block_count_z
      - .offset:         140
        .size:           2
        .value_kind:     hidden_group_size_x
      - .offset:         142
        .size:           2
        .value_kind:     hidden_group_size_y
      - .offset:         144
        .size:           2
        .value_kind:     hidden_group_size_z
      - .offset:         146
        .size:           2
        .value_kind:     hidden_remainder_x
      - .offset:         148
        .size:           2
        .value_kind:     hidden_remainder_y
      - .offset:         150
        .size:           2
        .value_kind:     hidden_remainder_z
      - .offset:         168
        .size:           8
        .value_kind:     hidden_global_offset_x
      - .offset:         176
        .size:           8
        .value_kind:     hidden_global_offset_y
      - .offset:         184
        .size:           8
        .value_kind:     hidden_global_offset_z
      - .offset:         192
        .size:           2
        .value_kind:     hidden_grid_dims
      - .offset:         248
        .size:           4
        .value_kind:     hidden_dynamic_lds_size
    .group_segment_fixed_size: 400
    .kernarg_segment_align: 8
    .kernarg_segment_size: 384
    .language:       OpenCL C
    .language_version:
      - 2
      - 0
    .max_flat_workgroup_size: 1024
    .name:           _ZN4vllm25paged_attention_v1_kernelIttLi192ELi8ELi128ELNS_18Fp8KVCacheDataTypeE0ELb0EEEvPT_PKS2_PKT0_S8_ifPKiSA_iPKfiiiSC_SC_iiiii
    .private_segment_fixed_size: 0
    .sgpr_count:     44
    .sgpr_spill_count: 0
    .symbol:         _ZN4vllm25paged_attention_v1_kernelIttLi192ELi8ELi128ELNS_18Fp8KVCacheDataTypeE0ELb0EEEvPT_PKS2_PKT0_S8_ifPKiSA_iPKfiiiSC_SC_iiiii.kd
    .uniform_work_group_size: 1
    .uses_dynamic_stack: false
    .vgpr_count:     61
    .vgpr_spill_count: 0
    .wavefront_size: 64
  - .agpr_count:     0
    .args:
      - .actual_access:  write_only
        .address_space:  global
        .offset:         0
        .size:           8
        .value_kind:     global_buffer
      - .actual_access:  read_only
        .address_space:  global
        .offset:         8
        .size:           8
        .value_kind:     global_buffer
      - .actual_access:  read_only
        .address_space:  global
        .offset:         16
        .size:           8
        .value_kind:     global_buffer
      - .actual_access:  read_only
        .address_space:  global
        .offset:         24
        .size:           8
        .value_kind:     global_buffer
      - .offset:         32
        .size:           4
        .value_kind:     by_value
      - .offset:         36
        .size:           4
        .value_kind:     by_value
      - .actual_access:  read_only
        .address_space:  global
        .offset:         40
        .size:           8
        .value_kind:     global_buffer
      - .actual_access:  read_only
        .address_space:  global
        .offset:         48
        .size:           8
        .value_kind:     global_buffer
      - .offset:         56
        .size:           4
        .value_kind:     by_value
      - .actual_access:  read_only
        .address_space:  global
        .offset:         64
        .size:           8
        .value_kind:     global_buffer
      - .offset:         72
        .size:           4
        .value_kind:     by_value
      - .offset:         76
        .size:           4
        .value_kind:     by_value
      - .offset:         80
        .size:           4
        .value_kind:     by_value
      - .address_space:  global
        .offset:         88
        .size:           8
        .value_kind:     global_buffer
      - .address_space:  global
        .offset:         96
        .size:           8
        .value_kind:     global_buffer
      - .offset:         104
        .size:           4
        .value_kind:     by_value
      - .offset:         108
        .size:           4
        .value_kind:     by_value
      - .offset:         112
        .size:           4
        .value_kind:     by_value
      - .offset:         116
        .size:           4
        .value_kind:     by_value
      - .offset:         120
        .size:           4
        .value_kind:     by_value
      - .offset:         128
        .size:           4
        .value_kind:     hidden_block_count_x
      - .offset:         132
        .size:           4
        .value_kind:     hidden_block_count_y
      - .offset:         136
        .size:           4
        .value_kind:     hidden_block_count_z
      - .offset:         140
        .size:           2
        .value_kind:     hidden_group_size_x
      - .offset:         142
        .size:           2
        .value_kind:     hidden_group_size_y
      - .offset:         144
        .size:           2
        .value_kind:     hidden_group_size_z
      - .offset:         146
        .size:           2
        .value_kind:     hidden_remainder_x
      - .offset:         148
        .size:           2
        .value_kind:     hidden_remainder_y
      - .offset:         150
        .size:           2
        .value_kind:     hidden_remainder_z
      - .offset:         168
        .size:           8
        .value_kind:     hidden_global_offset_x
      - .offset:         176
        .size:           8
        .value_kind:     hidden_global_offset_y
      - .offset:         184
        .size:           8
        .value_kind:     hidden_global_offset_z
      - .offset:         192
        .size:           2
        .value_kind:     hidden_grid_dims
      - .offset:         248
        .size:           4
        .value_kind:     hidden_dynamic_lds_size
    .group_segment_fixed_size: 528
    .kernarg_segment_align: 8
    .kernarg_segment_size: 384
    .language:       OpenCL C
    .language_version:
      - 2
      - 0
    .max_flat_workgroup_size: 1024
    .name:           _ZN4vllm25paged_attention_v1_kernelIttLi256ELi8ELi128ELNS_18Fp8KVCacheDataTypeE0ELb0EEEvPT_PKS2_PKT0_S8_ifPKiSA_iPKfiiiSC_SC_iiiii
    .private_segment_fixed_size: 0
    .sgpr_count:     44
    .sgpr_spill_count: 0
    .symbol:         _ZN4vllm25paged_attention_v1_kernelIttLi256ELi8ELi128ELNS_18Fp8KVCacheDataTypeE0ELb0EEEvPT_PKS2_PKT0_S8_ifPKiSA_iPKfiiiSC_SC_iiiii.kd
    .uniform_work_group_size: 1
    .uses_dynamic_stack: false
    .vgpr_count:     60
    .vgpr_spill_count: 0
    .wavefront_size: 64
  - .agpr_count:     0
    .args:
      - .actual_access:  write_only
        .address_space:  global
        .offset:         0
        .size:           8
        .value_kind:     global_buffer
      - .actual_access:  read_only
        .address_space:  global
        .offset:         8
        .size:           8
        .value_kind:     global_buffer
      - .actual_access:  read_only
        .address_space:  global
        .offset:         16
        .size:           8
        .value_kind:     global_buffer
      - .actual_access:  read_only
        .address_space:  global
        .offset:         24
        .size:           8
        .value_kind:     global_buffer
      - .offset:         32
        .size:           4
        .value_kind:     by_value
      - .offset:         36
        .size:           4
        .value_kind:     by_value
      - .actual_access:  read_only
        .address_space:  global
        .offset:         40
        .size:           8
        .value_kind:     global_buffer
      - .actual_access:  read_only
        .address_space:  global
        .offset:         48
        .size:           8
        .value_kind:     global_buffer
      - .offset:         56
        .size:           4
        .value_kind:     by_value
      - .actual_access:  read_only
        .address_space:  global
        .offset:         64
        .size:           8
        .value_kind:     global_buffer
      - .offset:         72
        .size:           4
        .value_kind:     by_value
      - .offset:         76
        .size:           4
        .value_kind:     by_value
      - .offset:         80
        .size:           4
        .value_kind:     by_value
      - .address_space:  global
        .offset:         88
        .size:           8
        .value_kind:     global_buffer
      - .address_space:  global
        .offset:         96
        .size:           8
        .value_kind:     global_buffer
      - .offset:         104
        .size:           4
        .value_kind:     by_value
      - .offset:         108
        .size:           4
        .value_kind:     by_value
      - .offset:         112
        .size:           4
        .value_kind:     by_value
      - .offset:         116
        .size:           4
        .value_kind:     by_value
      - .offset:         120
        .size:           4
        .value_kind:     by_value
      - .offset:         128
        .size:           4
        .value_kind:     hidden_block_count_x
      - .offset:         132
        .size:           4
        .value_kind:     hidden_block_count_y
      - .offset:         136
        .size:           4
        .value_kind:     hidden_block_count_z
      - .offset:         140
        .size:           2
        .value_kind:     hidden_group_size_x
      - .offset:         142
        .size:           2
        .value_kind:     hidden_group_size_y
      - .offset:         144
        .size:           2
        .value_kind:     hidden_group_size_z
      - .offset:         146
        .size:           2
        .value_kind:     hidden_remainder_x
      - .offset:         148
        .size:           2
        .value_kind:     hidden_remainder_y
      - .offset:         150
        .size:           2
        .value_kind:     hidden_remainder_z
      - .offset:         168
        .size:           8
        .value_kind:     hidden_global_offset_x
      - .offset:         176
        .size:           8
        .value_kind:     hidden_global_offset_y
      - .offset:         184
        .size:           8
        .value_kind:     hidden_global_offset_z
      - .offset:         192
        .size:           2
        .value_kind:     hidden_grid_dims
      - .offset:         248
        .size:           4
        .value_kind:     hidden_dynamic_lds_size
    .group_segment_fixed_size: 80
    .kernarg_segment_align: 8
    .kernarg_segment_size: 384
    .language:       OpenCL C
    .language_version:
      - 2
      - 0
    .max_flat_workgroup_size: 1024
    .name:           _ZN4vllm25paged_attention_v1_kernelIttLi32ELi16ELi128ELNS_18Fp8KVCacheDataTypeE0ELb1EEEvPT_PKS2_PKT0_S8_ifPKiSA_iPKfiiiSC_SC_iiiii
    .private_segment_fixed_size: 0
    .sgpr_count:     50
    .sgpr_spill_count: 0
    .symbol:         _ZN4vllm25paged_attention_v1_kernelIttLi32ELi16ELi128ELNS_18Fp8KVCacheDataTypeE0ELb1EEEvPT_PKS2_PKT0_S8_ifPKiSA_iPKfiiiSC_SC_iiiii.kd
    .uniform_work_group_size: 1
    .uses_dynamic_stack: false
    .vgpr_count:     36
    .vgpr_spill_count: 0
    .wavefront_size: 64
  - .agpr_count:     0
    .args:
      - .actual_access:  write_only
        .address_space:  global
        .offset:         0
        .size:           8
        .value_kind:     global_buffer
      - .actual_access:  read_only
        .address_space:  global
        .offset:         8
        .size:           8
        .value_kind:     global_buffer
      - .actual_access:  read_only
        .address_space:  global
        .offset:         16
        .size:           8
        .value_kind:     global_buffer
      - .actual_access:  read_only
        .address_space:  global
        .offset:         24
        .size:           8
        .value_kind:     global_buffer
      - .offset:         32
        .size:           4
        .value_kind:     by_value
      - .offset:         36
        .size:           4
        .value_kind:     by_value
      - .actual_access:  read_only
        .address_space:  global
        .offset:         40
        .size:           8
        .value_kind:     global_buffer
      - .actual_access:  read_only
        .address_space:  global
        .offset:         48
        .size:           8
        .value_kind:     global_buffer
      - .offset:         56
        .size:           4
        .value_kind:     by_value
      - .actual_access:  read_only
        .address_space:  global
        .offset:         64
        .size:           8
        .value_kind:     global_buffer
      - .offset:         72
        .size:           4
        .value_kind:     by_value
      - .offset:         76
        .size:           4
        .value_kind:     by_value
      - .offset:         80
        .size:           4
        .value_kind:     by_value
      - .address_space:  global
        .offset:         88
        .size:           8
        .value_kind:     global_buffer
      - .address_space:  global
        .offset:         96
        .size:           8
        .value_kind:     global_buffer
      - .offset:         104
        .size:           4
        .value_kind:     by_value
      - .offset:         108
        .size:           4
        .value_kind:     by_value
      - .offset:         112
        .size:           4
        .value_kind:     by_value
      - .offset:         116
        .size:           4
        .value_kind:     by_value
      - .offset:         120
        .size:           4
        .value_kind:     by_value
      - .offset:         128
        .size:           4
        .value_kind:     hidden_block_count_x
      - .offset:         132
        .size:           4
        .value_kind:     hidden_block_count_y
      - .offset:         136
        .size:           4
        .value_kind:     hidden_block_count_z
      - .offset:         140
        .size:           2
        .value_kind:     hidden_group_size_x
      - .offset:         142
        .size:           2
        .value_kind:     hidden_group_size_y
      - .offset:         144
        .size:           2
        .value_kind:     hidden_group_size_z
      - .offset:         146
        .size:           2
        .value_kind:     hidden_remainder_x
      - .offset:         148
        .size:           2
        .value_kind:     hidden_remainder_y
      - .offset:         150
        .size:           2
        .value_kind:     hidden_remainder_z
      - .offset:         168
        .size:           8
        .value_kind:     hidden_global_offset_x
      - .offset:         176
        .size:           8
        .value_kind:     hidden_global_offset_y
      - .offset:         184
        .size:           8
        .value_kind:     hidden_global_offset_z
      - .offset:         192
        .size:           2
        .value_kind:     hidden_grid_dims
      - .offset:         248
        .size:           4
        .value_kind:     hidden_dynamic_lds_size
    .group_segment_fixed_size: 144
    .kernarg_segment_align: 8
    .kernarg_segment_size: 384
    .language:       OpenCL C
    .language_version:
      - 2
      - 0
    .max_flat_workgroup_size: 1024
    .name:           _ZN4vllm25paged_attention_v1_kernelIttLi64ELi16ELi128ELNS_18Fp8KVCacheDataTypeE0ELb1EEEvPT_PKS2_PKT0_S8_ifPKiSA_iPKfiiiSC_SC_iiiii
    .private_segment_fixed_size: 0
    .sgpr_count:     50
    .sgpr_spill_count: 0
    .symbol:         _ZN4vllm25paged_attention_v1_kernelIttLi64ELi16ELi128ELNS_18Fp8KVCacheDataTypeE0ELb1EEEvPT_PKS2_PKT0_S8_ifPKiSA_iPKfiiiSC_SC_iiiii.kd
    .uniform_work_group_size: 1
    .uses_dynamic_stack: false
    .vgpr_count:     48
    .vgpr_spill_count: 0
    .wavefront_size: 64
  - .agpr_count:     0
    .args:
      - .actual_access:  write_only
        .address_space:  global
        .offset:         0
        .size:           8
        .value_kind:     global_buffer
      - .actual_access:  read_only
        .address_space:  global
        .offset:         8
        .size:           8
        .value_kind:     global_buffer
      - .actual_access:  read_only
        .address_space:  global
        .offset:         16
        .size:           8
        .value_kind:     global_buffer
      - .actual_access:  read_only
        .address_space:  global
        .offset:         24
        .size:           8
        .value_kind:     global_buffer
      - .offset:         32
        .size:           4
        .value_kind:     by_value
      - .offset:         36
        .size:           4
        .value_kind:     by_value
      - .actual_access:  read_only
        .address_space:  global
        .offset:         40
        .size:           8
        .value_kind:     global_buffer
      - .actual_access:  read_only
        .address_space:  global
        .offset:         48
        .size:           8
        .value_kind:     global_buffer
      - .offset:         56
        .size:           4
        .value_kind:     by_value
      - .actual_access:  read_only
        .address_space:  global
        .offset:         64
        .size:           8
        .value_kind:     global_buffer
      - .offset:         72
        .size:           4
        .value_kind:     by_value
      - .offset:         76
        .size:           4
        .value_kind:     by_value
      - .offset:         80
        .size:           4
        .value_kind:     by_value
      - .address_space:  global
        .offset:         88
        .size:           8
        .value_kind:     global_buffer
      - .address_space:  global
        .offset:         96
        .size:           8
        .value_kind:     global_buffer
      - .offset:         104
        .size:           4
        .value_kind:     by_value
      - .offset:         108
        .size:           4
        .value_kind:     by_value
      - .offset:         112
        .size:           4
        .value_kind:     by_value
      - .offset:         116
        .size:           4
        .value_kind:     by_value
      - .offset:         120
        .size:           4
        .value_kind:     by_value
      - .offset:         128
        .size:           4
        .value_kind:     hidden_block_count_x
      - .offset:         132
        .size:           4
        .value_kind:     hidden_block_count_y
      - .offset:         136
        .size:           4
        .value_kind:     hidden_block_count_z
      - .offset:         140
        .size:           2
        .value_kind:     hidden_group_size_x
      - .offset:         142
        .size:           2
        .value_kind:     hidden_group_size_y
      - .offset:         144
        .size:           2
        .value_kind:     hidden_group_size_z
      - .offset:         146
        .size:           2
        .value_kind:     hidden_remainder_x
      - .offset:         148
        .size:           2
        .value_kind:     hidden_remainder_y
      - .offset:         150
        .size:           2
        .value_kind:     hidden_remainder_z
      - .offset:         168
        .size:           8
        .value_kind:     hidden_global_offset_x
      - .offset:         176
        .size:           8
        .value_kind:     hidden_global_offset_y
      - .offset:         184
        .size:           8
        .value_kind:     hidden_global_offset_z
      - .offset:         192
        .size:           2
        .value_kind:     hidden_grid_dims
      - .offset:         248
        .size:           4
        .value_kind:     hidden_dynamic_lds_size
    .group_segment_fixed_size: 176
    .kernarg_segment_align: 8
    .kernarg_segment_size: 384
    .language:       OpenCL C
    .language_version:
      - 2
      - 0
    .max_flat_workgroup_size: 1024
    .name:           _ZN4vllm25paged_attention_v1_kernelIttLi80ELi16ELi128ELNS_18Fp8KVCacheDataTypeE0ELb1EEEvPT_PKS2_PKT0_S8_ifPKiSA_iPKfiiiSC_SC_iiiii
    .private_segment_fixed_size: 0
    .sgpr_count:     50
    .sgpr_spill_count: 0
    .symbol:         _ZN4vllm25paged_attention_v1_kernelIttLi80ELi16ELi128ELNS_18Fp8KVCacheDataTypeE0ELb1EEEvPT_PKS2_PKT0_S8_ifPKiSA_iPKfiiiSC_SC_iiiii.kd
    .uniform_work_group_size: 1
    .uses_dynamic_stack: false
    .vgpr_count:     54
    .vgpr_spill_count: 0
    .wavefront_size: 64
  - .agpr_count:     0
    .args:
      - .actual_access:  write_only
        .address_space:  global
        .offset:         0
        .size:           8
        .value_kind:     global_buffer
      - .actual_access:  read_only
        .address_space:  global
        .offset:         8
        .size:           8
        .value_kind:     global_buffer
      - .actual_access:  read_only
        .address_space:  global
        .offset:         16
        .size:           8
        .value_kind:     global_buffer
      - .actual_access:  read_only
        .address_space:  global
        .offset:         24
        .size:           8
        .value_kind:     global_buffer
      - .offset:         32
        .size:           4
        .value_kind:     by_value
      - .offset:         36
        .size:           4
        .value_kind:     by_value
      - .actual_access:  read_only
        .address_space:  global
        .offset:         40
        .size:           8
        .value_kind:     global_buffer
      - .actual_access:  read_only
        .address_space:  global
        .offset:         48
        .size:           8
        .value_kind:     global_buffer
      - .offset:         56
        .size:           4
        .value_kind:     by_value
      - .actual_access:  read_only
        .address_space:  global
        .offset:         64
        .size:           8
        .value_kind:     global_buffer
      - .offset:         72
        .size:           4
        .value_kind:     by_value
      - .offset:         76
        .size:           4
        .value_kind:     by_value
      - .offset:         80
        .size:           4
        .value_kind:     by_value
      - .address_space:  global
        .offset:         88
        .size:           8
        .value_kind:     global_buffer
      - .address_space:  global
        .offset:         96
        .size:           8
        .value_kind:     global_buffer
      - .offset:         104
        .size:           4
        .value_kind:     by_value
      - .offset:         108
        .size:           4
        .value_kind:     by_value
      - .offset:         112
        .size:           4
        .value_kind:     by_value
      - .offset:         116
        .size:           4
        .value_kind:     by_value
      - .offset:         120
        .size:           4
        .value_kind:     by_value
      - .offset:         128
        .size:           4
        .value_kind:     hidden_block_count_x
      - .offset:         132
        .size:           4
        .value_kind:     hidden_block_count_y
      - .offset:         136
        .size:           4
        .value_kind:     hidden_block_count_z
      - .offset:         140
        .size:           2
        .value_kind:     hidden_group_size_x
      - .offset:         142
        .size:           2
        .value_kind:     hidden_group_size_y
      - .offset:         144
        .size:           2
        .value_kind:     hidden_group_size_z
      - .offset:         146
        .size:           2
        .value_kind:     hidden_remainder_x
      - .offset:         148
        .size:           2
        .value_kind:     hidden_remainder_y
      - .offset:         150
        .size:           2
        .value_kind:     hidden_remainder_z
      - .offset:         168
        .size:           8
        .value_kind:     hidden_global_offset_x
      - .offset:         176
        .size:           8
        .value_kind:     hidden_global_offset_y
      - .offset:         184
        .size:           8
        .value_kind:     hidden_global_offset_z
      - .offset:         192
        .size:           2
        .value_kind:     hidden_grid_dims
      - .offset:         248
        .size:           4
        .value_kind:     hidden_dynamic_lds_size
    .group_segment_fixed_size: 208
    .kernarg_segment_align: 8
    .kernarg_segment_size: 384
    .language:       OpenCL C
    .language_version:
      - 2
      - 0
    .max_flat_workgroup_size: 1024
    .name:           _ZN4vllm25paged_attention_v1_kernelIttLi96ELi16ELi128ELNS_18Fp8KVCacheDataTypeE0ELb1EEEvPT_PKS2_PKT0_S8_ifPKiSA_iPKfiiiSC_SC_iiiii
    .private_segment_fixed_size: 0
    .sgpr_count:     53
    .sgpr_spill_count: 0
    .symbol:         _ZN4vllm25paged_attention_v1_kernelIttLi96ELi16ELi128ELNS_18Fp8KVCacheDataTypeE0ELb1EEEvPT_PKS2_PKT0_S8_ifPKiSA_iPKfiiiSC_SC_iiiii.kd
    .uniform_work_group_size: 1
    .uses_dynamic_stack: false
    .vgpr_count:     60
    .vgpr_spill_count: 0
    .wavefront_size: 64
  - .agpr_count:     0
    .args:
      - .actual_access:  write_only
        .address_space:  global
        .offset:         0
        .size:           8
        .value_kind:     global_buffer
      - .actual_access:  read_only
        .address_space:  global
        .offset:         8
        .size:           8
        .value_kind:     global_buffer
      - .actual_access:  read_only
        .address_space:  global
        .offset:         16
        .size:           8
        .value_kind:     global_buffer
      - .actual_access:  read_only
        .address_space:  global
        .offset:         24
        .size:           8
        .value_kind:     global_buffer
      - .offset:         32
        .size:           4
        .value_kind:     by_value
      - .offset:         36
        .size:           4
        .value_kind:     by_value
      - .actual_access:  read_only
        .address_space:  global
        .offset:         40
        .size:           8
        .value_kind:     global_buffer
      - .actual_access:  read_only
        .address_space:  global
        .offset:         48
        .size:           8
        .value_kind:     global_buffer
      - .offset:         56
        .size:           4
        .value_kind:     by_value
      - .actual_access:  read_only
        .address_space:  global
        .offset:         64
        .size:           8
        .value_kind:     global_buffer
      - .offset:         72
        .size:           4
        .value_kind:     by_value
      - .offset:         76
        .size:           4
        .value_kind:     by_value
      - .offset:         80
        .size:           4
        .value_kind:     by_value
      - .address_space:  global
        .offset:         88
        .size:           8
        .value_kind:     global_buffer
      - .address_space:  global
        .offset:         96
        .size:           8
        .value_kind:     global_buffer
      - .offset:         104
        .size:           4
        .value_kind:     by_value
      - .offset:         108
        .size:           4
        .value_kind:     by_value
      - .offset:         112
        .size:           4
        .value_kind:     by_value
      - .offset:         116
        .size:           4
        .value_kind:     by_value
      - .offset:         120
        .size:           4
        .value_kind:     by_value
      - .offset:         128
        .size:           4
        .value_kind:     hidden_block_count_x
      - .offset:         132
        .size:           4
        .value_kind:     hidden_block_count_y
      - .offset:         136
        .size:           4
        .value_kind:     hidden_block_count_z
      - .offset:         140
        .size:           2
        .value_kind:     hidden_group_size_x
      - .offset:         142
        .size:           2
        .value_kind:     hidden_group_size_y
      - .offset:         144
        .size:           2
        .value_kind:     hidden_group_size_z
      - .offset:         146
        .size:           2
        .value_kind:     hidden_remainder_x
      - .offset:         148
        .size:           2
        .value_kind:     hidden_remainder_y
      - .offset:         150
        .size:           2
        .value_kind:     hidden_remainder_z
      - .offset:         168
        .size:           8
        .value_kind:     hidden_global_offset_x
      - .offset:         176
        .size:           8
        .value_kind:     hidden_global_offset_y
      - .offset:         184
        .size:           8
        .value_kind:     hidden_global_offset_z
      - .offset:         192
        .size:           2
        .value_kind:     hidden_grid_dims
      - .offset:         248
        .size:           4
        .value_kind:     hidden_dynamic_lds_size
    .group_segment_fixed_size: 240
    .kernarg_segment_align: 8
    .kernarg_segment_size: 384
    .language:       OpenCL C
    .language_version:
      - 2
      - 0
    .max_flat_workgroup_size: 1024
    .name:           _ZN4vllm25paged_attention_v1_kernelIttLi112ELi16ELi128ELNS_18Fp8KVCacheDataTypeE0ELb1EEEvPT_PKS2_PKT0_S8_ifPKiSA_iPKfiiiSC_SC_iiiii
    .private_segment_fixed_size: 0
    .sgpr_count:     50
    .sgpr_spill_count: 0
    .symbol:         _ZN4vllm25paged_attention_v1_kernelIttLi112ELi16ELi128ELNS_18Fp8KVCacheDataTypeE0ELb1EEEvPT_PKS2_PKT0_S8_ifPKiSA_iPKfiiiSC_SC_iiiii.kd
    .uniform_work_group_size: 1
    .uses_dynamic_stack: false
    .vgpr_count:     66
    .vgpr_spill_count: 0
    .wavefront_size: 64
  - .agpr_count:     0
    .args:
      - .actual_access:  write_only
        .address_space:  global
        .offset:         0
        .size:           8
        .value_kind:     global_buffer
      - .actual_access:  read_only
        .address_space:  global
        .offset:         8
        .size:           8
        .value_kind:     global_buffer
      - .actual_access:  read_only
        .address_space:  global
        .offset:         16
        .size:           8
        .value_kind:     global_buffer
      - .actual_access:  read_only
        .address_space:  global
        .offset:         24
        .size:           8
        .value_kind:     global_buffer
      - .offset:         32
        .size:           4
        .value_kind:     by_value
      - .offset:         36
        .size:           4
        .value_kind:     by_value
      - .actual_access:  read_only
        .address_space:  global
        .offset:         40
        .size:           8
        .value_kind:     global_buffer
      - .actual_access:  read_only
        .address_space:  global
        .offset:         48
        .size:           8
        .value_kind:     global_buffer
      - .offset:         56
        .size:           4
        .value_kind:     by_value
      - .actual_access:  read_only
        .address_space:  global
        .offset:         64
        .size:           8
        .value_kind:     global_buffer
      - .offset:         72
        .size:           4
        .value_kind:     by_value
      - .offset:         76
        .size:           4
        .value_kind:     by_value
      - .offset:         80
        .size:           4
        .value_kind:     by_value
      - .address_space:  global
        .offset:         88
        .size:           8
        .value_kind:     global_buffer
      - .address_space:  global
        .offset:         96
        .size:           8
        .value_kind:     global_buffer
      - .offset:         104
        .size:           4
        .value_kind:     by_value
      - .offset:         108
        .size:           4
        .value_kind:     by_value
      - .offset:         112
        .size:           4
        .value_kind:     by_value
      - .offset:         116
        .size:           4
        .value_kind:     by_value
      - .offset:         120
        .size:           4
        .value_kind:     by_value
      - .offset:         128
        .size:           4
        .value_kind:     hidden_block_count_x
      - .offset:         132
        .size:           4
        .value_kind:     hidden_block_count_y
      - .offset:         136
        .size:           4
        .value_kind:     hidden_block_count_z
      - .offset:         140
        .size:           2
        .value_kind:     hidden_group_size_x
      - .offset:         142
        .size:           2
        .value_kind:     hidden_group_size_y
      - .offset:         144
        .size:           2
        .value_kind:     hidden_group_size_z
      - .offset:         146
        .size:           2
        .value_kind:     hidden_remainder_x
      - .offset:         148
        .size:           2
        .value_kind:     hidden_remainder_y
      - .offset:         150
        .size:           2
        .value_kind:     hidden_remainder_z
      - .offset:         168
        .size:           8
        .value_kind:     hidden_global_offset_x
      - .offset:         176
        .size:           8
        .value_kind:     hidden_global_offset_y
      - .offset:         184
        .size:           8
        .value_kind:     hidden_global_offset_z
      - .offset:         192
        .size:           2
        .value_kind:     hidden_grid_dims
      - .offset:         248
        .size:           4
        .value_kind:     hidden_dynamic_lds_size
    .group_segment_fixed_size: 256
    .kernarg_segment_align: 8
    .kernarg_segment_size: 384
    .language:       OpenCL C
    .language_version:
      - 2
      - 0
    .max_flat_workgroup_size: 1024
    .name:           _ZN4vllm25paged_attention_v1_kernelIttLi120ELi16ELi128ELNS_18Fp8KVCacheDataTypeE0ELb1EEEvPT_PKS2_PKT0_S8_ifPKiSA_iPKfiiiSC_SC_iiiii
    .private_segment_fixed_size: 0
    .sgpr_count:     50
    .sgpr_spill_count: 0
    .symbol:         _ZN4vllm25paged_attention_v1_kernelIttLi120ELi16ELi128ELNS_18Fp8KVCacheDataTypeE0ELb1EEEvPT_PKS2_PKT0_S8_ifPKiSA_iPKfiiiSC_SC_iiiii.kd
    .uniform_work_group_size: 1
    .uses_dynamic_stack: false
    .vgpr_count:     70
    .vgpr_spill_count: 0
    .wavefront_size: 64
  - .agpr_count:     0
    .args:
      - .actual_access:  write_only
        .address_space:  global
        .offset:         0
        .size:           8
        .value_kind:     global_buffer
      - .actual_access:  read_only
        .address_space:  global
        .offset:         8
        .size:           8
        .value_kind:     global_buffer
      - .actual_access:  read_only
        .address_space:  global
        .offset:         16
        .size:           8
        .value_kind:     global_buffer
      - .actual_access:  read_only
        .address_space:  global
        .offset:         24
        .size:           8
        .value_kind:     global_buffer
      - .offset:         32
        .size:           4
        .value_kind:     by_value
      - .offset:         36
        .size:           4
        .value_kind:     by_value
      - .actual_access:  read_only
        .address_space:  global
        .offset:         40
        .size:           8
        .value_kind:     global_buffer
      - .actual_access:  read_only
        .address_space:  global
        .offset:         48
        .size:           8
        .value_kind:     global_buffer
      - .offset:         56
        .size:           4
        .value_kind:     by_value
      - .actual_access:  read_only
        .address_space:  global
        .offset:         64
        .size:           8
        .value_kind:     global_buffer
      - .offset:         72
        .size:           4
        .value_kind:     by_value
      - .offset:         76
        .size:           4
        .value_kind:     by_value
      - .offset:         80
        .size:           4
        .value_kind:     by_value
      - .address_space:  global
        .offset:         88
        .size:           8
        .value_kind:     global_buffer
      - .address_space:  global
        .offset:         96
        .size:           8
        .value_kind:     global_buffer
      - .offset:         104
        .size:           4
        .value_kind:     by_value
      - .offset:         108
        .size:           4
        .value_kind:     by_value
      - .offset:         112
        .size:           4
        .value_kind:     by_value
      - .offset:         116
        .size:           4
        .value_kind:     by_value
      - .offset:         120
        .size:           4
        .value_kind:     by_value
      - .offset:         128
        .size:           4
        .value_kind:     hidden_block_count_x
      - .offset:         132
        .size:           4
        .value_kind:     hidden_block_count_y
      - .offset:         136
        .size:           4
        .value_kind:     hidden_block_count_z
      - .offset:         140
        .size:           2
        .value_kind:     hidden_group_size_x
      - .offset:         142
        .size:           2
        .value_kind:     hidden_group_size_y
      - .offset:         144
        .size:           2
        .value_kind:     hidden_group_size_z
      - .offset:         146
        .size:           2
        .value_kind:     hidden_remainder_x
      - .offset:         148
        .size:           2
        .value_kind:     hidden_remainder_y
      - .offset:         150
        .size:           2
        .value_kind:     hidden_remainder_z
      - .offset:         168
        .size:           8
        .value_kind:     hidden_global_offset_x
      - .offset:         176
        .size:           8
        .value_kind:     hidden_global_offset_y
      - .offset:         184
        .size:           8
        .value_kind:     hidden_global_offset_z
      - .offset:         192
        .size:           2
        .value_kind:     hidden_grid_dims
      - .offset:         248
        .size:           4
        .value_kind:     hidden_dynamic_lds_size
    .group_segment_fixed_size: 272
    .kernarg_segment_align: 8
    .kernarg_segment_size: 384
    .language:       OpenCL C
    .language_version:
      - 2
      - 0
    .max_flat_workgroup_size: 1024
    .name:           _ZN4vllm25paged_attention_v1_kernelIttLi128ELi16ELi128ELNS_18Fp8KVCacheDataTypeE0ELb1EEEvPT_PKS2_PKT0_S8_ifPKiSA_iPKfiiiSC_SC_iiiii
    .private_segment_fixed_size: 0
    .sgpr_count:     54
    .sgpr_spill_count: 0
    .symbol:         _ZN4vllm25paged_attention_v1_kernelIttLi128ELi16ELi128ELNS_18Fp8KVCacheDataTypeE0ELb1EEEvPT_PKS2_PKT0_S8_ifPKiSA_iPKfiiiSC_SC_iiiii.kd
    .uniform_work_group_size: 1
    .uses_dynamic_stack: false
    .vgpr_count:     71
    .vgpr_spill_count: 0
    .wavefront_size: 64
  - .agpr_count:     0
    .args:
      - .actual_access:  write_only
        .address_space:  global
        .offset:         0
        .size:           8
        .value_kind:     global_buffer
      - .actual_access:  read_only
        .address_space:  global
        .offset:         8
        .size:           8
        .value_kind:     global_buffer
      - .actual_access:  read_only
        .address_space:  global
        .offset:         16
        .size:           8
        .value_kind:     global_buffer
      - .actual_access:  read_only
        .address_space:  global
        .offset:         24
        .size:           8
        .value_kind:     global_buffer
      - .offset:         32
        .size:           4
        .value_kind:     by_value
      - .offset:         36
        .size:           4
        .value_kind:     by_value
      - .actual_access:  read_only
        .address_space:  global
        .offset:         40
        .size:           8
        .value_kind:     global_buffer
      - .actual_access:  read_only
        .address_space:  global
        .offset:         48
        .size:           8
        .value_kind:     global_buffer
      - .offset:         56
        .size:           4
        .value_kind:     by_value
      - .actual_access:  read_only
        .address_space:  global
        .offset:         64
        .size:           8
        .value_kind:     global_buffer
      - .offset:         72
        .size:           4
        .value_kind:     by_value
      - .offset:         76
        .size:           4
        .value_kind:     by_value
      - .offset:         80
        .size:           4
        .value_kind:     by_value
      - .address_space:  global
        .offset:         88
        .size:           8
        .value_kind:     global_buffer
      - .address_space:  global
        .offset:         96
        .size:           8
        .value_kind:     global_buffer
      - .offset:         104
        .size:           4
        .value_kind:     by_value
      - .offset:         108
        .size:           4
        .value_kind:     by_value
      - .offset:         112
        .size:           4
        .value_kind:     by_value
      - .offset:         116
        .size:           4
        .value_kind:     by_value
      - .offset:         120
        .size:           4
        .value_kind:     by_value
      - .offset:         128
        .size:           4
        .value_kind:     hidden_block_count_x
      - .offset:         132
        .size:           4
        .value_kind:     hidden_block_count_y
      - .offset:         136
        .size:           4
        .value_kind:     hidden_block_count_z
      - .offset:         140
        .size:           2
        .value_kind:     hidden_group_size_x
      - .offset:         142
        .size:           2
        .value_kind:     hidden_group_size_y
      - .offset:         144
        .size:           2
        .value_kind:     hidden_group_size_z
      - .offset:         146
        .size:           2
        .value_kind:     hidden_remainder_x
      - .offset:         148
        .size:           2
        .value_kind:     hidden_remainder_y
      - .offset:         150
        .size:           2
        .value_kind:     hidden_remainder_z
      - .offset:         168
        .size:           8
        .value_kind:     hidden_global_offset_x
      - .offset:         176
        .size:           8
        .value_kind:     hidden_global_offset_y
      - .offset:         184
        .size:           8
        .value_kind:     hidden_global_offset_z
      - .offset:         192
        .size:           2
        .value_kind:     hidden_grid_dims
      - .offset:         248
        .size:           4
        .value_kind:     hidden_dynamic_lds_size
    .group_segment_fixed_size: 400
    .kernarg_segment_align: 8
    .kernarg_segment_size: 384
    .language:       OpenCL C
    .language_version:
      - 2
      - 0
    .max_flat_workgroup_size: 1024
    .name:           _ZN4vllm25paged_attention_v1_kernelIttLi192ELi16ELi128ELNS_18Fp8KVCacheDataTypeE0ELb1EEEvPT_PKS2_PKT0_S8_ifPKiSA_iPKfiiiSC_SC_iiiii
    .private_segment_fixed_size: 0
    .sgpr_count:     51
    .sgpr_spill_count: 0
    .symbol:         _ZN4vllm25paged_attention_v1_kernelIttLi192ELi16ELi128ELNS_18Fp8KVCacheDataTypeE0ELb1EEEvPT_PKS2_PKT0_S8_ifPKiSA_iPKfiiiSC_SC_iiiii.kd
    .uniform_work_group_size: 1
    .uses_dynamic_stack: false
    .vgpr_count:     89
    .vgpr_spill_count: 0
    .wavefront_size: 64
  - .agpr_count:     0
    .args:
      - .actual_access:  write_only
        .address_space:  global
        .offset:         0
        .size:           8
        .value_kind:     global_buffer
      - .actual_access:  read_only
        .address_space:  global
        .offset:         8
        .size:           8
        .value_kind:     global_buffer
      - .actual_access:  read_only
        .address_space:  global
        .offset:         16
        .size:           8
        .value_kind:     global_buffer
      - .actual_access:  read_only
        .address_space:  global
        .offset:         24
        .size:           8
        .value_kind:     global_buffer
      - .offset:         32
        .size:           4
        .value_kind:     by_value
      - .offset:         36
        .size:           4
        .value_kind:     by_value
      - .actual_access:  read_only
        .address_space:  global
        .offset:         40
        .size:           8
        .value_kind:     global_buffer
      - .actual_access:  read_only
        .address_space:  global
        .offset:         48
        .size:           8
        .value_kind:     global_buffer
      - .offset:         56
        .size:           4
        .value_kind:     by_value
      - .actual_access:  read_only
        .address_space:  global
        .offset:         64
        .size:           8
        .value_kind:     global_buffer
      - .offset:         72
        .size:           4
        .value_kind:     by_value
      - .offset:         76
        .size:           4
        .value_kind:     by_value
      - .offset:         80
        .size:           4
        .value_kind:     by_value
      - .address_space:  global
        .offset:         88
        .size:           8
        .value_kind:     global_buffer
      - .address_space:  global
        .offset:         96
        .size:           8
        .value_kind:     global_buffer
      - .offset:         104
        .size:           4
        .value_kind:     by_value
      - .offset:         108
        .size:           4
        .value_kind:     by_value
      - .offset:         112
        .size:           4
        .value_kind:     by_value
      - .offset:         116
        .size:           4
        .value_kind:     by_value
      - .offset:         120
        .size:           4
        .value_kind:     by_value
      - .offset:         128
        .size:           4
        .value_kind:     hidden_block_count_x
      - .offset:         132
        .size:           4
        .value_kind:     hidden_block_count_y
      - .offset:         136
        .size:           4
        .value_kind:     hidden_block_count_z
      - .offset:         140
        .size:           2
        .value_kind:     hidden_group_size_x
      - .offset:         142
        .size:           2
        .value_kind:     hidden_group_size_y
      - .offset:         144
        .size:           2
        .value_kind:     hidden_group_size_z
      - .offset:         146
        .size:           2
        .value_kind:     hidden_remainder_x
      - .offset:         148
        .size:           2
        .value_kind:     hidden_remainder_y
      - .offset:         150
        .size:           2
        .value_kind:     hidden_remainder_z
      - .offset:         168
        .size:           8
        .value_kind:     hidden_global_offset_x
      - .offset:         176
        .size:           8
        .value_kind:     hidden_global_offset_y
      - .offset:         184
        .size:           8
        .value_kind:     hidden_global_offset_z
      - .offset:         192
        .size:           2
        .value_kind:     hidden_grid_dims
      - .offset:         248
        .size:           4
        .value_kind:     hidden_dynamic_lds_size
    .group_segment_fixed_size: 528
    .kernarg_segment_align: 8
    .kernarg_segment_size: 384
    .language:       OpenCL C
    .language_version:
      - 2
      - 0
    .max_flat_workgroup_size: 1024
    .name:           _ZN4vllm25paged_attention_v1_kernelIttLi256ELi16ELi128ELNS_18Fp8KVCacheDataTypeE0ELb1EEEvPT_PKS2_PKT0_S8_ifPKiSA_iPKfiiiSC_SC_iiiii
    .private_segment_fixed_size: 0
    .sgpr_count:     51
    .sgpr_spill_count: 0
    .symbol:         _ZN4vllm25paged_attention_v1_kernelIttLi256ELi16ELi128ELNS_18Fp8KVCacheDataTypeE0ELb1EEEvPT_PKS2_PKT0_S8_ifPKiSA_iPKfiiiSC_SC_iiiii.kd
    .uniform_work_group_size: 1
    .uses_dynamic_stack: false
    .vgpr_count:     90
    .vgpr_spill_count: 0
    .wavefront_size: 64
  - .agpr_count:     0
    .args:
      - .actual_access:  write_only
        .address_space:  global
        .offset:         0
        .size:           8
        .value_kind:     global_buffer
      - .actual_access:  read_only
        .address_space:  global
        .offset:         8
        .size:           8
        .value_kind:     global_buffer
      - .actual_access:  read_only
        .address_space:  global
        .offset:         16
        .size:           8
        .value_kind:     global_buffer
      - .actual_access:  read_only
        .address_space:  global
        .offset:         24
        .size:           8
        .value_kind:     global_buffer
      - .offset:         32
        .size:           4
        .value_kind:     by_value
      - .offset:         36
        .size:           4
        .value_kind:     by_value
      - .actual_access:  read_only
        .address_space:  global
        .offset:         40
        .size:           8
        .value_kind:     global_buffer
      - .actual_access:  read_only
        .address_space:  global
        .offset:         48
        .size:           8
        .value_kind:     global_buffer
      - .offset:         56
        .size:           4
        .value_kind:     by_value
      - .actual_access:  read_only
        .address_space:  global
        .offset:         64
        .size:           8
        .value_kind:     global_buffer
      - .offset:         72
        .size:           4
        .value_kind:     by_value
      - .offset:         76
        .size:           4
        .value_kind:     by_value
      - .offset:         80
        .size:           4
        .value_kind:     by_value
      - .address_space:  global
        .offset:         88
        .size:           8
        .value_kind:     global_buffer
      - .address_space:  global
        .offset:         96
        .size:           8
        .value_kind:     global_buffer
      - .offset:         104
        .size:           4
        .value_kind:     by_value
      - .offset:         108
        .size:           4
        .value_kind:     by_value
      - .offset:         112
        .size:           4
        .value_kind:     by_value
      - .offset:         116
        .size:           4
        .value_kind:     by_value
      - .offset:         120
        .size:           4
        .value_kind:     by_value
      - .offset:         128
        .size:           4
        .value_kind:     hidden_block_count_x
      - .offset:         132
        .size:           4
        .value_kind:     hidden_block_count_y
      - .offset:         136
        .size:           4
        .value_kind:     hidden_block_count_z
      - .offset:         140
        .size:           2
        .value_kind:     hidden_group_size_x
      - .offset:         142
        .size:           2
        .value_kind:     hidden_group_size_y
      - .offset:         144
        .size:           2
        .value_kind:     hidden_group_size_z
      - .offset:         146
        .size:           2
        .value_kind:     hidden_remainder_x
      - .offset:         148
        .size:           2
        .value_kind:     hidden_remainder_y
      - .offset:         150
        .size:           2
        .value_kind:     hidden_remainder_z
      - .offset:         168
        .size:           8
        .value_kind:     hidden_global_offset_x
      - .offset:         176
        .size:           8
        .value_kind:     hidden_global_offset_y
      - .offset:         184
        .size:           8
        .value_kind:     hidden_global_offset_z
      - .offset:         192
        .size:           2
        .value_kind:     hidden_grid_dims
      - .offset:         248
        .size:           4
        .value_kind:     hidden_dynamic_lds_size
    .group_segment_fixed_size: 80
    .kernarg_segment_align: 8
    .kernarg_segment_size: 384
    .language:       OpenCL C
    .language_version:
      - 2
      - 0
    .max_flat_workgroup_size: 1024
    .name:           _ZN4vllm25paged_attention_v1_kernelIttLi32ELi16ELi128ELNS_18Fp8KVCacheDataTypeE0ELb0EEEvPT_PKS2_PKT0_S8_ifPKiSA_iPKfiiiSC_SC_iiiii
    .private_segment_fixed_size: 0
    .sgpr_count:     40
    .sgpr_spill_count: 0
    .symbol:         _ZN4vllm25paged_attention_v1_kernelIttLi32ELi16ELi128ELNS_18Fp8KVCacheDataTypeE0ELb0EEEvPT_PKS2_PKT0_S8_ifPKiSA_iPKfiiiSC_SC_iiiii.kd
    .uniform_work_group_size: 1
    .uses_dynamic_stack: false
    .vgpr_count:     31
    .vgpr_spill_count: 0
    .wavefront_size: 64
  - .agpr_count:     0
    .args:
      - .actual_access:  write_only
        .address_space:  global
        .offset:         0
        .size:           8
        .value_kind:     global_buffer
      - .actual_access:  read_only
        .address_space:  global
        .offset:         8
        .size:           8
        .value_kind:     global_buffer
      - .actual_access:  read_only
        .address_space:  global
        .offset:         16
        .size:           8
        .value_kind:     global_buffer
      - .actual_access:  read_only
        .address_space:  global
        .offset:         24
        .size:           8
        .value_kind:     global_buffer
      - .offset:         32
        .size:           4
        .value_kind:     by_value
      - .offset:         36
        .size:           4
        .value_kind:     by_value
      - .actual_access:  read_only
        .address_space:  global
        .offset:         40
        .size:           8
        .value_kind:     global_buffer
      - .actual_access:  read_only
        .address_space:  global
        .offset:         48
        .size:           8
        .value_kind:     global_buffer
      - .offset:         56
        .size:           4
        .value_kind:     by_value
      - .actual_access:  read_only
        .address_space:  global
        .offset:         64
        .size:           8
        .value_kind:     global_buffer
      - .offset:         72
        .size:           4
        .value_kind:     by_value
      - .offset:         76
        .size:           4
        .value_kind:     by_value
      - .offset:         80
        .size:           4
        .value_kind:     by_value
      - .address_space:  global
        .offset:         88
        .size:           8
        .value_kind:     global_buffer
      - .address_space:  global
        .offset:         96
        .size:           8
        .value_kind:     global_buffer
      - .offset:         104
        .size:           4
        .value_kind:     by_value
      - .offset:         108
        .size:           4
        .value_kind:     by_value
      - .offset:         112
        .size:           4
        .value_kind:     by_value
      - .offset:         116
        .size:           4
        .value_kind:     by_value
      - .offset:         120
        .size:           4
        .value_kind:     by_value
      - .offset:         128
        .size:           4
        .value_kind:     hidden_block_count_x
      - .offset:         132
        .size:           4
        .value_kind:     hidden_block_count_y
      - .offset:         136
        .size:           4
        .value_kind:     hidden_block_count_z
      - .offset:         140
        .size:           2
        .value_kind:     hidden_group_size_x
      - .offset:         142
        .size:           2
        .value_kind:     hidden_group_size_y
      - .offset:         144
        .size:           2
        .value_kind:     hidden_group_size_z
      - .offset:         146
        .size:           2
        .value_kind:     hidden_remainder_x
      - .offset:         148
        .size:           2
        .value_kind:     hidden_remainder_y
      - .offset:         150
        .size:           2
        .value_kind:     hidden_remainder_z
      - .offset:         168
        .size:           8
        .value_kind:     hidden_global_offset_x
      - .offset:         176
        .size:           8
        .value_kind:     hidden_global_offset_y
      - .offset:         184
        .size:           8
        .value_kind:     hidden_global_offset_z
      - .offset:         192
        .size:           2
        .value_kind:     hidden_grid_dims
      - .offset:         248
        .size:           4
        .value_kind:     hidden_dynamic_lds_size
    .group_segment_fixed_size: 144
    .kernarg_segment_align: 8
    .kernarg_segment_size: 384
    .language:       OpenCL C
    .language_version:
      - 2
      - 0
    .max_flat_workgroup_size: 1024
    .name:           _ZN4vllm25paged_attention_v1_kernelIttLi64ELi16ELi128ELNS_18Fp8KVCacheDataTypeE0ELb0EEEvPT_PKS2_PKT0_S8_ifPKiSA_iPKfiiiSC_SC_iiiii
    .private_segment_fixed_size: 0
    .sgpr_count:     40
    .sgpr_spill_count: 0
    .symbol:         _ZN4vllm25paged_attention_v1_kernelIttLi64ELi16ELi128ELNS_18Fp8KVCacheDataTypeE0ELb0EEEvPT_PKS2_PKT0_S8_ifPKiSA_iPKfiiiSC_SC_iiiii.kd
    .uniform_work_group_size: 1
    .uses_dynamic_stack: false
    .vgpr_count:     42
    .vgpr_spill_count: 0
    .wavefront_size: 64
  - .agpr_count:     0
    .args:
      - .actual_access:  write_only
        .address_space:  global
        .offset:         0
        .size:           8
        .value_kind:     global_buffer
      - .actual_access:  read_only
        .address_space:  global
        .offset:         8
        .size:           8
        .value_kind:     global_buffer
      - .actual_access:  read_only
        .address_space:  global
        .offset:         16
        .size:           8
        .value_kind:     global_buffer
      - .actual_access:  read_only
        .address_space:  global
        .offset:         24
        .size:           8
        .value_kind:     global_buffer
      - .offset:         32
        .size:           4
        .value_kind:     by_value
      - .offset:         36
        .size:           4
        .value_kind:     by_value
      - .actual_access:  read_only
        .address_space:  global
        .offset:         40
        .size:           8
        .value_kind:     global_buffer
      - .actual_access:  read_only
        .address_space:  global
        .offset:         48
        .size:           8
        .value_kind:     global_buffer
      - .offset:         56
        .size:           4
        .value_kind:     by_value
      - .actual_access:  read_only
        .address_space:  global
        .offset:         64
        .size:           8
        .value_kind:     global_buffer
      - .offset:         72
        .size:           4
        .value_kind:     by_value
      - .offset:         76
        .size:           4
        .value_kind:     by_value
      - .offset:         80
        .size:           4
        .value_kind:     by_value
      - .address_space:  global
        .offset:         88
        .size:           8
        .value_kind:     global_buffer
      - .address_space:  global
        .offset:         96
        .size:           8
        .value_kind:     global_buffer
      - .offset:         104
        .size:           4
        .value_kind:     by_value
      - .offset:         108
        .size:           4
        .value_kind:     by_value
      - .offset:         112
        .size:           4
        .value_kind:     by_value
      - .offset:         116
        .size:           4
        .value_kind:     by_value
      - .offset:         120
        .size:           4
        .value_kind:     by_value
      - .offset:         128
        .size:           4
        .value_kind:     hidden_block_count_x
      - .offset:         132
        .size:           4
        .value_kind:     hidden_block_count_y
      - .offset:         136
        .size:           4
        .value_kind:     hidden_block_count_z
      - .offset:         140
        .size:           2
        .value_kind:     hidden_group_size_x
      - .offset:         142
        .size:           2
        .value_kind:     hidden_group_size_y
      - .offset:         144
        .size:           2
        .value_kind:     hidden_group_size_z
      - .offset:         146
        .size:           2
        .value_kind:     hidden_remainder_x
      - .offset:         148
        .size:           2
        .value_kind:     hidden_remainder_y
      - .offset:         150
        .size:           2
        .value_kind:     hidden_remainder_z
      - .offset:         168
        .size:           8
        .value_kind:     hidden_global_offset_x
      - .offset:         176
        .size:           8
        .value_kind:     hidden_global_offset_y
      - .offset:         184
        .size:           8
        .value_kind:     hidden_global_offset_z
      - .offset:         192
        .size:           2
        .value_kind:     hidden_grid_dims
      - .offset:         248
        .size:           4
        .value_kind:     hidden_dynamic_lds_size
    .group_segment_fixed_size: 176
    .kernarg_segment_align: 8
    .kernarg_segment_size: 384
    .language:       OpenCL C
    .language_version:
      - 2
      - 0
    .max_flat_workgroup_size: 1024
    .name:           _ZN4vllm25paged_attention_v1_kernelIttLi80ELi16ELi128ELNS_18Fp8KVCacheDataTypeE0ELb0EEEvPT_PKS2_PKT0_S8_ifPKiSA_iPKfiiiSC_SC_iiiii
    .private_segment_fixed_size: 0
    .sgpr_count:     41
    .sgpr_spill_count: 0
    .symbol:         _ZN4vllm25paged_attention_v1_kernelIttLi80ELi16ELi128ELNS_18Fp8KVCacheDataTypeE0ELb0EEEvPT_PKS2_PKT0_S8_ifPKiSA_iPKfiiiSC_SC_iiiii.kd
    .uniform_work_group_size: 1
    .uses_dynamic_stack: false
    .vgpr_count:     48
    .vgpr_spill_count: 0
    .wavefront_size: 64
  - .agpr_count:     0
    .args:
      - .actual_access:  write_only
        .address_space:  global
        .offset:         0
        .size:           8
        .value_kind:     global_buffer
      - .actual_access:  read_only
        .address_space:  global
        .offset:         8
        .size:           8
        .value_kind:     global_buffer
      - .actual_access:  read_only
        .address_space:  global
        .offset:         16
        .size:           8
        .value_kind:     global_buffer
      - .actual_access:  read_only
        .address_space:  global
        .offset:         24
        .size:           8
        .value_kind:     global_buffer
      - .offset:         32
        .size:           4
        .value_kind:     by_value
      - .offset:         36
        .size:           4
        .value_kind:     by_value
      - .actual_access:  read_only
        .address_space:  global
        .offset:         40
        .size:           8
        .value_kind:     global_buffer
      - .actual_access:  read_only
        .address_space:  global
        .offset:         48
        .size:           8
        .value_kind:     global_buffer
      - .offset:         56
        .size:           4
        .value_kind:     by_value
      - .actual_access:  read_only
        .address_space:  global
        .offset:         64
        .size:           8
        .value_kind:     global_buffer
      - .offset:         72
        .size:           4
        .value_kind:     by_value
      - .offset:         76
        .size:           4
        .value_kind:     by_value
      - .offset:         80
        .size:           4
        .value_kind:     by_value
      - .address_space:  global
        .offset:         88
        .size:           8
        .value_kind:     global_buffer
      - .address_space:  global
        .offset:         96
        .size:           8
        .value_kind:     global_buffer
      - .offset:         104
        .size:           4
        .value_kind:     by_value
      - .offset:         108
        .size:           4
        .value_kind:     by_value
      - .offset:         112
        .size:           4
        .value_kind:     by_value
      - .offset:         116
        .size:           4
        .value_kind:     by_value
      - .offset:         120
        .size:           4
        .value_kind:     by_value
      - .offset:         128
        .size:           4
        .value_kind:     hidden_block_count_x
      - .offset:         132
        .size:           4
        .value_kind:     hidden_block_count_y
      - .offset:         136
        .size:           4
        .value_kind:     hidden_block_count_z
      - .offset:         140
        .size:           2
        .value_kind:     hidden_group_size_x
      - .offset:         142
        .size:           2
        .value_kind:     hidden_group_size_y
      - .offset:         144
        .size:           2
        .value_kind:     hidden_group_size_z
      - .offset:         146
        .size:           2
        .value_kind:     hidden_remainder_x
      - .offset:         148
        .size:           2
        .value_kind:     hidden_remainder_y
      - .offset:         150
        .size:           2
        .value_kind:     hidden_remainder_z
      - .offset:         168
        .size:           8
        .value_kind:     hidden_global_offset_x
      - .offset:         176
        .size:           8
        .value_kind:     hidden_global_offset_y
      - .offset:         184
        .size:           8
        .value_kind:     hidden_global_offset_z
      - .offset:         192
        .size:           2
        .value_kind:     hidden_grid_dims
      - .offset:         248
        .size:           4
        .value_kind:     hidden_dynamic_lds_size
    .group_segment_fixed_size: 208
    .kernarg_segment_align: 8
    .kernarg_segment_size: 384
    .language:       OpenCL C
    .language_version:
      - 2
      - 0
    .max_flat_workgroup_size: 1024
    .name:           _ZN4vllm25paged_attention_v1_kernelIttLi96ELi16ELi128ELNS_18Fp8KVCacheDataTypeE0ELb0EEEvPT_PKS2_PKT0_S8_ifPKiSA_iPKfiiiSC_SC_iiiii
    .private_segment_fixed_size: 0
    .sgpr_count:     40
    .sgpr_spill_count: 0
    .symbol:         _ZN4vllm25paged_attention_v1_kernelIttLi96ELi16ELi128ELNS_18Fp8KVCacheDataTypeE0ELb0EEEvPT_PKS2_PKT0_S8_ifPKiSA_iPKfiiiSC_SC_iiiii.kd
    .uniform_work_group_size: 1
    .uses_dynamic_stack: false
    .vgpr_count:     54
    .vgpr_spill_count: 0
    .wavefront_size: 64
  - .agpr_count:     0
    .args:
      - .actual_access:  write_only
        .address_space:  global
        .offset:         0
        .size:           8
        .value_kind:     global_buffer
      - .actual_access:  read_only
        .address_space:  global
        .offset:         8
        .size:           8
        .value_kind:     global_buffer
      - .actual_access:  read_only
        .address_space:  global
        .offset:         16
        .size:           8
        .value_kind:     global_buffer
      - .actual_access:  read_only
        .address_space:  global
        .offset:         24
        .size:           8
        .value_kind:     global_buffer
      - .offset:         32
        .size:           4
        .value_kind:     by_value
      - .offset:         36
        .size:           4
        .value_kind:     by_value
      - .actual_access:  read_only
        .address_space:  global
        .offset:         40
        .size:           8
        .value_kind:     global_buffer
      - .actual_access:  read_only
        .address_space:  global
        .offset:         48
        .size:           8
        .value_kind:     global_buffer
      - .offset:         56
        .size:           4
        .value_kind:     by_value
      - .actual_access:  read_only
        .address_space:  global
        .offset:         64
        .size:           8
        .value_kind:     global_buffer
      - .offset:         72
        .size:           4
        .value_kind:     by_value
      - .offset:         76
        .size:           4
        .value_kind:     by_value
      - .offset:         80
        .size:           4
        .value_kind:     by_value
      - .address_space:  global
        .offset:         88
        .size:           8
        .value_kind:     global_buffer
      - .address_space:  global
        .offset:         96
        .size:           8
        .value_kind:     global_buffer
      - .offset:         104
        .size:           4
        .value_kind:     by_value
      - .offset:         108
        .size:           4
        .value_kind:     by_value
      - .offset:         112
        .size:           4
        .value_kind:     by_value
      - .offset:         116
        .size:           4
        .value_kind:     by_value
      - .offset:         120
        .size:           4
        .value_kind:     by_value
      - .offset:         128
        .size:           4
        .value_kind:     hidden_block_count_x
      - .offset:         132
        .size:           4
        .value_kind:     hidden_block_count_y
      - .offset:         136
        .size:           4
        .value_kind:     hidden_block_count_z
      - .offset:         140
        .size:           2
        .value_kind:     hidden_group_size_x
      - .offset:         142
        .size:           2
        .value_kind:     hidden_group_size_y
      - .offset:         144
        .size:           2
        .value_kind:     hidden_group_size_z
      - .offset:         146
        .size:           2
        .value_kind:     hidden_remainder_x
      - .offset:         148
        .size:           2
        .value_kind:     hidden_remainder_y
      - .offset:         150
        .size:           2
        .value_kind:     hidden_remainder_z
      - .offset:         168
        .size:           8
        .value_kind:     hidden_global_offset_x
      - .offset:         176
        .size:           8
        .value_kind:     hidden_global_offset_y
      - .offset:         184
        .size:           8
        .value_kind:     hidden_global_offset_z
      - .offset:         192
        .size:           2
        .value_kind:     hidden_grid_dims
      - .offset:         248
        .size:           4
        .value_kind:     hidden_dynamic_lds_size
    .group_segment_fixed_size: 240
    .kernarg_segment_align: 8
    .kernarg_segment_size: 384
    .language:       OpenCL C
    .language_version:
      - 2
      - 0
    .max_flat_workgroup_size: 1024
    .name:           _ZN4vllm25paged_attention_v1_kernelIttLi112ELi16ELi128ELNS_18Fp8KVCacheDataTypeE0ELb0EEEvPT_PKS2_PKT0_S8_ifPKiSA_iPKfiiiSC_SC_iiiii
    .private_segment_fixed_size: 0
    .sgpr_count:     41
    .sgpr_spill_count: 0
    .symbol:         _ZN4vllm25paged_attention_v1_kernelIttLi112ELi16ELi128ELNS_18Fp8KVCacheDataTypeE0ELb0EEEvPT_PKS2_PKT0_S8_ifPKiSA_iPKfiiiSC_SC_iiiii.kd
    .uniform_work_group_size: 1
    .uses_dynamic_stack: false
    .vgpr_count:     60
    .vgpr_spill_count: 0
    .wavefront_size: 64
  - .agpr_count:     0
    .args:
      - .actual_access:  write_only
        .address_space:  global
        .offset:         0
        .size:           8
        .value_kind:     global_buffer
      - .actual_access:  read_only
        .address_space:  global
        .offset:         8
        .size:           8
        .value_kind:     global_buffer
      - .actual_access:  read_only
        .address_space:  global
        .offset:         16
        .size:           8
        .value_kind:     global_buffer
      - .actual_access:  read_only
        .address_space:  global
        .offset:         24
        .size:           8
        .value_kind:     global_buffer
      - .offset:         32
        .size:           4
        .value_kind:     by_value
      - .offset:         36
        .size:           4
        .value_kind:     by_value
      - .actual_access:  read_only
        .address_space:  global
        .offset:         40
        .size:           8
        .value_kind:     global_buffer
      - .actual_access:  read_only
        .address_space:  global
        .offset:         48
        .size:           8
        .value_kind:     global_buffer
      - .offset:         56
        .size:           4
        .value_kind:     by_value
      - .actual_access:  read_only
        .address_space:  global
        .offset:         64
        .size:           8
        .value_kind:     global_buffer
      - .offset:         72
        .size:           4
        .value_kind:     by_value
      - .offset:         76
        .size:           4
        .value_kind:     by_value
      - .offset:         80
        .size:           4
        .value_kind:     by_value
      - .address_space:  global
        .offset:         88
        .size:           8
        .value_kind:     global_buffer
      - .address_space:  global
        .offset:         96
        .size:           8
        .value_kind:     global_buffer
      - .offset:         104
        .size:           4
        .value_kind:     by_value
      - .offset:         108
        .size:           4
        .value_kind:     by_value
      - .offset:         112
        .size:           4
        .value_kind:     by_value
      - .offset:         116
        .size:           4
        .value_kind:     by_value
      - .offset:         120
        .size:           4
        .value_kind:     by_value
      - .offset:         128
        .size:           4
        .value_kind:     hidden_block_count_x
      - .offset:         132
        .size:           4
        .value_kind:     hidden_block_count_y
      - .offset:         136
        .size:           4
        .value_kind:     hidden_block_count_z
      - .offset:         140
        .size:           2
        .value_kind:     hidden_group_size_x
      - .offset:         142
        .size:           2
        .value_kind:     hidden_group_size_y
      - .offset:         144
        .size:           2
        .value_kind:     hidden_group_size_z
      - .offset:         146
        .size:           2
        .value_kind:     hidden_remainder_x
      - .offset:         148
        .size:           2
        .value_kind:     hidden_remainder_y
      - .offset:         150
        .size:           2
        .value_kind:     hidden_remainder_z
      - .offset:         168
        .size:           8
        .value_kind:     hidden_global_offset_x
      - .offset:         176
        .size:           8
        .value_kind:     hidden_global_offset_y
      - .offset:         184
        .size:           8
        .value_kind:     hidden_global_offset_z
      - .offset:         192
        .size:           2
        .value_kind:     hidden_grid_dims
      - .offset:         248
        .size:           4
        .value_kind:     hidden_dynamic_lds_size
    .group_segment_fixed_size: 256
    .kernarg_segment_align: 8
    .kernarg_segment_size: 384
    .language:       OpenCL C
    .language_version:
      - 2
      - 0
    .max_flat_workgroup_size: 1024
    .name:           _ZN4vllm25paged_attention_v1_kernelIttLi120ELi16ELi128ELNS_18Fp8KVCacheDataTypeE0ELb0EEEvPT_PKS2_PKT0_S8_ifPKiSA_iPKfiiiSC_SC_iiiii
    .private_segment_fixed_size: 0
    .sgpr_count:     41
    .sgpr_spill_count: 0
    .symbol:         _ZN4vllm25paged_attention_v1_kernelIttLi120ELi16ELi128ELNS_18Fp8KVCacheDataTypeE0ELb0EEEvPT_PKS2_PKT0_S8_ifPKiSA_iPKfiiiSC_SC_iiiii.kd
    .uniform_work_group_size: 1
    .uses_dynamic_stack: false
    .vgpr_count:     64
    .vgpr_spill_count: 0
    .wavefront_size: 64
  - .agpr_count:     0
    .args:
      - .actual_access:  write_only
        .address_space:  global
        .offset:         0
        .size:           8
        .value_kind:     global_buffer
      - .actual_access:  read_only
        .address_space:  global
        .offset:         8
        .size:           8
        .value_kind:     global_buffer
      - .actual_access:  read_only
        .address_space:  global
        .offset:         16
        .size:           8
        .value_kind:     global_buffer
      - .actual_access:  read_only
        .address_space:  global
        .offset:         24
        .size:           8
        .value_kind:     global_buffer
      - .offset:         32
        .size:           4
        .value_kind:     by_value
      - .offset:         36
        .size:           4
        .value_kind:     by_value
      - .actual_access:  read_only
        .address_space:  global
        .offset:         40
        .size:           8
        .value_kind:     global_buffer
      - .actual_access:  read_only
        .address_space:  global
        .offset:         48
        .size:           8
        .value_kind:     global_buffer
      - .offset:         56
        .size:           4
        .value_kind:     by_value
      - .actual_access:  read_only
        .address_space:  global
        .offset:         64
        .size:           8
        .value_kind:     global_buffer
      - .offset:         72
        .size:           4
        .value_kind:     by_value
      - .offset:         76
        .size:           4
        .value_kind:     by_value
      - .offset:         80
        .size:           4
        .value_kind:     by_value
      - .address_space:  global
        .offset:         88
        .size:           8
        .value_kind:     global_buffer
      - .address_space:  global
        .offset:         96
        .size:           8
        .value_kind:     global_buffer
      - .offset:         104
        .size:           4
        .value_kind:     by_value
      - .offset:         108
        .size:           4
        .value_kind:     by_value
      - .offset:         112
        .size:           4
        .value_kind:     by_value
      - .offset:         116
        .size:           4
        .value_kind:     by_value
      - .offset:         120
        .size:           4
        .value_kind:     by_value
      - .offset:         128
        .size:           4
        .value_kind:     hidden_block_count_x
      - .offset:         132
        .size:           4
        .value_kind:     hidden_block_count_y
      - .offset:         136
        .size:           4
        .value_kind:     hidden_block_count_z
      - .offset:         140
        .size:           2
        .value_kind:     hidden_group_size_x
      - .offset:         142
        .size:           2
        .value_kind:     hidden_group_size_y
      - .offset:         144
        .size:           2
        .value_kind:     hidden_group_size_z
      - .offset:         146
        .size:           2
        .value_kind:     hidden_remainder_x
      - .offset:         148
        .size:           2
        .value_kind:     hidden_remainder_y
      - .offset:         150
        .size:           2
        .value_kind:     hidden_remainder_z
      - .offset:         168
        .size:           8
        .value_kind:     hidden_global_offset_x
      - .offset:         176
        .size:           8
        .value_kind:     hidden_global_offset_y
      - .offset:         184
        .size:           8
        .value_kind:     hidden_global_offset_z
      - .offset:         192
        .size:           2
        .value_kind:     hidden_grid_dims
      - .offset:         248
        .size:           4
        .value_kind:     hidden_dynamic_lds_size
    .group_segment_fixed_size: 272
    .kernarg_segment_align: 8
    .kernarg_segment_size: 384
    .language:       OpenCL C
    .language_version:
      - 2
      - 0
    .max_flat_workgroup_size: 1024
    .name:           _ZN4vllm25paged_attention_v1_kernelIttLi128ELi16ELi128ELNS_18Fp8KVCacheDataTypeE0ELb0EEEvPT_PKS2_PKT0_S8_ifPKiSA_iPKfiiiSC_SC_iiiii
    .private_segment_fixed_size: 0
    .sgpr_count:     42
    .sgpr_spill_count: 0
    .symbol:         _ZN4vllm25paged_attention_v1_kernelIttLi128ELi16ELi128ELNS_18Fp8KVCacheDataTypeE0ELb0EEEvPT_PKS2_PKT0_S8_ifPKiSA_iPKfiiiSC_SC_iiiii.kd
    .uniform_work_group_size: 1
    .uses_dynamic_stack: false
    .vgpr_count:     66
    .vgpr_spill_count: 0
    .wavefront_size: 64
  - .agpr_count:     0
    .args:
      - .actual_access:  write_only
        .address_space:  global
        .offset:         0
        .size:           8
        .value_kind:     global_buffer
      - .actual_access:  read_only
        .address_space:  global
        .offset:         8
        .size:           8
        .value_kind:     global_buffer
      - .actual_access:  read_only
        .address_space:  global
        .offset:         16
        .size:           8
        .value_kind:     global_buffer
      - .actual_access:  read_only
        .address_space:  global
        .offset:         24
        .size:           8
        .value_kind:     global_buffer
      - .offset:         32
        .size:           4
        .value_kind:     by_value
      - .offset:         36
        .size:           4
        .value_kind:     by_value
      - .actual_access:  read_only
        .address_space:  global
        .offset:         40
        .size:           8
        .value_kind:     global_buffer
      - .actual_access:  read_only
        .address_space:  global
        .offset:         48
        .size:           8
        .value_kind:     global_buffer
      - .offset:         56
        .size:           4
        .value_kind:     by_value
      - .actual_access:  read_only
        .address_space:  global
        .offset:         64
        .size:           8
        .value_kind:     global_buffer
      - .offset:         72
        .size:           4
        .value_kind:     by_value
      - .offset:         76
        .size:           4
        .value_kind:     by_value
      - .offset:         80
        .size:           4
        .value_kind:     by_value
      - .address_space:  global
        .offset:         88
        .size:           8
        .value_kind:     global_buffer
      - .address_space:  global
        .offset:         96
        .size:           8
        .value_kind:     global_buffer
      - .offset:         104
        .size:           4
        .value_kind:     by_value
      - .offset:         108
        .size:           4
        .value_kind:     by_value
      - .offset:         112
        .size:           4
        .value_kind:     by_value
      - .offset:         116
        .size:           4
        .value_kind:     by_value
      - .offset:         120
        .size:           4
        .value_kind:     by_value
      - .offset:         128
        .size:           4
        .value_kind:     hidden_block_count_x
      - .offset:         132
        .size:           4
        .value_kind:     hidden_block_count_y
      - .offset:         136
        .size:           4
        .value_kind:     hidden_block_count_z
      - .offset:         140
        .size:           2
        .value_kind:     hidden_group_size_x
      - .offset:         142
        .size:           2
        .value_kind:     hidden_group_size_y
      - .offset:         144
        .size:           2
        .value_kind:     hidden_group_size_z
      - .offset:         146
        .size:           2
        .value_kind:     hidden_remainder_x
      - .offset:         148
        .size:           2
        .value_kind:     hidden_remainder_y
      - .offset:         150
        .size:           2
        .value_kind:     hidden_remainder_z
      - .offset:         168
        .size:           8
        .value_kind:     hidden_global_offset_x
      - .offset:         176
        .size:           8
        .value_kind:     hidden_global_offset_y
      - .offset:         184
        .size:           8
        .value_kind:     hidden_global_offset_z
      - .offset:         192
        .size:           2
        .value_kind:     hidden_grid_dims
      - .offset:         248
        .size:           4
        .value_kind:     hidden_dynamic_lds_size
    .group_segment_fixed_size: 400
    .kernarg_segment_align: 8
    .kernarg_segment_size: 384
    .language:       OpenCL C
    .language_version:
      - 2
      - 0
    .max_flat_workgroup_size: 1024
    .name:           _ZN4vllm25paged_attention_v1_kernelIttLi192ELi16ELi128ELNS_18Fp8KVCacheDataTypeE0ELb0EEEvPT_PKS2_PKT0_S8_ifPKiSA_iPKfiiiSC_SC_iiiii
    .private_segment_fixed_size: 0
    .sgpr_count:     41
    .sgpr_spill_count: 0
    .symbol:         _ZN4vllm25paged_attention_v1_kernelIttLi192ELi16ELi128ELNS_18Fp8KVCacheDataTypeE0ELb0EEEvPT_PKS2_PKT0_S8_ifPKiSA_iPKfiiiSC_SC_iiiii.kd
    .uniform_work_group_size: 1
    .uses_dynamic_stack: false
    .vgpr_count:     60
    .vgpr_spill_count: 0
    .wavefront_size: 64
  - .agpr_count:     0
    .args:
      - .actual_access:  write_only
        .address_space:  global
        .offset:         0
        .size:           8
        .value_kind:     global_buffer
      - .actual_access:  read_only
        .address_space:  global
        .offset:         8
        .size:           8
        .value_kind:     global_buffer
      - .actual_access:  read_only
        .address_space:  global
        .offset:         16
        .size:           8
        .value_kind:     global_buffer
      - .actual_access:  read_only
        .address_space:  global
        .offset:         24
        .size:           8
        .value_kind:     global_buffer
      - .offset:         32
        .size:           4
        .value_kind:     by_value
      - .offset:         36
        .size:           4
        .value_kind:     by_value
      - .actual_access:  read_only
        .address_space:  global
        .offset:         40
        .size:           8
        .value_kind:     global_buffer
      - .actual_access:  read_only
        .address_space:  global
        .offset:         48
        .size:           8
        .value_kind:     global_buffer
      - .offset:         56
        .size:           4
        .value_kind:     by_value
      - .actual_access:  read_only
        .address_space:  global
        .offset:         64
        .size:           8
        .value_kind:     global_buffer
      - .offset:         72
        .size:           4
        .value_kind:     by_value
      - .offset:         76
        .size:           4
        .value_kind:     by_value
      - .offset:         80
        .size:           4
        .value_kind:     by_value
      - .address_space:  global
        .offset:         88
        .size:           8
        .value_kind:     global_buffer
      - .address_space:  global
        .offset:         96
        .size:           8
        .value_kind:     global_buffer
      - .offset:         104
        .size:           4
        .value_kind:     by_value
      - .offset:         108
        .size:           4
        .value_kind:     by_value
      - .offset:         112
        .size:           4
        .value_kind:     by_value
      - .offset:         116
        .size:           4
        .value_kind:     by_value
      - .offset:         120
        .size:           4
        .value_kind:     by_value
      - .offset:         128
        .size:           4
        .value_kind:     hidden_block_count_x
      - .offset:         132
        .size:           4
        .value_kind:     hidden_block_count_y
      - .offset:         136
        .size:           4
        .value_kind:     hidden_block_count_z
      - .offset:         140
        .size:           2
        .value_kind:     hidden_group_size_x
      - .offset:         142
        .size:           2
        .value_kind:     hidden_group_size_y
      - .offset:         144
        .size:           2
        .value_kind:     hidden_group_size_z
      - .offset:         146
        .size:           2
        .value_kind:     hidden_remainder_x
      - .offset:         148
        .size:           2
        .value_kind:     hidden_remainder_y
      - .offset:         150
        .size:           2
        .value_kind:     hidden_remainder_z
      - .offset:         168
        .size:           8
        .value_kind:     hidden_global_offset_x
      - .offset:         176
        .size:           8
        .value_kind:     hidden_global_offset_y
      - .offset:         184
        .size:           8
        .value_kind:     hidden_global_offset_z
      - .offset:         192
        .size:           2
        .value_kind:     hidden_grid_dims
      - .offset:         248
        .size:           4
        .value_kind:     hidden_dynamic_lds_size
    .group_segment_fixed_size: 528
    .kernarg_segment_align: 8
    .kernarg_segment_size: 384
    .language:       OpenCL C
    .language_version:
      - 2
      - 0
    .max_flat_workgroup_size: 1024
    .name:           _ZN4vllm25paged_attention_v1_kernelIttLi256ELi16ELi128ELNS_18Fp8KVCacheDataTypeE0ELb0EEEvPT_PKS2_PKT0_S8_ifPKiSA_iPKfiiiSC_SC_iiiii
    .private_segment_fixed_size: 0
    .sgpr_count:     41
    .sgpr_spill_count: 0
    .symbol:         _ZN4vllm25paged_attention_v1_kernelIttLi256ELi16ELi128ELNS_18Fp8KVCacheDataTypeE0ELb0EEEvPT_PKS2_PKT0_S8_ifPKiSA_iPKfiiiSC_SC_iiiii.kd
    .uniform_work_group_size: 1
    .uses_dynamic_stack: false
    .vgpr_count:     61
    .vgpr_spill_count: 0
    .wavefront_size: 64
  - .agpr_count:     0
    .args:
      - .actual_access:  write_only
        .address_space:  global
        .offset:         0
        .size:           8
        .value_kind:     global_buffer
      - .actual_access:  read_only
        .address_space:  global
        .offset:         8
        .size:           8
        .value_kind:     global_buffer
      - .actual_access:  read_only
        .address_space:  global
        .offset:         16
        .size:           8
        .value_kind:     global_buffer
      - .actual_access:  read_only
        .address_space:  global
        .offset:         24
        .size:           8
        .value_kind:     global_buffer
      - .offset:         32
        .size:           4
        .value_kind:     by_value
      - .offset:         36
        .size:           4
        .value_kind:     by_value
      - .actual_access:  read_only
        .address_space:  global
        .offset:         40
        .size:           8
        .value_kind:     global_buffer
      - .actual_access:  read_only
        .address_space:  global
        .offset:         48
        .size:           8
        .value_kind:     global_buffer
      - .offset:         56
        .size:           4
        .value_kind:     by_value
      - .actual_access:  read_only
        .address_space:  global
        .offset:         64
        .size:           8
        .value_kind:     global_buffer
      - .offset:         72
        .size:           4
        .value_kind:     by_value
      - .offset:         76
        .size:           4
        .value_kind:     by_value
      - .offset:         80
        .size:           4
        .value_kind:     by_value
      - .address_space:  global
        .offset:         88
        .size:           8
        .value_kind:     global_buffer
      - .address_space:  global
        .offset:         96
        .size:           8
        .value_kind:     global_buffer
      - .offset:         104
        .size:           4
        .value_kind:     by_value
      - .offset:         108
        .size:           4
        .value_kind:     by_value
      - .offset:         112
        .size:           4
        .value_kind:     by_value
      - .offset:         116
        .size:           4
        .value_kind:     by_value
      - .offset:         120
        .size:           4
        .value_kind:     by_value
      - .offset:         128
        .size:           4
        .value_kind:     hidden_block_count_x
      - .offset:         132
        .size:           4
        .value_kind:     hidden_block_count_y
      - .offset:         136
        .size:           4
        .value_kind:     hidden_block_count_z
      - .offset:         140
        .size:           2
        .value_kind:     hidden_group_size_x
      - .offset:         142
        .size:           2
        .value_kind:     hidden_group_size_y
      - .offset:         144
        .size:           2
        .value_kind:     hidden_group_size_z
      - .offset:         146
        .size:           2
        .value_kind:     hidden_remainder_x
      - .offset:         148
        .size:           2
        .value_kind:     hidden_remainder_y
      - .offset:         150
        .size:           2
        .value_kind:     hidden_remainder_z
      - .offset:         168
        .size:           8
        .value_kind:     hidden_global_offset_x
      - .offset:         176
        .size:           8
        .value_kind:     hidden_global_offset_y
      - .offset:         184
        .size:           8
        .value_kind:     hidden_global_offset_z
      - .offset:         192
        .size:           2
        .value_kind:     hidden_grid_dims
      - .offset:         248
        .size:           4
        .value_kind:     hidden_dynamic_lds_size
    .group_segment_fixed_size: 80
    .kernarg_segment_align: 8
    .kernarg_segment_size: 384
    .language:       OpenCL C
    .language_version:
      - 2
      - 0
    .max_flat_workgroup_size: 1024
    .name:           _ZN4vllm25paged_attention_v1_kernelIttLi32ELi32ELi128ELNS_18Fp8KVCacheDataTypeE0ELb1EEEvPT_PKS2_PKT0_S8_ifPKiSA_iPKfiiiSC_SC_iiiii
    .private_segment_fixed_size: 0
    .sgpr_count:     50
    .sgpr_spill_count: 0
    .symbol:         _ZN4vllm25paged_attention_v1_kernelIttLi32ELi32ELi128ELNS_18Fp8KVCacheDataTypeE0ELb1EEEvPT_PKS2_PKT0_S8_ifPKiSA_iPKfiiiSC_SC_iiiii.kd
    .uniform_work_group_size: 1
    .uses_dynamic_stack: false
    .vgpr_count:     49
    .vgpr_spill_count: 0
    .wavefront_size: 64
  - .agpr_count:     0
    .args:
      - .actual_access:  write_only
        .address_space:  global
        .offset:         0
        .size:           8
        .value_kind:     global_buffer
      - .actual_access:  read_only
        .address_space:  global
        .offset:         8
        .size:           8
        .value_kind:     global_buffer
      - .actual_access:  read_only
        .address_space:  global
        .offset:         16
        .size:           8
        .value_kind:     global_buffer
      - .actual_access:  read_only
        .address_space:  global
        .offset:         24
        .size:           8
        .value_kind:     global_buffer
      - .offset:         32
        .size:           4
        .value_kind:     by_value
      - .offset:         36
        .size:           4
        .value_kind:     by_value
      - .actual_access:  read_only
        .address_space:  global
        .offset:         40
        .size:           8
        .value_kind:     global_buffer
      - .actual_access:  read_only
        .address_space:  global
        .offset:         48
        .size:           8
        .value_kind:     global_buffer
      - .offset:         56
        .size:           4
        .value_kind:     by_value
      - .actual_access:  read_only
        .address_space:  global
        .offset:         64
        .size:           8
        .value_kind:     global_buffer
      - .offset:         72
        .size:           4
        .value_kind:     by_value
      - .offset:         76
        .size:           4
        .value_kind:     by_value
      - .offset:         80
        .size:           4
        .value_kind:     by_value
      - .address_space:  global
        .offset:         88
        .size:           8
        .value_kind:     global_buffer
      - .address_space:  global
        .offset:         96
        .size:           8
        .value_kind:     global_buffer
      - .offset:         104
        .size:           4
        .value_kind:     by_value
      - .offset:         108
        .size:           4
        .value_kind:     by_value
      - .offset:         112
        .size:           4
        .value_kind:     by_value
      - .offset:         116
        .size:           4
        .value_kind:     by_value
      - .offset:         120
        .size:           4
        .value_kind:     by_value
      - .offset:         128
        .size:           4
        .value_kind:     hidden_block_count_x
      - .offset:         132
        .size:           4
        .value_kind:     hidden_block_count_y
      - .offset:         136
        .size:           4
        .value_kind:     hidden_block_count_z
      - .offset:         140
        .size:           2
        .value_kind:     hidden_group_size_x
      - .offset:         142
        .size:           2
        .value_kind:     hidden_group_size_y
      - .offset:         144
        .size:           2
        .value_kind:     hidden_group_size_z
      - .offset:         146
        .size:           2
        .value_kind:     hidden_remainder_x
      - .offset:         148
        .size:           2
        .value_kind:     hidden_remainder_y
      - .offset:         150
        .size:           2
        .value_kind:     hidden_remainder_z
      - .offset:         168
        .size:           8
        .value_kind:     hidden_global_offset_x
      - .offset:         176
        .size:           8
        .value_kind:     hidden_global_offset_y
      - .offset:         184
        .size:           8
        .value_kind:     hidden_global_offset_z
      - .offset:         192
        .size:           2
        .value_kind:     hidden_grid_dims
      - .offset:         248
        .size:           4
        .value_kind:     hidden_dynamic_lds_size
    .group_segment_fixed_size: 144
    .kernarg_segment_align: 8
    .kernarg_segment_size: 384
    .language:       OpenCL C
    .language_version:
      - 2
      - 0
    .max_flat_workgroup_size: 1024
    .name:           _ZN4vllm25paged_attention_v1_kernelIttLi64ELi32ELi128ELNS_18Fp8KVCacheDataTypeE0ELb1EEEvPT_PKS2_PKT0_S8_ifPKiSA_iPKfiiiSC_SC_iiiii
    .private_segment_fixed_size: 0
    .sgpr_count:     54
    .sgpr_spill_count: 0
    .symbol:         _ZN4vllm25paged_attention_v1_kernelIttLi64ELi32ELi128ELNS_18Fp8KVCacheDataTypeE0ELb1EEEvPT_PKS2_PKT0_S8_ifPKiSA_iPKfiiiSC_SC_iiiii.kd
    .uniform_work_group_size: 1
    .uses_dynamic_stack: false
    .vgpr_count:     65
    .vgpr_spill_count: 0
    .wavefront_size: 64
  - .agpr_count:     0
    .args:
      - .actual_access:  write_only
        .address_space:  global
        .offset:         0
        .size:           8
        .value_kind:     global_buffer
      - .actual_access:  read_only
        .address_space:  global
        .offset:         8
        .size:           8
        .value_kind:     global_buffer
      - .actual_access:  read_only
        .address_space:  global
        .offset:         16
        .size:           8
        .value_kind:     global_buffer
      - .actual_access:  read_only
        .address_space:  global
        .offset:         24
        .size:           8
        .value_kind:     global_buffer
      - .offset:         32
        .size:           4
        .value_kind:     by_value
      - .offset:         36
        .size:           4
        .value_kind:     by_value
      - .actual_access:  read_only
        .address_space:  global
        .offset:         40
        .size:           8
        .value_kind:     global_buffer
      - .actual_access:  read_only
        .address_space:  global
        .offset:         48
        .size:           8
        .value_kind:     global_buffer
      - .offset:         56
        .size:           4
        .value_kind:     by_value
      - .actual_access:  read_only
        .address_space:  global
        .offset:         64
        .size:           8
        .value_kind:     global_buffer
      - .offset:         72
        .size:           4
        .value_kind:     by_value
      - .offset:         76
        .size:           4
        .value_kind:     by_value
      - .offset:         80
        .size:           4
        .value_kind:     by_value
      - .address_space:  global
        .offset:         88
        .size:           8
        .value_kind:     global_buffer
      - .address_space:  global
        .offset:         96
        .size:           8
        .value_kind:     global_buffer
      - .offset:         104
        .size:           4
        .value_kind:     by_value
      - .offset:         108
        .size:           4
        .value_kind:     by_value
      - .offset:         112
        .size:           4
        .value_kind:     by_value
      - .offset:         116
        .size:           4
        .value_kind:     by_value
      - .offset:         120
        .size:           4
        .value_kind:     by_value
      - .offset:         128
        .size:           4
        .value_kind:     hidden_block_count_x
      - .offset:         132
        .size:           4
        .value_kind:     hidden_block_count_y
      - .offset:         136
        .size:           4
        .value_kind:     hidden_block_count_z
      - .offset:         140
        .size:           2
        .value_kind:     hidden_group_size_x
      - .offset:         142
        .size:           2
        .value_kind:     hidden_group_size_y
      - .offset:         144
        .size:           2
        .value_kind:     hidden_group_size_z
      - .offset:         146
        .size:           2
        .value_kind:     hidden_remainder_x
      - .offset:         148
        .size:           2
        .value_kind:     hidden_remainder_y
      - .offset:         150
        .size:           2
        .value_kind:     hidden_remainder_z
      - .offset:         168
        .size:           8
        .value_kind:     hidden_global_offset_x
      - .offset:         176
        .size:           8
        .value_kind:     hidden_global_offset_y
      - .offset:         184
        .size:           8
        .value_kind:     hidden_global_offset_z
      - .offset:         192
        .size:           2
        .value_kind:     hidden_grid_dims
      - .offset:         248
        .size:           4
        .value_kind:     hidden_dynamic_lds_size
    .group_segment_fixed_size: 176
    .kernarg_segment_align: 8
    .kernarg_segment_size: 384
    .language:       OpenCL C
    .language_version:
      - 2
      - 0
    .max_flat_workgroup_size: 1024
    .name:           _ZN4vllm25paged_attention_v1_kernelIttLi80ELi32ELi128ELNS_18Fp8KVCacheDataTypeE0ELb1EEEvPT_PKS2_PKT0_S8_ifPKiSA_iPKfiiiSC_SC_iiiii
    .private_segment_fixed_size: 0
    .sgpr_count:     54
    .sgpr_spill_count: 0
    .symbol:         _ZN4vllm25paged_attention_v1_kernelIttLi80ELi32ELi128ELNS_18Fp8KVCacheDataTypeE0ELb1EEEvPT_PKS2_PKT0_S8_ifPKiSA_iPKfiiiSC_SC_iiiii.kd
    .uniform_work_group_size: 1
    .uses_dynamic_stack: false
    .vgpr_count:     71
    .vgpr_spill_count: 0
    .wavefront_size: 64
  - .agpr_count:     0
    .args:
      - .actual_access:  write_only
        .address_space:  global
        .offset:         0
        .size:           8
        .value_kind:     global_buffer
      - .actual_access:  read_only
        .address_space:  global
        .offset:         8
        .size:           8
        .value_kind:     global_buffer
      - .actual_access:  read_only
        .address_space:  global
        .offset:         16
        .size:           8
        .value_kind:     global_buffer
      - .actual_access:  read_only
        .address_space:  global
        .offset:         24
        .size:           8
        .value_kind:     global_buffer
      - .offset:         32
        .size:           4
        .value_kind:     by_value
      - .offset:         36
        .size:           4
        .value_kind:     by_value
      - .actual_access:  read_only
        .address_space:  global
        .offset:         40
        .size:           8
        .value_kind:     global_buffer
      - .actual_access:  read_only
        .address_space:  global
        .offset:         48
        .size:           8
        .value_kind:     global_buffer
      - .offset:         56
        .size:           4
        .value_kind:     by_value
      - .actual_access:  read_only
        .address_space:  global
        .offset:         64
        .size:           8
        .value_kind:     global_buffer
      - .offset:         72
        .size:           4
        .value_kind:     by_value
      - .offset:         76
        .size:           4
        .value_kind:     by_value
      - .offset:         80
        .size:           4
        .value_kind:     by_value
      - .address_space:  global
        .offset:         88
        .size:           8
        .value_kind:     global_buffer
      - .address_space:  global
        .offset:         96
        .size:           8
        .value_kind:     global_buffer
      - .offset:         104
        .size:           4
        .value_kind:     by_value
      - .offset:         108
        .size:           4
        .value_kind:     by_value
      - .offset:         112
        .size:           4
        .value_kind:     by_value
      - .offset:         116
        .size:           4
        .value_kind:     by_value
      - .offset:         120
        .size:           4
        .value_kind:     by_value
      - .offset:         128
        .size:           4
        .value_kind:     hidden_block_count_x
      - .offset:         132
        .size:           4
        .value_kind:     hidden_block_count_y
      - .offset:         136
        .size:           4
        .value_kind:     hidden_block_count_z
      - .offset:         140
        .size:           2
        .value_kind:     hidden_group_size_x
      - .offset:         142
        .size:           2
        .value_kind:     hidden_group_size_y
      - .offset:         144
        .size:           2
        .value_kind:     hidden_group_size_z
      - .offset:         146
        .size:           2
        .value_kind:     hidden_remainder_x
      - .offset:         148
        .size:           2
        .value_kind:     hidden_remainder_y
      - .offset:         150
        .size:           2
        .value_kind:     hidden_remainder_z
      - .offset:         168
        .size:           8
        .value_kind:     hidden_global_offset_x
      - .offset:         176
        .size:           8
        .value_kind:     hidden_global_offset_y
      - .offset:         184
        .size:           8
        .value_kind:     hidden_global_offset_z
      - .offset:         192
        .size:           2
        .value_kind:     hidden_grid_dims
      - .offset:         248
        .size:           4
        .value_kind:     hidden_dynamic_lds_size
    .group_segment_fixed_size: 208
    .kernarg_segment_align: 8
    .kernarg_segment_size: 384
    .language:       OpenCL C
    .language_version:
      - 2
      - 0
    .max_flat_workgroup_size: 1024
    .name:           _ZN4vllm25paged_attention_v1_kernelIttLi96ELi32ELi128ELNS_18Fp8KVCacheDataTypeE0ELb1EEEvPT_PKS2_PKT0_S8_ifPKiSA_iPKfiiiSC_SC_iiiii
    .private_segment_fixed_size: 0
    .sgpr_count:     54
    .sgpr_spill_count: 0
    .symbol:         _ZN4vllm25paged_attention_v1_kernelIttLi96ELi32ELi128ELNS_18Fp8KVCacheDataTypeE0ELb1EEEvPT_PKS2_PKT0_S8_ifPKiSA_iPKfiiiSC_SC_iiiii.kd
    .uniform_work_group_size: 1
    .uses_dynamic_stack: false
    .vgpr_count:     75
    .vgpr_spill_count: 0
    .wavefront_size: 64
  - .agpr_count:     0
    .args:
      - .actual_access:  write_only
        .address_space:  global
        .offset:         0
        .size:           8
        .value_kind:     global_buffer
      - .actual_access:  read_only
        .address_space:  global
        .offset:         8
        .size:           8
        .value_kind:     global_buffer
      - .actual_access:  read_only
        .address_space:  global
        .offset:         16
        .size:           8
        .value_kind:     global_buffer
      - .actual_access:  read_only
        .address_space:  global
        .offset:         24
        .size:           8
        .value_kind:     global_buffer
      - .offset:         32
        .size:           4
        .value_kind:     by_value
      - .offset:         36
        .size:           4
        .value_kind:     by_value
      - .actual_access:  read_only
        .address_space:  global
        .offset:         40
        .size:           8
        .value_kind:     global_buffer
      - .actual_access:  read_only
        .address_space:  global
        .offset:         48
        .size:           8
        .value_kind:     global_buffer
      - .offset:         56
        .size:           4
        .value_kind:     by_value
      - .actual_access:  read_only
        .address_space:  global
        .offset:         64
        .size:           8
        .value_kind:     global_buffer
      - .offset:         72
        .size:           4
        .value_kind:     by_value
      - .offset:         76
        .size:           4
        .value_kind:     by_value
      - .offset:         80
        .size:           4
        .value_kind:     by_value
      - .address_space:  global
        .offset:         88
        .size:           8
        .value_kind:     global_buffer
      - .address_space:  global
        .offset:         96
        .size:           8
        .value_kind:     global_buffer
      - .offset:         104
        .size:           4
        .value_kind:     by_value
      - .offset:         108
        .size:           4
        .value_kind:     by_value
      - .offset:         112
        .size:           4
        .value_kind:     by_value
      - .offset:         116
        .size:           4
        .value_kind:     by_value
      - .offset:         120
        .size:           4
        .value_kind:     by_value
      - .offset:         128
        .size:           4
        .value_kind:     hidden_block_count_x
      - .offset:         132
        .size:           4
        .value_kind:     hidden_block_count_y
      - .offset:         136
        .size:           4
        .value_kind:     hidden_block_count_z
      - .offset:         140
        .size:           2
        .value_kind:     hidden_group_size_x
      - .offset:         142
        .size:           2
        .value_kind:     hidden_group_size_y
      - .offset:         144
        .size:           2
        .value_kind:     hidden_group_size_z
      - .offset:         146
        .size:           2
        .value_kind:     hidden_remainder_x
      - .offset:         148
        .size:           2
        .value_kind:     hidden_remainder_y
      - .offset:         150
        .size:           2
        .value_kind:     hidden_remainder_z
      - .offset:         168
        .size:           8
        .value_kind:     hidden_global_offset_x
      - .offset:         176
        .size:           8
        .value_kind:     hidden_global_offset_y
      - .offset:         184
        .size:           8
        .value_kind:     hidden_global_offset_z
      - .offset:         192
        .size:           2
        .value_kind:     hidden_grid_dims
      - .offset:         248
        .size:           4
        .value_kind:     hidden_dynamic_lds_size
    .group_segment_fixed_size: 240
    .kernarg_segment_align: 8
    .kernarg_segment_size: 384
    .language:       OpenCL C
    .language_version:
      - 2
      - 0
    .max_flat_workgroup_size: 1024
    .name:           _ZN4vllm25paged_attention_v1_kernelIttLi112ELi32ELi128ELNS_18Fp8KVCacheDataTypeE0ELb1EEEvPT_PKS2_PKT0_S8_ifPKiSA_iPKfiiiSC_SC_iiiii
    .private_segment_fixed_size: 0
    .sgpr_count:     54
    .sgpr_spill_count: 0
    .symbol:         _ZN4vllm25paged_attention_v1_kernelIttLi112ELi32ELi128ELNS_18Fp8KVCacheDataTypeE0ELb1EEEvPT_PKS2_PKT0_S8_ifPKiSA_iPKfiiiSC_SC_iiiii.kd
    .uniform_work_group_size: 1
    .uses_dynamic_stack: false
    .vgpr_count:     80
    .vgpr_spill_count: 0
    .wavefront_size: 64
  - .agpr_count:     0
    .args:
      - .actual_access:  write_only
        .address_space:  global
        .offset:         0
        .size:           8
        .value_kind:     global_buffer
      - .actual_access:  read_only
        .address_space:  global
        .offset:         8
        .size:           8
        .value_kind:     global_buffer
      - .actual_access:  read_only
        .address_space:  global
        .offset:         16
        .size:           8
        .value_kind:     global_buffer
      - .actual_access:  read_only
        .address_space:  global
        .offset:         24
        .size:           8
        .value_kind:     global_buffer
      - .offset:         32
        .size:           4
        .value_kind:     by_value
      - .offset:         36
        .size:           4
        .value_kind:     by_value
      - .actual_access:  read_only
        .address_space:  global
        .offset:         40
        .size:           8
        .value_kind:     global_buffer
      - .actual_access:  read_only
        .address_space:  global
        .offset:         48
        .size:           8
        .value_kind:     global_buffer
      - .offset:         56
        .size:           4
        .value_kind:     by_value
      - .actual_access:  read_only
        .address_space:  global
        .offset:         64
        .size:           8
        .value_kind:     global_buffer
      - .offset:         72
        .size:           4
        .value_kind:     by_value
      - .offset:         76
        .size:           4
        .value_kind:     by_value
      - .offset:         80
        .size:           4
        .value_kind:     by_value
      - .address_space:  global
        .offset:         88
        .size:           8
        .value_kind:     global_buffer
      - .address_space:  global
        .offset:         96
        .size:           8
        .value_kind:     global_buffer
      - .offset:         104
        .size:           4
        .value_kind:     by_value
      - .offset:         108
        .size:           4
        .value_kind:     by_value
      - .offset:         112
        .size:           4
        .value_kind:     by_value
      - .offset:         116
        .size:           4
        .value_kind:     by_value
      - .offset:         120
        .size:           4
        .value_kind:     by_value
      - .offset:         128
        .size:           4
        .value_kind:     hidden_block_count_x
      - .offset:         132
        .size:           4
        .value_kind:     hidden_block_count_y
      - .offset:         136
        .size:           4
        .value_kind:     hidden_block_count_z
      - .offset:         140
        .size:           2
        .value_kind:     hidden_group_size_x
      - .offset:         142
        .size:           2
        .value_kind:     hidden_group_size_y
      - .offset:         144
        .size:           2
        .value_kind:     hidden_group_size_z
      - .offset:         146
        .size:           2
        .value_kind:     hidden_remainder_x
      - .offset:         148
        .size:           2
        .value_kind:     hidden_remainder_y
      - .offset:         150
        .size:           2
        .value_kind:     hidden_remainder_z
      - .offset:         168
        .size:           8
        .value_kind:     hidden_global_offset_x
      - .offset:         176
        .size:           8
        .value_kind:     hidden_global_offset_y
      - .offset:         184
        .size:           8
        .value_kind:     hidden_global_offset_z
      - .offset:         192
        .size:           2
        .value_kind:     hidden_grid_dims
      - .offset:         248
        .size:           4
        .value_kind:     hidden_dynamic_lds_size
    .group_segment_fixed_size: 256
    .kernarg_segment_align: 8
    .kernarg_segment_size: 384
    .language:       OpenCL C
    .language_version:
      - 2
      - 0
    .max_flat_workgroup_size: 1024
    .name:           _ZN4vllm25paged_attention_v1_kernelIttLi120ELi32ELi128ELNS_18Fp8KVCacheDataTypeE0ELb1EEEvPT_PKS2_PKT0_S8_ifPKiSA_iPKfiiiSC_SC_iiiii
    .private_segment_fixed_size: 0
    .sgpr_count:     54
    .sgpr_spill_count: 0
    .symbol:         _ZN4vllm25paged_attention_v1_kernelIttLi120ELi32ELi128ELNS_18Fp8KVCacheDataTypeE0ELb1EEEvPT_PKS2_PKT0_S8_ifPKiSA_iPKfiiiSC_SC_iiiii.kd
    .uniform_work_group_size: 1
    .uses_dynamic_stack: false
    .vgpr_count:     80
    .vgpr_spill_count: 0
    .wavefront_size: 64
  - .agpr_count:     0
    .args:
      - .actual_access:  write_only
        .address_space:  global
        .offset:         0
        .size:           8
        .value_kind:     global_buffer
      - .actual_access:  read_only
        .address_space:  global
        .offset:         8
        .size:           8
        .value_kind:     global_buffer
      - .actual_access:  read_only
        .address_space:  global
        .offset:         16
        .size:           8
        .value_kind:     global_buffer
      - .actual_access:  read_only
        .address_space:  global
        .offset:         24
        .size:           8
        .value_kind:     global_buffer
      - .offset:         32
        .size:           4
        .value_kind:     by_value
      - .offset:         36
        .size:           4
        .value_kind:     by_value
      - .actual_access:  read_only
        .address_space:  global
        .offset:         40
        .size:           8
        .value_kind:     global_buffer
      - .actual_access:  read_only
        .address_space:  global
        .offset:         48
        .size:           8
        .value_kind:     global_buffer
      - .offset:         56
        .size:           4
        .value_kind:     by_value
      - .actual_access:  read_only
        .address_space:  global
        .offset:         64
        .size:           8
        .value_kind:     global_buffer
      - .offset:         72
        .size:           4
        .value_kind:     by_value
      - .offset:         76
        .size:           4
        .value_kind:     by_value
      - .offset:         80
        .size:           4
        .value_kind:     by_value
      - .address_space:  global
        .offset:         88
        .size:           8
        .value_kind:     global_buffer
      - .address_space:  global
        .offset:         96
        .size:           8
        .value_kind:     global_buffer
      - .offset:         104
        .size:           4
        .value_kind:     by_value
      - .offset:         108
        .size:           4
        .value_kind:     by_value
      - .offset:         112
        .size:           4
        .value_kind:     by_value
      - .offset:         116
        .size:           4
        .value_kind:     by_value
      - .offset:         120
        .size:           4
        .value_kind:     by_value
      - .offset:         128
        .size:           4
        .value_kind:     hidden_block_count_x
      - .offset:         132
        .size:           4
        .value_kind:     hidden_block_count_y
      - .offset:         136
        .size:           4
        .value_kind:     hidden_block_count_z
      - .offset:         140
        .size:           2
        .value_kind:     hidden_group_size_x
      - .offset:         142
        .size:           2
        .value_kind:     hidden_group_size_y
      - .offset:         144
        .size:           2
        .value_kind:     hidden_group_size_z
      - .offset:         146
        .size:           2
        .value_kind:     hidden_remainder_x
      - .offset:         148
        .size:           2
        .value_kind:     hidden_remainder_y
      - .offset:         150
        .size:           2
        .value_kind:     hidden_remainder_z
      - .offset:         168
        .size:           8
        .value_kind:     hidden_global_offset_x
      - .offset:         176
        .size:           8
        .value_kind:     hidden_global_offset_y
      - .offset:         184
        .size:           8
        .value_kind:     hidden_global_offset_z
      - .offset:         192
        .size:           2
        .value_kind:     hidden_grid_dims
      - .offset:         248
        .size:           4
        .value_kind:     hidden_dynamic_lds_size
    .group_segment_fixed_size: 272
    .kernarg_segment_align: 8
    .kernarg_segment_size: 384
    .language:       OpenCL C
    .language_version:
      - 2
      - 0
    .max_flat_workgroup_size: 1024
    .name:           _ZN4vllm25paged_attention_v1_kernelIttLi128ELi32ELi128ELNS_18Fp8KVCacheDataTypeE0ELb1EEEvPT_PKS2_PKT0_S8_ifPKiSA_iPKfiiiSC_SC_iiiii
    .private_segment_fixed_size: 0
    .sgpr_count:     54
    .sgpr_spill_count: 0
    .symbol:         _ZN4vllm25paged_attention_v1_kernelIttLi128ELi32ELi128ELNS_18Fp8KVCacheDataTypeE0ELb1EEEvPT_PKS2_PKT0_S8_ifPKiSA_iPKfiiiSC_SC_iiiii.kd
    .uniform_work_group_size: 1
    .uses_dynamic_stack: false
    .vgpr_count:     83
    .vgpr_spill_count: 0
    .wavefront_size: 64
  - .agpr_count:     0
    .args:
      - .actual_access:  write_only
        .address_space:  global
        .offset:         0
        .size:           8
        .value_kind:     global_buffer
      - .actual_access:  read_only
        .address_space:  global
        .offset:         8
        .size:           8
        .value_kind:     global_buffer
      - .actual_access:  read_only
        .address_space:  global
        .offset:         16
        .size:           8
        .value_kind:     global_buffer
      - .actual_access:  read_only
        .address_space:  global
        .offset:         24
        .size:           8
        .value_kind:     global_buffer
      - .offset:         32
        .size:           4
        .value_kind:     by_value
      - .offset:         36
        .size:           4
        .value_kind:     by_value
      - .actual_access:  read_only
        .address_space:  global
        .offset:         40
        .size:           8
        .value_kind:     global_buffer
      - .actual_access:  read_only
        .address_space:  global
        .offset:         48
        .size:           8
        .value_kind:     global_buffer
      - .offset:         56
        .size:           4
        .value_kind:     by_value
      - .actual_access:  read_only
        .address_space:  global
        .offset:         64
        .size:           8
        .value_kind:     global_buffer
      - .offset:         72
        .size:           4
        .value_kind:     by_value
      - .offset:         76
        .size:           4
        .value_kind:     by_value
      - .offset:         80
        .size:           4
        .value_kind:     by_value
      - .address_space:  global
        .offset:         88
        .size:           8
        .value_kind:     global_buffer
      - .address_space:  global
        .offset:         96
        .size:           8
        .value_kind:     global_buffer
      - .offset:         104
        .size:           4
        .value_kind:     by_value
      - .offset:         108
        .size:           4
        .value_kind:     by_value
      - .offset:         112
        .size:           4
        .value_kind:     by_value
      - .offset:         116
        .size:           4
        .value_kind:     by_value
      - .offset:         120
        .size:           4
        .value_kind:     by_value
      - .offset:         128
        .size:           4
        .value_kind:     hidden_block_count_x
      - .offset:         132
        .size:           4
        .value_kind:     hidden_block_count_y
      - .offset:         136
        .size:           4
        .value_kind:     hidden_block_count_z
      - .offset:         140
        .size:           2
        .value_kind:     hidden_group_size_x
      - .offset:         142
        .size:           2
        .value_kind:     hidden_group_size_y
      - .offset:         144
        .size:           2
        .value_kind:     hidden_group_size_z
      - .offset:         146
        .size:           2
        .value_kind:     hidden_remainder_x
      - .offset:         148
        .size:           2
        .value_kind:     hidden_remainder_y
      - .offset:         150
        .size:           2
        .value_kind:     hidden_remainder_z
      - .offset:         168
        .size:           8
        .value_kind:     hidden_global_offset_x
      - .offset:         176
        .size:           8
        .value_kind:     hidden_global_offset_y
      - .offset:         184
        .size:           8
        .value_kind:     hidden_global_offset_z
      - .offset:         192
        .size:           2
        .value_kind:     hidden_grid_dims
      - .offset:         248
        .size:           4
        .value_kind:     hidden_dynamic_lds_size
    .group_segment_fixed_size: 400
    .kernarg_segment_align: 8
    .kernarg_segment_size: 384
    .language:       OpenCL C
    .language_version:
      - 2
      - 0
    .max_flat_workgroup_size: 1024
    .name:           _ZN4vllm25paged_attention_v1_kernelIttLi192ELi32ELi128ELNS_18Fp8KVCacheDataTypeE0ELb1EEEvPT_PKS2_PKT0_S8_ifPKiSA_iPKfiiiSC_SC_iiiii
    .private_segment_fixed_size: 0
    .sgpr_count:     54
    .sgpr_spill_count: 0
    .symbol:         _ZN4vllm25paged_attention_v1_kernelIttLi192ELi32ELi128ELNS_18Fp8KVCacheDataTypeE0ELb1EEEvPT_PKS2_PKT0_S8_ifPKiSA_iPKfiiiSC_SC_iiiii.kd
    .uniform_work_group_size: 1
    .uses_dynamic_stack: false
    .vgpr_count:     98
    .vgpr_spill_count: 0
    .wavefront_size: 64
  - .agpr_count:     0
    .args:
      - .actual_access:  write_only
        .address_space:  global
        .offset:         0
        .size:           8
        .value_kind:     global_buffer
      - .actual_access:  read_only
        .address_space:  global
        .offset:         8
        .size:           8
        .value_kind:     global_buffer
      - .actual_access:  read_only
        .address_space:  global
        .offset:         16
        .size:           8
        .value_kind:     global_buffer
      - .actual_access:  read_only
        .address_space:  global
        .offset:         24
        .size:           8
        .value_kind:     global_buffer
      - .offset:         32
        .size:           4
        .value_kind:     by_value
      - .offset:         36
        .size:           4
        .value_kind:     by_value
      - .actual_access:  read_only
        .address_space:  global
        .offset:         40
        .size:           8
        .value_kind:     global_buffer
      - .actual_access:  read_only
        .address_space:  global
        .offset:         48
        .size:           8
        .value_kind:     global_buffer
      - .offset:         56
        .size:           4
        .value_kind:     by_value
      - .actual_access:  read_only
        .address_space:  global
        .offset:         64
        .size:           8
        .value_kind:     global_buffer
      - .offset:         72
        .size:           4
        .value_kind:     by_value
      - .offset:         76
        .size:           4
        .value_kind:     by_value
      - .offset:         80
        .size:           4
        .value_kind:     by_value
      - .address_space:  global
        .offset:         88
        .size:           8
        .value_kind:     global_buffer
      - .address_space:  global
        .offset:         96
        .size:           8
        .value_kind:     global_buffer
      - .offset:         104
        .size:           4
        .value_kind:     by_value
      - .offset:         108
        .size:           4
        .value_kind:     by_value
      - .offset:         112
        .size:           4
        .value_kind:     by_value
      - .offset:         116
        .size:           4
        .value_kind:     by_value
      - .offset:         120
        .size:           4
        .value_kind:     by_value
      - .offset:         128
        .size:           4
        .value_kind:     hidden_block_count_x
      - .offset:         132
        .size:           4
        .value_kind:     hidden_block_count_y
      - .offset:         136
        .size:           4
        .value_kind:     hidden_block_count_z
      - .offset:         140
        .size:           2
        .value_kind:     hidden_group_size_x
      - .offset:         142
        .size:           2
        .value_kind:     hidden_group_size_y
      - .offset:         144
        .size:           2
        .value_kind:     hidden_group_size_z
      - .offset:         146
        .size:           2
        .value_kind:     hidden_remainder_x
      - .offset:         148
        .size:           2
        .value_kind:     hidden_remainder_y
      - .offset:         150
        .size:           2
        .value_kind:     hidden_remainder_z
      - .offset:         168
        .size:           8
        .value_kind:     hidden_global_offset_x
      - .offset:         176
        .size:           8
        .value_kind:     hidden_global_offset_y
      - .offset:         184
        .size:           8
        .value_kind:     hidden_global_offset_z
      - .offset:         192
        .size:           2
        .value_kind:     hidden_grid_dims
      - .offset:         248
        .size:           4
        .value_kind:     hidden_dynamic_lds_size
    .group_segment_fixed_size: 528
    .kernarg_segment_align: 8
    .kernarg_segment_size: 384
    .language:       OpenCL C
    .language_version:
      - 2
      - 0
    .max_flat_workgroup_size: 1024
    .name:           _ZN4vllm25paged_attention_v1_kernelIttLi256ELi32ELi128ELNS_18Fp8KVCacheDataTypeE0ELb1EEEvPT_PKS2_PKT0_S8_ifPKiSA_iPKfiiiSC_SC_iiiii
    .private_segment_fixed_size: 0
    .sgpr_count:     58
    .sgpr_spill_count: 0
    .symbol:         _ZN4vllm25paged_attention_v1_kernelIttLi256ELi32ELi128ELNS_18Fp8KVCacheDataTypeE0ELb1EEEvPT_PKS2_PKT0_S8_ifPKiSA_iPKfiiiSC_SC_iiiii.kd
    .uniform_work_group_size: 1
    .uses_dynamic_stack: false
    .vgpr_count:     112
    .vgpr_spill_count: 0
    .wavefront_size: 64
  - .agpr_count:     0
    .args:
      - .actual_access:  write_only
        .address_space:  global
        .offset:         0
        .size:           8
        .value_kind:     global_buffer
      - .actual_access:  read_only
        .address_space:  global
        .offset:         8
        .size:           8
        .value_kind:     global_buffer
      - .actual_access:  read_only
        .address_space:  global
        .offset:         16
        .size:           8
        .value_kind:     global_buffer
      - .actual_access:  read_only
        .address_space:  global
        .offset:         24
        .size:           8
        .value_kind:     global_buffer
      - .offset:         32
        .size:           4
        .value_kind:     by_value
      - .offset:         36
        .size:           4
        .value_kind:     by_value
      - .actual_access:  read_only
        .address_space:  global
        .offset:         40
        .size:           8
        .value_kind:     global_buffer
      - .actual_access:  read_only
        .address_space:  global
        .offset:         48
        .size:           8
        .value_kind:     global_buffer
      - .offset:         56
        .size:           4
        .value_kind:     by_value
      - .actual_access:  read_only
        .address_space:  global
        .offset:         64
        .size:           8
        .value_kind:     global_buffer
      - .offset:         72
        .size:           4
        .value_kind:     by_value
      - .offset:         76
        .size:           4
        .value_kind:     by_value
      - .offset:         80
        .size:           4
        .value_kind:     by_value
      - .address_space:  global
        .offset:         88
        .size:           8
        .value_kind:     global_buffer
      - .address_space:  global
        .offset:         96
        .size:           8
        .value_kind:     global_buffer
      - .offset:         104
        .size:           4
        .value_kind:     by_value
      - .offset:         108
        .size:           4
        .value_kind:     by_value
      - .offset:         112
        .size:           4
        .value_kind:     by_value
      - .offset:         116
        .size:           4
        .value_kind:     by_value
      - .offset:         120
        .size:           4
        .value_kind:     by_value
      - .offset:         128
        .size:           4
        .value_kind:     hidden_block_count_x
      - .offset:         132
        .size:           4
        .value_kind:     hidden_block_count_y
      - .offset:         136
        .size:           4
        .value_kind:     hidden_block_count_z
      - .offset:         140
        .size:           2
        .value_kind:     hidden_group_size_x
      - .offset:         142
        .size:           2
        .value_kind:     hidden_group_size_y
      - .offset:         144
        .size:           2
        .value_kind:     hidden_group_size_z
      - .offset:         146
        .size:           2
        .value_kind:     hidden_remainder_x
      - .offset:         148
        .size:           2
        .value_kind:     hidden_remainder_y
      - .offset:         150
        .size:           2
        .value_kind:     hidden_remainder_z
      - .offset:         168
        .size:           8
        .value_kind:     hidden_global_offset_x
      - .offset:         176
        .size:           8
        .value_kind:     hidden_global_offset_y
      - .offset:         184
        .size:           8
        .value_kind:     hidden_global_offset_z
      - .offset:         192
        .size:           2
        .value_kind:     hidden_grid_dims
      - .offset:         248
        .size:           4
        .value_kind:     hidden_dynamic_lds_size
    .group_segment_fixed_size: 80
    .kernarg_segment_align: 8
    .kernarg_segment_size: 384
    .language:       OpenCL C
    .language_version:
      - 2
      - 0
    .max_flat_workgroup_size: 1024
    .name:           _ZN4vllm25paged_attention_v1_kernelIttLi32ELi32ELi128ELNS_18Fp8KVCacheDataTypeE0ELb0EEEvPT_PKS2_PKT0_S8_ifPKiSA_iPKfiiiSC_SC_iiiii
    .private_segment_fixed_size: 0
    .sgpr_count:     40
    .sgpr_spill_count: 0
    .symbol:         _ZN4vllm25paged_attention_v1_kernelIttLi32ELi32ELi128ELNS_18Fp8KVCacheDataTypeE0ELb0EEEvPT_PKS2_PKT0_S8_ifPKiSA_iPKfiiiSC_SC_iiiii.kd
    .uniform_work_group_size: 1
    .uses_dynamic_stack: false
    .vgpr_count:     43
    .vgpr_spill_count: 0
    .wavefront_size: 64
  - .agpr_count:     0
    .args:
      - .actual_access:  write_only
        .address_space:  global
        .offset:         0
        .size:           8
        .value_kind:     global_buffer
      - .actual_access:  read_only
        .address_space:  global
        .offset:         8
        .size:           8
        .value_kind:     global_buffer
      - .actual_access:  read_only
        .address_space:  global
        .offset:         16
        .size:           8
        .value_kind:     global_buffer
      - .actual_access:  read_only
        .address_space:  global
        .offset:         24
        .size:           8
        .value_kind:     global_buffer
      - .offset:         32
        .size:           4
        .value_kind:     by_value
      - .offset:         36
        .size:           4
        .value_kind:     by_value
      - .actual_access:  read_only
        .address_space:  global
        .offset:         40
        .size:           8
        .value_kind:     global_buffer
      - .actual_access:  read_only
        .address_space:  global
        .offset:         48
        .size:           8
        .value_kind:     global_buffer
      - .offset:         56
        .size:           4
        .value_kind:     by_value
      - .actual_access:  read_only
        .address_space:  global
        .offset:         64
        .size:           8
        .value_kind:     global_buffer
      - .offset:         72
        .size:           4
        .value_kind:     by_value
      - .offset:         76
        .size:           4
        .value_kind:     by_value
      - .offset:         80
        .size:           4
        .value_kind:     by_value
      - .address_space:  global
        .offset:         88
        .size:           8
        .value_kind:     global_buffer
      - .address_space:  global
        .offset:         96
        .size:           8
        .value_kind:     global_buffer
      - .offset:         104
        .size:           4
        .value_kind:     by_value
      - .offset:         108
        .size:           4
        .value_kind:     by_value
      - .offset:         112
        .size:           4
        .value_kind:     by_value
      - .offset:         116
        .size:           4
        .value_kind:     by_value
      - .offset:         120
        .size:           4
        .value_kind:     by_value
      - .offset:         128
        .size:           4
        .value_kind:     hidden_block_count_x
      - .offset:         132
        .size:           4
        .value_kind:     hidden_block_count_y
      - .offset:         136
        .size:           4
        .value_kind:     hidden_block_count_z
      - .offset:         140
        .size:           2
        .value_kind:     hidden_group_size_x
      - .offset:         142
        .size:           2
        .value_kind:     hidden_group_size_y
      - .offset:         144
        .size:           2
        .value_kind:     hidden_group_size_z
      - .offset:         146
        .size:           2
        .value_kind:     hidden_remainder_x
      - .offset:         148
        .size:           2
        .value_kind:     hidden_remainder_y
      - .offset:         150
        .size:           2
        .value_kind:     hidden_remainder_z
      - .offset:         168
        .size:           8
        .value_kind:     hidden_global_offset_x
      - .offset:         176
        .size:           8
        .value_kind:     hidden_global_offset_y
      - .offset:         184
        .size:           8
        .value_kind:     hidden_global_offset_z
      - .offset:         192
        .size:           2
        .value_kind:     hidden_grid_dims
      - .offset:         248
        .size:           4
        .value_kind:     hidden_dynamic_lds_size
    .group_segment_fixed_size: 144
    .kernarg_segment_align: 8
    .kernarg_segment_size: 384
    .language:       OpenCL C
    .language_version:
      - 2
      - 0
    .max_flat_workgroup_size: 1024
    .name:           _ZN4vllm25paged_attention_v1_kernelIttLi64ELi32ELi128ELNS_18Fp8KVCacheDataTypeE0ELb0EEEvPT_PKS2_PKT0_S8_ifPKiSA_iPKfiiiSC_SC_iiiii
    .private_segment_fixed_size: 0
    .sgpr_count:     40
    .sgpr_spill_count: 0
    .symbol:         _ZN4vllm25paged_attention_v1_kernelIttLi64ELi32ELi128ELNS_18Fp8KVCacheDataTypeE0ELb0EEEvPT_PKS2_PKT0_S8_ifPKiSA_iPKfiiiSC_SC_iiiii.kd
    .uniform_work_group_size: 1
    .uses_dynamic_stack: false
    .vgpr_count:     59
    .vgpr_spill_count: 0
    .wavefront_size: 64
  - .agpr_count:     0
    .args:
      - .actual_access:  write_only
        .address_space:  global
        .offset:         0
        .size:           8
        .value_kind:     global_buffer
      - .actual_access:  read_only
        .address_space:  global
        .offset:         8
        .size:           8
        .value_kind:     global_buffer
      - .actual_access:  read_only
        .address_space:  global
        .offset:         16
        .size:           8
        .value_kind:     global_buffer
      - .actual_access:  read_only
        .address_space:  global
        .offset:         24
        .size:           8
        .value_kind:     global_buffer
      - .offset:         32
        .size:           4
        .value_kind:     by_value
      - .offset:         36
        .size:           4
        .value_kind:     by_value
      - .actual_access:  read_only
        .address_space:  global
        .offset:         40
        .size:           8
        .value_kind:     global_buffer
      - .actual_access:  read_only
        .address_space:  global
        .offset:         48
        .size:           8
        .value_kind:     global_buffer
      - .offset:         56
        .size:           4
        .value_kind:     by_value
      - .actual_access:  read_only
        .address_space:  global
        .offset:         64
        .size:           8
        .value_kind:     global_buffer
      - .offset:         72
        .size:           4
        .value_kind:     by_value
      - .offset:         76
        .size:           4
        .value_kind:     by_value
      - .offset:         80
        .size:           4
        .value_kind:     by_value
      - .address_space:  global
        .offset:         88
        .size:           8
        .value_kind:     global_buffer
      - .address_space:  global
        .offset:         96
        .size:           8
        .value_kind:     global_buffer
      - .offset:         104
        .size:           4
        .value_kind:     by_value
      - .offset:         108
        .size:           4
        .value_kind:     by_value
      - .offset:         112
        .size:           4
        .value_kind:     by_value
      - .offset:         116
        .size:           4
        .value_kind:     by_value
      - .offset:         120
        .size:           4
        .value_kind:     by_value
      - .offset:         128
        .size:           4
        .value_kind:     hidden_block_count_x
      - .offset:         132
        .size:           4
        .value_kind:     hidden_block_count_y
      - .offset:         136
        .size:           4
        .value_kind:     hidden_block_count_z
      - .offset:         140
        .size:           2
        .value_kind:     hidden_group_size_x
      - .offset:         142
        .size:           2
        .value_kind:     hidden_group_size_y
      - .offset:         144
        .size:           2
        .value_kind:     hidden_group_size_z
      - .offset:         146
        .size:           2
        .value_kind:     hidden_remainder_x
      - .offset:         148
        .size:           2
        .value_kind:     hidden_remainder_y
      - .offset:         150
        .size:           2
        .value_kind:     hidden_remainder_z
      - .offset:         168
        .size:           8
        .value_kind:     hidden_global_offset_x
      - .offset:         176
        .size:           8
        .value_kind:     hidden_global_offset_y
      - .offset:         184
        .size:           8
        .value_kind:     hidden_global_offset_z
      - .offset:         192
        .size:           2
        .value_kind:     hidden_grid_dims
      - .offset:         248
        .size:           4
        .value_kind:     hidden_dynamic_lds_size
    .group_segment_fixed_size: 176
    .kernarg_segment_align: 8
    .kernarg_segment_size: 384
    .language:       OpenCL C
    .language_version:
      - 2
      - 0
    .max_flat_workgroup_size: 1024
    .name:           _ZN4vllm25paged_attention_v1_kernelIttLi80ELi32ELi128ELNS_18Fp8KVCacheDataTypeE0ELb0EEEvPT_PKS2_PKT0_S8_ifPKiSA_iPKfiiiSC_SC_iiiii
    .private_segment_fixed_size: 0
    .sgpr_count:     41
    .sgpr_spill_count: 0
    .symbol:         _ZN4vllm25paged_attention_v1_kernelIttLi80ELi32ELi128ELNS_18Fp8KVCacheDataTypeE0ELb0EEEvPT_PKS2_PKT0_S8_ifPKiSA_iPKfiiiSC_SC_iiiii.kd
    .uniform_work_group_size: 1
    .uses_dynamic_stack: false
    .vgpr_count:     65
    .vgpr_spill_count: 0
    .wavefront_size: 64
  - .agpr_count:     0
    .args:
      - .actual_access:  write_only
        .address_space:  global
        .offset:         0
        .size:           8
        .value_kind:     global_buffer
      - .actual_access:  read_only
        .address_space:  global
        .offset:         8
        .size:           8
        .value_kind:     global_buffer
      - .actual_access:  read_only
        .address_space:  global
        .offset:         16
        .size:           8
        .value_kind:     global_buffer
      - .actual_access:  read_only
        .address_space:  global
        .offset:         24
        .size:           8
        .value_kind:     global_buffer
      - .offset:         32
        .size:           4
        .value_kind:     by_value
      - .offset:         36
        .size:           4
        .value_kind:     by_value
      - .actual_access:  read_only
        .address_space:  global
        .offset:         40
        .size:           8
        .value_kind:     global_buffer
      - .actual_access:  read_only
        .address_space:  global
        .offset:         48
        .size:           8
        .value_kind:     global_buffer
      - .offset:         56
        .size:           4
        .value_kind:     by_value
      - .actual_access:  read_only
        .address_space:  global
        .offset:         64
        .size:           8
        .value_kind:     global_buffer
      - .offset:         72
        .size:           4
        .value_kind:     by_value
      - .offset:         76
        .size:           4
        .value_kind:     by_value
      - .offset:         80
        .size:           4
        .value_kind:     by_value
      - .address_space:  global
        .offset:         88
        .size:           8
        .value_kind:     global_buffer
      - .address_space:  global
        .offset:         96
        .size:           8
        .value_kind:     global_buffer
      - .offset:         104
        .size:           4
        .value_kind:     by_value
      - .offset:         108
        .size:           4
        .value_kind:     by_value
      - .offset:         112
        .size:           4
        .value_kind:     by_value
      - .offset:         116
        .size:           4
        .value_kind:     by_value
      - .offset:         120
        .size:           4
        .value_kind:     by_value
      - .offset:         128
        .size:           4
        .value_kind:     hidden_block_count_x
      - .offset:         132
        .size:           4
        .value_kind:     hidden_block_count_y
      - .offset:         136
        .size:           4
        .value_kind:     hidden_block_count_z
      - .offset:         140
        .size:           2
        .value_kind:     hidden_group_size_x
      - .offset:         142
        .size:           2
        .value_kind:     hidden_group_size_y
      - .offset:         144
        .size:           2
        .value_kind:     hidden_group_size_z
      - .offset:         146
        .size:           2
        .value_kind:     hidden_remainder_x
      - .offset:         148
        .size:           2
        .value_kind:     hidden_remainder_y
      - .offset:         150
        .size:           2
        .value_kind:     hidden_remainder_z
      - .offset:         168
        .size:           8
        .value_kind:     hidden_global_offset_x
      - .offset:         176
        .size:           8
        .value_kind:     hidden_global_offset_y
      - .offset:         184
        .size:           8
        .value_kind:     hidden_global_offset_z
      - .offset:         192
        .size:           2
        .value_kind:     hidden_grid_dims
      - .offset:         248
        .size:           4
        .value_kind:     hidden_dynamic_lds_size
    .group_segment_fixed_size: 208
    .kernarg_segment_align: 8
    .kernarg_segment_size: 384
    .language:       OpenCL C
    .language_version:
      - 2
      - 0
    .max_flat_workgroup_size: 1024
    .name:           _ZN4vllm25paged_attention_v1_kernelIttLi96ELi32ELi128ELNS_18Fp8KVCacheDataTypeE0ELb0EEEvPT_PKS2_PKT0_S8_ifPKiSA_iPKfiiiSC_SC_iiiii
    .private_segment_fixed_size: 0
    .sgpr_count:     41
    .sgpr_spill_count: 0
    .symbol:         _ZN4vllm25paged_attention_v1_kernelIttLi96ELi32ELi128ELNS_18Fp8KVCacheDataTypeE0ELb0EEEvPT_PKS2_PKT0_S8_ifPKiSA_iPKfiiiSC_SC_iiiii.kd
    .uniform_work_group_size: 1
    .uses_dynamic_stack: false
    .vgpr_count:     64
    .vgpr_spill_count: 0
    .wavefront_size: 64
  - .agpr_count:     0
    .args:
      - .actual_access:  write_only
        .address_space:  global
        .offset:         0
        .size:           8
        .value_kind:     global_buffer
      - .actual_access:  read_only
        .address_space:  global
        .offset:         8
        .size:           8
        .value_kind:     global_buffer
      - .actual_access:  read_only
        .address_space:  global
        .offset:         16
        .size:           8
        .value_kind:     global_buffer
      - .actual_access:  read_only
        .address_space:  global
        .offset:         24
        .size:           8
        .value_kind:     global_buffer
      - .offset:         32
        .size:           4
        .value_kind:     by_value
      - .offset:         36
        .size:           4
        .value_kind:     by_value
      - .actual_access:  read_only
        .address_space:  global
        .offset:         40
        .size:           8
        .value_kind:     global_buffer
      - .actual_access:  read_only
        .address_space:  global
        .offset:         48
        .size:           8
        .value_kind:     global_buffer
      - .offset:         56
        .size:           4
        .value_kind:     by_value
      - .actual_access:  read_only
        .address_space:  global
        .offset:         64
        .size:           8
        .value_kind:     global_buffer
      - .offset:         72
        .size:           4
        .value_kind:     by_value
      - .offset:         76
        .size:           4
        .value_kind:     by_value
      - .offset:         80
        .size:           4
        .value_kind:     by_value
      - .address_space:  global
        .offset:         88
        .size:           8
        .value_kind:     global_buffer
      - .address_space:  global
        .offset:         96
        .size:           8
        .value_kind:     global_buffer
      - .offset:         104
        .size:           4
        .value_kind:     by_value
      - .offset:         108
        .size:           4
        .value_kind:     by_value
      - .offset:         112
        .size:           4
        .value_kind:     by_value
      - .offset:         116
        .size:           4
        .value_kind:     by_value
      - .offset:         120
        .size:           4
        .value_kind:     by_value
      - .offset:         128
        .size:           4
        .value_kind:     hidden_block_count_x
      - .offset:         132
        .size:           4
        .value_kind:     hidden_block_count_y
      - .offset:         136
        .size:           4
        .value_kind:     hidden_block_count_z
      - .offset:         140
        .size:           2
        .value_kind:     hidden_group_size_x
      - .offset:         142
        .size:           2
        .value_kind:     hidden_group_size_y
      - .offset:         144
        .size:           2
        .value_kind:     hidden_group_size_z
      - .offset:         146
        .size:           2
        .value_kind:     hidden_remainder_x
      - .offset:         148
        .size:           2
        .value_kind:     hidden_remainder_y
      - .offset:         150
        .size:           2
        .value_kind:     hidden_remainder_z
      - .offset:         168
        .size:           8
        .value_kind:     hidden_global_offset_x
      - .offset:         176
        .size:           8
        .value_kind:     hidden_global_offset_y
      - .offset:         184
        .size:           8
        .value_kind:     hidden_global_offset_z
      - .offset:         192
        .size:           2
        .value_kind:     hidden_grid_dims
      - .offset:         248
        .size:           4
        .value_kind:     hidden_dynamic_lds_size
    .group_segment_fixed_size: 240
    .kernarg_segment_align: 8
    .kernarg_segment_size: 384
    .language:       OpenCL C
    .language_version:
      - 2
      - 0
    .max_flat_workgroup_size: 1024
    .name:           _ZN4vllm25paged_attention_v1_kernelIttLi112ELi32ELi128ELNS_18Fp8KVCacheDataTypeE0ELb0EEEvPT_PKS2_PKT0_S8_ifPKiSA_iPKfiiiSC_SC_iiiii
    .private_segment_fixed_size: 0
    .sgpr_count:     41
    .sgpr_spill_count: 0
    .symbol:         _ZN4vllm25paged_attention_v1_kernelIttLi112ELi32ELi128ELNS_18Fp8KVCacheDataTypeE0ELb0EEEvPT_PKS2_PKT0_S8_ifPKiSA_iPKfiiiSC_SC_iiiii.kd
    .uniform_work_group_size: 1
    .uses_dynamic_stack: false
    .vgpr_count:     65
    .vgpr_spill_count: 0
    .wavefront_size: 64
  - .agpr_count:     0
    .args:
      - .actual_access:  write_only
        .address_space:  global
        .offset:         0
        .size:           8
        .value_kind:     global_buffer
      - .actual_access:  read_only
        .address_space:  global
        .offset:         8
        .size:           8
        .value_kind:     global_buffer
      - .actual_access:  read_only
        .address_space:  global
        .offset:         16
        .size:           8
        .value_kind:     global_buffer
      - .actual_access:  read_only
        .address_space:  global
        .offset:         24
        .size:           8
        .value_kind:     global_buffer
      - .offset:         32
        .size:           4
        .value_kind:     by_value
      - .offset:         36
        .size:           4
        .value_kind:     by_value
      - .actual_access:  read_only
        .address_space:  global
        .offset:         40
        .size:           8
        .value_kind:     global_buffer
      - .actual_access:  read_only
        .address_space:  global
        .offset:         48
        .size:           8
        .value_kind:     global_buffer
      - .offset:         56
        .size:           4
        .value_kind:     by_value
      - .actual_access:  read_only
        .address_space:  global
        .offset:         64
        .size:           8
        .value_kind:     global_buffer
      - .offset:         72
        .size:           4
        .value_kind:     by_value
      - .offset:         76
        .size:           4
        .value_kind:     by_value
      - .offset:         80
        .size:           4
        .value_kind:     by_value
      - .address_space:  global
        .offset:         88
        .size:           8
        .value_kind:     global_buffer
      - .address_space:  global
        .offset:         96
        .size:           8
        .value_kind:     global_buffer
      - .offset:         104
        .size:           4
        .value_kind:     by_value
      - .offset:         108
        .size:           4
        .value_kind:     by_value
      - .offset:         112
        .size:           4
        .value_kind:     by_value
      - .offset:         116
        .size:           4
        .value_kind:     by_value
      - .offset:         120
        .size:           4
        .value_kind:     by_value
      - .offset:         128
        .size:           4
        .value_kind:     hidden_block_count_x
      - .offset:         132
        .size:           4
        .value_kind:     hidden_block_count_y
      - .offset:         136
        .size:           4
        .value_kind:     hidden_block_count_z
      - .offset:         140
        .size:           2
        .value_kind:     hidden_group_size_x
      - .offset:         142
        .size:           2
        .value_kind:     hidden_group_size_y
      - .offset:         144
        .size:           2
        .value_kind:     hidden_group_size_z
      - .offset:         146
        .size:           2
        .value_kind:     hidden_remainder_x
      - .offset:         148
        .size:           2
        .value_kind:     hidden_remainder_y
      - .offset:         150
        .size:           2
        .value_kind:     hidden_remainder_z
      - .offset:         168
        .size:           8
        .value_kind:     hidden_global_offset_x
      - .offset:         176
        .size:           8
        .value_kind:     hidden_global_offset_y
      - .offset:         184
        .size:           8
        .value_kind:     hidden_global_offset_z
      - .offset:         192
        .size:           2
        .value_kind:     hidden_grid_dims
      - .offset:         248
        .size:           4
        .value_kind:     hidden_dynamic_lds_size
    .group_segment_fixed_size: 256
    .kernarg_segment_align: 8
    .kernarg_segment_size: 384
    .language:       OpenCL C
    .language_version:
      - 2
      - 0
    .max_flat_workgroup_size: 1024
    .name:           _ZN4vllm25paged_attention_v1_kernelIttLi120ELi32ELi128ELNS_18Fp8KVCacheDataTypeE0ELb0EEEvPT_PKS2_PKT0_S8_ifPKiSA_iPKfiiiSC_SC_iiiii
    .private_segment_fixed_size: 0
    .sgpr_count:     41
    .sgpr_spill_count: 0
    .symbol:         _ZN4vllm25paged_attention_v1_kernelIttLi120ELi32ELi128ELNS_18Fp8KVCacheDataTypeE0ELb0EEEvPT_PKS2_PKT0_S8_ifPKiSA_iPKfiiiSC_SC_iiiii.kd
    .uniform_work_group_size: 1
    .uses_dynamic_stack: false
    .vgpr_count:     65
    .vgpr_spill_count: 0
    .wavefront_size: 64
  - .agpr_count:     0
    .args:
      - .actual_access:  write_only
        .address_space:  global
        .offset:         0
        .size:           8
        .value_kind:     global_buffer
      - .actual_access:  read_only
        .address_space:  global
        .offset:         8
        .size:           8
        .value_kind:     global_buffer
      - .actual_access:  read_only
        .address_space:  global
        .offset:         16
        .size:           8
        .value_kind:     global_buffer
      - .actual_access:  read_only
        .address_space:  global
        .offset:         24
        .size:           8
        .value_kind:     global_buffer
      - .offset:         32
        .size:           4
        .value_kind:     by_value
      - .offset:         36
        .size:           4
        .value_kind:     by_value
      - .actual_access:  read_only
        .address_space:  global
        .offset:         40
        .size:           8
        .value_kind:     global_buffer
      - .actual_access:  read_only
        .address_space:  global
        .offset:         48
        .size:           8
        .value_kind:     global_buffer
      - .offset:         56
        .size:           4
        .value_kind:     by_value
      - .actual_access:  read_only
        .address_space:  global
        .offset:         64
        .size:           8
        .value_kind:     global_buffer
      - .offset:         72
        .size:           4
        .value_kind:     by_value
      - .offset:         76
        .size:           4
        .value_kind:     by_value
      - .offset:         80
        .size:           4
        .value_kind:     by_value
      - .address_space:  global
        .offset:         88
        .size:           8
        .value_kind:     global_buffer
      - .address_space:  global
        .offset:         96
        .size:           8
        .value_kind:     global_buffer
      - .offset:         104
        .size:           4
        .value_kind:     by_value
      - .offset:         108
        .size:           4
        .value_kind:     by_value
      - .offset:         112
        .size:           4
        .value_kind:     by_value
      - .offset:         116
        .size:           4
        .value_kind:     by_value
      - .offset:         120
        .size:           4
        .value_kind:     by_value
      - .offset:         128
        .size:           4
        .value_kind:     hidden_block_count_x
      - .offset:         132
        .size:           4
        .value_kind:     hidden_block_count_y
      - .offset:         136
        .size:           4
        .value_kind:     hidden_block_count_z
      - .offset:         140
        .size:           2
        .value_kind:     hidden_group_size_x
      - .offset:         142
        .size:           2
        .value_kind:     hidden_group_size_y
      - .offset:         144
        .size:           2
        .value_kind:     hidden_group_size_z
      - .offset:         146
        .size:           2
        .value_kind:     hidden_remainder_x
      - .offset:         148
        .size:           2
        .value_kind:     hidden_remainder_y
      - .offset:         150
        .size:           2
        .value_kind:     hidden_remainder_z
      - .offset:         168
        .size:           8
        .value_kind:     hidden_global_offset_x
      - .offset:         176
        .size:           8
        .value_kind:     hidden_global_offset_y
      - .offset:         184
        .size:           8
        .value_kind:     hidden_global_offset_z
      - .offset:         192
        .size:           2
        .value_kind:     hidden_grid_dims
      - .offset:         248
        .size:           4
        .value_kind:     hidden_dynamic_lds_size
    .group_segment_fixed_size: 272
    .kernarg_segment_align: 8
    .kernarg_segment_size: 384
    .language:       OpenCL C
    .language_version:
      - 2
      - 0
    .max_flat_workgroup_size: 1024
    .name:           _ZN4vllm25paged_attention_v1_kernelIttLi128ELi32ELi128ELNS_18Fp8KVCacheDataTypeE0ELb0EEEvPT_PKS2_PKT0_S8_ifPKiSA_iPKfiiiSC_SC_iiiii
    .private_segment_fixed_size: 0
    .sgpr_count:     41
    .sgpr_spill_count: 0
    .symbol:         _ZN4vllm25paged_attention_v1_kernelIttLi128ELi32ELi128ELNS_18Fp8KVCacheDataTypeE0ELb0EEEvPT_PKS2_PKT0_S8_ifPKiSA_iPKfiiiSC_SC_iiiii.kd
    .uniform_work_group_size: 1
    .uses_dynamic_stack: false
    .vgpr_count:     65
    .vgpr_spill_count: 0
    .wavefront_size: 64
  - .agpr_count:     0
    .args:
      - .actual_access:  write_only
        .address_space:  global
        .offset:         0
        .size:           8
        .value_kind:     global_buffer
      - .actual_access:  read_only
        .address_space:  global
        .offset:         8
        .size:           8
        .value_kind:     global_buffer
      - .actual_access:  read_only
        .address_space:  global
        .offset:         16
        .size:           8
        .value_kind:     global_buffer
      - .actual_access:  read_only
        .address_space:  global
        .offset:         24
        .size:           8
        .value_kind:     global_buffer
      - .offset:         32
        .size:           4
        .value_kind:     by_value
      - .offset:         36
        .size:           4
        .value_kind:     by_value
      - .actual_access:  read_only
        .address_space:  global
        .offset:         40
        .size:           8
        .value_kind:     global_buffer
      - .actual_access:  read_only
        .address_space:  global
        .offset:         48
        .size:           8
        .value_kind:     global_buffer
      - .offset:         56
        .size:           4
        .value_kind:     by_value
      - .actual_access:  read_only
        .address_space:  global
        .offset:         64
        .size:           8
        .value_kind:     global_buffer
      - .offset:         72
        .size:           4
        .value_kind:     by_value
      - .offset:         76
        .size:           4
        .value_kind:     by_value
      - .offset:         80
        .size:           4
        .value_kind:     by_value
      - .address_space:  global
        .offset:         88
        .size:           8
        .value_kind:     global_buffer
      - .address_space:  global
        .offset:         96
        .size:           8
        .value_kind:     global_buffer
      - .offset:         104
        .size:           4
        .value_kind:     by_value
      - .offset:         108
        .size:           4
        .value_kind:     by_value
      - .offset:         112
        .size:           4
        .value_kind:     by_value
      - .offset:         116
        .size:           4
        .value_kind:     by_value
      - .offset:         120
        .size:           4
        .value_kind:     by_value
      - .offset:         128
        .size:           4
        .value_kind:     hidden_block_count_x
      - .offset:         132
        .size:           4
        .value_kind:     hidden_block_count_y
      - .offset:         136
        .size:           4
        .value_kind:     hidden_block_count_z
      - .offset:         140
        .size:           2
        .value_kind:     hidden_group_size_x
      - .offset:         142
        .size:           2
        .value_kind:     hidden_group_size_y
      - .offset:         144
        .size:           2
        .value_kind:     hidden_group_size_z
      - .offset:         146
        .size:           2
        .value_kind:     hidden_remainder_x
      - .offset:         148
        .size:           2
        .value_kind:     hidden_remainder_y
      - .offset:         150
        .size:           2
        .value_kind:     hidden_remainder_z
      - .offset:         168
        .size:           8
        .value_kind:     hidden_global_offset_x
      - .offset:         176
        .size:           8
        .value_kind:     hidden_global_offset_y
      - .offset:         184
        .size:           8
        .value_kind:     hidden_global_offset_z
      - .offset:         192
        .size:           2
        .value_kind:     hidden_grid_dims
      - .offset:         248
        .size:           4
        .value_kind:     hidden_dynamic_lds_size
    .group_segment_fixed_size: 400
    .kernarg_segment_align: 8
    .kernarg_segment_size: 384
    .language:       OpenCL C
    .language_version:
      - 2
      - 0
    .max_flat_workgroup_size: 1024
    .name:           _ZN4vllm25paged_attention_v1_kernelIttLi192ELi32ELi128ELNS_18Fp8KVCacheDataTypeE0ELb0EEEvPT_PKS2_PKT0_S8_ifPKiSA_iPKfiiiSC_SC_iiiii
    .private_segment_fixed_size: 0
    .sgpr_count:     42
    .sgpr_spill_count: 0
    .symbol:         _ZN4vllm25paged_attention_v1_kernelIttLi192ELi32ELi128ELNS_18Fp8KVCacheDataTypeE0ELb0EEEvPT_PKS2_PKT0_S8_ifPKiSA_iPKfiiiSC_SC_iiiii.kd
    .uniform_work_group_size: 1
    .uses_dynamic_stack: false
    .vgpr_count:     87
    .vgpr_spill_count: 0
    .wavefront_size: 64
  - .agpr_count:     0
    .args:
      - .actual_access:  write_only
        .address_space:  global
        .offset:         0
        .size:           8
        .value_kind:     global_buffer
      - .actual_access:  read_only
        .address_space:  global
        .offset:         8
        .size:           8
        .value_kind:     global_buffer
      - .actual_access:  read_only
        .address_space:  global
        .offset:         16
        .size:           8
        .value_kind:     global_buffer
      - .actual_access:  read_only
        .address_space:  global
        .offset:         24
        .size:           8
        .value_kind:     global_buffer
      - .offset:         32
        .size:           4
        .value_kind:     by_value
      - .offset:         36
        .size:           4
        .value_kind:     by_value
      - .actual_access:  read_only
        .address_space:  global
        .offset:         40
        .size:           8
        .value_kind:     global_buffer
      - .actual_access:  read_only
        .address_space:  global
        .offset:         48
        .size:           8
        .value_kind:     global_buffer
      - .offset:         56
        .size:           4
        .value_kind:     by_value
      - .actual_access:  read_only
        .address_space:  global
        .offset:         64
        .size:           8
        .value_kind:     global_buffer
      - .offset:         72
        .size:           4
        .value_kind:     by_value
      - .offset:         76
        .size:           4
        .value_kind:     by_value
      - .offset:         80
        .size:           4
        .value_kind:     by_value
      - .address_space:  global
        .offset:         88
        .size:           8
        .value_kind:     global_buffer
      - .address_space:  global
        .offset:         96
        .size:           8
        .value_kind:     global_buffer
      - .offset:         104
        .size:           4
        .value_kind:     by_value
      - .offset:         108
        .size:           4
        .value_kind:     by_value
      - .offset:         112
        .size:           4
        .value_kind:     by_value
      - .offset:         116
        .size:           4
        .value_kind:     by_value
      - .offset:         120
        .size:           4
        .value_kind:     by_value
      - .offset:         128
        .size:           4
        .value_kind:     hidden_block_count_x
      - .offset:         132
        .size:           4
        .value_kind:     hidden_block_count_y
      - .offset:         136
        .size:           4
        .value_kind:     hidden_block_count_z
      - .offset:         140
        .size:           2
        .value_kind:     hidden_group_size_x
      - .offset:         142
        .size:           2
        .value_kind:     hidden_group_size_y
      - .offset:         144
        .size:           2
        .value_kind:     hidden_group_size_z
      - .offset:         146
        .size:           2
        .value_kind:     hidden_remainder_x
      - .offset:         148
        .size:           2
        .value_kind:     hidden_remainder_y
      - .offset:         150
        .size:           2
        .value_kind:     hidden_remainder_z
      - .offset:         168
        .size:           8
        .value_kind:     hidden_global_offset_x
      - .offset:         176
        .size:           8
        .value_kind:     hidden_global_offset_y
      - .offset:         184
        .size:           8
        .value_kind:     hidden_global_offset_z
      - .offset:         192
        .size:           2
        .value_kind:     hidden_grid_dims
      - .offset:         248
        .size:           4
        .value_kind:     hidden_dynamic_lds_size
    .group_segment_fixed_size: 528
    .kernarg_segment_align: 8
    .kernarg_segment_size: 384
    .language:       OpenCL C
    .language_version:
      - 2
      - 0
    .max_flat_workgroup_size: 1024
    .name:           _ZN4vllm25paged_attention_v1_kernelIttLi256ELi32ELi128ELNS_18Fp8KVCacheDataTypeE0ELb0EEEvPT_PKS2_PKT0_S8_ifPKiSA_iPKfiiiSC_SC_iiiii
    .private_segment_fixed_size: 0
    .sgpr_count:     45
    .sgpr_spill_count: 0
    .symbol:         _ZN4vllm25paged_attention_v1_kernelIttLi256ELi32ELi128ELNS_18Fp8KVCacheDataTypeE0ELb0EEEvPT_PKS2_PKT0_S8_ifPKiSA_iPKfiiiSC_SC_iiiii.kd
    .uniform_work_group_size: 1
    .uses_dynamic_stack: false
    .vgpr_count:     104
    .vgpr_spill_count: 0
    .wavefront_size: 64
  - .agpr_count:     0
    .args:
      - .actual_access:  write_only
        .address_space:  global
        .offset:         0
        .size:           8
        .value_kind:     global_buffer
      - .actual_access:  read_only
        .address_space:  global
        .offset:         8
        .size:           8
        .value_kind:     global_buffer
      - .actual_access:  read_only
        .address_space:  global
        .offset:         16
        .size:           8
        .value_kind:     global_buffer
      - .actual_access:  read_only
        .address_space:  global
        .offset:         24
        .size:           8
        .value_kind:     global_buffer
      - .offset:         32
        .size:           4
        .value_kind:     by_value
      - .offset:         36
        .size:           4
        .value_kind:     by_value
      - .actual_access:  read_only
        .address_space:  global
        .offset:         40
        .size:           8
        .value_kind:     global_buffer
      - .actual_access:  read_only
        .address_space:  global
        .offset:         48
        .size:           8
        .value_kind:     global_buffer
      - .offset:         56
        .size:           4
        .value_kind:     by_value
      - .actual_access:  read_only
        .address_space:  global
        .offset:         64
        .size:           8
        .value_kind:     global_buffer
      - .offset:         72
        .size:           4
        .value_kind:     by_value
      - .offset:         76
        .size:           4
        .value_kind:     by_value
      - .offset:         80
        .size:           4
        .value_kind:     by_value
      - .address_space:  global
        .offset:         88
        .size:           8
        .value_kind:     global_buffer
      - .address_space:  global
        .offset:         96
        .size:           8
        .value_kind:     global_buffer
      - .offset:         104
        .size:           4
        .value_kind:     by_value
      - .offset:         108
        .size:           4
        .value_kind:     by_value
      - .offset:         112
        .size:           4
        .value_kind:     by_value
      - .offset:         116
        .size:           4
        .value_kind:     by_value
      - .offset:         120
        .size:           4
        .value_kind:     by_value
      - .offset:         128
        .size:           4
        .value_kind:     hidden_block_count_x
      - .offset:         132
        .size:           4
        .value_kind:     hidden_block_count_y
      - .offset:         136
        .size:           4
        .value_kind:     hidden_block_count_z
      - .offset:         140
        .size:           2
        .value_kind:     hidden_group_size_x
      - .offset:         142
        .size:           2
        .value_kind:     hidden_group_size_y
      - .offset:         144
        .size:           2
        .value_kind:     hidden_group_size_z
      - .offset:         146
        .size:           2
        .value_kind:     hidden_remainder_x
      - .offset:         148
        .size:           2
        .value_kind:     hidden_remainder_y
      - .offset:         150
        .size:           2
        .value_kind:     hidden_remainder_z
      - .offset:         168
        .size:           8
        .value_kind:     hidden_global_offset_x
      - .offset:         176
        .size:           8
        .value_kind:     hidden_global_offset_y
      - .offset:         184
        .size:           8
        .value_kind:     hidden_global_offset_z
      - .offset:         192
        .size:           2
        .value_kind:     hidden_grid_dims
      - .offset:         248
        .size:           4
        .value_kind:     hidden_dynamic_lds_size
    .group_segment_fixed_size: 80
    .kernarg_segment_align: 8
    .kernarg_segment_size: 384
    .language:       OpenCL C
    .language_version:
      - 2
      - 0
    .max_flat_workgroup_size: 1024
    .name:           _ZN4vllm25paged_attention_v1_kernelI14__hip_bfloat16S1_Li32ELi8ELi128ELNS_18Fp8KVCacheDataTypeE0ELb1EEEvPT_PKS3_PKT0_S9_ifPKiSB_iPKfiiiSD_SD_iiiii
    .private_segment_fixed_size: 0
    .sgpr_count:     50
    .sgpr_spill_count: 0
    .symbol:         _ZN4vllm25paged_attention_v1_kernelI14__hip_bfloat16S1_Li32ELi8ELi128ELNS_18Fp8KVCacheDataTypeE0ELb1EEEvPT_PKS3_PKT0_S9_ifPKiSB_iPKfiiiSD_SD_iiiii.kd
    .uniform_work_group_size: 1
    .uses_dynamic_stack: false
    .vgpr_count:     32
    .vgpr_spill_count: 0
    .wavefront_size: 64
  - .agpr_count:     0
    .args:
      - .actual_access:  write_only
        .address_space:  global
        .offset:         0
        .size:           8
        .value_kind:     global_buffer
      - .actual_access:  read_only
        .address_space:  global
        .offset:         8
        .size:           8
        .value_kind:     global_buffer
      - .actual_access:  read_only
        .address_space:  global
        .offset:         16
        .size:           8
        .value_kind:     global_buffer
      - .actual_access:  read_only
        .address_space:  global
        .offset:         24
        .size:           8
        .value_kind:     global_buffer
      - .offset:         32
        .size:           4
        .value_kind:     by_value
      - .offset:         36
        .size:           4
        .value_kind:     by_value
      - .actual_access:  read_only
        .address_space:  global
        .offset:         40
        .size:           8
        .value_kind:     global_buffer
      - .actual_access:  read_only
        .address_space:  global
        .offset:         48
        .size:           8
        .value_kind:     global_buffer
      - .offset:         56
        .size:           4
        .value_kind:     by_value
      - .actual_access:  read_only
        .address_space:  global
        .offset:         64
        .size:           8
        .value_kind:     global_buffer
      - .offset:         72
        .size:           4
        .value_kind:     by_value
      - .offset:         76
        .size:           4
        .value_kind:     by_value
      - .offset:         80
        .size:           4
        .value_kind:     by_value
      - .address_space:  global
        .offset:         88
        .size:           8
        .value_kind:     global_buffer
      - .address_space:  global
        .offset:         96
        .size:           8
        .value_kind:     global_buffer
      - .offset:         104
        .size:           4
        .value_kind:     by_value
      - .offset:         108
        .size:           4
        .value_kind:     by_value
      - .offset:         112
        .size:           4
        .value_kind:     by_value
      - .offset:         116
        .size:           4
        .value_kind:     by_value
      - .offset:         120
        .size:           4
        .value_kind:     by_value
      - .offset:         128
        .size:           4
        .value_kind:     hidden_block_count_x
      - .offset:         132
        .size:           4
        .value_kind:     hidden_block_count_y
      - .offset:         136
        .size:           4
        .value_kind:     hidden_block_count_z
      - .offset:         140
        .size:           2
        .value_kind:     hidden_group_size_x
      - .offset:         142
        .size:           2
        .value_kind:     hidden_group_size_y
      - .offset:         144
        .size:           2
        .value_kind:     hidden_group_size_z
      - .offset:         146
        .size:           2
        .value_kind:     hidden_remainder_x
      - .offset:         148
        .size:           2
        .value_kind:     hidden_remainder_y
      - .offset:         150
        .size:           2
        .value_kind:     hidden_remainder_z
      - .offset:         168
        .size:           8
        .value_kind:     hidden_global_offset_x
      - .offset:         176
        .size:           8
        .value_kind:     hidden_global_offset_y
      - .offset:         184
        .size:           8
        .value_kind:     hidden_global_offset_z
      - .offset:         192
        .size:           2
        .value_kind:     hidden_grid_dims
      - .offset:         248
        .size:           4
        .value_kind:     hidden_dynamic_lds_size
    .group_segment_fixed_size: 144
    .kernarg_segment_align: 8
    .kernarg_segment_size: 384
    .language:       OpenCL C
    .language_version:
      - 2
      - 0
    .max_flat_workgroup_size: 1024
    .name:           _ZN4vllm25paged_attention_v1_kernelI14__hip_bfloat16S1_Li64ELi8ELi128ELNS_18Fp8KVCacheDataTypeE0ELb1EEEvPT_PKS3_PKT0_S9_ifPKiSB_iPKfiiiSD_SD_iiiii
    .private_segment_fixed_size: 0
    .sgpr_count:     52
    .sgpr_spill_count: 0
    .symbol:         _ZN4vllm25paged_attention_v1_kernelI14__hip_bfloat16S1_Li64ELi8ELi128ELNS_18Fp8KVCacheDataTypeE0ELb1EEEvPT_PKS3_PKT0_S9_ifPKiSB_iPKfiiiSD_SD_iiiii.kd
    .uniform_work_group_size: 1
    .uses_dynamic_stack: false
    .vgpr_count:     40
    .vgpr_spill_count: 0
    .wavefront_size: 64
  - .agpr_count:     0
    .args:
      - .actual_access:  write_only
        .address_space:  global
        .offset:         0
        .size:           8
        .value_kind:     global_buffer
      - .actual_access:  read_only
        .address_space:  global
        .offset:         8
        .size:           8
        .value_kind:     global_buffer
      - .actual_access:  read_only
        .address_space:  global
        .offset:         16
        .size:           8
        .value_kind:     global_buffer
      - .actual_access:  read_only
        .address_space:  global
        .offset:         24
        .size:           8
        .value_kind:     global_buffer
      - .offset:         32
        .size:           4
        .value_kind:     by_value
      - .offset:         36
        .size:           4
        .value_kind:     by_value
      - .actual_access:  read_only
        .address_space:  global
        .offset:         40
        .size:           8
        .value_kind:     global_buffer
      - .actual_access:  read_only
        .address_space:  global
        .offset:         48
        .size:           8
        .value_kind:     global_buffer
      - .offset:         56
        .size:           4
        .value_kind:     by_value
      - .actual_access:  read_only
        .address_space:  global
        .offset:         64
        .size:           8
        .value_kind:     global_buffer
      - .offset:         72
        .size:           4
        .value_kind:     by_value
      - .offset:         76
        .size:           4
        .value_kind:     by_value
      - .offset:         80
        .size:           4
        .value_kind:     by_value
      - .address_space:  global
        .offset:         88
        .size:           8
        .value_kind:     global_buffer
      - .address_space:  global
        .offset:         96
        .size:           8
        .value_kind:     global_buffer
      - .offset:         104
        .size:           4
        .value_kind:     by_value
      - .offset:         108
        .size:           4
        .value_kind:     by_value
      - .offset:         112
        .size:           4
        .value_kind:     by_value
      - .offset:         116
        .size:           4
        .value_kind:     by_value
      - .offset:         120
        .size:           4
        .value_kind:     by_value
      - .offset:         128
        .size:           4
        .value_kind:     hidden_block_count_x
      - .offset:         132
        .size:           4
        .value_kind:     hidden_block_count_y
      - .offset:         136
        .size:           4
        .value_kind:     hidden_block_count_z
      - .offset:         140
        .size:           2
        .value_kind:     hidden_group_size_x
      - .offset:         142
        .size:           2
        .value_kind:     hidden_group_size_y
      - .offset:         144
        .size:           2
        .value_kind:     hidden_group_size_z
      - .offset:         146
        .size:           2
        .value_kind:     hidden_remainder_x
      - .offset:         148
        .size:           2
        .value_kind:     hidden_remainder_y
      - .offset:         150
        .size:           2
        .value_kind:     hidden_remainder_z
      - .offset:         168
        .size:           8
        .value_kind:     hidden_global_offset_x
      - .offset:         176
        .size:           8
        .value_kind:     hidden_global_offset_y
      - .offset:         184
        .size:           8
        .value_kind:     hidden_global_offset_z
      - .offset:         192
        .size:           2
        .value_kind:     hidden_grid_dims
      - .offset:         248
        .size:           4
        .value_kind:     hidden_dynamic_lds_size
    .group_segment_fixed_size: 176
    .kernarg_segment_align: 8
    .kernarg_segment_size: 384
    .language:       OpenCL C
    .language_version:
      - 2
      - 0
    .max_flat_workgroup_size: 1024
    .name:           _ZN4vllm25paged_attention_v1_kernelI14__hip_bfloat16S1_Li80ELi8ELi128ELNS_18Fp8KVCacheDataTypeE0ELb1EEEvPT_PKS3_PKT0_S9_ifPKiSB_iPKfiiiSD_SD_iiiii
    .private_segment_fixed_size: 0
    .sgpr_count:     53
    .sgpr_spill_count: 0
    .symbol:         _ZN4vllm25paged_attention_v1_kernelI14__hip_bfloat16S1_Li80ELi8ELi128ELNS_18Fp8KVCacheDataTypeE0ELb1EEEvPT_PKS3_PKT0_S9_ifPKiSB_iPKfiiiSD_SD_iiiii.kd
    .uniform_work_group_size: 1
    .uses_dynamic_stack: false
    .vgpr_count:     45
    .vgpr_spill_count: 0
    .wavefront_size: 64
  - .agpr_count:     0
    .args:
      - .actual_access:  write_only
        .address_space:  global
        .offset:         0
        .size:           8
        .value_kind:     global_buffer
      - .actual_access:  read_only
        .address_space:  global
        .offset:         8
        .size:           8
        .value_kind:     global_buffer
      - .actual_access:  read_only
        .address_space:  global
        .offset:         16
        .size:           8
        .value_kind:     global_buffer
      - .actual_access:  read_only
        .address_space:  global
        .offset:         24
        .size:           8
        .value_kind:     global_buffer
      - .offset:         32
        .size:           4
        .value_kind:     by_value
      - .offset:         36
        .size:           4
        .value_kind:     by_value
      - .actual_access:  read_only
        .address_space:  global
        .offset:         40
        .size:           8
        .value_kind:     global_buffer
      - .actual_access:  read_only
        .address_space:  global
        .offset:         48
        .size:           8
        .value_kind:     global_buffer
      - .offset:         56
        .size:           4
        .value_kind:     by_value
      - .actual_access:  read_only
        .address_space:  global
        .offset:         64
        .size:           8
        .value_kind:     global_buffer
      - .offset:         72
        .size:           4
        .value_kind:     by_value
      - .offset:         76
        .size:           4
        .value_kind:     by_value
      - .offset:         80
        .size:           4
        .value_kind:     by_value
      - .address_space:  global
        .offset:         88
        .size:           8
        .value_kind:     global_buffer
      - .address_space:  global
        .offset:         96
        .size:           8
        .value_kind:     global_buffer
      - .offset:         104
        .size:           4
        .value_kind:     by_value
      - .offset:         108
        .size:           4
        .value_kind:     by_value
      - .offset:         112
        .size:           4
        .value_kind:     by_value
      - .offset:         116
        .size:           4
        .value_kind:     by_value
      - .offset:         120
        .size:           4
        .value_kind:     by_value
      - .offset:         128
        .size:           4
        .value_kind:     hidden_block_count_x
      - .offset:         132
        .size:           4
        .value_kind:     hidden_block_count_y
      - .offset:         136
        .size:           4
        .value_kind:     hidden_block_count_z
      - .offset:         140
        .size:           2
        .value_kind:     hidden_group_size_x
      - .offset:         142
        .size:           2
        .value_kind:     hidden_group_size_y
      - .offset:         144
        .size:           2
        .value_kind:     hidden_group_size_z
      - .offset:         146
        .size:           2
        .value_kind:     hidden_remainder_x
      - .offset:         148
        .size:           2
        .value_kind:     hidden_remainder_y
      - .offset:         150
        .size:           2
        .value_kind:     hidden_remainder_z
      - .offset:         168
        .size:           8
        .value_kind:     hidden_global_offset_x
      - .offset:         176
        .size:           8
        .value_kind:     hidden_global_offset_y
      - .offset:         184
        .size:           8
        .value_kind:     hidden_global_offset_z
      - .offset:         192
        .size:           2
        .value_kind:     hidden_grid_dims
      - .offset:         248
        .size:           4
        .value_kind:     hidden_dynamic_lds_size
    .group_segment_fixed_size: 208
    .kernarg_segment_align: 8
    .kernarg_segment_size: 384
    .language:       OpenCL C
    .language_version:
      - 2
      - 0
    .max_flat_workgroup_size: 1024
    .name:           _ZN4vllm25paged_attention_v1_kernelI14__hip_bfloat16S1_Li96ELi8ELi128ELNS_18Fp8KVCacheDataTypeE0ELb1EEEvPT_PKS3_PKT0_S9_ifPKiSB_iPKfiiiSD_SD_iiiii
    .private_segment_fixed_size: 0
    .sgpr_count:     53
    .sgpr_spill_count: 0
    .symbol:         _ZN4vllm25paged_attention_v1_kernelI14__hip_bfloat16S1_Li96ELi8ELi128ELNS_18Fp8KVCacheDataTypeE0ELb1EEEvPT_PKS3_PKT0_S9_ifPKiSB_iPKfiiiSD_SD_iiiii.kd
    .uniform_work_group_size: 1
    .uses_dynamic_stack: false
    .vgpr_count:     49
    .vgpr_spill_count: 0
    .wavefront_size: 64
  - .agpr_count:     0
    .args:
      - .actual_access:  write_only
        .address_space:  global
        .offset:         0
        .size:           8
        .value_kind:     global_buffer
      - .actual_access:  read_only
        .address_space:  global
        .offset:         8
        .size:           8
        .value_kind:     global_buffer
      - .actual_access:  read_only
        .address_space:  global
        .offset:         16
        .size:           8
        .value_kind:     global_buffer
      - .actual_access:  read_only
        .address_space:  global
        .offset:         24
        .size:           8
        .value_kind:     global_buffer
      - .offset:         32
        .size:           4
        .value_kind:     by_value
      - .offset:         36
        .size:           4
        .value_kind:     by_value
      - .actual_access:  read_only
        .address_space:  global
        .offset:         40
        .size:           8
        .value_kind:     global_buffer
      - .actual_access:  read_only
        .address_space:  global
        .offset:         48
        .size:           8
        .value_kind:     global_buffer
      - .offset:         56
        .size:           4
        .value_kind:     by_value
      - .actual_access:  read_only
        .address_space:  global
        .offset:         64
        .size:           8
        .value_kind:     global_buffer
      - .offset:         72
        .size:           4
        .value_kind:     by_value
      - .offset:         76
        .size:           4
        .value_kind:     by_value
      - .offset:         80
        .size:           4
        .value_kind:     by_value
      - .address_space:  global
        .offset:         88
        .size:           8
        .value_kind:     global_buffer
      - .address_space:  global
        .offset:         96
        .size:           8
        .value_kind:     global_buffer
      - .offset:         104
        .size:           4
        .value_kind:     by_value
      - .offset:         108
        .size:           4
        .value_kind:     by_value
      - .offset:         112
        .size:           4
        .value_kind:     by_value
      - .offset:         116
        .size:           4
        .value_kind:     by_value
      - .offset:         120
        .size:           4
        .value_kind:     by_value
      - .offset:         128
        .size:           4
        .value_kind:     hidden_block_count_x
      - .offset:         132
        .size:           4
        .value_kind:     hidden_block_count_y
      - .offset:         136
        .size:           4
        .value_kind:     hidden_block_count_z
      - .offset:         140
        .size:           2
        .value_kind:     hidden_group_size_x
      - .offset:         142
        .size:           2
        .value_kind:     hidden_group_size_y
      - .offset:         144
        .size:           2
        .value_kind:     hidden_group_size_z
      - .offset:         146
        .size:           2
        .value_kind:     hidden_remainder_x
      - .offset:         148
        .size:           2
        .value_kind:     hidden_remainder_y
      - .offset:         150
        .size:           2
        .value_kind:     hidden_remainder_z
      - .offset:         168
        .size:           8
        .value_kind:     hidden_global_offset_x
      - .offset:         176
        .size:           8
        .value_kind:     hidden_global_offset_y
      - .offset:         184
        .size:           8
        .value_kind:     hidden_global_offset_z
      - .offset:         192
        .size:           2
        .value_kind:     hidden_grid_dims
      - .offset:         248
        .size:           4
        .value_kind:     hidden_dynamic_lds_size
    .group_segment_fixed_size: 240
    .kernarg_segment_align: 8
    .kernarg_segment_size: 384
    .language:       OpenCL C
    .language_version:
      - 2
      - 0
    .max_flat_workgroup_size: 1024
    .name:           _ZN4vllm25paged_attention_v1_kernelI14__hip_bfloat16S1_Li112ELi8ELi128ELNS_18Fp8KVCacheDataTypeE0ELb1EEEvPT_PKS3_PKT0_S9_ifPKiSB_iPKfiiiSD_SD_iiiii
    .private_segment_fixed_size: 0
    .sgpr_count:     53
    .sgpr_spill_count: 0
    .symbol:         _ZN4vllm25paged_attention_v1_kernelI14__hip_bfloat16S1_Li112ELi8ELi128ELNS_18Fp8KVCacheDataTypeE0ELb1EEEvPT_PKS3_PKT0_S9_ifPKiSB_iPKfiiiSD_SD_iiiii.kd
    .uniform_work_group_size: 1
    .uses_dynamic_stack: false
    .vgpr_count:     53
    .vgpr_spill_count: 0
    .wavefront_size: 64
  - .agpr_count:     0
    .args:
      - .actual_access:  write_only
        .address_space:  global
        .offset:         0
        .size:           8
        .value_kind:     global_buffer
      - .actual_access:  read_only
        .address_space:  global
        .offset:         8
        .size:           8
        .value_kind:     global_buffer
      - .actual_access:  read_only
        .address_space:  global
        .offset:         16
        .size:           8
        .value_kind:     global_buffer
      - .actual_access:  read_only
        .address_space:  global
        .offset:         24
        .size:           8
        .value_kind:     global_buffer
      - .offset:         32
        .size:           4
        .value_kind:     by_value
      - .offset:         36
        .size:           4
        .value_kind:     by_value
      - .actual_access:  read_only
        .address_space:  global
        .offset:         40
        .size:           8
        .value_kind:     global_buffer
      - .actual_access:  read_only
        .address_space:  global
        .offset:         48
        .size:           8
        .value_kind:     global_buffer
      - .offset:         56
        .size:           4
        .value_kind:     by_value
      - .actual_access:  read_only
        .address_space:  global
        .offset:         64
        .size:           8
        .value_kind:     global_buffer
      - .offset:         72
        .size:           4
        .value_kind:     by_value
      - .offset:         76
        .size:           4
        .value_kind:     by_value
      - .offset:         80
        .size:           4
        .value_kind:     by_value
      - .address_space:  global
        .offset:         88
        .size:           8
        .value_kind:     global_buffer
      - .address_space:  global
        .offset:         96
        .size:           8
        .value_kind:     global_buffer
      - .offset:         104
        .size:           4
        .value_kind:     by_value
      - .offset:         108
        .size:           4
        .value_kind:     by_value
      - .offset:         112
        .size:           4
        .value_kind:     by_value
      - .offset:         116
        .size:           4
        .value_kind:     by_value
      - .offset:         120
        .size:           4
        .value_kind:     by_value
      - .offset:         128
        .size:           4
        .value_kind:     hidden_block_count_x
      - .offset:         132
        .size:           4
        .value_kind:     hidden_block_count_y
      - .offset:         136
        .size:           4
        .value_kind:     hidden_block_count_z
      - .offset:         140
        .size:           2
        .value_kind:     hidden_group_size_x
      - .offset:         142
        .size:           2
        .value_kind:     hidden_group_size_y
      - .offset:         144
        .size:           2
        .value_kind:     hidden_group_size_z
      - .offset:         146
        .size:           2
        .value_kind:     hidden_remainder_x
      - .offset:         148
        .size:           2
        .value_kind:     hidden_remainder_y
      - .offset:         150
        .size:           2
        .value_kind:     hidden_remainder_z
      - .offset:         168
        .size:           8
        .value_kind:     hidden_global_offset_x
      - .offset:         176
        .size:           8
        .value_kind:     hidden_global_offset_y
      - .offset:         184
        .size:           8
        .value_kind:     hidden_global_offset_z
      - .offset:         192
        .size:           2
        .value_kind:     hidden_grid_dims
      - .offset:         248
        .size:           4
        .value_kind:     hidden_dynamic_lds_size
    .group_segment_fixed_size: 256
    .kernarg_segment_align: 8
    .kernarg_segment_size: 384
    .language:       OpenCL C
    .language_version:
      - 2
      - 0
    .max_flat_workgroup_size: 1024
    .name:           _ZN4vllm25paged_attention_v1_kernelI14__hip_bfloat16S1_Li120ELi8ELi128ELNS_18Fp8KVCacheDataTypeE0ELb1EEEvPT_PKS3_PKT0_S9_ifPKiSB_iPKfiiiSD_SD_iiiii
    .private_segment_fixed_size: 0
    .sgpr_count:     53
    .sgpr_spill_count: 0
    .symbol:         _ZN4vllm25paged_attention_v1_kernelI14__hip_bfloat16S1_Li120ELi8ELi128ELNS_18Fp8KVCacheDataTypeE0ELb1EEEvPT_PKS3_PKT0_S9_ifPKiSB_iPKfiiiSD_SD_iiiii.kd
    .uniform_work_group_size: 1
    .uses_dynamic_stack: false
    .vgpr_count:     55
    .vgpr_spill_count: 0
    .wavefront_size: 64
  - .agpr_count:     0
    .args:
      - .actual_access:  write_only
        .address_space:  global
        .offset:         0
        .size:           8
        .value_kind:     global_buffer
      - .actual_access:  read_only
        .address_space:  global
        .offset:         8
        .size:           8
        .value_kind:     global_buffer
      - .actual_access:  read_only
        .address_space:  global
        .offset:         16
        .size:           8
        .value_kind:     global_buffer
      - .actual_access:  read_only
        .address_space:  global
        .offset:         24
        .size:           8
        .value_kind:     global_buffer
      - .offset:         32
        .size:           4
        .value_kind:     by_value
      - .offset:         36
        .size:           4
        .value_kind:     by_value
      - .actual_access:  read_only
        .address_space:  global
        .offset:         40
        .size:           8
        .value_kind:     global_buffer
      - .actual_access:  read_only
        .address_space:  global
        .offset:         48
        .size:           8
        .value_kind:     global_buffer
      - .offset:         56
        .size:           4
        .value_kind:     by_value
      - .actual_access:  read_only
        .address_space:  global
        .offset:         64
        .size:           8
        .value_kind:     global_buffer
      - .offset:         72
        .size:           4
        .value_kind:     by_value
      - .offset:         76
        .size:           4
        .value_kind:     by_value
      - .offset:         80
        .size:           4
        .value_kind:     by_value
      - .address_space:  global
        .offset:         88
        .size:           8
        .value_kind:     global_buffer
      - .address_space:  global
        .offset:         96
        .size:           8
        .value_kind:     global_buffer
      - .offset:         104
        .size:           4
        .value_kind:     by_value
      - .offset:         108
        .size:           4
        .value_kind:     by_value
      - .offset:         112
        .size:           4
        .value_kind:     by_value
      - .offset:         116
        .size:           4
        .value_kind:     by_value
      - .offset:         120
        .size:           4
        .value_kind:     by_value
      - .offset:         128
        .size:           4
        .value_kind:     hidden_block_count_x
      - .offset:         132
        .size:           4
        .value_kind:     hidden_block_count_y
      - .offset:         136
        .size:           4
        .value_kind:     hidden_block_count_z
      - .offset:         140
        .size:           2
        .value_kind:     hidden_group_size_x
      - .offset:         142
        .size:           2
        .value_kind:     hidden_group_size_y
      - .offset:         144
        .size:           2
        .value_kind:     hidden_group_size_z
      - .offset:         146
        .size:           2
        .value_kind:     hidden_remainder_x
      - .offset:         148
        .size:           2
        .value_kind:     hidden_remainder_y
      - .offset:         150
        .size:           2
        .value_kind:     hidden_remainder_z
      - .offset:         168
        .size:           8
        .value_kind:     hidden_global_offset_x
      - .offset:         176
        .size:           8
        .value_kind:     hidden_global_offset_y
      - .offset:         184
        .size:           8
        .value_kind:     hidden_global_offset_z
      - .offset:         192
        .size:           2
        .value_kind:     hidden_grid_dims
      - .offset:         248
        .size:           4
        .value_kind:     hidden_dynamic_lds_size
    .group_segment_fixed_size: 272
    .kernarg_segment_align: 8
    .kernarg_segment_size: 384
    .language:       OpenCL C
    .language_version:
      - 2
      - 0
    .max_flat_workgroup_size: 1024
    .name:           _ZN4vllm25paged_attention_v1_kernelI14__hip_bfloat16S1_Li128ELi8ELi128ELNS_18Fp8KVCacheDataTypeE0ELb1EEEvPT_PKS3_PKT0_S9_ifPKiSB_iPKfiiiSD_SD_iiiii
    .private_segment_fixed_size: 0
    .sgpr_count:     50
    .sgpr_spill_count: 0
    .symbol:         _ZN4vllm25paged_attention_v1_kernelI14__hip_bfloat16S1_Li128ELi8ELi128ELNS_18Fp8KVCacheDataTypeE0ELb1EEEvPT_PKS3_PKT0_S9_ifPKiSB_iPKfiiiSD_SD_iiiii.kd
    .uniform_work_group_size: 1
    .uses_dynamic_stack: false
    .vgpr_count:     57
    .vgpr_spill_count: 0
    .wavefront_size: 64
  - .agpr_count:     0
    .args:
      - .actual_access:  write_only
        .address_space:  global
        .offset:         0
        .size:           8
        .value_kind:     global_buffer
      - .actual_access:  read_only
        .address_space:  global
        .offset:         8
        .size:           8
        .value_kind:     global_buffer
      - .actual_access:  read_only
        .address_space:  global
        .offset:         16
        .size:           8
        .value_kind:     global_buffer
      - .actual_access:  read_only
        .address_space:  global
        .offset:         24
        .size:           8
        .value_kind:     global_buffer
      - .offset:         32
        .size:           4
        .value_kind:     by_value
      - .offset:         36
        .size:           4
        .value_kind:     by_value
      - .actual_access:  read_only
        .address_space:  global
        .offset:         40
        .size:           8
        .value_kind:     global_buffer
      - .actual_access:  read_only
        .address_space:  global
        .offset:         48
        .size:           8
        .value_kind:     global_buffer
      - .offset:         56
        .size:           4
        .value_kind:     by_value
      - .actual_access:  read_only
        .address_space:  global
        .offset:         64
        .size:           8
        .value_kind:     global_buffer
      - .offset:         72
        .size:           4
        .value_kind:     by_value
      - .offset:         76
        .size:           4
        .value_kind:     by_value
      - .offset:         80
        .size:           4
        .value_kind:     by_value
      - .address_space:  global
        .offset:         88
        .size:           8
        .value_kind:     global_buffer
      - .address_space:  global
        .offset:         96
        .size:           8
        .value_kind:     global_buffer
      - .offset:         104
        .size:           4
        .value_kind:     by_value
      - .offset:         108
        .size:           4
        .value_kind:     by_value
      - .offset:         112
        .size:           4
        .value_kind:     by_value
      - .offset:         116
        .size:           4
        .value_kind:     by_value
      - .offset:         120
        .size:           4
        .value_kind:     by_value
      - .offset:         128
        .size:           4
        .value_kind:     hidden_block_count_x
      - .offset:         132
        .size:           4
        .value_kind:     hidden_block_count_y
      - .offset:         136
        .size:           4
        .value_kind:     hidden_block_count_z
      - .offset:         140
        .size:           2
        .value_kind:     hidden_group_size_x
      - .offset:         142
        .size:           2
        .value_kind:     hidden_group_size_y
      - .offset:         144
        .size:           2
        .value_kind:     hidden_group_size_z
      - .offset:         146
        .size:           2
        .value_kind:     hidden_remainder_x
      - .offset:         148
        .size:           2
        .value_kind:     hidden_remainder_y
      - .offset:         150
        .size:           2
        .value_kind:     hidden_remainder_z
      - .offset:         168
        .size:           8
        .value_kind:     hidden_global_offset_x
      - .offset:         176
        .size:           8
        .value_kind:     hidden_global_offset_y
      - .offset:         184
        .size:           8
        .value_kind:     hidden_global_offset_z
      - .offset:         192
        .size:           2
        .value_kind:     hidden_grid_dims
      - .offset:         248
        .size:           4
        .value_kind:     hidden_dynamic_lds_size
    .group_segment_fixed_size: 400
    .kernarg_segment_align: 8
    .kernarg_segment_size: 384
    .language:       OpenCL C
    .language_version:
      - 2
      - 0
    .max_flat_workgroup_size: 1024
    .name:           _ZN4vllm25paged_attention_v1_kernelI14__hip_bfloat16S1_Li192ELi8ELi128ELNS_18Fp8KVCacheDataTypeE0ELb1EEEvPT_PKS3_PKT0_S9_ifPKiSB_iPKfiiiSD_SD_iiiii
    .private_segment_fixed_size: 0
    .sgpr_count:     50
    .sgpr_spill_count: 0
    .symbol:         _ZN4vllm25paged_attention_v1_kernelI14__hip_bfloat16S1_Li192ELi8ELi128ELNS_18Fp8KVCacheDataTypeE0ELb1EEEvPT_PKS3_PKT0_S9_ifPKiSB_iPKfiiiSD_SD_iiiii.kd
    .uniform_work_group_size: 1
    .uses_dynamic_stack: false
    .vgpr_count:     71
    .vgpr_spill_count: 0
    .wavefront_size: 64
  - .agpr_count:     0
    .args:
      - .actual_access:  write_only
        .address_space:  global
        .offset:         0
        .size:           8
        .value_kind:     global_buffer
      - .actual_access:  read_only
        .address_space:  global
        .offset:         8
        .size:           8
        .value_kind:     global_buffer
      - .actual_access:  read_only
        .address_space:  global
        .offset:         16
        .size:           8
        .value_kind:     global_buffer
      - .actual_access:  read_only
        .address_space:  global
        .offset:         24
        .size:           8
        .value_kind:     global_buffer
      - .offset:         32
        .size:           4
        .value_kind:     by_value
      - .offset:         36
        .size:           4
        .value_kind:     by_value
      - .actual_access:  read_only
        .address_space:  global
        .offset:         40
        .size:           8
        .value_kind:     global_buffer
      - .actual_access:  read_only
        .address_space:  global
        .offset:         48
        .size:           8
        .value_kind:     global_buffer
      - .offset:         56
        .size:           4
        .value_kind:     by_value
      - .actual_access:  read_only
        .address_space:  global
        .offset:         64
        .size:           8
        .value_kind:     global_buffer
      - .offset:         72
        .size:           4
        .value_kind:     by_value
      - .offset:         76
        .size:           4
        .value_kind:     by_value
      - .offset:         80
        .size:           4
        .value_kind:     by_value
      - .address_space:  global
        .offset:         88
        .size:           8
        .value_kind:     global_buffer
      - .address_space:  global
        .offset:         96
        .size:           8
        .value_kind:     global_buffer
      - .offset:         104
        .size:           4
        .value_kind:     by_value
      - .offset:         108
        .size:           4
        .value_kind:     by_value
      - .offset:         112
        .size:           4
        .value_kind:     by_value
      - .offset:         116
        .size:           4
        .value_kind:     by_value
      - .offset:         120
        .size:           4
        .value_kind:     by_value
      - .offset:         128
        .size:           4
        .value_kind:     hidden_block_count_x
      - .offset:         132
        .size:           4
        .value_kind:     hidden_block_count_y
      - .offset:         136
        .size:           4
        .value_kind:     hidden_block_count_z
      - .offset:         140
        .size:           2
        .value_kind:     hidden_group_size_x
      - .offset:         142
        .size:           2
        .value_kind:     hidden_group_size_y
      - .offset:         144
        .size:           2
        .value_kind:     hidden_group_size_z
      - .offset:         146
        .size:           2
        .value_kind:     hidden_remainder_x
      - .offset:         148
        .size:           2
        .value_kind:     hidden_remainder_y
      - .offset:         150
        .size:           2
        .value_kind:     hidden_remainder_z
      - .offset:         168
        .size:           8
        .value_kind:     hidden_global_offset_x
      - .offset:         176
        .size:           8
        .value_kind:     hidden_global_offset_y
      - .offset:         184
        .size:           8
        .value_kind:     hidden_global_offset_z
      - .offset:         192
        .size:           2
        .value_kind:     hidden_grid_dims
      - .offset:         248
        .size:           4
        .value_kind:     hidden_dynamic_lds_size
    .group_segment_fixed_size: 528
    .kernarg_segment_align: 8
    .kernarg_segment_size: 384
    .language:       OpenCL C
    .language_version:
      - 2
      - 0
    .max_flat_workgroup_size: 1024
    .name:           _ZN4vllm25paged_attention_v1_kernelI14__hip_bfloat16S1_Li256ELi8ELi128ELNS_18Fp8KVCacheDataTypeE0ELb1EEEvPT_PKS3_PKT0_S9_ifPKiSB_iPKfiiiSD_SD_iiiii
    .private_segment_fixed_size: 0
    .sgpr_count:     50
    .sgpr_spill_count: 0
    .symbol:         _ZN4vllm25paged_attention_v1_kernelI14__hip_bfloat16S1_Li256ELi8ELi128ELNS_18Fp8KVCacheDataTypeE0ELb1EEEvPT_PKS3_PKT0_S9_ifPKiSB_iPKfiiiSD_SD_iiiii.kd
    .uniform_work_group_size: 1
    .uses_dynamic_stack: false
    .vgpr_count:     88
    .vgpr_spill_count: 0
    .wavefront_size: 64
  - .agpr_count:     0
    .args:
      - .actual_access:  write_only
        .address_space:  global
        .offset:         0
        .size:           8
        .value_kind:     global_buffer
      - .actual_access:  read_only
        .address_space:  global
        .offset:         8
        .size:           8
        .value_kind:     global_buffer
      - .actual_access:  read_only
        .address_space:  global
        .offset:         16
        .size:           8
        .value_kind:     global_buffer
      - .actual_access:  read_only
        .address_space:  global
        .offset:         24
        .size:           8
        .value_kind:     global_buffer
      - .offset:         32
        .size:           4
        .value_kind:     by_value
      - .offset:         36
        .size:           4
        .value_kind:     by_value
      - .actual_access:  read_only
        .address_space:  global
        .offset:         40
        .size:           8
        .value_kind:     global_buffer
      - .actual_access:  read_only
        .address_space:  global
        .offset:         48
        .size:           8
        .value_kind:     global_buffer
      - .offset:         56
        .size:           4
        .value_kind:     by_value
      - .actual_access:  read_only
        .address_space:  global
        .offset:         64
        .size:           8
        .value_kind:     global_buffer
      - .offset:         72
        .size:           4
        .value_kind:     by_value
      - .offset:         76
        .size:           4
        .value_kind:     by_value
      - .offset:         80
        .size:           4
        .value_kind:     by_value
      - .address_space:  global
        .offset:         88
        .size:           8
        .value_kind:     global_buffer
      - .address_space:  global
        .offset:         96
        .size:           8
        .value_kind:     global_buffer
      - .offset:         104
        .size:           4
        .value_kind:     by_value
      - .offset:         108
        .size:           4
        .value_kind:     by_value
      - .offset:         112
        .size:           4
        .value_kind:     by_value
      - .offset:         116
        .size:           4
        .value_kind:     by_value
      - .offset:         120
        .size:           4
        .value_kind:     by_value
      - .offset:         128
        .size:           4
        .value_kind:     hidden_block_count_x
      - .offset:         132
        .size:           4
        .value_kind:     hidden_block_count_y
      - .offset:         136
        .size:           4
        .value_kind:     hidden_block_count_z
      - .offset:         140
        .size:           2
        .value_kind:     hidden_group_size_x
      - .offset:         142
        .size:           2
        .value_kind:     hidden_group_size_y
      - .offset:         144
        .size:           2
        .value_kind:     hidden_group_size_z
      - .offset:         146
        .size:           2
        .value_kind:     hidden_remainder_x
      - .offset:         148
        .size:           2
        .value_kind:     hidden_remainder_y
      - .offset:         150
        .size:           2
        .value_kind:     hidden_remainder_z
      - .offset:         168
        .size:           8
        .value_kind:     hidden_global_offset_x
      - .offset:         176
        .size:           8
        .value_kind:     hidden_global_offset_y
      - .offset:         184
        .size:           8
        .value_kind:     hidden_global_offset_z
      - .offset:         192
        .size:           2
        .value_kind:     hidden_grid_dims
      - .offset:         248
        .size:           4
        .value_kind:     hidden_dynamic_lds_size
    .group_segment_fixed_size: 80
    .kernarg_segment_align: 8
    .kernarg_segment_size: 384
    .language:       OpenCL C
    .language_version:
      - 2
      - 0
    .max_flat_workgroup_size: 1024
    .name:           _ZN4vllm25paged_attention_v1_kernelI14__hip_bfloat16S1_Li32ELi8ELi128ELNS_18Fp8KVCacheDataTypeE0ELb0EEEvPT_PKS3_PKT0_S9_ifPKiSB_iPKfiiiSD_SD_iiiii
    .private_segment_fixed_size: 0
    .sgpr_count:     40
    .sgpr_spill_count: 0
    .symbol:         _ZN4vllm25paged_attention_v1_kernelI14__hip_bfloat16S1_Li32ELi8ELi128ELNS_18Fp8KVCacheDataTypeE0ELb0EEEvPT_PKS3_PKT0_S9_ifPKiSB_iPKfiiiSD_SD_iiiii.kd
    .uniform_work_group_size: 1
    .uses_dynamic_stack: false
    .vgpr_count:     28
    .vgpr_spill_count: 0
    .wavefront_size: 64
  - .agpr_count:     0
    .args:
      - .actual_access:  write_only
        .address_space:  global
        .offset:         0
        .size:           8
        .value_kind:     global_buffer
      - .actual_access:  read_only
        .address_space:  global
        .offset:         8
        .size:           8
        .value_kind:     global_buffer
      - .actual_access:  read_only
        .address_space:  global
        .offset:         16
        .size:           8
        .value_kind:     global_buffer
      - .actual_access:  read_only
        .address_space:  global
        .offset:         24
        .size:           8
        .value_kind:     global_buffer
      - .offset:         32
        .size:           4
        .value_kind:     by_value
      - .offset:         36
        .size:           4
        .value_kind:     by_value
      - .actual_access:  read_only
        .address_space:  global
        .offset:         40
        .size:           8
        .value_kind:     global_buffer
      - .actual_access:  read_only
        .address_space:  global
        .offset:         48
        .size:           8
        .value_kind:     global_buffer
      - .offset:         56
        .size:           4
        .value_kind:     by_value
      - .actual_access:  read_only
        .address_space:  global
        .offset:         64
        .size:           8
        .value_kind:     global_buffer
      - .offset:         72
        .size:           4
        .value_kind:     by_value
      - .offset:         76
        .size:           4
        .value_kind:     by_value
      - .offset:         80
        .size:           4
        .value_kind:     by_value
      - .address_space:  global
        .offset:         88
        .size:           8
        .value_kind:     global_buffer
      - .address_space:  global
        .offset:         96
        .size:           8
        .value_kind:     global_buffer
      - .offset:         104
        .size:           4
        .value_kind:     by_value
      - .offset:         108
        .size:           4
        .value_kind:     by_value
      - .offset:         112
        .size:           4
        .value_kind:     by_value
      - .offset:         116
        .size:           4
        .value_kind:     by_value
      - .offset:         120
        .size:           4
        .value_kind:     by_value
      - .offset:         128
        .size:           4
        .value_kind:     hidden_block_count_x
      - .offset:         132
        .size:           4
        .value_kind:     hidden_block_count_y
      - .offset:         136
        .size:           4
        .value_kind:     hidden_block_count_z
      - .offset:         140
        .size:           2
        .value_kind:     hidden_group_size_x
      - .offset:         142
        .size:           2
        .value_kind:     hidden_group_size_y
      - .offset:         144
        .size:           2
        .value_kind:     hidden_group_size_z
      - .offset:         146
        .size:           2
        .value_kind:     hidden_remainder_x
      - .offset:         148
        .size:           2
        .value_kind:     hidden_remainder_y
      - .offset:         150
        .size:           2
        .value_kind:     hidden_remainder_z
      - .offset:         168
        .size:           8
        .value_kind:     hidden_global_offset_x
      - .offset:         176
        .size:           8
        .value_kind:     hidden_global_offset_y
      - .offset:         184
        .size:           8
        .value_kind:     hidden_global_offset_z
      - .offset:         192
        .size:           2
        .value_kind:     hidden_grid_dims
      - .offset:         248
        .size:           4
        .value_kind:     hidden_dynamic_lds_size
    .group_segment_fixed_size: 144
    .kernarg_segment_align: 8
    .kernarg_segment_size: 384
    .language:       OpenCL C
    .language_version:
      - 2
      - 0
    .max_flat_workgroup_size: 1024
    .name:           _ZN4vllm25paged_attention_v1_kernelI14__hip_bfloat16S1_Li64ELi8ELi128ELNS_18Fp8KVCacheDataTypeE0ELb0EEEvPT_PKS3_PKT0_S9_ifPKiSB_iPKfiiiSD_SD_iiiii
    .private_segment_fixed_size: 0
    .sgpr_count:     42
    .sgpr_spill_count: 0
    .symbol:         _ZN4vllm25paged_attention_v1_kernelI14__hip_bfloat16S1_Li64ELi8ELi128ELNS_18Fp8KVCacheDataTypeE0ELb0EEEvPT_PKS3_PKT0_S9_ifPKiSB_iPKfiiiSD_SD_iiiii.kd
    .uniform_work_group_size: 1
    .uses_dynamic_stack: false
    .vgpr_count:     34
    .vgpr_spill_count: 0
    .wavefront_size: 64
  - .agpr_count:     0
    .args:
      - .actual_access:  write_only
        .address_space:  global
        .offset:         0
        .size:           8
        .value_kind:     global_buffer
      - .actual_access:  read_only
        .address_space:  global
        .offset:         8
        .size:           8
        .value_kind:     global_buffer
      - .actual_access:  read_only
        .address_space:  global
        .offset:         16
        .size:           8
        .value_kind:     global_buffer
      - .actual_access:  read_only
        .address_space:  global
        .offset:         24
        .size:           8
        .value_kind:     global_buffer
      - .offset:         32
        .size:           4
        .value_kind:     by_value
      - .offset:         36
        .size:           4
        .value_kind:     by_value
      - .actual_access:  read_only
        .address_space:  global
        .offset:         40
        .size:           8
        .value_kind:     global_buffer
      - .actual_access:  read_only
        .address_space:  global
        .offset:         48
        .size:           8
        .value_kind:     global_buffer
      - .offset:         56
        .size:           4
        .value_kind:     by_value
      - .actual_access:  read_only
        .address_space:  global
        .offset:         64
        .size:           8
        .value_kind:     global_buffer
      - .offset:         72
        .size:           4
        .value_kind:     by_value
      - .offset:         76
        .size:           4
        .value_kind:     by_value
      - .offset:         80
        .size:           4
        .value_kind:     by_value
      - .address_space:  global
        .offset:         88
        .size:           8
        .value_kind:     global_buffer
      - .address_space:  global
        .offset:         96
        .size:           8
        .value_kind:     global_buffer
      - .offset:         104
        .size:           4
        .value_kind:     by_value
      - .offset:         108
        .size:           4
        .value_kind:     by_value
      - .offset:         112
        .size:           4
        .value_kind:     by_value
      - .offset:         116
        .size:           4
        .value_kind:     by_value
      - .offset:         120
        .size:           4
        .value_kind:     by_value
      - .offset:         128
        .size:           4
        .value_kind:     hidden_block_count_x
      - .offset:         132
        .size:           4
        .value_kind:     hidden_block_count_y
      - .offset:         136
        .size:           4
        .value_kind:     hidden_block_count_z
      - .offset:         140
        .size:           2
        .value_kind:     hidden_group_size_x
      - .offset:         142
        .size:           2
        .value_kind:     hidden_group_size_y
      - .offset:         144
        .size:           2
        .value_kind:     hidden_group_size_z
      - .offset:         146
        .size:           2
        .value_kind:     hidden_remainder_x
      - .offset:         148
        .size:           2
        .value_kind:     hidden_remainder_y
      - .offset:         150
        .size:           2
        .value_kind:     hidden_remainder_z
      - .offset:         168
        .size:           8
        .value_kind:     hidden_global_offset_x
      - .offset:         176
        .size:           8
        .value_kind:     hidden_global_offset_y
      - .offset:         184
        .size:           8
        .value_kind:     hidden_global_offset_z
      - .offset:         192
        .size:           2
        .value_kind:     hidden_grid_dims
      - .offset:         248
        .size:           4
        .value_kind:     hidden_dynamic_lds_size
    .group_segment_fixed_size: 176
    .kernarg_segment_align: 8
    .kernarg_segment_size: 384
    .language:       OpenCL C
    .language_version:
      - 2
      - 0
    .max_flat_workgroup_size: 1024
    .name:           _ZN4vllm25paged_attention_v1_kernelI14__hip_bfloat16S1_Li80ELi8ELi128ELNS_18Fp8KVCacheDataTypeE0ELb0EEEvPT_PKS3_PKT0_S9_ifPKiSB_iPKfiiiSD_SD_iiiii
    .private_segment_fixed_size: 0
    .sgpr_count:     42
    .sgpr_spill_count: 0
    .symbol:         _ZN4vllm25paged_attention_v1_kernelI14__hip_bfloat16S1_Li80ELi8ELi128ELNS_18Fp8KVCacheDataTypeE0ELb0EEEvPT_PKS3_PKT0_S9_ifPKiSB_iPKfiiiSD_SD_iiiii.kd
    .uniform_work_group_size: 1
    .uses_dynamic_stack: false
    .vgpr_count:     39
    .vgpr_spill_count: 0
    .wavefront_size: 64
  - .agpr_count:     0
    .args:
      - .actual_access:  write_only
        .address_space:  global
        .offset:         0
        .size:           8
        .value_kind:     global_buffer
      - .actual_access:  read_only
        .address_space:  global
        .offset:         8
        .size:           8
        .value_kind:     global_buffer
      - .actual_access:  read_only
        .address_space:  global
        .offset:         16
        .size:           8
        .value_kind:     global_buffer
      - .actual_access:  read_only
        .address_space:  global
        .offset:         24
        .size:           8
        .value_kind:     global_buffer
      - .offset:         32
        .size:           4
        .value_kind:     by_value
      - .offset:         36
        .size:           4
        .value_kind:     by_value
      - .actual_access:  read_only
        .address_space:  global
        .offset:         40
        .size:           8
        .value_kind:     global_buffer
      - .actual_access:  read_only
        .address_space:  global
        .offset:         48
        .size:           8
        .value_kind:     global_buffer
      - .offset:         56
        .size:           4
        .value_kind:     by_value
      - .actual_access:  read_only
        .address_space:  global
        .offset:         64
        .size:           8
        .value_kind:     global_buffer
      - .offset:         72
        .size:           4
        .value_kind:     by_value
      - .offset:         76
        .size:           4
        .value_kind:     by_value
      - .offset:         80
        .size:           4
        .value_kind:     by_value
      - .address_space:  global
        .offset:         88
        .size:           8
        .value_kind:     global_buffer
      - .address_space:  global
        .offset:         96
        .size:           8
        .value_kind:     global_buffer
      - .offset:         104
        .size:           4
        .value_kind:     by_value
      - .offset:         108
        .size:           4
        .value_kind:     by_value
      - .offset:         112
        .size:           4
        .value_kind:     by_value
      - .offset:         116
        .size:           4
        .value_kind:     by_value
      - .offset:         120
        .size:           4
        .value_kind:     by_value
      - .offset:         128
        .size:           4
        .value_kind:     hidden_block_count_x
      - .offset:         132
        .size:           4
        .value_kind:     hidden_block_count_y
      - .offset:         136
        .size:           4
        .value_kind:     hidden_block_count_z
      - .offset:         140
        .size:           2
        .value_kind:     hidden_group_size_x
      - .offset:         142
        .size:           2
        .value_kind:     hidden_group_size_y
      - .offset:         144
        .size:           2
        .value_kind:     hidden_group_size_z
      - .offset:         146
        .size:           2
        .value_kind:     hidden_remainder_x
      - .offset:         148
        .size:           2
        .value_kind:     hidden_remainder_y
      - .offset:         150
        .size:           2
        .value_kind:     hidden_remainder_z
      - .offset:         168
        .size:           8
        .value_kind:     hidden_global_offset_x
      - .offset:         176
        .size:           8
        .value_kind:     hidden_global_offset_y
      - .offset:         184
        .size:           8
        .value_kind:     hidden_global_offset_z
      - .offset:         192
        .size:           2
        .value_kind:     hidden_grid_dims
      - .offset:         248
        .size:           4
        .value_kind:     hidden_dynamic_lds_size
    .group_segment_fixed_size: 208
    .kernarg_segment_align: 8
    .kernarg_segment_size: 384
    .language:       OpenCL C
    .language_version:
      - 2
      - 0
    .max_flat_workgroup_size: 1024
    .name:           _ZN4vllm25paged_attention_v1_kernelI14__hip_bfloat16S1_Li96ELi8ELi128ELNS_18Fp8KVCacheDataTypeE0ELb0EEEvPT_PKS3_PKT0_S9_ifPKiSB_iPKfiiiSD_SD_iiiii
    .private_segment_fixed_size: 0
    .sgpr_count:     42
    .sgpr_spill_count: 0
    .symbol:         _ZN4vllm25paged_attention_v1_kernelI14__hip_bfloat16S1_Li96ELi8ELi128ELNS_18Fp8KVCacheDataTypeE0ELb0EEEvPT_PKS3_PKT0_S9_ifPKiSB_iPKfiiiSD_SD_iiiii.kd
    .uniform_work_group_size: 1
    .uses_dynamic_stack: false
    .vgpr_count:     43
    .vgpr_spill_count: 0
    .wavefront_size: 64
  - .agpr_count:     0
    .args:
      - .actual_access:  write_only
        .address_space:  global
        .offset:         0
        .size:           8
        .value_kind:     global_buffer
      - .actual_access:  read_only
        .address_space:  global
        .offset:         8
        .size:           8
        .value_kind:     global_buffer
      - .actual_access:  read_only
        .address_space:  global
        .offset:         16
        .size:           8
        .value_kind:     global_buffer
      - .actual_access:  read_only
        .address_space:  global
        .offset:         24
        .size:           8
        .value_kind:     global_buffer
      - .offset:         32
        .size:           4
        .value_kind:     by_value
      - .offset:         36
        .size:           4
        .value_kind:     by_value
      - .actual_access:  read_only
        .address_space:  global
        .offset:         40
        .size:           8
        .value_kind:     global_buffer
      - .actual_access:  read_only
        .address_space:  global
        .offset:         48
        .size:           8
        .value_kind:     global_buffer
      - .offset:         56
        .size:           4
        .value_kind:     by_value
      - .actual_access:  read_only
        .address_space:  global
        .offset:         64
        .size:           8
        .value_kind:     global_buffer
      - .offset:         72
        .size:           4
        .value_kind:     by_value
      - .offset:         76
        .size:           4
        .value_kind:     by_value
      - .offset:         80
        .size:           4
        .value_kind:     by_value
      - .address_space:  global
        .offset:         88
        .size:           8
        .value_kind:     global_buffer
      - .address_space:  global
        .offset:         96
        .size:           8
        .value_kind:     global_buffer
      - .offset:         104
        .size:           4
        .value_kind:     by_value
      - .offset:         108
        .size:           4
        .value_kind:     by_value
      - .offset:         112
        .size:           4
        .value_kind:     by_value
      - .offset:         116
        .size:           4
        .value_kind:     by_value
      - .offset:         120
        .size:           4
        .value_kind:     by_value
      - .offset:         128
        .size:           4
        .value_kind:     hidden_block_count_x
      - .offset:         132
        .size:           4
        .value_kind:     hidden_block_count_y
      - .offset:         136
        .size:           4
        .value_kind:     hidden_block_count_z
      - .offset:         140
        .size:           2
        .value_kind:     hidden_group_size_x
      - .offset:         142
        .size:           2
        .value_kind:     hidden_group_size_y
      - .offset:         144
        .size:           2
        .value_kind:     hidden_group_size_z
      - .offset:         146
        .size:           2
        .value_kind:     hidden_remainder_x
      - .offset:         148
        .size:           2
        .value_kind:     hidden_remainder_y
      - .offset:         150
        .size:           2
        .value_kind:     hidden_remainder_z
      - .offset:         168
        .size:           8
        .value_kind:     hidden_global_offset_x
      - .offset:         176
        .size:           8
        .value_kind:     hidden_global_offset_y
      - .offset:         184
        .size:           8
        .value_kind:     hidden_global_offset_z
      - .offset:         192
        .size:           2
        .value_kind:     hidden_grid_dims
      - .offset:         248
        .size:           4
        .value_kind:     hidden_dynamic_lds_size
    .group_segment_fixed_size: 240
    .kernarg_segment_align: 8
    .kernarg_segment_size: 384
    .language:       OpenCL C
    .language_version:
      - 2
      - 0
    .max_flat_workgroup_size: 1024
    .name:           _ZN4vllm25paged_attention_v1_kernelI14__hip_bfloat16S1_Li112ELi8ELi128ELNS_18Fp8KVCacheDataTypeE0ELb0EEEvPT_PKS3_PKT0_S9_ifPKiSB_iPKfiiiSD_SD_iiiii
    .private_segment_fixed_size: 0
    .sgpr_count:     42
    .sgpr_spill_count: 0
    .symbol:         _ZN4vllm25paged_attention_v1_kernelI14__hip_bfloat16S1_Li112ELi8ELi128ELNS_18Fp8KVCacheDataTypeE0ELb0EEEvPT_PKS3_PKT0_S9_ifPKiSB_iPKfiiiSD_SD_iiiii.kd
    .uniform_work_group_size: 1
    .uses_dynamic_stack: false
    .vgpr_count:     47
    .vgpr_spill_count: 0
    .wavefront_size: 64
  - .agpr_count:     0
    .args:
      - .actual_access:  write_only
        .address_space:  global
        .offset:         0
        .size:           8
        .value_kind:     global_buffer
      - .actual_access:  read_only
        .address_space:  global
        .offset:         8
        .size:           8
        .value_kind:     global_buffer
      - .actual_access:  read_only
        .address_space:  global
        .offset:         16
        .size:           8
        .value_kind:     global_buffer
      - .actual_access:  read_only
        .address_space:  global
        .offset:         24
        .size:           8
        .value_kind:     global_buffer
      - .offset:         32
        .size:           4
        .value_kind:     by_value
      - .offset:         36
        .size:           4
        .value_kind:     by_value
      - .actual_access:  read_only
        .address_space:  global
        .offset:         40
        .size:           8
        .value_kind:     global_buffer
      - .actual_access:  read_only
        .address_space:  global
        .offset:         48
        .size:           8
        .value_kind:     global_buffer
      - .offset:         56
        .size:           4
        .value_kind:     by_value
      - .actual_access:  read_only
        .address_space:  global
        .offset:         64
        .size:           8
        .value_kind:     global_buffer
      - .offset:         72
        .size:           4
        .value_kind:     by_value
      - .offset:         76
        .size:           4
        .value_kind:     by_value
      - .offset:         80
        .size:           4
        .value_kind:     by_value
      - .address_space:  global
        .offset:         88
        .size:           8
        .value_kind:     global_buffer
      - .address_space:  global
        .offset:         96
        .size:           8
        .value_kind:     global_buffer
      - .offset:         104
        .size:           4
        .value_kind:     by_value
      - .offset:         108
        .size:           4
        .value_kind:     by_value
      - .offset:         112
        .size:           4
        .value_kind:     by_value
      - .offset:         116
        .size:           4
        .value_kind:     by_value
      - .offset:         120
        .size:           4
        .value_kind:     by_value
      - .offset:         128
        .size:           4
        .value_kind:     hidden_block_count_x
      - .offset:         132
        .size:           4
        .value_kind:     hidden_block_count_y
      - .offset:         136
        .size:           4
        .value_kind:     hidden_block_count_z
      - .offset:         140
        .size:           2
        .value_kind:     hidden_group_size_x
      - .offset:         142
        .size:           2
        .value_kind:     hidden_group_size_y
      - .offset:         144
        .size:           2
        .value_kind:     hidden_group_size_z
      - .offset:         146
        .size:           2
        .value_kind:     hidden_remainder_x
      - .offset:         148
        .size:           2
        .value_kind:     hidden_remainder_y
      - .offset:         150
        .size:           2
        .value_kind:     hidden_remainder_z
      - .offset:         168
        .size:           8
        .value_kind:     hidden_global_offset_x
      - .offset:         176
        .size:           8
        .value_kind:     hidden_global_offset_y
      - .offset:         184
        .size:           8
        .value_kind:     hidden_global_offset_z
      - .offset:         192
        .size:           2
        .value_kind:     hidden_grid_dims
      - .offset:         248
        .size:           4
        .value_kind:     hidden_dynamic_lds_size
    .group_segment_fixed_size: 256
    .kernarg_segment_align: 8
    .kernarg_segment_size: 384
    .language:       OpenCL C
    .language_version:
      - 2
      - 0
    .max_flat_workgroup_size: 1024
    .name:           _ZN4vllm25paged_attention_v1_kernelI14__hip_bfloat16S1_Li120ELi8ELi128ELNS_18Fp8KVCacheDataTypeE0ELb0EEEvPT_PKS3_PKT0_S9_ifPKiSB_iPKfiiiSD_SD_iiiii
    .private_segment_fixed_size: 0
    .sgpr_count:     42
    .sgpr_spill_count: 0
    .symbol:         _ZN4vllm25paged_attention_v1_kernelI14__hip_bfloat16S1_Li120ELi8ELi128ELNS_18Fp8KVCacheDataTypeE0ELb0EEEvPT_PKS3_PKT0_S9_ifPKiSB_iPKfiiiSD_SD_iiiii.kd
    .uniform_work_group_size: 1
    .uses_dynamic_stack: false
    .vgpr_count:     49
    .vgpr_spill_count: 0
    .wavefront_size: 64
  - .agpr_count:     0
    .args:
      - .actual_access:  write_only
        .address_space:  global
        .offset:         0
        .size:           8
        .value_kind:     global_buffer
      - .actual_access:  read_only
        .address_space:  global
        .offset:         8
        .size:           8
        .value_kind:     global_buffer
      - .actual_access:  read_only
        .address_space:  global
        .offset:         16
        .size:           8
        .value_kind:     global_buffer
      - .actual_access:  read_only
        .address_space:  global
        .offset:         24
        .size:           8
        .value_kind:     global_buffer
      - .offset:         32
        .size:           4
        .value_kind:     by_value
      - .offset:         36
        .size:           4
        .value_kind:     by_value
      - .actual_access:  read_only
        .address_space:  global
        .offset:         40
        .size:           8
        .value_kind:     global_buffer
      - .actual_access:  read_only
        .address_space:  global
        .offset:         48
        .size:           8
        .value_kind:     global_buffer
      - .offset:         56
        .size:           4
        .value_kind:     by_value
      - .actual_access:  read_only
        .address_space:  global
        .offset:         64
        .size:           8
        .value_kind:     global_buffer
      - .offset:         72
        .size:           4
        .value_kind:     by_value
      - .offset:         76
        .size:           4
        .value_kind:     by_value
      - .offset:         80
        .size:           4
        .value_kind:     by_value
      - .address_space:  global
        .offset:         88
        .size:           8
        .value_kind:     global_buffer
      - .address_space:  global
        .offset:         96
        .size:           8
        .value_kind:     global_buffer
      - .offset:         104
        .size:           4
        .value_kind:     by_value
      - .offset:         108
        .size:           4
        .value_kind:     by_value
      - .offset:         112
        .size:           4
        .value_kind:     by_value
      - .offset:         116
        .size:           4
        .value_kind:     by_value
      - .offset:         120
        .size:           4
        .value_kind:     by_value
      - .offset:         128
        .size:           4
        .value_kind:     hidden_block_count_x
      - .offset:         132
        .size:           4
        .value_kind:     hidden_block_count_y
      - .offset:         136
        .size:           4
        .value_kind:     hidden_block_count_z
      - .offset:         140
        .size:           2
        .value_kind:     hidden_group_size_x
      - .offset:         142
        .size:           2
        .value_kind:     hidden_group_size_y
      - .offset:         144
        .size:           2
        .value_kind:     hidden_group_size_z
      - .offset:         146
        .size:           2
        .value_kind:     hidden_remainder_x
      - .offset:         148
        .size:           2
        .value_kind:     hidden_remainder_y
      - .offset:         150
        .size:           2
        .value_kind:     hidden_remainder_z
      - .offset:         168
        .size:           8
        .value_kind:     hidden_global_offset_x
      - .offset:         176
        .size:           8
        .value_kind:     hidden_global_offset_y
      - .offset:         184
        .size:           8
        .value_kind:     hidden_global_offset_z
      - .offset:         192
        .size:           2
        .value_kind:     hidden_grid_dims
      - .offset:         248
        .size:           4
        .value_kind:     hidden_dynamic_lds_size
    .group_segment_fixed_size: 272
    .kernarg_segment_align: 8
    .kernarg_segment_size: 384
    .language:       OpenCL C
    .language_version:
      - 2
      - 0
    .max_flat_workgroup_size: 1024
    .name:           _ZN4vllm25paged_attention_v1_kernelI14__hip_bfloat16S1_Li128ELi8ELi128ELNS_18Fp8KVCacheDataTypeE0ELb0EEEvPT_PKS3_PKT0_S9_ifPKiSB_iPKfiiiSD_SD_iiiii
    .private_segment_fixed_size: 0
    .sgpr_count:     40
    .sgpr_spill_count: 0
    .symbol:         _ZN4vllm25paged_attention_v1_kernelI14__hip_bfloat16S1_Li128ELi8ELi128ELNS_18Fp8KVCacheDataTypeE0ELb0EEEvPT_PKS3_PKT0_S9_ifPKiSB_iPKfiiiSD_SD_iiiii.kd
    .uniform_work_group_size: 1
    .uses_dynamic_stack: false
    .vgpr_count:     50
    .vgpr_spill_count: 0
    .wavefront_size: 64
  - .agpr_count:     0
    .args:
      - .actual_access:  write_only
        .address_space:  global
        .offset:         0
        .size:           8
        .value_kind:     global_buffer
      - .actual_access:  read_only
        .address_space:  global
        .offset:         8
        .size:           8
        .value_kind:     global_buffer
      - .actual_access:  read_only
        .address_space:  global
        .offset:         16
        .size:           8
        .value_kind:     global_buffer
      - .actual_access:  read_only
        .address_space:  global
        .offset:         24
        .size:           8
        .value_kind:     global_buffer
      - .offset:         32
        .size:           4
        .value_kind:     by_value
      - .offset:         36
        .size:           4
        .value_kind:     by_value
      - .actual_access:  read_only
        .address_space:  global
        .offset:         40
        .size:           8
        .value_kind:     global_buffer
      - .actual_access:  read_only
        .address_space:  global
        .offset:         48
        .size:           8
        .value_kind:     global_buffer
      - .offset:         56
        .size:           4
        .value_kind:     by_value
      - .actual_access:  read_only
        .address_space:  global
        .offset:         64
        .size:           8
        .value_kind:     global_buffer
      - .offset:         72
        .size:           4
        .value_kind:     by_value
      - .offset:         76
        .size:           4
        .value_kind:     by_value
      - .offset:         80
        .size:           4
        .value_kind:     by_value
      - .address_space:  global
        .offset:         88
        .size:           8
        .value_kind:     global_buffer
      - .address_space:  global
        .offset:         96
        .size:           8
        .value_kind:     global_buffer
      - .offset:         104
        .size:           4
        .value_kind:     by_value
      - .offset:         108
        .size:           4
        .value_kind:     by_value
      - .offset:         112
        .size:           4
        .value_kind:     by_value
      - .offset:         116
        .size:           4
        .value_kind:     by_value
      - .offset:         120
        .size:           4
        .value_kind:     by_value
      - .offset:         128
        .size:           4
        .value_kind:     hidden_block_count_x
      - .offset:         132
        .size:           4
        .value_kind:     hidden_block_count_y
      - .offset:         136
        .size:           4
        .value_kind:     hidden_block_count_z
      - .offset:         140
        .size:           2
        .value_kind:     hidden_group_size_x
      - .offset:         142
        .size:           2
        .value_kind:     hidden_group_size_y
      - .offset:         144
        .size:           2
        .value_kind:     hidden_group_size_z
      - .offset:         146
        .size:           2
        .value_kind:     hidden_remainder_x
      - .offset:         148
        .size:           2
        .value_kind:     hidden_remainder_y
      - .offset:         150
        .size:           2
        .value_kind:     hidden_remainder_z
      - .offset:         168
        .size:           8
        .value_kind:     hidden_global_offset_x
      - .offset:         176
        .size:           8
        .value_kind:     hidden_global_offset_y
      - .offset:         184
        .size:           8
        .value_kind:     hidden_global_offset_z
      - .offset:         192
        .size:           2
        .value_kind:     hidden_grid_dims
      - .offset:         248
        .size:           4
        .value_kind:     hidden_dynamic_lds_size
    .group_segment_fixed_size: 400
    .kernarg_segment_align: 8
    .kernarg_segment_size: 384
    .language:       OpenCL C
    .language_version:
      - 2
      - 0
    .max_flat_workgroup_size: 1024
    .name:           _ZN4vllm25paged_attention_v1_kernelI14__hip_bfloat16S1_Li192ELi8ELi128ELNS_18Fp8KVCacheDataTypeE0ELb0EEEvPT_PKS3_PKT0_S9_ifPKiSB_iPKfiiiSD_SD_iiiii
    .private_segment_fixed_size: 0
    .sgpr_count:     44
    .sgpr_spill_count: 0
    .symbol:         _ZN4vllm25paged_attention_v1_kernelI14__hip_bfloat16S1_Li192ELi8ELi128ELNS_18Fp8KVCacheDataTypeE0ELb0EEEvPT_PKS3_PKT0_S9_ifPKiSB_iPKfiiiSD_SD_iiiii.kd
    .uniform_work_group_size: 1
    .uses_dynamic_stack: false
    .vgpr_count:     65
    .vgpr_spill_count: 0
    .wavefront_size: 64
  - .agpr_count:     0
    .args:
      - .actual_access:  write_only
        .address_space:  global
        .offset:         0
        .size:           8
        .value_kind:     global_buffer
      - .actual_access:  read_only
        .address_space:  global
        .offset:         8
        .size:           8
        .value_kind:     global_buffer
      - .actual_access:  read_only
        .address_space:  global
        .offset:         16
        .size:           8
        .value_kind:     global_buffer
      - .actual_access:  read_only
        .address_space:  global
        .offset:         24
        .size:           8
        .value_kind:     global_buffer
      - .offset:         32
        .size:           4
        .value_kind:     by_value
      - .offset:         36
        .size:           4
        .value_kind:     by_value
      - .actual_access:  read_only
        .address_space:  global
        .offset:         40
        .size:           8
        .value_kind:     global_buffer
      - .actual_access:  read_only
        .address_space:  global
        .offset:         48
        .size:           8
        .value_kind:     global_buffer
      - .offset:         56
        .size:           4
        .value_kind:     by_value
      - .actual_access:  read_only
        .address_space:  global
        .offset:         64
        .size:           8
        .value_kind:     global_buffer
      - .offset:         72
        .size:           4
        .value_kind:     by_value
      - .offset:         76
        .size:           4
        .value_kind:     by_value
      - .offset:         80
        .size:           4
        .value_kind:     by_value
      - .address_space:  global
        .offset:         88
        .size:           8
        .value_kind:     global_buffer
      - .address_space:  global
        .offset:         96
        .size:           8
        .value_kind:     global_buffer
      - .offset:         104
        .size:           4
        .value_kind:     by_value
      - .offset:         108
        .size:           4
        .value_kind:     by_value
      - .offset:         112
        .size:           4
        .value_kind:     by_value
      - .offset:         116
        .size:           4
        .value_kind:     by_value
      - .offset:         120
        .size:           4
        .value_kind:     by_value
      - .offset:         128
        .size:           4
        .value_kind:     hidden_block_count_x
      - .offset:         132
        .size:           4
        .value_kind:     hidden_block_count_y
      - .offset:         136
        .size:           4
        .value_kind:     hidden_block_count_z
      - .offset:         140
        .size:           2
        .value_kind:     hidden_group_size_x
      - .offset:         142
        .size:           2
        .value_kind:     hidden_group_size_y
      - .offset:         144
        .size:           2
        .value_kind:     hidden_group_size_z
      - .offset:         146
        .size:           2
        .value_kind:     hidden_remainder_x
      - .offset:         148
        .size:           2
        .value_kind:     hidden_remainder_y
      - .offset:         150
        .size:           2
        .value_kind:     hidden_remainder_z
      - .offset:         168
        .size:           8
        .value_kind:     hidden_global_offset_x
      - .offset:         176
        .size:           8
        .value_kind:     hidden_global_offset_y
      - .offset:         184
        .size:           8
        .value_kind:     hidden_global_offset_z
      - .offset:         192
        .size:           2
        .value_kind:     hidden_grid_dims
      - .offset:         248
        .size:           4
        .value_kind:     hidden_dynamic_lds_size
    .group_segment_fixed_size: 528
    .kernarg_segment_align: 8
    .kernarg_segment_size: 384
    .language:       OpenCL C
    .language_version:
      - 2
      - 0
    .max_flat_workgroup_size: 1024
    .name:           _ZN4vllm25paged_attention_v1_kernelI14__hip_bfloat16S1_Li256ELi8ELi128ELNS_18Fp8KVCacheDataTypeE0ELb0EEEvPT_PKS3_PKT0_S9_ifPKiSB_iPKfiiiSD_SD_iiiii
    .private_segment_fixed_size: 0
    .sgpr_count:     44
    .sgpr_spill_count: 0
    .symbol:         _ZN4vllm25paged_attention_v1_kernelI14__hip_bfloat16S1_Li256ELi8ELi128ELNS_18Fp8KVCacheDataTypeE0ELb0EEEvPT_PKS3_PKT0_S9_ifPKiSB_iPKfiiiSD_SD_iiiii.kd
    .uniform_work_group_size: 1
    .uses_dynamic_stack: false
    .vgpr_count:     81
    .vgpr_spill_count: 0
    .wavefront_size: 64
  - .agpr_count:     0
    .args:
      - .actual_access:  write_only
        .address_space:  global
        .offset:         0
        .size:           8
        .value_kind:     global_buffer
      - .actual_access:  read_only
        .address_space:  global
        .offset:         8
        .size:           8
        .value_kind:     global_buffer
      - .actual_access:  read_only
        .address_space:  global
        .offset:         16
        .size:           8
        .value_kind:     global_buffer
      - .actual_access:  read_only
        .address_space:  global
        .offset:         24
        .size:           8
        .value_kind:     global_buffer
      - .offset:         32
        .size:           4
        .value_kind:     by_value
      - .offset:         36
        .size:           4
        .value_kind:     by_value
      - .actual_access:  read_only
        .address_space:  global
        .offset:         40
        .size:           8
        .value_kind:     global_buffer
      - .actual_access:  read_only
        .address_space:  global
        .offset:         48
        .size:           8
        .value_kind:     global_buffer
      - .offset:         56
        .size:           4
        .value_kind:     by_value
      - .actual_access:  read_only
        .address_space:  global
        .offset:         64
        .size:           8
        .value_kind:     global_buffer
      - .offset:         72
        .size:           4
        .value_kind:     by_value
      - .offset:         76
        .size:           4
        .value_kind:     by_value
      - .offset:         80
        .size:           4
        .value_kind:     by_value
      - .address_space:  global
        .offset:         88
        .size:           8
        .value_kind:     global_buffer
      - .address_space:  global
        .offset:         96
        .size:           8
        .value_kind:     global_buffer
      - .offset:         104
        .size:           4
        .value_kind:     by_value
      - .offset:         108
        .size:           4
        .value_kind:     by_value
      - .offset:         112
        .size:           4
        .value_kind:     by_value
      - .offset:         116
        .size:           4
        .value_kind:     by_value
      - .offset:         120
        .size:           4
        .value_kind:     by_value
      - .offset:         128
        .size:           4
        .value_kind:     hidden_block_count_x
      - .offset:         132
        .size:           4
        .value_kind:     hidden_block_count_y
      - .offset:         136
        .size:           4
        .value_kind:     hidden_block_count_z
      - .offset:         140
        .size:           2
        .value_kind:     hidden_group_size_x
      - .offset:         142
        .size:           2
        .value_kind:     hidden_group_size_y
      - .offset:         144
        .size:           2
        .value_kind:     hidden_group_size_z
      - .offset:         146
        .size:           2
        .value_kind:     hidden_remainder_x
      - .offset:         148
        .size:           2
        .value_kind:     hidden_remainder_y
      - .offset:         150
        .size:           2
        .value_kind:     hidden_remainder_z
      - .offset:         168
        .size:           8
        .value_kind:     hidden_global_offset_x
      - .offset:         176
        .size:           8
        .value_kind:     hidden_global_offset_y
      - .offset:         184
        .size:           8
        .value_kind:     hidden_global_offset_z
      - .offset:         192
        .size:           2
        .value_kind:     hidden_grid_dims
      - .offset:         248
        .size:           4
        .value_kind:     hidden_dynamic_lds_size
    .group_segment_fixed_size: 80
    .kernarg_segment_align: 8
    .kernarg_segment_size: 384
    .language:       OpenCL C
    .language_version:
      - 2
      - 0
    .max_flat_workgroup_size: 1024
    .name:           _ZN4vllm25paged_attention_v1_kernelI14__hip_bfloat16S1_Li32ELi16ELi128ELNS_18Fp8KVCacheDataTypeE0ELb1EEEvPT_PKS3_PKT0_S9_ifPKiSB_iPKfiiiSD_SD_iiiii
    .private_segment_fixed_size: 0
    .sgpr_count:     50
    .sgpr_spill_count: 0
    .symbol:         _ZN4vllm25paged_attention_v1_kernelI14__hip_bfloat16S1_Li32ELi16ELi128ELNS_18Fp8KVCacheDataTypeE0ELb1EEEvPT_PKS3_PKT0_S9_ifPKiSB_iPKfiiiSD_SD_iiiii.kd
    .uniform_work_group_size: 1
    .uses_dynamic_stack: false
    .vgpr_count:     39
    .vgpr_spill_count: 0
    .wavefront_size: 64
  - .agpr_count:     0
    .args:
      - .actual_access:  write_only
        .address_space:  global
        .offset:         0
        .size:           8
        .value_kind:     global_buffer
      - .actual_access:  read_only
        .address_space:  global
        .offset:         8
        .size:           8
        .value_kind:     global_buffer
      - .actual_access:  read_only
        .address_space:  global
        .offset:         16
        .size:           8
        .value_kind:     global_buffer
      - .actual_access:  read_only
        .address_space:  global
        .offset:         24
        .size:           8
        .value_kind:     global_buffer
      - .offset:         32
        .size:           4
        .value_kind:     by_value
      - .offset:         36
        .size:           4
        .value_kind:     by_value
      - .actual_access:  read_only
        .address_space:  global
        .offset:         40
        .size:           8
        .value_kind:     global_buffer
      - .actual_access:  read_only
        .address_space:  global
        .offset:         48
        .size:           8
        .value_kind:     global_buffer
      - .offset:         56
        .size:           4
        .value_kind:     by_value
      - .actual_access:  read_only
        .address_space:  global
        .offset:         64
        .size:           8
        .value_kind:     global_buffer
      - .offset:         72
        .size:           4
        .value_kind:     by_value
      - .offset:         76
        .size:           4
        .value_kind:     by_value
      - .offset:         80
        .size:           4
        .value_kind:     by_value
      - .address_space:  global
        .offset:         88
        .size:           8
        .value_kind:     global_buffer
      - .address_space:  global
        .offset:         96
        .size:           8
        .value_kind:     global_buffer
      - .offset:         104
        .size:           4
        .value_kind:     by_value
      - .offset:         108
        .size:           4
        .value_kind:     by_value
      - .offset:         112
        .size:           4
        .value_kind:     by_value
      - .offset:         116
        .size:           4
        .value_kind:     by_value
      - .offset:         120
        .size:           4
        .value_kind:     by_value
      - .offset:         128
        .size:           4
        .value_kind:     hidden_block_count_x
      - .offset:         132
        .size:           4
        .value_kind:     hidden_block_count_y
      - .offset:         136
        .size:           4
        .value_kind:     hidden_block_count_z
      - .offset:         140
        .size:           2
        .value_kind:     hidden_group_size_x
      - .offset:         142
        .size:           2
        .value_kind:     hidden_group_size_y
      - .offset:         144
        .size:           2
        .value_kind:     hidden_group_size_z
      - .offset:         146
        .size:           2
        .value_kind:     hidden_remainder_x
      - .offset:         148
        .size:           2
        .value_kind:     hidden_remainder_y
      - .offset:         150
        .size:           2
        .value_kind:     hidden_remainder_z
      - .offset:         168
        .size:           8
        .value_kind:     hidden_global_offset_x
      - .offset:         176
        .size:           8
        .value_kind:     hidden_global_offset_y
      - .offset:         184
        .size:           8
        .value_kind:     hidden_global_offset_z
      - .offset:         192
        .size:           2
        .value_kind:     hidden_grid_dims
      - .offset:         248
        .size:           4
        .value_kind:     hidden_dynamic_lds_size
    .group_segment_fixed_size: 144
    .kernarg_segment_align: 8
    .kernarg_segment_size: 384
    .language:       OpenCL C
    .language_version:
      - 2
      - 0
    .max_flat_workgroup_size: 1024
    .name:           _ZN4vllm25paged_attention_v1_kernelI14__hip_bfloat16S1_Li64ELi16ELi128ELNS_18Fp8KVCacheDataTypeE0ELb1EEEvPT_PKS3_PKT0_S9_ifPKiSB_iPKfiiiSD_SD_iiiii
    .private_segment_fixed_size: 0
    .sgpr_count:     50
    .sgpr_spill_count: 0
    .symbol:         _ZN4vllm25paged_attention_v1_kernelI14__hip_bfloat16S1_Li64ELi16ELi128ELNS_18Fp8KVCacheDataTypeE0ELb1EEEvPT_PKS3_PKT0_S9_ifPKiSB_iPKfiiiSD_SD_iiiii.kd
    .uniform_work_group_size: 1
    .uses_dynamic_stack: false
    .vgpr_count:     55
    .vgpr_spill_count: 0
    .wavefront_size: 64
  - .agpr_count:     0
    .args:
      - .actual_access:  write_only
        .address_space:  global
        .offset:         0
        .size:           8
        .value_kind:     global_buffer
      - .actual_access:  read_only
        .address_space:  global
        .offset:         8
        .size:           8
        .value_kind:     global_buffer
      - .actual_access:  read_only
        .address_space:  global
        .offset:         16
        .size:           8
        .value_kind:     global_buffer
      - .actual_access:  read_only
        .address_space:  global
        .offset:         24
        .size:           8
        .value_kind:     global_buffer
      - .offset:         32
        .size:           4
        .value_kind:     by_value
      - .offset:         36
        .size:           4
        .value_kind:     by_value
      - .actual_access:  read_only
        .address_space:  global
        .offset:         40
        .size:           8
        .value_kind:     global_buffer
      - .actual_access:  read_only
        .address_space:  global
        .offset:         48
        .size:           8
        .value_kind:     global_buffer
      - .offset:         56
        .size:           4
        .value_kind:     by_value
      - .actual_access:  read_only
        .address_space:  global
        .offset:         64
        .size:           8
        .value_kind:     global_buffer
      - .offset:         72
        .size:           4
        .value_kind:     by_value
      - .offset:         76
        .size:           4
        .value_kind:     by_value
      - .offset:         80
        .size:           4
        .value_kind:     by_value
      - .address_space:  global
        .offset:         88
        .size:           8
        .value_kind:     global_buffer
      - .address_space:  global
        .offset:         96
        .size:           8
        .value_kind:     global_buffer
      - .offset:         104
        .size:           4
        .value_kind:     by_value
      - .offset:         108
        .size:           4
        .value_kind:     by_value
      - .offset:         112
        .size:           4
        .value_kind:     by_value
      - .offset:         116
        .size:           4
        .value_kind:     by_value
      - .offset:         120
        .size:           4
        .value_kind:     by_value
      - .offset:         128
        .size:           4
        .value_kind:     hidden_block_count_x
      - .offset:         132
        .size:           4
        .value_kind:     hidden_block_count_y
      - .offset:         136
        .size:           4
        .value_kind:     hidden_block_count_z
      - .offset:         140
        .size:           2
        .value_kind:     hidden_group_size_x
      - .offset:         142
        .size:           2
        .value_kind:     hidden_group_size_y
      - .offset:         144
        .size:           2
        .value_kind:     hidden_group_size_z
      - .offset:         146
        .size:           2
        .value_kind:     hidden_remainder_x
      - .offset:         148
        .size:           2
        .value_kind:     hidden_remainder_y
      - .offset:         150
        .size:           2
        .value_kind:     hidden_remainder_z
      - .offset:         168
        .size:           8
        .value_kind:     hidden_global_offset_x
      - .offset:         176
        .size:           8
        .value_kind:     hidden_global_offset_y
      - .offset:         184
        .size:           8
        .value_kind:     hidden_global_offset_z
      - .offset:         192
        .size:           2
        .value_kind:     hidden_grid_dims
      - .offset:         248
        .size:           4
        .value_kind:     hidden_dynamic_lds_size
    .group_segment_fixed_size: 176
    .kernarg_segment_align: 8
    .kernarg_segment_size: 384
    .language:       OpenCL C
    .language_version:
      - 2
      - 0
    .max_flat_workgroup_size: 1024
    .name:           _ZN4vllm25paged_attention_v1_kernelI14__hip_bfloat16S1_Li80ELi16ELi128ELNS_18Fp8KVCacheDataTypeE0ELb1EEEvPT_PKS3_PKT0_S9_ifPKiSB_iPKfiiiSD_SD_iiiii
    .private_segment_fixed_size: 0
    .sgpr_count:     50
    .sgpr_spill_count: 0
    .symbol:         _ZN4vllm25paged_attention_v1_kernelI14__hip_bfloat16S1_Li80ELi16ELi128ELNS_18Fp8KVCacheDataTypeE0ELb1EEEvPT_PKS3_PKT0_S9_ifPKiSB_iPKfiiiSD_SD_iiiii.kd
    .uniform_work_group_size: 1
    .uses_dynamic_stack: false
    .vgpr_count:     63
    .vgpr_spill_count: 0
    .wavefront_size: 64
  - .agpr_count:     0
    .args:
      - .actual_access:  write_only
        .address_space:  global
        .offset:         0
        .size:           8
        .value_kind:     global_buffer
      - .actual_access:  read_only
        .address_space:  global
        .offset:         8
        .size:           8
        .value_kind:     global_buffer
      - .actual_access:  read_only
        .address_space:  global
        .offset:         16
        .size:           8
        .value_kind:     global_buffer
      - .actual_access:  read_only
        .address_space:  global
        .offset:         24
        .size:           8
        .value_kind:     global_buffer
      - .offset:         32
        .size:           4
        .value_kind:     by_value
      - .offset:         36
        .size:           4
        .value_kind:     by_value
      - .actual_access:  read_only
        .address_space:  global
        .offset:         40
        .size:           8
        .value_kind:     global_buffer
      - .actual_access:  read_only
        .address_space:  global
        .offset:         48
        .size:           8
        .value_kind:     global_buffer
      - .offset:         56
        .size:           4
        .value_kind:     by_value
      - .actual_access:  read_only
        .address_space:  global
        .offset:         64
        .size:           8
        .value_kind:     global_buffer
      - .offset:         72
        .size:           4
        .value_kind:     by_value
      - .offset:         76
        .size:           4
        .value_kind:     by_value
      - .offset:         80
        .size:           4
        .value_kind:     by_value
      - .address_space:  global
        .offset:         88
        .size:           8
        .value_kind:     global_buffer
      - .address_space:  global
        .offset:         96
        .size:           8
        .value_kind:     global_buffer
      - .offset:         104
        .size:           4
        .value_kind:     by_value
      - .offset:         108
        .size:           4
        .value_kind:     by_value
      - .offset:         112
        .size:           4
        .value_kind:     by_value
      - .offset:         116
        .size:           4
        .value_kind:     by_value
      - .offset:         120
        .size:           4
        .value_kind:     by_value
      - .offset:         128
        .size:           4
        .value_kind:     hidden_block_count_x
      - .offset:         132
        .size:           4
        .value_kind:     hidden_block_count_y
      - .offset:         136
        .size:           4
        .value_kind:     hidden_block_count_z
      - .offset:         140
        .size:           2
        .value_kind:     hidden_group_size_x
      - .offset:         142
        .size:           2
        .value_kind:     hidden_group_size_y
      - .offset:         144
        .size:           2
        .value_kind:     hidden_group_size_z
      - .offset:         146
        .size:           2
        .value_kind:     hidden_remainder_x
      - .offset:         148
        .size:           2
        .value_kind:     hidden_remainder_y
      - .offset:         150
        .size:           2
        .value_kind:     hidden_remainder_z
      - .offset:         168
        .size:           8
        .value_kind:     hidden_global_offset_x
      - .offset:         176
        .size:           8
        .value_kind:     hidden_global_offset_y
      - .offset:         184
        .size:           8
        .value_kind:     hidden_global_offset_z
      - .offset:         192
        .size:           2
        .value_kind:     hidden_grid_dims
      - .offset:         248
        .size:           4
        .value_kind:     hidden_dynamic_lds_size
    .group_segment_fixed_size: 208
    .kernarg_segment_align: 8
    .kernarg_segment_size: 384
    .language:       OpenCL C
    .language_version:
      - 2
      - 0
    .max_flat_workgroup_size: 1024
    .name:           _ZN4vllm25paged_attention_v1_kernelI14__hip_bfloat16S1_Li96ELi16ELi128ELNS_18Fp8KVCacheDataTypeE0ELb1EEEvPT_PKS3_PKT0_S9_ifPKiSB_iPKfiiiSD_SD_iiiii
    .private_segment_fixed_size: 0
    .sgpr_count:     50
    .sgpr_spill_count: 0
    .symbol:         _ZN4vllm25paged_attention_v1_kernelI14__hip_bfloat16S1_Li96ELi16ELi128ELNS_18Fp8KVCacheDataTypeE0ELb1EEEvPT_PKS3_PKT0_S9_ifPKiSB_iPKfiiiSD_SD_iiiii.kd
    .uniform_work_group_size: 1
    .uses_dynamic_stack: false
    .vgpr_count:     71
    .vgpr_spill_count: 0
    .wavefront_size: 64
  - .agpr_count:     0
    .args:
      - .actual_access:  write_only
        .address_space:  global
        .offset:         0
        .size:           8
        .value_kind:     global_buffer
      - .actual_access:  read_only
        .address_space:  global
        .offset:         8
        .size:           8
        .value_kind:     global_buffer
      - .actual_access:  read_only
        .address_space:  global
        .offset:         16
        .size:           8
        .value_kind:     global_buffer
      - .actual_access:  read_only
        .address_space:  global
        .offset:         24
        .size:           8
        .value_kind:     global_buffer
      - .offset:         32
        .size:           4
        .value_kind:     by_value
      - .offset:         36
        .size:           4
        .value_kind:     by_value
      - .actual_access:  read_only
        .address_space:  global
        .offset:         40
        .size:           8
        .value_kind:     global_buffer
      - .actual_access:  read_only
        .address_space:  global
        .offset:         48
        .size:           8
        .value_kind:     global_buffer
      - .offset:         56
        .size:           4
        .value_kind:     by_value
      - .actual_access:  read_only
        .address_space:  global
        .offset:         64
        .size:           8
        .value_kind:     global_buffer
      - .offset:         72
        .size:           4
        .value_kind:     by_value
      - .offset:         76
        .size:           4
        .value_kind:     by_value
      - .offset:         80
        .size:           4
        .value_kind:     by_value
      - .address_space:  global
        .offset:         88
        .size:           8
        .value_kind:     global_buffer
      - .address_space:  global
        .offset:         96
        .size:           8
        .value_kind:     global_buffer
      - .offset:         104
        .size:           4
        .value_kind:     by_value
      - .offset:         108
        .size:           4
        .value_kind:     by_value
      - .offset:         112
        .size:           4
        .value_kind:     by_value
      - .offset:         116
        .size:           4
        .value_kind:     by_value
      - .offset:         120
        .size:           4
        .value_kind:     by_value
      - .offset:         128
        .size:           4
        .value_kind:     hidden_block_count_x
      - .offset:         132
        .size:           4
        .value_kind:     hidden_block_count_y
      - .offset:         136
        .size:           4
        .value_kind:     hidden_block_count_z
      - .offset:         140
        .size:           2
        .value_kind:     hidden_group_size_x
      - .offset:         142
        .size:           2
        .value_kind:     hidden_group_size_y
      - .offset:         144
        .size:           2
        .value_kind:     hidden_group_size_z
      - .offset:         146
        .size:           2
        .value_kind:     hidden_remainder_x
      - .offset:         148
        .size:           2
        .value_kind:     hidden_remainder_y
      - .offset:         150
        .size:           2
        .value_kind:     hidden_remainder_z
      - .offset:         168
        .size:           8
        .value_kind:     hidden_global_offset_x
      - .offset:         176
        .size:           8
        .value_kind:     hidden_global_offset_y
      - .offset:         184
        .size:           8
        .value_kind:     hidden_global_offset_z
      - .offset:         192
        .size:           2
        .value_kind:     hidden_grid_dims
      - .offset:         248
        .size:           4
        .value_kind:     hidden_dynamic_lds_size
    .group_segment_fixed_size: 240
    .kernarg_segment_align: 8
    .kernarg_segment_size: 384
    .language:       OpenCL C
    .language_version:
      - 2
      - 0
    .max_flat_workgroup_size: 1024
    .name:           _ZN4vllm25paged_attention_v1_kernelI14__hip_bfloat16S1_Li112ELi16ELi128ELNS_18Fp8KVCacheDataTypeE0ELb1EEEvPT_PKS3_PKT0_S9_ifPKiSB_iPKfiiiSD_SD_iiiii
    .private_segment_fixed_size: 0
    .sgpr_count:     50
    .sgpr_spill_count: 0
    .symbol:         _ZN4vllm25paged_attention_v1_kernelI14__hip_bfloat16S1_Li112ELi16ELi128ELNS_18Fp8KVCacheDataTypeE0ELb1EEEvPT_PKS3_PKT0_S9_ifPKiSB_iPKfiiiSD_SD_iiiii.kd
    .uniform_work_group_size: 1
    .uses_dynamic_stack: false
    .vgpr_count:     79
    .vgpr_spill_count: 0
    .wavefront_size: 64
  - .agpr_count:     0
    .args:
      - .actual_access:  write_only
        .address_space:  global
        .offset:         0
        .size:           8
        .value_kind:     global_buffer
      - .actual_access:  read_only
        .address_space:  global
        .offset:         8
        .size:           8
        .value_kind:     global_buffer
      - .actual_access:  read_only
        .address_space:  global
        .offset:         16
        .size:           8
        .value_kind:     global_buffer
      - .actual_access:  read_only
        .address_space:  global
        .offset:         24
        .size:           8
        .value_kind:     global_buffer
      - .offset:         32
        .size:           4
        .value_kind:     by_value
      - .offset:         36
        .size:           4
        .value_kind:     by_value
      - .actual_access:  read_only
        .address_space:  global
        .offset:         40
        .size:           8
        .value_kind:     global_buffer
      - .actual_access:  read_only
        .address_space:  global
        .offset:         48
        .size:           8
        .value_kind:     global_buffer
      - .offset:         56
        .size:           4
        .value_kind:     by_value
      - .actual_access:  read_only
        .address_space:  global
        .offset:         64
        .size:           8
        .value_kind:     global_buffer
      - .offset:         72
        .size:           4
        .value_kind:     by_value
      - .offset:         76
        .size:           4
        .value_kind:     by_value
      - .offset:         80
        .size:           4
        .value_kind:     by_value
      - .address_space:  global
        .offset:         88
        .size:           8
        .value_kind:     global_buffer
      - .address_space:  global
        .offset:         96
        .size:           8
        .value_kind:     global_buffer
      - .offset:         104
        .size:           4
        .value_kind:     by_value
      - .offset:         108
        .size:           4
        .value_kind:     by_value
      - .offset:         112
        .size:           4
        .value_kind:     by_value
      - .offset:         116
        .size:           4
        .value_kind:     by_value
      - .offset:         120
        .size:           4
        .value_kind:     by_value
      - .offset:         128
        .size:           4
        .value_kind:     hidden_block_count_x
      - .offset:         132
        .size:           4
        .value_kind:     hidden_block_count_y
      - .offset:         136
        .size:           4
        .value_kind:     hidden_block_count_z
      - .offset:         140
        .size:           2
        .value_kind:     hidden_group_size_x
      - .offset:         142
        .size:           2
        .value_kind:     hidden_group_size_y
      - .offset:         144
        .size:           2
        .value_kind:     hidden_group_size_z
      - .offset:         146
        .size:           2
        .value_kind:     hidden_remainder_x
      - .offset:         148
        .size:           2
        .value_kind:     hidden_remainder_y
      - .offset:         150
        .size:           2
        .value_kind:     hidden_remainder_z
      - .offset:         168
        .size:           8
        .value_kind:     hidden_global_offset_x
      - .offset:         176
        .size:           8
        .value_kind:     hidden_global_offset_y
      - .offset:         184
        .size:           8
        .value_kind:     hidden_global_offset_z
      - .offset:         192
        .size:           2
        .value_kind:     hidden_grid_dims
      - .offset:         248
        .size:           4
        .value_kind:     hidden_dynamic_lds_size
    .group_segment_fixed_size: 256
    .kernarg_segment_align: 8
    .kernarg_segment_size: 384
    .language:       OpenCL C
    .language_version:
      - 2
      - 0
    .max_flat_workgroup_size: 1024
    .name:           _ZN4vllm25paged_attention_v1_kernelI14__hip_bfloat16S1_Li120ELi16ELi128ELNS_18Fp8KVCacheDataTypeE0ELb1EEEvPT_PKS3_PKT0_S9_ifPKiSB_iPKfiiiSD_SD_iiiii
    .private_segment_fixed_size: 0
    .sgpr_count:     50
    .sgpr_spill_count: 0
    .symbol:         _ZN4vllm25paged_attention_v1_kernelI14__hip_bfloat16S1_Li120ELi16ELi128ELNS_18Fp8KVCacheDataTypeE0ELb1EEEvPT_PKS3_PKT0_S9_ifPKiSB_iPKfiiiSD_SD_iiiii.kd
    .uniform_work_group_size: 1
    .uses_dynamic_stack: false
    .vgpr_count:     83
    .vgpr_spill_count: 0
    .wavefront_size: 64
  - .agpr_count:     0
    .args:
      - .actual_access:  write_only
        .address_space:  global
        .offset:         0
        .size:           8
        .value_kind:     global_buffer
      - .actual_access:  read_only
        .address_space:  global
        .offset:         8
        .size:           8
        .value_kind:     global_buffer
      - .actual_access:  read_only
        .address_space:  global
        .offset:         16
        .size:           8
        .value_kind:     global_buffer
      - .actual_access:  read_only
        .address_space:  global
        .offset:         24
        .size:           8
        .value_kind:     global_buffer
      - .offset:         32
        .size:           4
        .value_kind:     by_value
      - .offset:         36
        .size:           4
        .value_kind:     by_value
      - .actual_access:  read_only
        .address_space:  global
        .offset:         40
        .size:           8
        .value_kind:     global_buffer
      - .actual_access:  read_only
        .address_space:  global
        .offset:         48
        .size:           8
        .value_kind:     global_buffer
      - .offset:         56
        .size:           4
        .value_kind:     by_value
      - .actual_access:  read_only
        .address_space:  global
        .offset:         64
        .size:           8
        .value_kind:     global_buffer
      - .offset:         72
        .size:           4
        .value_kind:     by_value
      - .offset:         76
        .size:           4
        .value_kind:     by_value
      - .offset:         80
        .size:           4
        .value_kind:     by_value
      - .address_space:  global
        .offset:         88
        .size:           8
        .value_kind:     global_buffer
      - .address_space:  global
        .offset:         96
        .size:           8
        .value_kind:     global_buffer
      - .offset:         104
        .size:           4
        .value_kind:     by_value
      - .offset:         108
        .size:           4
        .value_kind:     by_value
      - .offset:         112
        .size:           4
        .value_kind:     by_value
      - .offset:         116
        .size:           4
        .value_kind:     by_value
      - .offset:         120
        .size:           4
        .value_kind:     by_value
      - .offset:         128
        .size:           4
        .value_kind:     hidden_block_count_x
      - .offset:         132
        .size:           4
        .value_kind:     hidden_block_count_y
      - .offset:         136
        .size:           4
        .value_kind:     hidden_block_count_z
      - .offset:         140
        .size:           2
        .value_kind:     hidden_group_size_x
      - .offset:         142
        .size:           2
        .value_kind:     hidden_group_size_y
      - .offset:         144
        .size:           2
        .value_kind:     hidden_group_size_z
      - .offset:         146
        .size:           2
        .value_kind:     hidden_remainder_x
      - .offset:         148
        .size:           2
        .value_kind:     hidden_remainder_y
      - .offset:         150
        .size:           2
        .value_kind:     hidden_remainder_z
      - .offset:         168
        .size:           8
        .value_kind:     hidden_global_offset_x
      - .offset:         176
        .size:           8
        .value_kind:     hidden_global_offset_y
      - .offset:         184
        .size:           8
        .value_kind:     hidden_global_offset_z
      - .offset:         192
        .size:           2
        .value_kind:     hidden_grid_dims
      - .offset:         248
        .size:           4
        .value_kind:     hidden_dynamic_lds_size
    .group_segment_fixed_size: 272
    .kernarg_segment_align: 8
    .kernarg_segment_size: 384
    .language:       OpenCL C
    .language_version:
      - 2
      - 0
    .max_flat_workgroup_size: 1024
    .name:           _ZN4vllm25paged_attention_v1_kernelI14__hip_bfloat16S1_Li128ELi16ELi128ELNS_18Fp8KVCacheDataTypeE0ELb1EEEvPT_PKS3_PKT0_S9_ifPKiSB_iPKfiiiSD_SD_iiiii
    .private_segment_fixed_size: 0
    .sgpr_count:     52
    .sgpr_spill_count: 0
    .symbol:         _ZN4vllm25paged_attention_v1_kernelI14__hip_bfloat16S1_Li128ELi16ELi128ELNS_18Fp8KVCacheDataTypeE0ELb1EEEvPT_PKS3_PKT0_S9_ifPKiSB_iPKfiiiSD_SD_iiiii.kd
    .uniform_work_group_size: 1
    .uses_dynamic_stack: false
    .vgpr_count:     87
    .vgpr_spill_count: 0
    .wavefront_size: 64
  - .agpr_count:     0
    .args:
      - .actual_access:  write_only
        .address_space:  global
        .offset:         0
        .size:           8
        .value_kind:     global_buffer
      - .actual_access:  read_only
        .address_space:  global
        .offset:         8
        .size:           8
        .value_kind:     global_buffer
      - .actual_access:  read_only
        .address_space:  global
        .offset:         16
        .size:           8
        .value_kind:     global_buffer
      - .actual_access:  read_only
        .address_space:  global
        .offset:         24
        .size:           8
        .value_kind:     global_buffer
      - .offset:         32
        .size:           4
        .value_kind:     by_value
      - .offset:         36
        .size:           4
        .value_kind:     by_value
      - .actual_access:  read_only
        .address_space:  global
        .offset:         40
        .size:           8
        .value_kind:     global_buffer
      - .actual_access:  read_only
        .address_space:  global
        .offset:         48
        .size:           8
        .value_kind:     global_buffer
      - .offset:         56
        .size:           4
        .value_kind:     by_value
      - .actual_access:  read_only
        .address_space:  global
        .offset:         64
        .size:           8
        .value_kind:     global_buffer
      - .offset:         72
        .size:           4
        .value_kind:     by_value
      - .offset:         76
        .size:           4
        .value_kind:     by_value
      - .offset:         80
        .size:           4
        .value_kind:     by_value
      - .address_space:  global
        .offset:         88
        .size:           8
        .value_kind:     global_buffer
      - .address_space:  global
        .offset:         96
        .size:           8
        .value_kind:     global_buffer
      - .offset:         104
        .size:           4
        .value_kind:     by_value
      - .offset:         108
        .size:           4
        .value_kind:     by_value
      - .offset:         112
        .size:           4
        .value_kind:     by_value
      - .offset:         116
        .size:           4
        .value_kind:     by_value
      - .offset:         120
        .size:           4
        .value_kind:     by_value
      - .offset:         128
        .size:           4
        .value_kind:     hidden_block_count_x
      - .offset:         132
        .size:           4
        .value_kind:     hidden_block_count_y
      - .offset:         136
        .size:           4
        .value_kind:     hidden_block_count_z
      - .offset:         140
        .size:           2
        .value_kind:     hidden_group_size_x
      - .offset:         142
        .size:           2
        .value_kind:     hidden_group_size_y
      - .offset:         144
        .size:           2
        .value_kind:     hidden_group_size_z
      - .offset:         146
        .size:           2
        .value_kind:     hidden_remainder_x
      - .offset:         148
        .size:           2
        .value_kind:     hidden_remainder_y
      - .offset:         150
        .size:           2
        .value_kind:     hidden_remainder_z
      - .offset:         168
        .size:           8
        .value_kind:     hidden_global_offset_x
      - .offset:         176
        .size:           8
        .value_kind:     hidden_global_offset_y
      - .offset:         184
        .size:           8
        .value_kind:     hidden_global_offset_z
      - .offset:         192
        .size:           2
        .value_kind:     hidden_grid_dims
      - .offset:         248
        .size:           4
        .value_kind:     hidden_dynamic_lds_size
    .group_segment_fixed_size: 400
    .kernarg_segment_align: 8
    .kernarg_segment_size: 384
    .language:       OpenCL C
    .language_version:
      - 2
      - 0
    .max_flat_workgroup_size: 1024
    .name:           _ZN4vllm25paged_attention_v1_kernelI14__hip_bfloat16S1_Li192ELi16ELi128ELNS_18Fp8KVCacheDataTypeE0ELb1EEEvPT_PKS3_PKT0_S9_ifPKiSB_iPKfiiiSD_SD_iiiii
    .private_segment_fixed_size: 0
    .sgpr_count:     51
    .sgpr_spill_count: 0
    .symbol:         _ZN4vllm25paged_attention_v1_kernelI14__hip_bfloat16S1_Li192ELi16ELi128ELNS_18Fp8KVCacheDataTypeE0ELb1EEEvPT_PKS3_PKT0_S9_ifPKiSB_iPKfiiiSD_SD_iiiii.kd
    .uniform_work_group_size: 1
    .uses_dynamic_stack: false
    .vgpr_count:     105
    .vgpr_spill_count: 0
    .wavefront_size: 64
  - .agpr_count:     0
    .args:
      - .actual_access:  write_only
        .address_space:  global
        .offset:         0
        .size:           8
        .value_kind:     global_buffer
      - .actual_access:  read_only
        .address_space:  global
        .offset:         8
        .size:           8
        .value_kind:     global_buffer
      - .actual_access:  read_only
        .address_space:  global
        .offset:         16
        .size:           8
        .value_kind:     global_buffer
      - .actual_access:  read_only
        .address_space:  global
        .offset:         24
        .size:           8
        .value_kind:     global_buffer
      - .offset:         32
        .size:           4
        .value_kind:     by_value
      - .offset:         36
        .size:           4
        .value_kind:     by_value
      - .actual_access:  read_only
        .address_space:  global
        .offset:         40
        .size:           8
        .value_kind:     global_buffer
      - .actual_access:  read_only
        .address_space:  global
        .offset:         48
        .size:           8
        .value_kind:     global_buffer
      - .offset:         56
        .size:           4
        .value_kind:     by_value
      - .actual_access:  read_only
        .address_space:  global
        .offset:         64
        .size:           8
        .value_kind:     global_buffer
      - .offset:         72
        .size:           4
        .value_kind:     by_value
      - .offset:         76
        .size:           4
        .value_kind:     by_value
      - .offset:         80
        .size:           4
        .value_kind:     by_value
      - .address_space:  global
        .offset:         88
        .size:           8
        .value_kind:     global_buffer
      - .address_space:  global
        .offset:         96
        .size:           8
        .value_kind:     global_buffer
      - .offset:         104
        .size:           4
        .value_kind:     by_value
      - .offset:         108
        .size:           4
        .value_kind:     by_value
      - .offset:         112
        .size:           4
        .value_kind:     by_value
      - .offset:         116
        .size:           4
        .value_kind:     by_value
      - .offset:         120
        .size:           4
        .value_kind:     by_value
      - .offset:         128
        .size:           4
        .value_kind:     hidden_block_count_x
      - .offset:         132
        .size:           4
        .value_kind:     hidden_block_count_y
      - .offset:         136
        .size:           4
        .value_kind:     hidden_block_count_z
      - .offset:         140
        .size:           2
        .value_kind:     hidden_group_size_x
      - .offset:         142
        .size:           2
        .value_kind:     hidden_group_size_y
      - .offset:         144
        .size:           2
        .value_kind:     hidden_group_size_z
      - .offset:         146
        .size:           2
        .value_kind:     hidden_remainder_x
      - .offset:         148
        .size:           2
        .value_kind:     hidden_remainder_y
      - .offset:         150
        .size:           2
        .value_kind:     hidden_remainder_z
      - .offset:         168
        .size:           8
        .value_kind:     hidden_global_offset_x
      - .offset:         176
        .size:           8
        .value_kind:     hidden_global_offset_y
      - .offset:         184
        .size:           8
        .value_kind:     hidden_global_offset_z
      - .offset:         192
        .size:           2
        .value_kind:     hidden_grid_dims
      - .offset:         248
        .size:           4
        .value_kind:     hidden_dynamic_lds_size
    .group_segment_fixed_size: 528
    .kernarg_segment_align: 8
    .kernarg_segment_size: 384
    .language:       OpenCL C
    .language_version:
      - 2
      - 0
    .max_flat_workgroup_size: 1024
    .name:           _ZN4vllm25paged_attention_v1_kernelI14__hip_bfloat16S1_Li256ELi16ELi128ELNS_18Fp8KVCacheDataTypeE0ELb1EEEvPT_PKS3_PKT0_S9_ifPKiSB_iPKfiiiSD_SD_iiiii
    .private_segment_fixed_size: 0
    .sgpr_count:     51
    .sgpr_spill_count: 0
    .symbol:         _ZN4vllm25paged_attention_v1_kernelI14__hip_bfloat16S1_Li256ELi16ELi128ELNS_18Fp8KVCacheDataTypeE0ELb1EEEvPT_PKS3_PKT0_S9_ifPKiSB_iPKfiiiSD_SD_iiiii.kd
    .uniform_work_group_size: 1
    .uses_dynamic_stack: false
    .vgpr_count:     105
    .vgpr_spill_count: 0
    .wavefront_size: 64
  - .agpr_count:     0
    .args:
      - .actual_access:  write_only
        .address_space:  global
        .offset:         0
        .size:           8
        .value_kind:     global_buffer
      - .actual_access:  read_only
        .address_space:  global
        .offset:         8
        .size:           8
        .value_kind:     global_buffer
      - .actual_access:  read_only
        .address_space:  global
        .offset:         16
        .size:           8
        .value_kind:     global_buffer
      - .actual_access:  read_only
        .address_space:  global
        .offset:         24
        .size:           8
        .value_kind:     global_buffer
      - .offset:         32
        .size:           4
        .value_kind:     by_value
      - .offset:         36
        .size:           4
        .value_kind:     by_value
      - .actual_access:  read_only
        .address_space:  global
        .offset:         40
        .size:           8
        .value_kind:     global_buffer
      - .actual_access:  read_only
        .address_space:  global
        .offset:         48
        .size:           8
        .value_kind:     global_buffer
      - .offset:         56
        .size:           4
        .value_kind:     by_value
      - .actual_access:  read_only
        .address_space:  global
        .offset:         64
        .size:           8
        .value_kind:     global_buffer
      - .offset:         72
        .size:           4
        .value_kind:     by_value
      - .offset:         76
        .size:           4
        .value_kind:     by_value
      - .offset:         80
        .size:           4
        .value_kind:     by_value
      - .address_space:  global
        .offset:         88
        .size:           8
        .value_kind:     global_buffer
      - .address_space:  global
        .offset:         96
        .size:           8
        .value_kind:     global_buffer
      - .offset:         104
        .size:           4
        .value_kind:     by_value
      - .offset:         108
        .size:           4
        .value_kind:     by_value
      - .offset:         112
        .size:           4
        .value_kind:     by_value
      - .offset:         116
        .size:           4
        .value_kind:     by_value
      - .offset:         120
        .size:           4
        .value_kind:     by_value
      - .offset:         128
        .size:           4
        .value_kind:     hidden_block_count_x
      - .offset:         132
        .size:           4
        .value_kind:     hidden_block_count_y
      - .offset:         136
        .size:           4
        .value_kind:     hidden_block_count_z
      - .offset:         140
        .size:           2
        .value_kind:     hidden_group_size_x
      - .offset:         142
        .size:           2
        .value_kind:     hidden_group_size_y
      - .offset:         144
        .size:           2
        .value_kind:     hidden_group_size_z
      - .offset:         146
        .size:           2
        .value_kind:     hidden_remainder_x
      - .offset:         148
        .size:           2
        .value_kind:     hidden_remainder_y
      - .offset:         150
        .size:           2
        .value_kind:     hidden_remainder_z
      - .offset:         168
        .size:           8
        .value_kind:     hidden_global_offset_x
      - .offset:         176
        .size:           8
        .value_kind:     hidden_global_offset_y
      - .offset:         184
        .size:           8
        .value_kind:     hidden_global_offset_z
      - .offset:         192
        .size:           2
        .value_kind:     hidden_grid_dims
      - .offset:         248
        .size:           4
        .value_kind:     hidden_dynamic_lds_size
    .group_segment_fixed_size: 80
    .kernarg_segment_align: 8
    .kernarg_segment_size: 384
    .language:       OpenCL C
    .language_version:
      - 2
      - 0
    .max_flat_workgroup_size: 1024
    .name:           _ZN4vllm25paged_attention_v1_kernelI14__hip_bfloat16S1_Li32ELi16ELi128ELNS_18Fp8KVCacheDataTypeE0ELb0EEEvPT_PKS3_PKT0_S9_ifPKiSB_iPKfiiiSD_SD_iiiii
    .private_segment_fixed_size: 0
    .sgpr_count:     40
    .sgpr_spill_count: 0
    .symbol:         _ZN4vllm25paged_attention_v1_kernelI14__hip_bfloat16S1_Li32ELi16ELi128ELNS_18Fp8KVCacheDataTypeE0ELb0EEEvPT_PKS3_PKT0_S9_ifPKiSB_iPKfiiiSD_SD_iiiii.kd
    .uniform_work_group_size: 1
    .uses_dynamic_stack: false
    .vgpr_count:     31
    .vgpr_spill_count: 0
    .wavefront_size: 64
  - .agpr_count:     0
    .args:
      - .actual_access:  write_only
        .address_space:  global
        .offset:         0
        .size:           8
        .value_kind:     global_buffer
      - .actual_access:  read_only
        .address_space:  global
        .offset:         8
        .size:           8
        .value_kind:     global_buffer
      - .actual_access:  read_only
        .address_space:  global
        .offset:         16
        .size:           8
        .value_kind:     global_buffer
      - .actual_access:  read_only
        .address_space:  global
        .offset:         24
        .size:           8
        .value_kind:     global_buffer
      - .offset:         32
        .size:           4
        .value_kind:     by_value
      - .offset:         36
        .size:           4
        .value_kind:     by_value
      - .actual_access:  read_only
        .address_space:  global
        .offset:         40
        .size:           8
        .value_kind:     global_buffer
      - .actual_access:  read_only
        .address_space:  global
        .offset:         48
        .size:           8
        .value_kind:     global_buffer
      - .offset:         56
        .size:           4
        .value_kind:     by_value
      - .actual_access:  read_only
        .address_space:  global
        .offset:         64
        .size:           8
        .value_kind:     global_buffer
      - .offset:         72
        .size:           4
        .value_kind:     by_value
      - .offset:         76
        .size:           4
        .value_kind:     by_value
      - .offset:         80
        .size:           4
        .value_kind:     by_value
      - .address_space:  global
        .offset:         88
        .size:           8
        .value_kind:     global_buffer
      - .address_space:  global
        .offset:         96
        .size:           8
        .value_kind:     global_buffer
      - .offset:         104
        .size:           4
        .value_kind:     by_value
      - .offset:         108
        .size:           4
        .value_kind:     by_value
      - .offset:         112
        .size:           4
        .value_kind:     by_value
      - .offset:         116
        .size:           4
        .value_kind:     by_value
      - .offset:         120
        .size:           4
        .value_kind:     by_value
      - .offset:         128
        .size:           4
        .value_kind:     hidden_block_count_x
      - .offset:         132
        .size:           4
        .value_kind:     hidden_block_count_y
      - .offset:         136
        .size:           4
        .value_kind:     hidden_block_count_z
      - .offset:         140
        .size:           2
        .value_kind:     hidden_group_size_x
      - .offset:         142
        .size:           2
        .value_kind:     hidden_group_size_y
      - .offset:         144
        .size:           2
        .value_kind:     hidden_group_size_z
      - .offset:         146
        .size:           2
        .value_kind:     hidden_remainder_x
      - .offset:         148
        .size:           2
        .value_kind:     hidden_remainder_y
      - .offset:         150
        .size:           2
        .value_kind:     hidden_remainder_z
      - .offset:         168
        .size:           8
        .value_kind:     hidden_global_offset_x
      - .offset:         176
        .size:           8
        .value_kind:     hidden_global_offset_y
      - .offset:         184
        .size:           8
        .value_kind:     hidden_global_offset_z
      - .offset:         192
        .size:           2
        .value_kind:     hidden_grid_dims
      - .offset:         248
        .size:           4
        .value_kind:     hidden_dynamic_lds_size
    .group_segment_fixed_size: 144
    .kernarg_segment_align: 8
    .kernarg_segment_size: 384
    .language:       OpenCL C
    .language_version:
      - 2
      - 0
    .max_flat_workgroup_size: 1024
    .name:           _ZN4vllm25paged_attention_v1_kernelI14__hip_bfloat16S1_Li64ELi16ELi128ELNS_18Fp8KVCacheDataTypeE0ELb0EEEvPT_PKS3_PKT0_S9_ifPKiSB_iPKfiiiSD_SD_iiiii
    .private_segment_fixed_size: 0
    .sgpr_count:     40
    .sgpr_spill_count: 0
    .symbol:         _ZN4vllm25paged_attention_v1_kernelI14__hip_bfloat16S1_Li64ELi16ELi128ELNS_18Fp8KVCacheDataTypeE0ELb0EEEvPT_PKS3_PKT0_S9_ifPKiSB_iPKfiiiSD_SD_iiiii.kd
    .uniform_work_group_size: 1
    .uses_dynamic_stack: false
    .vgpr_count:     47
    .vgpr_spill_count: 0
    .wavefront_size: 64
  - .agpr_count:     0
    .args:
      - .actual_access:  write_only
        .address_space:  global
        .offset:         0
        .size:           8
        .value_kind:     global_buffer
      - .actual_access:  read_only
        .address_space:  global
        .offset:         8
        .size:           8
        .value_kind:     global_buffer
      - .actual_access:  read_only
        .address_space:  global
        .offset:         16
        .size:           8
        .value_kind:     global_buffer
      - .actual_access:  read_only
        .address_space:  global
        .offset:         24
        .size:           8
        .value_kind:     global_buffer
      - .offset:         32
        .size:           4
        .value_kind:     by_value
      - .offset:         36
        .size:           4
        .value_kind:     by_value
      - .actual_access:  read_only
        .address_space:  global
        .offset:         40
        .size:           8
        .value_kind:     global_buffer
      - .actual_access:  read_only
        .address_space:  global
        .offset:         48
        .size:           8
        .value_kind:     global_buffer
      - .offset:         56
        .size:           4
        .value_kind:     by_value
      - .actual_access:  read_only
        .address_space:  global
        .offset:         64
        .size:           8
        .value_kind:     global_buffer
      - .offset:         72
        .size:           4
        .value_kind:     by_value
      - .offset:         76
        .size:           4
        .value_kind:     by_value
      - .offset:         80
        .size:           4
        .value_kind:     by_value
      - .address_space:  global
        .offset:         88
        .size:           8
        .value_kind:     global_buffer
      - .address_space:  global
        .offset:         96
        .size:           8
        .value_kind:     global_buffer
      - .offset:         104
        .size:           4
        .value_kind:     by_value
      - .offset:         108
        .size:           4
        .value_kind:     by_value
      - .offset:         112
        .size:           4
        .value_kind:     by_value
      - .offset:         116
        .size:           4
        .value_kind:     by_value
      - .offset:         120
        .size:           4
        .value_kind:     by_value
      - .offset:         128
        .size:           4
        .value_kind:     hidden_block_count_x
      - .offset:         132
        .size:           4
        .value_kind:     hidden_block_count_y
      - .offset:         136
        .size:           4
        .value_kind:     hidden_block_count_z
      - .offset:         140
        .size:           2
        .value_kind:     hidden_group_size_x
      - .offset:         142
        .size:           2
        .value_kind:     hidden_group_size_y
      - .offset:         144
        .size:           2
        .value_kind:     hidden_group_size_z
      - .offset:         146
        .size:           2
        .value_kind:     hidden_remainder_x
      - .offset:         148
        .size:           2
        .value_kind:     hidden_remainder_y
      - .offset:         150
        .size:           2
        .value_kind:     hidden_remainder_z
      - .offset:         168
        .size:           8
        .value_kind:     hidden_global_offset_x
      - .offset:         176
        .size:           8
        .value_kind:     hidden_global_offset_y
      - .offset:         184
        .size:           8
        .value_kind:     hidden_global_offset_z
      - .offset:         192
        .size:           2
        .value_kind:     hidden_grid_dims
      - .offset:         248
        .size:           4
        .value_kind:     hidden_dynamic_lds_size
    .group_segment_fixed_size: 176
    .kernarg_segment_align: 8
    .kernarg_segment_size: 384
    .language:       OpenCL C
    .language_version:
      - 2
      - 0
    .max_flat_workgroup_size: 1024
    .name:           _ZN4vllm25paged_attention_v1_kernelI14__hip_bfloat16S1_Li80ELi16ELi128ELNS_18Fp8KVCacheDataTypeE0ELb0EEEvPT_PKS3_PKT0_S9_ifPKiSB_iPKfiiiSD_SD_iiiii
    .private_segment_fixed_size: 0
    .sgpr_count:     40
    .sgpr_spill_count: 0
    .symbol:         _ZN4vllm25paged_attention_v1_kernelI14__hip_bfloat16S1_Li80ELi16ELi128ELNS_18Fp8KVCacheDataTypeE0ELb0EEEvPT_PKS3_PKT0_S9_ifPKiSB_iPKfiiiSD_SD_iiiii.kd
    .uniform_work_group_size: 1
    .uses_dynamic_stack: false
    .vgpr_count:     55
    .vgpr_spill_count: 0
    .wavefront_size: 64
  - .agpr_count:     0
    .args:
      - .actual_access:  write_only
        .address_space:  global
        .offset:         0
        .size:           8
        .value_kind:     global_buffer
      - .actual_access:  read_only
        .address_space:  global
        .offset:         8
        .size:           8
        .value_kind:     global_buffer
      - .actual_access:  read_only
        .address_space:  global
        .offset:         16
        .size:           8
        .value_kind:     global_buffer
      - .actual_access:  read_only
        .address_space:  global
        .offset:         24
        .size:           8
        .value_kind:     global_buffer
      - .offset:         32
        .size:           4
        .value_kind:     by_value
      - .offset:         36
        .size:           4
        .value_kind:     by_value
      - .actual_access:  read_only
        .address_space:  global
        .offset:         40
        .size:           8
        .value_kind:     global_buffer
      - .actual_access:  read_only
        .address_space:  global
        .offset:         48
        .size:           8
        .value_kind:     global_buffer
      - .offset:         56
        .size:           4
        .value_kind:     by_value
      - .actual_access:  read_only
        .address_space:  global
        .offset:         64
        .size:           8
        .value_kind:     global_buffer
      - .offset:         72
        .size:           4
        .value_kind:     by_value
      - .offset:         76
        .size:           4
        .value_kind:     by_value
      - .offset:         80
        .size:           4
        .value_kind:     by_value
      - .address_space:  global
        .offset:         88
        .size:           8
        .value_kind:     global_buffer
      - .address_space:  global
        .offset:         96
        .size:           8
        .value_kind:     global_buffer
      - .offset:         104
        .size:           4
        .value_kind:     by_value
      - .offset:         108
        .size:           4
        .value_kind:     by_value
      - .offset:         112
        .size:           4
        .value_kind:     by_value
      - .offset:         116
        .size:           4
        .value_kind:     by_value
      - .offset:         120
        .size:           4
        .value_kind:     by_value
      - .offset:         128
        .size:           4
        .value_kind:     hidden_block_count_x
      - .offset:         132
        .size:           4
        .value_kind:     hidden_block_count_y
      - .offset:         136
        .size:           4
        .value_kind:     hidden_block_count_z
      - .offset:         140
        .size:           2
        .value_kind:     hidden_group_size_x
      - .offset:         142
        .size:           2
        .value_kind:     hidden_group_size_y
      - .offset:         144
        .size:           2
        .value_kind:     hidden_group_size_z
      - .offset:         146
        .size:           2
        .value_kind:     hidden_remainder_x
      - .offset:         148
        .size:           2
        .value_kind:     hidden_remainder_y
      - .offset:         150
        .size:           2
        .value_kind:     hidden_remainder_z
      - .offset:         168
        .size:           8
        .value_kind:     hidden_global_offset_x
      - .offset:         176
        .size:           8
        .value_kind:     hidden_global_offset_y
      - .offset:         184
        .size:           8
        .value_kind:     hidden_global_offset_z
      - .offset:         192
        .size:           2
        .value_kind:     hidden_grid_dims
      - .offset:         248
        .size:           4
        .value_kind:     hidden_dynamic_lds_size
    .group_segment_fixed_size: 208
    .kernarg_segment_align: 8
    .kernarg_segment_size: 384
    .language:       OpenCL C
    .language_version:
      - 2
      - 0
    .max_flat_workgroup_size: 1024
    .name:           _ZN4vllm25paged_attention_v1_kernelI14__hip_bfloat16S1_Li96ELi16ELi128ELNS_18Fp8KVCacheDataTypeE0ELb0EEEvPT_PKS3_PKT0_S9_ifPKiSB_iPKfiiiSD_SD_iiiii
    .private_segment_fixed_size: 0
    .sgpr_count:     40
    .sgpr_spill_count: 0
    .symbol:         _ZN4vllm25paged_attention_v1_kernelI14__hip_bfloat16S1_Li96ELi16ELi128ELNS_18Fp8KVCacheDataTypeE0ELb0EEEvPT_PKS3_PKT0_S9_ifPKiSB_iPKfiiiSD_SD_iiiii.kd
    .uniform_work_group_size: 1
    .uses_dynamic_stack: false
    .vgpr_count:     63
    .vgpr_spill_count: 0
    .wavefront_size: 64
  - .agpr_count:     0
    .args:
      - .actual_access:  write_only
        .address_space:  global
        .offset:         0
        .size:           8
        .value_kind:     global_buffer
      - .actual_access:  read_only
        .address_space:  global
        .offset:         8
        .size:           8
        .value_kind:     global_buffer
      - .actual_access:  read_only
        .address_space:  global
        .offset:         16
        .size:           8
        .value_kind:     global_buffer
      - .actual_access:  read_only
        .address_space:  global
        .offset:         24
        .size:           8
        .value_kind:     global_buffer
      - .offset:         32
        .size:           4
        .value_kind:     by_value
      - .offset:         36
        .size:           4
        .value_kind:     by_value
      - .actual_access:  read_only
        .address_space:  global
        .offset:         40
        .size:           8
        .value_kind:     global_buffer
      - .actual_access:  read_only
        .address_space:  global
        .offset:         48
        .size:           8
        .value_kind:     global_buffer
      - .offset:         56
        .size:           4
        .value_kind:     by_value
      - .actual_access:  read_only
        .address_space:  global
        .offset:         64
        .size:           8
        .value_kind:     global_buffer
      - .offset:         72
        .size:           4
        .value_kind:     by_value
      - .offset:         76
        .size:           4
        .value_kind:     by_value
      - .offset:         80
        .size:           4
        .value_kind:     by_value
      - .address_space:  global
        .offset:         88
        .size:           8
        .value_kind:     global_buffer
      - .address_space:  global
        .offset:         96
        .size:           8
        .value_kind:     global_buffer
      - .offset:         104
        .size:           4
        .value_kind:     by_value
      - .offset:         108
        .size:           4
        .value_kind:     by_value
      - .offset:         112
        .size:           4
        .value_kind:     by_value
      - .offset:         116
        .size:           4
        .value_kind:     by_value
      - .offset:         120
        .size:           4
        .value_kind:     by_value
      - .offset:         128
        .size:           4
        .value_kind:     hidden_block_count_x
      - .offset:         132
        .size:           4
        .value_kind:     hidden_block_count_y
      - .offset:         136
        .size:           4
        .value_kind:     hidden_block_count_z
      - .offset:         140
        .size:           2
        .value_kind:     hidden_group_size_x
      - .offset:         142
        .size:           2
        .value_kind:     hidden_group_size_y
      - .offset:         144
        .size:           2
        .value_kind:     hidden_group_size_z
      - .offset:         146
        .size:           2
        .value_kind:     hidden_remainder_x
      - .offset:         148
        .size:           2
        .value_kind:     hidden_remainder_y
      - .offset:         150
        .size:           2
        .value_kind:     hidden_remainder_z
      - .offset:         168
        .size:           8
        .value_kind:     hidden_global_offset_x
      - .offset:         176
        .size:           8
        .value_kind:     hidden_global_offset_y
      - .offset:         184
        .size:           8
        .value_kind:     hidden_global_offset_z
      - .offset:         192
        .size:           2
        .value_kind:     hidden_grid_dims
      - .offset:         248
        .size:           4
        .value_kind:     hidden_dynamic_lds_size
    .group_segment_fixed_size: 240
    .kernarg_segment_align: 8
    .kernarg_segment_size: 384
    .language:       OpenCL C
    .language_version:
      - 2
      - 0
    .max_flat_workgroup_size: 1024
    .name:           _ZN4vllm25paged_attention_v1_kernelI14__hip_bfloat16S1_Li112ELi16ELi128ELNS_18Fp8KVCacheDataTypeE0ELb0EEEvPT_PKS3_PKT0_S9_ifPKiSB_iPKfiiiSD_SD_iiiii
    .private_segment_fixed_size: 0
    .sgpr_count:     40
    .sgpr_spill_count: 0
    .symbol:         _ZN4vllm25paged_attention_v1_kernelI14__hip_bfloat16S1_Li112ELi16ELi128ELNS_18Fp8KVCacheDataTypeE0ELb0EEEvPT_PKS3_PKT0_S9_ifPKiSB_iPKfiiiSD_SD_iiiii.kd
    .uniform_work_group_size: 1
    .uses_dynamic_stack: false
    .vgpr_count:     62
    .vgpr_spill_count: 0
    .wavefront_size: 64
  - .agpr_count:     0
    .args:
      - .actual_access:  write_only
        .address_space:  global
        .offset:         0
        .size:           8
        .value_kind:     global_buffer
      - .actual_access:  read_only
        .address_space:  global
        .offset:         8
        .size:           8
        .value_kind:     global_buffer
      - .actual_access:  read_only
        .address_space:  global
        .offset:         16
        .size:           8
        .value_kind:     global_buffer
      - .actual_access:  read_only
        .address_space:  global
        .offset:         24
        .size:           8
        .value_kind:     global_buffer
      - .offset:         32
        .size:           4
        .value_kind:     by_value
      - .offset:         36
        .size:           4
        .value_kind:     by_value
      - .actual_access:  read_only
        .address_space:  global
        .offset:         40
        .size:           8
        .value_kind:     global_buffer
      - .actual_access:  read_only
        .address_space:  global
        .offset:         48
        .size:           8
        .value_kind:     global_buffer
      - .offset:         56
        .size:           4
        .value_kind:     by_value
      - .actual_access:  read_only
        .address_space:  global
        .offset:         64
        .size:           8
        .value_kind:     global_buffer
      - .offset:         72
        .size:           4
        .value_kind:     by_value
      - .offset:         76
        .size:           4
        .value_kind:     by_value
      - .offset:         80
        .size:           4
        .value_kind:     by_value
      - .address_space:  global
        .offset:         88
        .size:           8
        .value_kind:     global_buffer
      - .address_space:  global
        .offset:         96
        .size:           8
        .value_kind:     global_buffer
      - .offset:         104
        .size:           4
        .value_kind:     by_value
      - .offset:         108
        .size:           4
        .value_kind:     by_value
      - .offset:         112
        .size:           4
        .value_kind:     by_value
      - .offset:         116
        .size:           4
        .value_kind:     by_value
      - .offset:         120
        .size:           4
        .value_kind:     by_value
      - .offset:         128
        .size:           4
        .value_kind:     hidden_block_count_x
      - .offset:         132
        .size:           4
        .value_kind:     hidden_block_count_y
      - .offset:         136
        .size:           4
        .value_kind:     hidden_block_count_z
      - .offset:         140
        .size:           2
        .value_kind:     hidden_group_size_x
      - .offset:         142
        .size:           2
        .value_kind:     hidden_group_size_y
      - .offset:         144
        .size:           2
        .value_kind:     hidden_group_size_z
      - .offset:         146
        .size:           2
        .value_kind:     hidden_remainder_x
      - .offset:         148
        .size:           2
        .value_kind:     hidden_remainder_y
      - .offset:         150
        .size:           2
        .value_kind:     hidden_remainder_z
      - .offset:         168
        .size:           8
        .value_kind:     hidden_global_offset_x
      - .offset:         176
        .size:           8
        .value_kind:     hidden_global_offset_y
      - .offset:         184
        .size:           8
        .value_kind:     hidden_global_offset_z
      - .offset:         192
        .size:           2
        .value_kind:     hidden_grid_dims
      - .offset:         248
        .size:           4
        .value_kind:     hidden_dynamic_lds_size
    .group_segment_fixed_size: 256
    .kernarg_segment_align: 8
    .kernarg_segment_size: 384
    .language:       OpenCL C
    .language_version:
      - 2
      - 0
    .max_flat_workgroup_size: 1024
    .name:           _ZN4vllm25paged_attention_v1_kernelI14__hip_bfloat16S1_Li120ELi16ELi128ELNS_18Fp8KVCacheDataTypeE0ELb0EEEvPT_PKS3_PKT0_S9_ifPKiSB_iPKfiiiSD_SD_iiiii
    .private_segment_fixed_size: 0
    .sgpr_count:     40
    .sgpr_spill_count: 0
    .symbol:         _ZN4vllm25paged_attention_v1_kernelI14__hip_bfloat16S1_Li120ELi16ELi128ELNS_18Fp8KVCacheDataTypeE0ELb0EEEvPT_PKS3_PKT0_S9_ifPKiSB_iPKfiiiSD_SD_iiiii.kd
    .uniform_work_group_size: 1
    .uses_dynamic_stack: false
    .vgpr_count:     62
    .vgpr_spill_count: 0
    .wavefront_size: 64
  - .agpr_count:     0
    .args:
      - .actual_access:  write_only
        .address_space:  global
        .offset:         0
        .size:           8
        .value_kind:     global_buffer
      - .actual_access:  read_only
        .address_space:  global
        .offset:         8
        .size:           8
        .value_kind:     global_buffer
      - .actual_access:  read_only
        .address_space:  global
        .offset:         16
        .size:           8
        .value_kind:     global_buffer
      - .actual_access:  read_only
        .address_space:  global
        .offset:         24
        .size:           8
        .value_kind:     global_buffer
      - .offset:         32
        .size:           4
        .value_kind:     by_value
      - .offset:         36
        .size:           4
        .value_kind:     by_value
      - .actual_access:  read_only
        .address_space:  global
        .offset:         40
        .size:           8
        .value_kind:     global_buffer
      - .actual_access:  read_only
        .address_space:  global
        .offset:         48
        .size:           8
        .value_kind:     global_buffer
      - .offset:         56
        .size:           4
        .value_kind:     by_value
      - .actual_access:  read_only
        .address_space:  global
        .offset:         64
        .size:           8
        .value_kind:     global_buffer
      - .offset:         72
        .size:           4
        .value_kind:     by_value
      - .offset:         76
        .size:           4
        .value_kind:     by_value
      - .offset:         80
        .size:           4
        .value_kind:     by_value
      - .address_space:  global
        .offset:         88
        .size:           8
        .value_kind:     global_buffer
      - .address_space:  global
        .offset:         96
        .size:           8
        .value_kind:     global_buffer
      - .offset:         104
        .size:           4
        .value_kind:     by_value
      - .offset:         108
        .size:           4
        .value_kind:     by_value
      - .offset:         112
        .size:           4
        .value_kind:     by_value
      - .offset:         116
        .size:           4
        .value_kind:     by_value
      - .offset:         120
        .size:           4
        .value_kind:     by_value
      - .offset:         128
        .size:           4
        .value_kind:     hidden_block_count_x
      - .offset:         132
        .size:           4
        .value_kind:     hidden_block_count_y
      - .offset:         136
        .size:           4
        .value_kind:     hidden_block_count_z
      - .offset:         140
        .size:           2
        .value_kind:     hidden_group_size_x
      - .offset:         142
        .size:           2
        .value_kind:     hidden_group_size_y
      - .offset:         144
        .size:           2
        .value_kind:     hidden_group_size_z
      - .offset:         146
        .size:           2
        .value_kind:     hidden_remainder_x
      - .offset:         148
        .size:           2
        .value_kind:     hidden_remainder_y
      - .offset:         150
        .size:           2
        .value_kind:     hidden_remainder_z
      - .offset:         168
        .size:           8
        .value_kind:     hidden_global_offset_x
      - .offset:         176
        .size:           8
        .value_kind:     hidden_global_offset_y
      - .offset:         184
        .size:           8
        .value_kind:     hidden_global_offset_z
      - .offset:         192
        .size:           2
        .value_kind:     hidden_grid_dims
      - .offset:         248
        .size:           4
        .value_kind:     hidden_dynamic_lds_size
    .group_segment_fixed_size: 272
    .kernarg_segment_align: 8
    .kernarg_segment_size: 384
    .language:       OpenCL C
    .language_version:
      - 2
      - 0
    .max_flat_workgroup_size: 1024
    .name:           _ZN4vllm25paged_attention_v1_kernelI14__hip_bfloat16S1_Li128ELi16ELi128ELNS_18Fp8KVCacheDataTypeE0ELb0EEEvPT_PKS3_PKT0_S9_ifPKiSB_iPKfiiiSD_SD_iiiii
    .private_segment_fixed_size: 0
    .sgpr_count:     42
    .sgpr_spill_count: 0
    .symbol:         _ZN4vllm25paged_attention_v1_kernelI14__hip_bfloat16S1_Li128ELi16ELi128ELNS_18Fp8KVCacheDataTypeE0ELb0EEEvPT_PKS3_PKT0_S9_ifPKiSB_iPKfiiiSD_SD_iiiii.kd
    .uniform_work_group_size: 1
    .uses_dynamic_stack: false
    .vgpr_count:     77
    .vgpr_spill_count: 0
    .wavefront_size: 64
  - .agpr_count:     0
    .args:
      - .actual_access:  write_only
        .address_space:  global
        .offset:         0
        .size:           8
        .value_kind:     global_buffer
      - .actual_access:  read_only
        .address_space:  global
        .offset:         8
        .size:           8
        .value_kind:     global_buffer
      - .actual_access:  read_only
        .address_space:  global
        .offset:         16
        .size:           8
        .value_kind:     global_buffer
      - .actual_access:  read_only
        .address_space:  global
        .offset:         24
        .size:           8
        .value_kind:     global_buffer
      - .offset:         32
        .size:           4
        .value_kind:     by_value
      - .offset:         36
        .size:           4
        .value_kind:     by_value
      - .actual_access:  read_only
        .address_space:  global
        .offset:         40
        .size:           8
        .value_kind:     global_buffer
      - .actual_access:  read_only
        .address_space:  global
        .offset:         48
        .size:           8
        .value_kind:     global_buffer
      - .offset:         56
        .size:           4
        .value_kind:     by_value
      - .actual_access:  read_only
        .address_space:  global
        .offset:         64
        .size:           8
        .value_kind:     global_buffer
      - .offset:         72
        .size:           4
        .value_kind:     by_value
      - .offset:         76
        .size:           4
        .value_kind:     by_value
      - .offset:         80
        .size:           4
        .value_kind:     by_value
      - .address_space:  global
        .offset:         88
        .size:           8
        .value_kind:     global_buffer
      - .address_space:  global
        .offset:         96
        .size:           8
        .value_kind:     global_buffer
      - .offset:         104
        .size:           4
        .value_kind:     by_value
      - .offset:         108
        .size:           4
        .value_kind:     by_value
      - .offset:         112
        .size:           4
        .value_kind:     by_value
      - .offset:         116
        .size:           4
        .value_kind:     by_value
      - .offset:         120
        .size:           4
        .value_kind:     by_value
      - .offset:         128
        .size:           4
        .value_kind:     hidden_block_count_x
      - .offset:         132
        .size:           4
        .value_kind:     hidden_block_count_y
      - .offset:         136
        .size:           4
        .value_kind:     hidden_block_count_z
      - .offset:         140
        .size:           2
        .value_kind:     hidden_group_size_x
      - .offset:         142
        .size:           2
        .value_kind:     hidden_group_size_y
      - .offset:         144
        .size:           2
        .value_kind:     hidden_group_size_z
      - .offset:         146
        .size:           2
        .value_kind:     hidden_remainder_x
      - .offset:         148
        .size:           2
        .value_kind:     hidden_remainder_y
      - .offset:         150
        .size:           2
        .value_kind:     hidden_remainder_z
      - .offset:         168
        .size:           8
        .value_kind:     hidden_global_offset_x
      - .offset:         176
        .size:           8
        .value_kind:     hidden_global_offset_y
      - .offset:         184
        .size:           8
        .value_kind:     hidden_global_offset_z
      - .offset:         192
        .size:           2
        .value_kind:     hidden_grid_dims
      - .offset:         248
        .size:           4
        .value_kind:     hidden_dynamic_lds_size
    .group_segment_fixed_size: 400
    .kernarg_segment_align: 8
    .kernarg_segment_size: 384
    .language:       OpenCL C
    .language_version:
      - 2
      - 0
    .max_flat_workgroup_size: 1024
    .name:           _ZN4vllm25paged_attention_v1_kernelI14__hip_bfloat16S1_Li192ELi16ELi128ELNS_18Fp8KVCacheDataTypeE0ELb0EEEvPT_PKS3_PKT0_S9_ifPKiSB_iPKfiiiSD_SD_iiiii
    .private_segment_fixed_size: 0
    .sgpr_count:     41
    .sgpr_spill_count: 0
    .symbol:         _ZN4vllm25paged_attention_v1_kernelI14__hip_bfloat16S1_Li192ELi16ELi128ELNS_18Fp8KVCacheDataTypeE0ELb0EEEvPT_PKS3_PKT0_S9_ifPKiSB_iPKfiiiSD_SD_iiiii.kd
    .uniform_work_group_size: 1
    .uses_dynamic_stack: false
    .vgpr_count:     101
    .vgpr_spill_count: 0
    .wavefront_size: 64
  - .agpr_count:     0
    .args:
      - .actual_access:  write_only
        .address_space:  global
        .offset:         0
        .size:           8
        .value_kind:     global_buffer
      - .actual_access:  read_only
        .address_space:  global
        .offset:         8
        .size:           8
        .value_kind:     global_buffer
      - .actual_access:  read_only
        .address_space:  global
        .offset:         16
        .size:           8
        .value_kind:     global_buffer
      - .actual_access:  read_only
        .address_space:  global
        .offset:         24
        .size:           8
        .value_kind:     global_buffer
      - .offset:         32
        .size:           4
        .value_kind:     by_value
      - .offset:         36
        .size:           4
        .value_kind:     by_value
      - .actual_access:  read_only
        .address_space:  global
        .offset:         40
        .size:           8
        .value_kind:     global_buffer
      - .actual_access:  read_only
        .address_space:  global
        .offset:         48
        .size:           8
        .value_kind:     global_buffer
      - .offset:         56
        .size:           4
        .value_kind:     by_value
      - .actual_access:  read_only
        .address_space:  global
        .offset:         64
        .size:           8
        .value_kind:     global_buffer
      - .offset:         72
        .size:           4
        .value_kind:     by_value
      - .offset:         76
        .size:           4
        .value_kind:     by_value
      - .offset:         80
        .size:           4
        .value_kind:     by_value
      - .address_space:  global
        .offset:         88
        .size:           8
        .value_kind:     global_buffer
      - .address_space:  global
        .offset:         96
        .size:           8
        .value_kind:     global_buffer
      - .offset:         104
        .size:           4
        .value_kind:     by_value
      - .offset:         108
        .size:           4
        .value_kind:     by_value
      - .offset:         112
        .size:           4
        .value_kind:     by_value
      - .offset:         116
        .size:           4
        .value_kind:     by_value
      - .offset:         120
        .size:           4
        .value_kind:     by_value
      - .offset:         128
        .size:           4
        .value_kind:     hidden_block_count_x
      - .offset:         132
        .size:           4
        .value_kind:     hidden_block_count_y
      - .offset:         136
        .size:           4
        .value_kind:     hidden_block_count_z
      - .offset:         140
        .size:           2
        .value_kind:     hidden_group_size_x
      - .offset:         142
        .size:           2
        .value_kind:     hidden_group_size_y
      - .offset:         144
        .size:           2
        .value_kind:     hidden_group_size_z
      - .offset:         146
        .size:           2
        .value_kind:     hidden_remainder_x
      - .offset:         148
        .size:           2
        .value_kind:     hidden_remainder_y
      - .offset:         150
        .size:           2
        .value_kind:     hidden_remainder_z
      - .offset:         168
        .size:           8
        .value_kind:     hidden_global_offset_x
      - .offset:         176
        .size:           8
        .value_kind:     hidden_global_offset_y
      - .offset:         184
        .size:           8
        .value_kind:     hidden_global_offset_z
      - .offset:         192
        .size:           2
        .value_kind:     hidden_grid_dims
      - .offset:         248
        .size:           4
        .value_kind:     hidden_dynamic_lds_size
    .group_segment_fixed_size: 528
    .kernarg_segment_align: 8
    .kernarg_segment_size: 384
    .language:       OpenCL C
    .language_version:
      - 2
      - 0
    .max_flat_workgroup_size: 1024
    .name:           _ZN4vllm25paged_attention_v1_kernelI14__hip_bfloat16S1_Li256ELi16ELi128ELNS_18Fp8KVCacheDataTypeE0ELb0EEEvPT_PKS3_PKT0_S9_ifPKiSB_iPKfiiiSD_SD_iiiii
    .private_segment_fixed_size: 0
    .sgpr_count:     41
    .sgpr_spill_count: 0
    .symbol:         _ZN4vllm25paged_attention_v1_kernelI14__hip_bfloat16S1_Li256ELi16ELi128ELNS_18Fp8KVCacheDataTypeE0ELb0EEEvPT_PKS3_PKT0_S9_ifPKiSB_iPKfiiiSD_SD_iiiii.kd
    .uniform_work_group_size: 1
    .uses_dynamic_stack: false
    .vgpr_count:     115
    .vgpr_spill_count: 0
    .wavefront_size: 64
  - .agpr_count:     0
    .args:
      - .actual_access:  write_only
        .address_space:  global
        .offset:         0
        .size:           8
        .value_kind:     global_buffer
      - .actual_access:  read_only
        .address_space:  global
        .offset:         8
        .size:           8
        .value_kind:     global_buffer
      - .actual_access:  read_only
        .address_space:  global
        .offset:         16
        .size:           8
        .value_kind:     global_buffer
      - .actual_access:  read_only
        .address_space:  global
        .offset:         24
        .size:           8
        .value_kind:     global_buffer
      - .offset:         32
        .size:           4
        .value_kind:     by_value
      - .offset:         36
        .size:           4
        .value_kind:     by_value
      - .actual_access:  read_only
        .address_space:  global
        .offset:         40
        .size:           8
        .value_kind:     global_buffer
      - .actual_access:  read_only
        .address_space:  global
        .offset:         48
        .size:           8
        .value_kind:     global_buffer
      - .offset:         56
        .size:           4
        .value_kind:     by_value
      - .actual_access:  read_only
        .address_space:  global
        .offset:         64
        .size:           8
        .value_kind:     global_buffer
      - .offset:         72
        .size:           4
        .value_kind:     by_value
      - .offset:         76
        .size:           4
        .value_kind:     by_value
      - .offset:         80
        .size:           4
        .value_kind:     by_value
      - .address_space:  global
        .offset:         88
        .size:           8
        .value_kind:     global_buffer
      - .address_space:  global
        .offset:         96
        .size:           8
        .value_kind:     global_buffer
      - .offset:         104
        .size:           4
        .value_kind:     by_value
      - .offset:         108
        .size:           4
        .value_kind:     by_value
      - .offset:         112
        .size:           4
        .value_kind:     by_value
      - .offset:         116
        .size:           4
        .value_kind:     by_value
      - .offset:         120
        .size:           4
        .value_kind:     by_value
      - .offset:         128
        .size:           4
        .value_kind:     hidden_block_count_x
      - .offset:         132
        .size:           4
        .value_kind:     hidden_block_count_y
      - .offset:         136
        .size:           4
        .value_kind:     hidden_block_count_z
      - .offset:         140
        .size:           2
        .value_kind:     hidden_group_size_x
      - .offset:         142
        .size:           2
        .value_kind:     hidden_group_size_y
      - .offset:         144
        .size:           2
        .value_kind:     hidden_group_size_z
      - .offset:         146
        .size:           2
        .value_kind:     hidden_remainder_x
      - .offset:         148
        .size:           2
        .value_kind:     hidden_remainder_y
      - .offset:         150
        .size:           2
        .value_kind:     hidden_remainder_z
      - .offset:         168
        .size:           8
        .value_kind:     hidden_global_offset_x
      - .offset:         176
        .size:           8
        .value_kind:     hidden_global_offset_y
      - .offset:         184
        .size:           8
        .value_kind:     hidden_global_offset_z
      - .offset:         192
        .size:           2
        .value_kind:     hidden_grid_dims
      - .offset:         248
        .size:           4
        .value_kind:     hidden_dynamic_lds_size
    .group_segment_fixed_size: 80
    .kernarg_segment_align: 8
    .kernarg_segment_size: 384
    .language:       OpenCL C
    .language_version:
      - 2
      - 0
    .max_flat_workgroup_size: 1024
    .name:           _ZN4vllm25paged_attention_v1_kernelI14__hip_bfloat16S1_Li32ELi32ELi128ELNS_18Fp8KVCacheDataTypeE0ELb1EEEvPT_PKS3_PKT0_S9_ifPKiSB_iPKfiiiSD_SD_iiiii
    .private_segment_fixed_size: 0
    .sgpr_count:     50
    .sgpr_spill_count: 0
    .symbol:         _ZN4vllm25paged_attention_v1_kernelI14__hip_bfloat16S1_Li32ELi32ELi128ELNS_18Fp8KVCacheDataTypeE0ELb1EEEvPT_PKS3_PKT0_S9_ifPKiSB_iPKfiiiSD_SD_iiiii.kd
    .uniform_work_group_size: 1
    .uses_dynamic_stack: false
    .vgpr_count:     55
    .vgpr_spill_count: 0
    .wavefront_size: 64
  - .agpr_count:     0
    .args:
      - .actual_access:  write_only
        .address_space:  global
        .offset:         0
        .size:           8
        .value_kind:     global_buffer
      - .actual_access:  read_only
        .address_space:  global
        .offset:         8
        .size:           8
        .value_kind:     global_buffer
      - .actual_access:  read_only
        .address_space:  global
        .offset:         16
        .size:           8
        .value_kind:     global_buffer
      - .actual_access:  read_only
        .address_space:  global
        .offset:         24
        .size:           8
        .value_kind:     global_buffer
      - .offset:         32
        .size:           4
        .value_kind:     by_value
      - .offset:         36
        .size:           4
        .value_kind:     by_value
      - .actual_access:  read_only
        .address_space:  global
        .offset:         40
        .size:           8
        .value_kind:     global_buffer
      - .actual_access:  read_only
        .address_space:  global
        .offset:         48
        .size:           8
        .value_kind:     global_buffer
      - .offset:         56
        .size:           4
        .value_kind:     by_value
      - .actual_access:  read_only
        .address_space:  global
        .offset:         64
        .size:           8
        .value_kind:     global_buffer
      - .offset:         72
        .size:           4
        .value_kind:     by_value
      - .offset:         76
        .size:           4
        .value_kind:     by_value
      - .offset:         80
        .size:           4
        .value_kind:     by_value
      - .address_space:  global
        .offset:         88
        .size:           8
        .value_kind:     global_buffer
      - .address_space:  global
        .offset:         96
        .size:           8
        .value_kind:     global_buffer
      - .offset:         104
        .size:           4
        .value_kind:     by_value
      - .offset:         108
        .size:           4
        .value_kind:     by_value
      - .offset:         112
        .size:           4
        .value_kind:     by_value
      - .offset:         116
        .size:           4
        .value_kind:     by_value
      - .offset:         120
        .size:           4
        .value_kind:     by_value
      - .offset:         128
        .size:           4
        .value_kind:     hidden_block_count_x
      - .offset:         132
        .size:           4
        .value_kind:     hidden_block_count_y
      - .offset:         136
        .size:           4
        .value_kind:     hidden_block_count_z
      - .offset:         140
        .size:           2
        .value_kind:     hidden_group_size_x
      - .offset:         142
        .size:           2
        .value_kind:     hidden_group_size_y
      - .offset:         144
        .size:           2
        .value_kind:     hidden_group_size_z
      - .offset:         146
        .size:           2
        .value_kind:     hidden_remainder_x
      - .offset:         148
        .size:           2
        .value_kind:     hidden_remainder_y
      - .offset:         150
        .size:           2
        .value_kind:     hidden_remainder_z
      - .offset:         168
        .size:           8
        .value_kind:     hidden_global_offset_x
      - .offset:         176
        .size:           8
        .value_kind:     hidden_global_offset_y
      - .offset:         184
        .size:           8
        .value_kind:     hidden_global_offset_z
      - .offset:         192
        .size:           2
        .value_kind:     hidden_grid_dims
      - .offset:         248
        .size:           4
        .value_kind:     hidden_dynamic_lds_size
    .group_segment_fixed_size: 144
    .kernarg_segment_align: 8
    .kernarg_segment_size: 384
    .language:       OpenCL C
    .language_version:
      - 2
      - 0
    .max_flat_workgroup_size: 1024
    .name:           _ZN4vllm25paged_attention_v1_kernelI14__hip_bfloat16S1_Li64ELi32ELi128ELNS_18Fp8KVCacheDataTypeE0ELb1EEEvPT_PKS3_PKT0_S9_ifPKiSB_iPKfiiiSD_SD_iiiii
    .private_segment_fixed_size: 0
    .sgpr_count:     50
    .sgpr_spill_count: 0
    .symbol:         _ZN4vllm25paged_attention_v1_kernelI14__hip_bfloat16S1_Li64ELi32ELi128ELNS_18Fp8KVCacheDataTypeE0ELb1EEEvPT_PKS3_PKT0_S9_ifPKiSB_iPKfiiiSD_SD_iiiii.kd
    .uniform_work_group_size: 1
    .uses_dynamic_stack: false
    .vgpr_count:     87
    .vgpr_spill_count: 0
    .wavefront_size: 64
  - .agpr_count:     0
    .args:
      - .actual_access:  write_only
        .address_space:  global
        .offset:         0
        .size:           8
        .value_kind:     global_buffer
      - .actual_access:  read_only
        .address_space:  global
        .offset:         8
        .size:           8
        .value_kind:     global_buffer
      - .actual_access:  read_only
        .address_space:  global
        .offset:         16
        .size:           8
        .value_kind:     global_buffer
      - .actual_access:  read_only
        .address_space:  global
        .offset:         24
        .size:           8
        .value_kind:     global_buffer
      - .offset:         32
        .size:           4
        .value_kind:     by_value
      - .offset:         36
        .size:           4
        .value_kind:     by_value
      - .actual_access:  read_only
        .address_space:  global
        .offset:         40
        .size:           8
        .value_kind:     global_buffer
      - .actual_access:  read_only
        .address_space:  global
        .offset:         48
        .size:           8
        .value_kind:     global_buffer
      - .offset:         56
        .size:           4
        .value_kind:     by_value
      - .actual_access:  read_only
        .address_space:  global
        .offset:         64
        .size:           8
        .value_kind:     global_buffer
      - .offset:         72
        .size:           4
        .value_kind:     by_value
      - .offset:         76
        .size:           4
        .value_kind:     by_value
      - .offset:         80
        .size:           4
        .value_kind:     by_value
      - .address_space:  global
        .offset:         88
        .size:           8
        .value_kind:     global_buffer
      - .address_space:  global
        .offset:         96
        .size:           8
        .value_kind:     global_buffer
      - .offset:         104
        .size:           4
        .value_kind:     by_value
      - .offset:         108
        .size:           4
        .value_kind:     by_value
      - .offset:         112
        .size:           4
        .value_kind:     by_value
      - .offset:         116
        .size:           4
        .value_kind:     by_value
      - .offset:         120
        .size:           4
        .value_kind:     by_value
      - .offset:         128
        .size:           4
        .value_kind:     hidden_block_count_x
      - .offset:         132
        .size:           4
        .value_kind:     hidden_block_count_y
      - .offset:         136
        .size:           4
        .value_kind:     hidden_block_count_z
      - .offset:         140
        .size:           2
        .value_kind:     hidden_group_size_x
      - .offset:         142
        .size:           2
        .value_kind:     hidden_group_size_y
      - .offset:         144
        .size:           2
        .value_kind:     hidden_group_size_z
      - .offset:         146
        .size:           2
        .value_kind:     hidden_remainder_x
      - .offset:         148
        .size:           2
        .value_kind:     hidden_remainder_y
      - .offset:         150
        .size:           2
        .value_kind:     hidden_remainder_z
      - .offset:         168
        .size:           8
        .value_kind:     hidden_global_offset_x
      - .offset:         176
        .size:           8
        .value_kind:     hidden_global_offset_y
      - .offset:         184
        .size:           8
        .value_kind:     hidden_global_offset_z
      - .offset:         192
        .size:           2
        .value_kind:     hidden_grid_dims
      - .offset:         248
        .size:           4
        .value_kind:     hidden_dynamic_lds_size
    .group_segment_fixed_size: 176
    .kernarg_segment_align: 8
    .kernarg_segment_size: 384
    .language:       OpenCL C
    .language_version:
      - 2
      - 0
    .max_flat_workgroup_size: 1024
    .name:           _ZN4vllm25paged_attention_v1_kernelI14__hip_bfloat16S1_Li80ELi32ELi128ELNS_18Fp8KVCacheDataTypeE0ELb1EEEvPT_PKS3_PKT0_S9_ifPKiSB_iPKfiiiSD_SD_iiiii
    .private_segment_fixed_size: 0
    .sgpr_count:     51
    .sgpr_spill_count: 0
    .symbol:         _ZN4vllm25paged_attention_v1_kernelI14__hip_bfloat16S1_Li80ELi32ELi128ELNS_18Fp8KVCacheDataTypeE0ELb1EEEvPT_PKS3_PKT0_S9_ifPKiSB_iPKfiiiSD_SD_iiiii.kd
    .uniform_work_group_size: 1
    .uses_dynamic_stack: false
    .vgpr_count:     93
    .vgpr_spill_count: 0
    .wavefront_size: 64
  - .agpr_count:     0
    .args:
      - .actual_access:  write_only
        .address_space:  global
        .offset:         0
        .size:           8
        .value_kind:     global_buffer
      - .actual_access:  read_only
        .address_space:  global
        .offset:         8
        .size:           8
        .value_kind:     global_buffer
      - .actual_access:  read_only
        .address_space:  global
        .offset:         16
        .size:           8
        .value_kind:     global_buffer
      - .actual_access:  read_only
        .address_space:  global
        .offset:         24
        .size:           8
        .value_kind:     global_buffer
      - .offset:         32
        .size:           4
        .value_kind:     by_value
      - .offset:         36
        .size:           4
        .value_kind:     by_value
      - .actual_access:  read_only
        .address_space:  global
        .offset:         40
        .size:           8
        .value_kind:     global_buffer
      - .actual_access:  read_only
        .address_space:  global
        .offset:         48
        .size:           8
        .value_kind:     global_buffer
      - .offset:         56
        .size:           4
        .value_kind:     by_value
      - .actual_access:  read_only
        .address_space:  global
        .offset:         64
        .size:           8
        .value_kind:     global_buffer
      - .offset:         72
        .size:           4
        .value_kind:     by_value
      - .offset:         76
        .size:           4
        .value_kind:     by_value
      - .offset:         80
        .size:           4
        .value_kind:     by_value
      - .address_space:  global
        .offset:         88
        .size:           8
        .value_kind:     global_buffer
      - .address_space:  global
        .offset:         96
        .size:           8
        .value_kind:     global_buffer
      - .offset:         104
        .size:           4
        .value_kind:     by_value
      - .offset:         108
        .size:           4
        .value_kind:     by_value
      - .offset:         112
        .size:           4
        .value_kind:     by_value
      - .offset:         116
        .size:           4
        .value_kind:     by_value
      - .offset:         120
        .size:           4
        .value_kind:     by_value
      - .offset:         128
        .size:           4
        .value_kind:     hidden_block_count_x
      - .offset:         132
        .size:           4
        .value_kind:     hidden_block_count_y
      - .offset:         136
        .size:           4
        .value_kind:     hidden_block_count_z
      - .offset:         140
        .size:           2
        .value_kind:     hidden_group_size_x
      - .offset:         142
        .size:           2
        .value_kind:     hidden_group_size_y
      - .offset:         144
        .size:           2
        .value_kind:     hidden_group_size_z
      - .offset:         146
        .size:           2
        .value_kind:     hidden_remainder_x
      - .offset:         148
        .size:           2
        .value_kind:     hidden_remainder_y
      - .offset:         150
        .size:           2
        .value_kind:     hidden_remainder_z
      - .offset:         168
        .size:           8
        .value_kind:     hidden_global_offset_x
      - .offset:         176
        .size:           8
        .value_kind:     hidden_global_offset_y
      - .offset:         184
        .size:           8
        .value_kind:     hidden_global_offset_z
      - .offset:         192
        .size:           2
        .value_kind:     hidden_grid_dims
      - .offset:         248
        .size:           4
        .value_kind:     hidden_dynamic_lds_size
    .group_segment_fixed_size: 208
    .kernarg_segment_align: 8
    .kernarg_segment_size: 384
    .language:       OpenCL C
    .language_version:
      - 2
      - 0
    .max_flat_workgroup_size: 1024
    .name:           _ZN4vllm25paged_attention_v1_kernelI14__hip_bfloat16S1_Li96ELi32ELi128ELNS_18Fp8KVCacheDataTypeE0ELb1EEEvPT_PKS3_PKT0_S9_ifPKiSB_iPKfiiiSD_SD_iiiii
    .private_segment_fixed_size: 0
    .sgpr_count:     51
    .sgpr_spill_count: 0
    .symbol:         _ZN4vllm25paged_attention_v1_kernelI14__hip_bfloat16S1_Li96ELi32ELi128ELNS_18Fp8KVCacheDataTypeE0ELb1EEEvPT_PKS3_PKT0_S9_ifPKiSB_iPKfiiiSD_SD_iiiii.kd
    .uniform_work_group_size: 1
    .uses_dynamic_stack: false
    .vgpr_count:     110
    .vgpr_spill_count: 0
    .wavefront_size: 64
  - .agpr_count:     0
    .args:
      - .actual_access:  write_only
        .address_space:  global
        .offset:         0
        .size:           8
        .value_kind:     global_buffer
      - .actual_access:  read_only
        .address_space:  global
        .offset:         8
        .size:           8
        .value_kind:     global_buffer
      - .actual_access:  read_only
        .address_space:  global
        .offset:         16
        .size:           8
        .value_kind:     global_buffer
      - .actual_access:  read_only
        .address_space:  global
        .offset:         24
        .size:           8
        .value_kind:     global_buffer
      - .offset:         32
        .size:           4
        .value_kind:     by_value
      - .offset:         36
        .size:           4
        .value_kind:     by_value
      - .actual_access:  read_only
        .address_space:  global
        .offset:         40
        .size:           8
        .value_kind:     global_buffer
      - .actual_access:  read_only
        .address_space:  global
        .offset:         48
        .size:           8
        .value_kind:     global_buffer
      - .offset:         56
        .size:           4
        .value_kind:     by_value
      - .actual_access:  read_only
        .address_space:  global
        .offset:         64
        .size:           8
        .value_kind:     global_buffer
      - .offset:         72
        .size:           4
        .value_kind:     by_value
      - .offset:         76
        .size:           4
        .value_kind:     by_value
      - .offset:         80
        .size:           4
        .value_kind:     by_value
      - .address_space:  global
        .offset:         88
        .size:           8
        .value_kind:     global_buffer
      - .address_space:  global
        .offset:         96
        .size:           8
        .value_kind:     global_buffer
      - .offset:         104
        .size:           4
        .value_kind:     by_value
      - .offset:         108
        .size:           4
        .value_kind:     by_value
      - .offset:         112
        .size:           4
        .value_kind:     by_value
      - .offset:         116
        .size:           4
        .value_kind:     by_value
      - .offset:         120
        .size:           4
        .value_kind:     by_value
      - .offset:         128
        .size:           4
        .value_kind:     hidden_block_count_x
      - .offset:         132
        .size:           4
        .value_kind:     hidden_block_count_y
      - .offset:         136
        .size:           4
        .value_kind:     hidden_block_count_z
      - .offset:         140
        .size:           2
        .value_kind:     hidden_group_size_x
      - .offset:         142
        .size:           2
        .value_kind:     hidden_group_size_y
      - .offset:         144
        .size:           2
        .value_kind:     hidden_group_size_z
      - .offset:         146
        .size:           2
        .value_kind:     hidden_remainder_x
      - .offset:         148
        .size:           2
        .value_kind:     hidden_remainder_y
      - .offset:         150
        .size:           2
        .value_kind:     hidden_remainder_z
      - .offset:         168
        .size:           8
        .value_kind:     hidden_global_offset_x
      - .offset:         176
        .size:           8
        .value_kind:     hidden_global_offset_y
      - .offset:         184
        .size:           8
        .value_kind:     hidden_global_offset_z
      - .offset:         192
        .size:           2
        .value_kind:     hidden_grid_dims
      - .offset:         248
        .size:           4
        .value_kind:     hidden_dynamic_lds_size
    .group_segment_fixed_size: 240
    .kernarg_segment_align: 8
    .kernarg_segment_size: 384
    .language:       OpenCL C
    .language_version:
      - 2
      - 0
    .max_flat_workgroup_size: 1024
    .name:           _ZN4vllm25paged_attention_v1_kernelI14__hip_bfloat16S1_Li112ELi32ELi128ELNS_18Fp8KVCacheDataTypeE0ELb1EEEvPT_PKS3_PKT0_S9_ifPKiSB_iPKfiiiSD_SD_iiiii
    .private_segment_fixed_size: 0
    .sgpr_count:     51
    .sgpr_spill_count: 0
    .symbol:         _ZN4vllm25paged_attention_v1_kernelI14__hip_bfloat16S1_Li112ELi32ELi128ELNS_18Fp8KVCacheDataTypeE0ELb1EEEvPT_PKS3_PKT0_S9_ifPKiSB_iPKfiiiSD_SD_iiiii.kd
    .uniform_work_group_size: 1
    .uses_dynamic_stack: false
    .vgpr_count:     108
    .vgpr_spill_count: 0
    .wavefront_size: 64
  - .agpr_count:     0
    .args:
      - .actual_access:  write_only
        .address_space:  global
        .offset:         0
        .size:           8
        .value_kind:     global_buffer
      - .actual_access:  read_only
        .address_space:  global
        .offset:         8
        .size:           8
        .value_kind:     global_buffer
      - .actual_access:  read_only
        .address_space:  global
        .offset:         16
        .size:           8
        .value_kind:     global_buffer
      - .actual_access:  read_only
        .address_space:  global
        .offset:         24
        .size:           8
        .value_kind:     global_buffer
      - .offset:         32
        .size:           4
        .value_kind:     by_value
      - .offset:         36
        .size:           4
        .value_kind:     by_value
      - .actual_access:  read_only
        .address_space:  global
        .offset:         40
        .size:           8
        .value_kind:     global_buffer
      - .actual_access:  read_only
        .address_space:  global
        .offset:         48
        .size:           8
        .value_kind:     global_buffer
      - .offset:         56
        .size:           4
        .value_kind:     by_value
      - .actual_access:  read_only
        .address_space:  global
        .offset:         64
        .size:           8
        .value_kind:     global_buffer
      - .offset:         72
        .size:           4
        .value_kind:     by_value
      - .offset:         76
        .size:           4
        .value_kind:     by_value
      - .offset:         80
        .size:           4
        .value_kind:     by_value
      - .address_space:  global
        .offset:         88
        .size:           8
        .value_kind:     global_buffer
      - .address_space:  global
        .offset:         96
        .size:           8
        .value_kind:     global_buffer
      - .offset:         104
        .size:           4
        .value_kind:     by_value
      - .offset:         108
        .size:           4
        .value_kind:     by_value
      - .offset:         112
        .size:           4
        .value_kind:     by_value
      - .offset:         116
        .size:           4
        .value_kind:     by_value
      - .offset:         120
        .size:           4
        .value_kind:     by_value
      - .offset:         128
        .size:           4
        .value_kind:     hidden_block_count_x
      - .offset:         132
        .size:           4
        .value_kind:     hidden_block_count_y
      - .offset:         136
        .size:           4
        .value_kind:     hidden_block_count_z
      - .offset:         140
        .size:           2
        .value_kind:     hidden_group_size_x
      - .offset:         142
        .size:           2
        .value_kind:     hidden_group_size_y
      - .offset:         144
        .size:           2
        .value_kind:     hidden_group_size_z
      - .offset:         146
        .size:           2
        .value_kind:     hidden_remainder_x
      - .offset:         148
        .size:           2
        .value_kind:     hidden_remainder_y
      - .offset:         150
        .size:           2
        .value_kind:     hidden_remainder_z
      - .offset:         168
        .size:           8
        .value_kind:     hidden_global_offset_x
      - .offset:         176
        .size:           8
        .value_kind:     hidden_global_offset_y
      - .offset:         184
        .size:           8
        .value_kind:     hidden_global_offset_z
      - .offset:         192
        .size:           2
        .value_kind:     hidden_grid_dims
      - .offset:         248
        .size:           4
        .value_kind:     hidden_dynamic_lds_size
    .group_segment_fixed_size: 256
    .kernarg_segment_align: 8
    .kernarg_segment_size: 384
    .language:       OpenCL C
    .language_version:
      - 2
      - 0
    .max_flat_workgroup_size: 1024
    .name:           _ZN4vllm25paged_attention_v1_kernelI14__hip_bfloat16S1_Li120ELi32ELi128ELNS_18Fp8KVCacheDataTypeE0ELb1EEEvPT_PKS3_PKT0_S9_ifPKiSB_iPKfiiiSD_SD_iiiii
    .private_segment_fixed_size: 0
    .sgpr_count:     51
    .sgpr_spill_count: 0
    .symbol:         _ZN4vllm25paged_attention_v1_kernelI14__hip_bfloat16S1_Li120ELi32ELi128ELNS_18Fp8KVCacheDataTypeE0ELb1EEEvPT_PKS3_PKT0_S9_ifPKiSB_iPKfiiiSD_SD_iiiii.kd
    .uniform_work_group_size: 1
    .uses_dynamic_stack: false
    .vgpr_count:     127
    .vgpr_spill_count: 0
    .wavefront_size: 64
  - .agpr_count:     0
    .args:
      - .actual_access:  write_only
        .address_space:  global
        .offset:         0
        .size:           8
        .value_kind:     global_buffer
      - .actual_access:  read_only
        .address_space:  global
        .offset:         8
        .size:           8
        .value_kind:     global_buffer
      - .actual_access:  read_only
        .address_space:  global
        .offset:         16
        .size:           8
        .value_kind:     global_buffer
      - .actual_access:  read_only
        .address_space:  global
        .offset:         24
        .size:           8
        .value_kind:     global_buffer
      - .offset:         32
        .size:           4
        .value_kind:     by_value
      - .offset:         36
        .size:           4
        .value_kind:     by_value
      - .actual_access:  read_only
        .address_space:  global
        .offset:         40
        .size:           8
        .value_kind:     global_buffer
      - .actual_access:  read_only
        .address_space:  global
        .offset:         48
        .size:           8
        .value_kind:     global_buffer
      - .offset:         56
        .size:           4
        .value_kind:     by_value
      - .actual_access:  read_only
        .address_space:  global
        .offset:         64
        .size:           8
        .value_kind:     global_buffer
      - .offset:         72
        .size:           4
        .value_kind:     by_value
      - .offset:         76
        .size:           4
        .value_kind:     by_value
      - .offset:         80
        .size:           4
        .value_kind:     by_value
      - .address_space:  global
        .offset:         88
        .size:           8
        .value_kind:     global_buffer
      - .address_space:  global
        .offset:         96
        .size:           8
        .value_kind:     global_buffer
      - .offset:         104
        .size:           4
        .value_kind:     by_value
      - .offset:         108
        .size:           4
        .value_kind:     by_value
      - .offset:         112
        .size:           4
        .value_kind:     by_value
      - .offset:         116
        .size:           4
        .value_kind:     by_value
      - .offset:         120
        .size:           4
        .value_kind:     by_value
      - .offset:         128
        .size:           4
        .value_kind:     hidden_block_count_x
      - .offset:         132
        .size:           4
        .value_kind:     hidden_block_count_y
      - .offset:         136
        .size:           4
        .value_kind:     hidden_block_count_z
      - .offset:         140
        .size:           2
        .value_kind:     hidden_group_size_x
      - .offset:         142
        .size:           2
        .value_kind:     hidden_group_size_y
      - .offset:         144
        .size:           2
        .value_kind:     hidden_group_size_z
      - .offset:         146
        .size:           2
        .value_kind:     hidden_remainder_x
      - .offset:         148
        .size:           2
        .value_kind:     hidden_remainder_y
      - .offset:         150
        .size:           2
        .value_kind:     hidden_remainder_z
      - .offset:         168
        .size:           8
        .value_kind:     hidden_global_offset_x
      - .offset:         176
        .size:           8
        .value_kind:     hidden_global_offset_y
      - .offset:         184
        .size:           8
        .value_kind:     hidden_global_offset_z
      - .offset:         192
        .size:           2
        .value_kind:     hidden_grid_dims
      - .offset:         248
        .size:           4
        .value_kind:     hidden_dynamic_lds_size
    .group_segment_fixed_size: 272
    .kernarg_segment_align: 8
    .kernarg_segment_size: 384
    .language:       OpenCL C
    .language_version:
      - 2
      - 0
    .max_flat_workgroup_size: 1024
    .name:           _ZN4vllm25paged_attention_v1_kernelI14__hip_bfloat16S1_Li128ELi32ELi128ELNS_18Fp8KVCacheDataTypeE0ELb1EEEvPT_PKS3_PKT0_S9_ifPKiSB_iPKfiiiSD_SD_iiiii
    .private_segment_fixed_size: 0
    .sgpr_count:     51
    .sgpr_spill_count: 0
    .symbol:         _ZN4vllm25paged_attention_v1_kernelI14__hip_bfloat16S1_Li128ELi32ELi128ELNS_18Fp8KVCacheDataTypeE0ELb1EEEvPT_PKS3_PKT0_S9_ifPKiSB_iPKfiiiSD_SD_iiiii.kd
    .uniform_work_group_size: 1
    .uses_dynamic_stack: false
    .vgpr_count:     106
    .vgpr_spill_count: 0
    .wavefront_size: 64
  - .agpr_count:     0
    .args:
      - .actual_access:  write_only
        .address_space:  global
        .offset:         0
        .size:           8
        .value_kind:     global_buffer
      - .actual_access:  read_only
        .address_space:  global
        .offset:         8
        .size:           8
        .value_kind:     global_buffer
      - .actual_access:  read_only
        .address_space:  global
        .offset:         16
        .size:           8
        .value_kind:     global_buffer
      - .actual_access:  read_only
        .address_space:  global
        .offset:         24
        .size:           8
        .value_kind:     global_buffer
      - .offset:         32
        .size:           4
        .value_kind:     by_value
      - .offset:         36
        .size:           4
        .value_kind:     by_value
      - .actual_access:  read_only
        .address_space:  global
        .offset:         40
        .size:           8
        .value_kind:     global_buffer
      - .actual_access:  read_only
        .address_space:  global
        .offset:         48
        .size:           8
        .value_kind:     global_buffer
      - .offset:         56
        .size:           4
        .value_kind:     by_value
      - .actual_access:  read_only
        .address_space:  global
        .offset:         64
        .size:           8
        .value_kind:     global_buffer
      - .offset:         72
        .size:           4
        .value_kind:     by_value
      - .offset:         76
        .size:           4
        .value_kind:     by_value
      - .offset:         80
        .size:           4
        .value_kind:     by_value
      - .address_space:  global
        .offset:         88
        .size:           8
        .value_kind:     global_buffer
      - .address_space:  global
        .offset:         96
        .size:           8
        .value_kind:     global_buffer
      - .offset:         104
        .size:           4
        .value_kind:     by_value
      - .offset:         108
        .size:           4
        .value_kind:     by_value
      - .offset:         112
        .size:           4
        .value_kind:     by_value
      - .offset:         116
        .size:           4
        .value_kind:     by_value
      - .offset:         120
        .size:           4
        .value_kind:     by_value
      - .offset:         128
        .size:           4
        .value_kind:     hidden_block_count_x
      - .offset:         132
        .size:           4
        .value_kind:     hidden_block_count_y
      - .offset:         136
        .size:           4
        .value_kind:     hidden_block_count_z
      - .offset:         140
        .size:           2
        .value_kind:     hidden_group_size_x
      - .offset:         142
        .size:           2
        .value_kind:     hidden_group_size_y
      - .offset:         144
        .size:           2
        .value_kind:     hidden_group_size_z
      - .offset:         146
        .size:           2
        .value_kind:     hidden_remainder_x
      - .offset:         148
        .size:           2
        .value_kind:     hidden_remainder_y
      - .offset:         150
        .size:           2
        .value_kind:     hidden_remainder_z
      - .offset:         168
        .size:           8
        .value_kind:     hidden_global_offset_x
      - .offset:         176
        .size:           8
        .value_kind:     hidden_global_offset_y
      - .offset:         184
        .size:           8
        .value_kind:     hidden_global_offset_z
      - .offset:         192
        .size:           2
        .value_kind:     hidden_grid_dims
      - .offset:         248
        .size:           4
        .value_kind:     hidden_dynamic_lds_size
    .group_segment_fixed_size: 400
    .kernarg_segment_align: 8
    .kernarg_segment_size: 384
    .language:       OpenCL C
    .language_version:
      - 2
      - 0
    .max_flat_workgroup_size: 1024
    .name:           _ZN4vllm25paged_attention_v1_kernelI14__hip_bfloat16S1_Li192ELi32ELi128ELNS_18Fp8KVCacheDataTypeE0ELb1EEEvPT_PKS3_PKT0_S9_ifPKiSB_iPKfiiiSD_SD_iiiii
    .private_segment_fixed_size: 76
    .sgpr_count:     52
    .sgpr_spill_count: 0
    .symbol:         _ZN4vllm25paged_attention_v1_kernelI14__hip_bfloat16S1_Li192ELi32ELi128ELNS_18Fp8KVCacheDataTypeE0ELb1EEEvPT_PKS3_PKT0_S9_ifPKiSB_iPKfiiiSD_SD_iiiii.kd
    .uniform_work_group_size: 1
    .uses_dynamic_stack: false
    .vgpr_count:     128
    .vgpr_spill_count: 29
    .wavefront_size: 64
  - .agpr_count:     64
    .args:
      - .actual_access:  write_only
        .address_space:  global
        .offset:         0
        .size:           8
        .value_kind:     global_buffer
      - .actual_access:  read_only
        .address_space:  global
        .offset:         8
        .size:           8
        .value_kind:     global_buffer
      - .actual_access:  read_only
        .address_space:  global
        .offset:         16
        .size:           8
        .value_kind:     global_buffer
      - .actual_access:  read_only
        .address_space:  global
        .offset:         24
        .size:           8
        .value_kind:     global_buffer
      - .offset:         32
        .size:           4
        .value_kind:     by_value
      - .offset:         36
        .size:           4
        .value_kind:     by_value
      - .actual_access:  read_only
        .address_space:  global
        .offset:         40
        .size:           8
        .value_kind:     global_buffer
      - .actual_access:  read_only
        .address_space:  global
        .offset:         48
        .size:           8
        .value_kind:     global_buffer
      - .offset:         56
        .size:           4
        .value_kind:     by_value
      - .address_space:  global
        .offset:         64
        .size:           8
        .value_kind:     global_buffer
      - .offset:         72
        .size:           4
        .value_kind:     by_value
      - .offset:         76
        .size:           4
        .value_kind:     by_value
      - .offset:         80
        .size:           4
        .value_kind:     by_value
      - .address_space:  global
        .offset:         88
        .size:           8
        .value_kind:     global_buffer
      - .address_space:  global
        .offset:         96
        .size:           8
        .value_kind:     global_buffer
      - .offset:         104
        .size:           4
        .value_kind:     by_value
      - .offset:         108
        .size:           4
        .value_kind:     by_value
      - .offset:         112
        .size:           4
        .value_kind:     by_value
      - .offset:         116
        .size:           4
        .value_kind:     by_value
      - .offset:         120
        .size:           4
        .value_kind:     by_value
      - .offset:         128
        .size:           4
        .value_kind:     hidden_block_count_x
      - .offset:         132
        .size:           4
        .value_kind:     hidden_block_count_y
      - .offset:         136
        .size:           4
        .value_kind:     hidden_block_count_z
      - .offset:         140
        .size:           2
        .value_kind:     hidden_group_size_x
      - .offset:         142
        .size:           2
        .value_kind:     hidden_group_size_y
      - .offset:         144
        .size:           2
        .value_kind:     hidden_group_size_z
      - .offset:         146
        .size:           2
        .value_kind:     hidden_remainder_x
      - .offset:         148
        .size:           2
        .value_kind:     hidden_remainder_y
      - .offset:         150
        .size:           2
        .value_kind:     hidden_remainder_z
      - .offset:         168
        .size:           8
        .value_kind:     hidden_global_offset_x
      - .offset:         176
        .size:           8
        .value_kind:     hidden_global_offset_y
      - .offset:         184
        .size:           8
        .value_kind:     hidden_global_offset_z
      - .offset:         192
        .size:           2
        .value_kind:     hidden_grid_dims
      - .offset:         248
        .size:           4
        .value_kind:     hidden_dynamic_lds_size
    .group_segment_fixed_size: 528
    .kernarg_segment_align: 8
    .kernarg_segment_size: 384
    .language:       OpenCL C
    .language_version:
      - 2
      - 0
    .max_flat_workgroup_size: 1024
    .name:           _ZN4vllm25paged_attention_v1_kernelI14__hip_bfloat16S1_Li256ELi32ELi128ELNS_18Fp8KVCacheDataTypeE0ELb1EEEvPT_PKS3_PKT0_S9_ifPKiSB_iPKfiiiSD_SD_iiiii
    .private_segment_fixed_size: 540
    .sgpr_count:     46
    .sgpr_spill_count: 0
    .symbol:         _ZN4vllm25paged_attention_v1_kernelI14__hip_bfloat16S1_Li256ELi32ELi128ELNS_18Fp8KVCacheDataTypeE0ELb1EEEvPT_PKS3_PKT0_S9_ifPKiSB_iPKfiiiSD_SD_iiiii.kd
    .uniform_work_group_size: 1
    .uses_dynamic_stack: false
    .vgpr_count:     128
    .vgpr_spill_count: 0
    .wavefront_size: 64
  - .agpr_count:     0
    .args:
      - .actual_access:  write_only
        .address_space:  global
        .offset:         0
        .size:           8
        .value_kind:     global_buffer
      - .actual_access:  read_only
        .address_space:  global
        .offset:         8
        .size:           8
        .value_kind:     global_buffer
      - .actual_access:  read_only
        .address_space:  global
        .offset:         16
        .size:           8
        .value_kind:     global_buffer
      - .actual_access:  read_only
        .address_space:  global
        .offset:         24
        .size:           8
        .value_kind:     global_buffer
      - .offset:         32
        .size:           4
        .value_kind:     by_value
      - .offset:         36
        .size:           4
        .value_kind:     by_value
      - .actual_access:  read_only
        .address_space:  global
        .offset:         40
        .size:           8
        .value_kind:     global_buffer
      - .actual_access:  read_only
        .address_space:  global
        .offset:         48
        .size:           8
        .value_kind:     global_buffer
      - .offset:         56
        .size:           4
        .value_kind:     by_value
      - .actual_access:  read_only
        .address_space:  global
        .offset:         64
        .size:           8
        .value_kind:     global_buffer
      - .offset:         72
        .size:           4
        .value_kind:     by_value
      - .offset:         76
        .size:           4
        .value_kind:     by_value
      - .offset:         80
        .size:           4
        .value_kind:     by_value
      - .address_space:  global
        .offset:         88
        .size:           8
        .value_kind:     global_buffer
      - .address_space:  global
        .offset:         96
        .size:           8
        .value_kind:     global_buffer
      - .offset:         104
        .size:           4
        .value_kind:     by_value
      - .offset:         108
        .size:           4
        .value_kind:     by_value
      - .offset:         112
        .size:           4
        .value_kind:     by_value
      - .offset:         116
        .size:           4
        .value_kind:     by_value
      - .offset:         120
        .size:           4
        .value_kind:     by_value
      - .offset:         128
        .size:           4
        .value_kind:     hidden_block_count_x
      - .offset:         132
        .size:           4
        .value_kind:     hidden_block_count_y
      - .offset:         136
        .size:           4
        .value_kind:     hidden_block_count_z
      - .offset:         140
        .size:           2
        .value_kind:     hidden_group_size_x
      - .offset:         142
        .size:           2
        .value_kind:     hidden_group_size_y
      - .offset:         144
        .size:           2
        .value_kind:     hidden_group_size_z
      - .offset:         146
        .size:           2
        .value_kind:     hidden_remainder_x
      - .offset:         148
        .size:           2
        .value_kind:     hidden_remainder_y
      - .offset:         150
        .size:           2
        .value_kind:     hidden_remainder_z
      - .offset:         168
        .size:           8
        .value_kind:     hidden_global_offset_x
      - .offset:         176
        .size:           8
        .value_kind:     hidden_global_offset_y
      - .offset:         184
        .size:           8
        .value_kind:     hidden_global_offset_z
      - .offset:         192
        .size:           2
        .value_kind:     hidden_grid_dims
      - .offset:         248
        .size:           4
        .value_kind:     hidden_dynamic_lds_size
    .group_segment_fixed_size: 80
    .kernarg_segment_align: 8
    .kernarg_segment_size: 384
    .language:       OpenCL C
    .language_version:
      - 2
      - 0
    .max_flat_workgroup_size: 1024
    .name:           _ZN4vllm25paged_attention_v1_kernelI14__hip_bfloat16S1_Li32ELi32ELi128ELNS_18Fp8KVCacheDataTypeE0ELb0EEEvPT_PKS3_PKT0_S9_ifPKiSB_iPKfiiiSD_SD_iiiii
    .private_segment_fixed_size: 0
    .sgpr_count:     40
    .sgpr_spill_count: 0
    .symbol:         _ZN4vllm25paged_attention_v1_kernelI14__hip_bfloat16S1_Li32ELi32ELi128ELNS_18Fp8KVCacheDataTypeE0ELb0EEEvPT_PKS3_PKT0_S9_ifPKiSB_iPKfiiiSD_SD_iiiii.kd
    .uniform_work_group_size: 1
    .uses_dynamic_stack: false
    .vgpr_count:     47
    .vgpr_spill_count: 0
    .wavefront_size: 64
  - .agpr_count:     0
    .args:
      - .actual_access:  write_only
        .address_space:  global
        .offset:         0
        .size:           8
        .value_kind:     global_buffer
      - .actual_access:  read_only
        .address_space:  global
        .offset:         8
        .size:           8
        .value_kind:     global_buffer
      - .actual_access:  read_only
        .address_space:  global
        .offset:         16
        .size:           8
        .value_kind:     global_buffer
      - .actual_access:  read_only
        .address_space:  global
        .offset:         24
        .size:           8
        .value_kind:     global_buffer
      - .offset:         32
        .size:           4
        .value_kind:     by_value
      - .offset:         36
        .size:           4
        .value_kind:     by_value
      - .actual_access:  read_only
        .address_space:  global
        .offset:         40
        .size:           8
        .value_kind:     global_buffer
      - .actual_access:  read_only
        .address_space:  global
        .offset:         48
        .size:           8
        .value_kind:     global_buffer
      - .offset:         56
        .size:           4
        .value_kind:     by_value
      - .actual_access:  read_only
        .address_space:  global
        .offset:         64
        .size:           8
        .value_kind:     global_buffer
      - .offset:         72
        .size:           4
        .value_kind:     by_value
      - .offset:         76
        .size:           4
        .value_kind:     by_value
      - .offset:         80
        .size:           4
        .value_kind:     by_value
      - .address_space:  global
        .offset:         88
        .size:           8
        .value_kind:     global_buffer
      - .address_space:  global
        .offset:         96
        .size:           8
        .value_kind:     global_buffer
      - .offset:         104
        .size:           4
        .value_kind:     by_value
      - .offset:         108
        .size:           4
        .value_kind:     by_value
      - .offset:         112
        .size:           4
        .value_kind:     by_value
      - .offset:         116
        .size:           4
        .value_kind:     by_value
      - .offset:         120
        .size:           4
        .value_kind:     by_value
      - .offset:         128
        .size:           4
        .value_kind:     hidden_block_count_x
      - .offset:         132
        .size:           4
        .value_kind:     hidden_block_count_y
      - .offset:         136
        .size:           4
        .value_kind:     hidden_block_count_z
      - .offset:         140
        .size:           2
        .value_kind:     hidden_group_size_x
      - .offset:         142
        .size:           2
        .value_kind:     hidden_group_size_y
      - .offset:         144
        .size:           2
        .value_kind:     hidden_group_size_z
      - .offset:         146
        .size:           2
        .value_kind:     hidden_remainder_x
      - .offset:         148
        .size:           2
        .value_kind:     hidden_remainder_y
      - .offset:         150
        .size:           2
        .value_kind:     hidden_remainder_z
      - .offset:         168
        .size:           8
        .value_kind:     hidden_global_offset_x
      - .offset:         176
        .size:           8
        .value_kind:     hidden_global_offset_y
      - .offset:         184
        .size:           8
        .value_kind:     hidden_global_offset_z
      - .offset:         192
        .size:           2
        .value_kind:     hidden_grid_dims
      - .offset:         248
        .size:           4
        .value_kind:     hidden_dynamic_lds_size
    .group_segment_fixed_size: 144
    .kernarg_segment_align: 8
    .kernarg_segment_size: 384
    .language:       OpenCL C
    .language_version:
      - 2
      - 0
    .max_flat_workgroup_size: 1024
    .name:           _ZN4vllm25paged_attention_v1_kernelI14__hip_bfloat16S1_Li64ELi32ELi128ELNS_18Fp8KVCacheDataTypeE0ELb0EEEvPT_PKS3_PKT0_S9_ifPKiSB_iPKfiiiSD_SD_iiiii
    .private_segment_fixed_size: 0
    .sgpr_count:     40
    .sgpr_spill_count: 0
    .symbol:         _ZN4vllm25paged_attention_v1_kernelI14__hip_bfloat16S1_Li64ELi32ELi128ELNS_18Fp8KVCacheDataTypeE0ELb0EEEvPT_PKS3_PKT0_S9_ifPKiSB_iPKfiiiSD_SD_iiiii.kd
    .uniform_work_group_size: 1
    .uses_dynamic_stack: false
    .vgpr_count:     79
    .vgpr_spill_count: 0
    .wavefront_size: 64
  - .agpr_count:     0
    .args:
      - .actual_access:  write_only
        .address_space:  global
        .offset:         0
        .size:           8
        .value_kind:     global_buffer
      - .actual_access:  read_only
        .address_space:  global
        .offset:         8
        .size:           8
        .value_kind:     global_buffer
      - .actual_access:  read_only
        .address_space:  global
        .offset:         16
        .size:           8
        .value_kind:     global_buffer
      - .actual_access:  read_only
        .address_space:  global
        .offset:         24
        .size:           8
        .value_kind:     global_buffer
      - .offset:         32
        .size:           4
        .value_kind:     by_value
      - .offset:         36
        .size:           4
        .value_kind:     by_value
      - .actual_access:  read_only
        .address_space:  global
        .offset:         40
        .size:           8
        .value_kind:     global_buffer
      - .actual_access:  read_only
        .address_space:  global
        .offset:         48
        .size:           8
        .value_kind:     global_buffer
      - .offset:         56
        .size:           4
        .value_kind:     by_value
      - .actual_access:  read_only
        .address_space:  global
        .offset:         64
        .size:           8
        .value_kind:     global_buffer
      - .offset:         72
        .size:           4
        .value_kind:     by_value
      - .offset:         76
        .size:           4
        .value_kind:     by_value
      - .offset:         80
        .size:           4
        .value_kind:     by_value
      - .address_space:  global
        .offset:         88
        .size:           8
        .value_kind:     global_buffer
      - .address_space:  global
        .offset:         96
        .size:           8
        .value_kind:     global_buffer
      - .offset:         104
        .size:           4
        .value_kind:     by_value
      - .offset:         108
        .size:           4
        .value_kind:     by_value
      - .offset:         112
        .size:           4
        .value_kind:     by_value
      - .offset:         116
        .size:           4
        .value_kind:     by_value
      - .offset:         120
        .size:           4
        .value_kind:     by_value
      - .offset:         128
        .size:           4
        .value_kind:     hidden_block_count_x
      - .offset:         132
        .size:           4
        .value_kind:     hidden_block_count_y
      - .offset:         136
        .size:           4
        .value_kind:     hidden_block_count_z
      - .offset:         140
        .size:           2
        .value_kind:     hidden_group_size_x
      - .offset:         142
        .size:           2
        .value_kind:     hidden_group_size_y
      - .offset:         144
        .size:           2
        .value_kind:     hidden_group_size_z
      - .offset:         146
        .size:           2
        .value_kind:     hidden_remainder_x
      - .offset:         148
        .size:           2
        .value_kind:     hidden_remainder_y
      - .offset:         150
        .size:           2
        .value_kind:     hidden_remainder_z
      - .offset:         168
        .size:           8
        .value_kind:     hidden_global_offset_x
      - .offset:         176
        .size:           8
        .value_kind:     hidden_global_offset_y
      - .offset:         184
        .size:           8
        .value_kind:     hidden_global_offset_z
      - .offset:         192
        .size:           2
        .value_kind:     hidden_grid_dims
      - .offset:         248
        .size:           4
        .value_kind:     hidden_dynamic_lds_size
    .group_segment_fixed_size: 176
    .kernarg_segment_align: 8
    .kernarg_segment_size: 384
    .language:       OpenCL C
    .language_version:
      - 2
      - 0
    .max_flat_workgroup_size: 1024
    .name:           _ZN4vllm25paged_attention_v1_kernelI14__hip_bfloat16S1_Li80ELi32ELi128ELNS_18Fp8KVCacheDataTypeE0ELb0EEEvPT_PKS3_PKT0_S9_ifPKiSB_iPKfiiiSD_SD_iiiii
    .private_segment_fixed_size: 0
    .sgpr_count:     41
    .sgpr_spill_count: 0
    .symbol:         _ZN4vllm25paged_attention_v1_kernelI14__hip_bfloat16S1_Li80ELi32ELi128ELNS_18Fp8KVCacheDataTypeE0ELb0EEEvPT_PKS3_PKT0_S9_ifPKiSB_iPKfiiiSD_SD_iiiii.kd
    .uniform_work_group_size: 1
    .uses_dynamic_stack: false
    .vgpr_count:     95
    .vgpr_spill_count: 0
    .wavefront_size: 64
  - .agpr_count:     0
    .args:
      - .actual_access:  write_only
        .address_space:  global
        .offset:         0
        .size:           8
        .value_kind:     global_buffer
      - .actual_access:  read_only
        .address_space:  global
        .offset:         8
        .size:           8
        .value_kind:     global_buffer
      - .actual_access:  read_only
        .address_space:  global
        .offset:         16
        .size:           8
        .value_kind:     global_buffer
      - .actual_access:  read_only
        .address_space:  global
        .offset:         24
        .size:           8
        .value_kind:     global_buffer
      - .offset:         32
        .size:           4
        .value_kind:     by_value
      - .offset:         36
        .size:           4
        .value_kind:     by_value
      - .actual_access:  read_only
        .address_space:  global
        .offset:         40
        .size:           8
        .value_kind:     global_buffer
      - .actual_access:  read_only
        .address_space:  global
        .offset:         48
        .size:           8
        .value_kind:     global_buffer
      - .offset:         56
        .size:           4
        .value_kind:     by_value
      - .actual_access:  read_only
        .address_space:  global
        .offset:         64
        .size:           8
        .value_kind:     global_buffer
      - .offset:         72
        .size:           4
        .value_kind:     by_value
      - .offset:         76
        .size:           4
        .value_kind:     by_value
      - .offset:         80
        .size:           4
        .value_kind:     by_value
      - .address_space:  global
        .offset:         88
        .size:           8
        .value_kind:     global_buffer
      - .address_space:  global
        .offset:         96
        .size:           8
        .value_kind:     global_buffer
      - .offset:         104
        .size:           4
        .value_kind:     by_value
      - .offset:         108
        .size:           4
        .value_kind:     by_value
      - .offset:         112
        .size:           4
        .value_kind:     by_value
      - .offset:         116
        .size:           4
        .value_kind:     by_value
      - .offset:         120
        .size:           4
        .value_kind:     by_value
      - .offset:         128
        .size:           4
        .value_kind:     hidden_block_count_x
      - .offset:         132
        .size:           4
        .value_kind:     hidden_block_count_y
      - .offset:         136
        .size:           4
        .value_kind:     hidden_block_count_z
      - .offset:         140
        .size:           2
        .value_kind:     hidden_group_size_x
      - .offset:         142
        .size:           2
        .value_kind:     hidden_group_size_y
      - .offset:         144
        .size:           2
        .value_kind:     hidden_group_size_z
      - .offset:         146
        .size:           2
        .value_kind:     hidden_remainder_x
      - .offset:         148
        .size:           2
        .value_kind:     hidden_remainder_y
      - .offset:         150
        .size:           2
        .value_kind:     hidden_remainder_z
      - .offset:         168
        .size:           8
        .value_kind:     hidden_global_offset_x
      - .offset:         176
        .size:           8
        .value_kind:     hidden_global_offset_y
      - .offset:         184
        .size:           8
        .value_kind:     hidden_global_offset_z
      - .offset:         192
        .size:           2
        .value_kind:     hidden_grid_dims
      - .offset:         248
        .size:           4
        .value_kind:     hidden_dynamic_lds_size
    .group_segment_fixed_size: 208
    .kernarg_segment_align: 8
    .kernarg_segment_size: 384
    .language:       OpenCL C
    .language_version:
      - 2
      - 0
    .max_flat_workgroup_size: 1024
    .name:           _ZN4vllm25paged_attention_v1_kernelI14__hip_bfloat16S1_Li96ELi32ELi128ELNS_18Fp8KVCacheDataTypeE0ELb0EEEvPT_PKS3_PKT0_S9_ifPKiSB_iPKfiiiSD_SD_iiiii
    .private_segment_fixed_size: 0
    .sgpr_count:     41
    .sgpr_spill_count: 0
    .symbol:         _ZN4vllm25paged_attention_v1_kernelI14__hip_bfloat16S1_Li96ELi32ELi128ELNS_18Fp8KVCacheDataTypeE0ELb0EEEvPT_PKS3_PKT0_S9_ifPKiSB_iPKfiiiSD_SD_iiiii.kd
    .uniform_work_group_size: 1
    .uses_dynamic_stack: false
    .vgpr_count:     111
    .vgpr_spill_count: 0
    .wavefront_size: 64
  - .agpr_count:     0
    .args:
      - .actual_access:  write_only
        .address_space:  global
        .offset:         0
        .size:           8
        .value_kind:     global_buffer
      - .actual_access:  read_only
        .address_space:  global
        .offset:         8
        .size:           8
        .value_kind:     global_buffer
      - .actual_access:  read_only
        .address_space:  global
        .offset:         16
        .size:           8
        .value_kind:     global_buffer
      - .actual_access:  read_only
        .address_space:  global
        .offset:         24
        .size:           8
        .value_kind:     global_buffer
      - .offset:         32
        .size:           4
        .value_kind:     by_value
      - .offset:         36
        .size:           4
        .value_kind:     by_value
      - .actual_access:  read_only
        .address_space:  global
        .offset:         40
        .size:           8
        .value_kind:     global_buffer
      - .actual_access:  read_only
        .address_space:  global
        .offset:         48
        .size:           8
        .value_kind:     global_buffer
      - .offset:         56
        .size:           4
        .value_kind:     by_value
      - .actual_access:  read_only
        .address_space:  global
        .offset:         64
        .size:           8
        .value_kind:     global_buffer
      - .offset:         72
        .size:           4
        .value_kind:     by_value
      - .offset:         76
        .size:           4
        .value_kind:     by_value
      - .offset:         80
        .size:           4
        .value_kind:     by_value
      - .address_space:  global
        .offset:         88
        .size:           8
        .value_kind:     global_buffer
      - .address_space:  global
        .offset:         96
        .size:           8
        .value_kind:     global_buffer
      - .offset:         104
        .size:           4
        .value_kind:     by_value
      - .offset:         108
        .size:           4
        .value_kind:     by_value
      - .offset:         112
        .size:           4
        .value_kind:     by_value
      - .offset:         116
        .size:           4
        .value_kind:     by_value
      - .offset:         120
        .size:           4
        .value_kind:     by_value
      - .offset:         128
        .size:           4
        .value_kind:     hidden_block_count_x
      - .offset:         132
        .size:           4
        .value_kind:     hidden_block_count_y
      - .offset:         136
        .size:           4
        .value_kind:     hidden_block_count_z
      - .offset:         140
        .size:           2
        .value_kind:     hidden_group_size_x
      - .offset:         142
        .size:           2
        .value_kind:     hidden_group_size_y
      - .offset:         144
        .size:           2
        .value_kind:     hidden_group_size_z
      - .offset:         146
        .size:           2
        .value_kind:     hidden_remainder_x
      - .offset:         148
        .size:           2
        .value_kind:     hidden_remainder_y
      - .offset:         150
        .size:           2
        .value_kind:     hidden_remainder_z
      - .offset:         168
        .size:           8
        .value_kind:     hidden_global_offset_x
      - .offset:         176
        .size:           8
        .value_kind:     hidden_global_offset_y
      - .offset:         184
        .size:           8
        .value_kind:     hidden_global_offset_z
      - .offset:         192
        .size:           2
        .value_kind:     hidden_grid_dims
      - .offset:         248
        .size:           4
        .value_kind:     hidden_dynamic_lds_size
    .group_segment_fixed_size: 240
    .kernarg_segment_align: 8
    .kernarg_segment_size: 384
    .language:       OpenCL C
    .language_version:
      - 2
      - 0
    .max_flat_workgroup_size: 1024
    .name:           _ZN4vllm25paged_attention_v1_kernelI14__hip_bfloat16S1_Li112ELi32ELi128ELNS_18Fp8KVCacheDataTypeE0ELb0EEEvPT_PKS3_PKT0_S9_ifPKiSB_iPKfiiiSD_SD_iiiii
    .private_segment_fixed_size: 0
    .sgpr_count:     41
    .sgpr_spill_count: 0
    .symbol:         _ZN4vllm25paged_attention_v1_kernelI14__hip_bfloat16S1_Li112ELi32ELi128ELNS_18Fp8KVCacheDataTypeE0ELb0EEEvPT_PKS3_PKT0_S9_ifPKiSB_iPKfiiiSD_SD_iiiii.kd
    .uniform_work_group_size: 1
    .uses_dynamic_stack: false
    .vgpr_count:     127
    .vgpr_spill_count: 0
    .wavefront_size: 64
  - .agpr_count:     0
    .args:
      - .actual_access:  write_only
        .address_space:  global
        .offset:         0
        .size:           8
        .value_kind:     global_buffer
      - .actual_access:  read_only
        .address_space:  global
        .offset:         8
        .size:           8
        .value_kind:     global_buffer
      - .actual_access:  read_only
        .address_space:  global
        .offset:         16
        .size:           8
        .value_kind:     global_buffer
      - .actual_access:  read_only
        .address_space:  global
        .offset:         24
        .size:           8
        .value_kind:     global_buffer
      - .offset:         32
        .size:           4
        .value_kind:     by_value
      - .offset:         36
        .size:           4
        .value_kind:     by_value
      - .actual_access:  read_only
        .address_space:  global
        .offset:         40
        .size:           8
        .value_kind:     global_buffer
      - .actual_access:  read_only
        .address_space:  global
        .offset:         48
        .size:           8
        .value_kind:     global_buffer
      - .offset:         56
        .size:           4
        .value_kind:     by_value
      - .actual_access:  read_only
        .address_space:  global
        .offset:         64
        .size:           8
        .value_kind:     global_buffer
      - .offset:         72
        .size:           4
        .value_kind:     by_value
      - .offset:         76
        .size:           4
        .value_kind:     by_value
      - .offset:         80
        .size:           4
        .value_kind:     by_value
      - .address_space:  global
        .offset:         88
        .size:           8
        .value_kind:     global_buffer
      - .address_space:  global
        .offset:         96
        .size:           8
        .value_kind:     global_buffer
      - .offset:         104
        .size:           4
        .value_kind:     by_value
      - .offset:         108
        .size:           4
        .value_kind:     by_value
      - .offset:         112
        .size:           4
        .value_kind:     by_value
      - .offset:         116
        .size:           4
        .value_kind:     by_value
      - .offset:         120
        .size:           4
        .value_kind:     by_value
      - .offset:         128
        .size:           4
        .value_kind:     hidden_block_count_x
      - .offset:         132
        .size:           4
        .value_kind:     hidden_block_count_y
      - .offset:         136
        .size:           4
        .value_kind:     hidden_block_count_z
      - .offset:         140
        .size:           2
        .value_kind:     hidden_group_size_x
      - .offset:         142
        .size:           2
        .value_kind:     hidden_group_size_y
      - .offset:         144
        .size:           2
        .value_kind:     hidden_group_size_z
      - .offset:         146
        .size:           2
        .value_kind:     hidden_remainder_x
      - .offset:         148
        .size:           2
        .value_kind:     hidden_remainder_y
      - .offset:         150
        .size:           2
        .value_kind:     hidden_remainder_z
      - .offset:         168
        .size:           8
        .value_kind:     hidden_global_offset_x
      - .offset:         176
        .size:           8
        .value_kind:     hidden_global_offset_y
      - .offset:         184
        .size:           8
        .value_kind:     hidden_global_offset_z
      - .offset:         192
        .size:           2
        .value_kind:     hidden_grid_dims
      - .offset:         248
        .size:           4
        .value_kind:     hidden_dynamic_lds_size
    .group_segment_fixed_size: 256
    .kernarg_segment_align: 8
    .kernarg_segment_size: 384
    .language:       OpenCL C
    .language_version:
      - 2
      - 0
    .max_flat_workgroup_size: 1024
    .name:           _ZN4vllm25paged_attention_v1_kernelI14__hip_bfloat16S1_Li120ELi32ELi128ELNS_18Fp8KVCacheDataTypeE0ELb0EEEvPT_PKS3_PKT0_S9_ifPKiSB_iPKfiiiSD_SD_iiiii
    .private_segment_fixed_size: 0
    .sgpr_count:     41
    .sgpr_spill_count: 0
    .symbol:         _ZN4vllm25paged_attention_v1_kernelI14__hip_bfloat16S1_Li120ELi32ELi128ELNS_18Fp8KVCacheDataTypeE0ELb0EEEvPT_PKS3_PKT0_S9_ifPKiSB_iPKfiiiSD_SD_iiiii.kd
    .uniform_work_group_size: 1
    .uses_dynamic_stack: false
    .vgpr_count:     110
    .vgpr_spill_count: 0
    .wavefront_size: 64
  - .agpr_count:     0
    .args:
      - .actual_access:  write_only
        .address_space:  global
        .offset:         0
        .size:           8
        .value_kind:     global_buffer
      - .actual_access:  read_only
        .address_space:  global
        .offset:         8
        .size:           8
        .value_kind:     global_buffer
      - .actual_access:  read_only
        .address_space:  global
        .offset:         16
        .size:           8
        .value_kind:     global_buffer
      - .actual_access:  read_only
        .address_space:  global
        .offset:         24
        .size:           8
        .value_kind:     global_buffer
      - .offset:         32
        .size:           4
        .value_kind:     by_value
      - .offset:         36
        .size:           4
        .value_kind:     by_value
      - .actual_access:  read_only
        .address_space:  global
        .offset:         40
        .size:           8
        .value_kind:     global_buffer
      - .actual_access:  read_only
        .address_space:  global
        .offset:         48
        .size:           8
        .value_kind:     global_buffer
      - .offset:         56
        .size:           4
        .value_kind:     by_value
      - .actual_access:  read_only
        .address_space:  global
        .offset:         64
        .size:           8
        .value_kind:     global_buffer
      - .offset:         72
        .size:           4
        .value_kind:     by_value
      - .offset:         76
        .size:           4
        .value_kind:     by_value
      - .offset:         80
        .size:           4
        .value_kind:     by_value
      - .address_space:  global
        .offset:         88
        .size:           8
        .value_kind:     global_buffer
      - .address_space:  global
        .offset:         96
        .size:           8
        .value_kind:     global_buffer
      - .offset:         104
        .size:           4
        .value_kind:     by_value
      - .offset:         108
        .size:           4
        .value_kind:     by_value
      - .offset:         112
        .size:           4
        .value_kind:     by_value
      - .offset:         116
        .size:           4
        .value_kind:     by_value
      - .offset:         120
        .size:           4
        .value_kind:     by_value
      - .offset:         128
        .size:           4
        .value_kind:     hidden_block_count_x
      - .offset:         132
        .size:           4
        .value_kind:     hidden_block_count_y
      - .offset:         136
        .size:           4
        .value_kind:     hidden_block_count_z
      - .offset:         140
        .size:           2
        .value_kind:     hidden_group_size_x
      - .offset:         142
        .size:           2
        .value_kind:     hidden_group_size_y
      - .offset:         144
        .size:           2
        .value_kind:     hidden_group_size_z
      - .offset:         146
        .size:           2
        .value_kind:     hidden_remainder_x
      - .offset:         148
        .size:           2
        .value_kind:     hidden_remainder_y
      - .offset:         150
        .size:           2
        .value_kind:     hidden_remainder_z
      - .offset:         168
        .size:           8
        .value_kind:     hidden_global_offset_x
      - .offset:         176
        .size:           8
        .value_kind:     hidden_global_offset_y
      - .offset:         184
        .size:           8
        .value_kind:     hidden_global_offset_z
      - .offset:         192
        .size:           2
        .value_kind:     hidden_grid_dims
      - .offset:         248
        .size:           4
        .value_kind:     hidden_dynamic_lds_size
    .group_segment_fixed_size: 272
    .kernarg_segment_align: 8
    .kernarg_segment_size: 384
    .language:       OpenCL C
    .language_version:
      - 2
      - 0
    .max_flat_workgroup_size: 1024
    .name:           _ZN4vllm25paged_attention_v1_kernelI14__hip_bfloat16S1_Li128ELi32ELi128ELNS_18Fp8KVCacheDataTypeE0ELb0EEEvPT_PKS3_PKT0_S9_ifPKiSB_iPKfiiiSD_SD_iiiii
    .private_segment_fixed_size: 0
    .sgpr_count:     41
    .sgpr_spill_count: 0
    .symbol:         _ZN4vllm25paged_attention_v1_kernelI14__hip_bfloat16S1_Li128ELi32ELi128ELNS_18Fp8KVCacheDataTypeE0ELb0EEEvPT_PKS3_PKT0_S9_ifPKiSB_iPKfiiiSD_SD_iiiii.kd
    .uniform_work_group_size: 1
    .uses_dynamic_stack: false
    .vgpr_count:     116
    .vgpr_spill_count: 0
    .wavefront_size: 64
  - .agpr_count:     0
    .args:
      - .actual_access:  write_only
        .address_space:  global
        .offset:         0
        .size:           8
        .value_kind:     global_buffer
      - .actual_access:  read_only
        .address_space:  global
        .offset:         8
        .size:           8
        .value_kind:     global_buffer
      - .actual_access:  read_only
        .address_space:  global
        .offset:         16
        .size:           8
        .value_kind:     global_buffer
      - .actual_access:  read_only
        .address_space:  global
        .offset:         24
        .size:           8
        .value_kind:     global_buffer
      - .offset:         32
        .size:           4
        .value_kind:     by_value
      - .offset:         36
        .size:           4
        .value_kind:     by_value
      - .actual_access:  read_only
        .address_space:  global
        .offset:         40
        .size:           8
        .value_kind:     global_buffer
      - .actual_access:  read_only
        .address_space:  global
        .offset:         48
        .size:           8
        .value_kind:     global_buffer
      - .offset:         56
        .size:           4
        .value_kind:     by_value
      - .actual_access:  read_only
        .address_space:  global
        .offset:         64
        .size:           8
        .value_kind:     global_buffer
      - .offset:         72
        .size:           4
        .value_kind:     by_value
      - .offset:         76
        .size:           4
        .value_kind:     by_value
      - .offset:         80
        .size:           4
        .value_kind:     by_value
      - .address_space:  global
        .offset:         88
        .size:           8
        .value_kind:     global_buffer
      - .address_space:  global
        .offset:         96
        .size:           8
        .value_kind:     global_buffer
      - .offset:         104
        .size:           4
        .value_kind:     by_value
      - .offset:         108
        .size:           4
        .value_kind:     by_value
      - .offset:         112
        .size:           4
        .value_kind:     by_value
      - .offset:         116
        .size:           4
        .value_kind:     by_value
      - .offset:         120
        .size:           4
        .value_kind:     by_value
      - .offset:         128
        .size:           4
        .value_kind:     hidden_block_count_x
      - .offset:         132
        .size:           4
        .value_kind:     hidden_block_count_y
      - .offset:         136
        .size:           4
        .value_kind:     hidden_block_count_z
      - .offset:         140
        .size:           2
        .value_kind:     hidden_group_size_x
      - .offset:         142
        .size:           2
        .value_kind:     hidden_group_size_y
      - .offset:         144
        .size:           2
        .value_kind:     hidden_group_size_z
      - .offset:         146
        .size:           2
        .value_kind:     hidden_remainder_x
      - .offset:         148
        .size:           2
        .value_kind:     hidden_remainder_y
      - .offset:         150
        .size:           2
        .value_kind:     hidden_remainder_z
      - .offset:         168
        .size:           8
        .value_kind:     hidden_global_offset_x
      - .offset:         176
        .size:           8
        .value_kind:     hidden_global_offset_y
      - .offset:         184
        .size:           8
        .value_kind:     hidden_global_offset_z
      - .offset:         192
        .size:           2
        .value_kind:     hidden_grid_dims
      - .offset:         248
        .size:           4
        .value_kind:     hidden_dynamic_lds_size
    .group_segment_fixed_size: 400
    .kernarg_segment_align: 8
    .kernarg_segment_size: 384
    .language:       OpenCL C
    .language_version:
      - 2
      - 0
    .max_flat_workgroup_size: 1024
    .name:           _ZN4vllm25paged_attention_v1_kernelI14__hip_bfloat16S1_Li192ELi32ELi128ELNS_18Fp8KVCacheDataTypeE0ELb0EEEvPT_PKS3_PKT0_S9_ifPKiSB_iPKfiiiSD_SD_iiiii
    .private_segment_fixed_size: 148
    .sgpr_count:     42
    .sgpr_spill_count: 0
    .symbol:         _ZN4vllm25paged_attention_v1_kernelI14__hip_bfloat16S1_Li192ELi32ELi128ELNS_18Fp8KVCacheDataTypeE0ELb0EEEvPT_PKS3_PKT0_S9_ifPKiSB_iPKfiiiSD_SD_iiiii.kd
    .uniform_work_group_size: 1
    .uses_dynamic_stack: false
    .vgpr_count:     128
    .vgpr_spill_count: 60
    .wavefront_size: 64
  - .agpr_count:     64
    .args:
      - .actual_access:  write_only
        .address_space:  global
        .offset:         0
        .size:           8
        .value_kind:     global_buffer
      - .actual_access:  read_only
        .address_space:  global
        .offset:         8
        .size:           8
        .value_kind:     global_buffer
      - .actual_access:  read_only
        .address_space:  global
        .offset:         16
        .size:           8
        .value_kind:     global_buffer
      - .actual_access:  read_only
        .address_space:  global
        .offset:         24
        .size:           8
        .value_kind:     global_buffer
      - .offset:         32
        .size:           4
        .value_kind:     by_value
      - .offset:         36
        .size:           4
        .value_kind:     by_value
      - .actual_access:  read_only
        .address_space:  global
        .offset:         40
        .size:           8
        .value_kind:     global_buffer
      - .actual_access:  read_only
        .address_space:  global
        .offset:         48
        .size:           8
        .value_kind:     global_buffer
      - .offset:         56
        .size:           4
        .value_kind:     by_value
      - .address_space:  global
        .offset:         64
        .size:           8
        .value_kind:     global_buffer
      - .offset:         72
        .size:           4
        .value_kind:     by_value
      - .offset:         76
        .size:           4
        .value_kind:     by_value
      - .offset:         80
        .size:           4
        .value_kind:     by_value
      - .address_space:  global
        .offset:         88
        .size:           8
        .value_kind:     global_buffer
      - .address_space:  global
        .offset:         96
        .size:           8
        .value_kind:     global_buffer
      - .offset:         104
        .size:           4
        .value_kind:     by_value
      - .offset:         108
        .size:           4
        .value_kind:     by_value
      - .offset:         112
        .size:           4
        .value_kind:     by_value
      - .offset:         116
        .size:           4
        .value_kind:     by_value
      - .offset:         120
        .size:           4
        .value_kind:     by_value
      - .offset:         128
        .size:           4
        .value_kind:     hidden_block_count_x
      - .offset:         132
        .size:           4
        .value_kind:     hidden_block_count_y
      - .offset:         136
        .size:           4
        .value_kind:     hidden_block_count_z
      - .offset:         140
        .size:           2
        .value_kind:     hidden_group_size_x
      - .offset:         142
        .size:           2
        .value_kind:     hidden_group_size_y
      - .offset:         144
        .size:           2
        .value_kind:     hidden_group_size_z
      - .offset:         146
        .size:           2
        .value_kind:     hidden_remainder_x
      - .offset:         148
        .size:           2
        .value_kind:     hidden_remainder_y
      - .offset:         150
        .size:           2
        .value_kind:     hidden_remainder_z
      - .offset:         168
        .size:           8
        .value_kind:     hidden_global_offset_x
      - .offset:         176
        .size:           8
        .value_kind:     hidden_global_offset_y
      - .offset:         184
        .size:           8
        .value_kind:     hidden_global_offset_z
      - .offset:         192
        .size:           2
        .value_kind:     hidden_grid_dims
      - .offset:         248
        .size:           4
        .value_kind:     hidden_dynamic_lds_size
    .group_segment_fixed_size: 528
    .kernarg_segment_align: 8
    .kernarg_segment_size: 384
    .language:       OpenCL C
    .language_version:
      - 2
      - 0
    .max_flat_workgroup_size: 1024
    .name:           _ZN4vllm25paged_attention_v1_kernelI14__hip_bfloat16S1_Li256ELi32ELi128ELNS_18Fp8KVCacheDataTypeE0ELb0EEEvPT_PKS3_PKT0_S9_ifPKiSB_iPKfiiiSD_SD_iiiii
    .private_segment_fixed_size: 652
    .sgpr_count:     39
    .sgpr_spill_count: 0
    .symbol:         _ZN4vllm25paged_attention_v1_kernelI14__hip_bfloat16S1_Li256ELi32ELi128ELNS_18Fp8KVCacheDataTypeE0ELb0EEEvPT_PKS3_PKT0_S9_ifPKiSB_iPKfiiiSD_SD_iiiii.kd
    .uniform_work_group_size: 1
    .uses_dynamic_stack: false
    .vgpr_count:     128
    .vgpr_spill_count: 0
    .wavefront_size: 64
  - .agpr_count:     0
    .args:
      - .actual_access:  write_only
        .address_space:  global
        .offset:         0
        .size:           8
        .value_kind:     global_buffer
      - .actual_access:  read_only
        .address_space:  global
        .offset:         8
        .size:           8
        .value_kind:     global_buffer
      - .actual_access:  read_only
        .address_space:  global
        .offset:         16
        .size:           8
        .value_kind:     global_buffer
      - .actual_access:  read_only
        .address_space:  global
        .offset:         24
        .size:           8
        .value_kind:     global_buffer
      - .offset:         32
        .size:           4
        .value_kind:     by_value
      - .offset:         36
        .size:           4
        .value_kind:     by_value
      - .actual_access:  read_only
        .address_space:  global
        .offset:         40
        .size:           8
        .value_kind:     global_buffer
      - .actual_access:  read_only
        .address_space:  global
        .offset:         48
        .size:           8
        .value_kind:     global_buffer
      - .offset:         56
        .size:           4
        .value_kind:     by_value
      - .actual_access:  read_only
        .address_space:  global
        .offset:         64
        .size:           8
        .value_kind:     global_buffer
      - .offset:         72
        .size:           4
        .value_kind:     by_value
      - .offset:         76
        .size:           4
        .value_kind:     by_value
      - .offset:         80
        .size:           4
        .value_kind:     by_value
      - .address_space:  global
        .offset:         88
        .size:           8
        .value_kind:     global_buffer
      - .address_space:  global
        .offset:         96
        .size:           8
        .value_kind:     global_buffer
      - .offset:         104
        .size:           4
        .value_kind:     by_value
      - .offset:         108
        .size:           4
        .value_kind:     by_value
      - .offset:         112
        .size:           4
        .value_kind:     by_value
      - .offset:         116
        .size:           4
        .value_kind:     by_value
      - .offset:         120
        .size:           4
        .value_kind:     by_value
      - .offset:         128
        .size:           4
        .value_kind:     hidden_block_count_x
      - .offset:         132
        .size:           4
        .value_kind:     hidden_block_count_y
      - .offset:         136
        .size:           4
        .value_kind:     hidden_block_count_z
      - .offset:         140
        .size:           2
        .value_kind:     hidden_group_size_x
      - .offset:         142
        .size:           2
        .value_kind:     hidden_group_size_y
      - .offset:         144
        .size:           2
        .value_kind:     hidden_group_size_z
      - .offset:         146
        .size:           2
        .value_kind:     hidden_remainder_x
      - .offset:         148
        .size:           2
        .value_kind:     hidden_remainder_y
      - .offset:         150
        .size:           2
        .value_kind:     hidden_remainder_z
      - .offset:         168
        .size:           8
        .value_kind:     hidden_global_offset_x
      - .offset:         176
        .size:           8
        .value_kind:     hidden_global_offset_y
      - .offset:         184
        .size:           8
        .value_kind:     hidden_global_offset_z
      - .offset:         192
        .size:           2
        .value_kind:     hidden_grid_dims
      - .offset:         248
        .size:           4
        .value_kind:     hidden_dynamic_lds_size
    .group_segment_fixed_size: 144
    .kernarg_segment_align: 8
    .kernarg_segment_size: 384
    .language:       OpenCL C
    .language_version:
      - 2
      - 0
    .max_flat_workgroup_size: 1024
    .name:           _ZN4vllm25paged_attention_v1_kernelIfhLi32ELi8ELi128ELNS_18Fp8KVCacheDataTypeE1ELb1EEEvPT_PKS2_PKT0_S8_ifPKiSA_iPKfiiiSC_SC_iiiii
    .private_segment_fixed_size: 0
    .sgpr_count:     54
    .sgpr_spill_count: 0
    .symbol:         _ZN4vllm25paged_attention_v1_kernelIfhLi32ELi8ELi128ELNS_18Fp8KVCacheDataTypeE1ELb1EEEvPT_PKS2_PKT0_S8_ifPKiSA_iPKfiiiSC_SC_iiiii.kd
    .uniform_work_group_size: 1
    .uses_dynamic_stack: false
    .vgpr_count:     35
    .vgpr_spill_count: 0
    .wavefront_size: 64
  - .agpr_count:     0
    .args:
      - .actual_access:  write_only
        .address_space:  global
        .offset:         0
        .size:           8
        .value_kind:     global_buffer
      - .actual_access:  read_only
        .address_space:  global
        .offset:         8
        .size:           8
        .value_kind:     global_buffer
      - .actual_access:  read_only
        .address_space:  global
        .offset:         16
        .size:           8
        .value_kind:     global_buffer
      - .actual_access:  read_only
        .address_space:  global
        .offset:         24
        .size:           8
        .value_kind:     global_buffer
      - .offset:         32
        .size:           4
        .value_kind:     by_value
      - .offset:         36
        .size:           4
        .value_kind:     by_value
      - .actual_access:  read_only
        .address_space:  global
        .offset:         40
        .size:           8
        .value_kind:     global_buffer
      - .actual_access:  read_only
        .address_space:  global
        .offset:         48
        .size:           8
        .value_kind:     global_buffer
      - .offset:         56
        .size:           4
        .value_kind:     by_value
      - .actual_access:  read_only
        .address_space:  global
        .offset:         64
        .size:           8
        .value_kind:     global_buffer
      - .offset:         72
        .size:           4
        .value_kind:     by_value
      - .offset:         76
        .size:           4
        .value_kind:     by_value
      - .offset:         80
        .size:           4
        .value_kind:     by_value
      - .address_space:  global
        .offset:         88
        .size:           8
        .value_kind:     global_buffer
      - .address_space:  global
        .offset:         96
        .size:           8
        .value_kind:     global_buffer
      - .offset:         104
        .size:           4
        .value_kind:     by_value
      - .offset:         108
        .size:           4
        .value_kind:     by_value
      - .offset:         112
        .size:           4
        .value_kind:     by_value
      - .offset:         116
        .size:           4
        .value_kind:     by_value
      - .offset:         120
        .size:           4
        .value_kind:     by_value
      - .offset:         128
        .size:           4
        .value_kind:     hidden_block_count_x
      - .offset:         132
        .size:           4
        .value_kind:     hidden_block_count_y
      - .offset:         136
        .size:           4
        .value_kind:     hidden_block_count_z
      - .offset:         140
        .size:           2
        .value_kind:     hidden_group_size_x
      - .offset:         142
        .size:           2
        .value_kind:     hidden_group_size_y
      - .offset:         144
        .size:           2
        .value_kind:     hidden_group_size_z
      - .offset:         146
        .size:           2
        .value_kind:     hidden_remainder_x
      - .offset:         148
        .size:           2
        .value_kind:     hidden_remainder_y
      - .offset:         150
        .size:           2
        .value_kind:     hidden_remainder_z
      - .offset:         168
        .size:           8
        .value_kind:     hidden_global_offset_x
      - .offset:         176
        .size:           8
        .value_kind:     hidden_global_offset_y
      - .offset:         184
        .size:           8
        .value_kind:     hidden_global_offset_z
      - .offset:         192
        .size:           2
        .value_kind:     hidden_grid_dims
      - .offset:         248
        .size:           4
        .value_kind:     hidden_dynamic_lds_size
    .group_segment_fixed_size: 272
    .kernarg_segment_align: 8
    .kernarg_segment_size: 384
    .language:       OpenCL C
    .language_version:
      - 2
      - 0
    .max_flat_workgroup_size: 1024
    .name:           _ZN4vllm25paged_attention_v1_kernelIfhLi64ELi8ELi128ELNS_18Fp8KVCacheDataTypeE1ELb1EEEvPT_PKS2_PKT0_S8_ifPKiSA_iPKfiiiSC_SC_iiiii
    .private_segment_fixed_size: 0
    .sgpr_count:     56
    .sgpr_spill_count: 0
    .symbol:         _ZN4vllm25paged_attention_v1_kernelIfhLi64ELi8ELi128ELNS_18Fp8KVCacheDataTypeE1ELb1EEEvPT_PKS2_PKT0_S8_ifPKiSA_iPKfiiiSC_SC_iiiii.kd
    .uniform_work_group_size: 1
    .uses_dynamic_stack: false
    .vgpr_count:     44
    .vgpr_spill_count: 0
    .wavefront_size: 64
  - .agpr_count:     0
    .args:
      - .actual_access:  write_only
        .address_space:  global
        .offset:         0
        .size:           8
        .value_kind:     global_buffer
      - .actual_access:  read_only
        .address_space:  global
        .offset:         8
        .size:           8
        .value_kind:     global_buffer
      - .actual_access:  read_only
        .address_space:  global
        .offset:         16
        .size:           8
        .value_kind:     global_buffer
      - .actual_access:  read_only
        .address_space:  global
        .offset:         24
        .size:           8
        .value_kind:     global_buffer
      - .offset:         32
        .size:           4
        .value_kind:     by_value
      - .offset:         36
        .size:           4
        .value_kind:     by_value
      - .actual_access:  read_only
        .address_space:  global
        .offset:         40
        .size:           8
        .value_kind:     global_buffer
      - .actual_access:  read_only
        .address_space:  global
        .offset:         48
        .size:           8
        .value_kind:     global_buffer
      - .offset:         56
        .size:           4
        .value_kind:     by_value
      - .actual_access:  read_only
        .address_space:  global
        .offset:         64
        .size:           8
        .value_kind:     global_buffer
      - .offset:         72
        .size:           4
        .value_kind:     by_value
      - .offset:         76
        .size:           4
        .value_kind:     by_value
      - .offset:         80
        .size:           4
        .value_kind:     by_value
      - .address_space:  global
        .offset:         88
        .size:           8
        .value_kind:     global_buffer
      - .address_space:  global
        .offset:         96
        .size:           8
        .value_kind:     global_buffer
      - .offset:         104
        .size:           4
        .value_kind:     by_value
      - .offset:         108
        .size:           4
        .value_kind:     by_value
      - .offset:         112
        .size:           4
        .value_kind:     by_value
      - .offset:         116
        .size:           4
        .value_kind:     by_value
      - .offset:         120
        .size:           4
        .value_kind:     by_value
      - .offset:         128
        .size:           4
        .value_kind:     hidden_block_count_x
      - .offset:         132
        .size:           4
        .value_kind:     hidden_block_count_y
      - .offset:         136
        .size:           4
        .value_kind:     hidden_block_count_z
      - .offset:         140
        .size:           2
        .value_kind:     hidden_group_size_x
      - .offset:         142
        .size:           2
        .value_kind:     hidden_group_size_y
      - .offset:         144
        .size:           2
        .value_kind:     hidden_group_size_z
      - .offset:         146
        .size:           2
        .value_kind:     hidden_remainder_x
      - .offset:         148
        .size:           2
        .value_kind:     hidden_remainder_y
      - .offset:         150
        .size:           2
        .value_kind:     hidden_remainder_z
      - .offset:         168
        .size:           8
        .value_kind:     hidden_global_offset_x
      - .offset:         176
        .size:           8
        .value_kind:     hidden_global_offset_y
      - .offset:         184
        .size:           8
        .value_kind:     hidden_global_offset_z
      - .offset:         192
        .size:           2
        .value_kind:     hidden_grid_dims
      - .offset:         248
        .size:           4
        .value_kind:     hidden_dynamic_lds_size
    .group_segment_fixed_size: 336
    .kernarg_segment_align: 8
    .kernarg_segment_size: 384
    .language:       OpenCL C
    .language_version:
      - 2
      - 0
    .max_flat_workgroup_size: 1024
    .name:           _ZN4vllm25paged_attention_v1_kernelIfhLi80ELi8ELi128ELNS_18Fp8KVCacheDataTypeE1ELb1EEEvPT_PKS2_PKT0_S8_ifPKiSA_iPKfiiiSC_SC_iiiii
    .private_segment_fixed_size: 0
    .sgpr_count:     54
    .sgpr_spill_count: 0
    .symbol:         _ZN4vllm25paged_attention_v1_kernelIfhLi80ELi8ELi128ELNS_18Fp8KVCacheDataTypeE1ELb1EEEvPT_PKS2_PKT0_S8_ifPKiSA_iPKfiiiSC_SC_iiiii.kd
    .uniform_work_group_size: 1
    .uses_dynamic_stack: false
    .vgpr_count:     48
    .vgpr_spill_count: 0
    .wavefront_size: 64
  - .agpr_count:     0
    .args:
      - .actual_access:  write_only
        .address_space:  global
        .offset:         0
        .size:           8
        .value_kind:     global_buffer
      - .actual_access:  read_only
        .address_space:  global
        .offset:         8
        .size:           8
        .value_kind:     global_buffer
      - .actual_access:  read_only
        .address_space:  global
        .offset:         16
        .size:           8
        .value_kind:     global_buffer
      - .actual_access:  read_only
        .address_space:  global
        .offset:         24
        .size:           8
        .value_kind:     global_buffer
      - .offset:         32
        .size:           4
        .value_kind:     by_value
      - .offset:         36
        .size:           4
        .value_kind:     by_value
      - .actual_access:  read_only
        .address_space:  global
        .offset:         40
        .size:           8
        .value_kind:     global_buffer
      - .actual_access:  read_only
        .address_space:  global
        .offset:         48
        .size:           8
        .value_kind:     global_buffer
      - .offset:         56
        .size:           4
        .value_kind:     by_value
      - .actual_access:  read_only
        .address_space:  global
        .offset:         64
        .size:           8
        .value_kind:     global_buffer
      - .offset:         72
        .size:           4
        .value_kind:     by_value
      - .offset:         76
        .size:           4
        .value_kind:     by_value
      - .offset:         80
        .size:           4
        .value_kind:     by_value
      - .address_space:  global
        .offset:         88
        .size:           8
        .value_kind:     global_buffer
      - .address_space:  global
        .offset:         96
        .size:           8
        .value_kind:     global_buffer
      - .offset:         104
        .size:           4
        .value_kind:     by_value
      - .offset:         108
        .size:           4
        .value_kind:     by_value
      - .offset:         112
        .size:           4
        .value_kind:     by_value
      - .offset:         116
        .size:           4
        .value_kind:     by_value
      - .offset:         120
        .size:           4
        .value_kind:     by_value
      - .offset:         128
        .size:           4
        .value_kind:     hidden_block_count_x
      - .offset:         132
        .size:           4
        .value_kind:     hidden_block_count_y
      - .offset:         136
        .size:           4
        .value_kind:     hidden_block_count_z
      - .offset:         140
        .size:           2
        .value_kind:     hidden_group_size_x
      - .offset:         142
        .size:           2
        .value_kind:     hidden_group_size_y
      - .offset:         144
        .size:           2
        .value_kind:     hidden_group_size_z
      - .offset:         146
        .size:           2
        .value_kind:     hidden_remainder_x
      - .offset:         148
        .size:           2
        .value_kind:     hidden_remainder_y
      - .offset:         150
        .size:           2
        .value_kind:     hidden_remainder_z
      - .offset:         168
        .size:           8
        .value_kind:     hidden_global_offset_x
      - .offset:         176
        .size:           8
        .value_kind:     hidden_global_offset_y
      - .offset:         184
        .size:           8
        .value_kind:     hidden_global_offset_z
      - .offset:         192
        .size:           2
        .value_kind:     hidden_grid_dims
      - .offset:         248
        .size:           4
        .value_kind:     hidden_dynamic_lds_size
    .group_segment_fixed_size: 400
    .kernarg_segment_align: 8
    .kernarg_segment_size: 384
    .language:       OpenCL C
    .language_version:
      - 2
      - 0
    .max_flat_workgroup_size: 1024
    .name:           _ZN4vllm25paged_attention_v1_kernelIfhLi96ELi8ELi128ELNS_18Fp8KVCacheDataTypeE1ELb1EEEvPT_PKS2_PKT0_S8_ifPKiSA_iPKfiiiSC_SC_iiiii
    .private_segment_fixed_size: 0
    .sgpr_count:     54
    .sgpr_spill_count: 0
    .symbol:         _ZN4vllm25paged_attention_v1_kernelIfhLi96ELi8ELi128ELNS_18Fp8KVCacheDataTypeE1ELb1EEEvPT_PKS2_PKT0_S8_ifPKiSA_iPKfiiiSC_SC_iiiii.kd
    .uniform_work_group_size: 1
    .uses_dynamic_stack: false
    .vgpr_count:     52
    .vgpr_spill_count: 0
    .wavefront_size: 64
  - .agpr_count:     0
    .args:
      - .actual_access:  write_only
        .address_space:  global
        .offset:         0
        .size:           8
        .value_kind:     global_buffer
      - .actual_access:  read_only
        .address_space:  global
        .offset:         8
        .size:           8
        .value_kind:     global_buffer
      - .actual_access:  read_only
        .address_space:  global
        .offset:         16
        .size:           8
        .value_kind:     global_buffer
      - .actual_access:  read_only
        .address_space:  global
        .offset:         24
        .size:           8
        .value_kind:     global_buffer
      - .offset:         32
        .size:           4
        .value_kind:     by_value
      - .offset:         36
        .size:           4
        .value_kind:     by_value
      - .actual_access:  read_only
        .address_space:  global
        .offset:         40
        .size:           8
        .value_kind:     global_buffer
      - .actual_access:  read_only
        .address_space:  global
        .offset:         48
        .size:           8
        .value_kind:     global_buffer
      - .offset:         56
        .size:           4
        .value_kind:     by_value
      - .actual_access:  read_only
        .address_space:  global
        .offset:         64
        .size:           8
        .value_kind:     global_buffer
      - .offset:         72
        .size:           4
        .value_kind:     by_value
      - .offset:         76
        .size:           4
        .value_kind:     by_value
      - .offset:         80
        .size:           4
        .value_kind:     by_value
      - .address_space:  global
        .offset:         88
        .size:           8
        .value_kind:     global_buffer
      - .address_space:  global
        .offset:         96
        .size:           8
        .value_kind:     global_buffer
      - .offset:         104
        .size:           4
        .value_kind:     by_value
      - .offset:         108
        .size:           4
        .value_kind:     by_value
      - .offset:         112
        .size:           4
        .value_kind:     by_value
      - .offset:         116
        .size:           4
        .value_kind:     by_value
      - .offset:         120
        .size:           4
        .value_kind:     by_value
      - .offset:         128
        .size:           4
        .value_kind:     hidden_block_count_x
      - .offset:         132
        .size:           4
        .value_kind:     hidden_block_count_y
      - .offset:         136
        .size:           4
        .value_kind:     hidden_block_count_z
      - .offset:         140
        .size:           2
        .value_kind:     hidden_group_size_x
      - .offset:         142
        .size:           2
        .value_kind:     hidden_group_size_y
      - .offset:         144
        .size:           2
        .value_kind:     hidden_group_size_z
      - .offset:         146
        .size:           2
        .value_kind:     hidden_remainder_x
      - .offset:         148
        .size:           2
        .value_kind:     hidden_remainder_y
      - .offset:         150
        .size:           2
        .value_kind:     hidden_remainder_z
      - .offset:         168
        .size:           8
        .value_kind:     hidden_global_offset_x
      - .offset:         176
        .size:           8
        .value_kind:     hidden_global_offset_y
      - .offset:         184
        .size:           8
        .value_kind:     hidden_global_offset_z
      - .offset:         192
        .size:           2
        .value_kind:     hidden_grid_dims
      - .offset:         248
        .size:           4
        .value_kind:     hidden_dynamic_lds_size
    .group_segment_fixed_size: 464
    .kernarg_segment_align: 8
    .kernarg_segment_size: 384
    .language:       OpenCL C
    .language_version:
      - 2
      - 0
    .max_flat_workgroup_size: 1024
    .name:           _ZN4vllm25paged_attention_v1_kernelIfhLi112ELi8ELi128ELNS_18Fp8KVCacheDataTypeE1ELb1EEEvPT_PKS2_PKT0_S8_ifPKiSA_iPKfiiiSC_SC_iiiii
    .private_segment_fixed_size: 0
    .sgpr_count:     54
    .sgpr_spill_count: 0
    .symbol:         _ZN4vllm25paged_attention_v1_kernelIfhLi112ELi8ELi128ELNS_18Fp8KVCacheDataTypeE1ELb1EEEvPT_PKS2_PKT0_S8_ifPKiSA_iPKfiiiSC_SC_iiiii.kd
    .uniform_work_group_size: 1
    .uses_dynamic_stack: false
    .vgpr_count:     56
    .vgpr_spill_count: 0
    .wavefront_size: 64
  - .agpr_count:     0
    .args:
      - .actual_access:  write_only
        .address_space:  global
        .offset:         0
        .size:           8
        .value_kind:     global_buffer
      - .actual_access:  read_only
        .address_space:  global
        .offset:         8
        .size:           8
        .value_kind:     global_buffer
      - .actual_access:  read_only
        .address_space:  global
        .offset:         16
        .size:           8
        .value_kind:     global_buffer
      - .actual_access:  read_only
        .address_space:  global
        .offset:         24
        .size:           8
        .value_kind:     global_buffer
      - .offset:         32
        .size:           4
        .value_kind:     by_value
      - .offset:         36
        .size:           4
        .value_kind:     by_value
      - .actual_access:  read_only
        .address_space:  global
        .offset:         40
        .size:           8
        .value_kind:     global_buffer
      - .actual_access:  read_only
        .address_space:  global
        .offset:         48
        .size:           8
        .value_kind:     global_buffer
      - .offset:         56
        .size:           4
        .value_kind:     by_value
      - .actual_access:  read_only
        .address_space:  global
        .offset:         64
        .size:           8
        .value_kind:     global_buffer
      - .offset:         72
        .size:           4
        .value_kind:     by_value
      - .offset:         76
        .size:           4
        .value_kind:     by_value
      - .offset:         80
        .size:           4
        .value_kind:     by_value
      - .address_space:  global
        .offset:         88
        .size:           8
        .value_kind:     global_buffer
      - .address_space:  global
        .offset:         96
        .size:           8
        .value_kind:     global_buffer
      - .offset:         104
        .size:           4
        .value_kind:     by_value
      - .offset:         108
        .size:           4
        .value_kind:     by_value
      - .offset:         112
        .size:           4
        .value_kind:     by_value
      - .offset:         116
        .size:           4
        .value_kind:     by_value
      - .offset:         120
        .size:           4
        .value_kind:     by_value
      - .offset:         128
        .size:           4
        .value_kind:     hidden_block_count_x
      - .offset:         132
        .size:           4
        .value_kind:     hidden_block_count_y
      - .offset:         136
        .size:           4
        .value_kind:     hidden_block_count_z
      - .offset:         140
        .size:           2
        .value_kind:     hidden_group_size_x
      - .offset:         142
        .size:           2
        .value_kind:     hidden_group_size_y
      - .offset:         144
        .size:           2
        .value_kind:     hidden_group_size_z
      - .offset:         146
        .size:           2
        .value_kind:     hidden_remainder_x
      - .offset:         148
        .size:           2
        .value_kind:     hidden_remainder_y
      - .offset:         150
        .size:           2
        .value_kind:     hidden_remainder_z
      - .offset:         168
        .size:           8
        .value_kind:     hidden_global_offset_x
      - .offset:         176
        .size:           8
        .value_kind:     hidden_global_offset_y
      - .offset:         184
        .size:           8
        .value_kind:     hidden_global_offset_z
      - .offset:         192
        .size:           2
        .value_kind:     hidden_grid_dims
      - .offset:         248
        .size:           4
        .value_kind:     hidden_dynamic_lds_size
    .group_segment_fixed_size: 496
    .kernarg_segment_align: 8
    .kernarg_segment_size: 384
    .language:       OpenCL C
    .language_version:
      - 2
      - 0
    .max_flat_workgroup_size: 1024
    .name:           _ZN4vllm25paged_attention_v1_kernelIfhLi120ELi8ELi128ELNS_18Fp8KVCacheDataTypeE1ELb1EEEvPT_PKS2_PKT0_S8_ifPKiSA_iPKfiiiSC_SC_iiiii
    .private_segment_fixed_size: 0
    .sgpr_count:     54
    .sgpr_spill_count: 0
    .symbol:         _ZN4vllm25paged_attention_v1_kernelIfhLi120ELi8ELi128ELNS_18Fp8KVCacheDataTypeE1ELb1EEEvPT_PKS2_PKT0_S8_ifPKiSA_iPKfiiiSC_SC_iiiii.kd
    .uniform_work_group_size: 1
    .uses_dynamic_stack: false
    .vgpr_count:     58
    .vgpr_spill_count: 0
    .wavefront_size: 64
  - .agpr_count:     0
    .args:
      - .actual_access:  write_only
        .address_space:  global
        .offset:         0
        .size:           8
        .value_kind:     global_buffer
      - .actual_access:  read_only
        .address_space:  global
        .offset:         8
        .size:           8
        .value_kind:     global_buffer
      - .actual_access:  read_only
        .address_space:  global
        .offset:         16
        .size:           8
        .value_kind:     global_buffer
      - .actual_access:  read_only
        .address_space:  global
        .offset:         24
        .size:           8
        .value_kind:     global_buffer
      - .offset:         32
        .size:           4
        .value_kind:     by_value
      - .offset:         36
        .size:           4
        .value_kind:     by_value
      - .actual_access:  read_only
        .address_space:  global
        .offset:         40
        .size:           8
        .value_kind:     global_buffer
      - .actual_access:  read_only
        .address_space:  global
        .offset:         48
        .size:           8
        .value_kind:     global_buffer
      - .offset:         56
        .size:           4
        .value_kind:     by_value
      - .actual_access:  read_only
        .address_space:  global
        .offset:         64
        .size:           8
        .value_kind:     global_buffer
      - .offset:         72
        .size:           4
        .value_kind:     by_value
      - .offset:         76
        .size:           4
        .value_kind:     by_value
      - .offset:         80
        .size:           4
        .value_kind:     by_value
      - .address_space:  global
        .offset:         88
        .size:           8
        .value_kind:     global_buffer
      - .address_space:  global
        .offset:         96
        .size:           8
        .value_kind:     global_buffer
      - .offset:         104
        .size:           4
        .value_kind:     by_value
      - .offset:         108
        .size:           4
        .value_kind:     by_value
      - .offset:         112
        .size:           4
        .value_kind:     by_value
      - .offset:         116
        .size:           4
        .value_kind:     by_value
      - .offset:         120
        .size:           4
        .value_kind:     by_value
      - .offset:         128
        .size:           4
        .value_kind:     hidden_block_count_x
      - .offset:         132
        .size:           4
        .value_kind:     hidden_block_count_y
      - .offset:         136
        .size:           4
        .value_kind:     hidden_block_count_z
      - .offset:         140
        .size:           2
        .value_kind:     hidden_group_size_x
      - .offset:         142
        .size:           2
        .value_kind:     hidden_group_size_y
      - .offset:         144
        .size:           2
        .value_kind:     hidden_group_size_z
      - .offset:         146
        .size:           2
        .value_kind:     hidden_remainder_x
      - .offset:         148
        .size:           2
        .value_kind:     hidden_remainder_y
      - .offset:         150
        .size:           2
        .value_kind:     hidden_remainder_z
      - .offset:         168
        .size:           8
        .value_kind:     hidden_global_offset_x
      - .offset:         176
        .size:           8
        .value_kind:     hidden_global_offset_y
      - .offset:         184
        .size:           8
        .value_kind:     hidden_global_offset_z
      - .offset:         192
        .size:           2
        .value_kind:     hidden_grid_dims
      - .offset:         248
        .size:           4
        .value_kind:     hidden_dynamic_lds_size
    .group_segment_fixed_size: 528
    .kernarg_segment_align: 8
    .kernarg_segment_size: 384
    .language:       OpenCL C
    .language_version:
      - 2
      - 0
    .max_flat_workgroup_size: 1024
    .name:           _ZN4vllm25paged_attention_v1_kernelIfhLi128ELi8ELi128ELNS_18Fp8KVCacheDataTypeE1ELb1EEEvPT_PKS2_PKT0_S8_ifPKiSA_iPKfiiiSC_SC_iiiii
    .private_segment_fixed_size: 0
    .sgpr_count:     54
    .sgpr_spill_count: 0
    .symbol:         _ZN4vllm25paged_attention_v1_kernelIfhLi128ELi8ELi128ELNS_18Fp8KVCacheDataTypeE1ELb1EEEvPT_PKS2_PKT0_S8_ifPKiSA_iPKfiiiSC_SC_iiiii.kd
    .uniform_work_group_size: 1
    .uses_dynamic_stack: false
    .vgpr_count:     60
    .vgpr_spill_count: 0
    .wavefront_size: 64
  - .agpr_count:     0
    .args:
      - .actual_access:  write_only
        .address_space:  global
        .offset:         0
        .size:           8
        .value_kind:     global_buffer
      - .actual_access:  read_only
        .address_space:  global
        .offset:         8
        .size:           8
        .value_kind:     global_buffer
      - .actual_access:  read_only
        .address_space:  global
        .offset:         16
        .size:           8
        .value_kind:     global_buffer
      - .actual_access:  read_only
        .address_space:  global
        .offset:         24
        .size:           8
        .value_kind:     global_buffer
      - .offset:         32
        .size:           4
        .value_kind:     by_value
      - .offset:         36
        .size:           4
        .value_kind:     by_value
      - .actual_access:  read_only
        .address_space:  global
        .offset:         40
        .size:           8
        .value_kind:     global_buffer
      - .actual_access:  read_only
        .address_space:  global
        .offset:         48
        .size:           8
        .value_kind:     global_buffer
      - .offset:         56
        .size:           4
        .value_kind:     by_value
      - .actual_access:  read_only
        .address_space:  global
        .offset:         64
        .size:           8
        .value_kind:     global_buffer
      - .offset:         72
        .size:           4
        .value_kind:     by_value
      - .offset:         76
        .size:           4
        .value_kind:     by_value
      - .offset:         80
        .size:           4
        .value_kind:     by_value
      - .address_space:  global
        .offset:         88
        .size:           8
        .value_kind:     global_buffer
      - .address_space:  global
        .offset:         96
        .size:           8
        .value_kind:     global_buffer
      - .offset:         104
        .size:           4
        .value_kind:     by_value
      - .offset:         108
        .size:           4
        .value_kind:     by_value
      - .offset:         112
        .size:           4
        .value_kind:     by_value
      - .offset:         116
        .size:           4
        .value_kind:     by_value
      - .offset:         120
        .size:           4
        .value_kind:     by_value
      - .offset:         128
        .size:           4
        .value_kind:     hidden_block_count_x
      - .offset:         132
        .size:           4
        .value_kind:     hidden_block_count_y
      - .offset:         136
        .size:           4
        .value_kind:     hidden_block_count_z
      - .offset:         140
        .size:           2
        .value_kind:     hidden_group_size_x
      - .offset:         142
        .size:           2
        .value_kind:     hidden_group_size_y
      - .offset:         144
        .size:           2
        .value_kind:     hidden_group_size_z
      - .offset:         146
        .size:           2
        .value_kind:     hidden_remainder_x
      - .offset:         148
        .size:           2
        .value_kind:     hidden_remainder_y
      - .offset:         150
        .size:           2
        .value_kind:     hidden_remainder_z
      - .offset:         168
        .size:           8
        .value_kind:     hidden_global_offset_x
      - .offset:         176
        .size:           8
        .value_kind:     hidden_global_offset_y
      - .offset:         184
        .size:           8
        .value_kind:     hidden_global_offset_z
      - .offset:         192
        .size:           2
        .value_kind:     hidden_grid_dims
      - .offset:         248
        .size:           4
        .value_kind:     hidden_dynamic_lds_size
    .group_segment_fixed_size: 784
    .kernarg_segment_align: 8
    .kernarg_segment_size: 384
    .language:       OpenCL C
    .language_version:
      - 2
      - 0
    .max_flat_workgroup_size: 1024
    .name:           _ZN4vllm25paged_attention_v1_kernelIfhLi192ELi8ELi128ELNS_18Fp8KVCacheDataTypeE1ELb1EEEvPT_PKS2_PKT0_S8_ifPKiSA_iPKfiiiSC_SC_iiiii
    .private_segment_fixed_size: 0
    .sgpr_count:     54
    .sgpr_spill_count: 0
    .symbol:         _ZN4vllm25paged_attention_v1_kernelIfhLi192ELi8ELi128ELNS_18Fp8KVCacheDataTypeE1ELb1EEEvPT_PKS2_PKT0_S8_ifPKiSA_iPKfiiiSC_SC_iiiii.kd
    .uniform_work_group_size: 1
    .uses_dynamic_stack: false
    .vgpr_count:     74
    .vgpr_spill_count: 0
    .wavefront_size: 64
  - .agpr_count:     0
    .args:
      - .actual_access:  write_only
        .address_space:  global
        .offset:         0
        .size:           8
        .value_kind:     global_buffer
      - .actual_access:  read_only
        .address_space:  global
        .offset:         8
        .size:           8
        .value_kind:     global_buffer
      - .actual_access:  read_only
        .address_space:  global
        .offset:         16
        .size:           8
        .value_kind:     global_buffer
      - .actual_access:  read_only
        .address_space:  global
        .offset:         24
        .size:           8
        .value_kind:     global_buffer
      - .offset:         32
        .size:           4
        .value_kind:     by_value
      - .offset:         36
        .size:           4
        .value_kind:     by_value
      - .actual_access:  read_only
        .address_space:  global
        .offset:         40
        .size:           8
        .value_kind:     global_buffer
      - .actual_access:  read_only
        .address_space:  global
        .offset:         48
        .size:           8
        .value_kind:     global_buffer
      - .offset:         56
        .size:           4
        .value_kind:     by_value
      - .actual_access:  read_only
        .address_space:  global
        .offset:         64
        .size:           8
        .value_kind:     global_buffer
      - .offset:         72
        .size:           4
        .value_kind:     by_value
      - .offset:         76
        .size:           4
        .value_kind:     by_value
      - .offset:         80
        .size:           4
        .value_kind:     by_value
      - .address_space:  global
        .offset:         88
        .size:           8
        .value_kind:     global_buffer
      - .address_space:  global
        .offset:         96
        .size:           8
        .value_kind:     global_buffer
      - .offset:         104
        .size:           4
        .value_kind:     by_value
      - .offset:         108
        .size:           4
        .value_kind:     by_value
      - .offset:         112
        .size:           4
        .value_kind:     by_value
      - .offset:         116
        .size:           4
        .value_kind:     by_value
      - .offset:         120
        .size:           4
        .value_kind:     by_value
      - .offset:         128
        .size:           4
        .value_kind:     hidden_block_count_x
      - .offset:         132
        .size:           4
        .value_kind:     hidden_block_count_y
      - .offset:         136
        .size:           4
        .value_kind:     hidden_block_count_z
      - .offset:         140
        .size:           2
        .value_kind:     hidden_group_size_x
      - .offset:         142
        .size:           2
        .value_kind:     hidden_group_size_y
      - .offset:         144
        .size:           2
        .value_kind:     hidden_group_size_z
      - .offset:         146
        .size:           2
        .value_kind:     hidden_remainder_x
      - .offset:         148
        .size:           2
        .value_kind:     hidden_remainder_y
      - .offset:         150
        .size:           2
        .value_kind:     hidden_remainder_z
      - .offset:         168
        .size:           8
        .value_kind:     hidden_global_offset_x
      - .offset:         176
        .size:           8
        .value_kind:     hidden_global_offset_y
      - .offset:         184
        .size:           8
        .value_kind:     hidden_global_offset_z
      - .offset:         192
        .size:           2
        .value_kind:     hidden_grid_dims
      - .offset:         248
        .size:           4
        .value_kind:     hidden_dynamic_lds_size
    .group_segment_fixed_size: 1040
    .kernarg_segment_align: 8
    .kernarg_segment_size: 384
    .language:       OpenCL C
    .language_version:
      - 2
      - 0
    .max_flat_workgroup_size: 1024
    .name:           _ZN4vllm25paged_attention_v1_kernelIfhLi256ELi8ELi128ELNS_18Fp8KVCacheDataTypeE1ELb1EEEvPT_PKS2_PKT0_S8_ifPKiSA_iPKfiiiSC_SC_iiiii
    .private_segment_fixed_size: 0
    .sgpr_count:     54
    .sgpr_spill_count: 0
    .symbol:         _ZN4vllm25paged_attention_v1_kernelIfhLi256ELi8ELi128ELNS_18Fp8KVCacheDataTypeE1ELb1EEEvPT_PKS2_PKT0_S8_ifPKiSA_iPKfiiiSC_SC_iiiii.kd
    .uniform_work_group_size: 1
    .uses_dynamic_stack: false
    .vgpr_count:     89
    .vgpr_spill_count: 0
    .wavefront_size: 64
  - .agpr_count:     0
    .args:
      - .actual_access:  write_only
        .address_space:  global
        .offset:         0
        .size:           8
        .value_kind:     global_buffer
      - .actual_access:  read_only
        .address_space:  global
        .offset:         8
        .size:           8
        .value_kind:     global_buffer
      - .actual_access:  read_only
        .address_space:  global
        .offset:         16
        .size:           8
        .value_kind:     global_buffer
      - .actual_access:  read_only
        .address_space:  global
        .offset:         24
        .size:           8
        .value_kind:     global_buffer
      - .offset:         32
        .size:           4
        .value_kind:     by_value
      - .offset:         36
        .size:           4
        .value_kind:     by_value
      - .actual_access:  read_only
        .address_space:  global
        .offset:         40
        .size:           8
        .value_kind:     global_buffer
      - .actual_access:  read_only
        .address_space:  global
        .offset:         48
        .size:           8
        .value_kind:     global_buffer
      - .offset:         56
        .size:           4
        .value_kind:     by_value
      - .actual_access:  read_only
        .address_space:  global
        .offset:         64
        .size:           8
        .value_kind:     global_buffer
      - .offset:         72
        .size:           4
        .value_kind:     by_value
      - .offset:         76
        .size:           4
        .value_kind:     by_value
      - .offset:         80
        .size:           4
        .value_kind:     by_value
      - .address_space:  global
        .offset:         88
        .size:           8
        .value_kind:     global_buffer
      - .address_space:  global
        .offset:         96
        .size:           8
        .value_kind:     global_buffer
      - .offset:         104
        .size:           4
        .value_kind:     by_value
      - .offset:         108
        .size:           4
        .value_kind:     by_value
      - .offset:         112
        .size:           4
        .value_kind:     by_value
      - .offset:         116
        .size:           4
        .value_kind:     by_value
      - .offset:         120
        .size:           4
        .value_kind:     by_value
      - .offset:         128
        .size:           4
        .value_kind:     hidden_block_count_x
      - .offset:         132
        .size:           4
        .value_kind:     hidden_block_count_y
      - .offset:         136
        .size:           4
        .value_kind:     hidden_block_count_z
      - .offset:         140
        .size:           2
        .value_kind:     hidden_group_size_x
      - .offset:         142
        .size:           2
        .value_kind:     hidden_group_size_y
      - .offset:         144
        .size:           2
        .value_kind:     hidden_group_size_z
      - .offset:         146
        .size:           2
        .value_kind:     hidden_remainder_x
      - .offset:         148
        .size:           2
        .value_kind:     hidden_remainder_y
      - .offset:         150
        .size:           2
        .value_kind:     hidden_remainder_z
      - .offset:         168
        .size:           8
        .value_kind:     hidden_global_offset_x
      - .offset:         176
        .size:           8
        .value_kind:     hidden_global_offset_y
      - .offset:         184
        .size:           8
        .value_kind:     hidden_global_offset_z
      - .offset:         192
        .size:           2
        .value_kind:     hidden_grid_dims
      - .offset:         248
        .size:           4
        .value_kind:     hidden_dynamic_lds_size
    .group_segment_fixed_size: 144
    .kernarg_segment_align: 8
    .kernarg_segment_size: 384
    .language:       OpenCL C
    .language_version:
      - 2
      - 0
    .max_flat_workgroup_size: 1024
    .name:           _ZN4vllm25paged_attention_v1_kernelIfhLi32ELi8ELi128ELNS_18Fp8KVCacheDataTypeE1ELb0EEEvPT_PKS2_PKT0_S8_ifPKiSA_iPKfiiiSC_SC_iiiii
    .private_segment_fixed_size: 0
    .sgpr_count:     43
    .sgpr_spill_count: 0
    .symbol:         _ZN4vllm25paged_attention_v1_kernelIfhLi32ELi8ELi128ELNS_18Fp8KVCacheDataTypeE1ELb0EEEvPT_PKS2_PKT0_S8_ifPKiSA_iPKfiiiSC_SC_iiiii.kd
    .uniform_work_group_size: 1
    .uses_dynamic_stack: false
    .vgpr_count:     29
    .vgpr_spill_count: 0
    .wavefront_size: 64
  - .agpr_count:     0
    .args:
      - .actual_access:  write_only
        .address_space:  global
        .offset:         0
        .size:           8
        .value_kind:     global_buffer
      - .actual_access:  read_only
        .address_space:  global
        .offset:         8
        .size:           8
        .value_kind:     global_buffer
      - .actual_access:  read_only
        .address_space:  global
        .offset:         16
        .size:           8
        .value_kind:     global_buffer
      - .actual_access:  read_only
        .address_space:  global
        .offset:         24
        .size:           8
        .value_kind:     global_buffer
      - .offset:         32
        .size:           4
        .value_kind:     by_value
      - .offset:         36
        .size:           4
        .value_kind:     by_value
      - .actual_access:  read_only
        .address_space:  global
        .offset:         40
        .size:           8
        .value_kind:     global_buffer
      - .actual_access:  read_only
        .address_space:  global
        .offset:         48
        .size:           8
        .value_kind:     global_buffer
      - .offset:         56
        .size:           4
        .value_kind:     by_value
      - .actual_access:  read_only
        .address_space:  global
        .offset:         64
        .size:           8
        .value_kind:     global_buffer
      - .offset:         72
        .size:           4
        .value_kind:     by_value
      - .offset:         76
        .size:           4
        .value_kind:     by_value
      - .offset:         80
        .size:           4
        .value_kind:     by_value
      - .address_space:  global
        .offset:         88
        .size:           8
        .value_kind:     global_buffer
      - .address_space:  global
        .offset:         96
        .size:           8
        .value_kind:     global_buffer
      - .offset:         104
        .size:           4
        .value_kind:     by_value
      - .offset:         108
        .size:           4
        .value_kind:     by_value
      - .offset:         112
        .size:           4
        .value_kind:     by_value
      - .offset:         116
        .size:           4
        .value_kind:     by_value
      - .offset:         120
        .size:           4
        .value_kind:     by_value
      - .offset:         128
        .size:           4
        .value_kind:     hidden_block_count_x
      - .offset:         132
        .size:           4
        .value_kind:     hidden_block_count_y
      - .offset:         136
        .size:           4
        .value_kind:     hidden_block_count_z
      - .offset:         140
        .size:           2
        .value_kind:     hidden_group_size_x
      - .offset:         142
        .size:           2
        .value_kind:     hidden_group_size_y
      - .offset:         144
        .size:           2
        .value_kind:     hidden_group_size_z
      - .offset:         146
        .size:           2
        .value_kind:     hidden_remainder_x
      - .offset:         148
        .size:           2
        .value_kind:     hidden_remainder_y
      - .offset:         150
        .size:           2
        .value_kind:     hidden_remainder_z
      - .offset:         168
        .size:           8
        .value_kind:     hidden_global_offset_x
      - .offset:         176
        .size:           8
        .value_kind:     hidden_global_offset_y
      - .offset:         184
        .size:           8
        .value_kind:     hidden_global_offset_z
      - .offset:         192
        .size:           2
        .value_kind:     hidden_grid_dims
      - .offset:         248
        .size:           4
        .value_kind:     hidden_dynamic_lds_size
    .group_segment_fixed_size: 272
    .kernarg_segment_align: 8
    .kernarg_segment_size: 384
    .language:       OpenCL C
    .language_version:
      - 2
      - 0
    .max_flat_workgroup_size: 1024
    .name:           _ZN4vllm25paged_attention_v1_kernelIfhLi64ELi8ELi128ELNS_18Fp8KVCacheDataTypeE1ELb0EEEvPT_PKS2_PKT0_S8_ifPKiSA_iPKfiiiSC_SC_iiiii
    .private_segment_fixed_size: 0
    .sgpr_count:     45
    .sgpr_spill_count: 0
    .symbol:         _ZN4vllm25paged_attention_v1_kernelIfhLi64ELi8ELi128ELNS_18Fp8KVCacheDataTypeE1ELb0EEEvPT_PKS2_PKT0_S8_ifPKiSA_iPKfiiiSC_SC_iiiii.kd
    .uniform_work_group_size: 1
    .uses_dynamic_stack: false
    .vgpr_count:     38
    .vgpr_spill_count: 0
    .wavefront_size: 64
  - .agpr_count:     0
    .args:
      - .actual_access:  write_only
        .address_space:  global
        .offset:         0
        .size:           8
        .value_kind:     global_buffer
      - .actual_access:  read_only
        .address_space:  global
        .offset:         8
        .size:           8
        .value_kind:     global_buffer
      - .actual_access:  read_only
        .address_space:  global
        .offset:         16
        .size:           8
        .value_kind:     global_buffer
      - .actual_access:  read_only
        .address_space:  global
        .offset:         24
        .size:           8
        .value_kind:     global_buffer
      - .offset:         32
        .size:           4
        .value_kind:     by_value
      - .offset:         36
        .size:           4
        .value_kind:     by_value
      - .actual_access:  read_only
        .address_space:  global
        .offset:         40
        .size:           8
        .value_kind:     global_buffer
      - .actual_access:  read_only
        .address_space:  global
        .offset:         48
        .size:           8
        .value_kind:     global_buffer
      - .offset:         56
        .size:           4
        .value_kind:     by_value
      - .actual_access:  read_only
        .address_space:  global
        .offset:         64
        .size:           8
        .value_kind:     global_buffer
      - .offset:         72
        .size:           4
        .value_kind:     by_value
      - .offset:         76
        .size:           4
        .value_kind:     by_value
      - .offset:         80
        .size:           4
        .value_kind:     by_value
      - .address_space:  global
        .offset:         88
        .size:           8
        .value_kind:     global_buffer
      - .address_space:  global
        .offset:         96
        .size:           8
        .value_kind:     global_buffer
      - .offset:         104
        .size:           4
        .value_kind:     by_value
      - .offset:         108
        .size:           4
        .value_kind:     by_value
      - .offset:         112
        .size:           4
        .value_kind:     by_value
      - .offset:         116
        .size:           4
        .value_kind:     by_value
      - .offset:         120
        .size:           4
        .value_kind:     by_value
      - .offset:         128
        .size:           4
        .value_kind:     hidden_block_count_x
      - .offset:         132
        .size:           4
        .value_kind:     hidden_block_count_y
      - .offset:         136
        .size:           4
        .value_kind:     hidden_block_count_z
      - .offset:         140
        .size:           2
        .value_kind:     hidden_group_size_x
      - .offset:         142
        .size:           2
        .value_kind:     hidden_group_size_y
      - .offset:         144
        .size:           2
        .value_kind:     hidden_group_size_z
      - .offset:         146
        .size:           2
        .value_kind:     hidden_remainder_x
      - .offset:         148
        .size:           2
        .value_kind:     hidden_remainder_y
      - .offset:         150
        .size:           2
        .value_kind:     hidden_remainder_z
      - .offset:         168
        .size:           8
        .value_kind:     hidden_global_offset_x
      - .offset:         176
        .size:           8
        .value_kind:     hidden_global_offset_y
      - .offset:         184
        .size:           8
        .value_kind:     hidden_global_offset_z
      - .offset:         192
        .size:           2
        .value_kind:     hidden_grid_dims
      - .offset:         248
        .size:           4
        .value_kind:     hidden_dynamic_lds_size
    .group_segment_fixed_size: 336
    .kernarg_segment_align: 8
    .kernarg_segment_size: 384
    .language:       OpenCL C
    .language_version:
      - 2
      - 0
    .max_flat_workgroup_size: 1024
    .name:           _ZN4vllm25paged_attention_v1_kernelIfhLi80ELi8ELi128ELNS_18Fp8KVCacheDataTypeE1ELb0EEEvPT_PKS2_PKT0_S8_ifPKiSA_iPKfiiiSC_SC_iiiii
    .private_segment_fixed_size: 0
    .sgpr_count:     43
    .sgpr_spill_count: 0
    .symbol:         _ZN4vllm25paged_attention_v1_kernelIfhLi80ELi8ELi128ELNS_18Fp8KVCacheDataTypeE1ELb0EEEvPT_PKS2_PKT0_S8_ifPKiSA_iPKfiiiSC_SC_iiiii.kd
    .uniform_work_group_size: 1
    .uses_dynamic_stack: false
    .vgpr_count:     42
    .vgpr_spill_count: 0
    .wavefront_size: 64
  - .agpr_count:     0
    .args:
      - .actual_access:  write_only
        .address_space:  global
        .offset:         0
        .size:           8
        .value_kind:     global_buffer
      - .actual_access:  read_only
        .address_space:  global
        .offset:         8
        .size:           8
        .value_kind:     global_buffer
      - .actual_access:  read_only
        .address_space:  global
        .offset:         16
        .size:           8
        .value_kind:     global_buffer
      - .actual_access:  read_only
        .address_space:  global
        .offset:         24
        .size:           8
        .value_kind:     global_buffer
      - .offset:         32
        .size:           4
        .value_kind:     by_value
      - .offset:         36
        .size:           4
        .value_kind:     by_value
      - .actual_access:  read_only
        .address_space:  global
        .offset:         40
        .size:           8
        .value_kind:     global_buffer
      - .actual_access:  read_only
        .address_space:  global
        .offset:         48
        .size:           8
        .value_kind:     global_buffer
      - .offset:         56
        .size:           4
        .value_kind:     by_value
      - .actual_access:  read_only
        .address_space:  global
        .offset:         64
        .size:           8
        .value_kind:     global_buffer
      - .offset:         72
        .size:           4
        .value_kind:     by_value
      - .offset:         76
        .size:           4
        .value_kind:     by_value
      - .offset:         80
        .size:           4
        .value_kind:     by_value
      - .address_space:  global
        .offset:         88
        .size:           8
        .value_kind:     global_buffer
      - .address_space:  global
        .offset:         96
        .size:           8
        .value_kind:     global_buffer
      - .offset:         104
        .size:           4
        .value_kind:     by_value
      - .offset:         108
        .size:           4
        .value_kind:     by_value
      - .offset:         112
        .size:           4
        .value_kind:     by_value
      - .offset:         116
        .size:           4
        .value_kind:     by_value
      - .offset:         120
        .size:           4
        .value_kind:     by_value
      - .offset:         128
        .size:           4
        .value_kind:     hidden_block_count_x
      - .offset:         132
        .size:           4
        .value_kind:     hidden_block_count_y
      - .offset:         136
        .size:           4
        .value_kind:     hidden_block_count_z
      - .offset:         140
        .size:           2
        .value_kind:     hidden_group_size_x
      - .offset:         142
        .size:           2
        .value_kind:     hidden_group_size_y
      - .offset:         144
        .size:           2
        .value_kind:     hidden_group_size_z
      - .offset:         146
        .size:           2
        .value_kind:     hidden_remainder_x
      - .offset:         148
        .size:           2
        .value_kind:     hidden_remainder_y
      - .offset:         150
        .size:           2
        .value_kind:     hidden_remainder_z
      - .offset:         168
        .size:           8
        .value_kind:     hidden_global_offset_x
      - .offset:         176
        .size:           8
        .value_kind:     hidden_global_offset_y
      - .offset:         184
        .size:           8
        .value_kind:     hidden_global_offset_z
      - .offset:         192
        .size:           2
        .value_kind:     hidden_grid_dims
      - .offset:         248
        .size:           4
        .value_kind:     hidden_dynamic_lds_size
    .group_segment_fixed_size: 400
    .kernarg_segment_align: 8
    .kernarg_segment_size: 384
    .language:       OpenCL C
    .language_version:
      - 2
      - 0
    .max_flat_workgroup_size: 1024
    .name:           _ZN4vllm25paged_attention_v1_kernelIfhLi96ELi8ELi128ELNS_18Fp8KVCacheDataTypeE1ELb0EEEvPT_PKS2_PKT0_S8_ifPKiSA_iPKfiiiSC_SC_iiiii
    .private_segment_fixed_size: 0
    .sgpr_count:     43
    .sgpr_spill_count: 0
    .symbol:         _ZN4vllm25paged_attention_v1_kernelIfhLi96ELi8ELi128ELNS_18Fp8KVCacheDataTypeE1ELb0EEEvPT_PKS2_PKT0_S8_ifPKiSA_iPKfiiiSC_SC_iiiii.kd
    .uniform_work_group_size: 1
    .uses_dynamic_stack: false
    .vgpr_count:     46
    .vgpr_spill_count: 0
    .wavefront_size: 64
  - .agpr_count:     0
    .args:
      - .actual_access:  write_only
        .address_space:  global
        .offset:         0
        .size:           8
        .value_kind:     global_buffer
      - .actual_access:  read_only
        .address_space:  global
        .offset:         8
        .size:           8
        .value_kind:     global_buffer
      - .actual_access:  read_only
        .address_space:  global
        .offset:         16
        .size:           8
        .value_kind:     global_buffer
      - .actual_access:  read_only
        .address_space:  global
        .offset:         24
        .size:           8
        .value_kind:     global_buffer
      - .offset:         32
        .size:           4
        .value_kind:     by_value
      - .offset:         36
        .size:           4
        .value_kind:     by_value
      - .actual_access:  read_only
        .address_space:  global
        .offset:         40
        .size:           8
        .value_kind:     global_buffer
      - .actual_access:  read_only
        .address_space:  global
        .offset:         48
        .size:           8
        .value_kind:     global_buffer
      - .offset:         56
        .size:           4
        .value_kind:     by_value
      - .actual_access:  read_only
        .address_space:  global
        .offset:         64
        .size:           8
        .value_kind:     global_buffer
      - .offset:         72
        .size:           4
        .value_kind:     by_value
      - .offset:         76
        .size:           4
        .value_kind:     by_value
      - .offset:         80
        .size:           4
        .value_kind:     by_value
      - .address_space:  global
        .offset:         88
        .size:           8
        .value_kind:     global_buffer
      - .address_space:  global
        .offset:         96
        .size:           8
        .value_kind:     global_buffer
      - .offset:         104
        .size:           4
        .value_kind:     by_value
      - .offset:         108
        .size:           4
        .value_kind:     by_value
      - .offset:         112
        .size:           4
        .value_kind:     by_value
      - .offset:         116
        .size:           4
        .value_kind:     by_value
      - .offset:         120
        .size:           4
        .value_kind:     by_value
      - .offset:         128
        .size:           4
        .value_kind:     hidden_block_count_x
      - .offset:         132
        .size:           4
        .value_kind:     hidden_block_count_y
      - .offset:         136
        .size:           4
        .value_kind:     hidden_block_count_z
      - .offset:         140
        .size:           2
        .value_kind:     hidden_group_size_x
      - .offset:         142
        .size:           2
        .value_kind:     hidden_group_size_y
      - .offset:         144
        .size:           2
        .value_kind:     hidden_group_size_z
      - .offset:         146
        .size:           2
        .value_kind:     hidden_remainder_x
      - .offset:         148
        .size:           2
        .value_kind:     hidden_remainder_y
      - .offset:         150
        .size:           2
        .value_kind:     hidden_remainder_z
      - .offset:         168
        .size:           8
        .value_kind:     hidden_global_offset_x
      - .offset:         176
        .size:           8
        .value_kind:     hidden_global_offset_y
      - .offset:         184
        .size:           8
        .value_kind:     hidden_global_offset_z
      - .offset:         192
        .size:           2
        .value_kind:     hidden_grid_dims
      - .offset:         248
        .size:           4
        .value_kind:     hidden_dynamic_lds_size
    .group_segment_fixed_size: 464
    .kernarg_segment_align: 8
    .kernarg_segment_size: 384
    .language:       OpenCL C
    .language_version:
      - 2
      - 0
    .max_flat_workgroup_size: 1024
    .name:           _ZN4vllm25paged_attention_v1_kernelIfhLi112ELi8ELi128ELNS_18Fp8KVCacheDataTypeE1ELb0EEEvPT_PKS2_PKT0_S8_ifPKiSA_iPKfiiiSC_SC_iiiii
    .private_segment_fixed_size: 0
    .sgpr_count:     43
    .sgpr_spill_count: 0
    .symbol:         _ZN4vllm25paged_attention_v1_kernelIfhLi112ELi8ELi128ELNS_18Fp8KVCacheDataTypeE1ELb0EEEvPT_PKS2_PKT0_S8_ifPKiSA_iPKfiiiSC_SC_iiiii.kd
    .uniform_work_group_size: 1
    .uses_dynamic_stack: false
    .vgpr_count:     50
    .vgpr_spill_count: 0
    .wavefront_size: 64
  - .agpr_count:     0
    .args:
      - .actual_access:  write_only
        .address_space:  global
        .offset:         0
        .size:           8
        .value_kind:     global_buffer
      - .actual_access:  read_only
        .address_space:  global
        .offset:         8
        .size:           8
        .value_kind:     global_buffer
      - .actual_access:  read_only
        .address_space:  global
        .offset:         16
        .size:           8
        .value_kind:     global_buffer
      - .actual_access:  read_only
        .address_space:  global
        .offset:         24
        .size:           8
        .value_kind:     global_buffer
      - .offset:         32
        .size:           4
        .value_kind:     by_value
      - .offset:         36
        .size:           4
        .value_kind:     by_value
      - .actual_access:  read_only
        .address_space:  global
        .offset:         40
        .size:           8
        .value_kind:     global_buffer
      - .actual_access:  read_only
        .address_space:  global
        .offset:         48
        .size:           8
        .value_kind:     global_buffer
      - .offset:         56
        .size:           4
        .value_kind:     by_value
      - .actual_access:  read_only
        .address_space:  global
        .offset:         64
        .size:           8
        .value_kind:     global_buffer
      - .offset:         72
        .size:           4
        .value_kind:     by_value
      - .offset:         76
        .size:           4
        .value_kind:     by_value
      - .offset:         80
        .size:           4
        .value_kind:     by_value
      - .address_space:  global
        .offset:         88
        .size:           8
        .value_kind:     global_buffer
      - .address_space:  global
        .offset:         96
        .size:           8
        .value_kind:     global_buffer
      - .offset:         104
        .size:           4
        .value_kind:     by_value
      - .offset:         108
        .size:           4
        .value_kind:     by_value
      - .offset:         112
        .size:           4
        .value_kind:     by_value
      - .offset:         116
        .size:           4
        .value_kind:     by_value
      - .offset:         120
        .size:           4
        .value_kind:     by_value
      - .offset:         128
        .size:           4
        .value_kind:     hidden_block_count_x
      - .offset:         132
        .size:           4
        .value_kind:     hidden_block_count_y
      - .offset:         136
        .size:           4
        .value_kind:     hidden_block_count_z
      - .offset:         140
        .size:           2
        .value_kind:     hidden_group_size_x
      - .offset:         142
        .size:           2
        .value_kind:     hidden_group_size_y
      - .offset:         144
        .size:           2
        .value_kind:     hidden_group_size_z
      - .offset:         146
        .size:           2
        .value_kind:     hidden_remainder_x
      - .offset:         148
        .size:           2
        .value_kind:     hidden_remainder_y
      - .offset:         150
        .size:           2
        .value_kind:     hidden_remainder_z
      - .offset:         168
        .size:           8
        .value_kind:     hidden_global_offset_x
      - .offset:         176
        .size:           8
        .value_kind:     hidden_global_offset_y
      - .offset:         184
        .size:           8
        .value_kind:     hidden_global_offset_z
      - .offset:         192
        .size:           2
        .value_kind:     hidden_grid_dims
      - .offset:         248
        .size:           4
        .value_kind:     hidden_dynamic_lds_size
    .group_segment_fixed_size: 496
    .kernarg_segment_align: 8
    .kernarg_segment_size: 384
    .language:       OpenCL C
    .language_version:
      - 2
      - 0
    .max_flat_workgroup_size: 1024
    .name:           _ZN4vllm25paged_attention_v1_kernelIfhLi120ELi8ELi128ELNS_18Fp8KVCacheDataTypeE1ELb0EEEvPT_PKS2_PKT0_S8_ifPKiSA_iPKfiiiSC_SC_iiiii
    .private_segment_fixed_size: 0
    .sgpr_count:     43
    .sgpr_spill_count: 0
    .symbol:         _ZN4vllm25paged_attention_v1_kernelIfhLi120ELi8ELi128ELNS_18Fp8KVCacheDataTypeE1ELb0EEEvPT_PKS2_PKT0_S8_ifPKiSA_iPKfiiiSC_SC_iiiii.kd
    .uniform_work_group_size: 1
    .uses_dynamic_stack: false
    .vgpr_count:     52
    .vgpr_spill_count: 0
    .wavefront_size: 64
  - .agpr_count:     0
    .args:
      - .actual_access:  write_only
        .address_space:  global
        .offset:         0
        .size:           8
        .value_kind:     global_buffer
      - .actual_access:  read_only
        .address_space:  global
        .offset:         8
        .size:           8
        .value_kind:     global_buffer
      - .actual_access:  read_only
        .address_space:  global
        .offset:         16
        .size:           8
        .value_kind:     global_buffer
      - .actual_access:  read_only
        .address_space:  global
        .offset:         24
        .size:           8
        .value_kind:     global_buffer
      - .offset:         32
        .size:           4
        .value_kind:     by_value
      - .offset:         36
        .size:           4
        .value_kind:     by_value
      - .actual_access:  read_only
        .address_space:  global
        .offset:         40
        .size:           8
        .value_kind:     global_buffer
      - .actual_access:  read_only
        .address_space:  global
        .offset:         48
        .size:           8
        .value_kind:     global_buffer
      - .offset:         56
        .size:           4
        .value_kind:     by_value
      - .actual_access:  read_only
        .address_space:  global
        .offset:         64
        .size:           8
        .value_kind:     global_buffer
      - .offset:         72
        .size:           4
        .value_kind:     by_value
      - .offset:         76
        .size:           4
        .value_kind:     by_value
      - .offset:         80
        .size:           4
        .value_kind:     by_value
      - .address_space:  global
        .offset:         88
        .size:           8
        .value_kind:     global_buffer
      - .address_space:  global
        .offset:         96
        .size:           8
        .value_kind:     global_buffer
      - .offset:         104
        .size:           4
        .value_kind:     by_value
      - .offset:         108
        .size:           4
        .value_kind:     by_value
      - .offset:         112
        .size:           4
        .value_kind:     by_value
      - .offset:         116
        .size:           4
        .value_kind:     by_value
      - .offset:         120
        .size:           4
        .value_kind:     by_value
      - .offset:         128
        .size:           4
        .value_kind:     hidden_block_count_x
      - .offset:         132
        .size:           4
        .value_kind:     hidden_block_count_y
      - .offset:         136
        .size:           4
        .value_kind:     hidden_block_count_z
      - .offset:         140
        .size:           2
        .value_kind:     hidden_group_size_x
      - .offset:         142
        .size:           2
        .value_kind:     hidden_group_size_y
      - .offset:         144
        .size:           2
        .value_kind:     hidden_group_size_z
      - .offset:         146
        .size:           2
        .value_kind:     hidden_remainder_x
      - .offset:         148
        .size:           2
        .value_kind:     hidden_remainder_y
      - .offset:         150
        .size:           2
        .value_kind:     hidden_remainder_z
      - .offset:         168
        .size:           8
        .value_kind:     hidden_global_offset_x
      - .offset:         176
        .size:           8
        .value_kind:     hidden_global_offset_y
      - .offset:         184
        .size:           8
        .value_kind:     hidden_global_offset_z
      - .offset:         192
        .size:           2
        .value_kind:     hidden_grid_dims
      - .offset:         248
        .size:           4
        .value_kind:     hidden_dynamic_lds_size
    .group_segment_fixed_size: 528
    .kernarg_segment_align: 8
    .kernarg_segment_size: 384
    .language:       OpenCL C
    .language_version:
      - 2
      - 0
    .max_flat_workgroup_size: 1024
    .name:           _ZN4vllm25paged_attention_v1_kernelIfhLi128ELi8ELi128ELNS_18Fp8KVCacheDataTypeE1ELb0EEEvPT_PKS2_PKT0_S8_ifPKiSA_iPKfiiiSC_SC_iiiii
    .private_segment_fixed_size: 0
    .sgpr_count:     43
    .sgpr_spill_count: 0
    .symbol:         _ZN4vllm25paged_attention_v1_kernelIfhLi128ELi8ELi128ELNS_18Fp8KVCacheDataTypeE1ELb0EEEvPT_PKS2_PKT0_S8_ifPKiSA_iPKfiiiSC_SC_iiiii.kd
    .uniform_work_group_size: 1
    .uses_dynamic_stack: false
    .vgpr_count:     53
    .vgpr_spill_count: 0
    .wavefront_size: 64
  - .agpr_count:     0
    .args:
      - .actual_access:  write_only
        .address_space:  global
        .offset:         0
        .size:           8
        .value_kind:     global_buffer
      - .actual_access:  read_only
        .address_space:  global
        .offset:         8
        .size:           8
        .value_kind:     global_buffer
      - .actual_access:  read_only
        .address_space:  global
        .offset:         16
        .size:           8
        .value_kind:     global_buffer
      - .actual_access:  read_only
        .address_space:  global
        .offset:         24
        .size:           8
        .value_kind:     global_buffer
      - .offset:         32
        .size:           4
        .value_kind:     by_value
      - .offset:         36
        .size:           4
        .value_kind:     by_value
      - .actual_access:  read_only
        .address_space:  global
        .offset:         40
        .size:           8
        .value_kind:     global_buffer
      - .actual_access:  read_only
        .address_space:  global
        .offset:         48
        .size:           8
        .value_kind:     global_buffer
      - .offset:         56
        .size:           4
        .value_kind:     by_value
      - .actual_access:  read_only
        .address_space:  global
        .offset:         64
        .size:           8
        .value_kind:     global_buffer
      - .offset:         72
        .size:           4
        .value_kind:     by_value
      - .offset:         76
        .size:           4
        .value_kind:     by_value
      - .offset:         80
        .size:           4
        .value_kind:     by_value
      - .address_space:  global
        .offset:         88
        .size:           8
        .value_kind:     global_buffer
      - .address_space:  global
        .offset:         96
        .size:           8
        .value_kind:     global_buffer
      - .offset:         104
        .size:           4
        .value_kind:     by_value
      - .offset:         108
        .size:           4
        .value_kind:     by_value
      - .offset:         112
        .size:           4
        .value_kind:     by_value
      - .offset:         116
        .size:           4
        .value_kind:     by_value
      - .offset:         120
        .size:           4
        .value_kind:     by_value
      - .offset:         128
        .size:           4
        .value_kind:     hidden_block_count_x
      - .offset:         132
        .size:           4
        .value_kind:     hidden_block_count_y
      - .offset:         136
        .size:           4
        .value_kind:     hidden_block_count_z
      - .offset:         140
        .size:           2
        .value_kind:     hidden_group_size_x
      - .offset:         142
        .size:           2
        .value_kind:     hidden_group_size_y
      - .offset:         144
        .size:           2
        .value_kind:     hidden_group_size_z
      - .offset:         146
        .size:           2
        .value_kind:     hidden_remainder_x
      - .offset:         148
        .size:           2
        .value_kind:     hidden_remainder_y
      - .offset:         150
        .size:           2
        .value_kind:     hidden_remainder_z
      - .offset:         168
        .size:           8
        .value_kind:     hidden_global_offset_x
      - .offset:         176
        .size:           8
        .value_kind:     hidden_global_offset_y
      - .offset:         184
        .size:           8
        .value_kind:     hidden_global_offset_z
      - .offset:         192
        .size:           2
        .value_kind:     hidden_grid_dims
      - .offset:         248
        .size:           4
        .value_kind:     hidden_dynamic_lds_size
    .group_segment_fixed_size: 784
    .kernarg_segment_align: 8
    .kernarg_segment_size: 384
    .language:       OpenCL C
    .language_version:
      - 2
      - 0
    .max_flat_workgroup_size: 1024
    .name:           _ZN4vllm25paged_attention_v1_kernelIfhLi192ELi8ELi128ELNS_18Fp8KVCacheDataTypeE1ELb0EEEvPT_PKS2_PKT0_S8_ifPKiSA_iPKfiiiSC_SC_iiiii
    .private_segment_fixed_size: 0
    .sgpr_count:     44
    .sgpr_spill_count: 0
    .symbol:         _ZN4vllm25paged_attention_v1_kernelIfhLi192ELi8ELi128ELNS_18Fp8KVCacheDataTypeE1ELb0EEEvPT_PKS2_PKT0_S8_ifPKiSA_iPKfiiiSC_SC_iiiii.kd
    .uniform_work_group_size: 1
    .uses_dynamic_stack: false
    .vgpr_count:     67
    .vgpr_spill_count: 0
    .wavefront_size: 64
  - .agpr_count:     0
    .args:
      - .actual_access:  write_only
        .address_space:  global
        .offset:         0
        .size:           8
        .value_kind:     global_buffer
      - .actual_access:  read_only
        .address_space:  global
        .offset:         8
        .size:           8
        .value_kind:     global_buffer
      - .actual_access:  read_only
        .address_space:  global
        .offset:         16
        .size:           8
        .value_kind:     global_buffer
      - .actual_access:  read_only
        .address_space:  global
        .offset:         24
        .size:           8
        .value_kind:     global_buffer
      - .offset:         32
        .size:           4
        .value_kind:     by_value
      - .offset:         36
        .size:           4
        .value_kind:     by_value
      - .actual_access:  read_only
        .address_space:  global
        .offset:         40
        .size:           8
        .value_kind:     global_buffer
      - .actual_access:  read_only
        .address_space:  global
        .offset:         48
        .size:           8
        .value_kind:     global_buffer
      - .offset:         56
        .size:           4
        .value_kind:     by_value
      - .actual_access:  read_only
        .address_space:  global
        .offset:         64
        .size:           8
        .value_kind:     global_buffer
      - .offset:         72
        .size:           4
        .value_kind:     by_value
      - .offset:         76
        .size:           4
        .value_kind:     by_value
      - .offset:         80
        .size:           4
        .value_kind:     by_value
      - .address_space:  global
        .offset:         88
        .size:           8
        .value_kind:     global_buffer
      - .address_space:  global
        .offset:         96
        .size:           8
        .value_kind:     global_buffer
      - .offset:         104
        .size:           4
        .value_kind:     by_value
      - .offset:         108
        .size:           4
        .value_kind:     by_value
      - .offset:         112
        .size:           4
        .value_kind:     by_value
      - .offset:         116
        .size:           4
        .value_kind:     by_value
      - .offset:         120
        .size:           4
        .value_kind:     by_value
      - .offset:         128
        .size:           4
        .value_kind:     hidden_block_count_x
      - .offset:         132
        .size:           4
        .value_kind:     hidden_block_count_y
      - .offset:         136
        .size:           4
        .value_kind:     hidden_block_count_z
      - .offset:         140
        .size:           2
        .value_kind:     hidden_group_size_x
      - .offset:         142
        .size:           2
        .value_kind:     hidden_group_size_y
      - .offset:         144
        .size:           2
        .value_kind:     hidden_group_size_z
      - .offset:         146
        .size:           2
        .value_kind:     hidden_remainder_x
      - .offset:         148
        .size:           2
        .value_kind:     hidden_remainder_y
      - .offset:         150
        .size:           2
        .value_kind:     hidden_remainder_z
      - .offset:         168
        .size:           8
        .value_kind:     hidden_global_offset_x
      - .offset:         176
        .size:           8
        .value_kind:     hidden_global_offset_y
      - .offset:         184
        .size:           8
        .value_kind:     hidden_global_offset_z
      - .offset:         192
        .size:           2
        .value_kind:     hidden_grid_dims
      - .offset:         248
        .size:           4
        .value_kind:     hidden_dynamic_lds_size
    .group_segment_fixed_size: 1040
    .kernarg_segment_align: 8
    .kernarg_segment_size: 384
    .language:       OpenCL C
    .language_version:
      - 2
      - 0
    .max_flat_workgroup_size: 1024
    .name:           _ZN4vllm25paged_attention_v1_kernelIfhLi256ELi8ELi128ELNS_18Fp8KVCacheDataTypeE1ELb0EEEvPT_PKS2_PKT0_S8_ifPKiSA_iPKfiiiSC_SC_iiiii
    .private_segment_fixed_size: 0
    .sgpr_count:     44
    .sgpr_spill_count: 0
    .symbol:         _ZN4vllm25paged_attention_v1_kernelIfhLi256ELi8ELi128ELNS_18Fp8KVCacheDataTypeE1ELb0EEEvPT_PKS2_PKT0_S8_ifPKiSA_iPKfiiiSC_SC_iiiii.kd
    .uniform_work_group_size: 1
    .uses_dynamic_stack: false
    .vgpr_count:     83
    .vgpr_spill_count: 0
    .wavefront_size: 64
  - .agpr_count:     0
    .args:
      - .actual_access:  write_only
        .address_space:  global
        .offset:         0
        .size:           8
        .value_kind:     global_buffer
      - .actual_access:  read_only
        .address_space:  global
        .offset:         8
        .size:           8
        .value_kind:     global_buffer
      - .actual_access:  read_only
        .address_space:  global
        .offset:         16
        .size:           8
        .value_kind:     global_buffer
      - .actual_access:  read_only
        .address_space:  global
        .offset:         24
        .size:           8
        .value_kind:     global_buffer
      - .offset:         32
        .size:           4
        .value_kind:     by_value
      - .offset:         36
        .size:           4
        .value_kind:     by_value
      - .actual_access:  read_only
        .address_space:  global
        .offset:         40
        .size:           8
        .value_kind:     global_buffer
      - .actual_access:  read_only
        .address_space:  global
        .offset:         48
        .size:           8
        .value_kind:     global_buffer
      - .offset:         56
        .size:           4
        .value_kind:     by_value
      - .actual_access:  read_only
        .address_space:  global
        .offset:         64
        .size:           8
        .value_kind:     global_buffer
      - .offset:         72
        .size:           4
        .value_kind:     by_value
      - .offset:         76
        .size:           4
        .value_kind:     by_value
      - .offset:         80
        .size:           4
        .value_kind:     by_value
      - .address_space:  global
        .offset:         88
        .size:           8
        .value_kind:     global_buffer
      - .address_space:  global
        .offset:         96
        .size:           8
        .value_kind:     global_buffer
      - .offset:         104
        .size:           4
        .value_kind:     by_value
      - .offset:         108
        .size:           4
        .value_kind:     by_value
      - .offset:         112
        .size:           4
        .value_kind:     by_value
      - .offset:         116
        .size:           4
        .value_kind:     by_value
      - .offset:         120
        .size:           4
        .value_kind:     by_value
      - .offset:         128
        .size:           4
        .value_kind:     hidden_block_count_x
      - .offset:         132
        .size:           4
        .value_kind:     hidden_block_count_y
      - .offset:         136
        .size:           4
        .value_kind:     hidden_block_count_z
      - .offset:         140
        .size:           2
        .value_kind:     hidden_group_size_x
      - .offset:         142
        .size:           2
        .value_kind:     hidden_group_size_y
      - .offset:         144
        .size:           2
        .value_kind:     hidden_group_size_z
      - .offset:         146
        .size:           2
        .value_kind:     hidden_remainder_x
      - .offset:         148
        .size:           2
        .value_kind:     hidden_remainder_y
      - .offset:         150
        .size:           2
        .value_kind:     hidden_remainder_z
      - .offset:         168
        .size:           8
        .value_kind:     hidden_global_offset_x
      - .offset:         176
        .size:           8
        .value_kind:     hidden_global_offset_y
      - .offset:         184
        .size:           8
        .value_kind:     hidden_global_offset_z
      - .offset:         192
        .size:           2
        .value_kind:     hidden_grid_dims
      - .offset:         248
        .size:           4
        .value_kind:     hidden_dynamic_lds_size
    .group_segment_fixed_size: 144
    .kernarg_segment_align: 8
    .kernarg_segment_size: 384
    .language:       OpenCL C
    .language_version:
      - 2
      - 0
    .max_flat_workgroup_size: 1024
    .name:           _ZN4vllm25paged_attention_v1_kernelIfhLi32ELi16ELi128ELNS_18Fp8KVCacheDataTypeE1ELb1EEEvPT_PKS2_PKT0_S8_ifPKiSA_iPKfiiiSC_SC_iiiii
    .private_segment_fixed_size: 0
    .sgpr_count:     54
    .sgpr_spill_count: 0
    .symbol:         _ZN4vllm25paged_attention_v1_kernelIfhLi32ELi16ELi128ELNS_18Fp8KVCacheDataTypeE1ELb1EEEvPT_PKS2_PKT0_S8_ifPKiSA_iPKfiiiSC_SC_iiiii.kd
    .uniform_work_group_size: 1
    .uses_dynamic_stack: false
    .vgpr_count:     44
    .vgpr_spill_count: 0
    .wavefront_size: 64
  - .agpr_count:     0
    .args:
      - .actual_access:  write_only
        .address_space:  global
        .offset:         0
        .size:           8
        .value_kind:     global_buffer
      - .actual_access:  read_only
        .address_space:  global
        .offset:         8
        .size:           8
        .value_kind:     global_buffer
      - .actual_access:  read_only
        .address_space:  global
        .offset:         16
        .size:           8
        .value_kind:     global_buffer
      - .actual_access:  read_only
        .address_space:  global
        .offset:         24
        .size:           8
        .value_kind:     global_buffer
      - .offset:         32
        .size:           4
        .value_kind:     by_value
      - .offset:         36
        .size:           4
        .value_kind:     by_value
      - .actual_access:  read_only
        .address_space:  global
        .offset:         40
        .size:           8
        .value_kind:     global_buffer
      - .actual_access:  read_only
        .address_space:  global
        .offset:         48
        .size:           8
        .value_kind:     global_buffer
      - .offset:         56
        .size:           4
        .value_kind:     by_value
      - .actual_access:  read_only
        .address_space:  global
        .offset:         64
        .size:           8
        .value_kind:     global_buffer
      - .offset:         72
        .size:           4
        .value_kind:     by_value
      - .offset:         76
        .size:           4
        .value_kind:     by_value
      - .offset:         80
        .size:           4
        .value_kind:     by_value
      - .address_space:  global
        .offset:         88
        .size:           8
        .value_kind:     global_buffer
      - .address_space:  global
        .offset:         96
        .size:           8
        .value_kind:     global_buffer
      - .offset:         104
        .size:           4
        .value_kind:     by_value
      - .offset:         108
        .size:           4
        .value_kind:     by_value
      - .offset:         112
        .size:           4
        .value_kind:     by_value
      - .offset:         116
        .size:           4
        .value_kind:     by_value
      - .offset:         120
        .size:           4
        .value_kind:     by_value
      - .offset:         128
        .size:           4
        .value_kind:     hidden_block_count_x
      - .offset:         132
        .size:           4
        .value_kind:     hidden_block_count_y
      - .offset:         136
        .size:           4
        .value_kind:     hidden_block_count_z
      - .offset:         140
        .size:           2
        .value_kind:     hidden_group_size_x
      - .offset:         142
        .size:           2
        .value_kind:     hidden_group_size_y
      - .offset:         144
        .size:           2
        .value_kind:     hidden_group_size_z
      - .offset:         146
        .size:           2
        .value_kind:     hidden_remainder_x
      - .offset:         148
        .size:           2
        .value_kind:     hidden_remainder_y
      - .offset:         150
        .size:           2
        .value_kind:     hidden_remainder_z
      - .offset:         168
        .size:           8
        .value_kind:     hidden_global_offset_x
      - .offset:         176
        .size:           8
        .value_kind:     hidden_global_offset_y
      - .offset:         184
        .size:           8
        .value_kind:     hidden_global_offset_z
      - .offset:         192
        .size:           2
        .value_kind:     hidden_grid_dims
      - .offset:         248
        .size:           4
        .value_kind:     hidden_dynamic_lds_size
    .group_segment_fixed_size: 272
    .kernarg_segment_align: 8
    .kernarg_segment_size: 384
    .language:       OpenCL C
    .language_version:
      - 2
      - 0
    .max_flat_workgroup_size: 1024
    .name:           _ZN4vllm25paged_attention_v1_kernelIfhLi64ELi16ELi128ELNS_18Fp8KVCacheDataTypeE1ELb1EEEvPT_PKS2_PKT0_S8_ifPKiSA_iPKfiiiSC_SC_iiiii
    .private_segment_fixed_size: 0
    .sgpr_count:     56
    .sgpr_spill_count: 0
    .symbol:         _ZN4vllm25paged_attention_v1_kernelIfhLi64ELi16ELi128ELNS_18Fp8KVCacheDataTypeE1ELb1EEEvPT_PKS2_PKT0_S8_ifPKiSA_iPKfiiiSC_SC_iiiii.kd
    .uniform_work_group_size: 1
    .uses_dynamic_stack: false
    .vgpr_count:     60
    .vgpr_spill_count: 0
    .wavefront_size: 64
  - .agpr_count:     0
    .args:
      - .actual_access:  write_only
        .address_space:  global
        .offset:         0
        .size:           8
        .value_kind:     global_buffer
      - .actual_access:  read_only
        .address_space:  global
        .offset:         8
        .size:           8
        .value_kind:     global_buffer
      - .actual_access:  read_only
        .address_space:  global
        .offset:         16
        .size:           8
        .value_kind:     global_buffer
      - .actual_access:  read_only
        .address_space:  global
        .offset:         24
        .size:           8
        .value_kind:     global_buffer
      - .offset:         32
        .size:           4
        .value_kind:     by_value
      - .offset:         36
        .size:           4
        .value_kind:     by_value
      - .actual_access:  read_only
        .address_space:  global
        .offset:         40
        .size:           8
        .value_kind:     global_buffer
      - .actual_access:  read_only
        .address_space:  global
        .offset:         48
        .size:           8
        .value_kind:     global_buffer
      - .offset:         56
        .size:           4
        .value_kind:     by_value
      - .actual_access:  read_only
        .address_space:  global
        .offset:         64
        .size:           8
        .value_kind:     global_buffer
      - .offset:         72
        .size:           4
        .value_kind:     by_value
      - .offset:         76
        .size:           4
        .value_kind:     by_value
      - .offset:         80
        .size:           4
        .value_kind:     by_value
      - .address_space:  global
        .offset:         88
        .size:           8
        .value_kind:     global_buffer
      - .address_space:  global
        .offset:         96
        .size:           8
        .value_kind:     global_buffer
      - .offset:         104
        .size:           4
        .value_kind:     by_value
      - .offset:         108
        .size:           4
        .value_kind:     by_value
      - .offset:         112
        .size:           4
        .value_kind:     by_value
      - .offset:         116
        .size:           4
        .value_kind:     by_value
      - .offset:         120
        .size:           4
        .value_kind:     by_value
      - .offset:         128
        .size:           4
        .value_kind:     hidden_block_count_x
      - .offset:         132
        .size:           4
        .value_kind:     hidden_block_count_y
      - .offset:         136
        .size:           4
        .value_kind:     hidden_block_count_z
      - .offset:         140
        .size:           2
        .value_kind:     hidden_group_size_x
      - .offset:         142
        .size:           2
        .value_kind:     hidden_group_size_y
      - .offset:         144
        .size:           2
        .value_kind:     hidden_group_size_z
      - .offset:         146
        .size:           2
        .value_kind:     hidden_remainder_x
      - .offset:         148
        .size:           2
        .value_kind:     hidden_remainder_y
      - .offset:         150
        .size:           2
        .value_kind:     hidden_remainder_z
      - .offset:         168
        .size:           8
        .value_kind:     hidden_global_offset_x
      - .offset:         176
        .size:           8
        .value_kind:     hidden_global_offset_y
      - .offset:         184
        .size:           8
        .value_kind:     hidden_global_offset_z
      - .offset:         192
        .size:           2
        .value_kind:     hidden_grid_dims
      - .offset:         248
        .size:           4
        .value_kind:     hidden_dynamic_lds_size
    .group_segment_fixed_size: 336
    .kernarg_segment_align: 8
    .kernarg_segment_size: 384
    .language:       OpenCL C
    .language_version:
      - 2
      - 0
    .max_flat_workgroup_size: 1024
    .name:           _ZN4vllm25paged_attention_v1_kernelIfhLi80ELi16ELi128ELNS_18Fp8KVCacheDataTypeE1ELb1EEEvPT_PKS2_PKT0_S8_ifPKiSA_iPKfiiiSC_SC_iiiii
    .private_segment_fixed_size: 0
    .sgpr_count:     54
    .sgpr_spill_count: 0
    .symbol:         _ZN4vllm25paged_attention_v1_kernelIfhLi80ELi16ELi128ELNS_18Fp8KVCacheDataTypeE1ELb1EEEvPT_PKS2_PKT0_S8_ifPKiSA_iPKfiiiSC_SC_iiiii.kd
    .uniform_work_group_size: 1
    .uses_dynamic_stack: false
    .vgpr_count:     68
    .vgpr_spill_count: 0
    .wavefront_size: 64
  - .agpr_count:     0
    .args:
      - .actual_access:  write_only
        .address_space:  global
        .offset:         0
        .size:           8
        .value_kind:     global_buffer
      - .actual_access:  read_only
        .address_space:  global
        .offset:         8
        .size:           8
        .value_kind:     global_buffer
      - .actual_access:  read_only
        .address_space:  global
        .offset:         16
        .size:           8
        .value_kind:     global_buffer
      - .actual_access:  read_only
        .address_space:  global
        .offset:         24
        .size:           8
        .value_kind:     global_buffer
      - .offset:         32
        .size:           4
        .value_kind:     by_value
      - .offset:         36
        .size:           4
        .value_kind:     by_value
      - .actual_access:  read_only
        .address_space:  global
        .offset:         40
        .size:           8
        .value_kind:     global_buffer
      - .actual_access:  read_only
        .address_space:  global
        .offset:         48
        .size:           8
        .value_kind:     global_buffer
      - .offset:         56
        .size:           4
        .value_kind:     by_value
      - .actual_access:  read_only
        .address_space:  global
        .offset:         64
        .size:           8
        .value_kind:     global_buffer
      - .offset:         72
        .size:           4
        .value_kind:     by_value
      - .offset:         76
        .size:           4
        .value_kind:     by_value
      - .offset:         80
        .size:           4
        .value_kind:     by_value
      - .address_space:  global
        .offset:         88
        .size:           8
        .value_kind:     global_buffer
      - .address_space:  global
        .offset:         96
        .size:           8
        .value_kind:     global_buffer
      - .offset:         104
        .size:           4
        .value_kind:     by_value
      - .offset:         108
        .size:           4
        .value_kind:     by_value
      - .offset:         112
        .size:           4
        .value_kind:     by_value
      - .offset:         116
        .size:           4
        .value_kind:     by_value
      - .offset:         120
        .size:           4
        .value_kind:     by_value
      - .offset:         128
        .size:           4
        .value_kind:     hidden_block_count_x
      - .offset:         132
        .size:           4
        .value_kind:     hidden_block_count_y
      - .offset:         136
        .size:           4
        .value_kind:     hidden_block_count_z
      - .offset:         140
        .size:           2
        .value_kind:     hidden_group_size_x
      - .offset:         142
        .size:           2
        .value_kind:     hidden_group_size_y
      - .offset:         144
        .size:           2
        .value_kind:     hidden_group_size_z
      - .offset:         146
        .size:           2
        .value_kind:     hidden_remainder_x
      - .offset:         148
        .size:           2
        .value_kind:     hidden_remainder_y
      - .offset:         150
        .size:           2
        .value_kind:     hidden_remainder_z
      - .offset:         168
        .size:           8
        .value_kind:     hidden_global_offset_x
      - .offset:         176
        .size:           8
        .value_kind:     hidden_global_offset_y
      - .offset:         184
        .size:           8
        .value_kind:     hidden_global_offset_z
      - .offset:         192
        .size:           2
        .value_kind:     hidden_grid_dims
      - .offset:         248
        .size:           4
        .value_kind:     hidden_dynamic_lds_size
    .group_segment_fixed_size: 400
    .kernarg_segment_align: 8
    .kernarg_segment_size: 384
    .language:       OpenCL C
    .language_version:
      - 2
      - 0
    .max_flat_workgroup_size: 1024
    .name:           _ZN4vllm25paged_attention_v1_kernelIfhLi96ELi16ELi128ELNS_18Fp8KVCacheDataTypeE1ELb1EEEvPT_PKS2_PKT0_S8_ifPKiSA_iPKfiiiSC_SC_iiiii
    .private_segment_fixed_size: 0
    .sgpr_count:     54
    .sgpr_spill_count: 0
    .symbol:         _ZN4vllm25paged_attention_v1_kernelIfhLi96ELi16ELi128ELNS_18Fp8KVCacheDataTypeE1ELb1EEEvPT_PKS2_PKT0_S8_ifPKiSA_iPKfiiiSC_SC_iiiii.kd
    .uniform_work_group_size: 1
    .uses_dynamic_stack: false
    .vgpr_count:     76
    .vgpr_spill_count: 0
    .wavefront_size: 64
  - .agpr_count:     0
    .args:
      - .actual_access:  write_only
        .address_space:  global
        .offset:         0
        .size:           8
        .value_kind:     global_buffer
      - .actual_access:  read_only
        .address_space:  global
        .offset:         8
        .size:           8
        .value_kind:     global_buffer
      - .actual_access:  read_only
        .address_space:  global
        .offset:         16
        .size:           8
        .value_kind:     global_buffer
      - .actual_access:  read_only
        .address_space:  global
        .offset:         24
        .size:           8
        .value_kind:     global_buffer
      - .offset:         32
        .size:           4
        .value_kind:     by_value
      - .offset:         36
        .size:           4
        .value_kind:     by_value
      - .actual_access:  read_only
        .address_space:  global
        .offset:         40
        .size:           8
        .value_kind:     global_buffer
      - .actual_access:  read_only
        .address_space:  global
        .offset:         48
        .size:           8
        .value_kind:     global_buffer
      - .offset:         56
        .size:           4
        .value_kind:     by_value
      - .actual_access:  read_only
        .address_space:  global
        .offset:         64
        .size:           8
        .value_kind:     global_buffer
      - .offset:         72
        .size:           4
        .value_kind:     by_value
      - .offset:         76
        .size:           4
        .value_kind:     by_value
      - .offset:         80
        .size:           4
        .value_kind:     by_value
      - .address_space:  global
        .offset:         88
        .size:           8
        .value_kind:     global_buffer
      - .address_space:  global
        .offset:         96
        .size:           8
        .value_kind:     global_buffer
      - .offset:         104
        .size:           4
        .value_kind:     by_value
      - .offset:         108
        .size:           4
        .value_kind:     by_value
      - .offset:         112
        .size:           4
        .value_kind:     by_value
      - .offset:         116
        .size:           4
        .value_kind:     by_value
      - .offset:         120
        .size:           4
        .value_kind:     by_value
      - .offset:         128
        .size:           4
        .value_kind:     hidden_block_count_x
      - .offset:         132
        .size:           4
        .value_kind:     hidden_block_count_y
      - .offset:         136
        .size:           4
        .value_kind:     hidden_block_count_z
      - .offset:         140
        .size:           2
        .value_kind:     hidden_group_size_x
      - .offset:         142
        .size:           2
        .value_kind:     hidden_group_size_y
      - .offset:         144
        .size:           2
        .value_kind:     hidden_group_size_z
      - .offset:         146
        .size:           2
        .value_kind:     hidden_remainder_x
      - .offset:         148
        .size:           2
        .value_kind:     hidden_remainder_y
      - .offset:         150
        .size:           2
        .value_kind:     hidden_remainder_z
      - .offset:         168
        .size:           8
        .value_kind:     hidden_global_offset_x
      - .offset:         176
        .size:           8
        .value_kind:     hidden_global_offset_y
      - .offset:         184
        .size:           8
        .value_kind:     hidden_global_offset_z
      - .offset:         192
        .size:           2
        .value_kind:     hidden_grid_dims
      - .offset:         248
        .size:           4
        .value_kind:     hidden_dynamic_lds_size
    .group_segment_fixed_size: 464
    .kernarg_segment_align: 8
    .kernarg_segment_size: 384
    .language:       OpenCL C
    .language_version:
      - 2
      - 0
    .max_flat_workgroup_size: 1024
    .name:           _ZN4vllm25paged_attention_v1_kernelIfhLi112ELi16ELi128ELNS_18Fp8KVCacheDataTypeE1ELb1EEEvPT_PKS2_PKT0_S8_ifPKiSA_iPKfiiiSC_SC_iiiii
    .private_segment_fixed_size: 0
    .sgpr_count:     54
    .sgpr_spill_count: 0
    .symbol:         _ZN4vllm25paged_attention_v1_kernelIfhLi112ELi16ELi128ELNS_18Fp8KVCacheDataTypeE1ELb1EEEvPT_PKS2_PKT0_S8_ifPKiSA_iPKfiiiSC_SC_iiiii.kd
    .uniform_work_group_size: 1
    .uses_dynamic_stack: false
    .vgpr_count:     84
    .vgpr_spill_count: 0
    .wavefront_size: 64
  - .agpr_count:     0
    .args:
      - .actual_access:  write_only
        .address_space:  global
        .offset:         0
        .size:           8
        .value_kind:     global_buffer
      - .actual_access:  read_only
        .address_space:  global
        .offset:         8
        .size:           8
        .value_kind:     global_buffer
      - .actual_access:  read_only
        .address_space:  global
        .offset:         16
        .size:           8
        .value_kind:     global_buffer
      - .actual_access:  read_only
        .address_space:  global
        .offset:         24
        .size:           8
        .value_kind:     global_buffer
      - .offset:         32
        .size:           4
        .value_kind:     by_value
      - .offset:         36
        .size:           4
        .value_kind:     by_value
      - .actual_access:  read_only
        .address_space:  global
        .offset:         40
        .size:           8
        .value_kind:     global_buffer
      - .actual_access:  read_only
        .address_space:  global
        .offset:         48
        .size:           8
        .value_kind:     global_buffer
      - .offset:         56
        .size:           4
        .value_kind:     by_value
      - .actual_access:  read_only
        .address_space:  global
        .offset:         64
        .size:           8
        .value_kind:     global_buffer
      - .offset:         72
        .size:           4
        .value_kind:     by_value
      - .offset:         76
        .size:           4
        .value_kind:     by_value
      - .offset:         80
        .size:           4
        .value_kind:     by_value
      - .address_space:  global
        .offset:         88
        .size:           8
        .value_kind:     global_buffer
      - .address_space:  global
        .offset:         96
        .size:           8
        .value_kind:     global_buffer
      - .offset:         104
        .size:           4
        .value_kind:     by_value
      - .offset:         108
        .size:           4
        .value_kind:     by_value
      - .offset:         112
        .size:           4
        .value_kind:     by_value
      - .offset:         116
        .size:           4
        .value_kind:     by_value
      - .offset:         120
        .size:           4
        .value_kind:     by_value
      - .offset:         128
        .size:           4
        .value_kind:     hidden_block_count_x
      - .offset:         132
        .size:           4
        .value_kind:     hidden_block_count_y
      - .offset:         136
        .size:           4
        .value_kind:     hidden_block_count_z
      - .offset:         140
        .size:           2
        .value_kind:     hidden_group_size_x
      - .offset:         142
        .size:           2
        .value_kind:     hidden_group_size_y
      - .offset:         144
        .size:           2
        .value_kind:     hidden_group_size_z
      - .offset:         146
        .size:           2
        .value_kind:     hidden_remainder_x
      - .offset:         148
        .size:           2
        .value_kind:     hidden_remainder_y
      - .offset:         150
        .size:           2
        .value_kind:     hidden_remainder_z
      - .offset:         168
        .size:           8
        .value_kind:     hidden_global_offset_x
      - .offset:         176
        .size:           8
        .value_kind:     hidden_global_offset_y
      - .offset:         184
        .size:           8
        .value_kind:     hidden_global_offset_z
      - .offset:         192
        .size:           2
        .value_kind:     hidden_grid_dims
      - .offset:         248
        .size:           4
        .value_kind:     hidden_dynamic_lds_size
    .group_segment_fixed_size: 496
    .kernarg_segment_align: 8
    .kernarg_segment_size: 384
    .language:       OpenCL C
    .language_version:
      - 2
      - 0
    .max_flat_workgroup_size: 1024
    .name:           _ZN4vllm25paged_attention_v1_kernelIfhLi120ELi16ELi128ELNS_18Fp8KVCacheDataTypeE1ELb1EEEvPT_PKS2_PKT0_S8_ifPKiSA_iPKfiiiSC_SC_iiiii
    .private_segment_fixed_size: 0
    .sgpr_count:     54
    .sgpr_spill_count: 0
    .symbol:         _ZN4vllm25paged_attention_v1_kernelIfhLi120ELi16ELi128ELNS_18Fp8KVCacheDataTypeE1ELb1EEEvPT_PKS2_PKT0_S8_ifPKiSA_iPKfiiiSC_SC_iiiii.kd
    .uniform_work_group_size: 1
    .uses_dynamic_stack: false
    .vgpr_count:     88
    .vgpr_spill_count: 0
    .wavefront_size: 64
  - .agpr_count:     0
    .args:
      - .actual_access:  write_only
        .address_space:  global
        .offset:         0
        .size:           8
        .value_kind:     global_buffer
      - .actual_access:  read_only
        .address_space:  global
        .offset:         8
        .size:           8
        .value_kind:     global_buffer
      - .actual_access:  read_only
        .address_space:  global
        .offset:         16
        .size:           8
        .value_kind:     global_buffer
      - .actual_access:  read_only
        .address_space:  global
        .offset:         24
        .size:           8
        .value_kind:     global_buffer
      - .offset:         32
        .size:           4
        .value_kind:     by_value
      - .offset:         36
        .size:           4
        .value_kind:     by_value
      - .actual_access:  read_only
        .address_space:  global
        .offset:         40
        .size:           8
        .value_kind:     global_buffer
      - .actual_access:  read_only
        .address_space:  global
        .offset:         48
        .size:           8
        .value_kind:     global_buffer
      - .offset:         56
        .size:           4
        .value_kind:     by_value
      - .actual_access:  read_only
        .address_space:  global
        .offset:         64
        .size:           8
        .value_kind:     global_buffer
      - .offset:         72
        .size:           4
        .value_kind:     by_value
      - .offset:         76
        .size:           4
        .value_kind:     by_value
      - .offset:         80
        .size:           4
        .value_kind:     by_value
      - .address_space:  global
        .offset:         88
        .size:           8
        .value_kind:     global_buffer
      - .address_space:  global
        .offset:         96
        .size:           8
        .value_kind:     global_buffer
      - .offset:         104
        .size:           4
        .value_kind:     by_value
      - .offset:         108
        .size:           4
        .value_kind:     by_value
      - .offset:         112
        .size:           4
        .value_kind:     by_value
      - .offset:         116
        .size:           4
        .value_kind:     by_value
      - .offset:         120
        .size:           4
        .value_kind:     by_value
      - .offset:         128
        .size:           4
        .value_kind:     hidden_block_count_x
      - .offset:         132
        .size:           4
        .value_kind:     hidden_block_count_y
      - .offset:         136
        .size:           4
        .value_kind:     hidden_block_count_z
      - .offset:         140
        .size:           2
        .value_kind:     hidden_group_size_x
      - .offset:         142
        .size:           2
        .value_kind:     hidden_group_size_y
      - .offset:         144
        .size:           2
        .value_kind:     hidden_group_size_z
      - .offset:         146
        .size:           2
        .value_kind:     hidden_remainder_x
      - .offset:         148
        .size:           2
        .value_kind:     hidden_remainder_y
      - .offset:         150
        .size:           2
        .value_kind:     hidden_remainder_z
      - .offset:         168
        .size:           8
        .value_kind:     hidden_global_offset_x
      - .offset:         176
        .size:           8
        .value_kind:     hidden_global_offset_y
      - .offset:         184
        .size:           8
        .value_kind:     hidden_global_offset_z
      - .offset:         192
        .size:           2
        .value_kind:     hidden_grid_dims
      - .offset:         248
        .size:           4
        .value_kind:     hidden_dynamic_lds_size
    .group_segment_fixed_size: 528
    .kernarg_segment_align: 8
    .kernarg_segment_size: 384
    .language:       OpenCL C
    .language_version:
      - 2
      - 0
    .max_flat_workgroup_size: 1024
    .name:           _ZN4vllm25paged_attention_v1_kernelIfhLi128ELi16ELi128ELNS_18Fp8KVCacheDataTypeE1ELb1EEEvPT_PKS2_PKT0_S8_ifPKiSA_iPKfiiiSC_SC_iiiii
    .private_segment_fixed_size: 0
    .sgpr_count:     54
    .sgpr_spill_count: 0
    .symbol:         _ZN4vllm25paged_attention_v1_kernelIfhLi128ELi16ELi128ELNS_18Fp8KVCacheDataTypeE1ELb1EEEvPT_PKS2_PKT0_S8_ifPKiSA_iPKfiiiSC_SC_iiiii.kd
    .uniform_work_group_size: 1
    .uses_dynamic_stack: false
    .vgpr_count:     92
    .vgpr_spill_count: 0
    .wavefront_size: 64
  - .agpr_count:     0
    .args:
      - .actual_access:  write_only
        .address_space:  global
        .offset:         0
        .size:           8
        .value_kind:     global_buffer
      - .actual_access:  read_only
        .address_space:  global
        .offset:         8
        .size:           8
        .value_kind:     global_buffer
      - .actual_access:  read_only
        .address_space:  global
        .offset:         16
        .size:           8
        .value_kind:     global_buffer
      - .actual_access:  read_only
        .address_space:  global
        .offset:         24
        .size:           8
        .value_kind:     global_buffer
      - .offset:         32
        .size:           4
        .value_kind:     by_value
      - .offset:         36
        .size:           4
        .value_kind:     by_value
      - .actual_access:  read_only
        .address_space:  global
        .offset:         40
        .size:           8
        .value_kind:     global_buffer
      - .actual_access:  read_only
        .address_space:  global
        .offset:         48
        .size:           8
        .value_kind:     global_buffer
      - .offset:         56
        .size:           4
        .value_kind:     by_value
      - .actual_access:  read_only
        .address_space:  global
        .offset:         64
        .size:           8
        .value_kind:     global_buffer
      - .offset:         72
        .size:           4
        .value_kind:     by_value
      - .offset:         76
        .size:           4
        .value_kind:     by_value
      - .offset:         80
        .size:           4
        .value_kind:     by_value
      - .address_space:  global
        .offset:         88
        .size:           8
        .value_kind:     global_buffer
      - .address_space:  global
        .offset:         96
        .size:           8
        .value_kind:     global_buffer
      - .offset:         104
        .size:           4
        .value_kind:     by_value
      - .offset:         108
        .size:           4
        .value_kind:     by_value
      - .offset:         112
        .size:           4
        .value_kind:     by_value
      - .offset:         116
        .size:           4
        .value_kind:     by_value
      - .offset:         120
        .size:           4
        .value_kind:     by_value
      - .offset:         128
        .size:           4
        .value_kind:     hidden_block_count_x
      - .offset:         132
        .size:           4
        .value_kind:     hidden_block_count_y
      - .offset:         136
        .size:           4
        .value_kind:     hidden_block_count_z
      - .offset:         140
        .size:           2
        .value_kind:     hidden_group_size_x
      - .offset:         142
        .size:           2
        .value_kind:     hidden_group_size_y
      - .offset:         144
        .size:           2
        .value_kind:     hidden_group_size_z
      - .offset:         146
        .size:           2
        .value_kind:     hidden_remainder_x
      - .offset:         148
        .size:           2
        .value_kind:     hidden_remainder_y
      - .offset:         150
        .size:           2
        .value_kind:     hidden_remainder_z
      - .offset:         168
        .size:           8
        .value_kind:     hidden_global_offset_x
      - .offset:         176
        .size:           8
        .value_kind:     hidden_global_offset_y
      - .offset:         184
        .size:           8
        .value_kind:     hidden_global_offset_z
      - .offset:         192
        .size:           2
        .value_kind:     hidden_grid_dims
      - .offset:         248
        .size:           4
        .value_kind:     hidden_dynamic_lds_size
    .group_segment_fixed_size: 784
    .kernarg_segment_align: 8
    .kernarg_segment_size: 384
    .language:       OpenCL C
    .language_version:
      - 2
      - 0
    .max_flat_workgroup_size: 1024
    .name:           _ZN4vllm25paged_attention_v1_kernelIfhLi192ELi16ELi128ELNS_18Fp8KVCacheDataTypeE1ELb1EEEvPT_PKS2_PKT0_S8_ifPKiSA_iPKfiiiSC_SC_iiiii
    .private_segment_fixed_size: 0
    .sgpr_count:     54
    .sgpr_spill_count: 0
    .symbol:         _ZN4vllm25paged_attention_v1_kernelIfhLi192ELi16ELi128ELNS_18Fp8KVCacheDataTypeE1ELb1EEEvPT_PKS2_PKT0_S8_ifPKiSA_iPKfiiiSC_SC_iiiii.kd
    .uniform_work_group_size: 1
    .uses_dynamic_stack: false
    .vgpr_count:     107
    .vgpr_spill_count: 0
    .wavefront_size: 64
  - .agpr_count:     0
    .args:
      - .actual_access:  write_only
        .address_space:  global
        .offset:         0
        .size:           8
        .value_kind:     global_buffer
      - .actual_access:  read_only
        .address_space:  global
        .offset:         8
        .size:           8
        .value_kind:     global_buffer
      - .actual_access:  read_only
        .address_space:  global
        .offset:         16
        .size:           8
        .value_kind:     global_buffer
      - .actual_access:  read_only
        .address_space:  global
        .offset:         24
        .size:           8
        .value_kind:     global_buffer
      - .offset:         32
        .size:           4
        .value_kind:     by_value
      - .offset:         36
        .size:           4
        .value_kind:     by_value
      - .actual_access:  read_only
        .address_space:  global
        .offset:         40
        .size:           8
        .value_kind:     global_buffer
      - .actual_access:  read_only
        .address_space:  global
        .offset:         48
        .size:           8
        .value_kind:     global_buffer
      - .offset:         56
        .size:           4
        .value_kind:     by_value
      - .actual_access:  read_only
        .address_space:  global
        .offset:         64
        .size:           8
        .value_kind:     global_buffer
      - .offset:         72
        .size:           4
        .value_kind:     by_value
      - .offset:         76
        .size:           4
        .value_kind:     by_value
      - .offset:         80
        .size:           4
        .value_kind:     by_value
      - .address_space:  global
        .offset:         88
        .size:           8
        .value_kind:     global_buffer
      - .address_space:  global
        .offset:         96
        .size:           8
        .value_kind:     global_buffer
      - .offset:         104
        .size:           4
        .value_kind:     by_value
      - .offset:         108
        .size:           4
        .value_kind:     by_value
      - .offset:         112
        .size:           4
        .value_kind:     by_value
      - .offset:         116
        .size:           4
        .value_kind:     by_value
      - .offset:         120
        .size:           4
        .value_kind:     by_value
      - .offset:         128
        .size:           4
        .value_kind:     hidden_block_count_x
      - .offset:         132
        .size:           4
        .value_kind:     hidden_block_count_y
      - .offset:         136
        .size:           4
        .value_kind:     hidden_block_count_z
      - .offset:         140
        .size:           2
        .value_kind:     hidden_group_size_x
      - .offset:         142
        .size:           2
        .value_kind:     hidden_group_size_y
      - .offset:         144
        .size:           2
        .value_kind:     hidden_group_size_z
      - .offset:         146
        .size:           2
        .value_kind:     hidden_remainder_x
      - .offset:         148
        .size:           2
        .value_kind:     hidden_remainder_y
      - .offset:         150
        .size:           2
        .value_kind:     hidden_remainder_z
      - .offset:         168
        .size:           8
        .value_kind:     hidden_global_offset_x
      - .offset:         176
        .size:           8
        .value_kind:     hidden_global_offset_y
      - .offset:         184
        .size:           8
        .value_kind:     hidden_global_offset_z
      - .offset:         192
        .size:           2
        .value_kind:     hidden_grid_dims
      - .offset:         248
        .size:           4
        .value_kind:     hidden_dynamic_lds_size
    .group_segment_fixed_size: 1040
    .kernarg_segment_align: 8
    .kernarg_segment_size: 384
    .language:       OpenCL C
    .language_version:
      - 2
      - 0
    .max_flat_workgroup_size: 1024
    .name:           _ZN4vllm25paged_attention_v1_kernelIfhLi256ELi16ELi128ELNS_18Fp8KVCacheDataTypeE1ELb1EEEvPT_PKS2_PKT0_S8_ifPKiSA_iPKfiiiSC_SC_iiiii
    .private_segment_fixed_size: 0
    .sgpr_count:     54
    .sgpr_spill_count: 0
    .symbol:         _ZN4vllm25paged_attention_v1_kernelIfhLi256ELi16ELi128ELNS_18Fp8KVCacheDataTypeE1ELb1EEEvPT_PKS2_PKT0_S8_ifPKiSA_iPKfiiiSC_SC_iiiii.kd
    .uniform_work_group_size: 1
    .uses_dynamic_stack: false
    .vgpr_count:     108
    .vgpr_spill_count: 0
    .wavefront_size: 64
  - .agpr_count:     0
    .args:
      - .actual_access:  write_only
        .address_space:  global
        .offset:         0
        .size:           8
        .value_kind:     global_buffer
      - .actual_access:  read_only
        .address_space:  global
        .offset:         8
        .size:           8
        .value_kind:     global_buffer
      - .actual_access:  read_only
        .address_space:  global
        .offset:         16
        .size:           8
        .value_kind:     global_buffer
      - .actual_access:  read_only
        .address_space:  global
        .offset:         24
        .size:           8
        .value_kind:     global_buffer
      - .offset:         32
        .size:           4
        .value_kind:     by_value
      - .offset:         36
        .size:           4
        .value_kind:     by_value
      - .actual_access:  read_only
        .address_space:  global
        .offset:         40
        .size:           8
        .value_kind:     global_buffer
      - .actual_access:  read_only
        .address_space:  global
        .offset:         48
        .size:           8
        .value_kind:     global_buffer
      - .offset:         56
        .size:           4
        .value_kind:     by_value
      - .actual_access:  read_only
        .address_space:  global
        .offset:         64
        .size:           8
        .value_kind:     global_buffer
      - .offset:         72
        .size:           4
        .value_kind:     by_value
      - .offset:         76
        .size:           4
        .value_kind:     by_value
      - .offset:         80
        .size:           4
        .value_kind:     by_value
      - .address_space:  global
        .offset:         88
        .size:           8
        .value_kind:     global_buffer
      - .address_space:  global
        .offset:         96
        .size:           8
        .value_kind:     global_buffer
      - .offset:         104
        .size:           4
        .value_kind:     by_value
      - .offset:         108
        .size:           4
        .value_kind:     by_value
      - .offset:         112
        .size:           4
        .value_kind:     by_value
      - .offset:         116
        .size:           4
        .value_kind:     by_value
      - .offset:         120
        .size:           4
        .value_kind:     by_value
      - .offset:         128
        .size:           4
        .value_kind:     hidden_block_count_x
      - .offset:         132
        .size:           4
        .value_kind:     hidden_block_count_y
      - .offset:         136
        .size:           4
        .value_kind:     hidden_block_count_z
      - .offset:         140
        .size:           2
        .value_kind:     hidden_group_size_x
      - .offset:         142
        .size:           2
        .value_kind:     hidden_group_size_y
      - .offset:         144
        .size:           2
        .value_kind:     hidden_group_size_z
      - .offset:         146
        .size:           2
        .value_kind:     hidden_remainder_x
      - .offset:         148
        .size:           2
        .value_kind:     hidden_remainder_y
      - .offset:         150
        .size:           2
        .value_kind:     hidden_remainder_z
      - .offset:         168
        .size:           8
        .value_kind:     hidden_global_offset_x
      - .offset:         176
        .size:           8
        .value_kind:     hidden_global_offset_y
      - .offset:         184
        .size:           8
        .value_kind:     hidden_global_offset_z
      - .offset:         192
        .size:           2
        .value_kind:     hidden_grid_dims
      - .offset:         248
        .size:           4
        .value_kind:     hidden_dynamic_lds_size
    .group_segment_fixed_size: 144
    .kernarg_segment_align: 8
    .kernarg_segment_size: 384
    .language:       OpenCL C
    .language_version:
      - 2
      - 0
    .max_flat_workgroup_size: 1024
    .name:           _ZN4vllm25paged_attention_v1_kernelIfhLi32ELi16ELi128ELNS_18Fp8KVCacheDataTypeE1ELb0EEEvPT_PKS2_PKT0_S8_ifPKiSA_iPKfiiiSC_SC_iiiii
    .private_segment_fixed_size: 0
    .sgpr_count:     43
    .sgpr_spill_count: 0
    .symbol:         _ZN4vllm25paged_attention_v1_kernelIfhLi32ELi16ELi128ELNS_18Fp8KVCacheDataTypeE1ELb0EEEvPT_PKS2_PKT0_S8_ifPKiSA_iPKfiiiSC_SC_iiiii.kd
    .uniform_work_group_size: 1
    .uses_dynamic_stack: false
    .vgpr_count:     38
    .vgpr_spill_count: 0
    .wavefront_size: 64
  - .agpr_count:     0
    .args:
      - .actual_access:  write_only
        .address_space:  global
        .offset:         0
        .size:           8
        .value_kind:     global_buffer
      - .actual_access:  read_only
        .address_space:  global
        .offset:         8
        .size:           8
        .value_kind:     global_buffer
      - .actual_access:  read_only
        .address_space:  global
        .offset:         16
        .size:           8
        .value_kind:     global_buffer
      - .actual_access:  read_only
        .address_space:  global
        .offset:         24
        .size:           8
        .value_kind:     global_buffer
      - .offset:         32
        .size:           4
        .value_kind:     by_value
      - .offset:         36
        .size:           4
        .value_kind:     by_value
      - .actual_access:  read_only
        .address_space:  global
        .offset:         40
        .size:           8
        .value_kind:     global_buffer
      - .actual_access:  read_only
        .address_space:  global
        .offset:         48
        .size:           8
        .value_kind:     global_buffer
      - .offset:         56
        .size:           4
        .value_kind:     by_value
      - .actual_access:  read_only
        .address_space:  global
        .offset:         64
        .size:           8
        .value_kind:     global_buffer
      - .offset:         72
        .size:           4
        .value_kind:     by_value
      - .offset:         76
        .size:           4
        .value_kind:     by_value
      - .offset:         80
        .size:           4
        .value_kind:     by_value
      - .address_space:  global
        .offset:         88
        .size:           8
        .value_kind:     global_buffer
      - .address_space:  global
        .offset:         96
        .size:           8
        .value_kind:     global_buffer
      - .offset:         104
        .size:           4
        .value_kind:     by_value
      - .offset:         108
        .size:           4
        .value_kind:     by_value
      - .offset:         112
        .size:           4
        .value_kind:     by_value
      - .offset:         116
        .size:           4
        .value_kind:     by_value
      - .offset:         120
        .size:           4
        .value_kind:     by_value
      - .offset:         128
        .size:           4
        .value_kind:     hidden_block_count_x
      - .offset:         132
        .size:           4
        .value_kind:     hidden_block_count_y
      - .offset:         136
        .size:           4
        .value_kind:     hidden_block_count_z
      - .offset:         140
        .size:           2
        .value_kind:     hidden_group_size_x
      - .offset:         142
        .size:           2
        .value_kind:     hidden_group_size_y
      - .offset:         144
        .size:           2
        .value_kind:     hidden_group_size_z
      - .offset:         146
        .size:           2
        .value_kind:     hidden_remainder_x
      - .offset:         148
        .size:           2
        .value_kind:     hidden_remainder_y
      - .offset:         150
        .size:           2
        .value_kind:     hidden_remainder_z
      - .offset:         168
        .size:           8
        .value_kind:     hidden_global_offset_x
      - .offset:         176
        .size:           8
        .value_kind:     hidden_global_offset_y
      - .offset:         184
        .size:           8
        .value_kind:     hidden_global_offset_z
      - .offset:         192
        .size:           2
        .value_kind:     hidden_grid_dims
      - .offset:         248
        .size:           4
        .value_kind:     hidden_dynamic_lds_size
    .group_segment_fixed_size: 272
    .kernarg_segment_align: 8
    .kernarg_segment_size: 384
    .language:       OpenCL C
    .language_version:
      - 2
      - 0
    .max_flat_workgroup_size: 1024
    .name:           _ZN4vllm25paged_attention_v1_kernelIfhLi64ELi16ELi128ELNS_18Fp8KVCacheDataTypeE1ELb0EEEvPT_PKS2_PKT0_S8_ifPKiSA_iPKfiiiSC_SC_iiiii
    .private_segment_fixed_size: 0
    .sgpr_count:     45
    .sgpr_spill_count: 0
    .symbol:         _ZN4vllm25paged_attention_v1_kernelIfhLi64ELi16ELi128ELNS_18Fp8KVCacheDataTypeE1ELb0EEEvPT_PKS2_PKT0_S8_ifPKiSA_iPKfiiiSC_SC_iiiii.kd
    .uniform_work_group_size: 1
    .uses_dynamic_stack: false
    .vgpr_count:     53
    .vgpr_spill_count: 0
    .wavefront_size: 64
  - .agpr_count:     0
    .args:
      - .actual_access:  write_only
        .address_space:  global
        .offset:         0
        .size:           8
        .value_kind:     global_buffer
      - .actual_access:  read_only
        .address_space:  global
        .offset:         8
        .size:           8
        .value_kind:     global_buffer
      - .actual_access:  read_only
        .address_space:  global
        .offset:         16
        .size:           8
        .value_kind:     global_buffer
      - .actual_access:  read_only
        .address_space:  global
        .offset:         24
        .size:           8
        .value_kind:     global_buffer
      - .offset:         32
        .size:           4
        .value_kind:     by_value
      - .offset:         36
        .size:           4
        .value_kind:     by_value
      - .actual_access:  read_only
        .address_space:  global
        .offset:         40
        .size:           8
        .value_kind:     global_buffer
      - .actual_access:  read_only
        .address_space:  global
        .offset:         48
        .size:           8
        .value_kind:     global_buffer
      - .offset:         56
        .size:           4
        .value_kind:     by_value
      - .actual_access:  read_only
        .address_space:  global
        .offset:         64
        .size:           8
        .value_kind:     global_buffer
      - .offset:         72
        .size:           4
        .value_kind:     by_value
      - .offset:         76
        .size:           4
        .value_kind:     by_value
      - .offset:         80
        .size:           4
        .value_kind:     by_value
      - .address_space:  global
        .offset:         88
        .size:           8
        .value_kind:     global_buffer
      - .address_space:  global
        .offset:         96
        .size:           8
        .value_kind:     global_buffer
      - .offset:         104
        .size:           4
        .value_kind:     by_value
      - .offset:         108
        .size:           4
        .value_kind:     by_value
      - .offset:         112
        .size:           4
        .value_kind:     by_value
      - .offset:         116
        .size:           4
        .value_kind:     by_value
      - .offset:         120
        .size:           4
        .value_kind:     by_value
      - .offset:         128
        .size:           4
        .value_kind:     hidden_block_count_x
      - .offset:         132
        .size:           4
        .value_kind:     hidden_block_count_y
      - .offset:         136
        .size:           4
        .value_kind:     hidden_block_count_z
      - .offset:         140
        .size:           2
        .value_kind:     hidden_group_size_x
      - .offset:         142
        .size:           2
        .value_kind:     hidden_group_size_y
      - .offset:         144
        .size:           2
        .value_kind:     hidden_group_size_z
      - .offset:         146
        .size:           2
        .value_kind:     hidden_remainder_x
      - .offset:         148
        .size:           2
        .value_kind:     hidden_remainder_y
      - .offset:         150
        .size:           2
        .value_kind:     hidden_remainder_z
      - .offset:         168
        .size:           8
        .value_kind:     hidden_global_offset_x
      - .offset:         176
        .size:           8
        .value_kind:     hidden_global_offset_y
      - .offset:         184
        .size:           8
        .value_kind:     hidden_global_offset_z
      - .offset:         192
        .size:           2
        .value_kind:     hidden_grid_dims
      - .offset:         248
        .size:           4
        .value_kind:     hidden_dynamic_lds_size
    .group_segment_fixed_size: 336
    .kernarg_segment_align: 8
    .kernarg_segment_size: 384
    .language:       OpenCL C
    .language_version:
      - 2
      - 0
    .max_flat_workgroup_size: 1024
    .name:           _ZN4vllm25paged_attention_v1_kernelIfhLi80ELi16ELi128ELNS_18Fp8KVCacheDataTypeE1ELb0EEEvPT_PKS2_PKT0_S8_ifPKiSA_iPKfiiiSC_SC_iiiii
    .private_segment_fixed_size: 0
    .sgpr_count:     43
    .sgpr_spill_count: 0
    .symbol:         _ZN4vllm25paged_attention_v1_kernelIfhLi80ELi16ELi128ELNS_18Fp8KVCacheDataTypeE1ELb0EEEvPT_PKS2_PKT0_S8_ifPKiSA_iPKfiiiSC_SC_iiiii.kd
    .uniform_work_group_size: 1
    .uses_dynamic_stack: false
    .vgpr_count:     62
    .vgpr_spill_count: 0
    .wavefront_size: 64
  - .agpr_count:     0
    .args:
      - .actual_access:  write_only
        .address_space:  global
        .offset:         0
        .size:           8
        .value_kind:     global_buffer
      - .actual_access:  read_only
        .address_space:  global
        .offset:         8
        .size:           8
        .value_kind:     global_buffer
      - .actual_access:  read_only
        .address_space:  global
        .offset:         16
        .size:           8
        .value_kind:     global_buffer
      - .actual_access:  read_only
        .address_space:  global
        .offset:         24
        .size:           8
        .value_kind:     global_buffer
      - .offset:         32
        .size:           4
        .value_kind:     by_value
      - .offset:         36
        .size:           4
        .value_kind:     by_value
      - .actual_access:  read_only
        .address_space:  global
        .offset:         40
        .size:           8
        .value_kind:     global_buffer
      - .actual_access:  read_only
        .address_space:  global
        .offset:         48
        .size:           8
        .value_kind:     global_buffer
      - .offset:         56
        .size:           4
        .value_kind:     by_value
      - .actual_access:  read_only
        .address_space:  global
        .offset:         64
        .size:           8
        .value_kind:     global_buffer
      - .offset:         72
        .size:           4
        .value_kind:     by_value
      - .offset:         76
        .size:           4
        .value_kind:     by_value
      - .offset:         80
        .size:           4
        .value_kind:     by_value
      - .address_space:  global
        .offset:         88
        .size:           8
        .value_kind:     global_buffer
      - .address_space:  global
        .offset:         96
        .size:           8
        .value_kind:     global_buffer
      - .offset:         104
        .size:           4
        .value_kind:     by_value
      - .offset:         108
        .size:           4
        .value_kind:     by_value
      - .offset:         112
        .size:           4
        .value_kind:     by_value
      - .offset:         116
        .size:           4
        .value_kind:     by_value
      - .offset:         120
        .size:           4
        .value_kind:     by_value
      - .offset:         128
        .size:           4
        .value_kind:     hidden_block_count_x
      - .offset:         132
        .size:           4
        .value_kind:     hidden_block_count_y
      - .offset:         136
        .size:           4
        .value_kind:     hidden_block_count_z
      - .offset:         140
        .size:           2
        .value_kind:     hidden_group_size_x
      - .offset:         142
        .size:           2
        .value_kind:     hidden_group_size_y
      - .offset:         144
        .size:           2
        .value_kind:     hidden_group_size_z
      - .offset:         146
        .size:           2
        .value_kind:     hidden_remainder_x
      - .offset:         148
        .size:           2
        .value_kind:     hidden_remainder_y
      - .offset:         150
        .size:           2
        .value_kind:     hidden_remainder_z
      - .offset:         168
        .size:           8
        .value_kind:     hidden_global_offset_x
      - .offset:         176
        .size:           8
        .value_kind:     hidden_global_offset_y
      - .offset:         184
        .size:           8
        .value_kind:     hidden_global_offset_z
      - .offset:         192
        .size:           2
        .value_kind:     hidden_grid_dims
      - .offset:         248
        .size:           4
        .value_kind:     hidden_dynamic_lds_size
    .group_segment_fixed_size: 400
    .kernarg_segment_align: 8
    .kernarg_segment_size: 384
    .language:       OpenCL C
    .language_version:
      - 2
      - 0
    .max_flat_workgroup_size: 1024
    .name:           _ZN4vllm25paged_attention_v1_kernelIfhLi96ELi16ELi128ELNS_18Fp8KVCacheDataTypeE1ELb0EEEvPT_PKS2_PKT0_S8_ifPKiSA_iPKfiiiSC_SC_iiiii
    .private_segment_fixed_size: 0
    .sgpr_count:     43
    .sgpr_spill_count: 0
    .symbol:         _ZN4vllm25paged_attention_v1_kernelIfhLi96ELi16ELi128ELNS_18Fp8KVCacheDataTypeE1ELb0EEEvPT_PKS2_PKT0_S8_ifPKiSA_iPKfiiiSC_SC_iiiii.kd
    .uniform_work_group_size: 1
    .uses_dynamic_stack: false
    .vgpr_count:     69
    .vgpr_spill_count: 0
    .wavefront_size: 64
  - .agpr_count:     0
    .args:
      - .actual_access:  write_only
        .address_space:  global
        .offset:         0
        .size:           8
        .value_kind:     global_buffer
      - .actual_access:  read_only
        .address_space:  global
        .offset:         8
        .size:           8
        .value_kind:     global_buffer
      - .actual_access:  read_only
        .address_space:  global
        .offset:         16
        .size:           8
        .value_kind:     global_buffer
      - .actual_access:  read_only
        .address_space:  global
        .offset:         24
        .size:           8
        .value_kind:     global_buffer
      - .offset:         32
        .size:           4
        .value_kind:     by_value
      - .offset:         36
        .size:           4
        .value_kind:     by_value
      - .actual_access:  read_only
        .address_space:  global
        .offset:         40
        .size:           8
        .value_kind:     global_buffer
      - .actual_access:  read_only
        .address_space:  global
        .offset:         48
        .size:           8
        .value_kind:     global_buffer
      - .offset:         56
        .size:           4
        .value_kind:     by_value
      - .actual_access:  read_only
        .address_space:  global
        .offset:         64
        .size:           8
        .value_kind:     global_buffer
      - .offset:         72
        .size:           4
        .value_kind:     by_value
      - .offset:         76
        .size:           4
        .value_kind:     by_value
      - .offset:         80
        .size:           4
        .value_kind:     by_value
      - .address_space:  global
        .offset:         88
        .size:           8
        .value_kind:     global_buffer
      - .address_space:  global
        .offset:         96
        .size:           8
        .value_kind:     global_buffer
      - .offset:         104
        .size:           4
        .value_kind:     by_value
      - .offset:         108
        .size:           4
        .value_kind:     by_value
      - .offset:         112
        .size:           4
        .value_kind:     by_value
      - .offset:         116
        .size:           4
        .value_kind:     by_value
      - .offset:         120
        .size:           4
        .value_kind:     by_value
      - .offset:         128
        .size:           4
        .value_kind:     hidden_block_count_x
      - .offset:         132
        .size:           4
        .value_kind:     hidden_block_count_y
      - .offset:         136
        .size:           4
        .value_kind:     hidden_block_count_z
      - .offset:         140
        .size:           2
        .value_kind:     hidden_group_size_x
      - .offset:         142
        .size:           2
        .value_kind:     hidden_group_size_y
      - .offset:         144
        .size:           2
        .value_kind:     hidden_group_size_z
      - .offset:         146
        .size:           2
        .value_kind:     hidden_remainder_x
      - .offset:         148
        .size:           2
        .value_kind:     hidden_remainder_y
      - .offset:         150
        .size:           2
        .value_kind:     hidden_remainder_z
      - .offset:         168
        .size:           8
        .value_kind:     hidden_global_offset_x
      - .offset:         176
        .size:           8
        .value_kind:     hidden_global_offset_y
      - .offset:         184
        .size:           8
        .value_kind:     hidden_global_offset_z
      - .offset:         192
        .size:           2
        .value_kind:     hidden_grid_dims
      - .offset:         248
        .size:           4
        .value_kind:     hidden_dynamic_lds_size
    .group_segment_fixed_size: 464
    .kernarg_segment_align: 8
    .kernarg_segment_size: 384
    .language:       OpenCL C
    .language_version:
      - 2
      - 0
    .max_flat_workgroup_size: 1024
    .name:           _ZN4vllm25paged_attention_v1_kernelIfhLi112ELi16ELi128ELNS_18Fp8KVCacheDataTypeE1ELb0EEEvPT_PKS2_PKT0_S8_ifPKiSA_iPKfiiiSC_SC_iiiii
    .private_segment_fixed_size: 0
    .sgpr_count:     43
    .sgpr_spill_count: 0
    .symbol:         _ZN4vllm25paged_attention_v1_kernelIfhLi112ELi16ELi128ELNS_18Fp8KVCacheDataTypeE1ELb0EEEvPT_PKS2_PKT0_S8_ifPKiSA_iPKfiiiSC_SC_iiiii.kd
    .uniform_work_group_size: 1
    .uses_dynamic_stack: false
    .vgpr_count:     77
    .vgpr_spill_count: 0
    .wavefront_size: 64
  - .agpr_count:     0
    .args:
      - .actual_access:  write_only
        .address_space:  global
        .offset:         0
        .size:           8
        .value_kind:     global_buffer
      - .actual_access:  read_only
        .address_space:  global
        .offset:         8
        .size:           8
        .value_kind:     global_buffer
      - .actual_access:  read_only
        .address_space:  global
        .offset:         16
        .size:           8
        .value_kind:     global_buffer
      - .actual_access:  read_only
        .address_space:  global
        .offset:         24
        .size:           8
        .value_kind:     global_buffer
      - .offset:         32
        .size:           4
        .value_kind:     by_value
      - .offset:         36
        .size:           4
        .value_kind:     by_value
      - .actual_access:  read_only
        .address_space:  global
        .offset:         40
        .size:           8
        .value_kind:     global_buffer
      - .actual_access:  read_only
        .address_space:  global
        .offset:         48
        .size:           8
        .value_kind:     global_buffer
      - .offset:         56
        .size:           4
        .value_kind:     by_value
      - .actual_access:  read_only
        .address_space:  global
        .offset:         64
        .size:           8
        .value_kind:     global_buffer
      - .offset:         72
        .size:           4
        .value_kind:     by_value
      - .offset:         76
        .size:           4
        .value_kind:     by_value
      - .offset:         80
        .size:           4
        .value_kind:     by_value
      - .address_space:  global
        .offset:         88
        .size:           8
        .value_kind:     global_buffer
      - .address_space:  global
        .offset:         96
        .size:           8
        .value_kind:     global_buffer
      - .offset:         104
        .size:           4
        .value_kind:     by_value
      - .offset:         108
        .size:           4
        .value_kind:     by_value
      - .offset:         112
        .size:           4
        .value_kind:     by_value
      - .offset:         116
        .size:           4
        .value_kind:     by_value
      - .offset:         120
        .size:           4
        .value_kind:     by_value
      - .offset:         128
        .size:           4
        .value_kind:     hidden_block_count_x
      - .offset:         132
        .size:           4
        .value_kind:     hidden_block_count_y
      - .offset:         136
        .size:           4
        .value_kind:     hidden_block_count_z
      - .offset:         140
        .size:           2
        .value_kind:     hidden_group_size_x
      - .offset:         142
        .size:           2
        .value_kind:     hidden_group_size_y
      - .offset:         144
        .size:           2
        .value_kind:     hidden_group_size_z
      - .offset:         146
        .size:           2
        .value_kind:     hidden_remainder_x
      - .offset:         148
        .size:           2
        .value_kind:     hidden_remainder_y
      - .offset:         150
        .size:           2
        .value_kind:     hidden_remainder_z
      - .offset:         168
        .size:           8
        .value_kind:     hidden_global_offset_x
      - .offset:         176
        .size:           8
        .value_kind:     hidden_global_offset_y
      - .offset:         184
        .size:           8
        .value_kind:     hidden_global_offset_z
      - .offset:         192
        .size:           2
        .value_kind:     hidden_grid_dims
      - .offset:         248
        .size:           4
        .value_kind:     hidden_dynamic_lds_size
    .group_segment_fixed_size: 496
    .kernarg_segment_align: 8
    .kernarg_segment_size: 384
    .language:       OpenCL C
    .language_version:
      - 2
      - 0
    .max_flat_workgroup_size: 1024
    .name:           _ZN4vllm25paged_attention_v1_kernelIfhLi120ELi16ELi128ELNS_18Fp8KVCacheDataTypeE1ELb0EEEvPT_PKS2_PKT0_S8_ifPKiSA_iPKfiiiSC_SC_iiiii
    .private_segment_fixed_size: 0
    .sgpr_count:     43
    .sgpr_spill_count: 0
    .symbol:         _ZN4vllm25paged_attention_v1_kernelIfhLi120ELi16ELi128ELNS_18Fp8KVCacheDataTypeE1ELb0EEEvPT_PKS2_PKT0_S8_ifPKiSA_iPKfiiiSC_SC_iiiii.kd
    .uniform_work_group_size: 1
    .uses_dynamic_stack: false
    .vgpr_count:     81
    .vgpr_spill_count: 0
    .wavefront_size: 64
  - .agpr_count:     0
    .args:
      - .actual_access:  write_only
        .address_space:  global
        .offset:         0
        .size:           8
        .value_kind:     global_buffer
      - .actual_access:  read_only
        .address_space:  global
        .offset:         8
        .size:           8
        .value_kind:     global_buffer
      - .actual_access:  read_only
        .address_space:  global
        .offset:         16
        .size:           8
        .value_kind:     global_buffer
      - .actual_access:  read_only
        .address_space:  global
        .offset:         24
        .size:           8
        .value_kind:     global_buffer
      - .offset:         32
        .size:           4
        .value_kind:     by_value
      - .offset:         36
        .size:           4
        .value_kind:     by_value
      - .actual_access:  read_only
        .address_space:  global
        .offset:         40
        .size:           8
        .value_kind:     global_buffer
      - .actual_access:  read_only
        .address_space:  global
        .offset:         48
        .size:           8
        .value_kind:     global_buffer
      - .offset:         56
        .size:           4
        .value_kind:     by_value
      - .actual_access:  read_only
        .address_space:  global
        .offset:         64
        .size:           8
        .value_kind:     global_buffer
      - .offset:         72
        .size:           4
        .value_kind:     by_value
      - .offset:         76
        .size:           4
        .value_kind:     by_value
      - .offset:         80
        .size:           4
        .value_kind:     by_value
      - .address_space:  global
        .offset:         88
        .size:           8
        .value_kind:     global_buffer
      - .address_space:  global
        .offset:         96
        .size:           8
        .value_kind:     global_buffer
      - .offset:         104
        .size:           4
        .value_kind:     by_value
      - .offset:         108
        .size:           4
        .value_kind:     by_value
      - .offset:         112
        .size:           4
        .value_kind:     by_value
      - .offset:         116
        .size:           4
        .value_kind:     by_value
      - .offset:         120
        .size:           4
        .value_kind:     by_value
      - .offset:         128
        .size:           4
        .value_kind:     hidden_block_count_x
      - .offset:         132
        .size:           4
        .value_kind:     hidden_block_count_y
      - .offset:         136
        .size:           4
        .value_kind:     hidden_block_count_z
      - .offset:         140
        .size:           2
        .value_kind:     hidden_group_size_x
      - .offset:         142
        .size:           2
        .value_kind:     hidden_group_size_y
      - .offset:         144
        .size:           2
        .value_kind:     hidden_group_size_z
      - .offset:         146
        .size:           2
        .value_kind:     hidden_remainder_x
      - .offset:         148
        .size:           2
        .value_kind:     hidden_remainder_y
      - .offset:         150
        .size:           2
        .value_kind:     hidden_remainder_z
      - .offset:         168
        .size:           8
        .value_kind:     hidden_global_offset_x
      - .offset:         176
        .size:           8
        .value_kind:     hidden_global_offset_y
      - .offset:         184
        .size:           8
        .value_kind:     hidden_global_offset_z
      - .offset:         192
        .size:           2
        .value_kind:     hidden_grid_dims
      - .offset:         248
        .size:           4
        .value_kind:     hidden_dynamic_lds_size
    .group_segment_fixed_size: 528
    .kernarg_segment_align: 8
    .kernarg_segment_size: 384
    .language:       OpenCL C
    .language_version:
      - 2
      - 0
    .max_flat_workgroup_size: 1024
    .name:           _ZN4vllm25paged_attention_v1_kernelIfhLi128ELi16ELi128ELNS_18Fp8KVCacheDataTypeE1ELb0EEEvPT_PKS2_PKT0_S8_ifPKiSA_iPKfiiiSC_SC_iiiii
    .private_segment_fixed_size: 0
    .sgpr_count:     43
    .sgpr_spill_count: 0
    .symbol:         _ZN4vllm25paged_attention_v1_kernelIfhLi128ELi16ELi128ELNS_18Fp8KVCacheDataTypeE1ELb0EEEvPT_PKS2_PKT0_S8_ifPKiSA_iPKfiiiSC_SC_iiiii.kd
    .uniform_work_group_size: 1
    .uses_dynamic_stack: false
    .vgpr_count:     85
    .vgpr_spill_count: 0
    .wavefront_size: 64
  - .agpr_count:     0
    .args:
      - .actual_access:  write_only
        .address_space:  global
        .offset:         0
        .size:           8
        .value_kind:     global_buffer
      - .actual_access:  read_only
        .address_space:  global
        .offset:         8
        .size:           8
        .value_kind:     global_buffer
      - .actual_access:  read_only
        .address_space:  global
        .offset:         16
        .size:           8
        .value_kind:     global_buffer
      - .actual_access:  read_only
        .address_space:  global
        .offset:         24
        .size:           8
        .value_kind:     global_buffer
      - .offset:         32
        .size:           4
        .value_kind:     by_value
      - .offset:         36
        .size:           4
        .value_kind:     by_value
      - .actual_access:  read_only
        .address_space:  global
        .offset:         40
        .size:           8
        .value_kind:     global_buffer
      - .actual_access:  read_only
        .address_space:  global
        .offset:         48
        .size:           8
        .value_kind:     global_buffer
      - .offset:         56
        .size:           4
        .value_kind:     by_value
      - .actual_access:  read_only
        .address_space:  global
        .offset:         64
        .size:           8
        .value_kind:     global_buffer
      - .offset:         72
        .size:           4
        .value_kind:     by_value
      - .offset:         76
        .size:           4
        .value_kind:     by_value
      - .offset:         80
        .size:           4
        .value_kind:     by_value
      - .address_space:  global
        .offset:         88
        .size:           8
        .value_kind:     global_buffer
      - .address_space:  global
        .offset:         96
        .size:           8
        .value_kind:     global_buffer
      - .offset:         104
        .size:           4
        .value_kind:     by_value
      - .offset:         108
        .size:           4
        .value_kind:     by_value
      - .offset:         112
        .size:           4
        .value_kind:     by_value
      - .offset:         116
        .size:           4
        .value_kind:     by_value
      - .offset:         120
        .size:           4
        .value_kind:     by_value
      - .offset:         128
        .size:           4
        .value_kind:     hidden_block_count_x
      - .offset:         132
        .size:           4
        .value_kind:     hidden_block_count_y
      - .offset:         136
        .size:           4
        .value_kind:     hidden_block_count_z
      - .offset:         140
        .size:           2
        .value_kind:     hidden_group_size_x
      - .offset:         142
        .size:           2
        .value_kind:     hidden_group_size_y
      - .offset:         144
        .size:           2
        .value_kind:     hidden_group_size_z
      - .offset:         146
        .size:           2
        .value_kind:     hidden_remainder_x
      - .offset:         148
        .size:           2
        .value_kind:     hidden_remainder_y
      - .offset:         150
        .size:           2
        .value_kind:     hidden_remainder_z
      - .offset:         168
        .size:           8
        .value_kind:     hidden_global_offset_x
      - .offset:         176
        .size:           8
        .value_kind:     hidden_global_offset_y
      - .offset:         184
        .size:           8
        .value_kind:     hidden_global_offset_z
      - .offset:         192
        .size:           2
        .value_kind:     hidden_grid_dims
      - .offset:         248
        .size:           4
        .value_kind:     hidden_dynamic_lds_size
    .group_segment_fixed_size: 784
    .kernarg_segment_align: 8
    .kernarg_segment_size: 384
    .language:       OpenCL C
    .language_version:
      - 2
      - 0
    .max_flat_workgroup_size: 1024
    .name:           _ZN4vllm25paged_attention_v1_kernelIfhLi192ELi16ELi128ELNS_18Fp8KVCacheDataTypeE1ELb0EEEvPT_PKS2_PKT0_S8_ifPKiSA_iPKfiiiSC_SC_iiiii
    .private_segment_fixed_size: 0
    .sgpr_count:     44
    .sgpr_spill_count: 0
    .symbol:         _ZN4vllm25paged_attention_v1_kernelIfhLi192ELi16ELi128ELNS_18Fp8KVCacheDataTypeE1ELb0EEEvPT_PKS2_PKT0_S8_ifPKiSA_iPKfiiiSC_SC_iiiii.kd
    .uniform_work_group_size: 1
    .uses_dynamic_stack: false
    .vgpr_count:     116
    .vgpr_spill_count: 0
    .wavefront_size: 64
  - .agpr_count:     0
    .args:
      - .actual_access:  write_only
        .address_space:  global
        .offset:         0
        .size:           8
        .value_kind:     global_buffer
      - .actual_access:  read_only
        .address_space:  global
        .offset:         8
        .size:           8
        .value_kind:     global_buffer
      - .actual_access:  read_only
        .address_space:  global
        .offset:         16
        .size:           8
        .value_kind:     global_buffer
      - .actual_access:  read_only
        .address_space:  global
        .offset:         24
        .size:           8
        .value_kind:     global_buffer
      - .offset:         32
        .size:           4
        .value_kind:     by_value
      - .offset:         36
        .size:           4
        .value_kind:     by_value
      - .actual_access:  read_only
        .address_space:  global
        .offset:         40
        .size:           8
        .value_kind:     global_buffer
      - .actual_access:  read_only
        .address_space:  global
        .offset:         48
        .size:           8
        .value_kind:     global_buffer
      - .offset:         56
        .size:           4
        .value_kind:     by_value
      - .actual_access:  read_only
        .address_space:  global
        .offset:         64
        .size:           8
        .value_kind:     global_buffer
      - .offset:         72
        .size:           4
        .value_kind:     by_value
      - .offset:         76
        .size:           4
        .value_kind:     by_value
      - .offset:         80
        .size:           4
        .value_kind:     by_value
      - .address_space:  global
        .offset:         88
        .size:           8
        .value_kind:     global_buffer
      - .address_space:  global
        .offset:         96
        .size:           8
        .value_kind:     global_buffer
      - .offset:         104
        .size:           4
        .value_kind:     by_value
      - .offset:         108
        .size:           4
        .value_kind:     by_value
      - .offset:         112
        .size:           4
        .value_kind:     by_value
      - .offset:         116
        .size:           4
        .value_kind:     by_value
      - .offset:         120
        .size:           4
        .value_kind:     by_value
      - .offset:         128
        .size:           4
        .value_kind:     hidden_block_count_x
      - .offset:         132
        .size:           4
        .value_kind:     hidden_block_count_y
      - .offset:         136
        .size:           4
        .value_kind:     hidden_block_count_z
      - .offset:         140
        .size:           2
        .value_kind:     hidden_group_size_x
      - .offset:         142
        .size:           2
        .value_kind:     hidden_group_size_y
      - .offset:         144
        .size:           2
        .value_kind:     hidden_group_size_z
      - .offset:         146
        .size:           2
        .value_kind:     hidden_remainder_x
      - .offset:         148
        .size:           2
        .value_kind:     hidden_remainder_y
      - .offset:         150
        .size:           2
        .value_kind:     hidden_remainder_z
      - .offset:         168
        .size:           8
        .value_kind:     hidden_global_offset_x
      - .offset:         176
        .size:           8
        .value_kind:     hidden_global_offset_y
      - .offset:         184
        .size:           8
        .value_kind:     hidden_global_offset_z
      - .offset:         192
        .size:           2
        .value_kind:     hidden_grid_dims
      - .offset:         248
        .size:           4
        .value_kind:     hidden_dynamic_lds_size
    .group_segment_fixed_size: 1040
    .kernarg_segment_align: 8
    .kernarg_segment_size: 384
    .language:       OpenCL C
    .language_version:
      - 2
      - 0
    .max_flat_workgroup_size: 1024
    .name:           _ZN4vllm25paged_attention_v1_kernelIfhLi256ELi16ELi128ELNS_18Fp8KVCacheDataTypeE1ELb0EEEvPT_PKS2_PKT0_S8_ifPKiSA_iPKfiiiSC_SC_iiiii
    .private_segment_fixed_size: 76
    .sgpr_count:     44
    .sgpr_spill_count: 0
    .symbol:         _ZN4vllm25paged_attention_v1_kernelIfhLi256ELi16ELi128ELNS_18Fp8KVCacheDataTypeE1ELb0EEEvPT_PKS2_PKT0_S8_ifPKiSA_iPKfiiiSC_SC_iiiii.kd
    .uniform_work_group_size: 1
    .uses_dynamic_stack: false
    .vgpr_count:     128
    .vgpr_spill_count: 21
    .wavefront_size: 64
  - .agpr_count:     0
    .args:
      - .actual_access:  write_only
        .address_space:  global
        .offset:         0
        .size:           8
        .value_kind:     global_buffer
      - .actual_access:  read_only
        .address_space:  global
        .offset:         8
        .size:           8
        .value_kind:     global_buffer
      - .actual_access:  read_only
        .address_space:  global
        .offset:         16
        .size:           8
        .value_kind:     global_buffer
      - .actual_access:  read_only
        .address_space:  global
        .offset:         24
        .size:           8
        .value_kind:     global_buffer
      - .offset:         32
        .size:           4
        .value_kind:     by_value
      - .offset:         36
        .size:           4
        .value_kind:     by_value
      - .actual_access:  read_only
        .address_space:  global
        .offset:         40
        .size:           8
        .value_kind:     global_buffer
      - .actual_access:  read_only
        .address_space:  global
        .offset:         48
        .size:           8
        .value_kind:     global_buffer
      - .offset:         56
        .size:           4
        .value_kind:     by_value
      - .actual_access:  read_only
        .address_space:  global
        .offset:         64
        .size:           8
        .value_kind:     global_buffer
      - .offset:         72
        .size:           4
        .value_kind:     by_value
      - .offset:         76
        .size:           4
        .value_kind:     by_value
      - .offset:         80
        .size:           4
        .value_kind:     by_value
      - .address_space:  global
        .offset:         88
        .size:           8
        .value_kind:     global_buffer
      - .address_space:  global
        .offset:         96
        .size:           8
        .value_kind:     global_buffer
      - .offset:         104
        .size:           4
        .value_kind:     by_value
      - .offset:         108
        .size:           4
        .value_kind:     by_value
      - .offset:         112
        .size:           4
        .value_kind:     by_value
      - .offset:         116
        .size:           4
        .value_kind:     by_value
      - .offset:         120
        .size:           4
        .value_kind:     by_value
      - .offset:         128
        .size:           4
        .value_kind:     hidden_block_count_x
      - .offset:         132
        .size:           4
        .value_kind:     hidden_block_count_y
      - .offset:         136
        .size:           4
        .value_kind:     hidden_block_count_z
      - .offset:         140
        .size:           2
        .value_kind:     hidden_group_size_x
      - .offset:         142
        .size:           2
        .value_kind:     hidden_group_size_y
      - .offset:         144
        .size:           2
        .value_kind:     hidden_group_size_z
      - .offset:         146
        .size:           2
        .value_kind:     hidden_remainder_x
      - .offset:         148
        .size:           2
        .value_kind:     hidden_remainder_y
      - .offset:         150
        .size:           2
        .value_kind:     hidden_remainder_z
      - .offset:         168
        .size:           8
        .value_kind:     hidden_global_offset_x
      - .offset:         176
        .size:           8
        .value_kind:     hidden_global_offset_y
      - .offset:         184
        .size:           8
        .value_kind:     hidden_global_offset_z
      - .offset:         192
        .size:           2
        .value_kind:     hidden_grid_dims
      - .offset:         248
        .size:           4
        .value_kind:     hidden_dynamic_lds_size
    .group_segment_fixed_size: 144
    .kernarg_segment_align: 8
    .kernarg_segment_size: 384
    .language:       OpenCL C
    .language_version:
      - 2
      - 0
    .max_flat_workgroup_size: 1024
    .name:           _ZN4vllm25paged_attention_v1_kernelIfhLi32ELi32ELi128ELNS_18Fp8KVCacheDataTypeE1ELb1EEEvPT_PKS2_PKT0_S8_ifPKiSA_iPKfiiiSC_SC_iiiii
    .private_segment_fixed_size: 0
    .sgpr_count:     54
    .sgpr_spill_count: 0
    .symbol:         _ZN4vllm25paged_attention_v1_kernelIfhLi32ELi32ELi128ELNS_18Fp8KVCacheDataTypeE1ELb1EEEvPT_PKS2_PKT0_S8_ifPKiSA_iPKfiiiSC_SC_iiiii.kd
    .uniform_work_group_size: 1
    .uses_dynamic_stack: false
    .vgpr_count:     59
    .vgpr_spill_count: 0
    .wavefront_size: 64
  - .agpr_count:     0
    .args:
      - .actual_access:  write_only
        .address_space:  global
        .offset:         0
        .size:           8
        .value_kind:     global_buffer
      - .actual_access:  read_only
        .address_space:  global
        .offset:         8
        .size:           8
        .value_kind:     global_buffer
      - .actual_access:  read_only
        .address_space:  global
        .offset:         16
        .size:           8
        .value_kind:     global_buffer
      - .actual_access:  read_only
        .address_space:  global
        .offset:         24
        .size:           8
        .value_kind:     global_buffer
      - .offset:         32
        .size:           4
        .value_kind:     by_value
      - .offset:         36
        .size:           4
        .value_kind:     by_value
      - .actual_access:  read_only
        .address_space:  global
        .offset:         40
        .size:           8
        .value_kind:     global_buffer
      - .actual_access:  read_only
        .address_space:  global
        .offset:         48
        .size:           8
        .value_kind:     global_buffer
      - .offset:         56
        .size:           4
        .value_kind:     by_value
      - .actual_access:  read_only
        .address_space:  global
        .offset:         64
        .size:           8
        .value_kind:     global_buffer
      - .offset:         72
        .size:           4
        .value_kind:     by_value
      - .offset:         76
        .size:           4
        .value_kind:     by_value
      - .offset:         80
        .size:           4
        .value_kind:     by_value
      - .address_space:  global
        .offset:         88
        .size:           8
        .value_kind:     global_buffer
      - .address_space:  global
        .offset:         96
        .size:           8
        .value_kind:     global_buffer
      - .offset:         104
        .size:           4
        .value_kind:     by_value
      - .offset:         108
        .size:           4
        .value_kind:     by_value
      - .offset:         112
        .size:           4
        .value_kind:     by_value
      - .offset:         116
        .size:           4
        .value_kind:     by_value
      - .offset:         120
        .size:           4
        .value_kind:     by_value
      - .offset:         128
        .size:           4
        .value_kind:     hidden_block_count_x
      - .offset:         132
        .size:           4
        .value_kind:     hidden_block_count_y
      - .offset:         136
        .size:           4
        .value_kind:     hidden_block_count_z
      - .offset:         140
        .size:           2
        .value_kind:     hidden_group_size_x
      - .offset:         142
        .size:           2
        .value_kind:     hidden_group_size_y
      - .offset:         144
        .size:           2
        .value_kind:     hidden_group_size_z
      - .offset:         146
        .size:           2
        .value_kind:     hidden_remainder_x
      - .offset:         148
        .size:           2
        .value_kind:     hidden_remainder_y
      - .offset:         150
        .size:           2
        .value_kind:     hidden_remainder_z
      - .offset:         168
        .size:           8
        .value_kind:     hidden_global_offset_x
      - .offset:         176
        .size:           8
        .value_kind:     hidden_global_offset_y
      - .offset:         184
        .size:           8
        .value_kind:     hidden_global_offset_z
      - .offset:         192
        .size:           2
        .value_kind:     hidden_grid_dims
      - .offset:         248
        .size:           4
        .value_kind:     hidden_dynamic_lds_size
    .group_segment_fixed_size: 272
    .kernarg_segment_align: 8
    .kernarg_segment_size: 384
    .language:       OpenCL C
    .language_version:
      - 2
      - 0
    .max_flat_workgroup_size: 1024
    .name:           _ZN4vllm25paged_attention_v1_kernelIfhLi64ELi32ELi128ELNS_18Fp8KVCacheDataTypeE1ELb1EEEvPT_PKS2_PKT0_S8_ifPKiSA_iPKfiiiSC_SC_iiiii
    .private_segment_fixed_size: 0
    .sgpr_count:     54
    .sgpr_spill_count: 0
    .symbol:         _ZN4vllm25paged_attention_v1_kernelIfhLi64ELi32ELi128ELNS_18Fp8KVCacheDataTypeE1ELb1EEEvPT_PKS2_PKT0_S8_ifPKiSA_iPKfiiiSC_SC_iiiii.kd
    .uniform_work_group_size: 1
    .uses_dynamic_stack: false
    .vgpr_count:     91
    .vgpr_spill_count: 0
    .wavefront_size: 64
  - .agpr_count:     0
    .args:
      - .actual_access:  write_only
        .address_space:  global
        .offset:         0
        .size:           8
        .value_kind:     global_buffer
      - .actual_access:  read_only
        .address_space:  global
        .offset:         8
        .size:           8
        .value_kind:     global_buffer
      - .actual_access:  read_only
        .address_space:  global
        .offset:         16
        .size:           8
        .value_kind:     global_buffer
      - .actual_access:  read_only
        .address_space:  global
        .offset:         24
        .size:           8
        .value_kind:     global_buffer
      - .offset:         32
        .size:           4
        .value_kind:     by_value
      - .offset:         36
        .size:           4
        .value_kind:     by_value
      - .actual_access:  read_only
        .address_space:  global
        .offset:         40
        .size:           8
        .value_kind:     global_buffer
      - .actual_access:  read_only
        .address_space:  global
        .offset:         48
        .size:           8
        .value_kind:     global_buffer
      - .offset:         56
        .size:           4
        .value_kind:     by_value
      - .actual_access:  read_only
        .address_space:  global
        .offset:         64
        .size:           8
        .value_kind:     global_buffer
      - .offset:         72
        .size:           4
        .value_kind:     by_value
      - .offset:         76
        .size:           4
        .value_kind:     by_value
      - .offset:         80
        .size:           4
        .value_kind:     by_value
      - .address_space:  global
        .offset:         88
        .size:           8
        .value_kind:     global_buffer
      - .address_space:  global
        .offset:         96
        .size:           8
        .value_kind:     global_buffer
      - .offset:         104
        .size:           4
        .value_kind:     by_value
      - .offset:         108
        .size:           4
        .value_kind:     by_value
      - .offset:         112
        .size:           4
        .value_kind:     by_value
      - .offset:         116
        .size:           4
        .value_kind:     by_value
      - .offset:         120
        .size:           4
        .value_kind:     by_value
      - .offset:         128
        .size:           4
        .value_kind:     hidden_block_count_x
      - .offset:         132
        .size:           4
        .value_kind:     hidden_block_count_y
      - .offset:         136
        .size:           4
        .value_kind:     hidden_block_count_z
      - .offset:         140
        .size:           2
        .value_kind:     hidden_group_size_x
      - .offset:         142
        .size:           2
        .value_kind:     hidden_group_size_y
      - .offset:         144
        .size:           2
        .value_kind:     hidden_group_size_z
      - .offset:         146
        .size:           2
        .value_kind:     hidden_remainder_x
      - .offset:         148
        .size:           2
        .value_kind:     hidden_remainder_y
      - .offset:         150
        .size:           2
        .value_kind:     hidden_remainder_z
      - .offset:         168
        .size:           8
        .value_kind:     hidden_global_offset_x
      - .offset:         176
        .size:           8
        .value_kind:     hidden_global_offset_y
      - .offset:         184
        .size:           8
        .value_kind:     hidden_global_offset_z
      - .offset:         192
        .size:           2
        .value_kind:     hidden_grid_dims
      - .offset:         248
        .size:           4
        .value_kind:     hidden_dynamic_lds_size
    .group_segment_fixed_size: 336
    .kernarg_segment_align: 8
    .kernarg_segment_size: 384
    .language:       OpenCL C
    .language_version:
      - 2
      - 0
    .max_flat_workgroup_size: 1024
    .name:           _ZN4vllm25paged_attention_v1_kernelIfhLi80ELi32ELi128ELNS_18Fp8KVCacheDataTypeE1ELb1EEEvPT_PKS2_PKT0_S8_ifPKiSA_iPKfiiiSC_SC_iiiii
    .private_segment_fixed_size: 0
    .sgpr_count:     55
    .sgpr_spill_count: 0
    .symbol:         _ZN4vllm25paged_attention_v1_kernelIfhLi80ELi32ELi128ELNS_18Fp8KVCacheDataTypeE1ELb1EEEvPT_PKS2_PKT0_S8_ifPKiSA_iPKfiiiSC_SC_iiiii.kd
    .uniform_work_group_size: 1
    .uses_dynamic_stack: false
    .vgpr_count:     91
    .vgpr_spill_count: 0
    .wavefront_size: 64
  - .agpr_count:     0
    .args:
      - .actual_access:  write_only
        .address_space:  global
        .offset:         0
        .size:           8
        .value_kind:     global_buffer
      - .actual_access:  read_only
        .address_space:  global
        .offset:         8
        .size:           8
        .value_kind:     global_buffer
      - .actual_access:  read_only
        .address_space:  global
        .offset:         16
        .size:           8
        .value_kind:     global_buffer
      - .actual_access:  read_only
        .address_space:  global
        .offset:         24
        .size:           8
        .value_kind:     global_buffer
      - .offset:         32
        .size:           4
        .value_kind:     by_value
      - .offset:         36
        .size:           4
        .value_kind:     by_value
      - .actual_access:  read_only
        .address_space:  global
        .offset:         40
        .size:           8
        .value_kind:     global_buffer
      - .actual_access:  read_only
        .address_space:  global
        .offset:         48
        .size:           8
        .value_kind:     global_buffer
      - .offset:         56
        .size:           4
        .value_kind:     by_value
      - .actual_access:  read_only
        .address_space:  global
        .offset:         64
        .size:           8
        .value_kind:     global_buffer
      - .offset:         72
        .size:           4
        .value_kind:     by_value
      - .offset:         76
        .size:           4
        .value_kind:     by_value
      - .offset:         80
        .size:           4
        .value_kind:     by_value
      - .address_space:  global
        .offset:         88
        .size:           8
        .value_kind:     global_buffer
      - .address_space:  global
        .offset:         96
        .size:           8
        .value_kind:     global_buffer
      - .offset:         104
        .size:           4
        .value_kind:     by_value
      - .offset:         108
        .size:           4
        .value_kind:     by_value
      - .offset:         112
        .size:           4
        .value_kind:     by_value
      - .offset:         116
        .size:           4
        .value_kind:     by_value
      - .offset:         120
        .size:           4
        .value_kind:     by_value
      - .offset:         128
        .size:           4
        .value_kind:     hidden_block_count_x
      - .offset:         132
        .size:           4
        .value_kind:     hidden_block_count_y
      - .offset:         136
        .size:           4
        .value_kind:     hidden_block_count_z
      - .offset:         140
        .size:           2
        .value_kind:     hidden_group_size_x
      - .offset:         142
        .size:           2
        .value_kind:     hidden_group_size_y
      - .offset:         144
        .size:           2
        .value_kind:     hidden_group_size_z
      - .offset:         146
        .size:           2
        .value_kind:     hidden_remainder_x
      - .offset:         148
        .size:           2
        .value_kind:     hidden_remainder_y
      - .offset:         150
        .size:           2
        .value_kind:     hidden_remainder_z
      - .offset:         168
        .size:           8
        .value_kind:     hidden_global_offset_x
      - .offset:         176
        .size:           8
        .value_kind:     hidden_global_offset_y
      - .offset:         184
        .size:           8
        .value_kind:     hidden_global_offset_z
      - .offset:         192
        .size:           2
        .value_kind:     hidden_grid_dims
      - .offset:         248
        .size:           4
        .value_kind:     hidden_dynamic_lds_size
    .group_segment_fixed_size: 400
    .kernarg_segment_align: 8
    .kernarg_segment_size: 384
    .language:       OpenCL C
    .language_version:
      - 2
      - 0
    .max_flat_workgroup_size: 1024
    .name:           _ZN4vllm25paged_attention_v1_kernelIfhLi96ELi32ELi128ELNS_18Fp8KVCacheDataTypeE1ELb1EEEvPT_PKS2_PKT0_S8_ifPKiSA_iPKfiiiSC_SC_iiiii
    .private_segment_fixed_size: 0
    .sgpr_count:     55
    .sgpr_spill_count: 0
    .symbol:         _ZN4vllm25paged_attention_v1_kernelIfhLi96ELi32ELi128ELNS_18Fp8KVCacheDataTypeE1ELb1EEEvPT_PKS2_PKT0_S8_ifPKiSA_iPKfiiiSC_SC_iiiii.kd
    .uniform_work_group_size: 1
    .uses_dynamic_stack: false
    .vgpr_count:     107
    .vgpr_spill_count: 0
    .wavefront_size: 64
  - .agpr_count:     0
    .args:
      - .actual_access:  write_only
        .address_space:  global
        .offset:         0
        .size:           8
        .value_kind:     global_buffer
      - .actual_access:  read_only
        .address_space:  global
        .offset:         8
        .size:           8
        .value_kind:     global_buffer
      - .actual_access:  read_only
        .address_space:  global
        .offset:         16
        .size:           8
        .value_kind:     global_buffer
      - .actual_access:  read_only
        .address_space:  global
        .offset:         24
        .size:           8
        .value_kind:     global_buffer
      - .offset:         32
        .size:           4
        .value_kind:     by_value
      - .offset:         36
        .size:           4
        .value_kind:     by_value
      - .actual_access:  read_only
        .address_space:  global
        .offset:         40
        .size:           8
        .value_kind:     global_buffer
      - .actual_access:  read_only
        .address_space:  global
        .offset:         48
        .size:           8
        .value_kind:     global_buffer
      - .offset:         56
        .size:           4
        .value_kind:     by_value
      - .actual_access:  read_only
        .address_space:  global
        .offset:         64
        .size:           8
        .value_kind:     global_buffer
      - .offset:         72
        .size:           4
        .value_kind:     by_value
      - .offset:         76
        .size:           4
        .value_kind:     by_value
      - .offset:         80
        .size:           4
        .value_kind:     by_value
      - .address_space:  global
        .offset:         88
        .size:           8
        .value_kind:     global_buffer
      - .address_space:  global
        .offset:         96
        .size:           8
        .value_kind:     global_buffer
      - .offset:         104
        .size:           4
        .value_kind:     by_value
      - .offset:         108
        .size:           4
        .value_kind:     by_value
      - .offset:         112
        .size:           4
        .value_kind:     by_value
      - .offset:         116
        .size:           4
        .value_kind:     by_value
      - .offset:         120
        .size:           4
        .value_kind:     by_value
      - .offset:         128
        .size:           4
        .value_kind:     hidden_block_count_x
      - .offset:         132
        .size:           4
        .value_kind:     hidden_block_count_y
      - .offset:         136
        .size:           4
        .value_kind:     hidden_block_count_z
      - .offset:         140
        .size:           2
        .value_kind:     hidden_group_size_x
      - .offset:         142
        .size:           2
        .value_kind:     hidden_group_size_y
      - .offset:         144
        .size:           2
        .value_kind:     hidden_group_size_z
      - .offset:         146
        .size:           2
        .value_kind:     hidden_remainder_x
      - .offset:         148
        .size:           2
        .value_kind:     hidden_remainder_y
      - .offset:         150
        .size:           2
        .value_kind:     hidden_remainder_z
      - .offset:         168
        .size:           8
        .value_kind:     hidden_global_offset_x
      - .offset:         176
        .size:           8
        .value_kind:     hidden_global_offset_y
      - .offset:         184
        .size:           8
        .value_kind:     hidden_global_offset_z
      - .offset:         192
        .size:           2
        .value_kind:     hidden_grid_dims
      - .offset:         248
        .size:           4
        .value_kind:     hidden_dynamic_lds_size
    .group_segment_fixed_size: 464
    .kernarg_segment_align: 8
    .kernarg_segment_size: 384
    .language:       OpenCL C
    .language_version:
      - 2
      - 0
    .max_flat_workgroup_size: 1024
    .name:           _ZN4vllm25paged_attention_v1_kernelIfhLi112ELi32ELi128ELNS_18Fp8KVCacheDataTypeE1ELb1EEEvPT_PKS2_PKT0_S8_ifPKiSA_iPKfiiiSC_SC_iiiii
    .private_segment_fixed_size: 0
    .sgpr_count:     55
    .sgpr_spill_count: 0
    .symbol:         _ZN4vllm25paged_attention_v1_kernelIfhLi112ELi32ELi128ELNS_18Fp8KVCacheDataTypeE1ELb1EEEvPT_PKS2_PKT0_S8_ifPKiSA_iPKfiiiSC_SC_iiiii.kd
    .uniform_work_group_size: 1
    .uses_dynamic_stack: false
    .vgpr_count:     107
    .vgpr_spill_count: 0
    .wavefront_size: 64
  - .agpr_count:     0
    .args:
      - .actual_access:  write_only
        .address_space:  global
        .offset:         0
        .size:           8
        .value_kind:     global_buffer
      - .actual_access:  read_only
        .address_space:  global
        .offset:         8
        .size:           8
        .value_kind:     global_buffer
      - .actual_access:  read_only
        .address_space:  global
        .offset:         16
        .size:           8
        .value_kind:     global_buffer
      - .actual_access:  read_only
        .address_space:  global
        .offset:         24
        .size:           8
        .value_kind:     global_buffer
      - .offset:         32
        .size:           4
        .value_kind:     by_value
      - .offset:         36
        .size:           4
        .value_kind:     by_value
      - .actual_access:  read_only
        .address_space:  global
        .offset:         40
        .size:           8
        .value_kind:     global_buffer
      - .actual_access:  read_only
        .address_space:  global
        .offset:         48
        .size:           8
        .value_kind:     global_buffer
      - .offset:         56
        .size:           4
        .value_kind:     by_value
      - .actual_access:  read_only
        .address_space:  global
        .offset:         64
        .size:           8
        .value_kind:     global_buffer
      - .offset:         72
        .size:           4
        .value_kind:     by_value
      - .offset:         76
        .size:           4
        .value_kind:     by_value
      - .offset:         80
        .size:           4
        .value_kind:     by_value
      - .address_space:  global
        .offset:         88
        .size:           8
        .value_kind:     global_buffer
      - .address_space:  global
        .offset:         96
        .size:           8
        .value_kind:     global_buffer
      - .offset:         104
        .size:           4
        .value_kind:     by_value
      - .offset:         108
        .size:           4
        .value_kind:     by_value
      - .offset:         112
        .size:           4
        .value_kind:     by_value
      - .offset:         116
        .size:           4
        .value_kind:     by_value
      - .offset:         120
        .size:           4
        .value_kind:     by_value
      - .offset:         128
        .size:           4
        .value_kind:     hidden_block_count_x
      - .offset:         132
        .size:           4
        .value_kind:     hidden_block_count_y
      - .offset:         136
        .size:           4
        .value_kind:     hidden_block_count_z
      - .offset:         140
        .size:           2
        .value_kind:     hidden_group_size_x
      - .offset:         142
        .size:           2
        .value_kind:     hidden_group_size_y
      - .offset:         144
        .size:           2
        .value_kind:     hidden_group_size_z
      - .offset:         146
        .size:           2
        .value_kind:     hidden_remainder_x
      - .offset:         148
        .size:           2
        .value_kind:     hidden_remainder_y
      - .offset:         150
        .size:           2
        .value_kind:     hidden_remainder_z
      - .offset:         168
        .size:           8
        .value_kind:     hidden_global_offset_x
      - .offset:         176
        .size:           8
        .value_kind:     hidden_global_offset_y
      - .offset:         184
        .size:           8
        .value_kind:     hidden_global_offset_z
      - .offset:         192
        .size:           2
        .value_kind:     hidden_grid_dims
      - .offset:         248
        .size:           4
        .value_kind:     hidden_dynamic_lds_size
    .group_segment_fixed_size: 496
    .kernarg_segment_align: 8
    .kernarg_segment_size: 384
    .language:       OpenCL C
    .language_version:
      - 2
      - 0
    .max_flat_workgroup_size: 1024
    .name:           _ZN4vllm25paged_attention_v1_kernelIfhLi120ELi32ELi128ELNS_18Fp8KVCacheDataTypeE1ELb1EEEvPT_PKS2_PKT0_S8_ifPKiSA_iPKfiiiSC_SC_iiiii
    .private_segment_fixed_size: 0
    .sgpr_count:     55
    .sgpr_spill_count: 0
    .symbol:         _ZN4vllm25paged_attention_v1_kernelIfhLi120ELi32ELi128ELNS_18Fp8KVCacheDataTypeE1ELb1EEEvPT_PKS2_PKT0_S8_ifPKiSA_iPKfiiiSC_SC_iiiii.kd
    .uniform_work_group_size: 1
    .uses_dynamic_stack: false
    .vgpr_count:     100
    .vgpr_spill_count: 0
    .wavefront_size: 64
  - .agpr_count:     0
    .args:
      - .actual_access:  write_only
        .address_space:  global
        .offset:         0
        .size:           8
        .value_kind:     global_buffer
      - .actual_access:  read_only
        .address_space:  global
        .offset:         8
        .size:           8
        .value_kind:     global_buffer
      - .actual_access:  read_only
        .address_space:  global
        .offset:         16
        .size:           8
        .value_kind:     global_buffer
      - .actual_access:  read_only
        .address_space:  global
        .offset:         24
        .size:           8
        .value_kind:     global_buffer
      - .offset:         32
        .size:           4
        .value_kind:     by_value
      - .offset:         36
        .size:           4
        .value_kind:     by_value
      - .actual_access:  read_only
        .address_space:  global
        .offset:         40
        .size:           8
        .value_kind:     global_buffer
      - .actual_access:  read_only
        .address_space:  global
        .offset:         48
        .size:           8
        .value_kind:     global_buffer
      - .offset:         56
        .size:           4
        .value_kind:     by_value
      - .actual_access:  read_only
        .address_space:  global
        .offset:         64
        .size:           8
        .value_kind:     global_buffer
      - .offset:         72
        .size:           4
        .value_kind:     by_value
      - .offset:         76
        .size:           4
        .value_kind:     by_value
      - .offset:         80
        .size:           4
        .value_kind:     by_value
      - .address_space:  global
        .offset:         88
        .size:           8
        .value_kind:     global_buffer
      - .address_space:  global
        .offset:         96
        .size:           8
        .value_kind:     global_buffer
      - .offset:         104
        .size:           4
        .value_kind:     by_value
      - .offset:         108
        .size:           4
        .value_kind:     by_value
      - .offset:         112
        .size:           4
        .value_kind:     by_value
      - .offset:         116
        .size:           4
        .value_kind:     by_value
      - .offset:         120
        .size:           4
        .value_kind:     by_value
      - .offset:         128
        .size:           4
        .value_kind:     hidden_block_count_x
      - .offset:         132
        .size:           4
        .value_kind:     hidden_block_count_y
      - .offset:         136
        .size:           4
        .value_kind:     hidden_block_count_z
      - .offset:         140
        .size:           2
        .value_kind:     hidden_group_size_x
      - .offset:         142
        .size:           2
        .value_kind:     hidden_group_size_y
      - .offset:         144
        .size:           2
        .value_kind:     hidden_group_size_z
      - .offset:         146
        .size:           2
        .value_kind:     hidden_remainder_x
      - .offset:         148
        .size:           2
        .value_kind:     hidden_remainder_y
      - .offset:         150
        .size:           2
        .value_kind:     hidden_remainder_z
      - .offset:         168
        .size:           8
        .value_kind:     hidden_global_offset_x
      - .offset:         176
        .size:           8
        .value_kind:     hidden_global_offset_y
      - .offset:         184
        .size:           8
        .value_kind:     hidden_global_offset_z
      - .offset:         192
        .size:           2
        .value_kind:     hidden_grid_dims
      - .offset:         248
        .size:           4
        .value_kind:     hidden_dynamic_lds_size
    .group_segment_fixed_size: 528
    .kernarg_segment_align: 8
    .kernarg_segment_size: 384
    .language:       OpenCL C
    .language_version:
      - 2
      - 0
    .max_flat_workgroup_size: 1024
    .name:           _ZN4vllm25paged_attention_v1_kernelIfhLi128ELi32ELi128ELNS_18Fp8KVCacheDataTypeE1ELb1EEEvPT_PKS2_PKT0_S8_ifPKiSA_iPKfiiiSC_SC_iiiii
    .private_segment_fixed_size: 0
    .sgpr_count:     57
    .sgpr_spill_count: 0
    .symbol:         _ZN4vllm25paged_attention_v1_kernelIfhLi128ELi32ELi128ELNS_18Fp8KVCacheDataTypeE1ELb1EEEvPT_PKS2_PKT0_S8_ifPKiSA_iPKfiiiSC_SC_iiiii.kd
    .uniform_work_group_size: 1
    .uses_dynamic_stack: false
    .vgpr_count:     108
    .vgpr_spill_count: 0
    .wavefront_size: 64
  - .agpr_count:     0
    .args:
      - .actual_access:  write_only
        .address_space:  global
        .offset:         0
        .size:           8
        .value_kind:     global_buffer
      - .actual_access:  read_only
        .address_space:  global
        .offset:         8
        .size:           8
        .value_kind:     global_buffer
      - .actual_access:  read_only
        .address_space:  global
        .offset:         16
        .size:           8
        .value_kind:     global_buffer
      - .actual_access:  read_only
        .address_space:  global
        .offset:         24
        .size:           8
        .value_kind:     global_buffer
      - .offset:         32
        .size:           4
        .value_kind:     by_value
      - .offset:         36
        .size:           4
        .value_kind:     by_value
      - .actual_access:  read_only
        .address_space:  global
        .offset:         40
        .size:           8
        .value_kind:     global_buffer
      - .actual_access:  read_only
        .address_space:  global
        .offset:         48
        .size:           8
        .value_kind:     global_buffer
      - .offset:         56
        .size:           4
        .value_kind:     by_value
      - .actual_access:  read_only
        .address_space:  global
        .offset:         64
        .size:           8
        .value_kind:     global_buffer
      - .offset:         72
        .size:           4
        .value_kind:     by_value
      - .offset:         76
        .size:           4
        .value_kind:     by_value
      - .offset:         80
        .size:           4
        .value_kind:     by_value
      - .address_space:  global
        .offset:         88
        .size:           8
        .value_kind:     global_buffer
      - .address_space:  global
        .offset:         96
        .size:           8
        .value_kind:     global_buffer
      - .offset:         104
        .size:           4
        .value_kind:     by_value
      - .offset:         108
        .size:           4
        .value_kind:     by_value
      - .offset:         112
        .size:           4
        .value_kind:     by_value
      - .offset:         116
        .size:           4
        .value_kind:     by_value
      - .offset:         120
        .size:           4
        .value_kind:     by_value
      - .offset:         128
        .size:           4
        .value_kind:     hidden_block_count_x
      - .offset:         132
        .size:           4
        .value_kind:     hidden_block_count_y
      - .offset:         136
        .size:           4
        .value_kind:     hidden_block_count_z
      - .offset:         140
        .size:           2
        .value_kind:     hidden_group_size_x
      - .offset:         142
        .size:           2
        .value_kind:     hidden_group_size_y
      - .offset:         144
        .size:           2
        .value_kind:     hidden_group_size_z
      - .offset:         146
        .size:           2
        .value_kind:     hidden_remainder_x
      - .offset:         148
        .size:           2
        .value_kind:     hidden_remainder_y
      - .offset:         150
        .size:           2
        .value_kind:     hidden_remainder_z
      - .offset:         168
        .size:           8
        .value_kind:     hidden_global_offset_x
      - .offset:         176
        .size:           8
        .value_kind:     hidden_global_offset_y
      - .offset:         184
        .size:           8
        .value_kind:     hidden_global_offset_z
      - .offset:         192
        .size:           2
        .value_kind:     hidden_grid_dims
      - .offset:         248
        .size:           4
        .value_kind:     hidden_dynamic_lds_size
    .group_segment_fixed_size: 784
    .kernarg_segment_align: 8
    .kernarg_segment_size: 384
    .language:       OpenCL C
    .language_version:
      - 2
      - 0
    .max_flat_workgroup_size: 1024
    .name:           _ZN4vllm25paged_attention_v1_kernelIfhLi192ELi32ELi128ELNS_18Fp8KVCacheDataTypeE1ELb1EEEvPT_PKS2_PKT0_S8_ifPKiSA_iPKfiiiSC_SC_iiiii
    .private_segment_fixed_size: 140
    .sgpr_count:     64
    .sgpr_spill_count: 0
    .symbol:         _ZN4vllm25paged_attention_v1_kernelIfhLi192ELi32ELi128ELNS_18Fp8KVCacheDataTypeE1ELb1EEEvPT_PKS2_PKT0_S8_ifPKiSA_iPKfiiiSC_SC_iiiii.kd
    .uniform_work_group_size: 1
    .uses_dynamic_stack: false
    .vgpr_count:     128
    .vgpr_spill_count: 40
    .wavefront_size: 64
  - .agpr_count:     0
    .args:
      - .actual_access:  write_only
        .address_space:  global
        .offset:         0
        .size:           8
        .value_kind:     global_buffer
      - .actual_access:  read_only
        .address_space:  global
        .offset:         8
        .size:           8
        .value_kind:     global_buffer
      - .actual_access:  read_only
        .address_space:  global
        .offset:         16
        .size:           8
        .value_kind:     global_buffer
      - .actual_access:  read_only
        .address_space:  global
        .offset:         24
        .size:           8
        .value_kind:     global_buffer
      - .offset:         32
        .size:           4
        .value_kind:     by_value
      - .offset:         36
        .size:           4
        .value_kind:     by_value
      - .actual_access:  read_only
        .address_space:  global
        .offset:         40
        .size:           8
        .value_kind:     global_buffer
      - .actual_access:  read_only
        .address_space:  global
        .offset:         48
        .size:           8
        .value_kind:     global_buffer
      - .offset:         56
        .size:           4
        .value_kind:     by_value
      - .actual_access:  read_only
        .address_space:  global
        .offset:         64
        .size:           8
        .value_kind:     global_buffer
      - .offset:         72
        .size:           4
        .value_kind:     by_value
      - .offset:         76
        .size:           4
        .value_kind:     by_value
      - .offset:         80
        .size:           4
        .value_kind:     by_value
      - .address_space:  global
        .offset:         88
        .size:           8
        .value_kind:     global_buffer
      - .address_space:  global
        .offset:         96
        .size:           8
        .value_kind:     global_buffer
      - .offset:         104
        .size:           4
        .value_kind:     by_value
      - .offset:         108
        .size:           4
        .value_kind:     by_value
      - .offset:         112
        .size:           4
        .value_kind:     by_value
      - .offset:         116
        .size:           4
        .value_kind:     by_value
      - .offset:         120
        .size:           4
        .value_kind:     by_value
      - .offset:         128
        .size:           4
        .value_kind:     hidden_block_count_x
      - .offset:         132
        .size:           4
        .value_kind:     hidden_block_count_y
      - .offset:         136
        .size:           4
        .value_kind:     hidden_block_count_z
      - .offset:         140
        .size:           2
        .value_kind:     hidden_group_size_x
      - .offset:         142
        .size:           2
        .value_kind:     hidden_group_size_y
      - .offset:         144
        .size:           2
        .value_kind:     hidden_group_size_z
      - .offset:         146
        .size:           2
        .value_kind:     hidden_remainder_x
      - .offset:         148
        .size:           2
        .value_kind:     hidden_remainder_y
      - .offset:         150
        .size:           2
        .value_kind:     hidden_remainder_z
      - .offset:         168
        .size:           8
        .value_kind:     hidden_global_offset_x
      - .offset:         176
        .size:           8
        .value_kind:     hidden_global_offset_y
      - .offset:         184
        .size:           8
        .value_kind:     hidden_global_offset_z
      - .offset:         192
        .size:           2
        .value_kind:     hidden_grid_dims
      - .offset:         248
        .size:           4
        .value_kind:     hidden_dynamic_lds_size
    .group_segment_fixed_size: 1040
    .kernarg_segment_align: 8
    .kernarg_segment_size: 384
    .language:       OpenCL C
    .language_version:
      - 2
      - 0
    .max_flat_workgroup_size: 1024
    .name:           _ZN4vllm25paged_attention_v1_kernelIfhLi256ELi32ELi128ELNS_18Fp8KVCacheDataTypeE1ELb1EEEvPT_PKS2_PKT0_S8_ifPKiSA_iPKfiiiSC_SC_iiiii
    .private_segment_fixed_size: 364
    .sgpr_count:     72
    .sgpr_spill_count: 0
    .symbol:         _ZN4vllm25paged_attention_v1_kernelIfhLi256ELi32ELi128ELNS_18Fp8KVCacheDataTypeE1ELb1EEEvPT_PKS2_PKT0_S8_ifPKiSA_iPKfiiiSC_SC_iiiii.kd
    .uniform_work_group_size: 1
    .uses_dynamic_stack: false
    .vgpr_count:     128
    .vgpr_spill_count: 134
    .wavefront_size: 64
  - .agpr_count:     0
    .args:
      - .actual_access:  write_only
        .address_space:  global
        .offset:         0
        .size:           8
        .value_kind:     global_buffer
      - .actual_access:  read_only
        .address_space:  global
        .offset:         8
        .size:           8
        .value_kind:     global_buffer
      - .actual_access:  read_only
        .address_space:  global
        .offset:         16
        .size:           8
        .value_kind:     global_buffer
      - .actual_access:  read_only
        .address_space:  global
        .offset:         24
        .size:           8
        .value_kind:     global_buffer
      - .offset:         32
        .size:           4
        .value_kind:     by_value
      - .offset:         36
        .size:           4
        .value_kind:     by_value
      - .actual_access:  read_only
        .address_space:  global
        .offset:         40
        .size:           8
        .value_kind:     global_buffer
      - .actual_access:  read_only
        .address_space:  global
        .offset:         48
        .size:           8
        .value_kind:     global_buffer
      - .offset:         56
        .size:           4
        .value_kind:     by_value
      - .actual_access:  read_only
        .address_space:  global
        .offset:         64
        .size:           8
        .value_kind:     global_buffer
      - .offset:         72
        .size:           4
        .value_kind:     by_value
      - .offset:         76
        .size:           4
        .value_kind:     by_value
      - .offset:         80
        .size:           4
        .value_kind:     by_value
      - .address_space:  global
        .offset:         88
        .size:           8
        .value_kind:     global_buffer
      - .address_space:  global
        .offset:         96
        .size:           8
        .value_kind:     global_buffer
      - .offset:         104
        .size:           4
        .value_kind:     by_value
      - .offset:         108
        .size:           4
        .value_kind:     by_value
      - .offset:         112
        .size:           4
        .value_kind:     by_value
      - .offset:         116
        .size:           4
        .value_kind:     by_value
      - .offset:         120
        .size:           4
        .value_kind:     by_value
      - .offset:         128
        .size:           4
        .value_kind:     hidden_block_count_x
      - .offset:         132
        .size:           4
        .value_kind:     hidden_block_count_y
      - .offset:         136
        .size:           4
        .value_kind:     hidden_block_count_z
      - .offset:         140
        .size:           2
        .value_kind:     hidden_group_size_x
      - .offset:         142
        .size:           2
        .value_kind:     hidden_group_size_y
      - .offset:         144
        .size:           2
        .value_kind:     hidden_group_size_z
      - .offset:         146
        .size:           2
        .value_kind:     hidden_remainder_x
      - .offset:         148
        .size:           2
        .value_kind:     hidden_remainder_y
      - .offset:         150
        .size:           2
        .value_kind:     hidden_remainder_z
      - .offset:         168
        .size:           8
        .value_kind:     hidden_global_offset_x
      - .offset:         176
        .size:           8
        .value_kind:     hidden_global_offset_y
      - .offset:         184
        .size:           8
        .value_kind:     hidden_global_offset_z
      - .offset:         192
        .size:           2
        .value_kind:     hidden_grid_dims
      - .offset:         248
        .size:           4
        .value_kind:     hidden_dynamic_lds_size
    .group_segment_fixed_size: 144
    .kernarg_segment_align: 8
    .kernarg_segment_size: 384
    .language:       OpenCL C
    .language_version:
      - 2
      - 0
    .max_flat_workgroup_size: 1024
    .name:           _ZN4vllm25paged_attention_v1_kernelIfhLi32ELi32ELi128ELNS_18Fp8KVCacheDataTypeE1ELb0EEEvPT_PKS2_PKT0_S8_ifPKiSA_iPKfiiiSC_SC_iiiii
    .private_segment_fixed_size: 0
    .sgpr_count:     44
    .sgpr_spill_count: 0
    .symbol:         _ZN4vllm25paged_attention_v1_kernelIfhLi32ELi32ELi128ELNS_18Fp8KVCacheDataTypeE1ELb0EEEvPT_PKS2_PKT0_S8_ifPKiSA_iPKfiiiSC_SC_iiiii.kd
    .uniform_work_group_size: 1
    .uses_dynamic_stack: false
    .vgpr_count:     50
    .vgpr_spill_count: 0
    .wavefront_size: 64
  - .agpr_count:     0
    .args:
      - .actual_access:  write_only
        .address_space:  global
        .offset:         0
        .size:           8
        .value_kind:     global_buffer
      - .actual_access:  read_only
        .address_space:  global
        .offset:         8
        .size:           8
        .value_kind:     global_buffer
      - .actual_access:  read_only
        .address_space:  global
        .offset:         16
        .size:           8
        .value_kind:     global_buffer
      - .actual_access:  read_only
        .address_space:  global
        .offset:         24
        .size:           8
        .value_kind:     global_buffer
      - .offset:         32
        .size:           4
        .value_kind:     by_value
      - .offset:         36
        .size:           4
        .value_kind:     by_value
      - .actual_access:  read_only
        .address_space:  global
        .offset:         40
        .size:           8
        .value_kind:     global_buffer
      - .actual_access:  read_only
        .address_space:  global
        .offset:         48
        .size:           8
        .value_kind:     global_buffer
      - .offset:         56
        .size:           4
        .value_kind:     by_value
      - .actual_access:  read_only
        .address_space:  global
        .offset:         64
        .size:           8
        .value_kind:     global_buffer
      - .offset:         72
        .size:           4
        .value_kind:     by_value
      - .offset:         76
        .size:           4
        .value_kind:     by_value
      - .offset:         80
        .size:           4
        .value_kind:     by_value
      - .address_space:  global
        .offset:         88
        .size:           8
        .value_kind:     global_buffer
      - .address_space:  global
        .offset:         96
        .size:           8
        .value_kind:     global_buffer
      - .offset:         104
        .size:           4
        .value_kind:     by_value
      - .offset:         108
        .size:           4
        .value_kind:     by_value
      - .offset:         112
        .size:           4
        .value_kind:     by_value
      - .offset:         116
        .size:           4
        .value_kind:     by_value
      - .offset:         120
        .size:           4
        .value_kind:     by_value
      - .offset:         128
        .size:           4
        .value_kind:     hidden_block_count_x
      - .offset:         132
        .size:           4
        .value_kind:     hidden_block_count_y
      - .offset:         136
        .size:           4
        .value_kind:     hidden_block_count_z
      - .offset:         140
        .size:           2
        .value_kind:     hidden_group_size_x
      - .offset:         142
        .size:           2
        .value_kind:     hidden_group_size_y
      - .offset:         144
        .size:           2
        .value_kind:     hidden_group_size_z
      - .offset:         146
        .size:           2
        .value_kind:     hidden_remainder_x
      - .offset:         148
        .size:           2
        .value_kind:     hidden_remainder_y
      - .offset:         150
        .size:           2
        .value_kind:     hidden_remainder_z
      - .offset:         168
        .size:           8
        .value_kind:     hidden_global_offset_x
      - .offset:         176
        .size:           8
        .value_kind:     hidden_global_offset_y
      - .offset:         184
        .size:           8
        .value_kind:     hidden_global_offset_z
      - .offset:         192
        .size:           2
        .value_kind:     hidden_grid_dims
      - .offset:         248
        .size:           4
        .value_kind:     hidden_dynamic_lds_size
    .group_segment_fixed_size: 272
    .kernarg_segment_align: 8
    .kernarg_segment_size: 384
    .language:       OpenCL C
    .language_version:
      - 2
      - 0
    .max_flat_workgroup_size: 1024
    .name:           _ZN4vllm25paged_attention_v1_kernelIfhLi64ELi32ELi128ELNS_18Fp8KVCacheDataTypeE1ELb0EEEvPT_PKS2_PKT0_S8_ifPKiSA_iPKfiiiSC_SC_iiiii
    .private_segment_fixed_size: 0
    .sgpr_count:     44
    .sgpr_spill_count: 0
    .symbol:         _ZN4vllm25paged_attention_v1_kernelIfhLi64ELi32ELi128ELNS_18Fp8KVCacheDataTypeE1ELb0EEEvPT_PKS2_PKT0_S8_ifPKiSA_iPKfiiiSC_SC_iiiii.kd
    .uniform_work_group_size: 1
    .uses_dynamic_stack: false
    .vgpr_count:     79
    .vgpr_spill_count: 0
    .wavefront_size: 64
  - .agpr_count:     0
    .args:
      - .actual_access:  write_only
        .address_space:  global
        .offset:         0
        .size:           8
        .value_kind:     global_buffer
      - .actual_access:  read_only
        .address_space:  global
        .offset:         8
        .size:           8
        .value_kind:     global_buffer
      - .actual_access:  read_only
        .address_space:  global
        .offset:         16
        .size:           8
        .value_kind:     global_buffer
      - .actual_access:  read_only
        .address_space:  global
        .offset:         24
        .size:           8
        .value_kind:     global_buffer
      - .offset:         32
        .size:           4
        .value_kind:     by_value
      - .offset:         36
        .size:           4
        .value_kind:     by_value
      - .actual_access:  read_only
        .address_space:  global
        .offset:         40
        .size:           8
        .value_kind:     global_buffer
      - .actual_access:  read_only
        .address_space:  global
        .offset:         48
        .size:           8
        .value_kind:     global_buffer
      - .offset:         56
        .size:           4
        .value_kind:     by_value
      - .actual_access:  read_only
        .address_space:  global
        .offset:         64
        .size:           8
        .value_kind:     global_buffer
      - .offset:         72
        .size:           4
        .value_kind:     by_value
      - .offset:         76
        .size:           4
        .value_kind:     by_value
      - .offset:         80
        .size:           4
        .value_kind:     by_value
      - .address_space:  global
        .offset:         88
        .size:           8
        .value_kind:     global_buffer
      - .address_space:  global
        .offset:         96
        .size:           8
        .value_kind:     global_buffer
      - .offset:         104
        .size:           4
        .value_kind:     by_value
      - .offset:         108
        .size:           4
        .value_kind:     by_value
      - .offset:         112
        .size:           4
        .value_kind:     by_value
      - .offset:         116
        .size:           4
        .value_kind:     by_value
      - .offset:         120
        .size:           4
        .value_kind:     by_value
      - .offset:         128
        .size:           4
        .value_kind:     hidden_block_count_x
      - .offset:         132
        .size:           4
        .value_kind:     hidden_block_count_y
      - .offset:         136
        .size:           4
        .value_kind:     hidden_block_count_z
      - .offset:         140
        .size:           2
        .value_kind:     hidden_group_size_x
      - .offset:         142
        .size:           2
        .value_kind:     hidden_group_size_y
      - .offset:         144
        .size:           2
        .value_kind:     hidden_group_size_z
      - .offset:         146
        .size:           2
        .value_kind:     hidden_remainder_x
      - .offset:         148
        .size:           2
        .value_kind:     hidden_remainder_y
      - .offset:         150
        .size:           2
        .value_kind:     hidden_remainder_z
      - .offset:         168
        .size:           8
        .value_kind:     hidden_global_offset_x
      - .offset:         176
        .size:           8
        .value_kind:     hidden_global_offset_y
      - .offset:         184
        .size:           8
        .value_kind:     hidden_global_offset_z
      - .offset:         192
        .size:           2
        .value_kind:     hidden_grid_dims
      - .offset:         248
        .size:           4
        .value_kind:     hidden_dynamic_lds_size
    .group_segment_fixed_size: 336
    .kernarg_segment_align: 8
    .kernarg_segment_size: 384
    .language:       OpenCL C
    .language_version:
      - 2
      - 0
    .max_flat_workgroup_size: 1024
    .name:           _ZN4vllm25paged_attention_v1_kernelIfhLi80ELi32ELi128ELNS_18Fp8KVCacheDataTypeE1ELb0EEEvPT_PKS2_PKT0_S8_ifPKiSA_iPKfiiiSC_SC_iiiii
    .private_segment_fixed_size: 0
    .sgpr_count:     44
    .sgpr_spill_count: 0
    .symbol:         _ZN4vllm25paged_attention_v1_kernelIfhLi80ELi32ELi128ELNS_18Fp8KVCacheDataTypeE1ELb0EEEvPT_PKS2_PKT0_S8_ifPKiSA_iPKfiiiSC_SC_iiiii.kd
    .uniform_work_group_size: 1
    .uses_dynamic_stack: false
    .vgpr_count:     83
    .vgpr_spill_count: 0
    .wavefront_size: 64
  - .agpr_count:     0
    .args:
      - .actual_access:  write_only
        .address_space:  global
        .offset:         0
        .size:           8
        .value_kind:     global_buffer
      - .actual_access:  read_only
        .address_space:  global
        .offset:         8
        .size:           8
        .value_kind:     global_buffer
      - .actual_access:  read_only
        .address_space:  global
        .offset:         16
        .size:           8
        .value_kind:     global_buffer
      - .actual_access:  read_only
        .address_space:  global
        .offset:         24
        .size:           8
        .value_kind:     global_buffer
      - .offset:         32
        .size:           4
        .value_kind:     by_value
      - .offset:         36
        .size:           4
        .value_kind:     by_value
      - .actual_access:  read_only
        .address_space:  global
        .offset:         40
        .size:           8
        .value_kind:     global_buffer
      - .actual_access:  read_only
        .address_space:  global
        .offset:         48
        .size:           8
        .value_kind:     global_buffer
      - .offset:         56
        .size:           4
        .value_kind:     by_value
      - .actual_access:  read_only
        .address_space:  global
        .offset:         64
        .size:           8
        .value_kind:     global_buffer
      - .offset:         72
        .size:           4
        .value_kind:     by_value
      - .offset:         76
        .size:           4
        .value_kind:     by_value
      - .offset:         80
        .size:           4
        .value_kind:     by_value
      - .address_space:  global
        .offset:         88
        .size:           8
        .value_kind:     global_buffer
      - .address_space:  global
        .offset:         96
        .size:           8
        .value_kind:     global_buffer
      - .offset:         104
        .size:           4
        .value_kind:     by_value
      - .offset:         108
        .size:           4
        .value_kind:     by_value
      - .offset:         112
        .size:           4
        .value_kind:     by_value
      - .offset:         116
        .size:           4
        .value_kind:     by_value
      - .offset:         120
        .size:           4
        .value_kind:     by_value
      - .offset:         128
        .size:           4
        .value_kind:     hidden_block_count_x
      - .offset:         132
        .size:           4
        .value_kind:     hidden_block_count_y
      - .offset:         136
        .size:           4
        .value_kind:     hidden_block_count_z
      - .offset:         140
        .size:           2
        .value_kind:     hidden_group_size_x
      - .offset:         142
        .size:           2
        .value_kind:     hidden_group_size_y
      - .offset:         144
        .size:           2
        .value_kind:     hidden_group_size_z
      - .offset:         146
        .size:           2
        .value_kind:     hidden_remainder_x
      - .offset:         148
        .size:           2
        .value_kind:     hidden_remainder_y
      - .offset:         150
        .size:           2
        .value_kind:     hidden_remainder_z
      - .offset:         168
        .size:           8
        .value_kind:     hidden_global_offset_x
      - .offset:         176
        .size:           8
        .value_kind:     hidden_global_offset_y
      - .offset:         184
        .size:           8
        .value_kind:     hidden_global_offset_z
      - .offset:         192
        .size:           2
        .value_kind:     hidden_grid_dims
      - .offset:         248
        .size:           4
        .value_kind:     hidden_dynamic_lds_size
    .group_segment_fixed_size: 400
    .kernarg_segment_align: 8
    .kernarg_segment_size: 384
    .language:       OpenCL C
    .language_version:
      - 2
      - 0
    .max_flat_workgroup_size: 1024
    .name:           _ZN4vllm25paged_attention_v1_kernelIfhLi96ELi32ELi128ELNS_18Fp8KVCacheDataTypeE1ELb0EEEvPT_PKS2_PKT0_S8_ifPKiSA_iPKfiiiSC_SC_iiiii
    .private_segment_fixed_size: 0
    .sgpr_count:     44
    .sgpr_spill_count: 0
    .symbol:         _ZN4vllm25paged_attention_v1_kernelIfhLi96ELi32ELi128ELNS_18Fp8KVCacheDataTypeE1ELb0EEEvPT_PKS2_PKT0_S8_ifPKiSA_iPKfiiiSC_SC_iiiii.kd
    .uniform_work_group_size: 1
    .uses_dynamic_stack: false
    .vgpr_count:     103
    .vgpr_spill_count: 0
    .wavefront_size: 64
  - .agpr_count:     0
    .args:
      - .actual_access:  write_only
        .address_space:  global
        .offset:         0
        .size:           8
        .value_kind:     global_buffer
      - .actual_access:  read_only
        .address_space:  global
        .offset:         8
        .size:           8
        .value_kind:     global_buffer
      - .actual_access:  read_only
        .address_space:  global
        .offset:         16
        .size:           8
        .value_kind:     global_buffer
      - .actual_access:  read_only
        .address_space:  global
        .offset:         24
        .size:           8
        .value_kind:     global_buffer
      - .offset:         32
        .size:           4
        .value_kind:     by_value
      - .offset:         36
        .size:           4
        .value_kind:     by_value
      - .actual_access:  read_only
        .address_space:  global
        .offset:         40
        .size:           8
        .value_kind:     global_buffer
      - .actual_access:  read_only
        .address_space:  global
        .offset:         48
        .size:           8
        .value_kind:     global_buffer
      - .offset:         56
        .size:           4
        .value_kind:     by_value
      - .actual_access:  read_only
        .address_space:  global
        .offset:         64
        .size:           8
        .value_kind:     global_buffer
      - .offset:         72
        .size:           4
        .value_kind:     by_value
      - .offset:         76
        .size:           4
        .value_kind:     by_value
      - .offset:         80
        .size:           4
        .value_kind:     by_value
      - .address_space:  global
        .offset:         88
        .size:           8
        .value_kind:     global_buffer
      - .address_space:  global
        .offset:         96
        .size:           8
        .value_kind:     global_buffer
      - .offset:         104
        .size:           4
        .value_kind:     by_value
      - .offset:         108
        .size:           4
        .value_kind:     by_value
      - .offset:         112
        .size:           4
        .value_kind:     by_value
      - .offset:         116
        .size:           4
        .value_kind:     by_value
      - .offset:         120
        .size:           4
        .value_kind:     by_value
      - .offset:         128
        .size:           4
        .value_kind:     hidden_block_count_x
      - .offset:         132
        .size:           4
        .value_kind:     hidden_block_count_y
      - .offset:         136
        .size:           4
        .value_kind:     hidden_block_count_z
      - .offset:         140
        .size:           2
        .value_kind:     hidden_group_size_x
      - .offset:         142
        .size:           2
        .value_kind:     hidden_group_size_y
      - .offset:         144
        .size:           2
        .value_kind:     hidden_group_size_z
      - .offset:         146
        .size:           2
        .value_kind:     hidden_remainder_x
      - .offset:         148
        .size:           2
        .value_kind:     hidden_remainder_y
      - .offset:         150
        .size:           2
        .value_kind:     hidden_remainder_z
      - .offset:         168
        .size:           8
        .value_kind:     hidden_global_offset_x
      - .offset:         176
        .size:           8
        .value_kind:     hidden_global_offset_y
      - .offset:         184
        .size:           8
        .value_kind:     hidden_global_offset_z
      - .offset:         192
        .size:           2
        .value_kind:     hidden_grid_dims
      - .offset:         248
        .size:           4
        .value_kind:     hidden_dynamic_lds_size
    .group_segment_fixed_size: 464
    .kernarg_segment_align: 8
    .kernarg_segment_size: 384
    .language:       OpenCL C
    .language_version:
      - 2
      - 0
    .max_flat_workgroup_size: 1024
    .name:           _ZN4vllm25paged_attention_v1_kernelIfhLi112ELi32ELi128ELNS_18Fp8KVCacheDataTypeE1ELb0EEEvPT_PKS2_PKT0_S8_ifPKiSA_iPKfiiiSC_SC_iiiii
    .private_segment_fixed_size: 0
    .sgpr_count:     44
    .sgpr_spill_count: 0
    .symbol:         _ZN4vllm25paged_attention_v1_kernelIfhLi112ELi32ELi128ELNS_18Fp8KVCacheDataTypeE1ELb0EEEvPT_PKS2_PKT0_S8_ifPKiSA_iPKfiiiSC_SC_iiiii.kd
    .uniform_work_group_size: 1
    .uses_dynamic_stack: false
    .vgpr_count:     108
    .vgpr_spill_count: 0
    .wavefront_size: 64
  - .agpr_count:     0
    .args:
      - .actual_access:  write_only
        .address_space:  global
        .offset:         0
        .size:           8
        .value_kind:     global_buffer
      - .actual_access:  read_only
        .address_space:  global
        .offset:         8
        .size:           8
        .value_kind:     global_buffer
      - .actual_access:  read_only
        .address_space:  global
        .offset:         16
        .size:           8
        .value_kind:     global_buffer
      - .actual_access:  read_only
        .address_space:  global
        .offset:         24
        .size:           8
        .value_kind:     global_buffer
      - .offset:         32
        .size:           4
        .value_kind:     by_value
      - .offset:         36
        .size:           4
        .value_kind:     by_value
      - .actual_access:  read_only
        .address_space:  global
        .offset:         40
        .size:           8
        .value_kind:     global_buffer
      - .actual_access:  read_only
        .address_space:  global
        .offset:         48
        .size:           8
        .value_kind:     global_buffer
      - .offset:         56
        .size:           4
        .value_kind:     by_value
      - .actual_access:  read_only
        .address_space:  global
        .offset:         64
        .size:           8
        .value_kind:     global_buffer
      - .offset:         72
        .size:           4
        .value_kind:     by_value
      - .offset:         76
        .size:           4
        .value_kind:     by_value
      - .offset:         80
        .size:           4
        .value_kind:     by_value
      - .address_space:  global
        .offset:         88
        .size:           8
        .value_kind:     global_buffer
      - .address_space:  global
        .offset:         96
        .size:           8
        .value_kind:     global_buffer
      - .offset:         104
        .size:           4
        .value_kind:     by_value
      - .offset:         108
        .size:           4
        .value_kind:     by_value
      - .offset:         112
        .size:           4
        .value_kind:     by_value
      - .offset:         116
        .size:           4
        .value_kind:     by_value
      - .offset:         120
        .size:           4
        .value_kind:     by_value
      - .offset:         128
        .size:           4
        .value_kind:     hidden_block_count_x
      - .offset:         132
        .size:           4
        .value_kind:     hidden_block_count_y
      - .offset:         136
        .size:           4
        .value_kind:     hidden_block_count_z
      - .offset:         140
        .size:           2
        .value_kind:     hidden_group_size_x
      - .offset:         142
        .size:           2
        .value_kind:     hidden_group_size_y
      - .offset:         144
        .size:           2
        .value_kind:     hidden_group_size_z
      - .offset:         146
        .size:           2
        .value_kind:     hidden_remainder_x
      - .offset:         148
        .size:           2
        .value_kind:     hidden_remainder_y
      - .offset:         150
        .size:           2
        .value_kind:     hidden_remainder_z
      - .offset:         168
        .size:           8
        .value_kind:     hidden_global_offset_x
      - .offset:         176
        .size:           8
        .value_kind:     hidden_global_offset_y
      - .offset:         184
        .size:           8
        .value_kind:     hidden_global_offset_z
      - .offset:         192
        .size:           2
        .value_kind:     hidden_grid_dims
      - .offset:         248
        .size:           4
        .value_kind:     hidden_dynamic_lds_size
    .group_segment_fixed_size: 496
    .kernarg_segment_align: 8
    .kernarg_segment_size: 384
    .language:       OpenCL C
    .language_version:
      - 2
      - 0
    .max_flat_workgroup_size: 1024
    .name:           _ZN4vllm25paged_attention_v1_kernelIfhLi120ELi32ELi128ELNS_18Fp8KVCacheDataTypeE1ELb0EEEvPT_PKS2_PKT0_S8_ifPKiSA_iPKfiiiSC_SC_iiiii
    .private_segment_fixed_size: 0
    .sgpr_count:     44
    .sgpr_spill_count: 0
    .symbol:         _ZN4vllm25paged_attention_v1_kernelIfhLi120ELi32ELi128ELNS_18Fp8KVCacheDataTypeE1ELb0EEEvPT_PKS2_PKT0_S8_ifPKiSA_iPKfiiiSC_SC_iiiii.kd
    .uniform_work_group_size: 1
    .uses_dynamic_stack: false
    .vgpr_count:     98
    .vgpr_spill_count: 0
    .wavefront_size: 64
  - .agpr_count:     0
    .args:
      - .actual_access:  write_only
        .address_space:  global
        .offset:         0
        .size:           8
        .value_kind:     global_buffer
      - .actual_access:  read_only
        .address_space:  global
        .offset:         8
        .size:           8
        .value_kind:     global_buffer
      - .actual_access:  read_only
        .address_space:  global
        .offset:         16
        .size:           8
        .value_kind:     global_buffer
      - .actual_access:  read_only
        .address_space:  global
        .offset:         24
        .size:           8
        .value_kind:     global_buffer
      - .offset:         32
        .size:           4
        .value_kind:     by_value
      - .offset:         36
        .size:           4
        .value_kind:     by_value
      - .actual_access:  read_only
        .address_space:  global
        .offset:         40
        .size:           8
        .value_kind:     global_buffer
      - .actual_access:  read_only
        .address_space:  global
        .offset:         48
        .size:           8
        .value_kind:     global_buffer
      - .offset:         56
        .size:           4
        .value_kind:     by_value
      - .actual_access:  read_only
        .address_space:  global
        .offset:         64
        .size:           8
        .value_kind:     global_buffer
      - .offset:         72
        .size:           4
        .value_kind:     by_value
      - .offset:         76
        .size:           4
        .value_kind:     by_value
      - .offset:         80
        .size:           4
        .value_kind:     by_value
      - .address_space:  global
        .offset:         88
        .size:           8
        .value_kind:     global_buffer
      - .address_space:  global
        .offset:         96
        .size:           8
        .value_kind:     global_buffer
      - .offset:         104
        .size:           4
        .value_kind:     by_value
      - .offset:         108
        .size:           4
        .value_kind:     by_value
      - .offset:         112
        .size:           4
        .value_kind:     by_value
      - .offset:         116
        .size:           4
        .value_kind:     by_value
      - .offset:         120
        .size:           4
        .value_kind:     by_value
      - .offset:         128
        .size:           4
        .value_kind:     hidden_block_count_x
      - .offset:         132
        .size:           4
        .value_kind:     hidden_block_count_y
      - .offset:         136
        .size:           4
        .value_kind:     hidden_block_count_z
      - .offset:         140
        .size:           2
        .value_kind:     hidden_group_size_x
      - .offset:         142
        .size:           2
        .value_kind:     hidden_group_size_y
      - .offset:         144
        .size:           2
        .value_kind:     hidden_group_size_z
      - .offset:         146
        .size:           2
        .value_kind:     hidden_remainder_x
      - .offset:         148
        .size:           2
        .value_kind:     hidden_remainder_y
      - .offset:         150
        .size:           2
        .value_kind:     hidden_remainder_z
      - .offset:         168
        .size:           8
        .value_kind:     hidden_global_offset_x
      - .offset:         176
        .size:           8
        .value_kind:     hidden_global_offset_y
      - .offset:         184
        .size:           8
        .value_kind:     hidden_global_offset_z
      - .offset:         192
        .size:           2
        .value_kind:     hidden_grid_dims
      - .offset:         248
        .size:           4
        .value_kind:     hidden_dynamic_lds_size
    .group_segment_fixed_size: 528
    .kernarg_segment_align: 8
    .kernarg_segment_size: 384
    .language:       OpenCL C
    .language_version:
      - 2
      - 0
    .max_flat_workgroup_size: 1024
    .name:           _ZN4vllm25paged_attention_v1_kernelIfhLi128ELi32ELi128ELNS_18Fp8KVCacheDataTypeE1ELb0EEEvPT_PKS2_PKT0_S8_ifPKiSA_iPKfiiiSC_SC_iiiii
    .private_segment_fixed_size: 0
    .sgpr_count:     46
    .sgpr_spill_count: 0
    .symbol:         _ZN4vllm25paged_attention_v1_kernelIfhLi128ELi32ELi128ELNS_18Fp8KVCacheDataTypeE1ELb0EEEvPT_PKS2_PKT0_S8_ifPKiSA_iPKfiiiSC_SC_iiiii.kd
    .uniform_work_group_size: 1
    .uses_dynamic_stack: false
    .vgpr_count:     109
    .vgpr_spill_count: 0
    .wavefront_size: 64
  - .agpr_count:     0
    .args:
      - .actual_access:  write_only
        .address_space:  global
        .offset:         0
        .size:           8
        .value_kind:     global_buffer
      - .actual_access:  read_only
        .address_space:  global
        .offset:         8
        .size:           8
        .value_kind:     global_buffer
      - .actual_access:  read_only
        .address_space:  global
        .offset:         16
        .size:           8
        .value_kind:     global_buffer
      - .actual_access:  read_only
        .address_space:  global
        .offset:         24
        .size:           8
        .value_kind:     global_buffer
      - .offset:         32
        .size:           4
        .value_kind:     by_value
      - .offset:         36
        .size:           4
        .value_kind:     by_value
      - .actual_access:  read_only
        .address_space:  global
        .offset:         40
        .size:           8
        .value_kind:     global_buffer
      - .actual_access:  read_only
        .address_space:  global
        .offset:         48
        .size:           8
        .value_kind:     global_buffer
      - .offset:         56
        .size:           4
        .value_kind:     by_value
      - .actual_access:  read_only
        .address_space:  global
        .offset:         64
        .size:           8
        .value_kind:     global_buffer
      - .offset:         72
        .size:           4
        .value_kind:     by_value
      - .offset:         76
        .size:           4
        .value_kind:     by_value
      - .offset:         80
        .size:           4
        .value_kind:     by_value
      - .address_space:  global
        .offset:         88
        .size:           8
        .value_kind:     global_buffer
      - .address_space:  global
        .offset:         96
        .size:           8
        .value_kind:     global_buffer
      - .offset:         104
        .size:           4
        .value_kind:     by_value
      - .offset:         108
        .size:           4
        .value_kind:     by_value
      - .offset:         112
        .size:           4
        .value_kind:     by_value
      - .offset:         116
        .size:           4
        .value_kind:     by_value
      - .offset:         120
        .size:           4
        .value_kind:     by_value
      - .offset:         128
        .size:           4
        .value_kind:     hidden_block_count_x
      - .offset:         132
        .size:           4
        .value_kind:     hidden_block_count_y
      - .offset:         136
        .size:           4
        .value_kind:     hidden_block_count_z
      - .offset:         140
        .size:           2
        .value_kind:     hidden_group_size_x
      - .offset:         142
        .size:           2
        .value_kind:     hidden_group_size_y
      - .offset:         144
        .size:           2
        .value_kind:     hidden_group_size_z
      - .offset:         146
        .size:           2
        .value_kind:     hidden_remainder_x
      - .offset:         148
        .size:           2
        .value_kind:     hidden_remainder_y
      - .offset:         150
        .size:           2
        .value_kind:     hidden_remainder_z
      - .offset:         168
        .size:           8
        .value_kind:     hidden_global_offset_x
      - .offset:         176
        .size:           8
        .value_kind:     hidden_global_offset_y
      - .offset:         184
        .size:           8
        .value_kind:     hidden_global_offset_z
      - .offset:         192
        .size:           2
        .value_kind:     hidden_grid_dims
      - .offset:         248
        .size:           4
        .value_kind:     hidden_dynamic_lds_size
    .group_segment_fixed_size: 784
    .kernarg_segment_align: 8
    .kernarg_segment_size: 384
    .language:       OpenCL C
    .language_version:
      - 2
      - 0
    .max_flat_workgroup_size: 1024
    .name:           _ZN4vllm25paged_attention_v1_kernelIfhLi192ELi32ELi128ELNS_18Fp8KVCacheDataTypeE1ELb0EEEvPT_PKS2_PKT0_S8_ifPKiSA_iPKfiiiSC_SC_iiiii
    .private_segment_fixed_size: 136
    .sgpr_count:     53
    .sgpr_spill_count: 0
    .symbol:         _ZN4vllm25paged_attention_v1_kernelIfhLi192ELi32ELi128ELNS_18Fp8KVCacheDataTypeE1ELb0EEEvPT_PKS2_PKT0_S8_ifPKiSA_iPKfiiiSC_SC_iiiii.kd
    .uniform_work_group_size: 1
    .uses_dynamic_stack: false
    .vgpr_count:     128
    .vgpr_spill_count: 40
    .wavefront_size: 64
  - .agpr_count:     0
    .args:
      - .actual_access:  write_only
        .address_space:  global
        .offset:         0
        .size:           8
        .value_kind:     global_buffer
      - .actual_access:  read_only
        .address_space:  global
        .offset:         8
        .size:           8
        .value_kind:     global_buffer
      - .actual_access:  read_only
        .address_space:  global
        .offset:         16
        .size:           8
        .value_kind:     global_buffer
      - .actual_access:  read_only
        .address_space:  global
        .offset:         24
        .size:           8
        .value_kind:     global_buffer
      - .offset:         32
        .size:           4
        .value_kind:     by_value
      - .offset:         36
        .size:           4
        .value_kind:     by_value
      - .actual_access:  read_only
        .address_space:  global
        .offset:         40
        .size:           8
        .value_kind:     global_buffer
      - .actual_access:  read_only
        .address_space:  global
        .offset:         48
        .size:           8
        .value_kind:     global_buffer
      - .offset:         56
        .size:           4
        .value_kind:     by_value
      - .actual_access:  read_only
        .address_space:  global
        .offset:         64
        .size:           8
        .value_kind:     global_buffer
      - .offset:         72
        .size:           4
        .value_kind:     by_value
      - .offset:         76
        .size:           4
        .value_kind:     by_value
      - .offset:         80
        .size:           4
        .value_kind:     by_value
      - .address_space:  global
        .offset:         88
        .size:           8
        .value_kind:     global_buffer
      - .address_space:  global
        .offset:         96
        .size:           8
        .value_kind:     global_buffer
      - .offset:         104
        .size:           4
        .value_kind:     by_value
      - .offset:         108
        .size:           4
        .value_kind:     by_value
      - .offset:         112
        .size:           4
        .value_kind:     by_value
      - .offset:         116
        .size:           4
        .value_kind:     by_value
      - .offset:         120
        .size:           4
        .value_kind:     by_value
      - .offset:         128
        .size:           4
        .value_kind:     hidden_block_count_x
      - .offset:         132
        .size:           4
        .value_kind:     hidden_block_count_y
      - .offset:         136
        .size:           4
        .value_kind:     hidden_block_count_z
      - .offset:         140
        .size:           2
        .value_kind:     hidden_group_size_x
      - .offset:         142
        .size:           2
        .value_kind:     hidden_group_size_y
      - .offset:         144
        .size:           2
        .value_kind:     hidden_group_size_z
      - .offset:         146
        .size:           2
        .value_kind:     hidden_remainder_x
      - .offset:         148
        .size:           2
        .value_kind:     hidden_remainder_y
      - .offset:         150
        .size:           2
        .value_kind:     hidden_remainder_z
      - .offset:         168
        .size:           8
        .value_kind:     hidden_global_offset_x
      - .offset:         176
        .size:           8
        .value_kind:     hidden_global_offset_y
      - .offset:         184
        .size:           8
        .value_kind:     hidden_global_offset_z
      - .offset:         192
        .size:           2
        .value_kind:     hidden_grid_dims
      - .offset:         248
        .size:           4
        .value_kind:     hidden_dynamic_lds_size
    .group_segment_fixed_size: 1040
    .kernarg_segment_align: 8
    .kernarg_segment_size: 384
    .language:       OpenCL C
    .language_version:
      - 2
      - 0
    .max_flat_workgroup_size: 1024
    .name:           _ZN4vllm25paged_attention_v1_kernelIfhLi256ELi32ELi128ELNS_18Fp8KVCacheDataTypeE1ELb0EEEvPT_PKS2_PKT0_S8_ifPKiSA_iPKfiiiSC_SC_iiiii
    .private_segment_fixed_size: 388
    .sgpr_count:     61
    .sgpr_spill_count: 0
    .symbol:         _ZN4vllm25paged_attention_v1_kernelIfhLi256ELi32ELi128ELNS_18Fp8KVCacheDataTypeE1ELb0EEEvPT_PKS2_PKT0_S8_ifPKiSA_iPKfiiiSC_SC_iiiii.kd
    .uniform_work_group_size: 1
    .uses_dynamic_stack: false
    .vgpr_count:     128
    .vgpr_spill_count: 156
    .wavefront_size: 64
  - .agpr_count:     0
    .args:
      - .actual_access:  write_only
        .address_space:  global
        .offset:         0
        .size:           8
        .value_kind:     global_buffer
      - .actual_access:  read_only
        .address_space:  global
        .offset:         8
        .size:           8
        .value_kind:     global_buffer
      - .actual_access:  read_only
        .address_space:  global
        .offset:         16
        .size:           8
        .value_kind:     global_buffer
      - .actual_access:  read_only
        .address_space:  global
        .offset:         24
        .size:           8
        .value_kind:     global_buffer
      - .offset:         32
        .size:           4
        .value_kind:     by_value
      - .offset:         36
        .size:           4
        .value_kind:     by_value
      - .actual_access:  read_only
        .address_space:  global
        .offset:         40
        .size:           8
        .value_kind:     global_buffer
      - .actual_access:  read_only
        .address_space:  global
        .offset:         48
        .size:           8
        .value_kind:     global_buffer
      - .offset:         56
        .size:           4
        .value_kind:     by_value
      - .actual_access:  read_only
        .address_space:  global
        .offset:         64
        .size:           8
        .value_kind:     global_buffer
      - .offset:         72
        .size:           4
        .value_kind:     by_value
      - .offset:         76
        .size:           4
        .value_kind:     by_value
      - .offset:         80
        .size:           4
        .value_kind:     by_value
      - .address_space:  global
        .offset:         88
        .size:           8
        .value_kind:     global_buffer
      - .address_space:  global
        .offset:         96
        .size:           8
        .value_kind:     global_buffer
      - .offset:         104
        .size:           4
        .value_kind:     by_value
      - .offset:         108
        .size:           4
        .value_kind:     by_value
      - .offset:         112
        .size:           4
        .value_kind:     by_value
      - .offset:         116
        .size:           4
        .value_kind:     by_value
      - .offset:         120
        .size:           4
        .value_kind:     by_value
      - .offset:         128
        .size:           4
        .value_kind:     hidden_block_count_x
      - .offset:         132
        .size:           4
        .value_kind:     hidden_block_count_y
      - .offset:         136
        .size:           4
        .value_kind:     hidden_block_count_z
      - .offset:         140
        .size:           2
        .value_kind:     hidden_group_size_x
      - .offset:         142
        .size:           2
        .value_kind:     hidden_group_size_y
      - .offset:         144
        .size:           2
        .value_kind:     hidden_group_size_z
      - .offset:         146
        .size:           2
        .value_kind:     hidden_remainder_x
      - .offset:         148
        .size:           2
        .value_kind:     hidden_remainder_y
      - .offset:         150
        .size:           2
        .value_kind:     hidden_remainder_z
      - .offset:         168
        .size:           8
        .value_kind:     hidden_global_offset_x
      - .offset:         176
        .size:           8
        .value_kind:     hidden_global_offset_y
      - .offset:         184
        .size:           8
        .value_kind:     hidden_global_offset_z
      - .offset:         192
        .size:           2
        .value_kind:     hidden_grid_dims
      - .offset:         248
        .size:           4
        .value_kind:     hidden_dynamic_lds_size
    .group_segment_fixed_size: 80
    .kernarg_segment_align: 8
    .kernarg_segment_size: 384
    .language:       OpenCL C
    .language_version:
      - 2
      - 0
    .max_flat_workgroup_size: 1024
    .name:           _ZN4vllm25paged_attention_v1_kernelIthLi32ELi8ELi128ELNS_18Fp8KVCacheDataTypeE1ELb1EEEvPT_PKS2_PKT0_S8_ifPKiSA_iPKfiiiSC_SC_iiiii
    .private_segment_fixed_size: 0
    .sgpr_count:     54
    .sgpr_spill_count: 0
    .symbol:         _ZN4vllm25paged_attention_v1_kernelIthLi32ELi8ELi128ELNS_18Fp8KVCacheDataTypeE1ELb1EEEvPT_PKS2_PKT0_S8_ifPKiSA_iPKfiiiSC_SC_iiiii.kd
    .uniform_work_group_size: 1
    .uses_dynamic_stack: false
    .vgpr_count:     35
    .vgpr_spill_count: 0
    .wavefront_size: 64
  - .agpr_count:     0
    .args:
      - .actual_access:  write_only
        .address_space:  global
        .offset:         0
        .size:           8
        .value_kind:     global_buffer
      - .actual_access:  read_only
        .address_space:  global
        .offset:         8
        .size:           8
        .value_kind:     global_buffer
      - .actual_access:  read_only
        .address_space:  global
        .offset:         16
        .size:           8
        .value_kind:     global_buffer
      - .actual_access:  read_only
        .address_space:  global
        .offset:         24
        .size:           8
        .value_kind:     global_buffer
      - .offset:         32
        .size:           4
        .value_kind:     by_value
      - .offset:         36
        .size:           4
        .value_kind:     by_value
      - .actual_access:  read_only
        .address_space:  global
        .offset:         40
        .size:           8
        .value_kind:     global_buffer
      - .actual_access:  read_only
        .address_space:  global
        .offset:         48
        .size:           8
        .value_kind:     global_buffer
      - .offset:         56
        .size:           4
        .value_kind:     by_value
      - .actual_access:  read_only
        .address_space:  global
        .offset:         64
        .size:           8
        .value_kind:     global_buffer
      - .offset:         72
        .size:           4
        .value_kind:     by_value
      - .offset:         76
        .size:           4
        .value_kind:     by_value
      - .offset:         80
        .size:           4
        .value_kind:     by_value
      - .address_space:  global
        .offset:         88
        .size:           8
        .value_kind:     global_buffer
      - .address_space:  global
        .offset:         96
        .size:           8
        .value_kind:     global_buffer
      - .offset:         104
        .size:           4
        .value_kind:     by_value
      - .offset:         108
        .size:           4
        .value_kind:     by_value
      - .offset:         112
        .size:           4
        .value_kind:     by_value
      - .offset:         116
        .size:           4
        .value_kind:     by_value
      - .offset:         120
        .size:           4
        .value_kind:     by_value
      - .offset:         128
        .size:           4
        .value_kind:     hidden_block_count_x
      - .offset:         132
        .size:           4
        .value_kind:     hidden_block_count_y
      - .offset:         136
        .size:           4
        .value_kind:     hidden_block_count_z
      - .offset:         140
        .size:           2
        .value_kind:     hidden_group_size_x
      - .offset:         142
        .size:           2
        .value_kind:     hidden_group_size_y
      - .offset:         144
        .size:           2
        .value_kind:     hidden_group_size_z
      - .offset:         146
        .size:           2
        .value_kind:     hidden_remainder_x
      - .offset:         148
        .size:           2
        .value_kind:     hidden_remainder_y
      - .offset:         150
        .size:           2
        .value_kind:     hidden_remainder_z
      - .offset:         168
        .size:           8
        .value_kind:     hidden_global_offset_x
      - .offset:         176
        .size:           8
        .value_kind:     hidden_global_offset_y
      - .offset:         184
        .size:           8
        .value_kind:     hidden_global_offset_z
      - .offset:         192
        .size:           2
        .value_kind:     hidden_grid_dims
      - .offset:         248
        .size:           4
        .value_kind:     hidden_dynamic_lds_size
    .group_segment_fixed_size: 144
    .kernarg_segment_align: 8
    .kernarg_segment_size: 384
    .language:       OpenCL C
    .language_version:
      - 2
      - 0
    .max_flat_workgroup_size: 1024
    .name:           _ZN4vllm25paged_attention_v1_kernelIthLi64ELi8ELi128ELNS_18Fp8KVCacheDataTypeE1ELb1EEEvPT_PKS2_PKT0_S8_ifPKiSA_iPKfiiiSC_SC_iiiii
    .private_segment_fixed_size: 0
    .sgpr_count:     56
    .sgpr_spill_count: 0
    .symbol:         _ZN4vllm25paged_attention_v1_kernelIthLi64ELi8ELi128ELNS_18Fp8KVCacheDataTypeE1ELb1EEEvPT_PKS2_PKT0_S8_ifPKiSA_iPKfiiiSC_SC_iiiii.kd
    .uniform_work_group_size: 1
    .uses_dynamic_stack: false
    .vgpr_count:     41
    .vgpr_spill_count: 0
    .wavefront_size: 64
  - .agpr_count:     0
    .args:
      - .actual_access:  write_only
        .address_space:  global
        .offset:         0
        .size:           8
        .value_kind:     global_buffer
      - .actual_access:  read_only
        .address_space:  global
        .offset:         8
        .size:           8
        .value_kind:     global_buffer
      - .actual_access:  read_only
        .address_space:  global
        .offset:         16
        .size:           8
        .value_kind:     global_buffer
      - .actual_access:  read_only
        .address_space:  global
        .offset:         24
        .size:           8
        .value_kind:     global_buffer
      - .offset:         32
        .size:           4
        .value_kind:     by_value
      - .offset:         36
        .size:           4
        .value_kind:     by_value
      - .actual_access:  read_only
        .address_space:  global
        .offset:         40
        .size:           8
        .value_kind:     global_buffer
      - .actual_access:  read_only
        .address_space:  global
        .offset:         48
        .size:           8
        .value_kind:     global_buffer
      - .offset:         56
        .size:           4
        .value_kind:     by_value
      - .actual_access:  read_only
        .address_space:  global
        .offset:         64
        .size:           8
        .value_kind:     global_buffer
      - .offset:         72
        .size:           4
        .value_kind:     by_value
      - .offset:         76
        .size:           4
        .value_kind:     by_value
      - .offset:         80
        .size:           4
        .value_kind:     by_value
      - .address_space:  global
        .offset:         88
        .size:           8
        .value_kind:     global_buffer
      - .address_space:  global
        .offset:         96
        .size:           8
        .value_kind:     global_buffer
      - .offset:         104
        .size:           4
        .value_kind:     by_value
      - .offset:         108
        .size:           4
        .value_kind:     by_value
      - .offset:         112
        .size:           4
        .value_kind:     by_value
      - .offset:         116
        .size:           4
        .value_kind:     by_value
      - .offset:         120
        .size:           4
        .value_kind:     by_value
      - .offset:         128
        .size:           4
        .value_kind:     hidden_block_count_x
      - .offset:         132
        .size:           4
        .value_kind:     hidden_block_count_y
      - .offset:         136
        .size:           4
        .value_kind:     hidden_block_count_z
      - .offset:         140
        .size:           2
        .value_kind:     hidden_group_size_x
      - .offset:         142
        .size:           2
        .value_kind:     hidden_group_size_y
      - .offset:         144
        .size:           2
        .value_kind:     hidden_group_size_z
      - .offset:         146
        .size:           2
        .value_kind:     hidden_remainder_x
      - .offset:         148
        .size:           2
        .value_kind:     hidden_remainder_y
      - .offset:         150
        .size:           2
        .value_kind:     hidden_remainder_z
      - .offset:         168
        .size:           8
        .value_kind:     hidden_global_offset_x
      - .offset:         176
        .size:           8
        .value_kind:     hidden_global_offset_y
      - .offset:         184
        .size:           8
        .value_kind:     hidden_global_offset_z
      - .offset:         192
        .size:           2
        .value_kind:     hidden_grid_dims
      - .offset:         248
        .size:           4
        .value_kind:     hidden_dynamic_lds_size
    .group_segment_fixed_size: 176
    .kernarg_segment_align: 8
    .kernarg_segment_size: 384
    .language:       OpenCL C
    .language_version:
      - 2
      - 0
    .max_flat_workgroup_size: 1024
    .name:           _ZN4vllm25paged_attention_v1_kernelIthLi80ELi8ELi128ELNS_18Fp8KVCacheDataTypeE1ELb1EEEvPT_PKS2_PKT0_S8_ifPKiSA_iPKfiiiSC_SC_iiiii
    .private_segment_fixed_size: 0
    .sgpr_count:     58
    .sgpr_spill_count: 0
    .symbol:         _ZN4vllm25paged_attention_v1_kernelIthLi80ELi8ELi128ELNS_18Fp8KVCacheDataTypeE1ELb1EEEvPT_PKS2_PKT0_S8_ifPKiSA_iPKfiiiSC_SC_iiiii.kd
    .uniform_work_group_size: 1
    .uses_dynamic_stack: false
    .vgpr_count:     45
    .vgpr_spill_count: 0
    .wavefront_size: 64
  - .agpr_count:     0
    .args:
      - .actual_access:  write_only
        .address_space:  global
        .offset:         0
        .size:           8
        .value_kind:     global_buffer
      - .actual_access:  read_only
        .address_space:  global
        .offset:         8
        .size:           8
        .value_kind:     global_buffer
      - .actual_access:  read_only
        .address_space:  global
        .offset:         16
        .size:           8
        .value_kind:     global_buffer
      - .actual_access:  read_only
        .address_space:  global
        .offset:         24
        .size:           8
        .value_kind:     global_buffer
      - .offset:         32
        .size:           4
        .value_kind:     by_value
      - .offset:         36
        .size:           4
        .value_kind:     by_value
      - .actual_access:  read_only
        .address_space:  global
        .offset:         40
        .size:           8
        .value_kind:     global_buffer
      - .actual_access:  read_only
        .address_space:  global
        .offset:         48
        .size:           8
        .value_kind:     global_buffer
      - .offset:         56
        .size:           4
        .value_kind:     by_value
      - .actual_access:  read_only
        .address_space:  global
        .offset:         64
        .size:           8
        .value_kind:     global_buffer
      - .offset:         72
        .size:           4
        .value_kind:     by_value
      - .offset:         76
        .size:           4
        .value_kind:     by_value
      - .offset:         80
        .size:           4
        .value_kind:     by_value
      - .address_space:  global
        .offset:         88
        .size:           8
        .value_kind:     global_buffer
      - .address_space:  global
        .offset:         96
        .size:           8
        .value_kind:     global_buffer
      - .offset:         104
        .size:           4
        .value_kind:     by_value
      - .offset:         108
        .size:           4
        .value_kind:     by_value
      - .offset:         112
        .size:           4
        .value_kind:     by_value
      - .offset:         116
        .size:           4
        .value_kind:     by_value
      - .offset:         120
        .size:           4
        .value_kind:     by_value
      - .offset:         128
        .size:           4
        .value_kind:     hidden_block_count_x
      - .offset:         132
        .size:           4
        .value_kind:     hidden_block_count_y
      - .offset:         136
        .size:           4
        .value_kind:     hidden_block_count_z
      - .offset:         140
        .size:           2
        .value_kind:     hidden_group_size_x
      - .offset:         142
        .size:           2
        .value_kind:     hidden_group_size_y
      - .offset:         144
        .size:           2
        .value_kind:     hidden_group_size_z
      - .offset:         146
        .size:           2
        .value_kind:     hidden_remainder_x
      - .offset:         148
        .size:           2
        .value_kind:     hidden_remainder_y
      - .offset:         150
        .size:           2
        .value_kind:     hidden_remainder_z
      - .offset:         168
        .size:           8
        .value_kind:     hidden_global_offset_x
      - .offset:         176
        .size:           8
        .value_kind:     hidden_global_offset_y
      - .offset:         184
        .size:           8
        .value_kind:     hidden_global_offset_z
      - .offset:         192
        .size:           2
        .value_kind:     hidden_grid_dims
      - .offset:         248
        .size:           4
        .value_kind:     hidden_dynamic_lds_size
    .group_segment_fixed_size: 208
    .kernarg_segment_align: 8
    .kernarg_segment_size: 384
    .language:       OpenCL C
    .language_version:
      - 2
      - 0
    .max_flat_workgroup_size: 1024
    .name:           _ZN4vllm25paged_attention_v1_kernelIthLi96ELi8ELi128ELNS_18Fp8KVCacheDataTypeE1ELb1EEEvPT_PKS2_PKT0_S8_ifPKiSA_iPKfiiiSC_SC_iiiii
    .private_segment_fixed_size: 0
    .sgpr_count:     58
    .sgpr_spill_count: 0
    .symbol:         _ZN4vllm25paged_attention_v1_kernelIthLi96ELi8ELi128ELNS_18Fp8KVCacheDataTypeE1ELb1EEEvPT_PKS2_PKT0_S8_ifPKiSA_iPKfiiiSC_SC_iiiii.kd
    .uniform_work_group_size: 1
    .uses_dynamic_stack: false
    .vgpr_count:     49
    .vgpr_spill_count: 0
    .wavefront_size: 64
  - .agpr_count:     0
    .args:
      - .actual_access:  write_only
        .address_space:  global
        .offset:         0
        .size:           8
        .value_kind:     global_buffer
      - .actual_access:  read_only
        .address_space:  global
        .offset:         8
        .size:           8
        .value_kind:     global_buffer
      - .actual_access:  read_only
        .address_space:  global
        .offset:         16
        .size:           8
        .value_kind:     global_buffer
      - .actual_access:  read_only
        .address_space:  global
        .offset:         24
        .size:           8
        .value_kind:     global_buffer
      - .offset:         32
        .size:           4
        .value_kind:     by_value
      - .offset:         36
        .size:           4
        .value_kind:     by_value
      - .actual_access:  read_only
        .address_space:  global
        .offset:         40
        .size:           8
        .value_kind:     global_buffer
      - .actual_access:  read_only
        .address_space:  global
        .offset:         48
        .size:           8
        .value_kind:     global_buffer
      - .offset:         56
        .size:           4
        .value_kind:     by_value
      - .actual_access:  read_only
        .address_space:  global
        .offset:         64
        .size:           8
        .value_kind:     global_buffer
      - .offset:         72
        .size:           4
        .value_kind:     by_value
      - .offset:         76
        .size:           4
        .value_kind:     by_value
      - .offset:         80
        .size:           4
        .value_kind:     by_value
      - .address_space:  global
        .offset:         88
        .size:           8
        .value_kind:     global_buffer
      - .address_space:  global
        .offset:         96
        .size:           8
        .value_kind:     global_buffer
      - .offset:         104
        .size:           4
        .value_kind:     by_value
      - .offset:         108
        .size:           4
        .value_kind:     by_value
      - .offset:         112
        .size:           4
        .value_kind:     by_value
      - .offset:         116
        .size:           4
        .value_kind:     by_value
      - .offset:         120
        .size:           4
        .value_kind:     by_value
      - .offset:         128
        .size:           4
        .value_kind:     hidden_block_count_x
      - .offset:         132
        .size:           4
        .value_kind:     hidden_block_count_y
      - .offset:         136
        .size:           4
        .value_kind:     hidden_block_count_z
      - .offset:         140
        .size:           2
        .value_kind:     hidden_group_size_x
      - .offset:         142
        .size:           2
        .value_kind:     hidden_group_size_y
      - .offset:         144
        .size:           2
        .value_kind:     hidden_group_size_z
      - .offset:         146
        .size:           2
        .value_kind:     hidden_remainder_x
      - .offset:         148
        .size:           2
        .value_kind:     hidden_remainder_y
      - .offset:         150
        .size:           2
        .value_kind:     hidden_remainder_z
      - .offset:         168
        .size:           8
        .value_kind:     hidden_global_offset_x
      - .offset:         176
        .size:           8
        .value_kind:     hidden_global_offset_y
      - .offset:         184
        .size:           8
        .value_kind:     hidden_global_offset_z
      - .offset:         192
        .size:           2
        .value_kind:     hidden_grid_dims
      - .offset:         248
        .size:           4
        .value_kind:     hidden_dynamic_lds_size
    .group_segment_fixed_size: 240
    .kernarg_segment_align: 8
    .kernarg_segment_size: 384
    .language:       OpenCL C
    .language_version:
      - 2
      - 0
    .max_flat_workgroup_size: 1024
    .name:           _ZN4vllm25paged_attention_v1_kernelIthLi112ELi8ELi128ELNS_18Fp8KVCacheDataTypeE1ELb1EEEvPT_PKS2_PKT0_S8_ifPKiSA_iPKfiiiSC_SC_iiiii
    .private_segment_fixed_size: 0
    .sgpr_count:     58
    .sgpr_spill_count: 0
    .symbol:         _ZN4vllm25paged_attention_v1_kernelIthLi112ELi8ELi128ELNS_18Fp8KVCacheDataTypeE1ELb1EEEvPT_PKS2_PKT0_S8_ifPKiSA_iPKfiiiSC_SC_iiiii.kd
    .uniform_work_group_size: 1
    .uses_dynamic_stack: false
    .vgpr_count:     52
    .vgpr_spill_count: 0
    .wavefront_size: 64
  - .agpr_count:     0
    .args:
      - .actual_access:  write_only
        .address_space:  global
        .offset:         0
        .size:           8
        .value_kind:     global_buffer
      - .actual_access:  read_only
        .address_space:  global
        .offset:         8
        .size:           8
        .value_kind:     global_buffer
      - .actual_access:  read_only
        .address_space:  global
        .offset:         16
        .size:           8
        .value_kind:     global_buffer
      - .actual_access:  read_only
        .address_space:  global
        .offset:         24
        .size:           8
        .value_kind:     global_buffer
      - .offset:         32
        .size:           4
        .value_kind:     by_value
      - .offset:         36
        .size:           4
        .value_kind:     by_value
      - .actual_access:  read_only
        .address_space:  global
        .offset:         40
        .size:           8
        .value_kind:     global_buffer
      - .actual_access:  read_only
        .address_space:  global
        .offset:         48
        .size:           8
        .value_kind:     global_buffer
      - .offset:         56
        .size:           4
        .value_kind:     by_value
      - .actual_access:  read_only
        .address_space:  global
        .offset:         64
        .size:           8
        .value_kind:     global_buffer
      - .offset:         72
        .size:           4
        .value_kind:     by_value
      - .offset:         76
        .size:           4
        .value_kind:     by_value
      - .offset:         80
        .size:           4
        .value_kind:     by_value
      - .address_space:  global
        .offset:         88
        .size:           8
        .value_kind:     global_buffer
      - .address_space:  global
        .offset:         96
        .size:           8
        .value_kind:     global_buffer
      - .offset:         104
        .size:           4
        .value_kind:     by_value
      - .offset:         108
        .size:           4
        .value_kind:     by_value
      - .offset:         112
        .size:           4
        .value_kind:     by_value
      - .offset:         116
        .size:           4
        .value_kind:     by_value
      - .offset:         120
        .size:           4
        .value_kind:     by_value
      - .offset:         128
        .size:           4
        .value_kind:     hidden_block_count_x
      - .offset:         132
        .size:           4
        .value_kind:     hidden_block_count_y
      - .offset:         136
        .size:           4
        .value_kind:     hidden_block_count_z
      - .offset:         140
        .size:           2
        .value_kind:     hidden_group_size_x
      - .offset:         142
        .size:           2
        .value_kind:     hidden_group_size_y
      - .offset:         144
        .size:           2
        .value_kind:     hidden_group_size_z
      - .offset:         146
        .size:           2
        .value_kind:     hidden_remainder_x
      - .offset:         148
        .size:           2
        .value_kind:     hidden_remainder_y
      - .offset:         150
        .size:           2
        .value_kind:     hidden_remainder_z
      - .offset:         168
        .size:           8
        .value_kind:     hidden_global_offset_x
      - .offset:         176
        .size:           8
        .value_kind:     hidden_global_offset_y
      - .offset:         184
        .size:           8
        .value_kind:     hidden_global_offset_z
      - .offset:         192
        .size:           2
        .value_kind:     hidden_grid_dims
      - .offset:         248
        .size:           4
        .value_kind:     hidden_dynamic_lds_size
    .group_segment_fixed_size: 256
    .kernarg_segment_align: 8
    .kernarg_segment_size: 384
    .language:       OpenCL C
    .language_version:
      - 2
      - 0
    .max_flat_workgroup_size: 1024
    .name:           _ZN4vllm25paged_attention_v1_kernelIthLi120ELi8ELi128ELNS_18Fp8KVCacheDataTypeE1ELb1EEEvPT_PKS2_PKT0_S8_ifPKiSA_iPKfiiiSC_SC_iiiii
    .private_segment_fixed_size: 0
    .sgpr_count:     58
    .sgpr_spill_count: 0
    .symbol:         _ZN4vllm25paged_attention_v1_kernelIthLi120ELi8ELi128ELNS_18Fp8KVCacheDataTypeE1ELb1EEEvPT_PKS2_PKT0_S8_ifPKiSA_iPKfiiiSC_SC_iiiii.kd
    .uniform_work_group_size: 1
    .uses_dynamic_stack: false
    .vgpr_count:     54
    .vgpr_spill_count: 0
    .wavefront_size: 64
  - .agpr_count:     0
    .args:
      - .actual_access:  write_only
        .address_space:  global
        .offset:         0
        .size:           8
        .value_kind:     global_buffer
      - .actual_access:  read_only
        .address_space:  global
        .offset:         8
        .size:           8
        .value_kind:     global_buffer
      - .actual_access:  read_only
        .address_space:  global
        .offset:         16
        .size:           8
        .value_kind:     global_buffer
      - .actual_access:  read_only
        .address_space:  global
        .offset:         24
        .size:           8
        .value_kind:     global_buffer
      - .offset:         32
        .size:           4
        .value_kind:     by_value
      - .offset:         36
        .size:           4
        .value_kind:     by_value
      - .actual_access:  read_only
        .address_space:  global
        .offset:         40
        .size:           8
        .value_kind:     global_buffer
      - .actual_access:  read_only
        .address_space:  global
        .offset:         48
        .size:           8
        .value_kind:     global_buffer
      - .offset:         56
        .size:           4
        .value_kind:     by_value
      - .actual_access:  read_only
        .address_space:  global
        .offset:         64
        .size:           8
        .value_kind:     global_buffer
      - .offset:         72
        .size:           4
        .value_kind:     by_value
      - .offset:         76
        .size:           4
        .value_kind:     by_value
      - .offset:         80
        .size:           4
        .value_kind:     by_value
      - .address_space:  global
        .offset:         88
        .size:           8
        .value_kind:     global_buffer
      - .address_space:  global
        .offset:         96
        .size:           8
        .value_kind:     global_buffer
      - .offset:         104
        .size:           4
        .value_kind:     by_value
      - .offset:         108
        .size:           4
        .value_kind:     by_value
      - .offset:         112
        .size:           4
        .value_kind:     by_value
      - .offset:         116
        .size:           4
        .value_kind:     by_value
      - .offset:         120
        .size:           4
        .value_kind:     by_value
      - .offset:         128
        .size:           4
        .value_kind:     hidden_block_count_x
      - .offset:         132
        .size:           4
        .value_kind:     hidden_block_count_y
      - .offset:         136
        .size:           4
        .value_kind:     hidden_block_count_z
      - .offset:         140
        .size:           2
        .value_kind:     hidden_group_size_x
      - .offset:         142
        .size:           2
        .value_kind:     hidden_group_size_y
      - .offset:         144
        .size:           2
        .value_kind:     hidden_group_size_z
      - .offset:         146
        .size:           2
        .value_kind:     hidden_remainder_x
      - .offset:         148
        .size:           2
        .value_kind:     hidden_remainder_y
      - .offset:         150
        .size:           2
        .value_kind:     hidden_remainder_z
      - .offset:         168
        .size:           8
        .value_kind:     hidden_global_offset_x
      - .offset:         176
        .size:           8
        .value_kind:     hidden_global_offset_y
      - .offset:         184
        .size:           8
        .value_kind:     hidden_global_offset_z
      - .offset:         192
        .size:           2
        .value_kind:     hidden_grid_dims
      - .offset:         248
        .size:           4
        .value_kind:     hidden_dynamic_lds_size
    .group_segment_fixed_size: 272
    .kernarg_segment_align: 8
    .kernarg_segment_size: 384
    .language:       OpenCL C
    .language_version:
      - 2
      - 0
    .max_flat_workgroup_size: 1024
    .name:           _ZN4vllm25paged_attention_v1_kernelIthLi128ELi8ELi128ELNS_18Fp8KVCacheDataTypeE1ELb1EEEvPT_PKS2_PKT0_S8_ifPKiSA_iPKfiiiSC_SC_iiiii
    .private_segment_fixed_size: 0
    .sgpr_count:     54
    .sgpr_spill_count: 0
    .symbol:         _ZN4vllm25paged_attention_v1_kernelIthLi128ELi8ELi128ELNS_18Fp8KVCacheDataTypeE1ELb1EEEvPT_PKS2_PKT0_S8_ifPKiSA_iPKfiiiSC_SC_iiiii.kd
    .uniform_work_group_size: 1
    .uses_dynamic_stack: false
    .vgpr_count:     56
    .vgpr_spill_count: 0
    .wavefront_size: 64
  - .agpr_count:     0
    .args:
      - .actual_access:  write_only
        .address_space:  global
        .offset:         0
        .size:           8
        .value_kind:     global_buffer
      - .actual_access:  read_only
        .address_space:  global
        .offset:         8
        .size:           8
        .value_kind:     global_buffer
      - .actual_access:  read_only
        .address_space:  global
        .offset:         16
        .size:           8
        .value_kind:     global_buffer
      - .actual_access:  read_only
        .address_space:  global
        .offset:         24
        .size:           8
        .value_kind:     global_buffer
      - .offset:         32
        .size:           4
        .value_kind:     by_value
      - .offset:         36
        .size:           4
        .value_kind:     by_value
      - .actual_access:  read_only
        .address_space:  global
        .offset:         40
        .size:           8
        .value_kind:     global_buffer
      - .actual_access:  read_only
        .address_space:  global
        .offset:         48
        .size:           8
        .value_kind:     global_buffer
      - .offset:         56
        .size:           4
        .value_kind:     by_value
      - .actual_access:  read_only
        .address_space:  global
        .offset:         64
        .size:           8
        .value_kind:     global_buffer
      - .offset:         72
        .size:           4
        .value_kind:     by_value
      - .offset:         76
        .size:           4
        .value_kind:     by_value
      - .offset:         80
        .size:           4
        .value_kind:     by_value
      - .address_space:  global
        .offset:         88
        .size:           8
        .value_kind:     global_buffer
      - .address_space:  global
        .offset:         96
        .size:           8
        .value_kind:     global_buffer
      - .offset:         104
        .size:           4
        .value_kind:     by_value
      - .offset:         108
        .size:           4
        .value_kind:     by_value
      - .offset:         112
        .size:           4
        .value_kind:     by_value
      - .offset:         116
        .size:           4
        .value_kind:     by_value
      - .offset:         120
        .size:           4
        .value_kind:     by_value
      - .offset:         128
        .size:           4
        .value_kind:     hidden_block_count_x
      - .offset:         132
        .size:           4
        .value_kind:     hidden_block_count_y
      - .offset:         136
        .size:           4
        .value_kind:     hidden_block_count_z
      - .offset:         140
        .size:           2
        .value_kind:     hidden_group_size_x
      - .offset:         142
        .size:           2
        .value_kind:     hidden_group_size_y
      - .offset:         144
        .size:           2
        .value_kind:     hidden_group_size_z
      - .offset:         146
        .size:           2
        .value_kind:     hidden_remainder_x
      - .offset:         148
        .size:           2
        .value_kind:     hidden_remainder_y
      - .offset:         150
        .size:           2
        .value_kind:     hidden_remainder_z
      - .offset:         168
        .size:           8
        .value_kind:     hidden_global_offset_x
      - .offset:         176
        .size:           8
        .value_kind:     hidden_global_offset_y
      - .offset:         184
        .size:           8
        .value_kind:     hidden_global_offset_z
      - .offset:         192
        .size:           2
        .value_kind:     hidden_grid_dims
      - .offset:         248
        .size:           4
        .value_kind:     hidden_dynamic_lds_size
    .group_segment_fixed_size: 400
    .kernarg_segment_align: 8
    .kernarg_segment_size: 384
    .language:       OpenCL C
    .language_version:
      - 2
      - 0
    .max_flat_workgroup_size: 1024
    .name:           _ZN4vllm25paged_attention_v1_kernelIthLi192ELi8ELi128ELNS_18Fp8KVCacheDataTypeE1ELb1EEEvPT_PKS2_PKT0_S8_ifPKiSA_iPKfiiiSC_SC_iiiii
    .private_segment_fixed_size: 0
    .sgpr_count:     54
    .sgpr_spill_count: 0
    .symbol:         _ZN4vllm25paged_attention_v1_kernelIthLi192ELi8ELi128ELNS_18Fp8KVCacheDataTypeE1ELb1EEEvPT_PKS2_PKT0_S8_ifPKiSA_iPKfiiiSC_SC_iiiii.kd
    .uniform_work_group_size: 1
    .uses_dynamic_stack: false
    .vgpr_count:     69
    .vgpr_spill_count: 0
    .wavefront_size: 64
  - .agpr_count:     0
    .args:
      - .actual_access:  write_only
        .address_space:  global
        .offset:         0
        .size:           8
        .value_kind:     global_buffer
      - .actual_access:  read_only
        .address_space:  global
        .offset:         8
        .size:           8
        .value_kind:     global_buffer
      - .actual_access:  read_only
        .address_space:  global
        .offset:         16
        .size:           8
        .value_kind:     global_buffer
      - .actual_access:  read_only
        .address_space:  global
        .offset:         24
        .size:           8
        .value_kind:     global_buffer
      - .offset:         32
        .size:           4
        .value_kind:     by_value
      - .offset:         36
        .size:           4
        .value_kind:     by_value
      - .actual_access:  read_only
        .address_space:  global
        .offset:         40
        .size:           8
        .value_kind:     global_buffer
      - .actual_access:  read_only
        .address_space:  global
        .offset:         48
        .size:           8
        .value_kind:     global_buffer
      - .offset:         56
        .size:           4
        .value_kind:     by_value
      - .actual_access:  read_only
        .address_space:  global
        .offset:         64
        .size:           8
        .value_kind:     global_buffer
      - .offset:         72
        .size:           4
        .value_kind:     by_value
      - .offset:         76
        .size:           4
        .value_kind:     by_value
      - .offset:         80
        .size:           4
        .value_kind:     by_value
      - .address_space:  global
        .offset:         88
        .size:           8
        .value_kind:     global_buffer
      - .address_space:  global
        .offset:         96
        .size:           8
        .value_kind:     global_buffer
      - .offset:         104
        .size:           4
        .value_kind:     by_value
      - .offset:         108
        .size:           4
        .value_kind:     by_value
      - .offset:         112
        .size:           4
        .value_kind:     by_value
      - .offset:         116
        .size:           4
        .value_kind:     by_value
      - .offset:         120
        .size:           4
        .value_kind:     by_value
      - .offset:         128
        .size:           4
        .value_kind:     hidden_block_count_x
      - .offset:         132
        .size:           4
        .value_kind:     hidden_block_count_y
      - .offset:         136
        .size:           4
        .value_kind:     hidden_block_count_z
      - .offset:         140
        .size:           2
        .value_kind:     hidden_group_size_x
      - .offset:         142
        .size:           2
        .value_kind:     hidden_group_size_y
      - .offset:         144
        .size:           2
        .value_kind:     hidden_group_size_z
      - .offset:         146
        .size:           2
        .value_kind:     hidden_remainder_x
      - .offset:         148
        .size:           2
        .value_kind:     hidden_remainder_y
      - .offset:         150
        .size:           2
        .value_kind:     hidden_remainder_z
      - .offset:         168
        .size:           8
        .value_kind:     hidden_global_offset_x
      - .offset:         176
        .size:           8
        .value_kind:     hidden_global_offset_y
      - .offset:         184
        .size:           8
        .value_kind:     hidden_global_offset_z
      - .offset:         192
        .size:           2
        .value_kind:     hidden_grid_dims
      - .offset:         248
        .size:           4
        .value_kind:     hidden_dynamic_lds_size
    .group_segment_fixed_size: 528
    .kernarg_segment_align: 8
    .kernarg_segment_size: 384
    .language:       OpenCL C
    .language_version:
      - 2
      - 0
    .max_flat_workgroup_size: 1024
    .name:           _ZN4vllm25paged_attention_v1_kernelIthLi256ELi8ELi128ELNS_18Fp8KVCacheDataTypeE1ELb1EEEvPT_PKS2_PKT0_S8_ifPKiSA_iPKfiiiSC_SC_iiiii
    .private_segment_fixed_size: 0
    .sgpr_count:     54
    .sgpr_spill_count: 0
    .symbol:         _ZN4vllm25paged_attention_v1_kernelIthLi256ELi8ELi128ELNS_18Fp8KVCacheDataTypeE1ELb1EEEvPT_PKS2_PKT0_S8_ifPKiSA_iPKfiiiSC_SC_iiiii.kd
    .uniform_work_group_size: 1
    .uses_dynamic_stack: false
    .vgpr_count:     83
    .vgpr_spill_count: 0
    .wavefront_size: 64
  - .agpr_count:     0
    .args:
      - .actual_access:  write_only
        .address_space:  global
        .offset:         0
        .size:           8
        .value_kind:     global_buffer
      - .actual_access:  read_only
        .address_space:  global
        .offset:         8
        .size:           8
        .value_kind:     global_buffer
      - .actual_access:  read_only
        .address_space:  global
        .offset:         16
        .size:           8
        .value_kind:     global_buffer
      - .actual_access:  read_only
        .address_space:  global
        .offset:         24
        .size:           8
        .value_kind:     global_buffer
      - .offset:         32
        .size:           4
        .value_kind:     by_value
      - .offset:         36
        .size:           4
        .value_kind:     by_value
      - .actual_access:  read_only
        .address_space:  global
        .offset:         40
        .size:           8
        .value_kind:     global_buffer
      - .actual_access:  read_only
        .address_space:  global
        .offset:         48
        .size:           8
        .value_kind:     global_buffer
      - .offset:         56
        .size:           4
        .value_kind:     by_value
      - .actual_access:  read_only
        .address_space:  global
        .offset:         64
        .size:           8
        .value_kind:     global_buffer
      - .offset:         72
        .size:           4
        .value_kind:     by_value
      - .offset:         76
        .size:           4
        .value_kind:     by_value
      - .offset:         80
        .size:           4
        .value_kind:     by_value
      - .address_space:  global
        .offset:         88
        .size:           8
        .value_kind:     global_buffer
      - .address_space:  global
        .offset:         96
        .size:           8
        .value_kind:     global_buffer
      - .offset:         104
        .size:           4
        .value_kind:     by_value
      - .offset:         108
        .size:           4
        .value_kind:     by_value
      - .offset:         112
        .size:           4
        .value_kind:     by_value
      - .offset:         116
        .size:           4
        .value_kind:     by_value
      - .offset:         120
        .size:           4
        .value_kind:     by_value
      - .offset:         128
        .size:           4
        .value_kind:     hidden_block_count_x
      - .offset:         132
        .size:           4
        .value_kind:     hidden_block_count_y
      - .offset:         136
        .size:           4
        .value_kind:     hidden_block_count_z
      - .offset:         140
        .size:           2
        .value_kind:     hidden_group_size_x
      - .offset:         142
        .size:           2
        .value_kind:     hidden_group_size_y
      - .offset:         144
        .size:           2
        .value_kind:     hidden_group_size_z
      - .offset:         146
        .size:           2
        .value_kind:     hidden_remainder_x
      - .offset:         148
        .size:           2
        .value_kind:     hidden_remainder_y
      - .offset:         150
        .size:           2
        .value_kind:     hidden_remainder_z
      - .offset:         168
        .size:           8
        .value_kind:     hidden_global_offset_x
      - .offset:         176
        .size:           8
        .value_kind:     hidden_global_offset_y
      - .offset:         184
        .size:           8
        .value_kind:     hidden_global_offset_z
      - .offset:         192
        .size:           2
        .value_kind:     hidden_grid_dims
      - .offset:         248
        .size:           4
        .value_kind:     hidden_dynamic_lds_size
    .group_segment_fixed_size: 80
    .kernarg_segment_align: 8
    .kernarg_segment_size: 384
    .language:       OpenCL C
    .language_version:
      - 2
      - 0
    .max_flat_workgroup_size: 1024
    .name:           _ZN4vllm25paged_attention_v1_kernelIthLi32ELi8ELi128ELNS_18Fp8KVCacheDataTypeE1ELb0EEEvPT_PKS2_PKT0_S8_ifPKiSA_iPKfiiiSC_SC_iiiii
    .private_segment_fixed_size: 0
    .sgpr_count:     44
    .sgpr_spill_count: 0
    .symbol:         _ZN4vllm25paged_attention_v1_kernelIthLi32ELi8ELi128ELNS_18Fp8KVCacheDataTypeE1ELb0EEEvPT_PKS2_PKT0_S8_ifPKiSA_iPKfiiiSC_SC_iiiii.kd
    .uniform_work_group_size: 1
    .uses_dynamic_stack: false
    .vgpr_count:     34
    .vgpr_spill_count: 0
    .wavefront_size: 64
  - .agpr_count:     0
    .args:
      - .actual_access:  write_only
        .address_space:  global
        .offset:         0
        .size:           8
        .value_kind:     global_buffer
      - .actual_access:  read_only
        .address_space:  global
        .offset:         8
        .size:           8
        .value_kind:     global_buffer
      - .actual_access:  read_only
        .address_space:  global
        .offset:         16
        .size:           8
        .value_kind:     global_buffer
      - .actual_access:  read_only
        .address_space:  global
        .offset:         24
        .size:           8
        .value_kind:     global_buffer
      - .offset:         32
        .size:           4
        .value_kind:     by_value
      - .offset:         36
        .size:           4
        .value_kind:     by_value
      - .actual_access:  read_only
        .address_space:  global
        .offset:         40
        .size:           8
        .value_kind:     global_buffer
      - .actual_access:  read_only
        .address_space:  global
        .offset:         48
        .size:           8
        .value_kind:     global_buffer
      - .offset:         56
        .size:           4
        .value_kind:     by_value
      - .actual_access:  read_only
        .address_space:  global
        .offset:         64
        .size:           8
        .value_kind:     global_buffer
      - .offset:         72
        .size:           4
        .value_kind:     by_value
      - .offset:         76
        .size:           4
        .value_kind:     by_value
      - .offset:         80
        .size:           4
        .value_kind:     by_value
      - .address_space:  global
        .offset:         88
        .size:           8
        .value_kind:     global_buffer
      - .address_space:  global
        .offset:         96
        .size:           8
        .value_kind:     global_buffer
      - .offset:         104
        .size:           4
        .value_kind:     by_value
      - .offset:         108
        .size:           4
        .value_kind:     by_value
      - .offset:         112
        .size:           4
        .value_kind:     by_value
      - .offset:         116
        .size:           4
        .value_kind:     by_value
      - .offset:         120
        .size:           4
        .value_kind:     by_value
      - .offset:         128
        .size:           4
        .value_kind:     hidden_block_count_x
      - .offset:         132
        .size:           4
        .value_kind:     hidden_block_count_y
      - .offset:         136
        .size:           4
        .value_kind:     hidden_block_count_z
      - .offset:         140
        .size:           2
        .value_kind:     hidden_group_size_x
      - .offset:         142
        .size:           2
        .value_kind:     hidden_group_size_y
      - .offset:         144
        .size:           2
        .value_kind:     hidden_group_size_z
      - .offset:         146
        .size:           2
        .value_kind:     hidden_remainder_x
      - .offset:         148
        .size:           2
        .value_kind:     hidden_remainder_y
      - .offset:         150
        .size:           2
        .value_kind:     hidden_remainder_z
      - .offset:         168
        .size:           8
        .value_kind:     hidden_global_offset_x
      - .offset:         176
        .size:           8
        .value_kind:     hidden_global_offset_y
      - .offset:         184
        .size:           8
        .value_kind:     hidden_global_offset_z
      - .offset:         192
        .size:           2
        .value_kind:     hidden_grid_dims
      - .offset:         248
        .size:           4
        .value_kind:     hidden_dynamic_lds_size
    .group_segment_fixed_size: 144
    .kernarg_segment_align: 8
    .kernarg_segment_size: 384
    .language:       OpenCL C
    .language_version:
      - 2
      - 0
    .max_flat_workgroup_size: 1024
    .name:           _ZN4vllm25paged_attention_v1_kernelIthLi64ELi8ELi128ELNS_18Fp8KVCacheDataTypeE1ELb0EEEvPT_PKS2_PKT0_S8_ifPKiSA_iPKfiiiSC_SC_iiiii
    .private_segment_fixed_size: 0
    .sgpr_count:     46
    .sgpr_spill_count: 0
    .symbol:         _ZN4vllm25paged_attention_v1_kernelIthLi64ELi8ELi128ELNS_18Fp8KVCacheDataTypeE1ELb0EEEvPT_PKS2_PKT0_S8_ifPKiSA_iPKfiiiSC_SC_iiiii.kd
    .uniform_work_group_size: 1
    .uses_dynamic_stack: false
    .vgpr_count:     35
    .vgpr_spill_count: 0
    .wavefront_size: 64
  - .agpr_count:     0
    .args:
      - .actual_access:  write_only
        .address_space:  global
        .offset:         0
        .size:           8
        .value_kind:     global_buffer
      - .actual_access:  read_only
        .address_space:  global
        .offset:         8
        .size:           8
        .value_kind:     global_buffer
      - .actual_access:  read_only
        .address_space:  global
        .offset:         16
        .size:           8
        .value_kind:     global_buffer
      - .actual_access:  read_only
        .address_space:  global
        .offset:         24
        .size:           8
        .value_kind:     global_buffer
      - .offset:         32
        .size:           4
        .value_kind:     by_value
      - .offset:         36
        .size:           4
        .value_kind:     by_value
      - .actual_access:  read_only
        .address_space:  global
        .offset:         40
        .size:           8
        .value_kind:     global_buffer
      - .actual_access:  read_only
        .address_space:  global
        .offset:         48
        .size:           8
        .value_kind:     global_buffer
      - .offset:         56
        .size:           4
        .value_kind:     by_value
      - .actual_access:  read_only
        .address_space:  global
        .offset:         64
        .size:           8
        .value_kind:     global_buffer
      - .offset:         72
        .size:           4
        .value_kind:     by_value
      - .offset:         76
        .size:           4
        .value_kind:     by_value
      - .offset:         80
        .size:           4
        .value_kind:     by_value
      - .address_space:  global
        .offset:         88
        .size:           8
        .value_kind:     global_buffer
      - .address_space:  global
        .offset:         96
        .size:           8
        .value_kind:     global_buffer
      - .offset:         104
        .size:           4
        .value_kind:     by_value
      - .offset:         108
        .size:           4
        .value_kind:     by_value
      - .offset:         112
        .size:           4
        .value_kind:     by_value
      - .offset:         116
        .size:           4
        .value_kind:     by_value
      - .offset:         120
        .size:           4
        .value_kind:     by_value
      - .offset:         128
        .size:           4
        .value_kind:     hidden_block_count_x
      - .offset:         132
        .size:           4
        .value_kind:     hidden_block_count_y
      - .offset:         136
        .size:           4
        .value_kind:     hidden_block_count_z
      - .offset:         140
        .size:           2
        .value_kind:     hidden_group_size_x
      - .offset:         142
        .size:           2
        .value_kind:     hidden_group_size_y
      - .offset:         144
        .size:           2
        .value_kind:     hidden_group_size_z
      - .offset:         146
        .size:           2
        .value_kind:     hidden_remainder_x
      - .offset:         148
        .size:           2
        .value_kind:     hidden_remainder_y
      - .offset:         150
        .size:           2
        .value_kind:     hidden_remainder_z
      - .offset:         168
        .size:           8
        .value_kind:     hidden_global_offset_x
      - .offset:         176
        .size:           8
        .value_kind:     hidden_global_offset_y
      - .offset:         184
        .size:           8
        .value_kind:     hidden_global_offset_z
      - .offset:         192
        .size:           2
        .value_kind:     hidden_grid_dims
      - .offset:         248
        .size:           4
        .value_kind:     hidden_dynamic_lds_size
    .group_segment_fixed_size: 176
    .kernarg_segment_align: 8
    .kernarg_segment_size: 384
    .language:       OpenCL C
    .language_version:
      - 2
      - 0
    .max_flat_workgroup_size: 1024
    .name:           _ZN4vllm25paged_attention_v1_kernelIthLi80ELi8ELi128ELNS_18Fp8KVCacheDataTypeE1ELb0EEEvPT_PKS2_PKT0_S8_ifPKiSA_iPKfiiiSC_SC_iiiii
    .private_segment_fixed_size: 0
    .sgpr_count:     48
    .sgpr_spill_count: 0
    .symbol:         _ZN4vllm25paged_attention_v1_kernelIthLi80ELi8ELi128ELNS_18Fp8KVCacheDataTypeE1ELb0EEEvPT_PKS2_PKT0_S8_ifPKiSA_iPKfiiiSC_SC_iiiii.kd
    .uniform_work_group_size: 1
    .uses_dynamic_stack: false
    .vgpr_count:     42
    .vgpr_spill_count: 0
    .wavefront_size: 64
  - .agpr_count:     0
    .args:
      - .actual_access:  write_only
        .address_space:  global
        .offset:         0
        .size:           8
        .value_kind:     global_buffer
      - .actual_access:  read_only
        .address_space:  global
        .offset:         8
        .size:           8
        .value_kind:     global_buffer
      - .actual_access:  read_only
        .address_space:  global
        .offset:         16
        .size:           8
        .value_kind:     global_buffer
      - .actual_access:  read_only
        .address_space:  global
        .offset:         24
        .size:           8
        .value_kind:     global_buffer
      - .offset:         32
        .size:           4
        .value_kind:     by_value
      - .offset:         36
        .size:           4
        .value_kind:     by_value
      - .actual_access:  read_only
        .address_space:  global
        .offset:         40
        .size:           8
        .value_kind:     global_buffer
      - .actual_access:  read_only
        .address_space:  global
        .offset:         48
        .size:           8
        .value_kind:     global_buffer
      - .offset:         56
        .size:           4
        .value_kind:     by_value
      - .actual_access:  read_only
        .address_space:  global
        .offset:         64
        .size:           8
        .value_kind:     global_buffer
      - .offset:         72
        .size:           4
        .value_kind:     by_value
      - .offset:         76
        .size:           4
        .value_kind:     by_value
      - .offset:         80
        .size:           4
        .value_kind:     by_value
      - .address_space:  global
        .offset:         88
        .size:           8
        .value_kind:     global_buffer
      - .address_space:  global
        .offset:         96
        .size:           8
        .value_kind:     global_buffer
      - .offset:         104
        .size:           4
        .value_kind:     by_value
      - .offset:         108
        .size:           4
        .value_kind:     by_value
      - .offset:         112
        .size:           4
        .value_kind:     by_value
      - .offset:         116
        .size:           4
        .value_kind:     by_value
      - .offset:         120
        .size:           4
        .value_kind:     by_value
      - .offset:         128
        .size:           4
        .value_kind:     hidden_block_count_x
      - .offset:         132
        .size:           4
        .value_kind:     hidden_block_count_y
      - .offset:         136
        .size:           4
        .value_kind:     hidden_block_count_z
      - .offset:         140
        .size:           2
        .value_kind:     hidden_group_size_x
      - .offset:         142
        .size:           2
        .value_kind:     hidden_group_size_y
      - .offset:         144
        .size:           2
        .value_kind:     hidden_group_size_z
      - .offset:         146
        .size:           2
        .value_kind:     hidden_remainder_x
      - .offset:         148
        .size:           2
        .value_kind:     hidden_remainder_y
      - .offset:         150
        .size:           2
        .value_kind:     hidden_remainder_z
      - .offset:         168
        .size:           8
        .value_kind:     hidden_global_offset_x
      - .offset:         176
        .size:           8
        .value_kind:     hidden_global_offset_y
      - .offset:         184
        .size:           8
        .value_kind:     hidden_global_offset_z
      - .offset:         192
        .size:           2
        .value_kind:     hidden_grid_dims
      - .offset:         248
        .size:           4
        .value_kind:     hidden_dynamic_lds_size
    .group_segment_fixed_size: 208
    .kernarg_segment_align: 8
    .kernarg_segment_size: 384
    .language:       OpenCL C
    .language_version:
      - 2
      - 0
    .max_flat_workgroup_size: 1024
    .name:           _ZN4vllm25paged_attention_v1_kernelIthLi96ELi8ELi128ELNS_18Fp8KVCacheDataTypeE1ELb0EEEvPT_PKS2_PKT0_S8_ifPKiSA_iPKfiiiSC_SC_iiiii
    .private_segment_fixed_size: 0
    .sgpr_count:     48
    .sgpr_spill_count: 0
    .symbol:         _ZN4vllm25paged_attention_v1_kernelIthLi96ELi8ELi128ELNS_18Fp8KVCacheDataTypeE1ELb0EEEvPT_PKS2_PKT0_S8_ifPKiSA_iPKfiiiSC_SC_iiiii.kd
    .uniform_work_group_size: 1
    .uses_dynamic_stack: false
    .vgpr_count:     43
    .vgpr_spill_count: 0
    .wavefront_size: 64
  - .agpr_count:     0
    .args:
      - .actual_access:  write_only
        .address_space:  global
        .offset:         0
        .size:           8
        .value_kind:     global_buffer
      - .actual_access:  read_only
        .address_space:  global
        .offset:         8
        .size:           8
        .value_kind:     global_buffer
      - .actual_access:  read_only
        .address_space:  global
        .offset:         16
        .size:           8
        .value_kind:     global_buffer
      - .actual_access:  read_only
        .address_space:  global
        .offset:         24
        .size:           8
        .value_kind:     global_buffer
      - .offset:         32
        .size:           4
        .value_kind:     by_value
      - .offset:         36
        .size:           4
        .value_kind:     by_value
      - .actual_access:  read_only
        .address_space:  global
        .offset:         40
        .size:           8
        .value_kind:     global_buffer
      - .actual_access:  read_only
        .address_space:  global
        .offset:         48
        .size:           8
        .value_kind:     global_buffer
      - .offset:         56
        .size:           4
        .value_kind:     by_value
      - .actual_access:  read_only
        .address_space:  global
        .offset:         64
        .size:           8
        .value_kind:     global_buffer
      - .offset:         72
        .size:           4
        .value_kind:     by_value
      - .offset:         76
        .size:           4
        .value_kind:     by_value
      - .offset:         80
        .size:           4
        .value_kind:     by_value
      - .address_space:  global
        .offset:         88
        .size:           8
        .value_kind:     global_buffer
      - .address_space:  global
        .offset:         96
        .size:           8
        .value_kind:     global_buffer
      - .offset:         104
        .size:           4
        .value_kind:     by_value
      - .offset:         108
        .size:           4
        .value_kind:     by_value
      - .offset:         112
        .size:           4
        .value_kind:     by_value
      - .offset:         116
        .size:           4
        .value_kind:     by_value
      - .offset:         120
        .size:           4
        .value_kind:     by_value
      - .offset:         128
        .size:           4
        .value_kind:     hidden_block_count_x
      - .offset:         132
        .size:           4
        .value_kind:     hidden_block_count_y
      - .offset:         136
        .size:           4
        .value_kind:     hidden_block_count_z
      - .offset:         140
        .size:           2
        .value_kind:     hidden_group_size_x
      - .offset:         142
        .size:           2
        .value_kind:     hidden_group_size_y
      - .offset:         144
        .size:           2
        .value_kind:     hidden_group_size_z
      - .offset:         146
        .size:           2
        .value_kind:     hidden_remainder_x
      - .offset:         148
        .size:           2
        .value_kind:     hidden_remainder_y
      - .offset:         150
        .size:           2
        .value_kind:     hidden_remainder_z
      - .offset:         168
        .size:           8
        .value_kind:     hidden_global_offset_x
      - .offset:         176
        .size:           8
        .value_kind:     hidden_global_offset_y
      - .offset:         184
        .size:           8
        .value_kind:     hidden_global_offset_z
      - .offset:         192
        .size:           2
        .value_kind:     hidden_grid_dims
      - .offset:         248
        .size:           4
        .value_kind:     hidden_dynamic_lds_size
    .group_segment_fixed_size: 240
    .kernarg_segment_align: 8
    .kernarg_segment_size: 384
    .language:       OpenCL C
    .language_version:
      - 2
      - 0
    .max_flat_workgroup_size: 1024
    .name:           _ZN4vllm25paged_attention_v1_kernelIthLi112ELi8ELi128ELNS_18Fp8KVCacheDataTypeE1ELb0EEEvPT_PKS2_PKT0_S8_ifPKiSA_iPKfiiiSC_SC_iiiii
    .private_segment_fixed_size: 0
    .sgpr_count:     48
    .sgpr_spill_count: 0
    .symbol:         _ZN4vllm25paged_attention_v1_kernelIthLi112ELi8ELi128ELNS_18Fp8KVCacheDataTypeE1ELb0EEEvPT_PKS2_PKT0_S8_ifPKiSA_iPKfiiiSC_SC_iiiii.kd
    .uniform_work_group_size: 1
    .uses_dynamic_stack: false
    .vgpr_count:     46
    .vgpr_spill_count: 0
    .wavefront_size: 64
  - .agpr_count:     0
    .args:
      - .actual_access:  write_only
        .address_space:  global
        .offset:         0
        .size:           8
        .value_kind:     global_buffer
      - .actual_access:  read_only
        .address_space:  global
        .offset:         8
        .size:           8
        .value_kind:     global_buffer
      - .actual_access:  read_only
        .address_space:  global
        .offset:         16
        .size:           8
        .value_kind:     global_buffer
      - .actual_access:  read_only
        .address_space:  global
        .offset:         24
        .size:           8
        .value_kind:     global_buffer
      - .offset:         32
        .size:           4
        .value_kind:     by_value
      - .offset:         36
        .size:           4
        .value_kind:     by_value
      - .actual_access:  read_only
        .address_space:  global
        .offset:         40
        .size:           8
        .value_kind:     global_buffer
      - .actual_access:  read_only
        .address_space:  global
        .offset:         48
        .size:           8
        .value_kind:     global_buffer
      - .offset:         56
        .size:           4
        .value_kind:     by_value
      - .actual_access:  read_only
        .address_space:  global
        .offset:         64
        .size:           8
        .value_kind:     global_buffer
      - .offset:         72
        .size:           4
        .value_kind:     by_value
      - .offset:         76
        .size:           4
        .value_kind:     by_value
      - .offset:         80
        .size:           4
        .value_kind:     by_value
      - .address_space:  global
        .offset:         88
        .size:           8
        .value_kind:     global_buffer
      - .address_space:  global
        .offset:         96
        .size:           8
        .value_kind:     global_buffer
      - .offset:         104
        .size:           4
        .value_kind:     by_value
      - .offset:         108
        .size:           4
        .value_kind:     by_value
      - .offset:         112
        .size:           4
        .value_kind:     by_value
      - .offset:         116
        .size:           4
        .value_kind:     by_value
      - .offset:         120
        .size:           4
        .value_kind:     by_value
      - .offset:         128
        .size:           4
        .value_kind:     hidden_block_count_x
      - .offset:         132
        .size:           4
        .value_kind:     hidden_block_count_y
      - .offset:         136
        .size:           4
        .value_kind:     hidden_block_count_z
      - .offset:         140
        .size:           2
        .value_kind:     hidden_group_size_x
      - .offset:         142
        .size:           2
        .value_kind:     hidden_group_size_y
      - .offset:         144
        .size:           2
        .value_kind:     hidden_group_size_z
      - .offset:         146
        .size:           2
        .value_kind:     hidden_remainder_x
      - .offset:         148
        .size:           2
        .value_kind:     hidden_remainder_y
      - .offset:         150
        .size:           2
        .value_kind:     hidden_remainder_z
      - .offset:         168
        .size:           8
        .value_kind:     hidden_global_offset_x
      - .offset:         176
        .size:           8
        .value_kind:     hidden_global_offset_y
      - .offset:         184
        .size:           8
        .value_kind:     hidden_global_offset_z
      - .offset:         192
        .size:           2
        .value_kind:     hidden_grid_dims
      - .offset:         248
        .size:           4
        .value_kind:     hidden_dynamic_lds_size
    .group_segment_fixed_size: 256
    .kernarg_segment_align: 8
    .kernarg_segment_size: 384
    .language:       OpenCL C
    .language_version:
      - 2
      - 0
    .max_flat_workgroup_size: 1024
    .name:           _ZN4vllm25paged_attention_v1_kernelIthLi120ELi8ELi128ELNS_18Fp8KVCacheDataTypeE1ELb0EEEvPT_PKS2_PKT0_S8_ifPKiSA_iPKfiiiSC_SC_iiiii
    .private_segment_fixed_size: 0
    .sgpr_count:     48
    .sgpr_spill_count: 0
    .symbol:         _ZN4vllm25paged_attention_v1_kernelIthLi120ELi8ELi128ELNS_18Fp8KVCacheDataTypeE1ELb0EEEvPT_PKS2_PKT0_S8_ifPKiSA_iPKfiiiSC_SC_iiiii.kd
    .uniform_work_group_size: 1
    .uses_dynamic_stack: false
    .vgpr_count:     48
    .vgpr_spill_count: 0
    .wavefront_size: 64
  - .agpr_count:     0
    .args:
      - .actual_access:  write_only
        .address_space:  global
        .offset:         0
        .size:           8
        .value_kind:     global_buffer
      - .actual_access:  read_only
        .address_space:  global
        .offset:         8
        .size:           8
        .value_kind:     global_buffer
      - .actual_access:  read_only
        .address_space:  global
        .offset:         16
        .size:           8
        .value_kind:     global_buffer
      - .actual_access:  read_only
        .address_space:  global
        .offset:         24
        .size:           8
        .value_kind:     global_buffer
      - .offset:         32
        .size:           4
        .value_kind:     by_value
      - .offset:         36
        .size:           4
        .value_kind:     by_value
      - .actual_access:  read_only
        .address_space:  global
        .offset:         40
        .size:           8
        .value_kind:     global_buffer
      - .actual_access:  read_only
        .address_space:  global
        .offset:         48
        .size:           8
        .value_kind:     global_buffer
      - .offset:         56
        .size:           4
        .value_kind:     by_value
      - .actual_access:  read_only
        .address_space:  global
        .offset:         64
        .size:           8
        .value_kind:     global_buffer
      - .offset:         72
        .size:           4
        .value_kind:     by_value
      - .offset:         76
        .size:           4
        .value_kind:     by_value
      - .offset:         80
        .size:           4
        .value_kind:     by_value
      - .address_space:  global
        .offset:         88
        .size:           8
        .value_kind:     global_buffer
      - .address_space:  global
        .offset:         96
        .size:           8
        .value_kind:     global_buffer
      - .offset:         104
        .size:           4
        .value_kind:     by_value
      - .offset:         108
        .size:           4
        .value_kind:     by_value
      - .offset:         112
        .size:           4
        .value_kind:     by_value
      - .offset:         116
        .size:           4
        .value_kind:     by_value
      - .offset:         120
        .size:           4
        .value_kind:     by_value
      - .offset:         128
        .size:           4
        .value_kind:     hidden_block_count_x
      - .offset:         132
        .size:           4
        .value_kind:     hidden_block_count_y
      - .offset:         136
        .size:           4
        .value_kind:     hidden_block_count_z
      - .offset:         140
        .size:           2
        .value_kind:     hidden_group_size_x
      - .offset:         142
        .size:           2
        .value_kind:     hidden_group_size_y
      - .offset:         144
        .size:           2
        .value_kind:     hidden_group_size_z
      - .offset:         146
        .size:           2
        .value_kind:     hidden_remainder_x
      - .offset:         148
        .size:           2
        .value_kind:     hidden_remainder_y
      - .offset:         150
        .size:           2
        .value_kind:     hidden_remainder_z
      - .offset:         168
        .size:           8
        .value_kind:     hidden_global_offset_x
      - .offset:         176
        .size:           8
        .value_kind:     hidden_global_offset_y
      - .offset:         184
        .size:           8
        .value_kind:     hidden_global_offset_z
      - .offset:         192
        .size:           2
        .value_kind:     hidden_grid_dims
      - .offset:         248
        .size:           4
        .value_kind:     hidden_dynamic_lds_size
    .group_segment_fixed_size: 272
    .kernarg_segment_align: 8
    .kernarg_segment_size: 384
    .language:       OpenCL C
    .language_version:
      - 2
      - 0
    .max_flat_workgroup_size: 1024
    .name:           _ZN4vllm25paged_attention_v1_kernelIthLi128ELi8ELi128ELNS_18Fp8KVCacheDataTypeE1ELb0EEEvPT_PKS2_PKT0_S8_ifPKiSA_iPKfiiiSC_SC_iiiii
    .private_segment_fixed_size: 0
    .sgpr_count:     44
    .sgpr_spill_count: 0
    .symbol:         _ZN4vllm25paged_attention_v1_kernelIthLi128ELi8ELi128ELNS_18Fp8KVCacheDataTypeE1ELb0EEEvPT_PKS2_PKT0_S8_ifPKiSA_iPKfiiiSC_SC_iiiii.kd
    .uniform_work_group_size: 1
    .uses_dynamic_stack: false
    .vgpr_count:     50
    .vgpr_spill_count: 0
    .wavefront_size: 64
  - .agpr_count:     0
    .args:
      - .actual_access:  write_only
        .address_space:  global
        .offset:         0
        .size:           8
        .value_kind:     global_buffer
      - .actual_access:  read_only
        .address_space:  global
        .offset:         8
        .size:           8
        .value_kind:     global_buffer
      - .actual_access:  read_only
        .address_space:  global
        .offset:         16
        .size:           8
        .value_kind:     global_buffer
      - .actual_access:  read_only
        .address_space:  global
        .offset:         24
        .size:           8
        .value_kind:     global_buffer
      - .offset:         32
        .size:           4
        .value_kind:     by_value
      - .offset:         36
        .size:           4
        .value_kind:     by_value
      - .actual_access:  read_only
        .address_space:  global
        .offset:         40
        .size:           8
        .value_kind:     global_buffer
      - .actual_access:  read_only
        .address_space:  global
        .offset:         48
        .size:           8
        .value_kind:     global_buffer
      - .offset:         56
        .size:           4
        .value_kind:     by_value
      - .actual_access:  read_only
        .address_space:  global
        .offset:         64
        .size:           8
        .value_kind:     global_buffer
      - .offset:         72
        .size:           4
        .value_kind:     by_value
      - .offset:         76
        .size:           4
        .value_kind:     by_value
      - .offset:         80
        .size:           4
        .value_kind:     by_value
      - .address_space:  global
        .offset:         88
        .size:           8
        .value_kind:     global_buffer
      - .address_space:  global
        .offset:         96
        .size:           8
        .value_kind:     global_buffer
      - .offset:         104
        .size:           4
        .value_kind:     by_value
      - .offset:         108
        .size:           4
        .value_kind:     by_value
      - .offset:         112
        .size:           4
        .value_kind:     by_value
      - .offset:         116
        .size:           4
        .value_kind:     by_value
      - .offset:         120
        .size:           4
        .value_kind:     by_value
      - .offset:         128
        .size:           4
        .value_kind:     hidden_block_count_x
      - .offset:         132
        .size:           4
        .value_kind:     hidden_block_count_y
      - .offset:         136
        .size:           4
        .value_kind:     hidden_block_count_z
      - .offset:         140
        .size:           2
        .value_kind:     hidden_group_size_x
      - .offset:         142
        .size:           2
        .value_kind:     hidden_group_size_y
      - .offset:         144
        .size:           2
        .value_kind:     hidden_group_size_z
      - .offset:         146
        .size:           2
        .value_kind:     hidden_remainder_x
      - .offset:         148
        .size:           2
        .value_kind:     hidden_remainder_y
      - .offset:         150
        .size:           2
        .value_kind:     hidden_remainder_z
      - .offset:         168
        .size:           8
        .value_kind:     hidden_global_offset_x
      - .offset:         176
        .size:           8
        .value_kind:     hidden_global_offset_y
      - .offset:         184
        .size:           8
        .value_kind:     hidden_global_offset_z
      - .offset:         192
        .size:           2
        .value_kind:     hidden_grid_dims
      - .offset:         248
        .size:           4
        .value_kind:     hidden_dynamic_lds_size
    .group_segment_fixed_size: 400
    .kernarg_segment_align: 8
    .kernarg_segment_size: 384
    .language:       OpenCL C
    .language_version:
      - 2
      - 0
    .max_flat_workgroup_size: 1024
    .name:           _ZN4vllm25paged_attention_v1_kernelIthLi192ELi8ELi128ELNS_18Fp8KVCacheDataTypeE1ELb0EEEvPT_PKS2_PKT0_S8_ifPKiSA_iPKfiiiSC_SC_iiiii
    .private_segment_fixed_size: 0
    .sgpr_count:     44
    .sgpr_spill_count: 0
    .symbol:         _ZN4vllm25paged_attention_v1_kernelIthLi192ELi8ELi128ELNS_18Fp8KVCacheDataTypeE1ELb0EEEvPT_PKS2_PKT0_S8_ifPKiSA_iPKfiiiSC_SC_iiiii.kd
    .uniform_work_group_size: 1
    .uses_dynamic_stack: false
    .vgpr_count:     63
    .vgpr_spill_count: 0
    .wavefront_size: 64
  - .agpr_count:     0
    .args:
      - .actual_access:  write_only
        .address_space:  global
        .offset:         0
        .size:           8
        .value_kind:     global_buffer
      - .actual_access:  read_only
        .address_space:  global
        .offset:         8
        .size:           8
        .value_kind:     global_buffer
      - .actual_access:  read_only
        .address_space:  global
        .offset:         16
        .size:           8
        .value_kind:     global_buffer
      - .actual_access:  read_only
        .address_space:  global
        .offset:         24
        .size:           8
        .value_kind:     global_buffer
      - .offset:         32
        .size:           4
        .value_kind:     by_value
      - .offset:         36
        .size:           4
        .value_kind:     by_value
      - .actual_access:  read_only
        .address_space:  global
        .offset:         40
        .size:           8
        .value_kind:     global_buffer
      - .actual_access:  read_only
        .address_space:  global
        .offset:         48
        .size:           8
        .value_kind:     global_buffer
      - .offset:         56
        .size:           4
        .value_kind:     by_value
      - .actual_access:  read_only
        .address_space:  global
        .offset:         64
        .size:           8
        .value_kind:     global_buffer
      - .offset:         72
        .size:           4
        .value_kind:     by_value
      - .offset:         76
        .size:           4
        .value_kind:     by_value
      - .offset:         80
        .size:           4
        .value_kind:     by_value
      - .address_space:  global
        .offset:         88
        .size:           8
        .value_kind:     global_buffer
      - .address_space:  global
        .offset:         96
        .size:           8
        .value_kind:     global_buffer
      - .offset:         104
        .size:           4
        .value_kind:     by_value
      - .offset:         108
        .size:           4
        .value_kind:     by_value
      - .offset:         112
        .size:           4
        .value_kind:     by_value
      - .offset:         116
        .size:           4
        .value_kind:     by_value
      - .offset:         120
        .size:           4
        .value_kind:     by_value
      - .offset:         128
        .size:           4
        .value_kind:     hidden_block_count_x
      - .offset:         132
        .size:           4
        .value_kind:     hidden_block_count_y
      - .offset:         136
        .size:           4
        .value_kind:     hidden_block_count_z
      - .offset:         140
        .size:           2
        .value_kind:     hidden_group_size_x
      - .offset:         142
        .size:           2
        .value_kind:     hidden_group_size_y
      - .offset:         144
        .size:           2
        .value_kind:     hidden_group_size_z
      - .offset:         146
        .size:           2
        .value_kind:     hidden_remainder_x
      - .offset:         148
        .size:           2
        .value_kind:     hidden_remainder_y
      - .offset:         150
        .size:           2
        .value_kind:     hidden_remainder_z
      - .offset:         168
        .size:           8
        .value_kind:     hidden_global_offset_x
      - .offset:         176
        .size:           8
        .value_kind:     hidden_global_offset_y
      - .offset:         184
        .size:           8
        .value_kind:     hidden_global_offset_z
      - .offset:         192
        .size:           2
        .value_kind:     hidden_grid_dims
      - .offset:         248
        .size:           4
        .value_kind:     hidden_dynamic_lds_size
    .group_segment_fixed_size: 528
    .kernarg_segment_align: 8
    .kernarg_segment_size: 384
    .language:       OpenCL C
    .language_version:
      - 2
      - 0
    .max_flat_workgroup_size: 1024
    .name:           _ZN4vllm25paged_attention_v1_kernelIthLi256ELi8ELi128ELNS_18Fp8KVCacheDataTypeE1ELb0EEEvPT_PKS2_PKT0_S8_ifPKiSA_iPKfiiiSC_SC_iiiii
    .private_segment_fixed_size: 0
    .sgpr_count:     44
    .sgpr_spill_count: 0
    .symbol:         _ZN4vllm25paged_attention_v1_kernelIthLi256ELi8ELi128ELNS_18Fp8KVCacheDataTypeE1ELb0EEEvPT_PKS2_PKT0_S8_ifPKiSA_iPKfiiiSC_SC_iiiii.kd
    .uniform_work_group_size: 1
    .uses_dynamic_stack: false
    .vgpr_count:     60
    .vgpr_spill_count: 0
    .wavefront_size: 64
  - .agpr_count:     0
    .args:
      - .actual_access:  write_only
        .address_space:  global
        .offset:         0
        .size:           8
        .value_kind:     global_buffer
      - .actual_access:  read_only
        .address_space:  global
        .offset:         8
        .size:           8
        .value_kind:     global_buffer
      - .actual_access:  read_only
        .address_space:  global
        .offset:         16
        .size:           8
        .value_kind:     global_buffer
      - .actual_access:  read_only
        .address_space:  global
        .offset:         24
        .size:           8
        .value_kind:     global_buffer
      - .offset:         32
        .size:           4
        .value_kind:     by_value
      - .offset:         36
        .size:           4
        .value_kind:     by_value
      - .actual_access:  read_only
        .address_space:  global
        .offset:         40
        .size:           8
        .value_kind:     global_buffer
      - .actual_access:  read_only
        .address_space:  global
        .offset:         48
        .size:           8
        .value_kind:     global_buffer
      - .offset:         56
        .size:           4
        .value_kind:     by_value
      - .actual_access:  read_only
        .address_space:  global
        .offset:         64
        .size:           8
        .value_kind:     global_buffer
      - .offset:         72
        .size:           4
        .value_kind:     by_value
      - .offset:         76
        .size:           4
        .value_kind:     by_value
      - .offset:         80
        .size:           4
        .value_kind:     by_value
      - .address_space:  global
        .offset:         88
        .size:           8
        .value_kind:     global_buffer
      - .address_space:  global
        .offset:         96
        .size:           8
        .value_kind:     global_buffer
      - .offset:         104
        .size:           4
        .value_kind:     by_value
      - .offset:         108
        .size:           4
        .value_kind:     by_value
      - .offset:         112
        .size:           4
        .value_kind:     by_value
      - .offset:         116
        .size:           4
        .value_kind:     by_value
      - .offset:         120
        .size:           4
        .value_kind:     by_value
      - .offset:         128
        .size:           4
        .value_kind:     hidden_block_count_x
      - .offset:         132
        .size:           4
        .value_kind:     hidden_block_count_y
      - .offset:         136
        .size:           4
        .value_kind:     hidden_block_count_z
      - .offset:         140
        .size:           2
        .value_kind:     hidden_group_size_x
      - .offset:         142
        .size:           2
        .value_kind:     hidden_group_size_y
      - .offset:         144
        .size:           2
        .value_kind:     hidden_group_size_z
      - .offset:         146
        .size:           2
        .value_kind:     hidden_remainder_x
      - .offset:         148
        .size:           2
        .value_kind:     hidden_remainder_y
      - .offset:         150
        .size:           2
        .value_kind:     hidden_remainder_z
      - .offset:         168
        .size:           8
        .value_kind:     hidden_global_offset_x
      - .offset:         176
        .size:           8
        .value_kind:     hidden_global_offset_y
      - .offset:         184
        .size:           8
        .value_kind:     hidden_global_offset_z
      - .offset:         192
        .size:           2
        .value_kind:     hidden_grid_dims
      - .offset:         248
        .size:           4
        .value_kind:     hidden_dynamic_lds_size
    .group_segment_fixed_size: 80
    .kernarg_segment_align: 8
    .kernarg_segment_size: 384
    .language:       OpenCL C
    .language_version:
      - 2
      - 0
    .max_flat_workgroup_size: 1024
    .name:           _ZN4vllm25paged_attention_v1_kernelIthLi32ELi16ELi128ELNS_18Fp8KVCacheDataTypeE1ELb1EEEvPT_PKS2_PKT0_S8_ifPKiSA_iPKfiiiSC_SC_iiiii
    .private_segment_fixed_size: 0
    .sgpr_count:     64
    .sgpr_spill_count: 0
    .symbol:         _ZN4vllm25paged_attention_v1_kernelIthLi32ELi16ELi128ELNS_18Fp8KVCacheDataTypeE1ELb1EEEvPT_PKS2_PKT0_S8_ifPKiSA_iPKfiiiSC_SC_iiiii.kd
    .uniform_work_group_size: 1
    .uses_dynamic_stack: false
    .vgpr_count:     37
    .vgpr_spill_count: 0
    .wavefront_size: 64
  - .agpr_count:     0
    .args:
      - .actual_access:  write_only
        .address_space:  global
        .offset:         0
        .size:           8
        .value_kind:     global_buffer
      - .actual_access:  read_only
        .address_space:  global
        .offset:         8
        .size:           8
        .value_kind:     global_buffer
      - .actual_access:  read_only
        .address_space:  global
        .offset:         16
        .size:           8
        .value_kind:     global_buffer
      - .actual_access:  read_only
        .address_space:  global
        .offset:         24
        .size:           8
        .value_kind:     global_buffer
      - .offset:         32
        .size:           4
        .value_kind:     by_value
      - .offset:         36
        .size:           4
        .value_kind:     by_value
      - .actual_access:  read_only
        .address_space:  global
        .offset:         40
        .size:           8
        .value_kind:     global_buffer
      - .actual_access:  read_only
        .address_space:  global
        .offset:         48
        .size:           8
        .value_kind:     global_buffer
      - .offset:         56
        .size:           4
        .value_kind:     by_value
      - .actual_access:  read_only
        .address_space:  global
        .offset:         64
        .size:           8
        .value_kind:     global_buffer
      - .offset:         72
        .size:           4
        .value_kind:     by_value
      - .offset:         76
        .size:           4
        .value_kind:     by_value
      - .offset:         80
        .size:           4
        .value_kind:     by_value
      - .address_space:  global
        .offset:         88
        .size:           8
        .value_kind:     global_buffer
      - .address_space:  global
        .offset:         96
        .size:           8
        .value_kind:     global_buffer
      - .offset:         104
        .size:           4
        .value_kind:     by_value
      - .offset:         108
        .size:           4
        .value_kind:     by_value
      - .offset:         112
        .size:           4
        .value_kind:     by_value
      - .offset:         116
        .size:           4
        .value_kind:     by_value
      - .offset:         120
        .size:           4
        .value_kind:     by_value
      - .offset:         128
        .size:           4
        .value_kind:     hidden_block_count_x
      - .offset:         132
        .size:           4
        .value_kind:     hidden_block_count_y
      - .offset:         136
        .size:           4
        .value_kind:     hidden_block_count_z
      - .offset:         140
        .size:           2
        .value_kind:     hidden_group_size_x
      - .offset:         142
        .size:           2
        .value_kind:     hidden_group_size_y
      - .offset:         144
        .size:           2
        .value_kind:     hidden_group_size_z
      - .offset:         146
        .size:           2
        .value_kind:     hidden_remainder_x
      - .offset:         148
        .size:           2
        .value_kind:     hidden_remainder_y
      - .offset:         150
        .size:           2
        .value_kind:     hidden_remainder_z
      - .offset:         168
        .size:           8
        .value_kind:     hidden_global_offset_x
      - .offset:         176
        .size:           8
        .value_kind:     hidden_global_offset_y
      - .offset:         184
        .size:           8
        .value_kind:     hidden_global_offset_z
      - .offset:         192
        .size:           2
        .value_kind:     hidden_grid_dims
      - .offset:         248
        .size:           4
        .value_kind:     hidden_dynamic_lds_size
    .group_segment_fixed_size: 144
    .kernarg_segment_align: 8
    .kernarg_segment_size: 384
    .language:       OpenCL C
    .language_version:
      - 2
      - 0
    .max_flat_workgroup_size: 1024
    .name:           _ZN4vllm25paged_attention_v1_kernelIthLi64ELi16ELi128ELNS_18Fp8KVCacheDataTypeE1ELb1EEEvPT_PKS2_PKT0_S8_ifPKiSA_iPKfiiiSC_SC_iiiii
    .private_segment_fixed_size: 0
    .sgpr_count:     64
    .sgpr_spill_count: 0
    .symbol:         _ZN4vllm25paged_attention_v1_kernelIthLi64ELi16ELi128ELNS_18Fp8KVCacheDataTypeE1ELb1EEEvPT_PKS2_PKT0_S8_ifPKiSA_iPKfiiiSC_SC_iiiii.kd
    .uniform_work_group_size: 1
    .uses_dynamic_stack: false
    .vgpr_count:     49
    .vgpr_spill_count: 0
    .wavefront_size: 64
  - .agpr_count:     0
    .args:
      - .actual_access:  write_only
        .address_space:  global
        .offset:         0
        .size:           8
        .value_kind:     global_buffer
      - .actual_access:  read_only
        .address_space:  global
        .offset:         8
        .size:           8
        .value_kind:     global_buffer
      - .actual_access:  read_only
        .address_space:  global
        .offset:         16
        .size:           8
        .value_kind:     global_buffer
      - .actual_access:  read_only
        .address_space:  global
        .offset:         24
        .size:           8
        .value_kind:     global_buffer
      - .offset:         32
        .size:           4
        .value_kind:     by_value
      - .offset:         36
        .size:           4
        .value_kind:     by_value
      - .actual_access:  read_only
        .address_space:  global
        .offset:         40
        .size:           8
        .value_kind:     global_buffer
      - .actual_access:  read_only
        .address_space:  global
        .offset:         48
        .size:           8
        .value_kind:     global_buffer
      - .offset:         56
        .size:           4
        .value_kind:     by_value
      - .actual_access:  read_only
        .address_space:  global
        .offset:         64
        .size:           8
        .value_kind:     global_buffer
      - .offset:         72
        .size:           4
        .value_kind:     by_value
      - .offset:         76
        .size:           4
        .value_kind:     by_value
      - .offset:         80
        .size:           4
        .value_kind:     by_value
      - .address_space:  global
        .offset:         88
        .size:           8
        .value_kind:     global_buffer
      - .address_space:  global
        .offset:         96
        .size:           8
        .value_kind:     global_buffer
      - .offset:         104
        .size:           4
        .value_kind:     by_value
      - .offset:         108
        .size:           4
        .value_kind:     by_value
      - .offset:         112
        .size:           4
        .value_kind:     by_value
      - .offset:         116
        .size:           4
        .value_kind:     by_value
      - .offset:         120
        .size:           4
        .value_kind:     by_value
      - .offset:         128
        .size:           4
        .value_kind:     hidden_block_count_x
      - .offset:         132
        .size:           4
        .value_kind:     hidden_block_count_y
      - .offset:         136
        .size:           4
        .value_kind:     hidden_block_count_z
      - .offset:         140
        .size:           2
        .value_kind:     hidden_group_size_x
      - .offset:         142
        .size:           2
        .value_kind:     hidden_group_size_y
      - .offset:         144
        .size:           2
        .value_kind:     hidden_group_size_z
      - .offset:         146
        .size:           2
        .value_kind:     hidden_remainder_x
      - .offset:         148
        .size:           2
        .value_kind:     hidden_remainder_y
      - .offset:         150
        .size:           2
        .value_kind:     hidden_remainder_z
      - .offset:         168
        .size:           8
        .value_kind:     hidden_global_offset_x
      - .offset:         176
        .size:           8
        .value_kind:     hidden_global_offset_y
      - .offset:         184
        .size:           8
        .value_kind:     hidden_global_offset_z
      - .offset:         192
        .size:           2
        .value_kind:     hidden_grid_dims
      - .offset:         248
        .size:           4
        .value_kind:     hidden_dynamic_lds_size
    .group_segment_fixed_size: 176
    .kernarg_segment_align: 8
    .kernarg_segment_size: 384
    .language:       OpenCL C
    .language_version:
      - 2
      - 0
    .max_flat_workgroup_size: 1024
    .name:           _ZN4vllm25paged_attention_v1_kernelIthLi80ELi16ELi128ELNS_18Fp8KVCacheDataTypeE1ELb1EEEvPT_PKS2_PKT0_S8_ifPKiSA_iPKfiiiSC_SC_iiiii
    .private_segment_fixed_size: 0
    .sgpr_count:     64
    .sgpr_spill_count: 0
    .symbol:         _ZN4vllm25paged_attention_v1_kernelIthLi80ELi16ELi128ELNS_18Fp8KVCacheDataTypeE1ELb1EEEvPT_PKS2_PKT0_S8_ifPKiSA_iPKfiiiSC_SC_iiiii.kd
    .uniform_work_group_size: 1
    .uses_dynamic_stack: false
    .vgpr_count:     55
    .vgpr_spill_count: 0
    .wavefront_size: 64
  - .agpr_count:     0
    .args:
      - .actual_access:  write_only
        .address_space:  global
        .offset:         0
        .size:           8
        .value_kind:     global_buffer
      - .actual_access:  read_only
        .address_space:  global
        .offset:         8
        .size:           8
        .value_kind:     global_buffer
      - .actual_access:  read_only
        .address_space:  global
        .offset:         16
        .size:           8
        .value_kind:     global_buffer
      - .actual_access:  read_only
        .address_space:  global
        .offset:         24
        .size:           8
        .value_kind:     global_buffer
      - .offset:         32
        .size:           4
        .value_kind:     by_value
      - .offset:         36
        .size:           4
        .value_kind:     by_value
      - .actual_access:  read_only
        .address_space:  global
        .offset:         40
        .size:           8
        .value_kind:     global_buffer
      - .actual_access:  read_only
        .address_space:  global
        .offset:         48
        .size:           8
        .value_kind:     global_buffer
      - .offset:         56
        .size:           4
        .value_kind:     by_value
      - .actual_access:  read_only
        .address_space:  global
        .offset:         64
        .size:           8
        .value_kind:     global_buffer
      - .offset:         72
        .size:           4
        .value_kind:     by_value
      - .offset:         76
        .size:           4
        .value_kind:     by_value
      - .offset:         80
        .size:           4
        .value_kind:     by_value
      - .address_space:  global
        .offset:         88
        .size:           8
        .value_kind:     global_buffer
      - .address_space:  global
        .offset:         96
        .size:           8
        .value_kind:     global_buffer
      - .offset:         104
        .size:           4
        .value_kind:     by_value
      - .offset:         108
        .size:           4
        .value_kind:     by_value
      - .offset:         112
        .size:           4
        .value_kind:     by_value
      - .offset:         116
        .size:           4
        .value_kind:     by_value
      - .offset:         120
        .size:           4
        .value_kind:     by_value
      - .offset:         128
        .size:           4
        .value_kind:     hidden_block_count_x
      - .offset:         132
        .size:           4
        .value_kind:     hidden_block_count_y
      - .offset:         136
        .size:           4
        .value_kind:     hidden_block_count_z
      - .offset:         140
        .size:           2
        .value_kind:     hidden_group_size_x
      - .offset:         142
        .size:           2
        .value_kind:     hidden_group_size_y
      - .offset:         144
        .size:           2
        .value_kind:     hidden_group_size_z
      - .offset:         146
        .size:           2
        .value_kind:     hidden_remainder_x
      - .offset:         148
        .size:           2
        .value_kind:     hidden_remainder_y
      - .offset:         150
        .size:           2
        .value_kind:     hidden_remainder_z
      - .offset:         168
        .size:           8
        .value_kind:     hidden_global_offset_x
      - .offset:         176
        .size:           8
        .value_kind:     hidden_global_offset_y
      - .offset:         184
        .size:           8
        .value_kind:     hidden_global_offset_z
      - .offset:         192
        .size:           2
        .value_kind:     hidden_grid_dims
      - .offset:         248
        .size:           4
        .value_kind:     hidden_dynamic_lds_size
    .group_segment_fixed_size: 208
    .kernarg_segment_align: 8
    .kernarg_segment_size: 384
    .language:       OpenCL C
    .language_version:
      - 2
      - 0
    .max_flat_workgroup_size: 1024
    .name:           _ZN4vllm25paged_attention_v1_kernelIthLi96ELi16ELi128ELNS_18Fp8KVCacheDataTypeE1ELb1EEEvPT_PKS2_PKT0_S8_ifPKiSA_iPKfiiiSC_SC_iiiii
    .private_segment_fixed_size: 0
    .sgpr_count:     64
    .sgpr_spill_count: 0
    .symbol:         _ZN4vllm25paged_attention_v1_kernelIthLi96ELi16ELi128ELNS_18Fp8KVCacheDataTypeE1ELb1EEEvPT_PKS2_PKT0_S8_ifPKiSA_iPKfiiiSC_SC_iiiii.kd
    .uniform_work_group_size: 1
    .uses_dynamic_stack: false
    .vgpr_count:     61
    .vgpr_spill_count: 0
    .wavefront_size: 64
  - .agpr_count:     0
    .args:
      - .actual_access:  write_only
        .address_space:  global
        .offset:         0
        .size:           8
        .value_kind:     global_buffer
      - .actual_access:  read_only
        .address_space:  global
        .offset:         8
        .size:           8
        .value_kind:     global_buffer
      - .actual_access:  read_only
        .address_space:  global
        .offset:         16
        .size:           8
        .value_kind:     global_buffer
      - .actual_access:  read_only
        .address_space:  global
        .offset:         24
        .size:           8
        .value_kind:     global_buffer
      - .offset:         32
        .size:           4
        .value_kind:     by_value
      - .offset:         36
        .size:           4
        .value_kind:     by_value
      - .actual_access:  read_only
        .address_space:  global
        .offset:         40
        .size:           8
        .value_kind:     global_buffer
      - .actual_access:  read_only
        .address_space:  global
        .offset:         48
        .size:           8
        .value_kind:     global_buffer
      - .offset:         56
        .size:           4
        .value_kind:     by_value
      - .actual_access:  read_only
        .address_space:  global
        .offset:         64
        .size:           8
        .value_kind:     global_buffer
      - .offset:         72
        .size:           4
        .value_kind:     by_value
      - .offset:         76
        .size:           4
        .value_kind:     by_value
      - .offset:         80
        .size:           4
        .value_kind:     by_value
      - .address_space:  global
        .offset:         88
        .size:           8
        .value_kind:     global_buffer
      - .address_space:  global
        .offset:         96
        .size:           8
        .value_kind:     global_buffer
      - .offset:         104
        .size:           4
        .value_kind:     by_value
      - .offset:         108
        .size:           4
        .value_kind:     by_value
      - .offset:         112
        .size:           4
        .value_kind:     by_value
      - .offset:         116
        .size:           4
        .value_kind:     by_value
      - .offset:         120
        .size:           4
        .value_kind:     by_value
      - .offset:         128
        .size:           4
        .value_kind:     hidden_block_count_x
      - .offset:         132
        .size:           4
        .value_kind:     hidden_block_count_y
      - .offset:         136
        .size:           4
        .value_kind:     hidden_block_count_z
      - .offset:         140
        .size:           2
        .value_kind:     hidden_group_size_x
      - .offset:         142
        .size:           2
        .value_kind:     hidden_group_size_y
      - .offset:         144
        .size:           2
        .value_kind:     hidden_group_size_z
      - .offset:         146
        .size:           2
        .value_kind:     hidden_remainder_x
      - .offset:         148
        .size:           2
        .value_kind:     hidden_remainder_y
      - .offset:         150
        .size:           2
        .value_kind:     hidden_remainder_z
      - .offset:         168
        .size:           8
        .value_kind:     hidden_global_offset_x
      - .offset:         176
        .size:           8
        .value_kind:     hidden_global_offset_y
      - .offset:         184
        .size:           8
        .value_kind:     hidden_global_offset_z
      - .offset:         192
        .size:           2
        .value_kind:     hidden_grid_dims
      - .offset:         248
        .size:           4
        .value_kind:     hidden_dynamic_lds_size
    .group_segment_fixed_size: 240
    .kernarg_segment_align: 8
    .kernarg_segment_size: 384
    .language:       OpenCL C
    .language_version:
      - 2
      - 0
    .max_flat_workgroup_size: 1024
    .name:           _ZN4vllm25paged_attention_v1_kernelIthLi112ELi16ELi128ELNS_18Fp8KVCacheDataTypeE1ELb1EEEvPT_PKS2_PKT0_S8_ifPKiSA_iPKfiiiSC_SC_iiiii
    .private_segment_fixed_size: 0
    .sgpr_count:     64
    .sgpr_spill_count: 0
    .symbol:         _ZN4vllm25paged_attention_v1_kernelIthLi112ELi16ELi128ELNS_18Fp8KVCacheDataTypeE1ELb1EEEvPT_PKS2_PKT0_S8_ifPKiSA_iPKfiiiSC_SC_iiiii.kd
    .uniform_work_group_size: 1
    .uses_dynamic_stack: false
    .vgpr_count:     67
    .vgpr_spill_count: 0
    .wavefront_size: 64
  - .agpr_count:     0
    .args:
      - .actual_access:  write_only
        .address_space:  global
        .offset:         0
        .size:           8
        .value_kind:     global_buffer
      - .actual_access:  read_only
        .address_space:  global
        .offset:         8
        .size:           8
        .value_kind:     global_buffer
      - .actual_access:  read_only
        .address_space:  global
        .offset:         16
        .size:           8
        .value_kind:     global_buffer
      - .actual_access:  read_only
        .address_space:  global
        .offset:         24
        .size:           8
        .value_kind:     global_buffer
      - .offset:         32
        .size:           4
        .value_kind:     by_value
      - .offset:         36
        .size:           4
        .value_kind:     by_value
      - .actual_access:  read_only
        .address_space:  global
        .offset:         40
        .size:           8
        .value_kind:     global_buffer
      - .actual_access:  read_only
        .address_space:  global
        .offset:         48
        .size:           8
        .value_kind:     global_buffer
      - .offset:         56
        .size:           4
        .value_kind:     by_value
      - .actual_access:  read_only
        .address_space:  global
        .offset:         64
        .size:           8
        .value_kind:     global_buffer
      - .offset:         72
        .size:           4
        .value_kind:     by_value
      - .offset:         76
        .size:           4
        .value_kind:     by_value
      - .offset:         80
        .size:           4
        .value_kind:     by_value
      - .address_space:  global
        .offset:         88
        .size:           8
        .value_kind:     global_buffer
      - .address_space:  global
        .offset:         96
        .size:           8
        .value_kind:     global_buffer
      - .offset:         104
        .size:           4
        .value_kind:     by_value
      - .offset:         108
        .size:           4
        .value_kind:     by_value
      - .offset:         112
        .size:           4
        .value_kind:     by_value
      - .offset:         116
        .size:           4
        .value_kind:     by_value
      - .offset:         120
        .size:           4
        .value_kind:     by_value
      - .offset:         128
        .size:           4
        .value_kind:     hidden_block_count_x
      - .offset:         132
        .size:           4
        .value_kind:     hidden_block_count_y
      - .offset:         136
        .size:           4
        .value_kind:     hidden_block_count_z
      - .offset:         140
        .size:           2
        .value_kind:     hidden_group_size_x
      - .offset:         142
        .size:           2
        .value_kind:     hidden_group_size_y
      - .offset:         144
        .size:           2
        .value_kind:     hidden_group_size_z
      - .offset:         146
        .size:           2
        .value_kind:     hidden_remainder_x
      - .offset:         148
        .size:           2
        .value_kind:     hidden_remainder_y
      - .offset:         150
        .size:           2
        .value_kind:     hidden_remainder_z
      - .offset:         168
        .size:           8
        .value_kind:     hidden_global_offset_x
      - .offset:         176
        .size:           8
        .value_kind:     hidden_global_offset_y
      - .offset:         184
        .size:           8
        .value_kind:     hidden_global_offset_z
      - .offset:         192
        .size:           2
        .value_kind:     hidden_grid_dims
      - .offset:         248
        .size:           4
        .value_kind:     hidden_dynamic_lds_size
    .group_segment_fixed_size: 256
    .kernarg_segment_align: 8
    .kernarg_segment_size: 384
    .language:       OpenCL C
    .language_version:
      - 2
      - 0
    .max_flat_workgroup_size: 1024
    .name:           _ZN4vllm25paged_attention_v1_kernelIthLi120ELi16ELi128ELNS_18Fp8KVCacheDataTypeE1ELb1EEEvPT_PKS2_PKT0_S8_ifPKiSA_iPKfiiiSC_SC_iiiii
    .private_segment_fixed_size: 0
    .sgpr_count:     64
    .sgpr_spill_count: 0
    .symbol:         _ZN4vllm25paged_attention_v1_kernelIthLi120ELi16ELi128ELNS_18Fp8KVCacheDataTypeE1ELb1EEEvPT_PKS2_PKT0_S8_ifPKiSA_iPKfiiiSC_SC_iiiii.kd
    .uniform_work_group_size: 1
    .uses_dynamic_stack: false
    .vgpr_count:     70
    .vgpr_spill_count: 0
    .wavefront_size: 64
  - .agpr_count:     0
    .args:
      - .actual_access:  write_only
        .address_space:  global
        .offset:         0
        .size:           8
        .value_kind:     global_buffer
      - .actual_access:  read_only
        .address_space:  global
        .offset:         8
        .size:           8
        .value_kind:     global_buffer
      - .actual_access:  read_only
        .address_space:  global
        .offset:         16
        .size:           8
        .value_kind:     global_buffer
      - .actual_access:  read_only
        .address_space:  global
        .offset:         24
        .size:           8
        .value_kind:     global_buffer
      - .offset:         32
        .size:           4
        .value_kind:     by_value
      - .offset:         36
        .size:           4
        .value_kind:     by_value
      - .actual_access:  read_only
        .address_space:  global
        .offset:         40
        .size:           8
        .value_kind:     global_buffer
      - .actual_access:  read_only
        .address_space:  global
        .offset:         48
        .size:           8
        .value_kind:     global_buffer
      - .offset:         56
        .size:           4
        .value_kind:     by_value
      - .actual_access:  read_only
        .address_space:  global
        .offset:         64
        .size:           8
        .value_kind:     global_buffer
      - .offset:         72
        .size:           4
        .value_kind:     by_value
      - .offset:         76
        .size:           4
        .value_kind:     by_value
      - .offset:         80
        .size:           4
        .value_kind:     by_value
      - .address_space:  global
        .offset:         88
        .size:           8
        .value_kind:     global_buffer
      - .address_space:  global
        .offset:         96
        .size:           8
        .value_kind:     global_buffer
      - .offset:         104
        .size:           4
        .value_kind:     by_value
      - .offset:         108
        .size:           4
        .value_kind:     by_value
      - .offset:         112
        .size:           4
        .value_kind:     by_value
      - .offset:         116
        .size:           4
        .value_kind:     by_value
      - .offset:         120
        .size:           4
        .value_kind:     by_value
      - .offset:         128
        .size:           4
        .value_kind:     hidden_block_count_x
      - .offset:         132
        .size:           4
        .value_kind:     hidden_block_count_y
      - .offset:         136
        .size:           4
        .value_kind:     hidden_block_count_z
      - .offset:         140
        .size:           2
        .value_kind:     hidden_group_size_x
      - .offset:         142
        .size:           2
        .value_kind:     hidden_group_size_y
      - .offset:         144
        .size:           2
        .value_kind:     hidden_group_size_z
      - .offset:         146
        .size:           2
        .value_kind:     hidden_remainder_x
      - .offset:         148
        .size:           2
        .value_kind:     hidden_remainder_y
      - .offset:         150
        .size:           2
        .value_kind:     hidden_remainder_z
      - .offset:         168
        .size:           8
        .value_kind:     hidden_global_offset_x
      - .offset:         176
        .size:           8
        .value_kind:     hidden_global_offset_y
      - .offset:         184
        .size:           8
        .value_kind:     hidden_global_offset_z
      - .offset:         192
        .size:           2
        .value_kind:     hidden_grid_dims
      - .offset:         248
        .size:           4
        .value_kind:     hidden_dynamic_lds_size
    .group_segment_fixed_size: 272
    .kernarg_segment_align: 8
    .kernarg_segment_size: 384
    .language:       OpenCL C
    .language_version:
      - 2
      - 0
    .max_flat_workgroup_size: 1024
    .name:           _ZN4vllm25paged_attention_v1_kernelIthLi128ELi16ELi128ELNS_18Fp8KVCacheDataTypeE1ELb1EEEvPT_PKS2_PKT0_S8_ifPKiSA_iPKfiiiSC_SC_iiiii
    .private_segment_fixed_size: 0
    .sgpr_count:     66
    .sgpr_spill_count: 0
    .symbol:         _ZN4vllm25paged_attention_v1_kernelIthLi128ELi16ELi128ELNS_18Fp8KVCacheDataTypeE1ELb1EEEvPT_PKS2_PKT0_S8_ifPKiSA_iPKfiiiSC_SC_iiiii.kd
    .uniform_work_group_size: 1
    .uses_dynamic_stack: false
    .vgpr_count:     73
    .vgpr_spill_count: 0
    .wavefront_size: 64
  - .agpr_count:     53
    .args:
      - .actual_access:  write_only
        .address_space:  global
        .offset:         0
        .size:           8
        .value_kind:     global_buffer
      - .actual_access:  read_only
        .address_space:  global
        .offset:         8
        .size:           8
        .value_kind:     global_buffer
      - .actual_access:  read_only
        .address_space:  global
        .offset:         16
        .size:           8
        .value_kind:     global_buffer
      - .actual_access:  read_only
        .address_space:  global
        .offset:         24
        .size:           8
        .value_kind:     global_buffer
      - .offset:         32
        .size:           4
        .value_kind:     by_value
      - .offset:         36
        .size:           4
        .value_kind:     by_value
      - .actual_access:  read_only
        .address_space:  global
        .offset:         40
        .size:           8
        .value_kind:     global_buffer
      - .actual_access:  read_only
        .address_space:  global
        .offset:         48
        .size:           8
        .value_kind:     global_buffer
      - .offset:         56
        .size:           4
        .value_kind:     by_value
      - .address_space:  global
        .offset:         64
        .size:           8
        .value_kind:     global_buffer
      - .offset:         72
        .size:           4
        .value_kind:     by_value
      - .offset:         76
        .size:           4
        .value_kind:     by_value
      - .offset:         80
        .size:           4
        .value_kind:     by_value
      - .address_space:  global
        .offset:         88
        .size:           8
        .value_kind:     global_buffer
      - .address_space:  global
        .offset:         96
        .size:           8
        .value_kind:     global_buffer
      - .offset:         104
        .size:           4
        .value_kind:     by_value
      - .offset:         108
        .size:           4
        .value_kind:     by_value
      - .offset:         112
        .size:           4
        .value_kind:     by_value
      - .offset:         116
        .size:           4
        .value_kind:     by_value
      - .offset:         120
        .size:           4
        .value_kind:     by_value
      - .offset:         128
        .size:           4
        .value_kind:     hidden_block_count_x
      - .offset:         132
        .size:           4
        .value_kind:     hidden_block_count_y
      - .offset:         136
        .size:           4
        .value_kind:     hidden_block_count_z
      - .offset:         140
        .size:           2
        .value_kind:     hidden_group_size_x
      - .offset:         142
        .size:           2
        .value_kind:     hidden_group_size_y
      - .offset:         144
        .size:           2
        .value_kind:     hidden_group_size_z
      - .offset:         146
        .size:           2
        .value_kind:     hidden_remainder_x
      - .offset:         148
        .size:           2
        .value_kind:     hidden_remainder_y
      - .offset:         150
        .size:           2
        .value_kind:     hidden_remainder_z
      - .offset:         168
        .size:           8
        .value_kind:     hidden_global_offset_x
      - .offset:         176
        .size:           8
        .value_kind:     hidden_global_offset_y
      - .offset:         184
        .size:           8
        .value_kind:     hidden_global_offset_z
      - .offset:         192
        .size:           2
        .value_kind:     hidden_grid_dims
      - .offset:         248
        .size:           4
        .value_kind:     hidden_dynamic_lds_size
    .group_segment_fixed_size: 400
    .kernarg_segment_align: 8
    .kernarg_segment_size: 384
    .language:       OpenCL C
    .language_version:
      - 2
      - 0
    .max_flat_workgroup_size: 1024
    .name:           _ZN4vllm25paged_attention_v1_kernelIthLi192ELi16ELi128ELNS_18Fp8KVCacheDataTypeE1ELb1EEEvPT_PKS2_PKT0_S8_ifPKiSA_iPKfiiiSC_SC_iiiii
    .private_segment_fixed_size: 160
    .sgpr_count:     50
    .sgpr_spill_count: 0
    .symbol:         _ZN4vllm25paged_attention_v1_kernelIthLi192ELi16ELi128ELNS_18Fp8KVCacheDataTypeE1ELb1EEEvPT_PKS2_PKT0_S8_ifPKiSA_iPKfiiiSC_SC_iiiii.kd
    .uniform_work_group_size: 1
    .uses_dynamic_stack: false
    .vgpr_count:     117
    .vgpr_spill_count: 0
    .wavefront_size: 64
  - .agpr_count:     59
    .args:
      - .actual_access:  write_only
        .address_space:  global
        .offset:         0
        .size:           8
        .value_kind:     global_buffer
      - .actual_access:  read_only
        .address_space:  global
        .offset:         8
        .size:           8
        .value_kind:     global_buffer
      - .actual_access:  read_only
        .address_space:  global
        .offset:         16
        .size:           8
        .value_kind:     global_buffer
      - .actual_access:  read_only
        .address_space:  global
        .offset:         24
        .size:           8
        .value_kind:     global_buffer
      - .offset:         32
        .size:           4
        .value_kind:     by_value
      - .offset:         36
        .size:           4
        .value_kind:     by_value
      - .actual_access:  read_only
        .address_space:  global
        .offset:         40
        .size:           8
        .value_kind:     global_buffer
      - .actual_access:  read_only
        .address_space:  global
        .offset:         48
        .size:           8
        .value_kind:     global_buffer
      - .offset:         56
        .size:           4
        .value_kind:     by_value
      - .address_space:  global
        .offset:         64
        .size:           8
        .value_kind:     global_buffer
      - .offset:         72
        .size:           4
        .value_kind:     by_value
      - .offset:         76
        .size:           4
        .value_kind:     by_value
      - .offset:         80
        .size:           4
        .value_kind:     by_value
      - .address_space:  global
        .offset:         88
        .size:           8
        .value_kind:     global_buffer
      - .address_space:  global
        .offset:         96
        .size:           8
        .value_kind:     global_buffer
      - .offset:         104
        .size:           4
        .value_kind:     by_value
      - .offset:         108
        .size:           4
        .value_kind:     by_value
      - .offset:         112
        .size:           4
        .value_kind:     by_value
      - .offset:         116
        .size:           4
        .value_kind:     by_value
      - .offset:         120
        .size:           4
        .value_kind:     by_value
      - .offset:         128
        .size:           4
        .value_kind:     hidden_block_count_x
      - .offset:         132
        .size:           4
        .value_kind:     hidden_block_count_y
      - .offset:         136
        .size:           4
        .value_kind:     hidden_block_count_z
      - .offset:         140
        .size:           2
        .value_kind:     hidden_group_size_x
      - .offset:         142
        .size:           2
        .value_kind:     hidden_group_size_y
      - .offset:         144
        .size:           2
        .value_kind:     hidden_group_size_z
      - .offset:         146
        .size:           2
        .value_kind:     hidden_remainder_x
      - .offset:         148
        .size:           2
        .value_kind:     hidden_remainder_y
      - .offset:         150
        .size:           2
        .value_kind:     hidden_remainder_z
      - .offset:         168
        .size:           8
        .value_kind:     hidden_global_offset_x
      - .offset:         176
        .size:           8
        .value_kind:     hidden_global_offset_y
      - .offset:         184
        .size:           8
        .value_kind:     hidden_global_offset_z
      - .offset:         192
        .size:           2
        .value_kind:     hidden_grid_dims
      - .offset:         248
        .size:           4
        .value_kind:     hidden_dynamic_lds_size
    .group_segment_fixed_size: 528
    .kernarg_segment_align: 8
    .kernarg_segment_size: 384
    .language:       OpenCL C
    .language_version:
      - 2
      - 0
    .max_flat_workgroup_size: 1024
    .name:           _ZN4vllm25paged_attention_v1_kernelIthLi256ELi16ELi128ELNS_18Fp8KVCacheDataTypeE1ELb1EEEvPT_PKS2_PKT0_S8_ifPKiSA_iPKfiiiSC_SC_iiiii
    .private_segment_fixed_size: 184
    .sgpr_count:     50
    .sgpr_spill_count: 0
    .symbol:         _ZN4vllm25paged_attention_v1_kernelIthLi256ELi16ELi128ELNS_18Fp8KVCacheDataTypeE1ELb1EEEvPT_PKS2_PKT0_S8_ifPKiSA_iPKfiiiSC_SC_iiiii.kd
    .uniform_work_group_size: 1
    .uses_dynamic_stack: false
    .vgpr_count:     123
    .vgpr_spill_count: 0
    .wavefront_size: 64
  - .agpr_count:     0
    .args:
      - .actual_access:  write_only
        .address_space:  global
        .offset:         0
        .size:           8
        .value_kind:     global_buffer
      - .actual_access:  read_only
        .address_space:  global
        .offset:         8
        .size:           8
        .value_kind:     global_buffer
      - .actual_access:  read_only
        .address_space:  global
        .offset:         16
        .size:           8
        .value_kind:     global_buffer
      - .actual_access:  read_only
        .address_space:  global
        .offset:         24
        .size:           8
        .value_kind:     global_buffer
      - .offset:         32
        .size:           4
        .value_kind:     by_value
      - .offset:         36
        .size:           4
        .value_kind:     by_value
      - .actual_access:  read_only
        .address_space:  global
        .offset:         40
        .size:           8
        .value_kind:     global_buffer
      - .actual_access:  read_only
        .address_space:  global
        .offset:         48
        .size:           8
        .value_kind:     global_buffer
      - .offset:         56
        .size:           4
        .value_kind:     by_value
      - .actual_access:  read_only
        .address_space:  global
        .offset:         64
        .size:           8
        .value_kind:     global_buffer
      - .offset:         72
        .size:           4
        .value_kind:     by_value
      - .offset:         76
        .size:           4
        .value_kind:     by_value
      - .offset:         80
        .size:           4
        .value_kind:     by_value
      - .address_space:  global
        .offset:         88
        .size:           8
        .value_kind:     global_buffer
      - .address_space:  global
        .offset:         96
        .size:           8
        .value_kind:     global_buffer
      - .offset:         104
        .size:           4
        .value_kind:     by_value
      - .offset:         108
        .size:           4
        .value_kind:     by_value
      - .offset:         112
        .size:           4
        .value_kind:     by_value
      - .offset:         116
        .size:           4
        .value_kind:     by_value
      - .offset:         120
        .size:           4
        .value_kind:     by_value
      - .offset:         128
        .size:           4
        .value_kind:     hidden_block_count_x
      - .offset:         132
        .size:           4
        .value_kind:     hidden_block_count_y
      - .offset:         136
        .size:           4
        .value_kind:     hidden_block_count_z
      - .offset:         140
        .size:           2
        .value_kind:     hidden_group_size_x
      - .offset:         142
        .size:           2
        .value_kind:     hidden_group_size_y
      - .offset:         144
        .size:           2
        .value_kind:     hidden_group_size_z
      - .offset:         146
        .size:           2
        .value_kind:     hidden_remainder_x
      - .offset:         148
        .size:           2
        .value_kind:     hidden_remainder_y
      - .offset:         150
        .size:           2
        .value_kind:     hidden_remainder_z
      - .offset:         168
        .size:           8
        .value_kind:     hidden_global_offset_x
      - .offset:         176
        .size:           8
        .value_kind:     hidden_global_offset_y
      - .offset:         184
        .size:           8
        .value_kind:     hidden_global_offset_z
      - .offset:         192
        .size:           2
        .value_kind:     hidden_grid_dims
      - .offset:         248
        .size:           4
        .value_kind:     hidden_dynamic_lds_size
    .group_segment_fixed_size: 80
    .kernarg_segment_align: 8
    .kernarg_segment_size: 384
    .language:       OpenCL C
    .language_version:
      - 2
      - 0
    .max_flat_workgroup_size: 1024
    .name:           _ZN4vllm25paged_attention_v1_kernelIthLi32ELi16ELi128ELNS_18Fp8KVCacheDataTypeE1ELb0EEEvPT_PKS2_PKT0_S8_ifPKiSA_iPKfiiiSC_SC_iiiii
    .private_segment_fixed_size: 0
    .sgpr_count:     54
    .sgpr_spill_count: 0
    .symbol:         _ZN4vllm25paged_attention_v1_kernelIthLi32ELi16ELi128ELNS_18Fp8KVCacheDataTypeE1ELb0EEEvPT_PKS2_PKT0_S8_ifPKiSA_iPKfiiiSC_SC_iiiii.kd
    .uniform_work_group_size: 1
    .uses_dynamic_stack: false
    .vgpr_count:     35
    .vgpr_spill_count: 0
    .wavefront_size: 64
  - .agpr_count:     0
    .args:
      - .actual_access:  write_only
        .address_space:  global
        .offset:         0
        .size:           8
        .value_kind:     global_buffer
      - .actual_access:  read_only
        .address_space:  global
        .offset:         8
        .size:           8
        .value_kind:     global_buffer
      - .actual_access:  read_only
        .address_space:  global
        .offset:         16
        .size:           8
        .value_kind:     global_buffer
      - .actual_access:  read_only
        .address_space:  global
        .offset:         24
        .size:           8
        .value_kind:     global_buffer
      - .offset:         32
        .size:           4
        .value_kind:     by_value
      - .offset:         36
        .size:           4
        .value_kind:     by_value
      - .actual_access:  read_only
        .address_space:  global
        .offset:         40
        .size:           8
        .value_kind:     global_buffer
      - .actual_access:  read_only
        .address_space:  global
        .offset:         48
        .size:           8
        .value_kind:     global_buffer
      - .offset:         56
        .size:           4
        .value_kind:     by_value
      - .actual_access:  read_only
        .address_space:  global
        .offset:         64
        .size:           8
        .value_kind:     global_buffer
      - .offset:         72
        .size:           4
        .value_kind:     by_value
      - .offset:         76
        .size:           4
        .value_kind:     by_value
      - .offset:         80
        .size:           4
        .value_kind:     by_value
      - .address_space:  global
        .offset:         88
        .size:           8
        .value_kind:     global_buffer
      - .address_space:  global
        .offset:         96
        .size:           8
        .value_kind:     global_buffer
      - .offset:         104
        .size:           4
        .value_kind:     by_value
      - .offset:         108
        .size:           4
        .value_kind:     by_value
      - .offset:         112
        .size:           4
        .value_kind:     by_value
      - .offset:         116
        .size:           4
        .value_kind:     by_value
      - .offset:         120
        .size:           4
        .value_kind:     by_value
      - .offset:         128
        .size:           4
        .value_kind:     hidden_block_count_x
      - .offset:         132
        .size:           4
        .value_kind:     hidden_block_count_y
      - .offset:         136
        .size:           4
        .value_kind:     hidden_block_count_z
      - .offset:         140
        .size:           2
        .value_kind:     hidden_group_size_x
      - .offset:         142
        .size:           2
        .value_kind:     hidden_group_size_y
      - .offset:         144
        .size:           2
        .value_kind:     hidden_group_size_z
      - .offset:         146
        .size:           2
        .value_kind:     hidden_remainder_x
      - .offset:         148
        .size:           2
        .value_kind:     hidden_remainder_y
      - .offset:         150
        .size:           2
        .value_kind:     hidden_remainder_z
      - .offset:         168
        .size:           8
        .value_kind:     hidden_global_offset_x
      - .offset:         176
        .size:           8
        .value_kind:     hidden_global_offset_y
      - .offset:         184
        .size:           8
        .value_kind:     hidden_global_offset_z
      - .offset:         192
        .size:           2
        .value_kind:     hidden_grid_dims
      - .offset:         248
        .size:           4
        .value_kind:     hidden_dynamic_lds_size
    .group_segment_fixed_size: 144
    .kernarg_segment_align: 8
    .kernarg_segment_size: 384
    .language:       OpenCL C
    .language_version:
      - 2
      - 0
    .max_flat_workgroup_size: 1024
    .name:           _ZN4vllm25paged_attention_v1_kernelIthLi64ELi16ELi128ELNS_18Fp8KVCacheDataTypeE1ELb0EEEvPT_PKS2_PKT0_S8_ifPKiSA_iPKfiiiSC_SC_iiiii
    .private_segment_fixed_size: 0
    .sgpr_count:     54
    .sgpr_spill_count: 0
    .symbol:         _ZN4vllm25paged_attention_v1_kernelIthLi64ELi16ELi128ELNS_18Fp8KVCacheDataTypeE1ELb0EEEvPT_PKS2_PKT0_S8_ifPKiSA_iPKfiiiSC_SC_iiiii.kd
    .uniform_work_group_size: 1
    .uses_dynamic_stack: false
    .vgpr_count:     43
    .vgpr_spill_count: 0
    .wavefront_size: 64
  - .agpr_count:     0
    .args:
      - .actual_access:  write_only
        .address_space:  global
        .offset:         0
        .size:           8
        .value_kind:     global_buffer
      - .actual_access:  read_only
        .address_space:  global
        .offset:         8
        .size:           8
        .value_kind:     global_buffer
      - .actual_access:  read_only
        .address_space:  global
        .offset:         16
        .size:           8
        .value_kind:     global_buffer
      - .actual_access:  read_only
        .address_space:  global
        .offset:         24
        .size:           8
        .value_kind:     global_buffer
      - .offset:         32
        .size:           4
        .value_kind:     by_value
      - .offset:         36
        .size:           4
        .value_kind:     by_value
      - .actual_access:  read_only
        .address_space:  global
        .offset:         40
        .size:           8
        .value_kind:     global_buffer
      - .actual_access:  read_only
        .address_space:  global
        .offset:         48
        .size:           8
        .value_kind:     global_buffer
      - .offset:         56
        .size:           4
        .value_kind:     by_value
      - .actual_access:  read_only
        .address_space:  global
        .offset:         64
        .size:           8
        .value_kind:     global_buffer
      - .offset:         72
        .size:           4
        .value_kind:     by_value
      - .offset:         76
        .size:           4
        .value_kind:     by_value
      - .offset:         80
        .size:           4
        .value_kind:     by_value
      - .address_space:  global
        .offset:         88
        .size:           8
        .value_kind:     global_buffer
      - .address_space:  global
        .offset:         96
        .size:           8
        .value_kind:     global_buffer
      - .offset:         104
        .size:           4
        .value_kind:     by_value
      - .offset:         108
        .size:           4
        .value_kind:     by_value
      - .offset:         112
        .size:           4
        .value_kind:     by_value
      - .offset:         116
        .size:           4
        .value_kind:     by_value
      - .offset:         120
        .size:           4
        .value_kind:     by_value
      - .offset:         128
        .size:           4
        .value_kind:     hidden_block_count_x
      - .offset:         132
        .size:           4
        .value_kind:     hidden_block_count_y
      - .offset:         136
        .size:           4
        .value_kind:     hidden_block_count_z
      - .offset:         140
        .size:           2
        .value_kind:     hidden_group_size_x
      - .offset:         142
        .size:           2
        .value_kind:     hidden_group_size_y
      - .offset:         144
        .size:           2
        .value_kind:     hidden_group_size_z
      - .offset:         146
        .size:           2
        .value_kind:     hidden_remainder_x
      - .offset:         148
        .size:           2
        .value_kind:     hidden_remainder_y
      - .offset:         150
        .size:           2
        .value_kind:     hidden_remainder_z
      - .offset:         168
        .size:           8
        .value_kind:     hidden_global_offset_x
      - .offset:         176
        .size:           8
        .value_kind:     hidden_global_offset_y
      - .offset:         184
        .size:           8
        .value_kind:     hidden_global_offset_z
      - .offset:         192
        .size:           2
        .value_kind:     hidden_grid_dims
      - .offset:         248
        .size:           4
        .value_kind:     hidden_dynamic_lds_size
    .group_segment_fixed_size: 176
    .kernarg_segment_align: 8
    .kernarg_segment_size: 384
    .language:       OpenCL C
    .language_version:
      - 2
      - 0
    .max_flat_workgroup_size: 1024
    .name:           _ZN4vllm25paged_attention_v1_kernelIthLi80ELi16ELi128ELNS_18Fp8KVCacheDataTypeE1ELb0EEEvPT_PKS2_PKT0_S8_ifPKiSA_iPKfiiiSC_SC_iiiii
    .private_segment_fixed_size: 0
    .sgpr_count:     54
    .sgpr_spill_count: 0
    .symbol:         _ZN4vllm25paged_attention_v1_kernelIthLi80ELi16ELi128ELNS_18Fp8KVCacheDataTypeE1ELb0EEEvPT_PKS2_PKT0_S8_ifPKiSA_iPKfiiiSC_SC_iiiii.kd
    .uniform_work_group_size: 1
    .uses_dynamic_stack: false
    .vgpr_count:     49
    .vgpr_spill_count: 0
    .wavefront_size: 64
  - .agpr_count:     0
    .args:
      - .actual_access:  write_only
        .address_space:  global
        .offset:         0
        .size:           8
        .value_kind:     global_buffer
      - .actual_access:  read_only
        .address_space:  global
        .offset:         8
        .size:           8
        .value_kind:     global_buffer
      - .actual_access:  read_only
        .address_space:  global
        .offset:         16
        .size:           8
        .value_kind:     global_buffer
      - .actual_access:  read_only
        .address_space:  global
        .offset:         24
        .size:           8
        .value_kind:     global_buffer
      - .offset:         32
        .size:           4
        .value_kind:     by_value
      - .offset:         36
        .size:           4
        .value_kind:     by_value
      - .actual_access:  read_only
        .address_space:  global
        .offset:         40
        .size:           8
        .value_kind:     global_buffer
      - .actual_access:  read_only
        .address_space:  global
        .offset:         48
        .size:           8
        .value_kind:     global_buffer
      - .offset:         56
        .size:           4
        .value_kind:     by_value
      - .actual_access:  read_only
        .address_space:  global
        .offset:         64
        .size:           8
        .value_kind:     global_buffer
      - .offset:         72
        .size:           4
        .value_kind:     by_value
      - .offset:         76
        .size:           4
        .value_kind:     by_value
      - .offset:         80
        .size:           4
        .value_kind:     by_value
      - .address_space:  global
        .offset:         88
        .size:           8
        .value_kind:     global_buffer
      - .address_space:  global
        .offset:         96
        .size:           8
        .value_kind:     global_buffer
      - .offset:         104
        .size:           4
        .value_kind:     by_value
      - .offset:         108
        .size:           4
        .value_kind:     by_value
      - .offset:         112
        .size:           4
        .value_kind:     by_value
      - .offset:         116
        .size:           4
        .value_kind:     by_value
      - .offset:         120
        .size:           4
        .value_kind:     by_value
      - .offset:         128
        .size:           4
        .value_kind:     hidden_block_count_x
      - .offset:         132
        .size:           4
        .value_kind:     hidden_block_count_y
      - .offset:         136
        .size:           4
        .value_kind:     hidden_block_count_z
      - .offset:         140
        .size:           2
        .value_kind:     hidden_group_size_x
      - .offset:         142
        .size:           2
        .value_kind:     hidden_group_size_y
      - .offset:         144
        .size:           2
        .value_kind:     hidden_group_size_z
      - .offset:         146
        .size:           2
        .value_kind:     hidden_remainder_x
      - .offset:         148
        .size:           2
        .value_kind:     hidden_remainder_y
      - .offset:         150
        .size:           2
        .value_kind:     hidden_remainder_z
      - .offset:         168
        .size:           8
        .value_kind:     hidden_global_offset_x
      - .offset:         176
        .size:           8
        .value_kind:     hidden_global_offset_y
      - .offset:         184
        .size:           8
        .value_kind:     hidden_global_offset_z
      - .offset:         192
        .size:           2
        .value_kind:     hidden_grid_dims
      - .offset:         248
        .size:           4
        .value_kind:     hidden_dynamic_lds_size
    .group_segment_fixed_size: 208
    .kernarg_segment_align: 8
    .kernarg_segment_size: 384
    .language:       OpenCL C
    .language_version:
      - 2
      - 0
    .max_flat_workgroup_size: 1024
    .name:           _ZN4vllm25paged_attention_v1_kernelIthLi96ELi16ELi128ELNS_18Fp8KVCacheDataTypeE1ELb0EEEvPT_PKS2_PKT0_S8_ifPKiSA_iPKfiiiSC_SC_iiiii
    .private_segment_fixed_size: 0
    .sgpr_count:     54
    .sgpr_spill_count: 0
    .symbol:         _ZN4vllm25paged_attention_v1_kernelIthLi96ELi16ELi128ELNS_18Fp8KVCacheDataTypeE1ELb0EEEvPT_PKS2_PKT0_S8_ifPKiSA_iPKfiiiSC_SC_iiiii.kd
    .uniform_work_group_size: 1
    .uses_dynamic_stack: false
    .vgpr_count:     55
    .vgpr_spill_count: 0
    .wavefront_size: 64
  - .agpr_count:     0
    .args:
      - .actual_access:  write_only
        .address_space:  global
        .offset:         0
        .size:           8
        .value_kind:     global_buffer
      - .actual_access:  read_only
        .address_space:  global
        .offset:         8
        .size:           8
        .value_kind:     global_buffer
      - .actual_access:  read_only
        .address_space:  global
        .offset:         16
        .size:           8
        .value_kind:     global_buffer
      - .actual_access:  read_only
        .address_space:  global
        .offset:         24
        .size:           8
        .value_kind:     global_buffer
      - .offset:         32
        .size:           4
        .value_kind:     by_value
      - .offset:         36
        .size:           4
        .value_kind:     by_value
      - .actual_access:  read_only
        .address_space:  global
        .offset:         40
        .size:           8
        .value_kind:     global_buffer
      - .actual_access:  read_only
        .address_space:  global
        .offset:         48
        .size:           8
        .value_kind:     global_buffer
      - .offset:         56
        .size:           4
        .value_kind:     by_value
      - .actual_access:  read_only
        .address_space:  global
        .offset:         64
        .size:           8
        .value_kind:     global_buffer
      - .offset:         72
        .size:           4
        .value_kind:     by_value
      - .offset:         76
        .size:           4
        .value_kind:     by_value
      - .offset:         80
        .size:           4
        .value_kind:     by_value
      - .address_space:  global
        .offset:         88
        .size:           8
        .value_kind:     global_buffer
      - .address_space:  global
        .offset:         96
        .size:           8
        .value_kind:     global_buffer
      - .offset:         104
        .size:           4
        .value_kind:     by_value
      - .offset:         108
        .size:           4
        .value_kind:     by_value
      - .offset:         112
        .size:           4
        .value_kind:     by_value
      - .offset:         116
        .size:           4
        .value_kind:     by_value
      - .offset:         120
        .size:           4
        .value_kind:     by_value
      - .offset:         128
        .size:           4
        .value_kind:     hidden_block_count_x
      - .offset:         132
        .size:           4
        .value_kind:     hidden_block_count_y
      - .offset:         136
        .size:           4
        .value_kind:     hidden_block_count_z
      - .offset:         140
        .size:           2
        .value_kind:     hidden_group_size_x
      - .offset:         142
        .size:           2
        .value_kind:     hidden_group_size_y
      - .offset:         144
        .size:           2
        .value_kind:     hidden_group_size_z
      - .offset:         146
        .size:           2
        .value_kind:     hidden_remainder_x
      - .offset:         148
        .size:           2
        .value_kind:     hidden_remainder_y
      - .offset:         150
        .size:           2
        .value_kind:     hidden_remainder_z
      - .offset:         168
        .size:           8
        .value_kind:     hidden_global_offset_x
      - .offset:         176
        .size:           8
        .value_kind:     hidden_global_offset_y
      - .offset:         184
        .size:           8
        .value_kind:     hidden_global_offset_z
      - .offset:         192
        .size:           2
        .value_kind:     hidden_grid_dims
      - .offset:         248
        .size:           4
        .value_kind:     hidden_dynamic_lds_size
    .group_segment_fixed_size: 240
    .kernarg_segment_align: 8
    .kernarg_segment_size: 384
    .language:       OpenCL C
    .language_version:
      - 2
      - 0
    .max_flat_workgroup_size: 1024
    .name:           _ZN4vllm25paged_attention_v1_kernelIthLi112ELi16ELi128ELNS_18Fp8KVCacheDataTypeE1ELb0EEEvPT_PKS2_PKT0_S8_ifPKiSA_iPKfiiiSC_SC_iiiii
    .private_segment_fixed_size: 0
    .sgpr_count:     54
    .sgpr_spill_count: 0
    .symbol:         _ZN4vllm25paged_attention_v1_kernelIthLi112ELi16ELi128ELNS_18Fp8KVCacheDataTypeE1ELb0EEEvPT_PKS2_PKT0_S8_ifPKiSA_iPKfiiiSC_SC_iiiii.kd
    .uniform_work_group_size: 1
    .uses_dynamic_stack: false
    .vgpr_count:     61
    .vgpr_spill_count: 0
    .wavefront_size: 64
  - .agpr_count:     0
    .args:
      - .actual_access:  write_only
        .address_space:  global
        .offset:         0
        .size:           8
        .value_kind:     global_buffer
      - .actual_access:  read_only
        .address_space:  global
        .offset:         8
        .size:           8
        .value_kind:     global_buffer
      - .actual_access:  read_only
        .address_space:  global
        .offset:         16
        .size:           8
        .value_kind:     global_buffer
      - .actual_access:  read_only
        .address_space:  global
        .offset:         24
        .size:           8
        .value_kind:     global_buffer
      - .offset:         32
        .size:           4
        .value_kind:     by_value
      - .offset:         36
        .size:           4
        .value_kind:     by_value
      - .actual_access:  read_only
        .address_space:  global
        .offset:         40
        .size:           8
        .value_kind:     global_buffer
      - .actual_access:  read_only
        .address_space:  global
        .offset:         48
        .size:           8
        .value_kind:     global_buffer
      - .offset:         56
        .size:           4
        .value_kind:     by_value
      - .actual_access:  read_only
        .address_space:  global
        .offset:         64
        .size:           8
        .value_kind:     global_buffer
      - .offset:         72
        .size:           4
        .value_kind:     by_value
      - .offset:         76
        .size:           4
        .value_kind:     by_value
      - .offset:         80
        .size:           4
        .value_kind:     by_value
      - .address_space:  global
        .offset:         88
        .size:           8
        .value_kind:     global_buffer
      - .address_space:  global
        .offset:         96
        .size:           8
        .value_kind:     global_buffer
      - .offset:         104
        .size:           4
        .value_kind:     by_value
      - .offset:         108
        .size:           4
        .value_kind:     by_value
      - .offset:         112
        .size:           4
        .value_kind:     by_value
      - .offset:         116
        .size:           4
        .value_kind:     by_value
      - .offset:         120
        .size:           4
        .value_kind:     by_value
      - .offset:         128
        .size:           4
        .value_kind:     hidden_block_count_x
      - .offset:         132
        .size:           4
        .value_kind:     hidden_block_count_y
      - .offset:         136
        .size:           4
        .value_kind:     hidden_block_count_z
      - .offset:         140
        .size:           2
        .value_kind:     hidden_group_size_x
      - .offset:         142
        .size:           2
        .value_kind:     hidden_group_size_y
      - .offset:         144
        .size:           2
        .value_kind:     hidden_group_size_z
      - .offset:         146
        .size:           2
        .value_kind:     hidden_remainder_x
      - .offset:         148
        .size:           2
        .value_kind:     hidden_remainder_y
      - .offset:         150
        .size:           2
        .value_kind:     hidden_remainder_z
      - .offset:         168
        .size:           8
        .value_kind:     hidden_global_offset_x
      - .offset:         176
        .size:           8
        .value_kind:     hidden_global_offset_y
      - .offset:         184
        .size:           8
        .value_kind:     hidden_global_offset_z
      - .offset:         192
        .size:           2
        .value_kind:     hidden_grid_dims
      - .offset:         248
        .size:           4
        .value_kind:     hidden_dynamic_lds_size
    .group_segment_fixed_size: 256
    .kernarg_segment_align: 8
    .kernarg_segment_size: 384
    .language:       OpenCL C
    .language_version:
      - 2
      - 0
    .max_flat_workgroup_size: 1024
    .name:           _ZN4vllm25paged_attention_v1_kernelIthLi120ELi16ELi128ELNS_18Fp8KVCacheDataTypeE1ELb0EEEvPT_PKS2_PKT0_S8_ifPKiSA_iPKfiiiSC_SC_iiiii
    .private_segment_fixed_size: 0
    .sgpr_count:     54
    .sgpr_spill_count: 0
    .symbol:         _ZN4vllm25paged_attention_v1_kernelIthLi120ELi16ELi128ELNS_18Fp8KVCacheDataTypeE1ELb0EEEvPT_PKS2_PKT0_S8_ifPKiSA_iPKfiiiSC_SC_iiiii.kd
    .uniform_work_group_size: 1
    .uses_dynamic_stack: false
    .vgpr_count:     64
    .vgpr_spill_count: 0
    .wavefront_size: 64
  - .agpr_count:     0
    .args:
      - .actual_access:  write_only
        .address_space:  global
        .offset:         0
        .size:           8
        .value_kind:     global_buffer
      - .actual_access:  read_only
        .address_space:  global
        .offset:         8
        .size:           8
        .value_kind:     global_buffer
      - .actual_access:  read_only
        .address_space:  global
        .offset:         16
        .size:           8
        .value_kind:     global_buffer
      - .actual_access:  read_only
        .address_space:  global
        .offset:         24
        .size:           8
        .value_kind:     global_buffer
      - .offset:         32
        .size:           4
        .value_kind:     by_value
      - .offset:         36
        .size:           4
        .value_kind:     by_value
      - .actual_access:  read_only
        .address_space:  global
        .offset:         40
        .size:           8
        .value_kind:     global_buffer
      - .actual_access:  read_only
        .address_space:  global
        .offset:         48
        .size:           8
        .value_kind:     global_buffer
      - .offset:         56
        .size:           4
        .value_kind:     by_value
      - .actual_access:  read_only
        .address_space:  global
        .offset:         64
        .size:           8
        .value_kind:     global_buffer
      - .offset:         72
        .size:           4
        .value_kind:     by_value
      - .offset:         76
        .size:           4
        .value_kind:     by_value
      - .offset:         80
        .size:           4
        .value_kind:     by_value
      - .address_space:  global
        .offset:         88
        .size:           8
        .value_kind:     global_buffer
      - .address_space:  global
        .offset:         96
        .size:           8
        .value_kind:     global_buffer
      - .offset:         104
        .size:           4
        .value_kind:     by_value
      - .offset:         108
        .size:           4
        .value_kind:     by_value
      - .offset:         112
        .size:           4
        .value_kind:     by_value
      - .offset:         116
        .size:           4
        .value_kind:     by_value
      - .offset:         120
        .size:           4
        .value_kind:     by_value
      - .offset:         128
        .size:           4
        .value_kind:     hidden_block_count_x
      - .offset:         132
        .size:           4
        .value_kind:     hidden_block_count_y
      - .offset:         136
        .size:           4
        .value_kind:     hidden_block_count_z
      - .offset:         140
        .size:           2
        .value_kind:     hidden_group_size_x
      - .offset:         142
        .size:           2
        .value_kind:     hidden_group_size_y
      - .offset:         144
        .size:           2
        .value_kind:     hidden_group_size_z
      - .offset:         146
        .size:           2
        .value_kind:     hidden_remainder_x
      - .offset:         148
        .size:           2
        .value_kind:     hidden_remainder_y
      - .offset:         150
        .size:           2
        .value_kind:     hidden_remainder_z
      - .offset:         168
        .size:           8
        .value_kind:     hidden_global_offset_x
      - .offset:         176
        .size:           8
        .value_kind:     hidden_global_offset_y
      - .offset:         184
        .size:           8
        .value_kind:     hidden_global_offset_z
      - .offset:         192
        .size:           2
        .value_kind:     hidden_grid_dims
      - .offset:         248
        .size:           4
        .value_kind:     hidden_dynamic_lds_size
    .group_segment_fixed_size: 272
    .kernarg_segment_align: 8
    .kernarg_segment_size: 384
    .language:       OpenCL C
    .language_version:
      - 2
      - 0
    .max_flat_workgroup_size: 1024
    .name:           _ZN4vllm25paged_attention_v1_kernelIthLi128ELi16ELi128ELNS_18Fp8KVCacheDataTypeE1ELb0EEEvPT_PKS2_PKT0_S8_ifPKiSA_iPKfiiiSC_SC_iiiii
    .private_segment_fixed_size: 0
    .sgpr_count:     56
    .sgpr_spill_count: 0
    .symbol:         _ZN4vllm25paged_attention_v1_kernelIthLi128ELi16ELi128ELNS_18Fp8KVCacheDataTypeE1ELb0EEEvPT_PKS2_PKT0_S8_ifPKiSA_iPKfiiiSC_SC_iiiii.kd
    .uniform_work_group_size: 1
    .uses_dynamic_stack: false
    .vgpr_count:     67
    .vgpr_spill_count: 0
    .wavefront_size: 64
  - .agpr_count:     39
    .args:
      - .actual_access:  write_only
        .address_space:  global
        .offset:         0
        .size:           8
        .value_kind:     global_buffer
      - .actual_access:  read_only
        .address_space:  global
        .offset:         8
        .size:           8
        .value_kind:     global_buffer
      - .actual_access:  read_only
        .address_space:  global
        .offset:         16
        .size:           8
        .value_kind:     global_buffer
      - .actual_access:  read_only
        .address_space:  global
        .offset:         24
        .size:           8
        .value_kind:     global_buffer
      - .offset:         32
        .size:           4
        .value_kind:     by_value
      - .offset:         36
        .size:           4
        .value_kind:     by_value
      - .actual_access:  read_only
        .address_space:  global
        .offset:         40
        .size:           8
        .value_kind:     global_buffer
      - .actual_access:  read_only
        .address_space:  global
        .offset:         48
        .size:           8
        .value_kind:     global_buffer
      - .offset:         56
        .size:           4
        .value_kind:     by_value
      - .address_space:  global
        .offset:         64
        .size:           8
        .value_kind:     global_buffer
      - .offset:         72
        .size:           4
        .value_kind:     by_value
      - .offset:         76
        .size:           4
        .value_kind:     by_value
      - .offset:         80
        .size:           4
        .value_kind:     by_value
      - .address_space:  global
        .offset:         88
        .size:           8
        .value_kind:     global_buffer
      - .address_space:  global
        .offset:         96
        .size:           8
        .value_kind:     global_buffer
      - .offset:         104
        .size:           4
        .value_kind:     by_value
      - .offset:         108
        .size:           4
        .value_kind:     by_value
      - .offset:         112
        .size:           4
        .value_kind:     by_value
      - .offset:         116
        .size:           4
        .value_kind:     by_value
      - .offset:         120
        .size:           4
        .value_kind:     by_value
      - .offset:         128
        .size:           4
        .value_kind:     hidden_block_count_x
      - .offset:         132
        .size:           4
        .value_kind:     hidden_block_count_y
      - .offset:         136
        .size:           4
        .value_kind:     hidden_block_count_z
      - .offset:         140
        .size:           2
        .value_kind:     hidden_group_size_x
      - .offset:         142
        .size:           2
        .value_kind:     hidden_group_size_y
      - .offset:         144
        .size:           2
        .value_kind:     hidden_group_size_z
      - .offset:         146
        .size:           2
        .value_kind:     hidden_remainder_x
      - .offset:         148
        .size:           2
        .value_kind:     hidden_remainder_y
      - .offset:         150
        .size:           2
        .value_kind:     hidden_remainder_z
      - .offset:         168
        .size:           8
        .value_kind:     hidden_global_offset_x
      - .offset:         176
        .size:           8
        .value_kind:     hidden_global_offset_y
      - .offset:         184
        .size:           8
        .value_kind:     hidden_global_offset_z
      - .offset:         192
        .size:           2
        .value_kind:     hidden_grid_dims
      - .offset:         248
        .size:           4
        .value_kind:     hidden_dynamic_lds_size
    .group_segment_fixed_size: 400
    .kernarg_segment_align: 8
    .kernarg_segment_size: 384
    .language:       OpenCL C
    .language_version:
      - 2
      - 0
    .max_flat_workgroup_size: 1024
    .name:           _ZN4vllm25paged_attention_v1_kernelIthLi192ELi16ELi128ELNS_18Fp8KVCacheDataTypeE1ELb0EEEvPT_PKS2_PKT0_S8_ifPKiSA_iPKfiiiSC_SC_iiiii
    .private_segment_fixed_size: 104
    .sgpr_count:     46
    .sgpr_spill_count: 0
    .symbol:         _ZN4vllm25paged_attention_v1_kernelIthLi192ELi16ELi128ELNS_18Fp8KVCacheDataTypeE1ELb0EEEvPT_PKS2_PKT0_S8_ifPKiSA_iPKfiiiSC_SC_iiiii.kd
    .uniform_work_group_size: 1
    .uses_dynamic_stack: false
    .vgpr_count:     103
    .vgpr_spill_count: 0
    .wavefront_size: 64
  - .agpr_count:     44
    .args:
      - .actual_access:  write_only
        .address_space:  global
        .offset:         0
        .size:           8
        .value_kind:     global_buffer
      - .actual_access:  read_only
        .address_space:  global
        .offset:         8
        .size:           8
        .value_kind:     global_buffer
      - .actual_access:  read_only
        .address_space:  global
        .offset:         16
        .size:           8
        .value_kind:     global_buffer
      - .actual_access:  read_only
        .address_space:  global
        .offset:         24
        .size:           8
        .value_kind:     global_buffer
      - .offset:         32
        .size:           4
        .value_kind:     by_value
      - .offset:         36
        .size:           4
        .value_kind:     by_value
      - .actual_access:  read_only
        .address_space:  global
        .offset:         40
        .size:           8
        .value_kind:     global_buffer
      - .actual_access:  read_only
        .address_space:  global
        .offset:         48
        .size:           8
        .value_kind:     global_buffer
      - .offset:         56
        .size:           4
        .value_kind:     by_value
      - .address_space:  global
        .offset:         64
        .size:           8
        .value_kind:     global_buffer
      - .offset:         72
        .size:           4
        .value_kind:     by_value
      - .offset:         76
        .size:           4
        .value_kind:     by_value
      - .offset:         80
        .size:           4
        .value_kind:     by_value
      - .address_space:  global
        .offset:         88
        .size:           8
        .value_kind:     global_buffer
      - .address_space:  global
        .offset:         96
        .size:           8
        .value_kind:     global_buffer
      - .offset:         104
        .size:           4
        .value_kind:     by_value
      - .offset:         108
        .size:           4
        .value_kind:     by_value
      - .offset:         112
        .size:           4
        .value_kind:     by_value
      - .offset:         116
        .size:           4
        .value_kind:     by_value
      - .offset:         120
        .size:           4
        .value_kind:     by_value
      - .offset:         128
        .size:           4
        .value_kind:     hidden_block_count_x
      - .offset:         132
        .size:           4
        .value_kind:     hidden_block_count_y
      - .offset:         136
        .size:           4
        .value_kind:     hidden_block_count_z
      - .offset:         140
        .size:           2
        .value_kind:     hidden_group_size_x
      - .offset:         142
        .size:           2
        .value_kind:     hidden_group_size_y
      - .offset:         144
        .size:           2
        .value_kind:     hidden_group_size_z
      - .offset:         146
        .size:           2
        .value_kind:     hidden_remainder_x
      - .offset:         148
        .size:           2
        .value_kind:     hidden_remainder_y
      - .offset:         150
        .size:           2
        .value_kind:     hidden_remainder_z
      - .offset:         168
        .size:           8
        .value_kind:     hidden_global_offset_x
      - .offset:         176
        .size:           8
        .value_kind:     hidden_global_offset_y
      - .offset:         184
        .size:           8
        .value_kind:     hidden_global_offset_z
      - .offset:         192
        .size:           2
        .value_kind:     hidden_grid_dims
      - .offset:         248
        .size:           4
        .value_kind:     hidden_dynamic_lds_size
    .group_segment_fixed_size: 528
    .kernarg_segment_align: 8
    .kernarg_segment_size: 384
    .language:       OpenCL C
    .language_version:
      - 2
      - 0
    .max_flat_workgroup_size: 1024
    .name:           _ZN4vllm25paged_attention_v1_kernelIthLi256ELi16ELi128ELNS_18Fp8KVCacheDataTypeE1ELb0EEEvPT_PKS2_PKT0_S8_ifPKiSA_iPKfiiiSC_SC_iiiii
    .private_segment_fixed_size: 128
    .sgpr_count:     46
    .sgpr_spill_count: 0
    .symbol:         _ZN4vllm25paged_attention_v1_kernelIthLi256ELi16ELi128ELNS_18Fp8KVCacheDataTypeE1ELb0EEEvPT_PKS2_PKT0_S8_ifPKiSA_iPKfiiiSC_SC_iiiii.kd
    .uniform_work_group_size: 1
    .uses_dynamic_stack: false
    .vgpr_count:     108
    .vgpr_spill_count: 0
    .wavefront_size: 64
  - .agpr_count:     0
    .args:
      - .actual_access:  write_only
        .address_space:  global
        .offset:         0
        .size:           8
        .value_kind:     global_buffer
      - .actual_access:  read_only
        .address_space:  global
        .offset:         8
        .size:           8
        .value_kind:     global_buffer
      - .actual_access:  read_only
        .address_space:  global
        .offset:         16
        .size:           8
        .value_kind:     global_buffer
      - .actual_access:  read_only
        .address_space:  global
        .offset:         24
        .size:           8
        .value_kind:     global_buffer
      - .offset:         32
        .size:           4
        .value_kind:     by_value
      - .offset:         36
        .size:           4
        .value_kind:     by_value
      - .actual_access:  read_only
        .address_space:  global
        .offset:         40
        .size:           8
        .value_kind:     global_buffer
      - .actual_access:  read_only
        .address_space:  global
        .offset:         48
        .size:           8
        .value_kind:     global_buffer
      - .offset:         56
        .size:           4
        .value_kind:     by_value
      - .actual_access:  read_only
        .address_space:  global
        .offset:         64
        .size:           8
        .value_kind:     global_buffer
      - .offset:         72
        .size:           4
        .value_kind:     by_value
      - .offset:         76
        .size:           4
        .value_kind:     by_value
      - .offset:         80
        .size:           4
        .value_kind:     by_value
      - .address_space:  global
        .offset:         88
        .size:           8
        .value_kind:     global_buffer
      - .address_space:  global
        .offset:         96
        .size:           8
        .value_kind:     global_buffer
      - .offset:         104
        .size:           4
        .value_kind:     by_value
      - .offset:         108
        .size:           4
        .value_kind:     by_value
      - .offset:         112
        .size:           4
        .value_kind:     by_value
      - .offset:         116
        .size:           4
        .value_kind:     by_value
      - .offset:         120
        .size:           4
        .value_kind:     by_value
      - .offset:         128
        .size:           4
        .value_kind:     hidden_block_count_x
      - .offset:         132
        .size:           4
        .value_kind:     hidden_block_count_y
      - .offset:         136
        .size:           4
        .value_kind:     hidden_block_count_z
      - .offset:         140
        .size:           2
        .value_kind:     hidden_group_size_x
      - .offset:         142
        .size:           2
        .value_kind:     hidden_group_size_y
      - .offset:         144
        .size:           2
        .value_kind:     hidden_group_size_z
      - .offset:         146
        .size:           2
        .value_kind:     hidden_remainder_x
      - .offset:         148
        .size:           2
        .value_kind:     hidden_remainder_y
      - .offset:         150
        .size:           2
        .value_kind:     hidden_remainder_z
      - .offset:         168
        .size:           8
        .value_kind:     hidden_global_offset_x
      - .offset:         176
        .size:           8
        .value_kind:     hidden_global_offset_y
      - .offset:         184
        .size:           8
        .value_kind:     hidden_global_offset_z
      - .offset:         192
        .size:           2
        .value_kind:     hidden_grid_dims
      - .offset:         248
        .size:           4
        .value_kind:     hidden_dynamic_lds_size
    .group_segment_fixed_size: 80
    .kernarg_segment_align: 8
    .kernarg_segment_size: 384
    .language:       OpenCL C
    .language_version:
      - 2
      - 0
    .max_flat_workgroup_size: 1024
    .name:           _ZN4vllm25paged_attention_v1_kernelIthLi32ELi32ELi128ELNS_18Fp8KVCacheDataTypeE1ELb1EEEvPT_PKS2_PKT0_S8_ifPKiSA_iPKfiiiSC_SC_iiiii
    .private_segment_fixed_size: 0
    .sgpr_count:     64
    .sgpr_spill_count: 0
    .symbol:         _ZN4vllm25paged_attention_v1_kernelIthLi32ELi32ELi128ELNS_18Fp8KVCacheDataTypeE1ELb1EEEvPT_PKS2_PKT0_S8_ifPKiSA_iPKfiiiSC_SC_iiiii.kd
    .uniform_work_group_size: 1
    .uses_dynamic_stack: false
    .vgpr_count:     48
    .vgpr_spill_count: 0
    .wavefront_size: 64
  - .agpr_count:     0
    .args:
      - .actual_access:  write_only
        .address_space:  global
        .offset:         0
        .size:           8
        .value_kind:     global_buffer
      - .actual_access:  read_only
        .address_space:  global
        .offset:         8
        .size:           8
        .value_kind:     global_buffer
      - .actual_access:  read_only
        .address_space:  global
        .offset:         16
        .size:           8
        .value_kind:     global_buffer
      - .actual_access:  read_only
        .address_space:  global
        .offset:         24
        .size:           8
        .value_kind:     global_buffer
      - .offset:         32
        .size:           4
        .value_kind:     by_value
      - .offset:         36
        .size:           4
        .value_kind:     by_value
      - .actual_access:  read_only
        .address_space:  global
        .offset:         40
        .size:           8
        .value_kind:     global_buffer
      - .actual_access:  read_only
        .address_space:  global
        .offset:         48
        .size:           8
        .value_kind:     global_buffer
      - .offset:         56
        .size:           4
        .value_kind:     by_value
      - .actual_access:  read_only
        .address_space:  global
        .offset:         64
        .size:           8
        .value_kind:     global_buffer
      - .offset:         72
        .size:           4
        .value_kind:     by_value
      - .offset:         76
        .size:           4
        .value_kind:     by_value
      - .offset:         80
        .size:           4
        .value_kind:     by_value
      - .address_space:  global
        .offset:         88
        .size:           8
        .value_kind:     global_buffer
      - .address_space:  global
        .offset:         96
        .size:           8
        .value_kind:     global_buffer
      - .offset:         104
        .size:           4
        .value_kind:     by_value
      - .offset:         108
        .size:           4
        .value_kind:     by_value
      - .offset:         112
        .size:           4
        .value_kind:     by_value
      - .offset:         116
        .size:           4
        .value_kind:     by_value
      - .offset:         120
        .size:           4
        .value_kind:     by_value
      - .offset:         128
        .size:           4
        .value_kind:     hidden_block_count_x
      - .offset:         132
        .size:           4
        .value_kind:     hidden_block_count_y
      - .offset:         136
        .size:           4
        .value_kind:     hidden_block_count_z
      - .offset:         140
        .size:           2
        .value_kind:     hidden_group_size_x
      - .offset:         142
        .size:           2
        .value_kind:     hidden_group_size_y
      - .offset:         144
        .size:           2
        .value_kind:     hidden_group_size_z
      - .offset:         146
        .size:           2
        .value_kind:     hidden_remainder_x
      - .offset:         148
        .size:           2
        .value_kind:     hidden_remainder_y
      - .offset:         150
        .size:           2
        .value_kind:     hidden_remainder_z
      - .offset:         168
        .size:           8
        .value_kind:     hidden_global_offset_x
      - .offset:         176
        .size:           8
        .value_kind:     hidden_global_offset_y
      - .offset:         184
        .size:           8
        .value_kind:     hidden_global_offset_z
      - .offset:         192
        .size:           2
        .value_kind:     hidden_grid_dims
      - .offset:         248
        .size:           4
        .value_kind:     hidden_dynamic_lds_size
    .group_segment_fixed_size: 144
    .kernarg_segment_align: 8
    .kernarg_segment_size: 384
    .language:       OpenCL C
    .language_version:
      - 2
      - 0
    .max_flat_workgroup_size: 1024
    .name:           _ZN4vllm25paged_attention_v1_kernelIthLi64ELi32ELi128ELNS_18Fp8KVCacheDataTypeE1ELb1EEEvPT_PKS2_PKT0_S8_ifPKiSA_iPKfiiiSC_SC_iiiii
    .private_segment_fixed_size: 0
    .sgpr_count:     64
    .sgpr_spill_count: 0
    .symbol:         _ZN4vllm25paged_attention_v1_kernelIthLi64ELi32ELi128ELNS_18Fp8KVCacheDataTypeE1ELb1EEEvPT_PKS2_PKT0_S8_ifPKiSA_iPKfiiiSC_SC_iiiii.kd
    .uniform_work_group_size: 1
    .uses_dynamic_stack: false
    .vgpr_count:     64
    .vgpr_spill_count: 0
    .wavefront_size: 64
  - .agpr_count:     0
    .args:
      - .actual_access:  write_only
        .address_space:  global
        .offset:         0
        .size:           8
        .value_kind:     global_buffer
      - .actual_access:  read_only
        .address_space:  global
        .offset:         8
        .size:           8
        .value_kind:     global_buffer
      - .actual_access:  read_only
        .address_space:  global
        .offset:         16
        .size:           8
        .value_kind:     global_buffer
      - .actual_access:  read_only
        .address_space:  global
        .offset:         24
        .size:           8
        .value_kind:     global_buffer
      - .offset:         32
        .size:           4
        .value_kind:     by_value
      - .offset:         36
        .size:           4
        .value_kind:     by_value
      - .actual_access:  read_only
        .address_space:  global
        .offset:         40
        .size:           8
        .value_kind:     global_buffer
      - .actual_access:  read_only
        .address_space:  global
        .offset:         48
        .size:           8
        .value_kind:     global_buffer
      - .offset:         56
        .size:           4
        .value_kind:     by_value
      - .actual_access:  read_only
        .address_space:  global
        .offset:         64
        .size:           8
        .value_kind:     global_buffer
      - .offset:         72
        .size:           4
        .value_kind:     by_value
      - .offset:         76
        .size:           4
        .value_kind:     by_value
      - .offset:         80
        .size:           4
        .value_kind:     by_value
      - .address_space:  global
        .offset:         88
        .size:           8
        .value_kind:     global_buffer
      - .address_space:  global
        .offset:         96
        .size:           8
        .value_kind:     global_buffer
      - .offset:         104
        .size:           4
        .value_kind:     by_value
      - .offset:         108
        .size:           4
        .value_kind:     by_value
      - .offset:         112
        .size:           4
        .value_kind:     by_value
      - .offset:         116
        .size:           4
        .value_kind:     by_value
      - .offset:         120
        .size:           4
        .value_kind:     by_value
      - .offset:         128
        .size:           4
        .value_kind:     hidden_block_count_x
      - .offset:         132
        .size:           4
        .value_kind:     hidden_block_count_y
      - .offset:         136
        .size:           4
        .value_kind:     hidden_block_count_z
      - .offset:         140
        .size:           2
        .value_kind:     hidden_group_size_x
      - .offset:         142
        .size:           2
        .value_kind:     hidden_group_size_y
      - .offset:         144
        .size:           2
        .value_kind:     hidden_group_size_z
      - .offset:         146
        .size:           2
        .value_kind:     hidden_remainder_x
      - .offset:         148
        .size:           2
        .value_kind:     hidden_remainder_y
      - .offset:         150
        .size:           2
        .value_kind:     hidden_remainder_z
      - .offset:         168
        .size:           8
        .value_kind:     hidden_global_offset_x
      - .offset:         176
        .size:           8
        .value_kind:     hidden_global_offset_y
      - .offset:         184
        .size:           8
        .value_kind:     hidden_global_offset_z
      - .offset:         192
        .size:           2
        .value_kind:     hidden_grid_dims
      - .offset:         248
        .size:           4
        .value_kind:     hidden_dynamic_lds_size
    .group_segment_fixed_size: 176
    .kernarg_segment_align: 8
    .kernarg_segment_size: 384
    .language:       OpenCL C
    .language_version:
      - 2
      - 0
    .max_flat_workgroup_size: 1024
    .name:           _ZN4vllm25paged_attention_v1_kernelIthLi80ELi32ELi128ELNS_18Fp8KVCacheDataTypeE1ELb1EEEvPT_PKS2_PKT0_S8_ifPKiSA_iPKfiiiSC_SC_iiiii
    .private_segment_fixed_size: 0
    .sgpr_count:     64
    .sgpr_spill_count: 0
    .symbol:         _ZN4vllm25paged_attention_v1_kernelIthLi80ELi32ELi128ELNS_18Fp8KVCacheDataTypeE1ELb1EEEvPT_PKS2_PKT0_S8_ifPKiSA_iPKfiiiSC_SC_iiiii.kd
    .uniform_work_group_size: 1
    .uses_dynamic_stack: false
    .vgpr_count:     72
    .vgpr_spill_count: 0
    .wavefront_size: 64
  - .agpr_count:     44
    .args:
      - .actual_access:  write_only
        .address_space:  global
        .offset:         0
        .size:           8
        .value_kind:     global_buffer
      - .actual_access:  read_only
        .address_space:  global
        .offset:         8
        .size:           8
        .value_kind:     global_buffer
      - .actual_access:  read_only
        .address_space:  global
        .offset:         16
        .size:           8
        .value_kind:     global_buffer
      - .actual_access:  read_only
        .address_space:  global
        .offset:         24
        .size:           8
        .value_kind:     global_buffer
      - .offset:         32
        .size:           4
        .value_kind:     by_value
      - .offset:         36
        .size:           4
        .value_kind:     by_value
      - .actual_access:  read_only
        .address_space:  global
        .offset:         40
        .size:           8
        .value_kind:     global_buffer
      - .actual_access:  read_only
        .address_space:  global
        .offset:         48
        .size:           8
        .value_kind:     global_buffer
      - .offset:         56
        .size:           4
        .value_kind:     by_value
      - .address_space:  global
        .offset:         64
        .size:           8
        .value_kind:     global_buffer
      - .offset:         72
        .size:           4
        .value_kind:     by_value
      - .offset:         76
        .size:           4
        .value_kind:     by_value
      - .offset:         80
        .size:           4
        .value_kind:     by_value
      - .address_space:  global
        .offset:         88
        .size:           8
        .value_kind:     global_buffer
      - .address_space:  global
        .offset:         96
        .size:           8
        .value_kind:     global_buffer
      - .offset:         104
        .size:           4
        .value_kind:     by_value
      - .offset:         108
        .size:           4
        .value_kind:     by_value
      - .offset:         112
        .size:           4
        .value_kind:     by_value
      - .offset:         116
        .size:           4
        .value_kind:     by_value
      - .offset:         120
        .size:           4
        .value_kind:     by_value
      - .offset:         128
        .size:           4
        .value_kind:     hidden_block_count_x
      - .offset:         132
        .size:           4
        .value_kind:     hidden_block_count_y
      - .offset:         136
        .size:           4
        .value_kind:     hidden_block_count_z
      - .offset:         140
        .size:           2
        .value_kind:     hidden_group_size_x
      - .offset:         142
        .size:           2
        .value_kind:     hidden_group_size_y
      - .offset:         144
        .size:           2
        .value_kind:     hidden_group_size_z
      - .offset:         146
        .size:           2
        .value_kind:     hidden_remainder_x
      - .offset:         148
        .size:           2
        .value_kind:     hidden_remainder_y
      - .offset:         150
        .size:           2
        .value_kind:     hidden_remainder_z
      - .offset:         168
        .size:           8
        .value_kind:     hidden_global_offset_x
      - .offset:         176
        .size:           8
        .value_kind:     hidden_global_offset_y
      - .offset:         184
        .size:           8
        .value_kind:     hidden_global_offset_z
      - .offset:         192
        .size:           2
        .value_kind:     hidden_grid_dims
      - .offset:         248
        .size:           4
        .value_kind:     hidden_dynamic_lds_size
    .group_segment_fixed_size: 208
    .kernarg_segment_align: 8
    .kernarg_segment_size: 384
    .language:       OpenCL C
    .language_version:
      - 2
      - 0
    .max_flat_workgroup_size: 1024
    .name:           _ZN4vllm25paged_attention_v1_kernelIthLi96ELi32ELi128ELNS_18Fp8KVCacheDataTypeE1ELb1EEEvPT_PKS2_PKT0_S8_ifPKiSA_iPKfiiiSC_SC_iiiii
    .private_segment_fixed_size: 124
    .sgpr_count:     50
    .sgpr_spill_count: 0
    .symbol:         _ZN4vllm25paged_attention_v1_kernelIthLi96ELi32ELi128ELNS_18Fp8KVCacheDataTypeE1ELb1EEEvPT_PKS2_PKT0_S8_ifPKiSA_iPKfiiiSC_SC_iiiii.kd
    .uniform_work_group_size: 1
    .uses_dynamic_stack: false
    .vgpr_count:     108
    .vgpr_spill_count: 0
    .wavefront_size: 64
  - .agpr_count:     54
    .args:
      - .actual_access:  write_only
        .address_space:  global
        .offset:         0
        .size:           8
        .value_kind:     global_buffer
      - .actual_access:  read_only
        .address_space:  global
        .offset:         8
        .size:           8
        .value_kind:     global_buffer
      - .actual_access:  read_only
        .address_space:  global
        .offset:         16
        .size:           8
        .value_kind:     global_buffer
      - .actual_access:  read_only
        .address_space:  global
        .offset:         24
        .size:           8
        .value_kind:     global_buffer
      - .offset:         32
        .size:           4
        .value_kind:     by_value
      - .offset:         36
        .size:           4
        .value_kind:     by_value
      - .actual_access:  read_only
        .address_space:  global
        .offset:         40
        .size:           8
        .value_kind:     global_buffer
      - .actual_access:  read_only
        .address_space:  global
        .offset:         48
        .size:           8
        .value_kind:     global_buffer
      - .offset:         56
        .size:           4
        .value_kind:     by_value
      - .address_space:  global
        .offset:         64
        .size:           8
        .value_kind:     global_buffer
      - .offset:         72
        .size:           4
        .value_kind:     by_value
      - .offset:         76
        .size:           4
        .value_kind:     by_value
      - .offset:         80
        .size:           4
        .value_kind:     by_value
      - .address_space:  global
        .offset:         88
        .size:           8
        .value_kind:     global_buffer
      - .address_space:  global
        .offset:         96
        .size:           8
        .value_kind:     global_buffer
      - .offset:         104
        .size:           4
        .value_kind:     by_value
      - .offset:         108
        .size:           4
        .value_kind:     by_value
      - .offset:         112
        .size:           4
        .value_kind:     by_value
      - .offset:         116
        .size:           4
        .value_kind:     by_value
      - .offset:         120
        .size:           4
        .value_kind:     by_value
      - .offset:         128
        .size:           4
        .value_kind:     hidden_block_count_x
      - .offset:         132
        .size:           4
        .value_kind:     hidden_block_count_y
      - .offset:         136
        .size:           4
        .value_kind:     hidden_block_count_z
      - .offset:         140
        .size:           2
        .value_kind:     hidden_group_size_x
      - .offset:         142
        .size:           2
        .value_kind:     hidden_group_size_y
      - .offset:         144
        .size:           2
        .value_kind:     hidden_group_size_z
      - .offset:         146
        .size:           2
        .value_kind:     hidden_remainder_x
      - .offset:         148
        .size:           2
        .value_kind:     hidden_remainder_y
      - .offset:         150
        .size:           2
        .value_kind:     hidden_remainder_z
      - .offset:         168
        .size:           8
        .value_kind:     hidden_global_offset_x
      - .offset:         176
        .size:           8
        .value_kind:     hidden_global_offset_y
      - .offset:         184
        .size:           8
        .value_kind:     hidden_global_offset_z
      - .offset:         192
        .size:           2
        .value_kind:     hidden_grid_dims
      - .offset:         248
        .size:           4
        .value_kind:     hidden_dynamic_lds_size
    .group_segment_fixed_size: 240
    .kernarg_segment_align: 8
    .kernarg_segment_size: 384
    .language:       OpenCL C
    .language_version:
      - 2
      - 0
    .max_flat_workgroup_size: 1024
    .name:           _ZN4vllm25paged_attention_v1_kernelIthLi112ELi32ELi128ELNS_18Fp8KVCacheDataTypeE1ELb1EEEvPT_PKS2_PKT0_S8_ifPKiSA_iPKfiiiSC_SC_iiiii
    .private_segment_fixed_size: 164
    .sgpr_count:     50
    .sgpr_spill_count: 0
    .symbol:         _ZN4vllm25paged_attention_v1_kernelIthLi112ELi32ELi128ELNS_18Fp8KVCacheDataTypeE1ELb1EEEvPT_PKS2_PKT0_S8_ifPKiSA_iPKfiiiSC_SC_iiiii.kd
    .uniform_work_group_size: 1
    .uses_dynamic_stack: false
    .vgpr_count:     118
    .vgpr_spill_count: 0
    .wavefront_size: 64
  - .agpr_count:     52
    .args:
      - .actual_access:  write_only
        .address_space:  global
        .offset:         0
        .size:           8
        .value_kind:     global_buffer
      - .actual_access:  read_only
        .address_space:  global
        .offset:         8
        .size:           8
        .value_kind:     global_buffer
      - .actual_access:  read_only
        .address_space:  global
        .offset:         16
        .size:           8
        .value_kind:     global_buffer
      - .actual_access:  read_only
        .address_space:  global
        .offset:         24
        .size:           8
        .value_kind:     global_buffer
      - .offset:         32
        .size:           4
        .value_kind:     by_value
      - .offset:         36
        .size:           4
        .value_kind:     by_value
      - .actual_access:  read_only
        .address_space:  global
        .offset:         40
        .size:           8
        .value_kind:     global_buffer
      - .actual_access:  read_only
        .address_space:  global
        .offset:         48
        .size:           8
        .value_kind:     global_buffer
      - .offset:         56
        .size:           4
        .value_kind:     by_value
      - .address_space:  global
        .offset:         64
        .size:           8
        .value_kind:     global_buffer
      - .offset:         72
        .size:           4
        .value_kind:     by_value
      - .offset:         76
        .size:           4
        .value_kind:     by_value
      - .offset:         80
        .size:           4
        .value_kind:     by_value
      - .address_space:  global
        .offset:         88
        .size:           8
        .value_kind:     global_buffer
      - .address_space:  global
        .offset:         96
        .size:           8
        .value_kind:     global_buffer
      - .offset:         104
        .size:           4
        .value_kind:     by_value
      - .offset:         108
        .size:           4
        .value_kind:     by_value
      - .offset:         112
        .size:           4
        .value_kind:     by_value
      - .offset:         116
        .size:           4
        .value_kind:     by_value
      - .offset:         120
        .size:           4
        .value_kind:     by_value
      - .offset:         128
        .size:           4
        .value_kind:     hidden_block_count_x
      - .offset:         132
        .size:           4
        .value_kind:     hidden_block_count_y
      - .offset:         136
        .size:           4
        .value_kind:     hidden_block_count_z
      - .offset:         140
        .size:           2
        .value_kind:     hidden_group_size_x
      - .offset:         142
        .size:           2
        .value_kind:     hidden_group_size_y
      - .offset:         144
        .size:           2
        .value_kind:     hidden_group_size_z
      - .offset:         146
        .size:           2
        .value_kind:     hidden_remainder_x
      - .offset:         148
        .size:           2
        .value_kind:     hidden_remainder_y
      - .offset:         150
        .size:           2
        .value_kind:     hidden_remainder_z
      - .offset:         168
        .size:           8
        .value_kind:     hidden_global_offset_x
      - .offset:         176
        .size:           8
        .value_kind:     hidden_global_offset_y
      - .offset:         184
        .size:           8
        .value_kind:     hidden_global_offset_z
      - .offset:         192
        .size:           2
        .value_kind:     hidden_grid_dims
      - .offset:         248
        .size:           4
        .value_kind:     hidden_dynamic_lds_size
    .group_segment_fixed_size: 256
    .kernarg_segment_align: 8
    .kernarg_segment_size: 384
    .language:       OpenCL C
    .language_version:
      - 2
      - 0
    .max_flat_workgroup_size: 1024
    .name:           _ZN4vllm25paged_attention_v1_kernelIthLi120ELi32ELi128ELNS_18Fp8KVCacheDataTypeE1ELb1EEEvPT_PKS2_PKT0_S8_ifPKiSA_iPKfiiiSC_SC_iiiii
    .private_segment_fixed_size: 168
    .sgpr_count:     50
    .sgpr_spill_count: 0
    .symbol:         _ZN4vllm25paged_attention_v1_kernelIthLi120ELi32ELi128ELNS_18Fp8KVCacheDataTypeE1ELb1EEEvPT_PKS2_PKT0_S8_ifPKiSA_iPKfiiiSC_SC_iiiii.kd
    .uniform_work_group_size: 1
    .uses_dynamic_stack: false
    .vgpr_count:     116
    .vgpr_spill_count: 0
    .wavefront_size: 64
  - .agpr_count:     59
    .args:
      - .actual_access:  write_only
        .address_space:  global
        .offset:         0
        .size:           8
        .value_kind:     global_buffer
      - .actual_access:  read_only
        .address_space:  global
        .offset:         8
        .size:           8
        .value_kind:     global_buffer
      - .actual_access:  read_only
        .address_space:  global
        .offset:         16
        .size:           8
        .value_kind:     global_buffer
      - .actual_access:  read_only
        .address_space:  global
        .offset:         24
        .size:           8
        .value_kind:     global_buffer
      - .offset:         32
        .size:           4
        .value_kind:     by_value
      - .offset:         36
        .size:           4
        .value_kind:     by_value
      - .actual_access:  read_only
        .address_space:  global
        .offset:         40
        .size:           8
        .value_kind:     global_buffer
      - .actual_access:  read_only
        .address_space:  global
        .offset:         48
        .size:           8
        .value_kind:     global_buffer
      - .offset:         56
        .size:           4
        .value_kind:     by_value
      - .address_space:  global
        .offset:         64
        .size:           8
        .value_kind:     global_buffer
      - .offset:         72
        .size:           4
        .value_kind:     by_value
      - .offset:         76
        .size:           4
        .value_kind:     by_value
      - .offset:         80
        .size:           4
        .value_kind:     by_value
      - .address_space:  global
        .offset:         88
        .size:           8
        .value_kind:     global_buffer
      - .address_space:  global
        .offset:         96
        .size:           8
        .value_kind:     global_buffer
      - .offset:         104
        .size:           4
        .value_kind:     by_value
      - .offset:         108
        .size:           4
        .value_kind:     by_value
      - .offset:         112
        .size:           4
        .value_kind:     by_value
      - .offset:         116
        .size:           4
        .value_kind:     by_value
      - .offset:         120
        .size:           4
        .value_kind:     by_value
      - .offset:         128
        .size:           4
        .value_kind:     hidden_block_count_x
      - .offset:         132
        .size:           4
        .value_kind:     hidden_block_count_y
      - .offset:         136
        .size:           4
        .value_kind:     hidden_block_count_z
      - .offset:         140
        .size:           2
        .value_kind:     hidden_group_size_x
      - .offset:         142
        .size:           2
        .value_kind:     hidden_group_size_y
      - .offset:         144
        .size:           2
        .value_kind:     hidden_group_size_z
      - .offset:         146
        .size:           2
        .value_kind:     hidden_remainder_x
      - .offset:         148
        .size:           2
        .value_kind:     hidden_remainder_y
      - .offset:         150
        .size:           2
        .value_kind:     hidden_remainder_z
      - .offset:         168
        .size:           8
        .value_kind:     hidden_global_offset_x
      - .offset:         176
        .size:           8
        .value_kind:     hidden_global_offset_y
      - .offset:         184
        .size:           8
        .value_kind:     hidden_global_offset_z
      - .offset:         192
        .size:           2
        .value_kind:     hidden_grid_dims
      - .offset:         248
        .size:           4
        .value_kind:     hidden_dynamic_lds_size
    .group_segment_fixed_size: 272
    .kernarg_segment_align: 8
    .kernarg_segment_size: 384
    .language:       OpenCL C
    .language_version:
      - 2
      - 0
    .max_flat_workgroup_size: 1024
    .name:           _ZN4vllm25paged_attention_v1_kernelIthLi128ELi32ELi128ELNS_18Fp8KVCacheDataTypeE1ELb1EEEvPT_PKS2_PKT0_S8_ifPKiSA_iPKfiiiSC_SC_iiiii
    .private_segment_fixed_size: 200
    .sgpr_count:     50
    .sgpr_spill_count: 0
    .symbol:         _ZN4vllm25paged_attention_v1_kernelIthLi128ELi32ELi128ELNS_18Fp8KVCacheDataTypeE1ELb1EEEvPT_PKS2_PKT0_S8_ifPKiSA_iPKfiiiSC_SC_iiiii.kd
    .uniform_work_group_size: 1
    .uses_dynamic_stack: false
    .vgpr_count:     123
    .vgpr_spill_count: 0
    .wavefront_size: 64
  - .agpr_count:     64
    .args:
      - .actual_access:  write_only
        .address_space:  global
        .offset:         0
        .size:           8
        .value_kind:     global_buffer
      - .actual_access:  read_only
        .address_space:  global
        .offset:         8
        .size:           8
        .value_kind:     global_buffer
      - .actual_access:  read_only
        .address_space:  global
        .offset:         16
        .size:           8
        .value_kind:     global_buffer
      - .actual_access:  read_only
        .address_space:  global
        .offset:         24
        .size:           8
        .value_kind:     global_buffer
      - .offset:         32
        .size:           4
        .value_kind:     by_value
      - .offset:         36
        .size:           4
        .value_kind:     by_value
      - .actual_access:  read_only
        .address_space:  global
        .offset:         40
        .size:           8
        .value_kind:     global_buffer
      - .actual_access:  read_only
        .address_space:  global
        .offset:         48
        .size:           8
        .value_kind:     global_buffer
      - .offset:         56
        .size:           4
        .value_kind:     by_value
      - .address_space:  global
        .offset:         64
        .size:           8
        .value_kind:     global_buffer
      - .offset:         72
        .size:           4
        .value_kind:     by_value
      - .offset:         76
        .size:           4
        .value_kind:     by_value
      - .offset:         80
        .size:           4
        .value_kind:     by_value
      - .address_space:  global
        .offset:         88
        .size:           8
        .value_kind:     global_buffer
      - .address_space:  global
        .offset:         96
        .size:           8
        .value_kind:     global_buffer
      - .offset:         104
        .size:           4
        .value_kind:     by_value
      - .offset:         108
        .size:           4
        .value_kind:     by_value
      - .offset:         112
        .size:           4
        .value_kind:     by_value
      - .offset:         116
        .size:           4
        .value_kind:     by_value
      - .offset:         120
        .size:           4
        .value_kind:     by_value
      - .offset:         128
        .size:           4
        .value_kind:     hidden_block_count_x
      - .offset:         132
        .size:           4
        .value_kind:     hidden_block_count_y
      - .offset:         136
        .size:           4
        .value_kind:     hidden_block_count_z
      - .offset:         140
        .size:           2
        .value_kind:     hidden_group_size_x
      - .offset:         142
        .size:           2
        .value_kind:     hidden_group_size_y
      - .offset:         144
        .size:           2
        .value_kind:     hidden_group_size_z
      - .offset:         146
        .size:           2
        .value_kind:     hidden_remainder_x
      - .offset:         148
        .size:           2
        .value_kind:     hidden_remainder_y
      - .offset:         150
        .size:           2
        .value_kind:     hidden_remainder_z
      - .offset:         168
        .size:           8
        .value_kind:     hidden_global_offset_x
      - .offset:         176
        .size:           8
        .value_kind:     hidden_global_offset_y
      - .offset:         184
        .size:           8
        .value_kind:     hidden_global_offset_z
      - .offset:         192
        .size:           2
        .value_kind:     hidden_grid_dims
      - .offset:         248
        .size:           4
        .value_kind:     hidden_dynamic_lds_size
    .group_segment_fixed_size: 400
    .kernarg_segment_align: 8
    .kernarg_segment_size: 384
    .language:       OpenCL C
    .language_version:
      - 2
      - 0
    .max_flat_workgroup_size: 1024
    .name:           _ZN4vllm25paged_attention_v1_kernelIthLi192ELi32ELi128ELNS_18Fp8KVCacheDataTypeE1ELb1EEEvPT_PKS2_PKT0_S8_ifPKiSA_iPKfiiiSC_SC_iiiii
    .private_segment_fixed_size: 480
    .sgpr_count:     50
    .sgpr_spill_count: 0
    .symbol:         _ZN4vllm25paged_attention_v1_kernelIthLi192ELi32ELi128ELNS_18Fp8KVCacheDataTypeE1ELb1EEEvPT_PKS2_PKT0_S8_ifPKiSA_iPKfiiiSC_SC_iiiii.kd
    .uniform_work_group_size: 1
    .uses_dynamic_stack: false
    .vgpr_count:     128
    .vgpr_spill_count: 0
    .wavefront_size: 64
  - .agpr_count:     64
    .args:
      - .actual_access:  write_only
        .address_space:  global
        .offset:         0
        .size:           8
        .value_kind:     global_buffer
      - .actual_access:  read_only
        .address_space:  global
        .offset:         8
        .size:           8
        .value_kind:     global_buffer
      - .actual_access:  read_only
        .address_space:  global
        .offset:         16
        .size:           8
        .value_kind:     global_buffer
      - .actual_access:  read_only
        .address_space:  global
        .offset:         24
        .size:           8
        .value_kind:     global_buffer
      - .offset:         32
        .size:           4
        .value_kind:     by_value
      - .offset:         36
        .size:           4
        .value_kind:     by_value
      - .actual_access:  read_only
        .address_space:  global
        .offset:         40
        .size:           8
        .value_kind:     global_buffer
      - .actual_access:  read_only
        .address_space:  global
        .offset:         48
        .size:           8
        .value_kind:     global_buffer
      - .offset:         56
        .size:           4
        .value_kind:     by_value
      - .address_space:  global
        .offset:         64
        .size:           8
        .value_kind:     global_buffer
      - .offset:         72
        .size:           4
        .value_kind:     by_value
      - .offset:         76
        .size:           4
        .value_kind:     by_value
      - .offset:         80
        .size:           4
        .value_kind:     by_value
      - .address_space:  global
        .offset:         88
        .size:           8
        .value_kind:     global_buffer
      - .address_space:  global
        .offset:         96
        .size:           8
        .value_kind:     global_buffer
      - .offset:         104
        .size:           4
        .value_kind:     by_value
      - .offset:         108
        .size:           4
        .value_kind:     by_value
      - .offset:         112
        .size:           4
        .value_kind:     by_value
      - .offset:         116
        .size:           4
        .value_kind:     by_value
      - .offset:         120
        .size:           4
        .value_kind:     by_value
      - .offset:         128
        .size:           4
        .value_kind:     hidden_block_count_x
      - .offset:         132
        .size:           4
        .value_kind:     hidden_block_count_y
      - .offset:         136
        .size:           4
        .value_kind:     hidden_block_count_z
      - .offset:         140
        .size:           2
        .value_kind:     hidden_group_size_x
      - .offset:         142
        .size:           2
        .value_kind:     hidden_group_size_y
      - .offset:         144
        .size:           2
        .value_kind:     hidden_group_size_z
      - .offset:         146
        .size:           2
        .value_kind:     hidden_remainder_x
      - .offset:         148
        .size:           2
        .value_kind:     hidden_remainder_y
      - .offset:         150
        .size:           2
        .value_kind:     hidden_remainder_z
      - .offset:         168
        .size:           8
        .value_kind:     hidden_global_offset_x
      - .offset:         176
        .size:           8
        .value_kind:     hidden_global_offset_y
      - .offset:         184
        .size:           8
        .value_kind:     hidden_global_offset_z
      - .offset:         192
        .size:           2
        .value_kind:     hidden_grid_dims
      - .offset:         248
        .size:           4
        .value_kind:     hidden_dynamic_lds_size
    .group_segment_fixed_size: 528
    .kernarg_segment_align: 8
    .kernarg_segment_size: 384
    .language:       OpenCL C
    .language_version:
      - 2
      - 0
    .max_flat_workgroup_size: 1024
    .name:           _ZN4vllm25paged_attention_v1_kernelIthLi256ELi32ELi128ELNS_18Fp8KVCacheDataTypeE1ELb1EEEvPT_PKS2_PKT0_S8_ifPKiSA_iPKfiiiSC_SC_iiiii
    .private_segment_fixed_size: 728
    .sgpr_count:     58
    .sgpr_spill_count: 0
    .symbol:         _ZN4vllm25paged_attention_v1_kernelIthLi256ELi32ELi128ELNS_18Fp8KVCacheDataTypeE1ELb1EEEvPT_PKS2_PKT0_S8_ifPKiSA_iPKfiiiSC_SC_iiiii.kd
    .uniform_work_group_size: 1
    .uses_dynamic_stack: false
    .vgpr_count:     128
    .vgpr_spill_count: 0
    .wavefront_size: 64
  - .agpr_count:     0
    .args:
      - .actual_access:  write_only
        .address_space:  global
        .offset:         0
        .size:           8
        .value_kind:     global_buffer
      - .actual_access:  read_only
        .address_space:  global
        .offset:         8
        .size:           8
        .value_kind:     global_buffer
      - .actual_access:  read_only
        .address_space:  global
        .offset:         16
        .size:           8
        .value_kind:     global_buffer
      - .actual_access:  read_only
        .address_space:  global
        .offset:         24
        .size:           8
        .value_kind:     global_buffer
      - .offset:         32
        .size:           4
        .value_kind:     by_value
      - .offset:         36
        .size:           4
        .value_kind:     by_value
      - .actual_access:  read_only
        .address_space:  global
        .offset:         40
        .size:           8
        .value_kind:     global_buffer
      - .actual_access:  read_only
        .address_space:  global
        .offset:         48
        .size:           8
        .value_kind:     global_buffer
      - .offset:         56
        .size:           4
        .value_kind:     by_value
      - .actual_access:  read_only
        .address_space:  global
        .offset:         64
        .size:           8
        .value_kind:     global_buffer
      - .offset:         72
        .size:           4
        .value_kind:     by_value
      - .offset:         76
        .size:           4
        .value_kind:     by_value
      - .offset:         80
        .size:           4
        .value_kind:     by_value
      - .address_space:  global
        .offset:         88
        .size:           8
        .value_kind:     global_buffer
      - .address_space:  global
        .offset:         96
        .size:           8
        .value_kind:     global_buffer
      - .offset:         104
        .size:           4
        .value_kind:     by_value
      - .offset:         108
        .size:           4
        .value_kind:     by_value
      - .offset:         112
        .size:           4
        .value_kind:     by_value
      - .offset:         116
        .size:           4
        .value_kind:     by_value
      - .offset:         120
        .size:           4
        .value_kind:     by_value
      - .offset:         128
        .size:           4
        .value_kind:     hidden_block_count_x
      - .offset:         132
        .size:           4
        .value_kind:     hidden_block_count_y
      - .offset:         136
        .size:           4
        .value_kind:     hidden_block_count_z
      - .offset:         140
        .size:           2
        .value_kind:     hidden_group_size_x
      - .offset:         142
        .size:           2
        .value_kind:     hidden_group_size_y
      - .offset:         144
        .size:           2
        .value_kind:     hidden_group_size_z
      - .offset:         146
        .size:           2
        .value_kind:     hidden_remainder_x
      - .offset:         148
        .size:           2
        .value_kind:     hidden_remainder_y
      - .offset:         150
        .size:           2
        .value_kind:     hidden_remainder_z
      - .offset:         168
        .size:           8
        .value_kind:     hidden_global_offset_x
      - .offset:         176
        .size:           8
        .value_kind:     hidden_global_offset_y
      - .offset:         184
        .size:           8
        .value_kind:     hidden_global_offset_z
      - .offset:         192
        .size:           2
        .value_kind:     hidden_grid_dims
      - .offset:         248
        .size:           4
        .value_kind:     hidden_dynamic_lds_size
    .group_segment_fixed_size: 80
    .kernarg_segment_align: 8
    .kernarg_segment_size: 384
    .language:       OpenCL C
    .language_version:
      - 2
      - 0
    .max_flat_workgroup_size: 1024
    .name:           _ZN4vllm25paged_attention_v1_kernelIthLi32ELi32ELi128ELNS_18Fp8KVCacheDataTypeE1ELb0EEEvPT_PKS2_PKT0_S8_ifPKiSA_iPKfiiiSC_SC_iiiii
    .private_segment_fixed_size: 0
    .sgpr_count:     54
    .sgpr_spill_count: 0
    .symbol:         _ZN4vllm25paged_attention_v1_kernelIthLi32ELi32ELi128ELNS_18Fp8KVCacheDataTypeE1ELb0EEEvPT_PKS2_PKT0_S8_ifPKiSA_iPKfiiiSC_SC_iiiii.kd
    .uniform_work_group_size: 1
    .uses_dynamic_stack: false
    .vgpr_count:     43
    .vgpr_spill_count: 0
    .wavefront_size: 64
  - .agpr_count:     0
    .args:
      - .actual_access:  write_only
        .address_space:  global
        .offset:         0
        .size:           8
        .value_kind:     global_buffer
      - .actual_access:  read_only
        .address_space:  global
        .offset:         8
        .size:           8
        .value_kind:     global_buffer
      - .actual_access:  read_only
        .address_space:  global
        .offset:         16
        .size:           8
        .value_kind:     global_buffer
      - .actual_access:  read_only
        .address_space:  global
        .offset:         24
        .size:           8
        .value_kind:     global_buffer
      - .offset:         32
        .size:           4
        .value_kind:     by_value
      - .offset:         36
        .size:           4
        .value_kind:     by_value
      - .actual_access:  read_only
        .address_space:  global
        .offset:         40
        .size:           8
        .value_kind:     global_buffer
      - .actual_access:  read_only
        .address_space:  global
        .offset:         48
        .size:           8
        .value_kind:     global_buffer
      - .offset:         56
        .size:           4
        .value_kind:     by_value
      - .actual_access:  read_only
        .address_space:  global
        .offset:         64
        .size:           8
        .value_kind:     global_buffer
      - .offset:         72
        .size:           4
        .value_kind:     by_value
      - .offset:         76
        .size:           4
        .value_kind:     by_value
      - .offset:         80
        .size:           4
        .value_kind:     by_value
      - .address_space:  global
        .offset:         88
        .size:           8
        .value_kind:     global_buffer
      - .address_space:  global
        .offset:         96
        .size:           8
        .value_kind:     global_buffer
      - .offset:         104
        .size:           4
        .value_kind:     by_value
      - .offset:         108
        .size:           4
        .value_kind:     by_value
      - .offset:         112
        .size:           4
        .value_kind:     by_value
      - .offset:         116
        .size:           4
        .value_kind:     by_value
      - .offset:         120
        .size:           4
        .value_kind:     by_value
      - .offset:         128
        .size:           4
        .value_kind:     hidden_block_count_x
      - .offset:         132
        .size:           4
        .value_kind:     hidden_block_count_y
      - .offset:         136
        .size:           4
        .value_kind:     hidden_block_count_z
      - .offset:         140
        .size:           2
        .value_kind:     hidden_group_size_x
      - .offset:         142
        .size:           2
        .value_kind:     hidden_group_size_y
      - .offset:         144
        .size:           2
        .value_kind:     hidden_group_size_z
      - .offset:         146
        .size:           2
        .value_kind:     hidden_remainder_x
      - .offset:         148
        .size:           2
        .value_kind:     hidden_remainder_y
      - .offset:         150
        .size:           2
        .value_kind:     hidden_remainder_z
      - .offset:         168
        .size:           8
        .value_kind:     hidden_global_offset_x
      - .offset:         176
        .size:           8
        .value_kind:     hidden_global_offset_y
      - .offset:         184
        .size:           8
        .value_kind:     hidden_global_offset_z
      - .offset:         192
        .size:           2
        .value_kind:     hidden_grid_dims
      - .offset:         248
        .size:           4
        .value_kind:     hidden_dynamic_lds_size
    .group_segment_fixed_size: 144
    .kernarg_segment_align: 8
    .kernarg_segment_size: 384
    .language:       OpenCL C
    .language_version:
      - 2
      - 0
    .max_flat_workgroup_size: 1024
    .name:           _ZN4vllm25paged_attention_v1_kernelIthLi64ELi32ELi128ELNS_18Fp8KVCacheDataTypeE1ELb0EEEvPT_PKS2_PKT0_S8_ifPKiSA_iPKfiiiSC_SC_iiiii
    .private_segment_fixed_size: 0
    .sgpr_count:     54
    .sgpr_spill_count: 0
    .symbol:         _ZN4vllm25paged_attention_v1_kernelIthLi64ELi32ELi128ELNS_18Fp8KVCacheDataTypeE1ELb0EEEvPT_PKS2_PKT0_S8_ifPKiSA_iPKfiiiSC_SC_iiiii.kd
    .uniform_work_group_size: 1
    .uses_dynamic_stack: false
    .vgpr_count:     58
    .vgpr_spill_count: 0
    .wavefront_size: 64
  - .agpr_count:     0
    .args:
      - .actual_access:  write_only
        .address_space:  global
        .offset:         0
        .size:           8
        .value_kind:     global_buffer
      - .actual_access:  read_only
        .address_space:  global
        .offset:         8
        .size:           8
        .value_kind:     global_buffer
      - .actual_access:  read_only
        .address_space:  global
        .offset:         16
        .size:           8
        .value_kind:     global_buffer
      - .actual_access:  read_only
        .address_space:  global
        .offset:         24
        .size:           8
        .value_kind:     global_buffer
      - .offset:         32
        .size:           4
        .value_kind:     by_value
      - .offset:         36
        .size:           4
        .value_kind:     by_value
      - .actual_access:  read_only
        .address_space:  global
        .offset:         40
        .size:           8
        .value_kind:     global_buffer
      - .actual_access:  read_only
        .address_space:  global
        .offset:         48
        .size:           8
        .value_kind:     global_buffer
      - .offset:         56
        .size:           4
        .value_kind:     by_value
      - .actual_access:  read_only
        .address_space:  global
        .offset:         64
        .size:           8
        .value_kind:     global_buffer
      - .offset:         72
        .size:           4
        .value_kind:     by_value
      - .offset:         76
        .size:           4
        .value_kind:     by_value
      - .offset:         80
        .size:           4
        .value_kind:     by_value
      - .address_space:  global
        .offset:         88
        .size:           8
        .value_kind:     global_buffer
      - .address_space:  global
        .offset:         96
        .size:           8
        .value_kind:     global_buffer
      - .offset:         104
        .size:           4
        .value_kind:     by_value
      - .offset:         108
        .size:           4
        .value_kind:     by_value
      - .offset:         112
        .size:           4
        .value_kind:     by_value
      - .offset:         116
        .size:           4
        .value_kind:     by_value
      - .offset:         120
        .size:           4
        .value_kind:     by_value
      - .offset:         128
        .size:           4
        .value_kind:     hidden_block_count_x
      - .offset:         132
        .size:           4
        .value_kind:     hidden_block_count_y
      - .offset:         136
        .size:           4
        .value_kind:     hidden_block_count_z
      - .offset:         140
        .size:           2
        .value_kind:     hidden_group_size_x
      - .offset:         142
        .size:           2
        .value_kind:     hidden_group_size_y
      - .offset:         144
        .size:           2
        .value_kind:     hidden_group_size_z
      - .offset:         146
        .size:           2
        .value_kind:     hidden_remainder_x
      - .offset:         148
        .size:           2
        .value_kind:     hidden_remainder_y
      - .offset:         150
        .size:           2
        .value_kind:     hidden_remainder_z
      - .offset:         168
        .size:           8
        .value_kind:     hidden_global_offset_x
      - .offset:         176
        .size:           8
        .value_kind:     hidden_global_offset_y
      - .offset:         184
        .size:           8
        .value_kind:     hidden_global_offset_z
      - .offset:         192
        .size:           2
        .value_kind:     hidden_grid_dims
      - .offset:         248
        .size:           4
        .value_kind:     hidden_dynamic_lds_size
    .group_segment_fixed_size: 176
    .kernarg_segment_align: 8
    .kernarg_segment_size: 384
    .language:       OpenCL C
    .language_version:
      - 2
      - 0
    .max_flat_workgroup_size: 1024
    .name:           _ZN4vllm25paged_attention_v1_kernelIthLi80ELi32ELi128ELNS_18Fp8KVCacheDataTypeE1ELb0EEEvPT_PKS2_PKT0_S8_ifPKiSA_iPKfiiiSC_SC_iiiii
    .private_segment_fixed_size: 0
    .sgpr_count:     54
    .sgpr_spill_count: 0
    .symbol:         _ZN4vllm25paged_attention_v1_kernelIthLi80ELi32ELi128ELNS_18Fp8KVCacheDataTypeE1ELb0EEEvPT_PKS2_PKT0_S8_ifPKiSA_iPKfiiiSC_SC_iiiii.kd
    .uniform_work_group_size: 1
    .uses_dynamic_stack: false
    .vgpr_count:     66
    .vgpr_spill_count: 0
    .wavefront_size: 64
  - .agpr_count:     33
    .args:
      - .actual_access:  write_only
        .address_space:  global
        .offset:         0
        .size:           8
        .value_kind:     global_buffer
      - .actual_access:  read_only
        .address_space:  global
        .offset:         8
        .size:           8
        .value_kind:     global_buffer
      - .actual_access:  read_only
        .address_space:  global
        .offset:         16
        .size:           8
        .value_kind:     global_buffer
      - .actual_access:  read_only
        .address_space:  global
        .offset:         24
        .size:           8
        .value_kind:     global_buffer
      - .offset:         32
        .size:           4
        .value_kind:     by_value
      - .offset:         36
        .size:           4
        .value_kind:     by_value
      - .actual_access:  read_only
        .address_space:  global
        .offset:         40
        .size:           8
        .value_kind:     global_buffer
      - .actual_access:  read_only
        .address_space:  global
        .offset:         48
        .size:           8
        .value_kind:     global_buffer
      - .offset:         56
        .size:           4
        .value_kind:     by_value
      - .address_space:  global
        .offset:         64
        .size:           8
        .value_kind:     global_buffer
      - .offset:         72
        .size:           4
        .value_kind:     by_value
      - .offset:         76
        .size:           4
        .value_kind:     by_value
      - .offset:         80
        .size:           4
        .value_kind:     by_value
      - .address_space:  global
        .offset:         88
        .size:           8
        .value_kind:     global_buffer
      - .address_space:  global
        .offset:         96
        .size:           8
        .value_kind:     global_buffer
      - .offset:         104
        .size:           4
        .value_kind:     by_value
      - .offset:         108
        .size:           4
        .value_kind:     by_value
      - .offset:         112
        .size:           4
        .value_kind:     by_value
      - .offset:         116
        .size:           4
        .value_kind:     by_value
      - .offset:         120
        .size:           4
        .value_kind:     by_value
      - .offset:         128
        .size:           4
        .value_kind:     hidden_block_count_x
      - .offset:         132
        .size:           4
        .value_kind:     hidden_block_count_y
      - .offset:         136
        .size:           4
        .value_kind:     hidden_block_count_z
      - .offset:         140
        .size:           2
        .value_kind:     hidden_group_size_x
      - .offset:         142
        .size:           2
        .value_kind:     hidden_group_size_y
      - .offset:         144
        .size:           2
        .value_kind:     hidden_group_size_z
      - .offset:         146
        .size:           2
        .value_kind:     hidden_remainder_x
      - .offset:         148
        .size:           2
        .value_kind:     hidden_remainder_y
      - .offset:         150
        .size:           2
        .value_kind:     hidden_remainder_z
      - .offset:         168
        .size:           8
        .value_kind:     hidden_global_offset_x
      - .offset:         176
        .size:           8
        .value_kind:     hidden_global_offset_y
      - .offset:         184
        .size:           8
        .value_kind:     hidden_global_offset_z
      - .offset:         192
        .size:           2
        .value_kind:     hidden_grid_dims
      - .offset:         248
        .size:           4
        .value_kind:     hidden_dynamic_lds_size
    .group_segment_fixed_size: 208
    .kernarg_segment_align: 8
    .kernarg_segment_size: 384
    .language:       OpenCL C
    .language_version:
      - 2
      - 0
    .max_flat_workgroup_size: 1024
    .name:           _ZN4vllm25paged_attention_v1_kernelIthLi96ELi32ELi128ELNS_18Fp8KVCacheDataTypeE1ELb0EEEvPT_PKS2_PKT0_S8_ifPKiSA_iPKfiiiSC_SC_iiiii
    .private_segment_fixed_size: 80
    .sgpr_count:     46
    .sgpr_spill_count: 0
    .symbol:         _ZN4vllm25paged_attention_v1_kernelIthLi96ELi32ELi128ELNS_18Fp8KVCacheDataTypeE1ELb0EEEvPT_PKS2_PKT0_S8_ifPKiSA_iPKfiiiSC_SC_iiiii.kd
    .uniform_work_group_size: 1
    .uses_dynamic_stack: false
    .vgpr_count:     97
    .vgpr_spill_count: 0
    .wavefront_size: 64
  - .agpr_count:     45
    .args:
      - .actual_access:  write_only
        .address_space:  global
        .offset:         0
        .size:           8
        .value_kind:     global_buffer
      - .actual_access:  read_only
        .address_space:  global
        .offset:         8
        .size:           8
        .value_kind:     global_buffer
      - .actual_access:  read_only
        .address_space:  global
        .offset:         16
        .size:           8
        .value_kind:     global_buffer
      - .actual_access:  read_only
        .address_space:  global
        .offset:         24
        .size:           8
        .value_kind:     global_buffer
      - .offset:         32
        .size:           4
        .value_kind:     by_value
      - .offset:         36
        .size:           4
        .value_kind:     by_value
      - .actual_access:  read_only
        .address_space:  global
        .offset:         40
        .size:           8
        .value_kind:     global_buffer
      - .actual_access:  read_only
        .address_space:  global
        .offset:         48
        .size:           8
        .value_kind:     global_buffer
      - .offset:         56
        .size:           4
        .value_kind:     by_value
      - .address_space:  global
        .offset:         64
        .size:           8
        .value_kind:     global_buffer
      - .offset:         72
        .size:           4
        .value_kind:     by_value
      - .offset:         76
        .size:           4
        .value_kind:     by_value
      - .offset:         80
        .size:           4
        .value_kind:     by_value
      - .address_space:  global
        .offset:         88
        .size:           8
        .value_kind:     global_buffer
      - .address_space:  global
        .offset:         96
        .size:           8
        .value_kind:     global_buffer
      - .offset:         104
        .size:           4
        .value_kind:     by_value
      - .offset:         108
        .size:           4
        .value_kind:     by_value
      - .offset:         112
        .size:           4
        .value_kind:     by_value
      - .offset:         116
        .size:           4
        .value_kind:     by_value
      - .offset:         120
        .size:           4
        .value_kind:     by_value
      - .offset:         128
        .size:           4
        .value_kind:     hidden_block_count_x
      - .offset:         132
        .size:           4
        .value_kind:     hidden_block_count_y
      - .offset:         136
        .size:           4
        .value_kind:     hidden_block_count_z
      - .offset:         140
        .size:           2
        .value_kind:     hidden_group_size_x
      - .offset:         142
        .size:           2
        .value_kind:     hidden_group_size_y
      - .offset:         144
        .size:           2
        .value_kind:     hidden_group_size_z
      - .offset:         146
        .size:           2
        .value_kind:     hidden_remainder_x
      - .offset:         148
        .size:           2
        .value_kind:     hidden_remainder_y
      - .offset:         150
        .size:           2
        .value_kind:     hidden_remainder_z
      - .offset:         168
        .size:           8
        .value_kind:     hidden_global_offset_x
      - .offset:         176
        .size:           8
        .value_kind:     hidden_global_offset_y
      - .offset:         184
        .size:           8
        .value_kind:     hidden_global_offset_z
      - .offset:         192
        .size:           2
        .value_kind:     hidden_grid_dims
      - .offset:         248
        .size:           4
        .value_kind:     hidden_dynamic_lds_size
    .group_segment_fixed_size: 240
    .kernarg_segment_align: 8
    .kernarg_segment_size: 384
    .language:       OpenCL C
    .language_version:
      - 2
      - 0
    .max_flat_workgroup_size: 1024
    .name:           _ZN4vllm25paged_attention_v1_kernelIthLi112ELi32ELi128ELNS_18Fp8KVCacheDataTypeE1ELb0EEEvPT_PKS2_PKT0_S8_ifPKiSA_iPKfiiiSC_SC_iiiii
    .private_segment_fixed_size: 128
    .sgpr_count:     46
    .sgpr_spill_count: 0
    .symbol:         _ZN4vllm25paged_attention_v1_kernelIthLi112ELi32ELi128ELNS_18Fp8KVCacheDataTypeE1ELb0EEEvPT_PKS2_PKT0_S8_ifPKiSA_iPKfiiiSC_SC_iiiii.kd
    .uniform_work_group_size: 1
    .uses_dynamic_stack: false
    .vgpr_count:     109
    .vgpr_spill_count: 0
    .wavefront_size: 64
  - .agpr_count:     42
    .args:
      - .actual_access:  write_only
        .address_space:  global
        .offset:         0
        .size:           8
        .value_kind:     global_buffer
      - .actual_access:  read_only
        .address_space:  global
        .offset:         8
        .size:           8
        .value_kind:     global_buffer
      - .actual_access:  read_only
        .address_space:  global
        .offset:         16
        .size:           8
        .value_kind:     global_buffer
      - .actual_access:  read_only
        .address_space:  global
        .offset:         24
        .size:           8
        .value_kind:     global_buffer
      - .offset:         32
        .size:           4
        .value_kind:     by_value
      - .offset:         36
        .size:           4
        .value_kind:     by_value
      - .actual_access:  read_only
        .address_space:  global
        .offset:         40
        .size:           8
        .value_kind:     global_buffer
      - .actual_access:  read_only
        .address_space:  global
        .offset:         48
        .size:           8
        .value_kind:     global_buffer
      - .offset:         56
        .size:           4
        .value_kind:     by_value
      - .address_space:  global
        .offset:         64
        .size:           8
        .value_kind:     global_buffer
      - .offset:         72
        .size:           4
        .value_kind:     by_value
      - .offset:         76
        .size:           4
        .value_kind:     by_value
      - .offset:         80
        .size:           4
        .value_kind:     by_value
      - .address_space:  global
        .offset:         88
        .size:           8
        .value_kind:     global_buffer
      - .address_space:  global
        .offset:         96
        .size:           8
        .value_kind:     global_buffer
      - .offset:         104
        .size:           4
        .value_kind:     by_value
      - .offset:         108
        .size:           4
        .value_kind:     by_value
      - .offset:         112
        .size:           4
        .value_kind:     by_value
      - .offset:         116
        .size:           4
        .value_kind:     by_value
      - .offset:         120
        .size:           4
        .value_kind:     by_value
      - .offset:         128
        .size:           4
        .value_kind:     hidden_block_count_x
      - .offset:         132
        .size:           4
        .value_kind:     hidden_block_count_y
      - .offset:         136
        .size:           4
        .value_kind:     hidden_block_count_z
      - .offset:         140
        .size:           2
        .value_kind:     hidden_group_size_x
      - .offset:         142
        .size:           2
        .value_kind:     hidden_group_size_y
      - .offset:         144
        .size:           2
        .value_kind:     hidden_group_size_z
      - .offset:         146
        .size:           2
        .value_kind:     hidden_remainder_x
      - .offset:         148
        .size:           2
        .value_kind:     hidden_remainder_y
      - .offset:         150
        .size:           2
        .value_kind:     hidden_remainder_z
      - .offset:         168
        .size:           8
        .value_kind:     hidden_global_offset_x
      - .offset:         176
        .size:           8
        .value_kind:     hidden_global_offset_y
      - .offset:         184
        .size:           8
        .value_kind:     hidden_global_offset_z
      - .offset:         192
        .size:           2
        .value_kind:     hidden_grid_dims
      - .offset:         248
        .size:           4
        .value_kind:     hidden_dynamic_lds_size
    .group_segment_fixed_size: 256
    .kernarg_segment_align: 8
    .kernarg_segment_size: 384
    .language:       OpenCL C
    .language_version:
      - 2
      - 0
    .max_flat_workgroup_size: 1024
    .name:           _ZN4vllm25paged_attention_v1_kernelIthLi120ELi32ELi128ELNS_18Fp8KVCacheDataTypeE1ELb0EEEvPT_PKS2_PKT0_S8_ifPKiSA_iPKfiiiSC_SC_iiiii
    .private_segment_fixed_size: 128
    .sgpr_count:     46
    .sgpr_spill_count: 0
    .symbol:         _ZN4vllm25paged_attention_v1_kernelIthLi120ELi32ELi128ELNS_18Fp8KVCacheDataTypeE1ELb0EEEvPT_PKS2_PKT0_S8_ifPKiSA_iPKfiiiSC_SC_iiiii.kd
    .uniform_work_group_size: 1
    .uses_dynamic_stack: false
    .vgpr_count:     106
    .vgpr_spill_count: 0
    .wavefront_size: 64
  - .agpr_count:     46
    .args:
      - .actual_access:  write_only
        .address_space:  global
        .offset:         0
        .size:           8
        .value_kind:     global_buffer
      - .actual_access:  read_only
        .address_space:  global
        .offset:         8
        .size:           8
        .value_kind:     global_buffer
      - .actual_access:  read_only
        .address_space:  global
        .offset:         16
        .size:           8
        .value_kind:     global_buffer
      - .actual_access:  read_only
        .address_space:  global
        .offset:         24
        .size:           8
        .value_kind:     global_buffer
      - .offset:         32
        .size:           4
        .value_kind:     by_value
      - .offset:         36
        .size:           4
        .value_kind:     by_value
      - .actual_access:  read_only
        .address_space:  global
        .offset:         40
        .size:           8
        .value_kind:     global_buffer
      - .actual_access:  read_only
        .address_space:  global
        .offset:         48
        .size:           8
        .value_kind:     global_buffer
      - .offset:         56
        .size:           4
        .value_kind:     by_value
      - .address_space:  global
        .offset:         64
        .size:           8
        .value_kind:     global_buffer
      - .offset:         72
        .size:           4
        .value_kind:     by_value
      - .offset:         76
        .size:           4
        .value_kind:     by_value
      - .offset:         80
        .size:           4
        .value_kind:     by_value
      - .address_space:  global
        .offset:         88
        .size:           8
        .value_kind:     global_buffer
      - .address_space:  global
        .offset:         96
        .size:           8
        .value_kind:     global_buffer
      - .offset:         104
        .size:           4
        .value_kind:     by_value
      - .offset:         108
        .size:           4
        .value_kind:     by_value
      - .offset:         112
        .size:           4
        .value_kind:     by_value
      - .offset:         116
        .size:           4
        .value_kind:     by_value
      - .offset:         120
        .size:           4
        .value_kind:     by_value
      - .offset:         128
        .size:           4
        .value_kind:     hidden_block_count_x
      - .offset:         132
        .size:           4
        .value_kind:     hidden_block_count_y
      - .offset:         136
        .size:           4
        .value_kind:     hidden_block_count_z
      - .offset:         140
        .size:           2
        .value_kind:     hidden_group_size_x
      - .offset:         142
        .size:           2
        .value_kind:     hidden_group_size_y
      - .offset:         144
        .size:           2
        .value_kind:     hidden_group_size_z
      - .offset:         146
        .size:           2
        .value_kind:     hidden_remainder_x
      - .offset:         148
        .size:           2
        .value_kind:     hidden_remainder_y
      - .offset:         150
        .size:           2
        .value_kind:     hidden_remainder_z
      - .offset:         168
        .size:           8
        .value_kind:     hidden_global_offset_x
      - .offset:         176
        .size:           8
        .value_kind:     hidden_global_offset_y
      - .offset:         184
        .size:           8
        .value_kind:     hidden_global_offset_z
      - .offset:         192
        .size:           2
        .value_kind:     hidden_grid_dims
      - .offset:         248
        .size:           4
        .value_kind:     hidden_dynamic_lds_size
    .group_segment_fixed_size: 272
    .kernarg_segment_align: 8
    .kernarg_segment_size: 384
    .language:       OpenCL C
    .language_version:
      - 2
      - 0
    .max_flat_workgroup_size: 1024
    .name:           _ZN4vllm25paged_attention_v1_kernelIthLi128ELi32ELi128ELNS_18Fp8KVCacheDataTypeE1ELb0EEEvPT_PKS2_PKT0_S8_ifPKiSA_iPKfiiiSC_SC_iiiii
    .private_segment_fixed_size: 144
    .sgpr_count:     46
    .sgpr_spill_count: 0
    .symbol:         _ZN4vllm25paged_attention_v1_kernelIthLi128ELi32ELi128ELNS_18Fp8KVCacheDataTypeE1ELb0EEEvPT_PKS2_PKT0_S8_ifPKiSA_iPKfiiiSC_SC_iiiii.kd
    .uniform_work_group_size: 1
    .uses_dynamic_stack: false
    .vgpr_count:     110
    .vgpr_spill_count: 0
    .wavefront_size: 64
  - .agpr_count:     64
    .args:
      - .actual_access:  write_only
        .address_space:  global
        .offset:         0
        .size:           8
        .value_kind:     global_buffer
      - .actual_access:  read_only
        .address_space:  global
        .offset:         8
        .size:           8
        .value_kind:     global_buffer
      - .actual_access:  read_only
        .address_space:  global
        .offset:         16
        .size:           8
        .value_kind:     global_buffer
      - .actual_access:  read_only
        .address_space:  global
        .offset:         24
        .size:           8
        .value_kind:     global_buffer
      - .offset:         32
        .size:           4
        .value_kind:     by_value
      - .offset:         36
        .size:           4
        .value_kind:     by_value
      - .actual_access:  read_only
        .address_space:  global
        .offset:         40
        .size:           8
        .value_kind:     global_buffer
      - .actual_access:  read_only
        .address_space:  global
        .offset:         48
        .size:           8
        .value_kind:     global_buffer
      - .offset:         56
        .size:           4
        .value_kind:     by_value
      - .address_space:  global
        .offset:         64
        .size:           8
        .value_kind:     global_buffer
      - .offset:         72
        .size:           4
        .value_kind:     by_value
      - .offset:         76
        .size:           4
        .value_kind:     by_value
      - .offset:         80
        .size:           4
        .value_kind:     by_value
      - .address_space:  global
        .offset:         88
        .size:           8
        .value_kind:     global_buffer
      - .address_space:  global
        .offset:         96
        .size:           8
        .value_kind:     global_buffer
      - .offset:         104
        .size:           4
        .value_kind:     by_value
      - .offset:         108
        .size:           4
        .value_kind:     by_value
      - .offset:         112
        .size:           4
        .value_kind:     by_value
      - .offset:         116
        .size:           4
        .value_kind:     by_value
      - .offset:         120
        .size:           4
        .value_kind:     by_value
      - .offset:         128
        .size:           4
        .value_kind:     hidden_block_count_x
      - .offset:         132
        .size:           4
        .value_kind:     hidden_block_count_y
      - .offset:         136
        .size:           4
        .value_kind:     hidden_block_count_z
      - .offset:         140
        .size:           2
        .value_kind:     hidden_group_size_x
      - .offset:         142
        .size:           2
        .value_kind:     hidden_group_size_y
      - .offset:         144
        .size:           2
        .value_kind:     hidden_group_size_z
      - .offset:         146
        .size:           2
        .value_kind:     hidden_remainder_x
      - .offset:         148
        .size:           2
        .value_kind:     hidden_remainder_y
      - .offset:         150
        .size:           2
        .value_kind:     hidden_remainder_z
      - .offset:         168
        .size:           8
        .value_kind:     hidden_global_offset_x
      - .offset:         176
        .size:           8
        .value_kind:     hidden_global_offset_y
      - .offset:         184
        .size:           8
        .value_kind:     hidden_global_offset_z
      - .offset:         192
        .size:           2
        .value_kind:     hidden_grid_dims
      - .offset:         248
        .size:           4
        .value_kind:     hidden_dynamic_lds_size
    .group_segment_fixed_size: 400
    .kernarg_segment_align: 8
    .kernarg_segment_size: 384
    .language:       OpenCL C
    .language_version:
      - 2
      - 0
    .max_flat_workgroup_size: 1024
    .name:           _ZN4vllm25paged_attention_v1_kernelIthLi192ELi32ELi128ELNS_18Fp8KVCacheDataTypeE1ELb0EEEvPT_PKS2_PKT0_S8_ifPKiSA_iPKfiiiSC_SC_iiiii
    .private_segment_fixed_size: 428
    .sgpr_count:     46
    .sgpr_spill_count: 0
    .symbol:         _ZN4vllm25paged_attention_v1_kernelIthLi192ELi32ELi128ELNS_18Fp8KVCacheDataTypeE1ELb0EEEvPT_PKS2_PKT0_S8_ifPKiSA_iPKfiiiSC_SC_iiiii.kd
    .uniform_work_group_size: 1
    .uses_dynamic_stack: false
    .vgpr_count:     128
    .vgpr_spill_count: 0
    .wavefront_size: 64
  - .agpr_count:     64
    .args:
      - .actual_access:  write_only
        .address_space:  global
        .offset:         0
        .size:           8
        .value_kind:     global_buffer
      - .actual_access:  read_only
        .address_space:  global
        .offset:         8
        .size:           8
        .value_kind:     global_buffer
      - .actual_access:  read_only
        .address_space:  global
        .offset:         16
        .size:           8
        .value_kind:     global_buffer
      - .actual_access:  read_only
        .address_space:  global
        .offset:         24
        .size:           8
        .value_kind:     global_buffer
      - .offset:         32
        .size:           4
        .value_kind:     by_value
      - .offset:         36
        .size:           4
        .value_kind:     by_value
      - .actual_access:  read_only
        .address_space:  global
        .offset:         40
        .size:           8
        .value_kind:     global_buffer
      - .actual_access:  read_only
        .address_space:  global
        .offset:         48
        .size:           8
        .value_kind:     global_buffer
      - .offset:         56
        .size:           4
        .value_kind:     by_value
      - .address_space:  global
        .offset:         64
        .size:           8
        .value_kind:     global_buffer
      - .offset:         72
        .size:           4
        .value_kind:     by_value
      - .offset:         76
        .size:           4
        .value_kind:     by_value
      - .offset:         80
        .size:           4
        .value_kind:     by_value
      - .address_space:  global
        .offset:         88
        .size:           8
        .value_kind:     global_buffer
      - .address_space:  global
        .offset:         96
        .size:           8
        .value_kind:     global_buffer
      - .offset:         104
        .size:           4
        .value_kind:     by_value
      - .offset:         108
        .size:           4
        .value_kind:     by_value
      - .offset:         112
        .size:           4
        .value_kind:     by_value
      - .offset:         116
        .size:           4
        .value_kind:     by_value
      - .offset:         120
        .size:           4
        .value_kind:     by_value
      - .offset:         128
        .size:           4
        .value_kind:     hidden_block_count_x
      - .offset:         132
        .size:           4
        .value_kind:     hidden_block_count_y
      - .offset:         136
        .size:           4
        .value_kind:     hidden_block_count_z
      - .offset:         140
        .size:           2
        .value_kind:     hidden_group_size_x
      - .offset:         142
        .size:           2
        .value_kind:     hidden_group_size_y
      - .offset:         144
        .size:           2
        .value_kind:     hidden_group_size_z
      - .offset:         146
        .size:           2
        .value_kind:     hidden_remainder_x
      - .offset:         148
        .size:           2
        .value_kind:     hidden_remainder_y
      - .offset:         150
        .size:           2
        .value_kind:     hidden_remainder_z
      - .offset:         168
        .size:           8
        .value_kind:     hidden_global_offset_x
      - .offset:         176
        .size:           8
        .value_kind:     hidden_global_offset_y
      - .offset:         184
        .size:           8
        .value_kind:     hidden_global_offset_z
      - .offset:         192
        .size:           2
        .value_kind:     hidden_grid_dims
      - .offset:         248
        .size:           4
        .value_kind:     hidden_dynamic_lds_size
    .group_segment_fixed_size: 528
    .kernarg_segment_align: 8
    .kernarg_segment_size: 384
    .language:       OpenCL C
    .language_version:
      - 2
      - 0
    .max_flat_workgroup_size: 1024
    .name:           _ZN4vllm25paged_attention_v1_kernelIthLi256ELi32ELi128ELNS_18Fp8KVCacheDataTypeE1ELb0EEEvPT_PKS2_PKT0_S8_ifPKiSA_iPKfiiiSC_SC_iiiii
    .private_segment_fixed_size: 660
    .sgpr_count:     56
    .sgpr_spill_count: 0
    .symbol:         _ZN4vllm25paged_attention_v1_kernelIthLi256ELi32ELi128ELNS_18Fp8KVCacheDataTypeE1ELb0EEEvPT_PKS2_PKT0_S8_ifPKiSA_iPKfiiiSC_SC_iiiii.kd
    .uniform_work_group_size: 1
    .uses_dynamic_stack: false
    .vgpr_count:     128
    .vgpr_spill_count: 0
    .wavefront_size: 64
  - .agpr_count:     0
    .args:
      - .actual_access:  write_only
        .address_space:  global
        .offset:         0
        .size:           8
        .value_kind:     global_buffer
      - .actual_access:  read_only
        .address_space:  global
        .offset:         8
        .size:           8
        .value_kind:     global_buffer
      - .actual_access:  read_only
        .address_space:  global
        .offset:         16
        .size:           8
        .value_kind:     global_buffer
      - .actual_access:  read_only
        .address_space:  global
        .offset:         24
        .size:           8
        .value_kind:     global_buffer
      - .offset:         32
        .size:           4
        .value_kind:     by_value
      - .offset:         36
        .size:           4
        .value_kind:     by_value
      - .actual_access:  read_only
        .address_space:  global
        .offset:         40
        .size:           8
        .value_kind:     global_buffer
      - .actual_access:  read_only
        .address_space:  global
        .offset:         48
        .size:           8
        .value_kind:     global_buffer
      - .offset:         56
        .size:           4
        .value_kind:     by_value
      - .actual_access:  read_only
        .address_space:  global
        .offset:         64
        .size:           8
        .value_kind:     global_buffer
      - .offset:         72
        .size:           4
        .value_kind:     by_value
      - .offset:         76
        .size:           4
        .value_kind:     by_value
      - .offset:         80
        .size:           4
        .value_kind:     by_value
      - .address_space:  global
        .offset:         88
        .size:           8
        .value_kind:     global_buffer
      - .address_space:  global
        .offset:         96
        .size:           8
        .value_kind:     global_buffer
      - .offset:         104
        .size:           4
        .value_kind:     by_value
      - .offset:         108
        .size:           4
        .value_kind:     by_value
      - .offset:         112
        .size:           4
        .value_kind:     by_value
      - .offset:         116
        .size:           4
        .value_kind:     by_value
      - .offset:         120
        .size:           4
        .value_kind:     by_value
      - .offset:         128
        .size:           4
        .value_kind:     hidden_block_count_x
      - .offset:         132
        .size:           4
        .value_kind:     hidden_block_count_y
      - .offset:         136
        .size:           4
        .value_kind:     hidden_block_count_z
      - .offset:         140
        .size:           2
        .value_kind:     hidden_group_size_x
      - .offset:         142
        .size:           2
        .value_kind:     hidden_group_size_y
      - .offset:         144
        .size:           2
        .value_kind:     hidden_group_size_z
      - .offset:         146
        .size:           2
        .value_kind:     hidden_remainder_x
      - .offset:         148
        .size:           2
        .value_kind:     hidden_remainder_y
      - .offset:         150
        .size:           2
        .value_kind:     hidden_remainder_z
      - .offset:         168
        .size:           8
        .value_kind:     hidden_global_offset_x
      - .offset:         176
        .size:           8
        .value_kind:     hidden_global_offset_y
      - .offset:         184
        .size:           8
        .value_kind:     hidden_global_offset_z
      - .offset:         192
        .size:           2
        .value_kind:     hidden_grid_dims
      - .offset:         248
        .size:           4
        .value_kind:     hidden_dynamic_lds_size
    .group_segment_fixed_size: 80
    .kernarg_segment_align: 8
    .kernarg_segment_size: 384
    .language:       OpenCL C
    .language_version:
      - 2
      - 0
    .max_flat_workgroup_size: 1024
    .name:           _ZN4vllm25paged_attention_v1_kernelI14__hip_bfloat16hLi32ELi8ELi128ELNS_18Fp8KVCacheDataTypeE1ELb1EEEvPT_PKS3_PKT0_S9_ifPKiSB_iPKfiiiSD_SD_iiiii
    .private_segment_fixed_size: 0
    .sgpr_count:     57
    .sgpr_spill_count: 0
    .symbol:         _ZN4vllm25paged_attention_v1_kernelI14__hip_bfloat16hLi32ELi8ELi128ELNS_18Fp8KVCacheDataTypeE1ELb1EEEvPT_PKS3_PKT0_S9_ifPKiSB_iPKfiiiSD_SD_iiiii.kd
    .uniform_work_group_size: 1
    .uses_dynamic_stack: false
    .vgpr_count:     33
    .vgpr_spill_count: 0
    .wavefront_size: 64
  - .agpr_count:     0
    .args:
      - .actual_access:  write_only
        .address_space:  global
        .offset:         0
        .size:           8
        .value_kind:     global_buffer
      - .actual_access:  read_only
        .address_space:  global
        .offset:         8
        .size:           8
        .value_kind:     global_buffer
      - .actual_access:  read_only
        .address_space:  global
        .offset:         16
        .size:           8
        .value_kind:     global_buffer
      - .actual_access:  read_only
        .address_space:  global
        .offset:         24
        .size:           8
        .value_kind:     global_buffer
      - .offset:         32
        .size:           4
        .value_kind:     by_value
      - .offset:         36
        .size:           4
        .value_kind:     by_value
      - .actual_access:  read_only
        .address_space:  global
        .offset:         40
        .size:           8
        .value_kind:     global_buffer
      - .actual_access:  read_only
        .address_space:  global
        .offset:         48
        .size:           8
        .value_kind:     global_buffer
      - .offset:         56
        .size:           4
        .value_kind:     by_value
      - .actual_access:  read_only
        .address_space:  global
        .offset:         64
        .size:           8
        .value_kind:     global_buffer
      - .offset:         72
        .size:           4
        .value_kind:     by_value
      - .offset:         76
        .size:           4
        .value_kind:     by_value
      - .offset:         80
        .size:           4
        .value_kind:     by_value
      - .address_space:  global
        .offset:         88
        .size:           8
        .value_kind:     global_buffer
      - .address_space:  global
        .offset:         96
        .size:           8
        .value_kind:     global_buffer
      - .offset:         104
        .size:           4
        .value_kind:     by_value
      - .offset:         108
        .size:           4
        .value_kind:     by_value
      - .offset:         112
        .size:           4
        .value_kind:     by_value
      - .offset:         116
        .size:           4
        .value_kind:     by_value
      - .offset:         120
        .size:           4
        .value_kind:     by_value
      - .offset:         128
        .size:           4
        .value_kind:     hidden_block_count_x
      - .offset:         132
        .size:           4
        .value_kind:     hidden_block_count_y
      - .offset:         136
        .size:           4
        .value_kind:     hidden_block_count_z
      - .offset:         140
        .size:           2
        .value_kind:     hidden_group_size_x
      - .offset:         142
        .size:           2
        .value_kind:     hidden_group_size_y
      - .offset:         144
        .size:           2
        .value_kind:     hidden_group_size_z
      - .offset:         146
        .size:           2
        .value_kind:     hidden_remainder_x
      - .offset:         148
        .size:           2
        .value_kind:     hidden_remainder_y
      - .offset:         150
        .size:           2
        .value_kind:     hidden_remainder_z
      - .offset:         168
        .size:           8
        .value_kind:     hidden_global_offset_x
      - .offset:         176
        .size:           8
        .value_kind:     hidden_global_offset_y
      - .offset:         184
        .size:           8
        .value_kind:     hidden_global_offset_z
      - .offset:         192
        .size:           2
        .value_kind:     hidden_grid_dims
      - .offset:         248
        .size:           4
        .value_kind:     hidden_dynamic_lds_size
    .group_segment_fixed_size: 144
    .kernarg_segment_align: 8
    .kernarg_segment_size: 384
    .language:       OpenCL C
    .language_version:
      - 2
      - 0
    .max_flat_workgroup_size: 1024
    .name:           _ZN4vllm25paged_attention_v1_kernelI14__hip_bfloat16hLi64ELi8ELi128ELNS_18Fp8KVCacheDataTypeE1ELb1EEEvPT_PKS3_PKT0_S9_ifPKiSB_iPKfiiiSD_SD_iiiii
    .private_segment_fixed_size: 0
    .sgpr_count:     59
    .sgpr_spill_count: 0
    .symbol:         _ZN4vllm25paged_attention_v1_kernelI14__hip_bfloat16hLi64ELi8ELi128ELNS_18Fp8KVCacheDataTypeE1ELb1EEEvPT_PKS3_PKT0_S9_ifPKiSB_iPKfiiiSD_SD_iiiii.kd
    .uniform_work_group_size: 1
    .uses_dynamic_stack: false
    .vgpr_count:     39
    .vgpr_spill_count: 0
    .wavefront_size: 64
  - .agpr_count:     0
    .args:
      - .actual_access:  write_only
        .address_space:  global
        .offset:         0
        .size:           8
        .value_kind:     global_buffer
      - .actual_access:  read_only
        .address_space:  global
        .offset:         8
        .size:           8
        .value_kind:     global_buffer
      - .actual_access:  read_only
        .address_space:  global
        .offset:         16
        .size:           8
        .value_kind:     global_buffer
      - .actual_access:  read_only
        .address_space:  global
        .offset:         24
        .size:           8
        .value_kind:     global_buffer
      - .offset:         32
        .size:           4
        .value_kind:     by_value
      - .offset:         36
        .size:           4
        .value_kind:     by_value
      - .actual_access:  read_only
        .address_space:  global
        .offset:         40
        .size:           8
        .value_kind:     global_buffer
      - .actual_access:  read_only
        .address_space:  global
        .offset:         48
        .size:           8
        .value_kind:     global_buffer
      - .offset:         56
        .size:           4
        .value_kind:     by_value
      - .actual_access:  read_only
        .address_space:  global
        .offset:         64
        .size:           8
        .value_kind:     global_buffer
      - .offset:         72
        .size:           4
        .value_kind:     by_value
      - .offset:         76
        .size:           4
        .value_kind:     by_value
      - .offset:         80
        .size:           4
        .value_kind:     by_value
      - .address_space:  global
        .offset:         88
        .size:           8
        .value_kind:     global_buffer
      - .address_space:  global
        .offset:         96
        .size:           8
        .value_kind:     global_buffer
      - .offset:         104
        .size:           4
        .value_kind:     by_value
      - .offset:         108
        .size:           4
        .value_kind:     by_value
      - .offset:         112
        .size:           4
        .value_kind:     by_value
      - .offset:         116
        .size:           4
        .value_kind:     by_value
      - .offset:         120
        .size:           4
        .value_kind:     by_value
      - .offset:         128
        .size:           4
        .value_kind:     hidden_block_count_x
      - .offset:         132
        .size:           4
        .value_kind:     hidden_block_count_y
      - .offset:         136
        .size:           4
        .value_kind:     hidden_block_count_z
      - .offset:         140
        .size:           2
        .value_kind:     hidden_group_size_x
      - .offset:         142
        .size:           2
        .value_kind:     hidden_group_size_y
      - .offset:         144
        .size:           2
        .value_kind:     hidden_group_size_z
      - .offset:         146
        .size:           2
        .value_kind:     hidden_remainder_x
      - .offset:         148
        .size:           2
        .value_kind:     hidden_remainder_y
      - .offset:         150
        .size:           2
        .value_kind:     hidden_remainder_z
      - .offset:         168
        .size:           8
        .value_kind:     hidden_global_offset_x
      - .offset:         176
        .size:           8
        .value_kind:     hidden_global_offset_y
      - .offset:         184
        .size:           8
        .value_kind:     hidden_global_offset_z
      - .offset:         192
        .size:           2
        .value_kind:     hidden_grid_dims
      - .offset:         248
        .size:           4
        .value_kind:     hidden_dynamic_lds_size
    .group_segment_fixed_size: 176
    .kernarg_segment_align: 8
    .kernarg_segment_size: 384
    .language:       OpenCL C
    .language_version:
      - 2
      - 0
    .max_flat_workgroup_size: 1024
    .name:           _ZN4vllm25paged_attention_v1_kernelI14__hip_bfloat16hLi80ELi8ELi128ELNS_18Fp8KVCacheDataTypeE1ELb1EEEvPT_PKS3_PKT0_S9_ifPKiSB_iPKfiiiSD_SD_iiiii
    .private_segment_fixed_size: 0
    .sgpr_count:     59
    .sgpr_spill_count: 0
    .symbol:         _ZN4vllm25paged_attention_v1_kernelI14__hip_bfloat16hLi80ELi8ELi128ELNS_18Fp8KVCacheDataTypeE1ELb1EEEvPT_PKS3_PKT0_S9_ifPKiSB_iPKfiiiSD_SD_iiiii.kd
    .uniform_work_group_size: 1
    .uses_dynamic_stack: false
    .vgpr_count:     44
    .vgpr_spill_count: 0
    .wavefront_size: 64
  - .agpr_count:     0
    .args:
      - .actual_access:  write_only
        .address_space:  global
        .offset:         0
        .size:           8
        .value_kind:     global_buffer
      - .actual_access:  read_only
        .address_space:  global
        .offset:         8
        .size:           8
        .value_kind:     global_buffer
      - .actual_access:  read_only
        .address_space:  global
        .offset:         16
        .size:           8
        .value_kind:     global_buffer
      - .actual_access:  read_only
        .address_space:  global
        .offset:         24
        .size:           8
        .value_kind:     global_buffer
      - .offset:         32
        .size:           4
        .value_kind:     by_value
      - .offset:         36
        .size:           4
        .value_kind:     by_value
      - .actual_access:  read_only
        .address_space:  global
        .offset:         40
        .size:           8
        .value_kind:     global_buffer
      - .actual_access:  read_only
        .address_space:  global
        .offset:         48
        .size:           8
        .value_kind:     global_buffer
      - .offset:         56
        .size:           4
        .value_kind:     by_value
      - .actual_access:  read_only
        .address_space:  global
        .offset:         64
        .size:           8
        .value_kind:     global_buffer
      - .offset:         72
        .size:           4
        .value_kind:     by_value
      - .offset:         76
        .size:           4
        .value_kind:     by_value
      - .offset:         80
        .size:           4
        .value_kind:     by_value
      - .address_space:  global
        .offset:         88
        .size:           8
        .value_kind:     global_buffer
      - .address_space:  global
        .offset:         96
        .size:           8
        .value_kind:     global_buffer
      - .offset:         104
        .size:           4
        .value_kind:     by_value
      - .offset:         108
        .size:           4
        .value_kind:     by_value
      - .offset:         112
        .size:           4
        .value_kind:     by_value
      - .offset:         116
        .size:           4
        .value_kind:     by_value
      - .offset:         120
        .size:           4
        .value_kind:     by_value
      - .offset:         128
        .size:           4
        .value_kind:     hidden_block_count_x
      - .offset:         132
        .size:           4
        .value_kind:     hidden_block_count_y
      - .offset:         136
        .size:           4
        .value_kind:     hidden_block_count_z
      - .offset:         140
        .size:           2
        .value_kind:     hidden_group_size_x
      - .offset:         142
        .size:           2
        .value_kind:     hidden_group_size_y
      - .offset:         144
        .size:           2
        .value_kind:     hidden_group_size_z
      - .offset:         146
        .size:           2
        .value_kind:     hidden_remainder_x
      - .offset:         148
        .size:           2
        .value_kind:     hidden_remainder_y
      - .offset:         150
        .size:           2
        .value_kind:     hidden_remainder_z
      - .offset:         168
        .size:           8
        .value_kind:     hidden_global_offset_x
      - .offset:         176
        .size:           8
        .value_kind:     hidden_global_offset_y
      - .offset:         184
        .size:           8
        .value_kind:     hidden_global_offset_z
      - .offset:         192
        .size:           2
        .value_kind:     hidden_grid_dims
      - .offset:         248
        .size:           4
        .value_kind:     hidden_dynamic_lds_size
    .group_segment_fixed_size: 208
    .kernarg_segment_align: 8
    .kernarg_segment_size: 384
    .language:       OpenCL C
    .language_version:
      - 2
      - 0
    .max_flat_workgroup_size: 1024
    .name:           _ZN4vllm25paged_attention_v1_kernelI14__hip_bfloat16hLi96ELi8ELi128ELNS_18Fp8KVCacheDataTypeE1ELb1EEEvPT_PKS3_PKT0_S9_ifPKiSB_iPKfiiiSD_SD_iiiii
    .private_segment_fixed_size: 0
    .sgpr_count:     59
    .sgpr_spill_count: 0
    .symbol:         _ZN4vllm25paged_attention_v1_kernelI14__hip_bfloat16hLi96ELi8ELi128ELNS_18Fp8KVCacheDataTypeE1ELb1EEEvPT_PKS3_PKT0_S9_ifPKiSB_iPKfiiiSD_SD_iiiii.kd
    .uniform_work_group_size: 1
    .uses_dynamic_stack: false
    .vgpr_count:     48
    .vgpr_spill_count: 0
    .wavefront_size: 64
  - .agpr_count:     0
    .args:
      - .actual_access:  write_only
        .address_space:  global
        .offset:         0
        .size:           8
        .value_kind:     global_buffer
      - .actual_access:  read_only
        .address_space:  global
        .offset:         8
        .size:           8
        .value_kind:     global_buffer
      - .actual_access:  read_only
        .address_space:  global
        .offset:         16
        .size:           8
        .value_kind:     global_buffer
      - .actual_access:  read_only
        .address_space:  global
        .offset:         24
        .size:           8
        .value_kind:     global_buffer
      - .offset:         32
        .size:           4
        .value_kind:     by_value
      - .offset:         36
        .size:           4
        .value_kind:     by_value
      - .actual_access:  read_only
        .address_space:  global
        .offset:         40
        .size:           8
        .value_kind:     global_buffer
      - .actual_access:  read_only
        .address_space:  global
        .offset:         48
        .size:           8
        .value_kind:     global_buffer
      - .offset:         56
        .size:           4
        .value_kind:     by_value
      - .actual_access:  read_only
        .address_space:  global
        .offset:         64
        .size:           8
        .value_kind:     global_buffer
      - .offset:         72
        .size:           4
        .value_kind:     by_value
      - .offset:         76
        .size:           4
        .value_kind:     by_value
      - .offset:         80
        .size:           4
        .value_kind:     by_value
      - .address_space:  global
        .offset:         88
        .size:           8
        .value_kind:     global_buffer
      - .address_space:  global
        .offset:         96
        .size:           8
        .value_kind:     global_buffer
      - .offset:         104
        .size:           4
        .value_kind:     by_value
      - .offset:         108
        .size:           4
        .value_kind:     by_value
      - .offset:         112
        .size:           4
        .value_kind:     by_value
      - .offset:         116
        .size:           4
        .value_kind:     by_value
      - .offset:         120
        .size:           4
        .value_kind:     by_value
      - .offset:         128
        .size:           4
        .value_kind:     hidden_block_count_x
      - .offset:         132
        .size:           4
        .value_kind:     hidden_block_count_y
      - .offset:         136
        .size:           4
        .value_kind:     hidden_block_count_z
      - .offset:         140
        .size:           2
        .value_kind:     hidden_group_size_x
      - .offset:         142
        .size:           2
        .value_kind:     hidden_group_size_y
      - .offset:         144
        .size:           2
        .value_kind:     hidden_group_size_z
      - .offset:         146
        .size:           2
        .value_kind:     hidden_remainder_x
      - .offset:         148
        .size:           2
        .value_kind:     hidden_remainder_y
      - .offset:         150
        .size:           2
        .value_kind:     hidden_remainder_z
      - .offset:         168
        .size:           8
        .value_kind:     hidden_global_offset_x
      - .offset:         176
        .size:           8
        .value_kind:     hidden_global_offset_y
      - .offset:         184
        .size:           8
        .value_kind:     hidden_global_offset_z
      - .offset:         192
        .size:           2
        .value_kind:     hidden_grid_dims
      - .offset:         248
        .size:           4
        .value_kind:     hidden_dynamic_lds_size
    .group_segment_fixed_size: 240
    .kernarg_segment_align: 8
    .kernarg_segment_size: 384
    .language:       OpenCL C
    .language_version:
      - 2
      - 0
    .max_flat_workgroup_size: 1024
    .name:           _ZN4vllm25paged_attention_v1_kernelI14__hip_bfloat16hLi112ELi8ELi128ELNS_18Fp8KVCacheDataTypeE1ELb1EEEvPT_PKS3_PKT0_S9_ifPKiSB_iPKfiiiSD_SD_iiiii
    .private_segment_fixed_size: 0
    .sgpr_count:     59
    .sgpr_spill_count: 0
    .symbol:         _ZN4vllm25paged_attention_v1_kernelI14__hip_bfloat16hLi112ELi8ELi128ELNS_18Fp8KVCacheDataTypeE1ELb1EEEvPT_PKS3_PKT0_S9_ifPKiSB_iPKfiiiSD_SD_iiiii.kd
    .uniform_work_group_size: 1
    .uses_dynamic_stack: false
    .vgpr_count:     52
    .vgpr_spill_count: 0
    .wavefront_size: 64
  - .agpr_count:     0
    .args:
      - .actual_access:  write_only
        .address_space:  global
        .offset:         0
        .size:           8
        .value_kind:     global_buffer
      - .actual_access:  read_only
        .address_space:  global
        .offset:         8
        .size:           8
        .value_kind:     global_buffer
      - .actual_access:  read_only
        .address_space:  global
        .offset:         16
        .size:           8
        .value_kind:     global_buffer
      - .actual_access:  read_only
        .address_space:  global
        .offset:         24
        .size:           8
        .value_kind:     global_buffer
      - .offset:         32
        .size:           4
        .value_kind:     by_value
      - .offset:         36
        .size:           4
        .value_kind:     by_value
      - .actual_access:  read_only
        .address_space:  global
        .offset:         40
        .size:           8
        .value_kind:     global_buffer
      - .actual_access:  read_only
        .address_space:  global
        .offset:         48
        .size:           8
        .value_kind:     global_buffer
      - .offset:         56
        .size:           4
        .value_kind:     by_value
      - .actual_access:  read_only
        .address_space:  global
        .offset:         64
        .size:           8
        .value_kind:     global_buffer
      - .offset:         72
        .size:           4
        .value_kind:     by_value
      - .offset:         76
        .size:           4
        .value_kind:     by_value
      - .offset:         80
        .size:           4
        .value_kind:     by_value
      - .address_space:  global
        .offset:         88
        .size:           8
        .value_kind:     global_buffer
      - .address_space:  global
        .offset:         96
        .size:           8
        .value_kind:     global_buffer
      - .offset:         104
        .size:           4
        .value_kind:     by_value
      - .offset:         108
        .size:           4
        .value_kind:     by_value
      - .offset:         112
        .size:           4
        .value_kind:     by_value
      - .offset:         116
        .size:           4
        .value_kind:     by_value
      - .offset:         120
        .size:           4
        .value_kind:     by_value
      - .offset:         128
        .size:           4
        .value_kind:     hidden_block_count_x
      - .offset:         132
        .size:           4
        .value_kind:     hidden_block_count_y
      - .offset:         136
        .size:           4
        .value_kind:     hidden_block_count_z
      - .offset:         140
        .size:           2
        .value_kind:     hidden_group_size_x
      - .offset:         142
        .size:           2
        .value_kind:     hidden_group_size_y
      - .offset:         144
        .size:           2
        .value_kind:     hidden_group_size_z
      - .offset:         146
        .size:           2
        .value_kind:     hidden_remainder_x
      - .offset:         148
        .size:           2
        .value_kind:     hidden_remainder_y
      - .offset:         150
        .size:           2
        .value_kind:     hidden_remainder_z
      - .offset:         168
        .size:           8
        .value_kind:     hidden_global_offset_x
      - .offset:         176
        .size:           8
        .value_kind:     hidden_global_offset_y
      - .offset:         184
        .size:           8
        .value_kind:     hidden_global_offset_z
      - .offset:         192
        .size:           2
        .value_kind:     hidden_grid_dims
      - .offset:         248
        .size:           4
        .value_kind:     hidden_dynamic_lds_size
    .group_segment_fixed_size: 256
    .kernarg_segment_align: 8
    .kernarg_segment_size: 384
    .language:       OpenCL C
    .language_version:
      - 2
      - 0
    .max_flat_workgroup_size: 1024
    .name:           _ZN4vllm25paged_attention_v1_kernelI14__hip_bfloat16hLi120ELi8ELi128ELNS_18Fp8KVCacheDataTypeE1ELb1EEEvPT_PKS3_PKT0_S9_ifPKiSB_iPKfiiiSD_SD_iiiii
    .private_segment_fixed_size: 0
    .sgpr_count:     59
    .sgpr_spill_count: 0
    .symbol:         _ZN4vllm25paged_attention_v1_kernelI14__hip_bfloat16hLi120ELi8ELi128ELNS_18Fp8KVCacheDataTypeE1ELb1EEEvPT_PKS3_PKT0_S9_ifPKiSB_iPKfiiiSD_SD_iiiii.kd
    .uniform_work_group_size: 1
    .uses_dynamic_stack: false
    .vgpr_count:     54
    .vgpr_spill_count: 0
    .wavefront_size: 64
  - .agpr_count:     0
    .args:
      - .actual_access:  write_only
        .address_space:  global
        .offset:         0
        .size:           8
        .value_kind:     global_buffer
      - .actual_access:  read_only
        .address_space:  global
        .offset:         8
        .size:           8
        .value_kind:     global_buffer
      - .actual_access:  read_only
        .address_space:  global
        .offset:         16
        .size:           8
        .value_kind:     global_buffer
      - .actual_access:  read_only
        .address_space:  global
        .offset:         24
        .size:           8
        .value_kind:     global_buffer
      - .offset:         32
        .size:           4
        .value_kind:     by_value
      - .offset:         36
        .size:           4
        .value_kind:     by_value
      - .actual_access:  read_only
        .address_space:  global
        .offset:         40
        .size:           8
        .value_kind:     global_buffer
      - .actual_access:  read_only
        .address_space:  global
        .offset:         48
        .size:           8
        .value_kind:     global_buffer
      - .offset:         56
        .size:           4
        .value_kind:     by_value
      - .actual_access:  read_only
        .address_space:  global
        .offset:         64
        .size:           8
        .value_kind:     global_buffer
      - .offset:         72
        .size:           4
        .value_kind:     by_value
      - .offset:         76
        .size:           4
        .value_kind:     by_value
      - .offset:         80
        .size:           4
        .value_kind:     by_value
      - .address_space:  global
        .offset:         88
        .size:           8
        .value_kind:     global_buffer
      - .address_space:  global
        .offset:         96
        .size:           8
        .value_kind:     global_buffer
      - .offset:         104
        .size:           4
        .value_kind:     by_value
      - .offset:         108
        .size:           4
        .value_kind:     by_value
      - .offset:         112
        .size:           4
        .value_kind:     by_value
      - .offset:         116
        .size:           4
        .value_kind:     by_value
      - .offset:         120
        .size:           4
        .value_kind:     by_value
      - .offset:         128
        .size:           4
        .value_kind:     hidden_block_count_x
      - .offset:         132
        .size:           4
        .value_kind:     hidden_block_count_y
      - .offset:         136
        .size:           4
        .value_kind:     hidden_block_count_z
      - .offset:         140
        .size:           2
        .value_kind:     hidden_group_size_x
      - .offset:         142
        .size:           2
        .value_kind:     hidden_group_size_y
      - .offset:         144
        .size:           2
        .value_kind:     hidden_group_size_z
      - .offset:         146
        .size:           2
        .value_kind:     hidden_remainder_x
      - .offset:         148
        .size:           2
        .value_kind:     hidden_remainder_y
      - .offset:         150
        .size:           2
        .value_kind:     hidden_remainder_z
      - .offset:         168
        .size:           8
        .value_kind:     hidden_global_offset_x
      - .offset:         176
        .size:           8
        .value_kind:     hidden_global_offset_y
      - .offset:         184
        .size:           8
        .value_kind:     hidden_global_offset_z
      - .offset:         192
        .size:           2
        .value_kind:     hidden_grid_dims
      - .offset:         248
        .size:           4
        .value_kind:     hidden_dynamic_lds_size
    .group_segment_fixed_size: 272
    .kernarg_segment_align: 8
    .kernarg_segment_size: 384
    .language:       OpenCL C
    .language_version:
      - 2
      - 0
    .max_flat_workgroup_size: 1024
    .name:           _ZN4vllm25paged_attention_v1_kernelI14__hip_bfloat16hLi128ELi8ELi128ELNS_18Fp8KVCacheDataTypeE1ELb1EEEvPT_PKS3_PKT0_S9_ifPKiSB_iPKfiiiSD_SD_iiiii
    .private_segment_fixed_size: 0
    .sgpr_count:     57
    .sgpr_spill_count: 0
    .symbol:         _ZN4vllm25paged_attention_v1_kernelI14__hip_bfloat16hLi128ELi8ELi128ELNS_18Fp8KVCacheDataTypeE1ELb1EEEvPT_PKS3_PKT0_S9_ifPKiSB_iPKfiiiSD_SD_iiiii.kd
    .uniform_work_group_size: 1
    .uses_dynamic_stack: false
    .vgpr_count:     56
    .vgpr_spill_count: 0
    .wavefront_size: 64
  - .agpr_count:     0
    .args:
      - .actual_access:  write_only
        .address_space:  global
        .offset:         0
        .size:           8
        .value_kind:     global_buffer
      - .actual_access:  read_only
        .address_space:  global
        .offset:         8
        .size:           8
        .value_kind:     global_buffer
      - .actual_access:  read_only
        .address_space:  global
        .offset:         16
        .size:           8
        .value_kind:     global_buffer
      - .actual_access:  read_only
        .address_space:  global
        .offset:         24
        .size:           8
        .value_kind:     global_buffer
      - .offset:         32
        .size:           4
        .value_kind:     by_value
      - .offset:         36
        .size:           4
        .value_kind:     by_value
      - .actual_access:  read_only
        .address_space:  global
        .offset:         40
        .size:           8
        .value_kind:     global_buffer
      - .actual_access:  read_only
        .address_space:  global
        .offset:         48
        .size:           8
        .value_kind:     global_buffer
      - .offset:         56
        .size:           4
        .value_kind:     by_value
      - .actual_access:  read_only
        .address_space:  global
        .offset:         64
        .size:           8
        .value_kind:     global_buffer
      - .offset:         72
        .size:           4
        .value_kind:     by_value
      - .offset:         76
        .size:           4
        .value_kind:     by_value
      - .offset:         80
        .size:           4
        .value_kind:     by_value
      - .address_space:  global
        .offset:         88
        .size:           8
        .value_kind:     global_buffer
      - .address_space:  global
        .offset:         96
        .size:           8
        .value_kind:     global_buffer
      - .offset:         104
        .size:           4
        .value_kind:     by_value
      - .offset:         108
        .size:           4
        .value_kind:     by_value
      - .offset:         112
        .size:           4
        .value_kind:     by_value
      - .offset:         116
        .size:           4
        .value_kind:     by_value
      - .offset:         120
        .size:           4
        .value_kind:     by_value
      - .offset:         128
        .size:           4
        .value_kind:     hidden_block_count_x
      - .offset:         132
        .size:           4
        .value_kind:     hidden_block_count_y
      - .offset:         136
        .size:           4
        .value_kind:     hidden_block_count_z
      - .offset:         140
        .size:           2
        .value_kind:     hidden_group_size_x
      - .offset:         142
        .size:           2
        .value_kind:     hidden_group_size_y
      - .offset:         144
        .size:           2
        .value_kind:     hidden_group_size_z
      - .offset:         146
        .size:           2
        .value_kind:     hidden_remainder_x
      - .offset:         148
        .size:           2
        .value_kind:     hidden_remainder_y
      - .offset:         150
        .size:           2
        .value_kind:     hidden_remainder_z
      - .offset:         168
        .size:           8
        .value_kind:     hidden_global_offset_x
      - .offset:         176
        .size:           8
        .value_kind:     hidden_global_offset_y
      - .offset:         184
        .size:           8
        .value_kind:     hidden_global_offset_z
      - .offset:         192
        .size:           2
        .value_kind:     hidden_grid_dims
      - .offset:         248
        .size:           4
        .value_kind:     hidden_dynamic_lds_size
    .group_segment_fixed_size: 400
    .kernarg_segment_align: 8
    .kernarg_segment_size: 384
    .language:       OpenCL C
    .language_version:
      - 2
      - 0
    .max_flat_workgroup_size: 1024
    .name:           _ZN4vllm25paged_attention_v1_kernelI14__hip_bfloat16hLi192ELi8ELi128ELNS_18Fp8KVCacheDataTypeE1ELb1EEEvPT_PKS3_PKT0_S9_ifPKiSB_iPKfiiiSD_SD_iiiii
    .private_segment_fixed_size: 0
    .sgpr_count:     57
    .sgpr_spill_count: 0
    .symbol:         _ZN4vllm25paged_attention_v1_kernelI14__hip_bfloat16hLi192ELi8ELi128ELNS_18Fp8KVCacheDataTypeE1ELb1EEEvPT_PKS3_PKT0_S9_ifPKiSB_iPKfiiiSD_SD_iiiii.kd
    .uniform_work_group_size: 1
    .uses_dynamic_stack: false
    .vgpr_count:     71
    .vgpr_spill_count: 0
    .wavefront_size: 64
  - .agpr_count:     0
    .args:
      - .actual_access:  write_only
        .address_space:  global
        .offset:         0
        .size:           8
        .value_kind:     global_buffer
      - .actual_access:  read_only
        .address_space:  global
        .offset:         8
        .size:           8
        .value_kind:     global_buffer
      - .actual_access:  read_only
        .address_space:  global
        .offset:         16
        .size:           8
        .value_kind:     global_buffer
      - .actual_access:  read_only
        .address_space:  global
        .offset:         24
        .size:           8
        .value_kind:     global_buffer
      - .offset:         32
        .size:           4
        .value_kind:     by_value
      - .offset:         36
        .size:           4
        .value_kind:     by_value
      - .actual_access:  read_only
        .address_space:  global
        .offset:         40
        .size:           8
        .value_kind:     global_buffer
      - .actual_access:  read_only
        .address_space:  global
        .offset:         48
        .size:           8
        .value_kind:     global_buffer
      - .offset:         56
        .size:           4
        .value_kind:     by_value
      - .actual_access:  read_only
        .address_space:  global
        .offset:         64
        .size:           8
        .value_kind:     global_buffer
      - .offset:         72
        .size:           4
        .value_kind:     by_value
      - .offset:         76
        .size:           4
        .value_kind:     by_value
      - .offset:         80
        .size:           4
        .value_kind:     by_value
      - .address_space:  global
        .offset:         88
        .size:           8
        .value_kind:     global_buffer
      - .address_space:  global
        .offset:         96
        .size:           8
        .value_kind:     global_buffer
      - .offset:         104
        .size:           4
        .value_kind:     by_value
      - .offset:         108
        .size:           4
        .value_kind:     by_value
      - .offset:         112
        .size:           4
        .value_kind:     by_value
      - .offset:         116
        .size:           4
        .value_kind:     by_value
      - .offset:         120
        .size:           4
        .value_kind:     by_value
      - .offset:         128
        .size:           4
        .value_kind:     hidden_block_count_x
      - .offset:         132
        .size:           4
        .value_kind:     hidden_block_count_y
      - .offset:         136
        .size:           4
        .value_kind:     hidden_block_count_z
      - .offset:         140
        .size:           2
        .value_kind:     hidden_group_size_x
      - .offset:         142
        .size:           2
        .value_kind:     hidden_group_size_y
      - .offset:         144
        .size:           2
        .value_kind:     hidden_group_size_z
      - .offset:         146
        .size:           2
        .value_kind:     hidden_remainder_x
      - .offset:         148
        .size:           2
        .value_kind:     hidden_remainder_y
      - .offset:         150
        .size:           2
        .value_kind:     hidden_remainder_z
      - .offset:         168
        .size:           8
        .value_kind:     hidden_global_offset_x
      - .offset:         176
        .size:           8
        .value_kind:     hidden_global_offset_y
      - .offset:         184
        .size:           8
        .value_kind:     hidden_global_offset_z
      - .offset:         192
        .size:           2
        .value_kind:     hidden_grid_dims
      - .offset:         248
        .size:           4
        .value_kind:     hidden_dynamic_lds_size
    .group_segment_fixed_size: 528
    .kernarg_segment_align: 8
    .kernarg_segment_size: 384
    .language:       OpenCL C
    .language_version:
      - 2
      - 0
    .max_flat_workgroup_size: 1024
    .name:           _ZN4vllm25paged_attention_v1_kernelI14__hip_bfloat16hLi256ELi8ELi128ELNS_18Fp8KVCacheDataTypeE1ELb1EEEvPT_PKS3_PKT0_S9_ifPKiSB_iPKfiiiSD_SD_iiiii
    .private_segment_fixed_size: 0
    .sgpr_count:     57
    .sgpr_spill_count: 0
    .symbol:         _ZN4vllm25paged_attention_v1_kernelI14__hip_bfloat16hLi256ELi8ELi128ELNS_18Fp8KVCacheDataTypeE1ELb1EEEvPT_PKS3_PKT0_S9_ifPKiSB_iPKfiiiSD_SD_iiiii.kd
    .uniform_work_group_size: 1
    .uses_dynamic_stack: false
    .vgpr_count:     87
    .vgpr_spill_count: 0
    .wavefront_size: 64
  - .agpr_count:     0
    .args:
      - .actual_access:  write_only
        .address_space:  global
        .offset:         0
        .size:           8
        .value_kind:     global_buffer
      - .actual_access:  read_only
        .address_space:  global
        .offset:         8
        .size:           8
        .value_kind:     global_buffer
      - .actual_access:  read_only
        .address_space:  global
        .offset:         16
        .size:           8
        .value_kind:     global_buffer
      - .actual_access:  read_only
        .address_space:  global
        .offset:         24
        .size:           8
        .value_kind:     global_buffer
      - .offset:         32
        .size:           4
        .value_kind:     by_value
      - .offset:         36
        .size:           4
        .value_kind:     by_value
      - .actual_access:  read_only
        .address_space:  global
        .offset:         40
        .size:           8
        .value_kind:     global_buffer
      - .actual_access:  read_only
        .address_space:  global
        .offset:         48
        .size:           8
        .value_kind:     global_buffer
      - .offset:         56
        .size:           4
        .value_kind:     by_value
      - .actual_access:  read_only
        .address_space:  global
        .offset:         64
        .size:           8
        .value_kind:     global_buffer
      - .offset:         72
        .size:           4
        .value_kind:     by_value
      - .offset:         76
        .size:           4
        .value_kind:     by_value
      - .offset:         80
        .size:           4
        .value_kind:     by_value
      - .address_space:  global
        .offset:         88
        .size:           8
        .value_kind:     global_buffer
      - .address_space:  global
        .offset:         96
        .size:           8
        .value_kind:     global_buffer
      - .offset:         104
        .size:           4
        .value_kind:     by_value
      - .offset:         108
        .size:           4
        .value_kind:     by_value
      - .offset:         112
        .size:           4
        .value_kind:     by_value
      - .offset:         116
        .size:           4
        .value_kind:     by_value
      - .offset:         120
        .size:           4
        .value_kind:     by_value
      - .offset:         128
        .size:           4
        .value_kind:     hidden_block_count_x
      - .offset:         132
        .size:           4
        .value_kind:     hidden_block_count_y
      - .offset:         136
        .size:           4
        .value_kind:     hidden_block_count_z
      - .offset:         140
        .size:           2
        .value_kind:     hidden_group_size_x
      - .offset:         142
        .size:           2
        .value_kind:     hidden_group_size_y
      - .offset:         144
        .size:           2
        .value_kind:     hidden_group_size_z
      - .offset:         146
        .size:           2
        .value_kind:     hidden_remainder_x
      - .offset:         148
        .size:           2
        .value_kind:     hidden_remainder_y
      - .offset:         150
        .size:           2
        .value_kind:     hidden_remainder_z
      - .offset:         168
        .size:           8
        .value_kind:     hidden_global_offset_x
      - .offset:         176
        .size:           8
        .value_kind:     hidden_global_offset_y
      - .offset:         184
        .size:           8
        .value_kind:     hidden_global_offset_z
      - .offset:         192
        .size:           2
        .value_kind:     hidden_grid_dims
      - .offset:         248
        .size:           4
        .value_kind:     hidden_dynamic_lds_size
    .group_segment_fixed_size: 80
    .kernarg_segment_align: 8
    .kernarg_segment_size: 384
    .language:       OpenCL C
    .language_version:
      - 2
      - 0
    .max_flat_workgroup_size: 1024
    .name:           _ZN4vllm25paged_attention_v1_kernelI14__hip_bfloat16hLi32ELi8ELi128ELNS_18Fp8KVCacheDataTypeE1ELb0EEEvPT_PKS3_PKT0_S9_ifPKiSB_iPKfiiiSD_SD_iiiii
    .private_segment_fixed_size: 0
    .sgpr_count:     45
    .sgpr_spill_count: 0
    .symbol:         _ZN4vllm25paged_attention_v1_kernelI14__hip_bfloat16hLi32ELi8ELi128ELNS_18Fp8KVCacheDataTypeE1ELb0EEEvPT_PKS3_PKT0_S9_ifPKiSB_iPKfiiiSD_SD_iiiii.kd
    .uniform_work_group_size: 1
    .uses_dynamic_stack: false
    .vgpr_count:     29
    .vgpr_spill_count: 0
    .wavefront_size: 64
  - .agpr_count:     0
    .args:
      - .actual_access:  write_only
        .address_space:  global
        .offset:         0
        .size:           8
        .value_kind:     global_buffer
      - .actual_access:  read_only
        .address_space:  global
        .offset:         8
        .size:           8
        .value_kind:     global_buffer
      - .actual_access:  read_only
        .address_space:  global
        .offset:         16
        .size:           8
        .value_kind:     global_buffer
      - .actual_access:  read_only
        .address_space:  global
        .offset:         24
        .size:           8
        .value_kind:     global_buffer
      - .offset:         32
        .size:           4
        .value_kind:     by_value
      - .offset:         36
        .size:           4
        .value_kind:     by_value
      - .actual_access:  read_only
        .address_space:  global
        .offset:         40
        .size:           8
        .value_kind:     global_buffer
      - .actual_access:  read_only
        .address_space:  global
        .offset:         48
        .size:           8
        .value_kind:     global_buffer
      - .offset:         56
        .size:           4
        .value_kind:     by_value
      - .actual_access:  read_only
        .address_space:  global
        .offset:         64
        .size:           8
        .value_kind:     global_buffer
      - .offset:         72
        .size:           4
        .value_kind:     by_value
      - .offset:         76
        .size:           4
        .value_kind:     by_value
      - .offset:         80
        .size:           4
        .value_kind:     by_value
      - .address_space:  global
        .offset:         88
        .size:           8
        .value_kind:     global_buffer
      - .address_space:  global
        .offset:         96
        .size:           8
        .value_kind:     global_buffer
      - .offset:         104
        .size:           4
        .value_kind:     by_value
      - .offset:         108
        .size:           4
        .value_kind:     by_value
      - .offset:         112
        .size:           4
        .value_kind:     by_value
      - .offset:         116
        .size:           4
        .value_kind:     by_value
      - .offset:         120
        .size:           4
        .value_kind:     by_value
      - .offset:         128
        .size:           4
        .value_kind:     hidden_block_count_x
      - .offset:         132
        .size:           4
        .value_kind:     hidden_block_count_y
      - .offset:         136
        .size:           4
        .value_kind:     hidden_block_count_z
      - .offset:         140
        .size:           2
        .value_kind:     hidden_group_size_x
      - .offset:         142
        .size:           2
        .value_kind:     hidden_group_size_y
      - .offset:         144
        .size:           2
        .value_kind:     hidden_group_size_z
      - .offset:         146
        .size:           2
        .value_kind:     hidden_remainder_x
      - .offset:         148
        .size:           2
        .value_kind:     hidden_remainder_y
      - .offset:         150
        .size:           2
        .value_kind:     hidden_remainder_z
      - .offset:         168
        .size:           8
        .value_kind:     hidden_global_offset_x
      - .offset:         176
        .size:           8
        .value_kind:     hidden_global_offset_y
      - .offset:         184
        .size:           8
        .value_kind:     hidden_global_offset_z
      - .offset:         192
        .size:           2
        .value_kind:     hidden_grid_dims
      - .offset:         248
        .size:           4
        .value_kind:     hidden_dynamic_lds_size
    .group_segment_fixed_size: 144
    .kernarg_segment_align: 8
    .kernarg_segment_size: 384
    .language:       OpenCL C
    .language_version:
      - 2
      - 0
    .max_flat_workgroup_size: 1024
    .name:           _ZN4vllm25paged_attention_v1_kernelI14__hip_bfloat16hLi64ELi8ELi128ELNS_18Fp8KVCacheDataTypeE1ELb0EEEvPT_PKS3_PKT0_S9_ifPKiSB_iPKfiiiSD_SD_iiiii
    .private_segment_fixed_size: 0
    .sgpr_count:     47
    .sgpr_spill_count: 0
    .symbol:         _ZN4vllm25paged_attention_v1_kernelI14__hip_bfloat16hLi64ELi8ELi128ELNS_18Fp8KVCacheDataTypeE1ELb0EEEvPT_PKS3_PKT0_S9_ifPKiSB_iPKfiiiSD_SD_iiiii.kd
    .uniform_work_group_size: 1
    .uses_dynamic_stack: false
    .vgpr_count:     36
    .vgpr_spill_count: 0
    .wavefront_size: 64
  - .agpr_count:     0
    .args:
      - .actual_access:  write_only
        .address_space:  global
        .offset:         0
        .size:           8
        .value_kind:     global_buffer
      - .actual_access:  read_only
        .address_space:  global
        .offset:         8
        .size:           8
        .value_kind:     global_buffer
      - .actual_access:  read_only
        .address_space:  global
        .offset:         16
        .size:           8
        .value_kind:     global_buffer
      - .actual_access:  read_only
        .address_space:  global
        .offset:         24
        .size:           8
        .value_kind:     global_buffer
      - .offset:         32
        .size:           4
        .value_kind:     by_value
      - .offset:         36
        .size:           4
        .value_kind:     by_value
      - .actual_access:  read_only
        .address_space:  global
        .offset:         40
        .size:           8
        .value_kind:     global_buffer
      - .actual_access:  read_only
        .address_space:  global
        .offset:         48
        .size:           8
        .value_kind:     global_buffer
      - .offset:         56
        .size:           4
        .value_kind:     by_value
      - .actual_access:  read_only
        .address_space:  global
        .offset:         64
        .size:           8
        .value_kind:     global_buffer
      - .offset:         72
        .size:           4
        .value_kind:     by_value
      - .offset:         76
        .size:           4
        .value_kind:     by_value
      - .offset:         80
        .size:           4
        .value_kind:     by_value
      - .address_space:  global
        .offset:         88
        .size:           8
        .value_kind:     global_buffer
      - .address_space:  global
        .offset:         96
        .size:           8
        .value_kind:     global_buffer
      - .offset:         104
        .size:           4
        .value_kind:     by_value
      - .offset:         108
        .size:           4
        .value_kind:     by_value
      - .offset:         112
        .size:           4
        .value_kind:     by_value
      - .offset:         116
        .size:           4
        .value_kind:     by_value
      - .offset:         120
        .size:           4
        .value_kind:     by_value
      - .offset:         128
        .size:           4
        .value_kind:     hidden_block_count_x
      - .offset:         132
        .size:           4
        .value_kind:     hidden_block_count_y
      - .offset:         136
        .size:           4
        .value_kind:     hidden_block_count_z
      - .offset:         140
        .size:           2
        .value_kind:     hidden_group_size_x
      - .offset:         142
        .size:           2
        .value_kind:     hidden_group_size_y
      - .offset:         144
        .size:           2
        .value_kind:     hidden_group_size_z
      - .offset:         146
        .size:           2
        .value_kind:     hidden_remainder_x
      - .offset:         148
        .size:           2
        .value_kind:     hidden_remainder_y
      - .offset:         150
        .size:           2
        .value_kind:     hidden_remainder_z
      - .offset:         168
        .size:           8
        .value_kind:     hidden_global_offset_x
      - .offset:         176
        .size:           8
        .value_kind:     hidden_global_offset_y
      - .offset:         184
        .size:           8
        .value_kind:     hidden_global_offset_z
      - .offset:         192
        .size:           2
        .value_kind:     hidden_grid_dims
      - .offset:         248
        .size:           4
        .value_kind:     hidden_dynamic_lds_size
    .group_segment_fixed_size: 176
    .kernarg_segment_align: 8
    .kernarg_segment_size: 384
    .language:       OpenCL C
    .language_version:
      - 2
      - 0
    .max_flat_workgroup_size: 1024
    .name:           _ZN4vllm25paged_attention_v1_kernelI14__hip_bfloat16hLi80ELi8ELi128ELNS_18Fp8KVCacheDataTypeE1ELb0EEEvPT_PKS3_PKT0_S9_ifPKiSB_iPKfiiiSD_SD_iiiii
    .private_segment_fixed_size: 0
    .sgpr_count:     47
    .sgpr_spill_count: 0
    .symbol:         _ZN4vllm25paged_attention_v1_kernelI14__hip_bfloat16hLi80ELi8ELi128ELNS_18Fp8KVCacheDataTypeE1ELb0EEEvPT_PKS3_PKT0_S9_ifPKiSB_iPKfiiiSD_SD_iiiii.kd
    .uniform_work_group_size: 1
    .uses_dynamic_stack: false
    .vgpr_count:     41
    .vgpr_spill_count: 0
    .wavefront_size: 64
  - .agpr_count:     0
    .args:
      - .actual_access:  write_only
        .address_space:  global
        .offset:         0
        .size:           8
        .value_kind:     global_buffer
      - .actual_access:  read_only
        .address_space:  global
        .offset:         8
        .size:           8
        .value_kind:     global_buffer
      - .actual_access:  read_only
        .address_space:  global
        .offset:         16
        .size:           8
        .value_kind:     global_buffer
      - .actual_access:  read_only
        .address_space:  global
        .offset:         24
        .size:           8
        .value_kind:     global_buffer
      - .offset:         32
        .size:           4
        .value_kind:     by_value
      - .offset:         36
        .size:           4
        .value_kind:     by_value
      - .actual_access:  read_only
        .address_space:  global
        .offset:         40
        .size:           8
        .value_kind:     global_buffer
      - .actual_access:  read_only
        .address_space:  global
        .offset:         48
        .size:           8
        .value_kind:     global_buffer
      - .offset:         56
        .size:           4
        .value_kind:     by_value
      - .actual_access:  read_only
        .address_space:  global
        .offset:         64
        .size:           8
        .value_kind:     global_buffer
      - .offset:         72
        .size:           4
        .value_kind:     by_value
      - .offset:         76
        .size:           4
        .value_kind:     by_value
      - .offset:         80
        .size:           4
        .value_kind:     by_value
      - .address_space:  global
        .offset:         88
        .size:           8
        .value_kind:     global_buffer
      - .address_space:  global
        .offset:         96
        .size:           8
        .value_kind:     global_buffer
      - .offset:         104
        .size:           4
        .value_kind:     by_value
      - .offset:         108
        .size:           4
        .value_kind:     by_value
      - .offset:         112
        .size:           4
        .value_kind:     by_value
      - .offset:         116
        .size:           4
        .value_kind:     by_value
      - .offset:         120
        .size:           4
        .value_kind:     by_value
      - .offset:         128
        .size:           4
        .value_kind:     hidden_block_count_x
      - .offset:         132
        .size:           4
        .value_kind:     hidden_block_count_y
      - .offset:         136
        .size:           4
        .value_kind:     hidden_block_count_z
      - .offset:         140
        .size:           2
        .value_kind:     hidden_group_size_x
      - .offset:         142
        .size:           2
        .value_kind:     hidden_group_size_y
      - .offset:         144
        .size:           2
        .value_kind:     hidden_group_size_z
      - .offset:         146
        .size:           2
        .value_kind:     hidden_remainder_x
      - .offset:         148
        .size:           2
        .value_kind:     hidden_remainder_y
      - .offset:         150
        .size:           2
        .value_kind:     hidden_remainder_z
      - .offset:         168
        .size:           8
        .value_kind:     hidden_global_offset_x
      - .offset:         176
        .size:           8
        .value_kind:     hidden_global_offset_y
      - .offset:         184
        .size:           8
        .value_kind:     hidden_global_offset_z
      - .offset:         192
        .size:           2
        .value_kind:     hidden_grid_dims
      - .offset:         248
        .size:           4
        .value_kind:     hidden_dynamic_lds_size
    .group_segment_fixed_size: 208
    .kernarg_segment_align: 8
    .kernarg_segment_size: 384
    .language:       OpenCL C
    .language_version:
      - 2
      - 0
    .max_flat_workgroup_size: 1024
    .name:           _ZN4vllm25paged_attention_v1_kernelI14__hip_bfloat16hLi96ELi8ELi128ELNS_18Fp8KVCacheDataTypeE1ELb0EEEvPT_PKS3_PKT0_S9_ifPKiSB_iPKfiiiSD_SD_iiiii
    .private_segment_fixed_size: 0
    .sgpr_count:     47
    .sgpr_spill_count: 0
    .symbol:         _ZN4vllm25paged_attention_v1_kernelI14__hip_bfloat16hLi96ELi8ELi128ELNS_18Fp8KVCacheDataTypeE1ELb0EEEvPT_PKS3_PKT0_S9_ifPKiSB_iPKfiiiSD_SD_iiiii.kd
    .uniform_work_group_size: 1
    .uses_dynamic_stack: false
    .vgpr_count:     45
    .vgpr_spill_count: 0
    .wavefront_size: 64
  - .agpr_count:     0
    .args:
      - .actual_access:  write_only
        .address_space:  global
        .offset:         0
        .size:           8
        .value_kind:     global_buffer
      - .actual_access:  read_only
        .address_space:  global
        .offset:         8
        .size:           8
        .value_kind:     global_buffer
      - .actual_access:  read_only
        .address_space:  global
        .offset:         16
        .size:           8
        .value_kind:     global_buffer
      - .actual_access:  read_only
        .address_space:  global
        .offset:         24
        .size:           8
        .value_kind:     global_buffer
      - .offset:         32
        .size:           4
        .value_kind:     by_value
      - .offset:         36
        .size:           4
        .value_kind:     by_value
      - .actual_access:  read_only
        .address_space:  global
        .offset:         40
        .size:           8
        .value_kind:     global_buffer
      - .actual_access:  read_only
        .address_space:  global
        .offset:         48
        .size:           8
        .value_kind:     global_buffer
      - .offset:         56
        .size:           4
        .value_kind:     by_value
      - .actual_access:  read_only
        .address_space:  global
        .offset:         64
        .size:           8
        .value_kind:     global_buffer
      - .offset:         72
        .size:           4
        .value_kind:     by_value
      - .offset:         76
        .size:           4
        .value_kind:     by_value
      - .offset:         80
        .size:           4
        .value_kind:     by_value
      - .address_space:  global
        .offset:         88
        .size:           8
        .value_kind:     global_buffer
      - .address_space:  global
        .offset:         96
        .size:           8
        .value_kind:     global_buffer
      - .offset:         104
        .size:           4
        .value_kind:     by_value
      - .offset:         108
        .size:           4
        .value_kind:     by_value
      - .offset:         112
        .size:           4
        .value_kind:     by_value
      - .offset:         116
        .size:           4
        .value_kind:     by_value
      - .offset:         120
        .size:           4
        .value_kind:     by_value
      - .offset:         128
        .size:           4
        .value_kind:     hidden_block_count_x
      - .offset:         132
        .size:           4
        .value_kind:     hidden_block_count_y
      - .offset:         136
        .size:           4
        .value_kind:     hidden_block_count_z
      - .offset:         140
        .size:           2
        .value_kind:     hidden_group_size_x
      - .offset:         142
        .size:           2
        .value_kind:     hidden_group_size_y
      - .offset:         144
        .size:           2
        .value_kind:     hidden_group_size_z
      - .offset:         146
        .size:           2
        .value_kind:     hidden_remainder_x
      - .offset:         148
        .size:           2
        .value_kind:     hidden_remainder_y
      - .offset:         150
        .size:           2
        .value_kind:     hidden_remainder_z
      - .offset:         168
        .size:           8
        .value_kind:     hidden_global_offset_x
      - .offset:         176
        .size:           8
        .value_kind:     hidden_global_offset_y
      - .offset:         184
        .size:           8
        .value_kind:     hidden_global_offset_z
      - .offset:         192
        .size:           2
        .value_kind:     hidden_grid_dims
      - .offset:         248
        .size:           4
        .value_kind:     hidden_dynamic_lds_size
    .group_segment_fixed_size: 240
    .kernarg_segment_align: 8
    .kernarg_segment_size: 384
    .language:       OpenCL C
    .language_version:
      - 2
      - 0
    .max_flat_workgroup_size: 1024
    .name:           _ZN4vllm25paged_attention_v1_kernelI14__hip_bfloat16hLi112ELi8ELi128ELNS_18Fp8KVCacheDataTypeE1ELb0EEEvPT_PKS3_PKT0_S9_ifPKiSB_iPKfiiiSD_SD_iiiii
    .private_segment_fixed_size: 0
    .sgpr_count:     47
    .sgpr_spill_count: 0
    .symbol:         _ZN4vllm25paged_attention_v1_kernelI14__hip_bfloat16hLi112ELi8ELi128ELNS_18Fp8KVCacheDataTypeE1ELb0EEEvPT_PKS3_PKT0_S9_ifPKiSB_iPKfiiiSD_SD_iiiii.kd
    .uniform_work_group_size: 1
    .uses_dynamic_stack: false
    .vgpr_count:     49
    .vgpr_spill_count: 0
    .wavefront_size: 64
  - .agpr_count:     0
    .args:
      - .actual_access:  write_only
        .address_space:  global
        .offset:         0
        .size:           8
        .value_kind:     global_buffer
      - .actual_access:  read_only
        .address_space:  global
        .offset:         8
        .size:           8
        .value_kind:     global_buffer
      - .actual_access:  read_only
        .address_space:  global
        .offset:         16
        .size:           8
        .value_kind:     global_buffer
      - .actual_access:  read_only
        .address_space:  global
        .offset:         24
        .size:           8
        .value_kind:     global_buffer
      - .offset:         32
        .size:           4
        .value_kind:     by_value
      - .offset:         36
        .size:           4
        .value_kind:     by_value
      - .actual_access:  read_only
        .address_space:  global
        .offset:         40
        .size:           8
        .value_kind:     global_buffer
      - .actual_access:  read_only
        .address_space:  global
        .offset:         48
        .size:           8
        .value_kind:     global_buffer
      - .offset:         56
        .size:           4
        .value_kind:     by_value
      - .actual_access:  read_only
        .address_space:  global
        .offset:         64
        .size:           8
        .value_kind:     global_buffer
      - .offset:         72
        .size:           4
        .value_kind:     by_value
      - .offset:         76
        .size:           4
        .value_kind:     by_value
      - .offset:         80
        .size:           4
        .value_kind:     by_value
      - .address_space:  global
        .offset:         88
        .size:           8
        .value_kind:     global_buffer
      - .address_space:  global
        .offset:         96
        .size:           8
        .value_kind:     global_buffer
      - .offset:         104
        .size:           4
        .value_kind:     by_value
      - .offset:         108
        .size:           4
        .value_kind:     by_value
      - .offset:         112
        .size:           4
        .value_kind:     by_value
      - .offset:         116
        .size:           4
        .value_kind:     by_value
      - .offset:         120
        .size:           4
        .value_kind:     by_value
      - .offset:         128
        .size:           4
        .value_kind:     hidden_block_count_x
      - .offset:         132
        .size:           4
        .value_kind:     hidden_block_count_y
      - .offset:         136
        .size:           4
        .value_kind:     hidden_block_count_z
      - .offset:         140
        .size:           2
        .value_kind:     hidden_group_size_x
      - .offset:         142
        .size:           2
        .value_kind:     hidden_group_size_y
      - .offset:         144
        .size:           2
        .value_kind:     hidden_group_size_z
      - .offset:         146
        .size:           2
        .value_kind:     hidden_remainder_x
      - .offset:         148
        .size:           2
        .value_kind:     hidden_remainder_y
      - .offset:         150
        .size:           2
        .value_kind:     hidden_remainder_z
      - .offset:         168
        .size:           8
        .value_kind:     hidden_global_offset_x
      - .offset:         176
        .size:           8
        .value_kind:     hidden_global_offset_y
      - .offset:         184
        .size:           8
        .value_kind:     hidden_global_offset_z
      - .offset:         192
        .size:           2
        .value_kind:     hidden_grid_dims
      - .offset:         248
        .size:           4
        .value_kind:     hidden_dynamic_lds_size
    .group_segment_fixed_size: 256
    .kernarg_segment_align: 8
    .kernarg_segment_size: 384
    .language:       OpenCL C
    .language_version:
      - 2
      - 0
    .max_flat_workgroup_size: 1024
    .name:           _ZN4vllm25paged_attention_v1_kernelI14__hip_bfloat16hLi120ELi8ELi128ELNS_18Fp8KVCacheDataTypeE1ELb0EEEvPT_PKS3_PKT0_S9_ifPKiSB_iPKfiiiSD_SD_iiiii
    .private_segment_fixed_size: 0
    .sgpr_count:     47
    .sgpr_spill_count: 0
    .symbol:         _ZN4vllm25paged_attention_v1_kernelI14__hip_bfloat16hLi120ELi8ELi128ELNS_18Fp8KVCacheDataTypeE1ELb0EEEvPT_PKS3_PKT0_S9_ifPKiSB_iPKfiiiSD_SD_iiiii.kd
    .uniform_work_group_size: 1
    .uses_dynamic_stack: false
    .vgpr_count:     51
    .vgpr_spill_count: 0
    .wavefront_size: 64
  - .agpr_count:     0
    .args:
      - .actual_access:  write_only
        .address_space:  global
        .offset:         0
        .size:           8
        .value_kind:     global_buffer
      - .actual_access:  read_only
        .address_space:  global
        .offset:         8
        .size:           8
        .value_kind:     global_buffer
      - .actual_access:  read_only
        .address_space:  global
        .offset:         16
        .size:           8
        .value_kind:     global_buffer
      - .actual_access:  read_only
        .address_space:  global
        .offset:         24
        .size:           8
        .value_kind:     global_buffer
      - .offset:         32
        .size:           4
        .value_kind:     by_value
      - .offset:         36
        .size:           4
        .value_kind:     by_value
      - .actual_access:  read_only
        .address_space:  global
        .offset:         40
        .size:           8
        .value_kind:     global_buffer
      - .actual_access:  read_only
        .address_space:  global
        .offset:         48
        .size:           8
        .value_kind:     global_buffer
      - .offset:         56
        .size:           4
        .value_kind:     by_value
      - .actual_access:  read_only
        .address_space:  global
        .offset:         64
        .size:           8
        .value_kind:     global_buffer
      - .offset:         72
        .size:           4
        .value_kind:     by_value
      - .offset:         76
        .size:           4
        .value_kind:     by_value
      - .offset:         80
        .size:           4
        .value_kind:     by_value
      - .address_space:  global
        .offset:         88
        .size:           8
        .value_kind:     global_buffer
      - .address_space:  global
        .offset:         96
        .size:           8
        .value_kind:     global_buffer
      - .offset:         104
        .size:           4
        .value_kind:     by_value
      - .offset:         108
        .size:           4
        .value_kind:     by_value
      - .offset:         112
        .size:           4
        .value_kind:     by_value
      - .offset:         116
        .size:           4
        .value_kind:     by_value
      - .offset:         120
        .size:           4
        .value_kind:     by_value
      - .offset:         128
        .size:           4
        .value_kind:     hidden_block_count_x
      - .offset:         132
        .size:           4
        .value_kind:     hidden_block_count_y
      - .offset:         136
        .size:           4
        .value_kind:     hidden_block_count_z
      - .offset:         140
        .size:           2
        .value_kind:     hidden_group_size_x
      - .offset:         142
        .size:           2
        .value_kind:     hidden_group_size_y
      - .offset:         144
        .size:           2
        .value_kind:     hidden_group_size_z
      - .offset:         146
        .size:           2
        .value_kind:     hidden_remainder_x
      - .offset:         148
        .size:           2
        .value_kind:     hidden_remainder_y
      - .offset:         150
        .size:           2
        .value_kind:     hidden_remainder_z
      - .offset:         168
        .size:           8
        .value_kind:     hidden_global_offset_x
      - .offset:         176
        .size:           8
        .value_kind:     hidden_global_offset_y
      - .offset:         184
        .size:           8
        .value_kind:     hidden_global_offset_z
      - .offset:         192
        .size:           2
        .value_kind:     hidden_grid_dims
      - .offset:         248
        .size:           4
        .value_kind:     hidden_dynamic_lds_size
    .group_segment_fixed_size: 272
    .kernarg_segment_align: 8
    .kernarg_segment_size: 384
    .language:       OpenCL C
    .language_version:
      - 2
      - 0
    .max_flat_workgroup_size: 1024
    .name:           _ZN4vllm25paged_attention_v1_kernelI14__hip_bfloat16hLi128ELi8ELi128ELNS_18Fp8KVCacheDataTypeE1ELb0EEEvPT_PKS3_PKT0_S9_ifPKiSB_iPKfiiiSD_SD_iiiii
    .private_segment_fixed_size: 0
    .sgpr_count:     45
    .sgpr_spill_count: 0
    .symbol:         _ZN4vllm25paged_attention_v1_kernelI14__hip_bfloat16hLi128ELi8ELi128ELNS_18Fp8KVCacheDataTypeE1ELb0EEEvPT_PKS3_PKT0_S9_ifPKiSB_iPKfiiiSD_SD_iiiii.kd
    .uniform_work_group_size: 1
    .uses_dynamic_stack: false
    .vgpr_count:     53
    .vgpr_spill_count: 0
    .wavefront_size: 64
  - .agpr_count:     0
    .args:
      - .actual_access:  write_only
        .address_space:  global
        .offset:         0
        .size:           8
        .value_kind:     global_buffer
      - .actual_access:  read_only
        .address_space:  global
        .offset:         8
        .size:           8
        .value_kind:     global_buffer
      - .actual_access:  read_only
        .address_space:  global
        .offset:         16
        .size:           8
        .value_kind:     global_buffer
      - .actual_access:  read_only
        .address_space:  global
        .offset:         24
        .size:           8
        .value_kind:     global_buffer
      - .offset:         32
        .size:           4
        .value_kind:     by_value
      - .offset:         36
        .size:           4
        .value_kind:     by_value
      - .actual_access:  read_only
        .address_space:  global
        .offset:         40
        .size:           8
        .value_kind:     global_buffer
      - .actual_access:  read_only
        .address_space:  global
        .offset:         48
        .size:           8
        .value_kind:     global_buffer
      - .offset:         56
        .size:           4
        .value_kind:     by_value
      - .actual_access:  read_only
        .address_space:  global
        .offset:         64
        .size:           8
        .value_kind:     global_buffer
      - .offset:         72
        .size:           4
        .value_kind:     by_value
      - .offset:         76
        .size:           4
        .value_kind:     by_value
      - .offset:         80
        .size:           4
        .value_kind:     by_value
      - .address_space:  global
        .offset:         88
        .size:           8
        .value_kind:     global_buffer
      - .address_space:  global
        .offset:         96
        .size:           8
        .value_kind:     global_buffer
      - .offset:         104
        .size:           4
        .value_kind:     by_value
      - .offset:         108
        .size:           4
        .value_kind:     by_value
      - .offset:         112
        .size:           4
        .value_kind:     by_value
      - .offset:         116
        .size:           4
        .value_kind:     by_value
      - .offset:         120
        .size:           4
        .value_kind:     by_value
      - .offset:         128
        .size:           4
        .value_kind:     hidden_block_count_x
      - .offset:         132
        .size:           4
        .value_kind:     hidden_block_count_y
      - .offset:         136
        .size:           4
        .value_kind:     hidden_block_count_z
      - .offset:         140
        .size:           2
        .value_kind:     hidden_group_size_x
      - .offset:         142
        .size:           2
        .value_kind:     hidden_group_size_y
      - .offset:         144
        .size:           2
        .value_kind:     hidden_group_size_z
      - .offset:         146
        .size:           2
        .value_kind:     hidden_remainder_x
      - .offset:         148
        .size:           2
        .value_kind:     hidden_remainder_y
      - .offset:         150
        .size:           2
        .value_kind:     hidden_remainder_z
      - .offset:         168
        .size:           8
        .value_kind:     hidden_global_offset_x
      - .offset:         176
        .size:           8
        .value_kind:     hidden_global_offset_y
      - .offset:         184
        .size:           8
        .value_kind:     hidden_global_offset_z
      - .offset:         192
        .size:           2
        .value_kind:     hidden_grid_dims
      - .offset:         248
        .size:           4
        .value_kind:     hidden_dynamic_lds_size
    .group_segment_fixed_size: 400
    .kernarg_segment_align: 8
    .kernarg_segment_size: 384
    .language:       OpenCL C
    .language_version:
      - 2
      - 0
    .max_flat_workgroup_size: 1024
    .name:           _ZN4vllm25paged_attention_v1_kernelI14__hip_bfloat16hLi192ELi8ELi128ELNS_18Fp8KVCacheDataTypeE1ELb0EEEvPT_PKS3_PKT0_S9_ifPKiSB_iPKfiiiSD_SD_iiiii
    .private_segment_fixed_size: 0
    .sgpr_count:     45
    .sgpr_spill_count: 0
    .symbol:         _ZN4vllm25paged_attention_v1_kernelI14__hip_bfloat16hLi192ELi8ELi128ELNS_18Fp8KVCacheDataTypeE1ELb0EEEvPT_PKS3_PKT0_S9_ifPKiSB_iPKfiiiSD_SD_iiiii.kd
    .uniform_work_group_size: 1
    .uses_dynamic_stack: false
    .vgpr_count:     68
    .vgpr_spill_count: 0
    .wavefront_size: 64
  - .agpr_count:     0
    .args:
      - .actual_access:  write_only
        .address_space:  global
        .offset:         0
        .size:           8
        .value_kind:     global_buffer
      - .actual_access:  read_only
        .address_space:  global
        .offset:         8
        .size:           8
        .value_kind:     global_buffer
      - .actual_access:  read_only
        .address_space:  global
        .offset:         16
        .size:           8
        .value_kind:     global_buffer
      - .actual_access:  read_only
        .address_space:  global
        .offset:         24
        .size:           8
        .value_kind:     global_buffer
      - .offset:         32
        .size:           4
        .value_kind:     by_value
      - .offset:         36
        .size:           4
        .value_kind:     by_value
      - .actual_access:  read_only
        .address_space:  global
        .offset:         40
        .size:           8
        .value_kind:     global_buffer
      - .actual_access:  read_only
        .address_space:  global
        .offset:         48
        .size:           8
        .value_kind:     global_buffer
      - .offset:         56
        .size:           4
        .value_kind:     by_value
      - .actual_access:  read_only
        .address_space:  global
        .offset:         64
        .size:           8
        .value_kind:     global_buffer
      - .offset:         72
        .size:           4
        .value_kind:     by_value
      - .offset:         76
        .size:           4
        .value_kind:     by_value
      - .offset:         80
        .size:           4
        .value_kind:     by_value
      - .address_space:  global
        .offset:         88
        .size:           8
        .value_kind:     global_buffer
      - .address_space:  global
        .offset:         96
        .size:           8
        .value_kind:     global_buffer
      - .offset:         104
        .size:           4
        .value_kind:     by_value
      - .offset:         108
        .size:           4
        .value_kind:     by_value
      - .offset:         112
        .size:           4
        .value_kind:     by_value
      - .offset:         116
        .size:           4
        .value_kind:     by_value
      - .offset:         120
        .size:           4
        .value_kind:     by_value
      - .offset:         128
        .size:           4
        .value_kind:     hidden_block_count_x
      - .offset:         132
        .size:           4
        .value_kind:     hidden_block_count_y
      - .offset:         136
        .size:           4
        .value_kind:     hidden_block_count_z
      - .offset:         140
        .size:           2
        .value_kind:     hidden_group_size_x
      - .offset:         142
        .size:           2
        .value_kind:     hidden_group_size_y
      - .offset:         144
        .size:           2
        .value_kind:     hidden_group_size_z
      - .offset:         146
        .size:           2
        .value_kind:     hidden_remainder_x
      - .offset:         148
        .size:           2
        .value_kind:     hidden_remainder_y
      - .offset:         150
        .size:           2
        .value_kind:     hidden_remainder_z
      - .offset:         168
        .size:           8
        .value_kind:     hidden_global_offset_x
      - .offset:         176
        .size:           8
        .value_kind:     hidden_global_offset_y
      - .offset:         184
        .size:           8
        .value_kind:     hidden_global_offset_z
      - .offset:         192
        .size:           2
        .value_kind:     hidden_grid_dims
      - .offset:         248
        .size:           4
        .value_kind:     hidden_dynamic_lds_size
    .group_segment_fixed_size: 528
    .kernarg_segment_align: 8
    .kernarg_segment_size: 384
    .language:       OpenCL C
    .language_version:
      - 2
      - 0
    .max_flat_workgroup_size: 1024
    .name:           _ZN4vllm25paged_attention_v1_kernelI14__hip_bfloat16hLi256ELi8ELi128ELNS_18Fp8KVCacheDataTypeE1ELb0EEEvPT_PKS3_PKT0_S9_ifPKiSB_iPKfiiiSD_SD_iiiii
    .private_segment_fixed_size: 0
    .sgpr_count:     45
    .sgpr_spill_count: 0
    .symbol:         _ZN4vllm25paged_attention_v1_kernelI14__hip_bfloat16hLi256ELi8ELi128ELNS_18Fp8KVCacheDataTypeE1ELb0EEEvPT_PKS3_PKT0_S9_ifPKiSB_iPKfiiiSD_SD_iiiii.kd
    .uniform_work_group_size: 1
    .uses_dynamic_stack: false
    .vgpr_count:     84
    .vgpr_spill_count: 0
    .wavefront_size: 64
  - .agpr_count:     0
    .args:
      - .actual_access:  write_only
        .address_space:  global
        .offset:         0
        .size:           8
        .value_kind:     global_buffer
      - .actual_access:  read_only
        .address_space:  global
        .offset:         8
        .size:           8
        .value_kind:     global_buffer
      - .actual_access:  read_only
        .address_space:  global
        .offset:         16
        .size:           8
        .value_kind:     global_buffer
      - .actual_access:  read_only
        .address_space:  global
        .offset:         24
        .size:           8
        .value_kind:     global_buffer
      - .offset:         32
        .size:           4
        .value_kind:     by_value
      - .offset:         36
        .size:           4
        .value_kind:     by_value
      - .actual_access:  read_only
        .address_space:  global
        .offset:         40
        .size:           8
        .value_kind:     global_buffer
      - .actual_access:  read_only
        .address_space:  global
        .offset:         48
        .size:           8
        .value_kind:     global_buffer
      - .offset:         56
        .size:           4
        .value_kind:     by_value
      - .actual_access:  read_only
        .address_space:  global
        .offset:         64
        .size:           8
        .value_kind:     global_buffer
      - .offset:         72
        .size:           4
        .value_kind:     by_value
      - .offset:         76
        .size:           4
        .value_kind:     by_value
      - .offset:         80
        .size:           4
        .value_kind:     by_value
      - .address_space:  global
        .offset:         88
        .size:           8
        .value_kind:     global_buffer
      - .address_space:  global
        .offset:         96
        .size:           8
        .value_kind:     global_buffer
      - .offset:         104
        .size:           4
        .value_kind:     by_value
      - .offset:         108
        .size:           4
        .value_kind:     by_value
      - .offset:         112
        .size:           4
        .value_kind:     by_value
      - .offset:         116
        .size:           4
        .value_kind:     by_value
      - .offset:         120
        .size:           4
        .value_kind:     by_value
      - .offset:         128
        .size:           4
        .value_kind:     hidden_block_count_x
      - .offset:         132
        .size:           4
        .value_kind:     hidden_block_count_y
      - .offset:         136
        .size:           4
        .value_kind:     hidden_block_count_z
      - .offset:         140
        .size:           2
        .value_kind:     hidden_group_size_x
      - .offset:         142
        .size:           2
        .value_kind:     hidden_group_size_y
      - .offset:         144
        .size:           2
        .value_kind:     hidden_group_size_z
      - .offset:         146
        .size:           2
        .value_kind:     hidden_remainder_x
      - .offset:         148
        .size:           2
        .value_kind:     hidden_remainder_y
      - .offset:         150
        .size:           2
        .value_kind:     hidden_remainder_z
      - .offset:         168
        .size:           8
        .value_kind:     hidden_global_offset_x
      - .offset:         176
        .size:           8
        .value_kind:     hidden_global_offset_y
      - .offset:         184
        .size:           8
        .value_kind:     hidden_global_offset_z
      - .offset:         192
        .size:           2
        .value_kind:     hidden_grid_dims
      - .offset:         248
        .size:           4
        .value_kind:     hidden_dynamic_lds_size
    .group_segment_fixed_size: 80
    .kernarg_segment_align: 8
    .kernarg_segment_size: 384
    .language:       OpenCL C
    .language_version:
      - 2
      - 0
    .max_flat_workgroup_size: 1024
    .name:           _ZN4vllm25paged_attention_v1_kernelI14__hip_bfloat16hLi32ELi16ELi128ELNS_18Fp8KVCacheDataTypeE1ELb1EEEvPT_PKS3_PKT0_S9_ifPKiSB_iPKfiiiSD_SD_iiiii
    .private_segment_fixed_size: 0
    .sgpr_count:     58
    .sgpr_spill_count: 0
    .symbol:         _ZN4vllm25paged_attention_v1_kernelI14__hip_bfloat16hLi32ELi16ELi128ELNS_18Fp8KVCacheDataTypeE1ELb1EEEvPT_PKS3_PKT0_S9_ifPKiSB_iPKfiiiSD_SD_iiiii.kd
    .uniform_work_group_size: 1
    .uses_dynamic_stack: false
    .vgpr_count:     39
    .vgpr_spill_count: 0
    .wavefront_size: 64
  - .agpr_count:     0
    .args:
      - .actual_access:  write_only
        .address_space:  global
        .offset:         0
        .size:           8
        .value_kind:     global_buffer
      - .actual_access:  read_only
        .address_space:  global
        .offset:         8
        .size:           8
        .value_kind:     global_buffer
      - .actual_access:  read_only
        .address_space:  global
        .offset:         16
        .size:           8
        .value_kind:     global_buffer
      - .actual_access:  read_only
        .address_space:  global
        .offset:         24
        .size:           8
        .value_kind:     global_buffer
      - .offset:         32
        .size:           4
        .value_kind:     by_value
      - .offset:         36
        .size:           4
        .value_kind:     by_value
      - .actual_access:  read_only
        .address_space:  global
        .offset:         40
        .size:           8
        .value_kind:     global_buffer
      - .actual_access:  read_only
        .address_space:  global
        .offset:         48
        .size:           8
        .value_kind:     global_buffer
      - .offset:         56
        .size:           4
        .value_kind:     by_value
      - .actual_access:  read_only
        .address_space:  global
        .offset:         64
        .size:           8
        .value_kind:     global_buffer
      - .offset:         72
        .size:           4
        .value_kind:     by_value
      - .offset:         76
        .size:           4
        .value_kind:     by_value
      - .offset:         80
        .size:           4
        .value_kind:     by_value
      - .address_space:  global
        .offset:         88
        .size:           8
        .value_kind:     global_buffer
      - .address_space:  global
        .offset:         96
        .size:           8
        .value_kind:     global_buffer
      - .offset:         104
        .size:           4
        .value_kind:     by_value
      - .offset:         108
        .size:           4
        .value_kind:     by_value
      - .offset:         112
        .size:           4
        .value_kind:     by_value
      - .offset:         116
        .size:           4
        .value_kind:     by_value
      - .offset:         120
        .size:           4
        .value_kind:     by_value
      - .offset:         128
        .size:           4
        .value_kind:     hidden_block_count_x
      - .offset:         132
        .size:           4
        .value_kind:     hidden_block_count_y
      - .offset:         136
        .size:           4
        .value_kind:     hidden_block_count_z
      - .offset:         140
        .size:           2
        .value_kind:     hidden_group_size_x
      - .offset:         142
        .size:           2
        .value_kind:     hidden_group_size_y
      - .offset:         144
        .size:           2
        .value_kind:     hidden_group_size_z
      - .offset:         146
        .size:           2
        .value_kind:     hidden_remainder_x
      - .offset:         148
        .size:           2
        .value_kind:     hidden_remainder_y
      - .offset:         150
        .size:           2
        .value_kind:     hidden_remainder_z
      - .offset:         168
        .size:           8
        .value_kind:     hidden_global_offset_x
      - .offset:         176
        .size:           8
        .value_kind:     hidden_global_offset_y
      - .offset:         184
        .size:           8
        .value_kind:     hidden_global_offset_z
      - .offset:         192
        .size:           2
        .value_kind:     hidden_grid_dims
      - .offset:         248
        .size:           4
        .value_kind:     hidden_dynamic_lds_size
    .group_segment_fixed_size: 144
    .kernarg_segment_align: 8
    .kernarg_segment_size: 384
    .language:       OpenCL C
    .language_version:
      - 2
      - 0
    .max_flat_workgroup_size: 1024
    .name:           _ZN4vllm25paged_attention_v1_kernelI14__hip_bfloat16hLi64ELi16ELi128ELNS_18Fp8KVCacheDataTypeE1ELb1EEEvPT_PKS3_PKT0_S9_ifPKiSB_iPKfiiiSD_SD_iiiii
    .private_segment_fixed_size: 0
    .sgpr_count:     58
    .sgpr_spill_count: 0
    .symbol:         _ZN4vllm25paged_attention_v1_kernelI14__hip_bfloat16hLi64ELi16ELi128ELNS_18Fp8KVCacheDataTypeE1ELb1EEEvPT_PKS3_PKT0_S9_ifPKiSB_iPKfiiiSD_SD_iiiii.kd
    .uniform_work_group_size: 1
    .uses_dynamic_stack: false
    .vgpr_count:     55
    .vgpr_spill_count: 0
    .wavefront_size: 64
  - .agpr_count:     0
    .args:
      - .actual_access:  write_only
        .address_space:  global
        .offset:         0
        .size:           8
        .value_kind:     global_buffer
      - .actual_access:  read_only
        .address_space:  global
        .offset:         8
        .size:           8
        .value_kind:     global_buffer
      - .actual_access:  read_only
        .address_space:  global
        .offset:         16
        .size:           8
        .value_kind:     global_buffer
      - .actual_access:  read_only
        .address_space:  global
        .offset:         24
        .size:           8
        .value_kind:     global_buffer
      - .offset:         32
        .size:           4
        .value_kind:     by_value
      - .offset:         36
        .size:           4
        .value_kind:     by_value
      - .actual_access:  read_only
        .address_space:  global
        .offset:         40
        .size:           8
        .value_kind:     global_buffer
      - .actual_access:  read_only
        .address_space:  global
        .offset:         48
        .size:           8
        .value_kind:     global_buffer
      - .offset:         56
        .size:           4
        .value_kind:     by_value
      - .actual_access:  read_only
        .address_space:  global
        .offset:         64
        .size:           8
        .value_kind:     global_buffer
      - .offset:         72
        .size:           4
        .value_kind:     by_value
      - .offset:         76
        .size:           4
        .value_kind:     by_value
      - .offset:         80
        .size:           4
        .value_kind:     by_value
      - .address_space:  global
        .offset:         88
        .size:           8
        .value_kind:     global_buffer
      - .address_space:  global
        .offset:         96
        .size:           8
        .value_kind:     global_buffer
      - .offset:         104
        .size:           4
        .value_kind:     by_value
      - .offset:         108
        .size:           4
        .value_kind:     by_value
      - .offset:         112
        .size:           4
        .value_kind:     by_value
      - .offset:         116
        .size:           4
        .value_kind:     by_value
      - .offset:         120
        .size:           4
        .value_kind:     by_value
      - .offset:         128
        .size:           4
        .value_kind:     hidden_block_count_x
      - .offset:         132
        .size:           4
        .value_kind:     hidden_block_count_y
      - .offset:         136
        .size:           4
        .value_kind:     hidden_block_count_z
      - .offset:         140
        .size:           2
        .value_kind:     hidden_group_size_x
      - .offset:         142
        .size:           2
        .value_kind:     hidden_group_size_y
      - .offset:         144
        .size:           2
        .value_kind:     hidden_group_size_z
      - .offset:         146
        .size:           2
        .value_kind:     hidden_remainder_x
      - .offset:         148
        .size:           2
        .value_kind:     hidden_remainder_y
      - .offset:         150
        .size:           2
        .value_kind:     hidden_remainder_z
      - .offset:         168
        .size:           8
        .value_kind:     hidden_global_offset_x
      - .offset:         176
        .size:           8
        .value_kind:     hidden_global_offset_y
      - .offset:         184
        .size:           8
        .value_kind:     hidden_global_offset_z
      - .offset:         192
        .size:           2
        .value_kind:     hidden_grid_dims
      - .offset:         248
        .size:           4
        .value_kind:     hidden_dynamic_lds_size
    .group_segment_fixed_size: 176
    .kernarg_segment_align: 8
    .kernarg_segment_size: 384
    .language:       OpenCL C
    .language_version:
      - 2
      - 0
    .max_flat_workgroup_size: 1024
    .name:           _ZN4vllm25paged_attention_v1_kernelI14__hip_bfloat16hLi80ELi16ELi128ELNS_18Fp8KVCacheDataTypeE1ELb1EEEvPT_PKS3_PKT0_S9_ifPKiSB_iPKfiiiSD_SD_iiiii
    .private_segment_fixed_size: 0
    .sgpr_count:     58
    .sgpr_spill_count: 0
    .symbol:         _ZN4vllm25paged_attention_v1_kernelI14__hip_bfloat16hLi80ELi16ELi128ELNS_18Fp8KVCacheDataTypeE1ELb1EEEvPT_PKS3_PKT0_S9_ifPKiSB_iPKfiiiSD_SD_iiiii.kd
    .uniform_work_group_size: 1
    .uses_dynamic_stack: false
    .vgpr_count:     63
    .vgpr_spill_count: 0
    .wavefront_size: 64
  - .agpr_count:     0
    .args:
      - .actual_access:  write_only
        .address_space:  global
        .offset:         0
        .size:           8
        .value_kind:     global_buffer
      - .actual_access:  read_only
        .address_space:  global
        .offset:         8
        .size:           8
        .value_kind:     global_buffer
      - .actual_access:  read_only
        .address_space:  global
        .offset:         16
        .size:           8
        .value_kind:     global_buffer
      - .actual_access:  read_only
        .address_space:  global
        .offset:         24
        .size:           8
        .value_kind:     global_buffer
      - .offset:         32
        .size:           4
        .value_kind:     by_value
      - .offset:         36
        .size:           4
        .value_kind:     by_value
      - .actual_access:  read_only
        .address_space:  global
        .offset:         40
        .size:           8
        .value_kind:     global_buffer
      - .actual_access:  read_only
        .address_space:  global
        .offset:         48
        .size:           8
        .value_kind:     global_buffer
      - .offset:         56
        .size:           4
        .value_kind:     by_value
      - .actual_access:  read_only
        .address_space:  global
        .offset:         64
        .size:           8
        .value_kind:     global_buffer
      - .offset:         72
        .size:           4
        .value_kind:     by_value
      - .offset:         76
        .size:           4
        .value_kind:     by_value
      - .offset:         80
        .size:           4
        .value_kind:     by_value
      - .address_space:  global
        .offset:         88
        .size:           8
        .value_kind:     global_buffer
      - .address_space:  global
        .offset:         96
        .size:           8
        .value_kind:     global_buffer
      - .offset:         104
        .size:           4
        .value_kind:     by_value
      - .offset:         108
        .size:           4
        .value_kind:     by_value
      - .offset:         112
        .size:           4
        .value_kind:     by_value
      - .offset:         116
        .size:           4
        .value_kind:     by_value
      - .offset:         120
        .size:           4
        .value_kind:     by_value
      - .offset:         128
        .size:           4
        .value_kind:     hidden_block_count_x
      - .offset:         132
        .size:           4
        .value_kind:     hidden_block_count_y
      - .offset:         136
        .size:           4
        .value_kind:     hidden_block_count_z
      - .offset:         140
        .size:           2
        .value_kind:     hidden_group_size_x
      - .offset:         142
        .size:           2
        .value_kind:     hidden_group_size_y
      - .offset:         144
        .size:           2
        .value_kind:     hidden_group_size_z
      - .offset:         146
        .size:           2
        .value_kind:     hidden_remainder_x
      - .offset:         148
        .size:           2
        .value_kind:     hidden_remainder_y
      - .offset:         150
        .size:           2
        .value_kind:     hidden_remainder_z
      - .offset:         168
        .size:           8
        .value_kind:     hidden_global_offset_x
      - .offset:         176
        .size:           8
        .value_kind:     hidden_global_offset_y
      - .offset:         184
        .size:           8
        .value_kind:     hidden_global_offset_z
      - .offset:         192
        .size:           2
        .value_kind:     hidden_grid_dims
      - .offset:         248
        .size:           4
        .value_kind:     hidden_dynamic_lds_size
    .group_segment_fixed_size: 208
    .kernarg_segment_align: 8
    .kernarg_segment_size: 384
    .language:       OpenCL C
    .language_version:
      - 2
      - 0
    .max_flat_workgroup_size: 1024
    .name:           _ZN4vllm25paged_attention_v1_kernelI14__hip_bfloat16hLi96ELi16ELi128ELNS_18Fp8KVCacheDataTypeE1ELb1EEEvPT_PKS3_PKT0_S9_ifPKiSB_iPKfiiiSD_SD_iiiii
    .private_segment_fixed_size: 0
    .sgpr_count:     58
    .sgpr_spill_count: 0
    .symbol:         _ZN4vllm25paged_attention_v1_kernelI14__hip_bfloat16hLi96ELi16ELi128ELNS_18Fp8KVCacheDataTypeE1ELb1EEEvPT_PKS3_PKT0_S9_ifPKiSB_iPKfiiiSD_SD_iiiii.kd
    .uniform_work_group_size: 1
    .uses_dynamic_stack: false
    .vgpr_count:     71
    .vgpr_spill_count: 0
    .wavefront_size: 64
  - .agpr_count:     0
    .args:
      - .actual_access:  write_only
        .address_space:  global
        .offset:         0
        .size:           8
        .value_kind:     global_buffer
      - .actual_access:  read_only
        .address_space:  global
        .offset:         8
        .size:           8
        .value_kind:     global_buffer
      - .actual_access:  read_only
        .address_space:  global
        .offset:         16
        .size:           8
        .value_kind:     global_buffer
      - .actual_access:  read_only
        .address_space:  global
        .offset:         24
        .size:           8
        .value_kind:     global_buffer
      - .offset:         32
        .size:           4
        .value_kind:     by_value
      - .offset:         36
        .size:           4
        .value_kind:     by_value
      - .actual_access:  read_only
        .address_space:  global
        .offset:         40
        .size:           8
        .value_kind:     global_buffer
      - .actual_access:  read_only
        .address_space:  global
        .offset:         48
        .size:           8
        .value_kind:     global_buffer
      - .offset:         56
        .size:           4
        .value_kind:     by_value
      - .actual_access:  read_only
        .address_space:  global
        .offset:         64
        .size:           8
        .value_kind:     global_buffer
      - .offset:         72
        .size:           4
        .value_kind:     by_value
      - .offset:         76
        .size:           4
        .value_kind:     by_value
      - .offset:         80
        .size:           4
        .value_kind:     by_value
      - .address_space:  global
        .offset:         88
        .size:           8
        .value_kind:     global_buffer
      - .address_space:  global
        .offset:         96
        .size:           8
        .value_kind:     global_buffer
      - .offset:         104
        .size:           4
        .value_kind:     by_value
      - .offset:         108
        .size:           4
        .value_kind:     by_value
      - .offset:         112
        .size:           4
        .value_kind:     by_value
      - .offset:         116
        .size:           4
        .value_kind:     by_value
      - .offset:         120
        .size:           4
        .value_kind:     by_value
      - .offset:         128
        .size:           4
        .value_kind:     hidden_block_count_x
      - .offset:         132
        .size:           4
        .value_kind:     hidden_block_count_y
      - .offset:         136
        .size:           4
        .value_kind:     hidden_block_count_z
      - .offset:         140
        .size:           2
        .value_kind:     hidden_group_size_x
      - .offset:         142
        .size:           2
        .value_kind:     hidden_group_size_y
      - .offset:         144
        .size:           2
        .value_kind:     hidden_group_size_z
      - .offset:         146
        .size:           2
        .value_kind:     hidden_remainder_x
      - .offset:         148
        .size:           2
        .value_kind:     hidden_remainder_y
      - .offset:         150
        .size:           2
        .value_kind:     hidden_remainder_z
      - .offset:         168
        .size:           8
        .value_kind:     hidden_global_offset_x
      - .offset:         176
        .size:           8
        .value_kind:     hidden_global_offset_y
      - .offset:         184
        .size:           8
        .value_kind:     hidden_global_offset_z
      - .offset:         192
        .size:           2
        .value_kind:     hidden_grid_dims
      - .offset:         248
        .size:           4
        .value_kind:     hidden_dynamic_lds_size
    .group_segment_fixed_size: 240
    .kernarg_segment_align: 8
    .kernarg_segment_size: 384
    .language:       OpenCL C
    .language_version:
      - 2
      - 0
    .max_flat_workgroup_size: 1024
    .name:           _ZN4vllm25paged_attention_v1_kernelI14__hip_bfloat16hLi112ELi16ELi128ELNS_18Fp8KVCacheDataTypeE1ELb1EEEvPT_PKS3_PKT0_S9_ifPKiSB_iPKfiiiSD_SD_iiiii
    .private_segment_fixed_size: 0
    .sgpr_count:     58
    .sgpr_spill_count: 0
    .symbol:         _ZN4vllm25paged_attention_v1_kernelI14__hip_bfloat16hLi112ELi16ELi128ELNS_18Fp8KVCacheDataTypeE1ELb1EEEvPT_PKS3_PKT0_S9_ifPKiSB_iPKfiiiSD_SD_iiiii.kd
    .uniform_work_group_size: 1
    .uses_dynamic_stack: false
    .vgpr_count:     79
    .vgpr_spill_count: 0
    .wavefront_size: 64
  - .agpr_count:     0
    .args:
      - .actual_access:  write_only
        .address_space:  global
        .offset:         0
        .size:           8
        .value_kind:     global_buffer
      - .actual_access:  read_only
        .address_space:  global
        .offset:         8
        .size:           8
        .value_kind:     global_buffer
      - .actual_access:  read_only
        .address_space:  global
        .offset:         16
        .size:           8
        .value_kind:     global_buffer
      - .actual_access:  read_only
        .address_space:  global
        .offset:         24
        .size:           8
        .value_kind:     global_buffer
      - .offset:         32
        .size:           4
        .value_kind:     by_value
      - .offset:         36
        .size:           4
        .value_kind:     by_value
      - .actual_access:  read_only
        .address_space:  global
        .offset:         40
        .size:           8
        .value_kind:     global_buffer
      - .actual_access:  read_only
        .address_space:  global
        .offset:         48
        .size:           8
        .value_kind:     global_buffer
      - .offset:         56
        .size:           4
        .value_kind:     by_value
      - .actual_access:  read_only
        .address_space:  global
        .offset:         64
        .size:           8
        .value_kind:     global_buffer
      - .offset:         72
        .size:           4
        .value_kind:     by_value
      - .offset:         76
        .size:           4
        .value_kind:     by_value
      - .offset:         80
        .size:           4
        .value_kind:     by_value
      - .address_space:  global
        .offset:         88
        .size:           8
        .value_kind:     global_buffer
      - .address_space:  global
        .offset:         96
        .size:           8
        .value_kind:     global_buffer
      - .offset:         104
        .size:           4
        .value_kind:     by_value
      - .offset:         108
        .size:           4
        .value_kind:     by_value
      - .offset:         112
        .size:           4
        .value_kind:     by_value
      - .offset:         116
        .size:           4
        .value_kind:     by_value
      - .offset:         120
        .size:           4
        .value_kind:     by_value
      - .offset:         128
        .size:           4
        .value_kind:     hidden_block_count_x
      - .offset:         132
        .size:           4
        .value_kind:     hidden_block_count_y
      - .offset:         136
        .size:           4
        .value_kind:     hidden_block_count_z
      - .offset:         140
        .size:           2
        .value_kind:     hidden_group_size_x
      - .offset:         142
        .size:           2
        .value_kind:     hidden_group_size_y
      - .offset:         144
        .size:           2
        .value_kind:     hidden_group_size_z
      - .offset:         146
        .size:           2
        .value_kind:     hidden_remainder_x
      - .offset:         148
        .size:           2
        .value_kind:     hidden_remainder_y
      - .offset:         150
        .size:           2
        .value_kind:     hidden_remainder_z
      - .offset:         168
        .size:           8
        .value_kind:     hidden_global_offset_x
      - .offset:         176
        .size:           8
        .value_kind:     hidden_global_offset_y
      - .offset:         184
        .size:           8
        .value_kind:     hidden_global_offset_z
      - .offset:         192
        .size:           2
        .value_kind:     hidden_grid_dims
      - .offset:         248
        .size:           4
        .value_kind:     hidden_dynamic_lds_size
    .group_segment_fixed_size: 256
    .kernarg_segment_align: 8
    .kernarg_segment_size: 384
    .language:       OpenCL C
    .language_version:
      - 2
      - 0
    .max_flat_workgroup_size: 1024
    .name:           _ZN4vllm25paged_attention_v1_kernelI14__hip_bfloat16hLi120ELi16ELi128ELNS_18Fp8KVCacheDataTypeE1ELb1EEEvPT_PKS3_PKT0_S9_ifPKiSB_iPKfiiiSD_SD_iiiii
    .private_segment_fixed_size: 0
    .sgpr_count:     58
    .sgpr_spill_count: 0
    .symbol:         _ZN4vllm25paged_attention_v1_kernelI14__hip_bfloat16hLi120ELi16ELi128ELNS_18Fp8KVCacheDataTypeE1ELb1EEEvPT_PKS3_PKT0_S9_ifPKiSB_iPKfiiiSD_SD_iiiii.kd
    .uniform_work_group_size: 1
    .uses_dynamic_stack: false
    .vgpr_count:     83
    .vgpr_spill_count: 0
    .wavefront_size: 64
  - .agpr_count:     0
    .args:
      - .actual_access:  write_only
        .address_space:  global
        .offset:         0
        .size:           8
        .value_kind:     global_buffer
      - .actual_access:  read_only
        .address_space:  global
        .offset:         8
        .size:           8
        .value_kind:     global_buffer
      - .actual_access:  read_only
        .address_space:  global
        .offset:         16
        .size:           8
        .value_kind:     global_buffer
      - .actual_access:  read_only
        .address_space:  global
        .offset:         24
        .size:           8
        .value_kind:     global_buffer
      - .offset:         32
        .size:           4
        .value_kind:     by_value
      - .offset:         36
        .size:           4
        .value_kind:     by_value
      - .actual_access:  read_only
        .address_space:  global
        .offset:         40
        .size:           8
        .value_kind:     global_buffer
      - .actual_access:  read_only
        .address_space:  global
        .offset:         48
        .size:           8
        .value_kind:     global_buffer
      - .offset:         56
        .size:           4
        .value_kind:     by_value
      - .actual_access:  read_only
        .address_space:  global
        .offset:         64
        .size:           8
        .value_kind:     global_buffer
      - .offset:         72
        .size:           4
        .value_kind:     by_value
      - .offset:         76
        .size:           4
        .value_kind:     by_value
      - .offset:         80
        .size:           4
        .value_kind:     by_value
      - .address_space:  global
        .offset:         88
        .size:           8
        .value_kind:     global_buffer
      - .address_space:  global
        .offset:         96
        .size:           8
        .value_kind:     global_buffer
      - .offset:         104
        .size:           4
        .value_kind:     by_value
      - .offset:         108
        .size:           4
        .value_kind:     by_value
      - .offset:         112
        .size:           4
        .value_kind:     by_value
      - .offset:         116
        .size:           4
        .value_kind:     by_value
      - .offset:         120
        .size:           4
        .value_kind:     by_value
      - .offset:         128
        .size:           4
        .value_kind:     hidden_block_count_x
      - .offset:         132
        .size:           4
        .value_kind:     hidden_block_count_y
      - .offset:         136
        .size:           4
        .value_kind:     hidden_block_count_z
      - .offset:         140
        .size:           2
        .value_kind:     hidden_group_size_x
      - .offset:         142
        .size:           2
        .value_kind:     hidden_group_size_y
      - .offset:         144
        .size:           2
        .value_kind:     hidden_group_size_z
      - .offset:         146
        .size:           2
        .value_kind:     hidden_remainder_x
      - .offset:         148
        .size:           2
        .value_kind:     hidden_remainder_y
      - .offset:         150
        .size:           2
        .value_kind:     hidden_remainder_z
      - .offset:         168
        .size:           8
        .value_kind:     hidden_global_offset_x
      - .offset:         176
        .size:           8
        .value_kind:     hidden_global_offset_y
      - .offset:         184
        .size:           8
        .value_kind:     hidden_global_offset_z
      - .offset:         192
        .size:           2
        .value_kind:     hidden_grid_dims
      - .offset:         248
        .size:           4
        .value_kind:     hidden_dynamic_lds_size
    .group_segment_fixed_size: 272
    .kernarg_segment_align: 8
    .kernarg_segment_size: 384
    .language:       OpenCL C
    .language_version:
      - 2
      - 0
    .max_flat_workgroup_size: 1024
    .name:           _ZN4vllm25paged_attention_v1_kernelI14__hip_bfloat16hLi128ELi16ELi128ELNS_18Fp8KVCacheDataTypeE1ELb1EEEvPT_PKS3_PKT0_S9_ifPKiSB_iPKfiiiSD_SD_iiiii
    .private_segment_fixed_size: 0
    .sgpr_count:     60
    .sgpr_spill_count: 0
    .symbol:         _ZN4vllm25paged_attention_v1_kernelI14__hip_bfloat16hLi128ELi16ELi128ELNS_18Fp8KVCacheDataTypeE1ELb1EEEvPT_PKS3_PKT0_S9_ifPKiSB_iPKfiiiSD_SD_iiiii.kd
    .uniform_work_group_size: 1
    .uses_dynamic_stack: false
    .vgpr_count:     87
    .vgpr_spill_count: 0
    .wavefront_size: 64
  - .agpr_count:     0
    .args:
      - .actual_access:  write_only
        .address_space:  global
        .offset:         0
        .size:           8
        .value_kind:     global_buffer
      - .actual_access:  read_only
        .address_space:  global
        .offset:         8
        .size:           8
        .value_kind:     global_buffer
      - .actual_access:  read_only
        .address_space:  global
        .offset:         16
        .size:           8
        .value_kind:     global_buffer
      - .actual_access:  read_only
        .address_space:  global
        .offset:         24
        .size:           8
        .value_kind:     global_buffer
      - .offset:         32
        .size:           4
        .value_kind:     by_value
      - .offset:         36
        .size:           4
        .value_kind:     by_value
      - .actual_access:  read_only
        .address_space:  global
        .offset:         40
        .size:           8
        .value_kind:     global_buffer
      - .actual_access:  read_only
        .address_space:  global
        .offset:         48
        .size:           8
        .value_kind:     global_buffer
      - .offset:         56
        .size:           4
        .value_kind:     by_value
      - .actual_access:  read_only
        .address_space:  global
        .offset:         64
        .size:           8
        .value_kind:     global_buffer
      - .offset:         72
        .size:           4
        .value_kind:     by_value
      - .offset:         76
        .size:           4
        .value_kind:     by_value
      - .offset:         80
        .size:           4
        .value_kind:     by_value
      - .address_space:  global
        .offset:         88
        .size:           8
        .value_kind:     global_buffer
      - .address_space:  global
        .offset:         96
        .size:           8
        .value_kind:     global_buffer
      - .offset:         104
        .size:           4
        .value_kind:     by_value
      - .offset:         108
        .size:           4
        .value_kind:     by_value
      - .offset:         112
        .size:           4
        .value_kind:     by_value
      - .offset:         116
        .size:           4
        .value_kind:     by_value
      - .offset:         120
        .size:           4
        .value_kind:     by_value
      - .offset:         128
        .size:           4
        .value_kind:     hidden_block_count_x
      - .offset:         132
        .size:           4
        .value_kind:     hidden_block_count_y
      - .offset:         136
        .size:           4
        .value_kind:     hidden_block_count_z
      - .offset:         140
        .size:           2
        .value_kind:     hidden_group_size_x
      - .offset:         142
        .size:           2
        .value_kind:     hidden_group_size_y
      - .offset:         144
        .size:           2
        .value_kind:     hidden_group_size_z
      - .offset:         146
        .size:           2
        .value_kind:     hidden_remainder_x
      - .offset:         148
        .size:           2
        .value_kind:     hidden_remainder_y
      - .offset:         150
        .size:           2
        .value_kind:     hidden_remainder_z
      - .offset:         168
        .size:           8
        .value_kind:     hidden_global_offset_x
      - .offset:         176
        .size:           8
        .value_kind:     hidden_global_offset_y
      - .offset:         184
        .size:           8
        .value_kind:     hidden_global_offset_z
      - .offset:         192
        .size:           2
        .value_kind:     hidden_grid_dims
      - .offset:         248
        .size:           4
        .value_kind:     hidden_dynamic_lds_size
    .group_segment_fixed_size: 400
    .kernarg_segment_align: 8
    .kernarg_segment_size: 384
    .language:       OpenCL C
    .language_version:
      - 2
      - 0
    .max_flat_workgroup_size: 1024
    .name:           _ZN4vllm25paged_attention_v1_kernelI14__hip_bfloat16hLi192ELi16ELi128ELNS_18Fp8KVCacheDataTypeE1ELb1EEEvPT_PKS3_PKT0_S9_ifPKiSB_iPKfiiiSD_SD_iiiii
    .private_segment_fixed_size: 0
    .sgpr_count:     58
    .sgpr_spill_count: 0
    .symbol:         _ZN4vllm25paged_attention_v1_kernelI14__hip_bfloat16hLi192ELi16ELi128ELNS_18Fp8KVCacheDataTypeE1ELb1EEEvPT_PKS3_PKT0_S9_ifPKiSB_iPKfiiiSD_SD_iiiii.kd
    .uniform_work_group_size: 1
    .uses_dynamic_stack: false
    .vgpr_count:     117
    .vgpr_spill_count: 0
    .wavefront_size: 64
  - .agpr_count:     64
    .args:
      - .actual_access:  write_only
        .address_space:  global
        .offset:         0
        .size:           8
        .value_kind:     global_buffer
      - .actual_access:  read_only
        .address_space:  global
        .offset:         8
        .size:           8
        .value_kind:     global_buffer
      - .actual_access:  read_only
        .address_space:  global
        .offset:         16
        .size:           8
        .value_kind:     global_buffer
      - .actual_access:  read_only
        .address_space:  global
        .offset:         24
        .size:           8
        .value_kind:     global_buffer
      - .offset:         32
        .size:           4
        .value_kind:     by_value
      - .offset:         36
        .size:           4
        .value_kind:     by_value
      - .actual_access:  read_only
        .address_space:  global
        .offset:         40
        .size:           8
        .value_kind:     global_buffer
      - .actual_access:  read_only
        .address_space:  global
        .offset:         48
        .size:           8
        .value_kind:     global_buffer
      - .offset:         56
        .size:           4
        .value_kind:     by_value
      - .address_space:  global
        .offset:         64
        .size:           8
        .value_kind:     global_buffer
      - .offset:         72
        .size:           4
        .value_kind:     by_value
      - .offset:         76
        .size:           4
        .value_kind:     by_value
      - .offset:         80
        .size:           4
        .value_kind:     by_value
      - .address_space:  global
        .offset:         88
        .size:           8
        .value_kind:     global_buffer
      - .address_space:  global
        .offset:         96
        .size:           8
        .value_kind:     global_buffer
      - .offset:         104
        .size:           4
        .value_kind:     by_value
      - .offset:         108
        .size:           4
        .value_kind:     by_value
      - .offset:         112
        .size:           4
        .value_kind:     by_value
      - .offset:         116
        .size:           4
        .value_kind:     by_value
      - .offset:         120
        .size:           4
        .value_kind:     by_value
      - .offset:         128
        .size:           4
        .value_kind:     hidden_block_count_x
      - .offset:         132
        .size:           4
        .value_kind:     hidden_block_count_y
      - .offset:         136
        .size:           4
        .value_kind:     hidden_block_count_z
      - .offset:         140
        .size:           2
        .value_kind:     hidden_group_size_x
      - .offset:         142
        .size:           2
        .value_kind:     hidden_group_size_y
      - .offset:         144
        .size:           2
        .value_kind:     hidden_group_size_z
      - .offset:         146
        .size:           2
        .value_kind:     hidden_remainder_x
      - .offset:         148
        .size:           2
        .value_kind:     hidden_remainder_y
      - .offset:         150
        .size:           2
        .value_kind:     hidden_remainder_z
      - .offset:         168
        .size:           8
        .value_kind:     hidden_global_offset_x
      - .offset:         176
        .size:           8
        .value_kind:     hidden_global_offset_y
      - .offset:         184
        .size:           8
        .value_kind:     hidden_global_offset_z
      - .offset:         192
        .size:           2
        .value_kind:     hidden_grid_dims
      - .offset:         248
        .size:           4
        .value_kind:     hidden_dynamic_lds_size
    .group_segment_fixed_size: 528
    .kernarg_segment_align: 8
    .kernarg_segment_size: 384
    .language:       OpenCL C
    .language_version:
      - 2
      - 0
    .max_flat_workgroup_size: 1024
    .name:           _ZN4vllm25paged_attention_v1_kernelI14__hip_bfloat16hLi256ELi16ELi128ELNS_18Fp8KVCacheDataTypeE1ELb1EEEvPT_PKS3_PKT0_S9_ifPKiSB_iPKfiiiSD_SD_iiiii
    .private_segment_fixed_size: 360
    .sgpr_count:     50
    .sgpr_spill_count: 0
    .symbol:         _ZN4vllm25paged_attention_v1_kernelI14__hip_bfloat16hLi256ELi16ELi128ELNS_18Fp8KVCacheDataTypeE1ELb1EEEvPT_PKS3_PKT0_S9_ifPKiSB_iPKfiiiSD_SD_iiiii.kd
    .uniform_work_group_size: 1
    .uses_dynamic_stack: false
    .vgpr_count:     128
    .vgpr_spill_count: 0
    .wavefront_size: 64
  - .agpr_count:     0
    .args:
      - .actual_access:  write_only
        .address_space:  global
        .offset:         0
        .size:           8
        .value_kind:     global_buffer
      - .actual_access:  read_only
        .address_space:  global
        .offset:         8
        .size:           8
        .value_kind:     global_buffer
      - .actual_access:  read_only
        .address_space:  global
        .offset:         16
        .size:           8
        .value_kind:     global_buffer
      - .actual_access:  read_only
        .address_space:  global
        .offset:         24
        .size:           8
        .value_kind:     global_buffer
      - .offset:         32
        .size:           4
        .value_kind:     by_value
      - .offset:         36
        .size:           4
        .value_kind:     by_value
      - .actual_access:  read_only
        .address_space:  global
        .offset:         40
        .size:           8
        .value_kind:     global_buffer
      - .actual_access:  read_only
        .address_space:  global
        .offset:         48
        .size:           8
        .value_kind:     global_buffer
      - .offset:         56
        .size:           4
        .value_kind:     by_value
      - .actual_access:  read_only
        .address_space:  global
        .offset:         64
        .size:           8
        .value_kind:     global_buffer
      - .offset:         72
        .size:           4
        .value_kind:     by_value
      - .offset:         76
        .size:           4
        .value_kind:     by_value
      - .offset:         80
        .size:           4
        .value_kind:     by_value
      - .address_space:  global
        .offset:         88
        .size:           8
        .value_kind:     global_buffer
      - .address_space:  global
        .offset:         96
        .size:           8
        .value_kind:     global_buffer
      - .offset:         104
        .size:           4
        .value_kind:     by_value
      - .offset:         108
        .size:           4
        .value_kind:     by_value
      - .offset:         112
        .size:           4
        .value_kind:     by_value
      - .offset:         116
        .size:           4
        .value_kind:     by_value
      - .offset:         120
        .size:           4
        .value_kind:     by_value
      - .offset:         128
        .size:           4
        .value_kind:     hidden_block_count_x
      - .offset:         132
        .size:           4
        .value_kind:     hidden_block_count_y
      - .offset:         136
        .size:           4
        .value_kind:     hidden_block_count_z
      - .offset:         140
        .size:           2
        .value_kind:     hidden_group_size_x
      - .offset:         142
        .size:           2
        .value_kind:     hidden_group_size_y
      - .offset:         144
        .size:           2
        .value_kind:     hidden_group_size_z
      - .offset:         146
        .size:           2
        .value_kind:     hidden_remainder_x
      - .offset:         148
        .size:           2
        .value_kind:     hidden_remainder_y
      - .offset:         150
        .size:           2
        .value_kind:     hidden_remainder_z
      - .offset:         168
        .size:           8
        .value_kind:     hidden_global_offset_x
      - .offset:         176
        .size:           8
        .value_kind:     hidden_global_offset_y
      - .offset:         184
        .size:           8
        .value_kind:     hidden_global_offset_z
      - .offset:         192
        .size:           2
        .value_kind:     hidden_grid_dims
      - .offset:         248
        .size:           4
        .value_kind:     hidden_dynamic_lds_size
    .group_segment_fixed_size: 80
    .kernarg_segment_align: 8
    .kernarg_segment_size: 384
    .language:       OpenCL C
    .language_version:
      - 2
      - 0
    .max_flat_workgroup_size: 1024
    .name:           _ZN4vllm25paged_attention_v1_kernelI14__hip_bfloat16hLi32ELi16ELi128ELNS_18Fp8KVCacheDataTypeE1ELb0EEEvPT_PKS3_PKT0_S9_ifPKiSB_iPKfiiiSD_SD_iiiii
    .private_segment_fixed_size: 0
    .sgpr_count:     46
    .sgpr_spill_count: 0
    .symbol:         _ZN4vllm25paged_attention_v1_kernelI14__hip_bfloat16hLi32ELi16ELi128ELNS_18Fp8KVCacheDataTypeE1ELb0EEEvPT_PKS3_PKT0_S9_ifPKiSB_iPKfiiiSD_SD_iiiii.kd
    .uniform_work_group_size: 1
    .uses_dynamic_stack: false
    .vgpr_count:     34
    .vgpr_spill_count: 0
    .wavefront_size: 64
  - .agpr_count:     0
    .args:
      - .actual_access:  write_only
        .address_space:  global
        .offset:         0
        .size:           8
        .value_kind:     global_buffer
      - .actual_access:  read_only
        .address_space:  global
        .offset:         8
        .size:           8
        .value_kind:     global_buffer
      - .actual_access:  read_only
        .address_space:  global
        .offset:         16
        .size:           8
        .value_kind:     global_buffer
      - .actual_access:  read_only
        .address_space:  global
        .offset:         24
        .size:           8
        .value_kind:     global_buffer
      - .offset:         32
        .size:           4
        .value_kind:     by_value
      - .offset:         36
        .size:           4
        .value_kind:     by_value
      - .actual_access:  read_only
        .address_space:  global
        .offset:         40
        .size:           8
        .value_kind:     global_buffer
      - .actual_access:  read_only
        .address_space:  global
        .offset:         48
        .size:           8
        .value_kind:     global_buffer
      - .offset:         56
        .size:           4
        .value_kind:     by_value
      - .actual_access:  read_only
        .address_space:  global
        .offset:         64
        .size:           8
        .value_kind:     global_buffer
      - .offset:         72
        .size:           4
        .value_kind:     by_value
      - .offset:         76
        .size:           4
        .value_kind:     by_value
      - .offset:         80
        .size:           4
        .value_kind:     by_value
      - .address_space:  global
        .offset:         88
        .size:           8
        .value_kind:     global_buffer
      - .address_space:  global
        .offset:         96
        .size:           8
        .value_kind:     global_buffer
      - .offset:         104
        .size:           4
        .value_kind:     by_value
      - .offset:         108
        .size:           4
        .value_kind:     by_value
      - .offset:         112
        .size:           4
        .value_kind:     by_value
      - .offset:         116
        .size:           4
        .value_kind:     by_value
      - .offset:         120
        .size:           4
        .value_kind:     by_value
      - .offset:         128
        .size:           4
        .value_kind:     hidden_block_count_x
      - .offset:         132
        .size:           4
        .value_kind:     hidden_block_count_y
      - .offset:         136
        .size:           4
        .value_kind:     hidden_block_count_z
      - .offset:         140
        .size:           2
        .value_kind:     hidden_group_size_x
      - .offset:         142
        .size:           2
        .value_kind:     hidden_group_size_y
      - .offset:         144
        .size:           2
        .value_kind:     hidden_group_size_z
      - .offset:         146
        .size:           2
        .value_kind:     hidden_remainder_x
      - .offset:         148
        .size:           2
        .value_kind:     hidden_remainder_y
      - .offset:         150
        .size:           2
        .value_kind:     hidden_remainder_z
      - .offset:         168
        .size:           8
        .value_kind:     hidden_global_offset_x
      - .offset:         176
        .size:           8
        .value_kind:     hidden_global_offset_y
      - .offset:         184
        .size:           8
        .value_kind:     hidden_global_offset_z
      - .offset:         192
        .size:           2
        .value_kind:     hidden_grid_dims
      - .offset:         248
        .size:           4
        .value_kind:     hidden_dynamic_lds_size
    .group_segment_fixed_size: 144
    .kernarg_segment_align: 8
    .kernarg_segment_size: 384
    .language:       OpenCL C
    .language_version:
      - 2
      - 0
    .max_flat_workgroup_size: 1024
    .name:           _ZN4vllm25paged_attention_v1_kernelI14__hip_bfloat16hLi64ELi16ELi128ELNS_18Fp8KVCacheDataTypeE1ELb0EEEvPT_PKS3_PKT0_S9_ifPKiSB_iPKfiiiSD_SD_iiiii
    .private_segment_fixed_size: 0
    .sgpr_count:     46
    .sgpr_spill_count: 0
    .symbol:         _ZN4vllm25paged_attention_v1_kernelI14__hip_bfloat16hLi64ELi16ELi128ELNS_18Fp8KVCacheDataTypeE1ELb0EEEvPT_PKS3_PKT0_S9_ifPKiSB_iPKfiiiSD_SD_iiiii.kd
    .uniform_work_group_size: 1
    .uses_dynamic_stack: false
    .vgpr_count:     50
    .vgpr_spill_count: 0
    .wavefront_size: 64
  - .agpr_count:     0
    .args:
      - .actual_access:  write_only
        .address_space:  global
        .offset:         0
        .size:           8
        .value_kind:     global_buffer
      - .actual_access:  read_only
        .address_space:  global
        .offset:         8
        .size:           8
        .value_kind:     global_buffer
      - .actual_access:  read_only
        .address_space:  global
        .offset:         16
        .size:           8
        .value_kind:     global_buffer
      - .actual_access:  read_only
        .address_space:  global
        .offset:         24
        .size:           8
        .value_kind:     global_buffer
      - .offset:         32
        .size:           4
        .value_kind:     by_value
      - .offset:         36
        .size:           4
        .value_kind:     by_value
      - .actual_access:  read_only
        .address_space:  global
        .offset:         40
        .size:           8
        .value_kind:     global_buffer
      - .actual_access:  read_only
        .address_space:  global
        .offset:         48
        .size:           8
        .value_kind:     global_buffer
      - .offset:         56
        .size:           4
        .value_kind:     by_value
      - .actual_access:  read_only
        .address_space:  global
        .offset:         64
        .size:           8
        .value_kind:     global_buffer
      - .offset:         72
        .size:           4
        .value_kind:     by_value
      - .offset:         76
        .size:           4
        .value_kind:     by_value
      - .offset:         80
        .size:           4
        .value_kind:     by_value
      - .address_space:  global
        .offset:         88
        .size:           8
        .value_kind:     global_buffer
      - .address_space:  global
        .offset:         96
        .size:           8
        .value_kind:     global_buffer
      - .offset:         104
        .size:           4
        .value_kind:     by_value
      - .offset:         108
        .size:           4
        .value_kind:     by_value
      - .offset:         112
        .size:           4
        .value_kind:     by_value
      - .offset:         116
        .size:           4
        .value_kind:     by_value
      - .offset:         120
        .size:           4
        .value_kind:     by_value
      - .offset:         128
        .size:           4
        .value_kind:     hidden_block_count_x
      - .offset:         132
        .size:           4
        .value_kind:     hidden_block_count_y
      - .offset:         136
        .size:           4
        .value_kind:     hidden_block_count_z
      - .offset:         140
        .size:           2
        .value_kind:     hidden_group_size_x
      - .offset:         142
        .size:           2
        .value_kind:     hidden_group_size_y
      - .offset:         144
        .size:           2
        .value_kind:     hidden_group_size_z
      - .offset:         146
        .size:           2
        .value_kind:     hidden_remainder_x
      - .offset:         148
        .size:           2
        .value_kind:     hidden_remainder_y
      - .offset:         150
        .size:           2
        .value_kind:     hidden_remainder_z
      - .offset:         168
        .size:           8
        .value_kind:     hidden_global_offset_x
      - .offset:         176
        .size:           8
        .value_kind:     hidden_global_offset_y
      - .offset:         184
        .size:           8
        .value_kind:     hidden_global_offset_z
      - .offset:         192
        .size:           2
        .value_kind:     hidden_grid_dims
      - .offset:         248
        .size:           4
        .value_kind:     hidden_dynamic_lds_size
    .group_segment_fixed_size: 176
    .kernarg_segment_align: 8
    .kernarg_segment_size: 384
    .language:       OpenCL C
    .language_version:
      - 2
      - 0
    .max_flat_workgroup_size: 1024
    .name:           _ZN4vllm25paged_attention_v1_kernelI14__hip_bfloat16hLi80ELi16ELi128ELNS_18Fp8KVCacheDataTypeE1ELb0EEEvPT_PKS3_PKT0_S9_ifPKiSB_iPKfiiiSD_SD_iiiii
    .private_segment_fixed_size: 0
    .sgpr_count:     46
    .sgpr_spill_count: 0
    .symbol:         _ZN4vllm25paged_attention_v1_kernelI14__hip_bfloat16hLi80ELi16ELi128ELNS_18Fp8KVCacheDataTypeE1ELb0EEEvPT_PKS3_PKT0_S9_ifPKiSB_iPKfiiiSD_SD_iiiii.kd
    .uniform_work_group_size: 1
    .uses_dynamic_stack: false
    .vgpr_count:     58
    .vgpr_spill_count: 0
    .wavefront_size: 64
  - .agpr_count:     0
    .args:
      - .actual_access:  write_only
        .address_space:  global
        .offset:         0
        .size:           8
        .value_kind:     global_buffer
      - .actual_access:  read_only
        .address_space:  global
        .offset:         8
        .size:           8
        .value_kind:     global_buffer
      - .actual_access:  read_only
        .address_space:  global
        .offset:         16
        .size:           8
        .value_kind:     global_buffer
      - .actual_access:  read_only
        .address_space:  global
        .offset:         24
        .size:           8
        .value_kind:     global_buffer
      - .offset:         32
        .size:           4
        .value_kind:     by_value
      - .offset:         36
        .size:           4
        .value_kind:     by_value
      - .actual_access:  read_only
        .address_space:  global
        .offset:         40
        .size:           8
        .value_kind:     global_buffer
      - .actual_access:  read_only
        .address_space:  global
        .offset:         48
        .size:           8
        .value_kind:     global_buffer
      - .offset:         56
        .size:           4
        .value_kind:     by_value
      - .actual_access:  read_only
        .address_space:  global
        .offset:         64
        .size:           8
        .value_kind:     global_buffer
      - .offset:         72
        .size:           4
        .value_kind:     by_value
      - .offset:         76
        .size:           4
        .value_kind:     by_value
      - .offset:         80
        .size:           4
        .value_kind:     by_value
      - .address_space:  global
        .offset:         88
        .size:           8
        .value_kind:     global_buffer
      - .address_space:  global
        .offset:         96
        .size:           8
        .value_kind:     global_buffer
      - .offset:         104
        .size:           4
        .value_kind:     by_value
      - .offset:         108
        .size:           4
        .value_kind:     by_value
      - .offset:         112
        .size:           4
        .value_kind:     by_value
      - .offset:         116
        .size:           4
        .value_kind:     by_value
      - .offset:         120
        .size:           4
        .value_kind:     by_value
      - .offset:         128
        .size:           4
        .value_kind:     hidden_block_count_x
      - .offset:         132
        .size:           4
        .value_kind:     hidden_block_count_y
      - .offset:         136
        .size:           4
        .value_kind:     hidden_block_count_z
      - .offset:         140
        .size:           2
        .value_kind:     hidden_group_size_x
      - .offset:         142
        .size:           2
        .value_kind:     hidden_group_size_y
      - .offset:         144
        .size:           2
        .value_kind:     hidden_group_size_z
      - .offset:         146
        .size:           2
        .value_kind:     hidden_remainder_x
      - .offset:         148
        .size:           2
        .value_kind:     hidden_remainder_y
      - .offset:         150
        .size:           2
        .value_kind:     hidden_remainder_z
      - .offset:         168
        .size:           8
        .value_kind:     hidden_global_offset_x
      - .offset:         176
        .size:           8
        .value_kind:     hidden_global_offset_y
      - .offset:         184
        .size:           8
        .value_kind:     hidden_global_offset_z
      - .offset:         192
        .size:           2
        .value_kind:     hidden_grid_dims
      - .offset:         248
        .size:           4
        .value_kind:     hidden_dynamic_lds_size
    .group_segment_fixed_size: 208
    .kernarg_segment_align: 8
    .kernarg_segment_size: 384
    .language:       OpenCL C
    .language_version:
      - 2
      - 0
    .max_flat_workgroup_size: 1024
    .name:           _ZN4vllm25paged_attention_v1_kernelI14__hip_bfloat16hLi96ELi16ELi128ELNS_18Fp8KVCacheDataTypeE1ELb0EEEvPT_PKS3_PKT0_S9_ifPKiSB_iPKfiiiSD_SD_iiiii
    .private_segment_fixed_size: 0
    .sgpr_count:     46
    .sgpr_spill_count: 0
    .symbol:         _ZN4vllm25paged_attention_v1_kernelI14__hip_bfloat16hLi96ELi16ELi128ELNS_18Fp8KVCacheDataTypeE1ELb0EEEvPT_PKS3_PKT0_S9_ifPKiSB_iPKfiiiSD_SD_iiiii.kd
    .uniform_work_group_size: 1
    .uses_dynamic_stack: false
    .vgpr_count:     66
    .vgpr_spill_count: 0
    .wavefront_size: 64
  - .agpr_count:     0
    .args:
      - .actual_access:  write_only
        .address_space:  global
        .offset:         0
        .size:           8
        .value_kind:     global_buffer
      - .actual_access:  read_only
        .address_space:  global
        .offset:         8
        .size:           8
        .value_kind:     global_buffer
      - .actual_access:  read_only
        .address_space:  global
        .offset:         16
        .size:           8
        .value_kind:     global_buffer
      - .actual_access:  read_only
        .address_space:  global
        .offset:         24
        .size:           8
        .value_kind:     global_buffer
      - .offset:         32
        .size:           4
        .value_kind:     by_value
      - .offset:         36
        .size:           4
        .value_kind:     by_value
      - .actual_access:  read_only
        .address_space:  global
        .offset:         40
        .size:           8
        .value_kind:     global_buffer
      - .actual_access:  read_only
        .address_space:  global
        .offset:         48
        .size:           8
        .value_kind:     global_buffer
      - .offset:         56
        .size:           4
        .value_kind:     by_value
      - .actual_access:  read_only
        .address_space:  global
        .offset:         64
        .size:           8
        .value_kind:     global_buffer
      - .offset:         72
        .size:           4
        .value_kind:     by_value
      - .offset:         76
        .size:           4
        .value_kind:     by_value
      - .offset:         80
        .size:           4
        .value_kind:     by_value
      - .address_space:  global
        .offset:         88
        .size:           8
        .value_kind:     global_buffer
      - .address_space:  global
        .offset:         96
        .size:           8
        .value_kind:     global_buffer
      - .offset:         104
        .size:           4
        .value_kind:     by_value
      - .offset:         108
        .size:           4
        .value_kind:     by_value
      - .offset:         112
        .size:           4
        .value_kind:     by_value
      - .offset:         116
        .size:           4
        .value_kind:     by_value
      - .offset:         120
        .size:           4
        .value_kind:     by_value
      - .offset:         128
        .size:           4
        .value_kind:     hidden_block_count_x
      - .offset:         132
        .size:           4
        .value_kind:     hidden_block_count_y
      - .offset:         136
        .size:           4
        .value_kind:     hidden_block_count_z
      - .offset:         140
        .size:           2
        .value_kind:     hidden_group_size_x
      - .offset:         142
        .size:           2
        .value_kind:     hidden_group_size_y
      - .offset:         144
        .size:           2
        .value_kind:     hidden_group_size_z
      - .offset:         146
        .size:           2
        .value_kind:     hidden_remainder_x
      - .offset:         148
        .size:           2
        .value_kind:     hidden_remainder_y
      - .offset:         150
        .size:           2
        .value_kind:     hidden_remainder_z
      - .offset:         168
        .size:           8
        .value_kind:     hidden_global_offset_x
      - .offset:         176
        .size:           8
        .value_kind:     hidden_global_offset_y
      - .offset:         184
        .size:           8
        .value_kind:     hidden_global_offset_z
      - .offset:         192
        .size:           2
        .value_kind:     hidden_grid_dims
      - .offset:         248
        .size:           4
        .value_kind:     hidden_dynamic_lds_size
    .group_segment_fixed_size: 240
    .kernarg_segment_align: 8
    .kernarg_segment_size: 384
    .language:       OpenCL C
    .language_version:
      - 2
      - 0
    .max_flat_workgroup_size: 1024
    .name:           _ZN4vllm25paged_attention_v1_kernelI14__hip_bfloat16hLi112ELi16ELi128ELNS_18Fp8KVCacheDataTypeE1ELb0EEEvPT_PKS3_PKT0_S9_ifPKiSB_iPKfiiiSD_SD_iiiii
    .private_segment_fixed_size: 0
    .sgpr_count:     46
    .sgpr_spill_count: 0
    .symbol:         _ZN4vllm25paged_attention_v1_kernelI14__hip_bfloat16hLi112ELi16ELi128ELNS_18Fp8KVCacheDataTypeE1ELb0EEEvPT_PKS3_PKT0_S9_ifPKiSB_iPKfiiiSD_SD_iiiii.kd
    .uniform_work_group_size: 1
    .uses_dynamic_stack: false
    .vgpr_count:     74
    .vgpr_spill_count: 0
    .wavefront_size: 64
  - .agpr_count:     0
    .args:
      - .actual_access:  write_only
        .address_space:  global
        .offset:         0
        .size:           8
        .value_kind:     global_buffer
      - .actual_access:  read_only
        .address_space:  global
        .offset:         8
        .size:           8
        .value_kind:     global_buffer
      - .actual_access:  read_only
        .address_space:  global
        .offset:         16
        .size:           8
        .value_kind:     global_buffer
      - .actual_access:  read_only
        .address_space:  global
        .offset:         24
        .size:           8
        .value_kind:     global_buffer
      - .offset:         32
        .size:           4
        .value_kind:     by_value
      - .offset:         36
        .size:           4
        .value_kind:     by_value
      - .actual_access:  read_only
        .address_space:  global
        .offset:         40
        .size:           8
        .value_kind:     global_buffer
      - .actual_access:  read_only
        .address_space:  global
        .offset:         48
        .size:           8
        .value_kind:     global_buffer
      - .offset:         56
        .size:           4
        .value_kind:     by_value
      - .actual_access:  read_only
        .address_space:  global
        .offset:         64
        .size:           8
        .value_kind:     global_buffer
      - .offset:         72
        .size:           4
        .value_kind:     by_value
      - .offset:         76
        .size:           4
        .value_kind:     by_value
      - .offset:         80
        .size:           4
        .value_kind:     by_value
      - .address_space:  global
        .offset:         88
        .size:           8
        .value_kind:     global_buffer
      - .address_space:  global
        .offset:         96
        .size:           8
        .value_kind:     global_buffer
      - .offset:         104
        .size:           4
        .value_kind:     by_value
      - .offset:         108
        .size:           4
        .value_kind:     by_value
      - .offset:         112
        .size:           4
        .value_kind:     by_value
      - .offset:         116
        .size:           4
        .value_kind:     by_value
      - .offset:         120
        .size:           4
        .value_kind:     by_value
      - .offset:         128
        .size:           4
        .value_kind:     hidden_block_count_x
      - .offset:         132
        .size:           4
        .value_kind:     hidden_block_count_y
      - .offset:         136
        .size:           4
        .value_kind:     hidden_block_count_z
      - .offset:         140
        .size:           2
        .value_kind:     hidden_group_size_x
      - .offset:         142
        .size:           2
        .value_kind:     hidden_group_size_y
      - .offset:         144
        .size:           2
        .value_kind:     hidden_group_size_z
      - .offset:         146
        .size:           2
        .value_kind:     hidden_remainder_x
      - .offset:         148
        .size:           2
        .value_kind:     hidden_remainder_y
      - .offset:         150
        .size:           2
        .value_kind:     hidden_remainder_z
      - .offset:         168
        .size:           8
        .value_kind:     hidden_global_offset_x
      - .offset:         176
        .size:           8
        .value_kind:     hidden_global_offset_y
      - .offset:         184
        .size:           8
        .value_kind:     hidden_global_offset_z
      - .offset:         192
        .size:           2
        .value_kind:     hidden_grid_dims
      - .offset:         248
        .size:           4
        .value_kind:     hidden_dynamic_lds_size
    .group_segment_fixed_size: 256
    .kernarg_segment_align: 8
    .kernarg_segment_size: 384
    .language:       OpenCL C
    .language_version:
      - 2
      - 0
    .max_flat_workgroup_size: 1024
    .name:           _ZN4vllm25paged_attention_v1_kernelI14__hip_bfloat16hLi120ELi16ELi128ELNS_18Fp8KVCacheDataTypeE1ELb0EEEvPT_PKS3_PKT0_S9_ifPKiSB_iPKfiiiSD_SD_iiiii
    .private_segment_fixed_size: 0
    .sgpr_count:     46
    .sgpr_spill_count: 0
    .symbol:         _ZN4vllm25paged_attention_v1_kernelI14__hip_bfloat16hLi120ELi16ELi128ELNS_18Fp8KVCacheDataTypeE1ELb0EEEvPT_PKS3_PKT0_S9_ifPKiSB_iPKfiiiSD_SD_iiiii.kd
    .uniform_work_group_size: 1
    .uses_dynamic_stack: false
    .vgpr_count:     78
    .vgpr_spill_count: 0
    .wavefront_size: 64
  - .agpr_count:     0
    .args:
      - .actual_access:  write_only
        .address_space:  global
        .offset:         0
        .size:           8
        .value_kind:     global_buffer
      - .actual_access:  read_only
        .address_space:  global
        .offset:         8
        .size:           8
        .value_kind:     global_buffer
      - .actual_access:  read_only
        .address_space:  global
        .offset:         16
        .size:           8
        .value_kind:     global_buffer
      - .actual_access:  read_only
        .address_space:  global
        .offset:         24
        .size:           8
        .value_kind:     global_buffer
      - .offset:         32
        .size:           4
        .value_kind:     by_value
      - .offset:         36
        .size:           4
        .value_kind:     by_value
      - .actual_access:  read_only
        .address_space:  global
        .offset:         40
        .size:           8
        .value_kind:     global_buffer
      - .actual_access:  read_only
        .address_space:  global
        .offset:         48
        .size:           8
        .value_kind:     global_buffer
      - .offset:         56
        .size:           4
        .value_kind:     by_value
      - .actual_access:  read_only
        .address_space:  global
        .offset:         64
        .size:           8
        .value_kind:     global_buffer
      - .offset:         72
        .size:           4
        .value_kind:     by_value
      - .offset:         76
        .size:           4
        .value_kind:     by_value
      - .offset:         80
        .size:           4
        .value_kind:     by_value
      - .address_space:  global
        .offset:         88
        .size:           8
        .value_kind:     global_buffer
      - .address_space:  global
        .offset:         96
        .size:           8
        .value_kind:     global_buffer
      - .offset:         104
        .size:           4
        .value_kind:     by_value
      - .offset:         108
        .size:           4
        .value_kind:     by_value
      - .offset:         112
        .size:           4
        .value_kind:     by_value
      - .offset:         116
        .size:           4
        .value_kind:     by_value
      - .offset:         120
        .size:           4
        .value_kind:     by_value
      - .offset:         128
        .size:           4
        .value_kind:     hidden_block_count_x
      - .offset:         132
        .size:           4
        .value_kind:     hidden_block_count_y
      - .offset:         136
        .size:           4
        .value_kind:     hidden_block_count_z
      - .offset:         140
        .size:           2
        .value_kind:     hidden_group_size_x
      - .offset:         142
        .size:           2
        .value_kind:     hidden_group_size_y
      - .offset:         144
        .size:           2
        .value_kind:     hidden_group_size_z
      - .offset:         146
        .size:           2
        .value_kind:     hidden_remainder_x
      - .offset:         148
        .size:           2
        .value_kind:     hidden_remainder_y
      - .offset:         150
        .size:           2
        .value_kind:     hidden_remainder_z
      - .offset:         168
        .size:           8
        .value_kind:     hidden_global_offset_x
      - .offset:         176
        .size:           8
        .value_kind:     hidden_global_offset_y
      - .offset:         184
        .size:           8
        .value_kind:     hidden_global_offset_z
      - .offset:         192
        .size:           2
        .value_kind:     hidden_grid_dims
      - .offset:         248
        .size:           4
        .value_kind:     hidden_dynamic_lds_size
    .group_segment_fixed_size: 272
    .kernarg_segment_align: 8
    .kernarg_segment_size: 384
    .language:       OpenCL C
    .language_version:
      - 2
      - 0
    .max_flat_workgroup_size: 1024
    .name:           _ZN4vllm25paged_attention_v1_kernelI14__hip_bfloat16hLi128ELi16ELi128ELNS_18Fp8KVCacheDataTypeE1ELb0EEEvPT_PKS3_PKT0_S9_ifPKiSB_iPKfiiiSD_SD_iiiii
    .private_segment_fixed_size: 0
    .sgpr_count:     48
    .sgpr_spill_count: 0
    .symbol:         _ZN4vllm25paged_attention_v1_kernelI14__hip_bfloat16hLi128ELi16ELi128ELNS_18Fp8KVCacheDataTypeE1ELb0EEEvPT_PKS3_PKT0_S9_ifPKiSB_iPKfiiiSD_SD_iiiii.kd
    .uniform_work_group_size: 1
    .uses_dynamic_stack: false
    .vgpr_count:     82
    .vgpr_spill_count: 0
    .wavefront_size: 64
  - .agpr_count:     0
    .args:
      - .actual_access:  write_only
        .address_space:  global
        .offset:         0
        .size:           8
        .value_kind:     global_buffer
      - .actual_access:  read_only
        .address_space:  global
        .offset:         8
        .size:           8
        .value_kind:     global_buffer
      - .actual_access:  read_only
        .address_space:  global
        .offset:         16
        .size:           8
        .value_kind:     global_buffer
      - .actual_access:  read_only
        .address_space:  global
        .offset:         24
        .size:           8
        .value_kind:     global_buffer
      - .offset:         32
        .size:           4
        .value_kind:     by_value
      - .offset:         36
        .size:           4
        .value_kind:     by_value
      - .actual_access:  read_only
        .address_space:  global
        .offset:         40
        .size:           8
        .value_kind:     global_buffer
      - .actual_access:  read_only
        .address_space:  global
        .offset:         48
        .size:           8
        .value_kind:     global_buffer
      - .offset:         56
        .size:           4
        .value_kind:     by_value
      - .actual_access:  read_only
        .address_space:  global
        .offset:         64
        .size:           8
        .value_kind:     global_buffer
      - .offset:         72
        .size:           4
        .value_kind:     by_value
      - .offset:         76
        .size:           4
        .value_kind:     by_value
      - .offset:         80
        .size:           4
        .value_kind:     by_value
      - .address_space:  global
        .offset:         88
        .size:           8
        .value_kind:     global_buffer
      - .address_space:  global
        .offset:         96
        .size:           8
        .value_kind:     global_buffer
      - .offset:         104
        .size:           4
        .value_kind:     by_value
      - .offset:         108
        .size:           4
        .value_kind:     by_value
      - .offset:         112
        .size:           4
        .value_kind:     by_value
      - .offset:         116
        .size:           4
        .value_kind:     by_value
      - .offset:         120
        .size:           4
        .value_kind:     by_value
      - .offset:         128
        .size:           4
        .value_kind:     hidden_block_count_x
      - .offset:         132
        .size:           4
        .value_kind:     hidden_block_count_y
      - .offset:         136
        .size:           4
        .value_kind:     hidden_block_count_z
      - .offset:         140
        .size:           2
        .value_kind:     hidden_group_size_x
      - .offset:         142
        .size:           2
        .value_kind:     hidden_group_size_y
      - .offset:         144
        .size:           2
        .value_kind:     hidden_group_size_z
      - .offset:         146
        .size:           2
        .value_kind:     hidden_remainder_x
      - .offset:         148
        .size:           2
        .value_kind:     hidden_remainder_y
      - .offset:         150
        .size:           2
        .value_kind:     hidden_remainder_z
      - .offset:         168
        .size:           8
        .value_kind:     hidden_global_offset_x
      - .offset:         176
        .size:           8
        .value_kind:     hidden_global_offset_y
      - .offset:         184
        .size:           8
        .value_kind:     hidden_global_offset_z
      - .offset:         192
        .size:           2
        .value_kind:     hidden_grid_dims
      - .offset:         248
        .size:           4
        .value_kind:     hidden_dynamic_lds_size
    .group_segment_fixed_size: 400
    .kernarg_segment_align: 8
    .kernarg_segment_size: 384
    .language:       OpenCL C
    .language_version:
      - 2
      - 0
    .max_flat_workgroup_size: 1024
    .name:           _ZN4vllm25paged_attention_v1_kernelI14__hip_bfloat16hLi192ELi16ELi128ELNS_18Fp8KVCacheDataTypeE1ELb0EEEvPT_PKS3_PKT0_S9_ifPKiSB_iPKfiiiSD_SD_iiiii
    .private_segment_fixed_size: 0
    .sgpr_count:     46
    .sgpr_spill_count: 0
    .symbol:         _ZN4vllm25paged_attention_v1_kernelI14__hip_bfloat16hLi192ELi16ELi128ELNS_18Fp8KVCacheDataTypeE1ELb0EEEvPT_PKS3_PKT0_S9_ifPKiSB_iPKfiiiSD_SD_iiiii.kd
    .uniform_work_group_size: 1
    .uses_dynamic_stack: false
    .vgpr_count:     114
    .vgpr_spill_count: 0
    .wavefront_size: 64
  - .agpr_count:     64
    .args:
      - .actual_access:  write_only
        .address_space:  global
        .offset:         0
        .size:           8
        .value_kind:     global_buffer
      - .actual_access:  read_only
        .address_space:  global
        .offset:         8
        .size:           8
        .value_kind:     global_buffer
      - .actual_access:  read_only
        .address_space:  global
        .offset:         16
        .size:           8
        .value_kind:     global_buffer
      - .actual_access:  read_only
        .address_space:  global
        .offset:         24
        .size:           8
        .value_kind:     global_buffer
      - .offset:         32
        .size:           4
        .value_kind:     by_value
      - .offset:         36
        .size:           4
        .value_kind:     by_value
      - .actual_access:  read_only
        .address_space:  global
        .offset:         40
        .size:           8
        .value_kind:     global_buffer
      - .actual_access:  read_only
        .address_space:  global
        .offset:         48
        .size:           8
        .value_kind:     global_buffer
      - .offset:         56
        .size:           4
        .value_kind:     by_value
      - .address_space:  global
        .offset:         64
        .size:           8
        .value_kind:     global_buffer
      - .offset:         72
        .size:           4
        .value_kind:     by_value
      - .offset:         76
        .size:           4
        .value_kind:     by_value
      - .offset:         80
        .size:           4
        .value_kind:     by_value
      - .address_space:  global
        .offset:         88
        .size:           8
        .value_kind:     global_buffer
      - .address_space:  global
        .offset:         96
        .size:           8
        .value_kind:     global_buffer
      - .offset:         104
        .size:           4
        .value_kind:     by_value
      - .offset:         108
        .size:           4
        .value_kind:     by_value
      - .offset:         112
        .size:           4
        .value_kind:     by_value
      - .offset:         116
        .size:           4
        .value_kind:     by_value
      - .offset:         120
        .size:           4
        .value_kind:     by_value
      - .offset:         128
        .size:           4
        .value_kind:     hidden_block_count_x
      - .offset:         132
        .size:           4
        .value_kind:     hidden_block_count_y
      - .offset:         136
        .size:           4
        .value_kind:     hidden_block_count_z
      - .offset:         140
        .size:           2
        .value_kind:     hidden_group_size_x
      - .offset:         142
        .size:           2
        .value_kind:     hidden_group_size_y
      - .offset:         144
        .size:           2
        .value_kind:     hidden_group_size_z
      - .offset:         146
        .size:           2
        .value_kind:     hidden_remainder_x
      - .offset:         148
        .size:           2
        .value_kind:     hidden_remainder_y
      - .offset:         150
        .size:           2
        .value_kind:     hidden_remainder_z
      - .offset:         168
        .size:           8
        .value_kind:     hidden_global_offset_x
      - .offset:         176
        .size:           8
        .value_kind:     hidden_global_offset_y
      - .offset:         184
        .size:           8
        .value_kind:     hidden_global_offset_z
      - .offset:         192
        .size:           2
        .value_kind:     hidden_grid_dims
      - .offset:         248
        .size:           4
        .value_kind:     hidden_dynamic_lds_size
    .group_segment_fixed_size: 528
    .kernarg_segment_align: 8
    .kernarg_segment_size: 384
    .language:       OpenCL C
    .language_version:
      - 2
      - 0
    .max_flat_workgroup_size: 1024
    .name:           _ZN4vllm25paged_attention_v1_kernelI14__hip_bfloat16hLi256ELi16ELi128ELNS_18Fp8KVCacheDataTypeE1ELb0EEEvPT_PKS3_PKT0_S9_ifPKiSB_iPKfiiiSD_SD_iiiii
    .private_segment_fixed_size: 348
    .sgpr_count:     46
    .sgpr_spill_count: 0
    .symbol:         _ZN4vllm25paged_attention_v1_kernelI14__hip_bfloat16hLi256ELi16ELi128ELNS_18Fp8KVCacheDataTypeE1ELb0EEEvPT_PKS3_PKT0_S9_ifPKiSB_iPKfiiiSD_SD_iiiii.kd
    .uniform_work_group_size: 1
    .uses_dynamic_stack: false
    .vgpr_count:     128
    .vgpr_spill_count: 0
    .wavefront_size: 64
  - .agpr_count:     0
    .args:
      - .actual_access:  write_only
        .address_space:  global
        .offset:         0
        .size:           8
        .value_kind:     global_buffer
      - .actual_access:  read_only
        .address_space:  global
        .offset:         8
        .size:           8
        .value_kind:     global_buffer
      - .actual_access:  read_only
        .address_space:  global
        .offset:         16
        .size:           8
        .value_kind:     global_buffer
      - .actual_access:  read_only
        .address_space:  global
        .offset:         24
        .size:           8
        .value_kind:     global_buffer
      - .offset:         32
        .size:           4
        .value_kind:     by_value
      - .offset:         36
        .size:           4
        .value_kind:     by_value
      - .actual_access:  read_only
        .address_space:  global
        .offset:         40
        .size:           8
        .value_kind:     global_buffer
      - .actual_access:  read_only
        .address_space:  global
        .offset:         48
        .size:           8
        .value_kind:     global_buffer
      - .offset:         56
        .size:           4
        .value_kind:     by_value
      - .actual_access:  read_only
        .address_space:  global
        .offset:         64
        .size:           8
        .value_kind:     global_buffer
      - .offset:         72
        .size:           4
        .value_kind:     by_value
      - .offset:         76
        .size:           4
        .value_kind:     by_value
      - .offset:         80
        .size:           4
        .value_kind:     by_value
      - .address_space:  global
        .offset:         88
        .size:           8
        .value_kind:     global_buffer
      - .address_space:  global
        .offset:         96
        .size:           8
        .value_kind:     global_buffer
      - .offset:         104
        .size:           4
        .value_kind:     by_value
      - .offset:         108
        .size:           4
        .value_kind:     by_value
      - .offset:         112
        .size:           4
        .value_kind:     by_value
      - .offset:         116
        .size:           4
        .value_kind:     by_value
      - .offset:         120
        .size:           4
        .value_kind:     by_value
      - .offset:         128
        .size:           4
        .value_kind:     hidden_block_count_x
      - .offset:         132
        .size:           4
        .value_kind:     hidden_block_count_y
      - .offset:         136
        .size:           4
        .value_kind:     hidden_block_count_z
      - .offset:         140
        .size:           2
        .value_kind:     hidden_group_size_x
      - .offset:         142
        .size:           2
        .value_kind:     hidden_group_size_y
      - .offset:         144
        .size:           2
        .value_kind:     hidden_group_size_z
      - .offset:         146
        .size:           2
        .value_kind:     hidden_remainder_x
      - .offset:         148
        .size:           2
        .value_kind:     hidden_remainder_y
      - .offset:         150
        .size:           2
        .value_kind:     hidden_remainder_z
      - .offset:         168
        .size:           8
        .value_kind:     hidden_global_offset_x
      - .offset:         176
        .size:           8
        .value_kind:     hidden_global_offset_y
      - .offset:         184
        .size:           8
        .value_kind:     hidden_global_offset_z
      - .offset:         192
        .size:           2
        .value_kind:     hidden_grid_dims
      - .offset:         248
        .size:           4
        .value_kind:     hidden_dynamic_lds_size
    .group_segment_fixed_size: 80
    .kernarg_segment_align: 8
    .kernarg_segment_size: 384
    .language:       OpenCL C
    .language_version:
      - 2
      - 0
    .max_flat_workgroup_size: 1024
    .name:           _ZN4vllm25paged_attention_v1_kernelI14__hip_bfloat16hLi32ELi32ELi128ELNS_18Fp8KVCacheDataTypeE1ELb1EEEvPT_PKS3_PKT0_S9_ifPKiSB_iPKfiiiSD_SD_iiiii
    .private_segment_fixed_size: 0
    .sgpr_count:     57
    .sgpr_spill_count: 0
    .symbol:         _ZN4vllm25paged_attention_v1_kernelI14__hip_bfloat16hLi32ELi32ELi128ELNS_18Fp8KVCacheDataTypeE1ELb1EEEvPT_PKS3_PKT0_S9_ifPKiSB_iPKfiiiSD_SD_iiiii.kd
    .uniform_work_group_size: 1
    .uses_dynamic_stack: false
    .vgpr_count:     56
    .vgpr_spill_count: 0
    .wavefront_size: 64
  - .agpr_count:     0
    .args:
      - .actual_access:  write_only
        .address_space:  global
        .offset:         0
        .size:           8
        .value_kind:     global_buffer
      - .actual_access:  read_only
        .address_space:  global
        .offset:         8
        .size:           8
        .value_kind:     global_buffer
      - .actual_access:  read_only
        .address_space:  global
        .offset:         16
        .size:           8
        .value_kind:     global_buffer
      - .actual_access:  read_only
        .address_space:  global
        .offset:         24
        .size:           8
        .value_kind:     global_buffer
      - .offset:         32
        .size:           4
        .value_kind:     by_value
      - .offset:         36
        .size:           4
        .value_kind:     by_value
      - .actual_access:  read_only
        .address_space:  global
        .offset:         40
        .size:           8
        .value_kind:     global_buffer
      - .actual_access:  read_only
        .address_space:  global
        .offset:         48
        .size:           8
        .value_kind:     global_buffer
      - .offset:         56
        .size:           4
        .value_kind:     by_value
      - .actual_access:  read_only
        .address_space:  global
        .offset:         64
        .size:           8
        .value_kind:     global_buffer
      - .offset:         72
        .size:           4
        .value_kind:     by_value
      - .offset:         76
        .size:           4
        .value_kind:     by_value
      - .offset:         80
        .size:           4
        .value_kind:     by_value
      - .address_space:  global
        .offset:         88
        .size:           8
        .value_kind:     global_buffer
      - .address_space:  global
        .offset:         96
        .size:           8
        .value_kind:     global_buffer
      - .offset:         104
        .size:           4
        .value_kind:     by_value
      - .offset:         108
        .size:           4
        .value_kind:     by_value
      - .offset:         112
        .size:           4
        .value_kind:     by_value
      - .offset:         116
        .size:           4
        .value_kind:     by_value
      - .offset:         120
        .size:           4
        .value_kind:     by_value
      - .offset:         128
        .size:           4
        .value_kind:     hidden_block_count_x
      - .offset:         132
        .size:           4
        .value_kind:     hidden_block_count_y
      - .offset:         136
        .size:           4
        .value_kind:     hidden_block_count_z
      - .offset:         140
        .size:           2
        .value_kind:     hidden_group_size_x
      - .offset:         142
        .size:           2
        .value_kind:     hidden_group_size_y
      - .offset:         144
        .size:           2
        .value_kind:     hidden_group_size_z
      - .offset:         146
        .size:           2
        .value_kind:     hidden_remainder_x
      - .offset:         148
        .size:           2
        .value_kind:     hidden_remainder_y
      - .offset:         150
        .size:           2
        .value_kind:     hidden_remainder_z
      - .offset:         168
        .size:           8
        .value_kind:     hidden_global_offset_x
      - .offset:         176
        .size:           8
        .value_kind:     hidden_global_offset_y
      - .offset:         184
        .size:           8
        .value_kind:     hidden_global_offset_z
      - .offset:         192
        .size:           2
        .value_kind:     hidden_grid_dims
      - .offset:         248
        .size:           4
        .value_kind:     hidden_dynamic_lds_size
    .group_segment_fixed_size: 144
    .kernarg_segment_align: 8
    .kernarg_segment_size: 384
    .language:       OpenCL C
    .language_version:
      - 2
      - 0
    .max_flat_workgroup_size: 1024
    .name:           _ZN4vllm25paged_attention_v1_kernelI14__hip_bfloat16hLi64ELi32ELi128ELNS_18Fp8KVCacheDataTypeE1ELb1EEEvPT_PKS3_PKT0_S9_ifPKiSB_iPKfiiiSD_SD_iiiii
    .private_segment_fixed_size: 0
    .sgpr_count:     57
    .sgpr_spill_count: 0
    .symbol:         _ZN4vllm25paged_attention_v1_kernelI14__hip_bfloat16hLi64ELi32ELi128ELNS_18Fp8KVCacheDataTypeE1ELb1EEEvPT_PKS3_PKT0_S9_ifPKiSB_iPKfiiiSD_SD_iiiii.kd
    .uniform_work_group_size: 1
    .uses_dynamic_stack: false
    .vgpr_count:     88
    .vgpr_spill_count: 0
    .wavefront_size: 64
  - .agpr_count:     0
    .args:
      - .actual_access:  write_only
        .address_space:  global
        .offset:         0
        .size:           8
        .value_kind:     global_buffer
      - .actual_access:  read_only
        .address_space:  global
        .offset:         8
        .size:           8
        .value_kind:     global_buffer
      - .actual_access:  read_only
        .address_space:  global
        .offset:         16
        .size:           8
        .value_kind:     global_buffer
      - .actual_access:  read_only
        .address_space:  global
        .offset:         24
        .size:           8
        .value_kind:     global_buffer
      - .offset:         32
        .size:           4
        .value_kind:     by_value
      - .offset:         36
        .size:           4
        .value_kind:     by_value
      - .actual_access:  read_only
        .address_space:  global
        .offset:         40
        .size:           8
        .value_kind:     global_buffer
      - .actual_access:  read_only
        .address_space:  global
        .offset:         48
        .size:           8
        .value_kind:     global_buffer
      - .offset:         56
        .size:           4
        .value_kind:     by_value
      - .actual_access:  read_only
        .address_space:  global
        .offset:         64
        .size:           8
        .value_kind:     global_buffer
      - .offset:         72
        .size:           4
        .value_kind:     by_value
      - .offset:         76
        .size:           4
        .value_kind:     by_value
      - .offset:         80
        .size:           4
        .value_kind:     by_value
      - .address_space:  global
        .offset:         88
        .size:           8
        .value_kind:     global_buffer
      - .address_space:  global
        .offset:         96
        .size:           8
        .value_kind:     global_buffer
      - .offset:         104
        .size:           4
        .value_kind:     by_value
      - .offset:         108
        .size:           4
        .value_kind:     by_value
      - .offset:         112
        .size:           4
        .value_kind:     by_value
      - .offset:         116
        .size:           4
        .value_kind:     by_value
      - .offset:         120
        .size:           4
        .value_kind:     by_value
      - .offset:         128
        .size:           4
        .value_kind:     hidden_block_count_x
      - .offset:         132
        .size:           4
        .value_kind:     hidden_block_count_y
      - .offset:         136
        .size:           4
        .value_kind:     hidden_block_count_z
      - .offset:         140
        .size:           2
        .value_kind:     hidden_group_size_x
      - .offset:         142
        .size:           2
        .value_kind:     hidden_group_size_y
      - .offset:         144
        .size:           2
        .value_kind:     hidden_group_size_z
      - .offset:         146
        .size:           2
        .value_kind:     hidden_remainder_x
      - .offset:         148
        .size:           2
        .value_kind:     hidden_remainder_y
      - .offset:         150
        .size:           2
        .value_kind:     hidden_remainder_z
      - .offset:         168
        .size:           8
        .value_kind:     hidden_global_offset_x
      - .offset:         176
        .size:           8
        .value_kind:     hidden_global_offset_y
      - .offset:         184
        .size:           8
        .value_kind:     hidden_global_offset_z
      - .offset:         192
        .size:           2
        .value_kind:     hidden_grid_dims
      - .offset:         248
        .size:           4
        .value_kind:     hidden_dynamic_lds_size
    .group_segment_fixed_size: 176
    .kernarg_segment_align: 8
    .kernarg_segment_size: 384
    .language:       OpenCL C
    .language_version:
      - 2
      - 0
    .max_flat_workgroup_size: 1024
    .name:           _ZN4vllm25paged_attention_v1_kernelI14__hip_bfloat16hLi80ELi32ELi128ELNS_18Fp8KVCacheDataTypeE1ELb1EEEvPT_PKS3_PKT0_S9_ifPKiSB_iPKfiiiSD_SD_iiiii
    .private_segment_fixed_size: 0
    .sgpr_count:     57
    .sgpr_spill_count: 0
    .symbol:         _ZN4vllm25paged_attention_v1_kernelI14__hip_bfloat16hLi80ELi32ELi128ELNS_18Fp8KVCacheDataTypeE1ELb1EEEvPT_PKS3_PKT0_S9_ifPKiSB_iPKfiiiSD_SD_iiiii.kd
    .uniform_work_group_size: 1
    .uses_dynamic_stack: false
    .vgpr_count:     104
    .vgpr_spill_count: 0
    .wavefront_size: 64
  - .agpr_count:     0
    .args:
      - .actual_access:  write_only
        .address_space:  global
        .offset:         0
        .size:           8
        .value_kind:     global_buffer
      - .actual_access:  read_only
        .address_space:  global
        .offset:         8
        .size:           8
        .value_kind:     global_buffer
      - .actual_access:  read_only
        .address_space:  global
        .offset:         16
        .size:           8
        .value_kind:     global_buffer
      - .actual_access:  read_only
        .address_space:  global
        .offset:         24
        .size:           8
        .value_kind:     global_buffer
      - .offset:         32
        .size:           4
        .value_kind:     by_value
      - .offset:         36
        .size:           4
        .value_kind:     by_value
      - .actual_access:  read_only
        .address_space:  global
        .offset:         40
        .size:           8
        .value_kind:     global_buffer
      - .actual_access:  read_only
        .address_space:  global
        .offset:         48
        .size:           8
        .value_kind:     global_buffer
      - .offset:         56
        .size:           4
        .value_kind:     by_value
      - .actual_access:  read_only
        .address_space:  global
        .offset:         64
        .size:           8
        .value_kind:     global_buffer
      - .offset:         72
        .size:           4
        .value_kind:     by_value
      - .offset:         76
        .size:           4
        .value_kind:     by_value
      - .offset:         80
        .size:           4
        .value_kind:     by_value
      - .address_space:  global
        .offset:         88
        .size:           8
        .value_kind:     global_buffer
      - .address_space:  global
        .offset:         96
        .size:           8
        .value_kind:     global_buffer
      - .offset:         104
        .size:           4
        .value_kind:     by_value
      - .offset:         108
        .size:           4
        .value_kind:     by_value
      - .offset:         112
        .size:           4
        .value_kind:     by_value
      - .offset:         116
        .size:           4
        .value_kind:     by_value
      - .offset:         120
        .size:           4
        .value_kind:     by_value
      - .offset:         128
        .size:           4
        .value_kind:     hidden_block_count_x
      - .offset:         132
        .size:           4
        .value_kind:     hidden_block_count_y
      - .offset:         136
        .size:           4
        .value_kind:     hidden_block_count_z
      - .offset:         140
        .size:           2
        .value_kind:     hidden_group_size_x
      - .offset:         142
        .size:           2
        .value_kind:     hidden_group_size_y
      - .offset:         144
        .size:           2
        .value_kind:     hidden_group_size_z
      - .offset:         146
        .size:           2
        .value_kind:     hidden_remainder_x
      - .offset:         148
        .size:           2
        .value_kind:     hidden_remainder_y
      - .offset:         150
        .size:           2
        .value_kind:     hidden_remainder_z
      - .offset:         168
        .size:           8
        .value_kind:     hidden_global_offset_x
      - .offset:         176
        .size:           8
        .value_kind:     hidden_global_offset_y
      - .offset:         184
        .size:           8
        .value_kind:     hidden_global_offset_z
      - .offset:         192
        .size:           2
        .value_kind:     hidden_grid_dims
      - .offset:         248
        .size:           4
        .value_kind:     hidden_dynamic_lds_size
    .group_segment_fixed_size: 208
    .kernarg_segment_align: 8
    .kernarg_segment_size: 384
    .language:       OpenCL C
    .language_version:
      - 2
      - 0
    .max_flat_workgroup_size: 1024
    .name:           _ZN4vllm25paged_attention_v1_kernelI14__hip_bfloat16hLi96ELi32ELi128ELNS_18Fp8KVCacheDataTypeE1ELb1EEEvPT_PKS3_PKT0_S9_ifPKiSB_iPKfiiiSD_SD_iiiii
    .private_segment_fixed_size: 0
    .sgpr_count:     57
    .sgpr_spill_count: 0
    .symbol:         _ZN4vllm25paged_attention_v1_kernelI14__hip_bfloat16hLi96ELi32ELi128ELNS_18Fp8KVCacheDataTypeE1ELb1EEEvPT_PKS3_PKT0_S9_ifPKiSB_iPKfiiiSD_SD_iiiii.kd
    .uniform_work_group_size: 1
    .uses_dynamic_stack: false
    .vgpr_count:     118
    .vgpr_spill_count: 0
    .wavefront_size: 64
  - .agpr_count:     64
    .args:
      - .actual_access:  write_only
        .address_space:  global
        .offset:         0
        .size:           8
        .value_kind:     global_buffer
      - .actual_access:  read_only
        .address_space:  global
        .offset:         8
        .size:           8
        .value_kind:     global_buffer
      - .actual_access:  read_only
        .address_space:  global
        .offset:         16
        .size:           8
        .value_kind:     global_buffer
      - .actual_access:  read_only
        .address_space:  global
        .offset:         24
        .size:           8
        .value_kind:     global_buffer
      - .offset:         32
        .size:           4
        .value_kind:     by_value
      - .offset:         36
        .size:           4
        .value_kind:     by_value
      - .actual_access:  read_only
        .address_space:  global
        .offset:         40
        .size:           8
        .value_kind:     global_buffer
      - .actual_access:  read_only
        .address_space:  global
        .offset:         48
        .size:           8
        .value_kind:     global_buffer
      - .offset:         56
        .size:           4
        .value_kind:     by_value
      - .address_space:  global
        .offset:         64
        .size:           8
        .value_kind:     global_buffer
      - .offset:         72
        .size:           4
        .value_kind:     by_value
      - .offset:         76
        .size:           4
        .value_kind:     by_value
      - .offset:         80
        .size:           4
        .value_kind:     by_value
      - .address_space:  global
        .offset:         88
        .size:           8
        .value_kind:     global_buffer
      - .address_space:  global
        .offset:         96
        .size:           8
        .value_kind:     global_buffer
      - .offset:         104
        .size:           4
        .value_kind:     by_value
      - .offset:         108
        .size:           4
        .value_kind:     by_value
      - .offset:         112
        .size:           4
        .value_kind:     by_value
      - .offset:         116
        .size:           4
        .value_kind:     by_value
      - .offset:         120
        .size:           4
        .value_kind:     by_value
      - .offset:         128
        .size:           4
        .value_kind:     hidden_block_count_x
      - .offset:         132
        .size:           4
        .value_kind:     hidden_block_count_y
      - .offset:         136
        .size:           4
        .value_kind:     hidden_block_count_z
      - .offset:         140
        .size:           2
        .value_kind:     hidden_group_size_x
      - .offset:         142
        .size:           2
        .value_kind:     hidden_group_size_y
      - .offset:         144
        .size:           2
        .value_kind:     hidden_group_size_z
      - .offset:         146
        .size:           2
        .value_kind:     hidden_remainder_x
      - .offset:         148
        .size:           2
        .value_kind:     hidden_remainder_y
      - .offset:         150
        .size:           2
        .value_kind:     hidden_remainder_z
      - .offset:         168
        .size:           8
        .value_kind:     hidden_global_offset_x
      - .offset:         176
        .size:           8
        .value_kind:     hidden_global_offset_y
      - .offset:         184
        .size:           8
        .value_kind:     hidden_global_offset_z
      - .offset:         192
        .size:           2
        .value_kind:     hidden_grid_dims
      - .offset:         248
        .size:           4
        .value_kind:     hidden_dynamic_lds_size
    .group_segment_fixed_size: 240
    .kernarg_segment_align: 8
    .kernarg_segment_size: 384
    .language:       OpenCL C
    .language_version:
      - 2
      - 0
    .max_flat_workgroup_size: 1024
    .name:           _ZN4vllm25paged_attention_v1_kernelI14__hip_bfloat16hLi112ELi32ELi128ELNS_18Fp8KVCacheDataTypeE1ELb1EEEvPT_PKS3_PKT0_S9_ifPKiSB_iPKfiiiSD_SD_iiiii
    .private_segment_fixed_size: 328
    .sgpr_count:     50
    .sgpr_spill_count: 0
    .symbol:         _ZN4vllm25paged_attention_v1_kernelI14__hip_bfloat16hLi112ELi32ELi128ELNS_18Fp8KVCacheDataTypeE1ELb1EEEvPT_PKS3_PKT0_S9_ifPKiSB_iPKfiiiSD_SD_iiiii.kd
    .uniform_work_group_size: 1
    .uses_dynamic_stack: false
    .vgpr_count:     128
    .vgpr_spill_count: 0
    .wavefront_size: 64
  - .agpr_count:     64
    .args:
      - .actual_access:  write_only
        .address_space:  global
        .offset:         0
        .size:           8
        .value_kind:     global_buffer
      - .actual_access:  read_only
        .address_space:  global
        .offset:         8
        .size:           8
        .value_kind:     global_buffer
      - .actual_access:  read_only
        .address_space:  global
        .offset:         16
        .size:           8
        .value_kind:     global_buffer
      - .actual_access:  read_only
        .address_space:  global
        .offset:         24
        .size:           8
        .value_kind:     global_buffer
      - .offset:         32
        .size:           4
        .value_kind:     by_value
      - .offset:         36
        .size:           4
        .value_kind:     by_value
      - .actual_access:  read_only
        .address_space:  global
        .offset:         40
        .size:           8
        .value_kind:     global_buffer
      - .actual_access:  read_only
        .address_space:  global
        .offset:         48
        .size:           8
        .value_kind:     global_buffer
      - .offset:         56
        .size:           4
        .value_kind:     by_value
      - .address_space:  global
        .offset:         64
        .size:           8
        .value_kind:     global_buffer
      - .offset:         72
        .size:           4
        .value_kind:     by_value
      - .offset:         76
        .size:           4
        .value_kind:     by_value
      - .offset:         80
        .size:           4
        .value_kind:     by_value
      - .address_space:  global
        .offset:         88
        .size:           8
        .value_kind:     global_buffer
      - .address_space:  global
        .offset:         96
        .size:           8
        .value_kind:     global_buffer
      - .offset:         104
        .size:           4
        .value_kind:     by_value
      - .offset:         108
        .size:           4
        .value_kind:     by_value
      - .offset:         112
        .size:           4
        .value_kind:     by_value
      - .offset:         116
        .size:           4
        .value_kind:     by_value
      - .offset:         120
        .size:           4
        .value_kind:     by_value
      - .offset:         128
        .size:           4
        .value_kind:     hidden_block_count_x
      - .offset:         132
        .size:           4
        .value_kind:     hidden_block_count_y
      - .offset:         136
        .size:           4
        .value_kind:     hidden_block_count_z
      - .offset:         140
        .size:           2
        .value_kind:     hidden_group_size_x
      - .offset:         142
        .size:           2
        .value_kind:     hidden_group_size_y
      - .offset:         144
        .size:           2
        .value_kind:     hidden_group_size_z
      - .offset:         146
        .size:           2
        .value_kind:     hidden_remainder_x
      - .offset:         148
        .size:           2
        .value_kind:     hidden_remainder_y
      - .offset:         150
        .size:           2
        .value_kind:     hidden_remainder_z
      - .offset:         168
        .size:           8
        .value_kind:     hidden_global_offset_x
      - .offset:         176
        .size:           8
        .value_kind:     hidden_global_offset_y
      - .offset:         184
        .size:           8
        .value_kind:     hidden_global_offset_z
      - .offset:         192
        .size:           2
        .value_kind:     hidden_grid_dims
      - .offset:         248
        .size:           4
        .value_kind:     hidden_dynamic_lds_size
    .group_segment_fixed_size: 256
    .kernarg_segment_align: 8
    .kernarg_segment_size: 384
    .language:       OpenCL C
    .language_version:
      - 2
      - 0
    .max_flat_workgroup_size: 1024
    .name:           _ZN4vllm25paged_attention_v1_kernelI14__hip_bfloat16hLi120ELi32ELi128ELNS_18Fp8KVCacheDataTypeE1ELb1EEEvPT_PKS3_PKT0_S9_ifPKiSB_iPKfiiiSD_SD_iiiii
    .private_segment_fixed_size: 340
    .sgpr_count:     50
    .sgpr_spill_count: 0
    .symbol:         _ZN4vllm25paged_attention_v1_kernelI14__hip_bfloat16hLi120ELi32ELi128ELNS_18Fp8KVCacheDataTypeE1ELb1EEEvPT_PKS3_PKT0_S9_ifPKiSB_iPKfiiiSD_SD_iiiii.kd
    .uniform_work_group_size: 1
    .uses_dynamic_stack: false
    .vgpr_count:     128
    .vgpr_spill_count: 0
    .wavefront_size: 64
  - .agpr_count:     64
    .args:
      - .actual_access:  write_only
        .address_space:  global
        .offset:         0
        .size:           8
        .value_kind:     global_buffer
      - .actual_access:  read_only
        .address_space:  global
        .offset:         8
        .size:           8
        .value_kind:     global_buffer
      - .actual_access:  read_only
        .address_space:  global
        .offset:         16
        .size:           8
        .value_kind:     global_buffer
      - .actual_access:  read_only
        .address_space:  global
        .offset:         24
        .size:           8
        .value_kind:     global_buffer
      - .offset:         32
        .size:           4
        .value_kind:     by_value
      - .offset:         36
        .size:           4
        .value_kind:     by_value
      - .actual_access:  read_only
        .address_space:  global
        .offset:         40
        .size:           8
        .value_kind:     global_buffer
      - .actual_access:  read_only
        .address_space:  global
        .offset:         48
        .size:           8
        .value_kind:     global_buffer
      - .offset:         56
        .size:           4
        .value_kind:     by_value
      - .address_space:  global
        .offset:         64
        .size:           8
        .value_kind:     global_buffer
      - .offset:         72
        .size:           4
        .value_kind:     by_value
      - .offset:         76
        .size:           4
        .value_kind:     by_value
      - .offset:         80
        .size:           4
        .value_kind:     by_value
      - .address_space:  global
        .offset:         88
        .size:           8
        .value_kind:     global_buffer
      - .address_space:  global
        .offset:         96
        .size:           8
        .value_kind:     global_buffer
      - .offset:         104
        .size:           4
        .value_kind:     by_value
      - .offset:         108
        .size:           4
        .value_kind:     by_value
      - .offset:         112
        .size:           4
        .value_kind:     by_value
      - .offset:         116
        .size:           4
        .value_kind:     by_value
      - .offset:         120
        .size:           4
        .value_kind:     by_value
      - .offset:         128
        .size:           4
        .value_kind:     hidden_block_count_x
      - .offset:         132
        .size:           4
        .value_kind:     hidden_block_count_y
      - .offset:         136
        .size:           4
        .value_kind:     hidden_block_count_z
      - .offset:         140
        .size:           2
        .value_kind:     hidden_group_size_x
      - .offset:         142
        .size:           2
        .value_kind:     hidden_group_size_y
      - .offset:         144
        .size:           2
        .value_kind:     hidden_group_size_z
      - .offset:         146
        .size:           2
        .value_kind:     hidden_remainder_x
      - .offset:         148
        .size:           2
        .value_kind:     hidden_remainder_y
      - .offset:         150
        .size:           2
        .value_kind:     hidden_remainder_z
      - .offset:         168
        .size:           8
        .value_kind:     hidden_global_offset_x
      - .offset:         176
        .size:           8
        .value_kind:     hidden_global_offset_y
      - .offset:         184
        .size:           8
        .value_kind:     hidden_global_offset_z
      - .offset:         192
        .size:           2
        .value_kind:     hidden_grid_dims
      - .offset:         248
        .size:           4
        .value_kind:     hidden_dynamic_lds_size
    .group_segment_fixed_size: 272
    .kernarg_segment_align: 8
    .kernarg_segment_size: 384
    .language:       OpenCL C
    .language_version:
      - 2
      - 0
    .max_flat_workgroup_size: 1024
    .name:           _ZN4vllm25paged_attention_v1_kernelI14__hip_bfloat16hLi128ELi32ELi128ELNS_18Fp8KVCacheDataTypeE1ELb1EEEvPT_PKS3_PKT0_S9_ifPKiSB_iPKfiiiSD_SD_iiiii
    .private_segment_fixed_size: 364
    .sgpr_count:     50
    .sgpr_spill_count: 0
    .symbol:         _ZN4vllm25paged_attention_v1_kernelI14__hip_bfloat16hLi128ELi32ELi128ELNS_18Fp8KVCacheDataTypeE1ELb1EEEvPT_PKS3_PKT0_S9_ifPKiSB_iPKfiiiSD_SD_iiiii.kd
    .uniform_work_group_size: 1
    .uses_dynamic_stack: false
    .vgpr_count:     128
    .vgpr_spill_count: 0
    .wavefront_size: 64
  - .agpr_count:     64
    .args:
      - .actual_access:  write_only
        .address_space:  global
        .offset:         0
        .size:           8
        .value_kind:     global_buffer
      - .actual_access:  read_only
        .address_space:  global
        .offset:         8
        .size:           8
        .value_kind:     global_buffer
      - .actual_access:  read_only
        .address_space:  global
        .offset:         16
        .size:           8
        .value_kind:     global_buffer
      - .actual_access:  read_only
        .address_space:  global
        .offset:         24
        .size:           8
        .value_kind:     global_buffer
      - .offset:         32
        .size:           4
        .value_kind:     by_value
      - .offset:         36
        .size:           4
        .value_kind:     by_value
      - .actual_access:  read_only
        .address_space:  global
        .offset:         40
        .size:           8
        .value_kind:     global_buffer
      - .actual_access:  read_only
        .address_space:  global
        .offset:         48
        .size:           8
        .value_kind:     global_buffer
      - .offset:         56
        .size:           4
        .value_kind:     by_value
      - .address_space:  global
        .offset:         64
        .size:           8
        .value_kind:     global_buffer
      - .offset:         72
        .size:           4
        .value_kind:     by_value
      - .offset:         76
        .size:           4
        .value_kind:     by_value
      - .offset:         80
        .size:           4
        .value_kind:     by_value
      - .address_space:  global
        .offset:         88
        .size:           8
        .value_kind:     global_buffer
      - .address_space:  global
        .offset:         96
        .size:           8
        .value_kind:     global_buffer
      - .offset:         104
        .size:           4
        .value_kind:     by_value
      - .offset:         108
        .size:           4
        .value_kind:     by_value
      - .offset:         112
        .size:           4
        .value_kind:     by_value
      - .offset:         116
        .size:           4
        .value_kind:     by_value
      - .offset:         120
        .size:           4
        .value_kind:     by_value
      - .offset:         128
        .size:           4
        .value_kind:     hidden_block_count_x
      - .offset:         132
        .size:           4
        .value_kind:     hidden_block_count_y
      - .offset:         136
        .size:           4
        .value_kind:     hidden_block_count_z
      - .offset:         140
        .size:           2
        .value_kind:     hidden_group_size_x
      - .offset:         142
        .size:           2
        .value_kind:     hidden_group_size_y
      - .offset:         144
        .size:           2
        .value_kind:     hidden_group_size_z
      - .offset:         146
        .size:           2
        .value_kind:     hidden_remainder_x
      - .offset:         148
        .size:           2
        .value_kind:     hidden_remainder_y
      - .offset:         150
        .size:           2
        .value_kind:     hidden_remainder_z
      - .offset:         168
        .size:           8
        .value_kind:     hidden_global_offset_x
      - .offset:         176
        .size:           8
        .value_kind:     hidden_global_offset_y
      - .offset:         184
        .size:           8
        .value_kind:     hidden_global_offset_z
      - .offset:         192
        .size:           2
        .value_kind:     hidden_grid_dims
      - .offset:         248
        .size:           4
        .value_kind:     hidden_dynamic_lds_size
    .group_segment_fixed_size: 400
    .kernarg_segment_align: 8
    .kernarg_segment_size: 384
    .language:       OpenCL C
    .language_version:
      - 2
      - 0
    .max_flat_workgroup_size: 1024
    .name:           _ZN4vllm25paged_attention_v1_kernelI14__hip_bfloat16hLi192ELi32ELi128ELNS_18Fp8KVCacheDataTypeE1ELb1EEEvPT_PKS3_PKT0_S9_ifPKiSB_iPKfiiiSD_SD_iiiii
    .private_segment_fixed_size: 564
    .sgpr_count:     50
    .sgpr_spill_count: 0
    .symbol:         _ZN4vllm25paged_attention_v1_kernelI14__hip_bfloat16hLi192ELi32ELi128ELNS_18Fp8KVCacheDataTypeE1ELb1EEEvPT_PKS3_PKT0_S9_ifPKiSB_iPKfiiiSD_SD_iiiii.kd
    .uniform_work_group_size: 1
    .uses_dynamic_stack: false
    .vgpr_count:     128
    .vgpr_spill_count: 0
    .wavefront_size: 64
  - .agpr_count:     64
    .args:
      - .actual_access:  write_only
        .address_space:  global
        .offset:         0
        .size:           8
        .value_kind:     global_buffer
      - .actual_access:  read_only
        .address_space:  global
        .offset:         8
        .size:           8
        .value_kind:     global_buffer
      - .actual_access:  read_only
        .address_space:  global
        .offset:         16
        .size:           8
        .value_kind:     global_buffer
      - .actual_access:  read_only
        .address_space:  global
        .offset:         24
        .size:           8
        .value_kind:     global_buffer
      - .offset:         32
        .size:           4
        .value_kind:     by_value
      - .offset:         36
        .size:           4
        .value_kind:     by_value
      - .actual_access:  read_only
        .address_space:  global
        .offset:         40
        .size:           8
        .value_kind:     global_buffer
      - .actual_access:  read_only
        .address_space:  global
        .offset:         48
        .size:           8
        .value_kind:     global_buffer
      - .offset:         56
        .size:           4
        .value_kind:     by_value
      - .address_space:  global
        .offset:         64
        .size:           8
        .value_kind:     global_buffer
      - .offset:         72
        .size:           4
        .value_kind:     by_value
      - .offset:         76
        .size:           4
        .value_kind:     by_value
      - .offset:         80
        .size:           4
        .value_kind:     by_value
      - .address_space:  global
        .offset:         88
        .size:           8
        .value_kind:     global_buffer
      - .address_space:  global
        .offset:         96
        .size:           8
        .value_kind:     global_buffer
      - .offset:         104
        .size:           4
        .value_kind:     by_value
      - .offset:         108
        .size:           4
        .value_kind:     by_value
      - .offset:         112
        .size:           4
        .value_kind:     by_value
      - .offset:         116
        .size:           4
        .value_kind:     by_value
      - .offset:         120
        .size:           4
        .value_kind:     by_value
      - .offset:         128
        .size:           4
        .value_kind:     hidden_block_count_x
      - .offset:         132
        .size:           4
        .value_kind:     hidden_block_count_y
      - .offset:         136
        .size:           4
        .value_kind:     hidden_block_count_z
      - .offset:         140
        .size:           2
        .value_kind:     hidden_group_size_x
      - .offset:         142
        .size:           2
        .value_kind:     hidden_group_size_y
      - .offset:         144
        .size:           2
        .value_kind:     hidden_group_size_z
      - .offset:         146
        .size:           2
        .value_kind:     hidden_remainder_x
      - .offset:         148
        .size:           2
        .value_kind:     hidden_remainder_y
      - .offset:         150
        .size:           2
        .value_kind:     hidden_remainder_z
      - .offset:         168
        .size:           8
        .value_kind:     hidden_global_offset_x
      - .offset:         176
        .size:           8
        .value_kind:     hidden_global_offset_y
      - .offset:         184
        .size:           8
        .value_kind:     hidden_global_offset_z
      - .offset:         192
        .size:           2
        .value_kind:     hidden_grid_dims
      - .offset:         248
        .size:           4
        .value_kind:     hidden_dynamic_lds_size
    .group_segment_fixed_size: 528
    .kernarg_segment_align: 8
    .kernarg_segment_size: 384
    .language:       OpenCL C
    .language_version:
      - 2
      - 0
    .max_flat_workgroup_size: 1024
    .name:           _ZN4vllm25paged_attention_v1_kernelI14__hip_bfloat16hLi256ELi32ELi128ELNS_18Fp8KVCacheDataTypeE1ELb1EEEvPT_PKS3_PKT0_S9_ifPKiSB_iPKfiiiSD_SD_iiiii
    .private_segment_fixed_size: 948
    .sgpr_count:     56
    .sgpr_spill_count: 0
    .symbol:         _ZN4vllm25paged_attention_v1_kernelI14__hip_bfloat16hLi256ELi32ELi128ELNS_18Fp8KVCacheDataTypeE1ELb1EEEvPT_PKS3_PKT0_S9_ifPKiSB_iPKfiiiSD_SD_iiiii.kd
    .uniform_work_group_size: 1
    .uses_dynamic_stack: false
    .vgpr_count:     128
    .vgpr_spill_count: 0
    .wavefront_size: 64
  - .agpr_count:     0
    .args:
      - .actual_access:  write_only
        .address_space:  global
        .offset:         0
        .size:           8
        .value_kind:     global_buffer
      - .actual_access:  read_only
        .address_space:  global
        .offset:         8
        .size:           8
        .value_kind:     global_buffer
      - .actual_access:  read_only
        .address_space:  global
        .offset:         16
        .size:           8
        .value_kind:     global_buffer
      - .actual_access:  read_only
        .address_space:  global
        .offset:         24
        .size:           8
        .value_kind:     global_buffer
      - .offset:         32
        .size:           4
        .value_kind:     by_value
      - .offset:         36
        .size:           4
        .value_kind:     by_value
      - .actual_access:  read_only
        .address_space:  global
        .offset:         40
        .size:           8
        .value_kind:     global_buffer
      - .actual_access:  read_only
        .address_space:  global
        .offset:         48
        .size:           8
        .value_kind:     global_buffer
      - .offset:         56
        .size:           4
        .value_kind:     by_value
      - .actual_access:  read_only
        .address_space:  global
        .offset:         64
        .size:           8
        .value_kind:     global_buffer
      - .offset:         72
        .size:           4
        .value_kind:     by_value
      - .offset:         76
        .size:           4
        .value_kind:     by_value
      - .offset:         80
        .size:           4
        .value_kind:     by_value
      - .address_space:  global
        .offset:         88
        .size:           8
        .value_kind:     global_buffer
      - .address_space:  global
        .offset:         96
        .size:           8
        .value_kind:     global_buffer
      - .offset:         104
        .size:           4
        .value_kind:     by_value
      - .offset:         108
        .size:           4
        .value_kind:     by_value
      - .offset:         112
        .size:           4
        .value_kind:     by_value
      - .offset:         116
        .size:           4
        .value_kind:     by_value
      - .offset:         120
        .size:           4
        .value_kind:     by_value
      - .offset:         128
        .size:           4
        .value_kind:     hidden_block_count_x
      - .offset:         132
        .size:           4
        .value_kind:     hidden_block_count_y
      - .offset:         136
        .size:           4
        .value_kind:     hidden_block_count_z
      - .offset:         140
        .size:           2
        .value_kind:     hidden_group_size_x
      - .offset:         142
        .size:           2
        .value_kind:     hidden_group_size_y
      - .offset:         144
        .size:           2
        .value_kind:     hidden_group_size_z
      - .offset:         146
        .size:           2
        .value_kind:     hidden_remainder_x
      - .offset:         148
        .size:           2
        .value_kind:     hidden_remainder_y
      - .offset:         150
        .size:           2
        .value_kind:     hidden_remainder_z
      - .offset:         168
        .size:           8
        .value_kind:     hidden_global_offset_x
      - .offset:         176
        .size:           8
        .value_kind:     hidden_global_offset_y
      - .offset:         184
        .size:           8
        .value_kind:     hidden_global_offset_z
      - .offset:         192
        .size:           2
        .value_kind:     hidden_grid_dims
      - .offset:         248
        .size:           4
        .value_kind:     hidden_dynamic_lds_size
    .group_segment_fixed_size: 80
    .kernarg_segment_align: 8
    .kernarg_segment_size: 384
    .language:       OpenCL C
    .language_version:
      - 2
      - 0
    .max_flat_workgroup_size: 1024
    .name:           _ZN4vllm25paged_attention_v1_kernelI14__hip_bfloat16hLi32ELi32ELi128ELNS_18Fp8KVCacheDataTypeE1ELb0EEEvPT_PKS3_PKT0_S9_ifPKiSB_iPKfiiiSD_SD_iiiii
    .private_segment_fixed_size: 0
    .sgpr_count:     45
    .sgpr_spill_count: 0
    .symbol:         _ZN4vllm25paged_attention_v1_kernelI14__hip_bfloat16hLi32ELi32ELi128ELNS_18Fp8KVCacheDataTypeE1ELb0EEEvPT_PKS3_PKT0_S9_ifPKiSB_iPKfiiiSD_SD_iiiii.kd
    .uniform_work_group_size: 1
    .uses_dynamic_stack: false
    .vgpr_count:     50
    .vgpr_spill_count: 0
    .wavefront_size: 64
  - .agpr_count:     0
    .args:
      - .actual_access:  write_only
        .address_space:  global
        .offset:         0
        .size:           8
        .value_kind:     global_buffer
      - .actual_access:  read_only
        .address_space:  global
        .offset:         8
        .size:           8
        .value_kind:     global_buffer
      - .actual_access:  read_only
        .address_space:  global
        .offset:         16
        .size:           8
        .value_kind:     global_buffer
      - .actual_access:  read_only
        .address_space:  global
        .offset:         24
        .size:           8
        .value_kind:     global_buffer
      - .offset:         32
        .size:           4
        .value_kind:     by_value
      - .offset:         36
        .size:           4
        .value_kind:     by_value
      - .actual_access:  read_only
        .address_space:  global
        .offset:         40
        .size:           8
        .value_kind:     global_buffer
      - .actual_access:  read_only
        .address_space:  global
        .offset:         48
        .size:           8
        .value_kind:     global_buffer
      - .offset:         56
        .size:           4
        .value_kind:     by_value
      - .actual_access:  read_only
        .address_space:  global
        .offset:         64
        .size:           8
        .value_kind:     global_buffer
      - .offset:         72
        .size:           4
        .value_kind:     by_value
      - .offset:         76
        .size:           4
        .value_kind:     by_value
      - .offset:         80
        .size:           4
        .value_kind:     by_value
      - .address_space:  global
        .offset:         88
        .size:           8
        .value_kind:     global_buffer
      - .address_space:  global
        .offset:         96
        .size:           8
        .value_kind:     global_buffer
      - .offset:         104
        .size:           4
        .value_kind:     by_value
      - .offset:         108
        .size:           4
        .value_kind:     by_value
      - .offset:         112
        .size:           4
        .value_kind:     by_value
      - .offset:         116
        .size:           4
        .value_kind:     by_value
      - .offset:         120
        .size:           4
        .value_kind:     by_value
      - .offset:         128
        .size:           4
        .value_kind:     hidden_block_count_x
      - .offset:         132
        .size:           4
        .value_kind:     hidden_block_count_y
      - .offset:         136
        .size:           4
        .value_kind:     hidden_block_count_z
      - .offset:         140
        .size:           2
        .value_kind:     hidden_group_size_x
      - .offset:         142
        .size:           2
        .value_kind:     hidden_group_size_y
      - .offset:         144
        .size:           2
        .value_kind:     hidden_group_size_z
      - .offset:         146
        .size:           2
        .value_kind:     hidden_remainder_x
      - .offset:         148
        .size:           2
        .value_kind:     hidden_remainder_y
      - .offset:         150
        .size:           2
        .value_kind:     hidden_remainder_z
      - .offset:         168
        .size:           8
        .value_kind:     hidden_global_offset_x
      - .offset:         176
        .size:           8
        .value_kind:     hidden_global_offset_y
      - .offset:         184
        .size:           8
        .value_kind:     hidden_global_offset_z
      - .offset:         192
        .size:           2
        .value_kind:     hidden_grid_dims
      - .offset:         248
        .size:           4
        .value_kind:     hidden_dynamic_lds_size
    .group_segment_fixed_size: 144
    .kernarg_segment_align: 8
    .kernarg_segment_size: 384
    .language:       OpenCL C
    .language_version:
      - 2
      - 0
    .max_flat_workgroup_size: 1024
    .name:           _ZN4vllm25paged_attention_v1_kernelI14__hip_bfloat16hLi64ELi32ELi128ELNS_18Fp8KVCacheDataTypeE1ELb0EEEvPT_PKS3_PKT0_S9_ifPKiSB_iPKfiiiSD_SD_iiiii
    .private_segment_fixed_size: 0
    .sgpr_count:     45
    .sgpr_spill_count: 0
    .symbol:         _ZN4vllm25paged_attention_v1_kernelI14__hip_bfloat16hLi64ELi32ELi128ELNS_18Fp8KVCacheDataTypeE1ELb0EEEvPT_PKS3_PKT0_S9_ifPKiSB_iPKfiiiSD_SD_iiiii.kd
    .uniform_work_group_size: 1
    .uses_dynamic_stack: false
    .vgpr_count:     82
    .vgpr_spill_count: 0
    .wavefront_size: 64
  - .agpr_count:     0
    .args:
      - .actual_access:  write_only
        .address_space:  global
        .offset:         0
        .size:           8
        .value_kind:     global_buffer
      - .actual_access:  read_only
        .address_space:  global
        .offset:         8
        .size:           8
        .value_kind:     global_buffer
      - .actual_access:  read_only
        .address_space:  global
        .offset:         16
        .size:           8
        .value_kind:     global_buffer
      - .actual_access:  read_only
        .address_space:  global
        .offset:         24
        .size:           8
        .value_kind:     global_buffer
      - .offset:         32
        .size:           4
        .value_kind:     by_value
      - .offset:         36
        .size:           4
        .value_kind:     by_value
      - .actual_access:  read_only
        .address_space:  global
        .offset:         40
        .size:           8
        .value_kind:     global_buffer
      - .actual_access:  read_only
        .address_space:  global
        .offset:         48
        .size:           8
        .value_kind:     global_buffer
      - .offset:         56
        .size:           4
        .value_kind:     by_value
      - .actual_access:  read_only
        .address_space:  global
        .offset:         64
        .size:           8
        .value_kind:     global_buffer
      - .offset:         72
        .size:           4
        .value_kind:     by_value
      - .offset:         76
        .size:           4
        .value_kind:     by_value
      - .offset:         80
        .size:           4
        .value_kind:     by_value
      - .address_space:  global
        .offset:         88
        .size:           8
        .value_kind:     global_buffer
      - .address_space:  global
        .offset:         96
        .size:           8
        .value_kind:     global_buffer
      - .offset:         104
        .size:           4
        .value_kind:     by_value
      - .offset:         108
        .size:           4
        .value_kind:     by_value
      - .offset:         112
        .size:           4
        .value_kind:     by_value
      - .offset:         116
        .size:           4
        .value_kind:     by_value
      - .offset:         120
        .size:           4
        .value_kind:     by_value
      - .offset:         128
        .size:           4
        .value_kind:     hidden_block_count_x
      - .offset:         132
        .size:           4
        .value_kind:     hidden_block_count_y
      - .offset:         136
        .size:           4
        .value_kind:     hidden_block_count_z
      - .offset:         140
        .size:           2
        .value_kind:     hidden_group_size_x
      - .offset:         142
        .size:           2
        .value_kind:     hidden_group_size_y
      - .offset:         144
        .size:           2
        .value_kind:     hidden_group_size_z
      - .offset:         146
        .size:           2
        .value_kind:     hidden_remainder_x
      - .offset:         148
        .size:           2
        .value_kind:     hidden_remainder_y
      - .offset:         150
        .size:           2
        .value_kind:     hidden_remainder_z
      - .offset:         168
        .size:           8
        .value_kind:     hidden_global_offset_x
      - .offset:         176
        .size:           8
        .value_kind:     hidden_global_offset_y
      - .offset:         184
        .size:           8
        .value_kind:     hidden_global_offset_z
      - .offset:         192
        .size:           2
        .value_kind:     hidden_grid_dims
      - .offset:         248
        .size:           4
        .value_kind:     hidden_dynamic_lds_size
    .group_segment_fixed_size: 176
    .kernarg_segment_align: 8
    .kernarg_segment_size: 384
    .language:       OpenCL C
    .language_version:
      - 2
      - 0
    .max_flat_workgroup_size: 1024
    .name:           _ZN4vllm25paged_attention_v1_kernelI14__hip_bfloat16hLi80ELi32ELi128ELNS_18Fp8KVCacheDataTypeE1ELb0EEEvPT_PKS3_PKT0_S9_ifPKiSB_iPKfiiiSD_SD_iiiii
    .private_segment_fixed_size: 0
    .sgpr_count:     45
    .sgpr_spill_count: 0
    .symbol:         _ZN4vllm25paged_attention_v1_kernelI14__hip_bfloat16hLi80ELi32ELi128ELNS_18Fp8KVCacheDataTypeE1ELb0EEEvPT_PKS3_PKT0_S9_ifPKiSB_iPKfiiiSD_SD_iiiii.kd
    .uniform_work_group_size: 1
    .uses_dynamic_stack: false
    .vgpr_count:     98
    .vgpr_spill_count: 0
    .wavefront_size: 64
  - .agpr_count:     0
    .args:
      - .actual_access:  write_only
        .address_space:  global
        .offset:         0
        .size:           8
        .value_kind:     global_buffer
      - .actual_access:  read_only
        .address_space:  global
        .offset:         8
        .size:           8
        .value_kind:     global_buffer
      - .actual_access:  read_only
        .address_space:  global
        .offset:         16
        .size:           8
        .value_kind:     global_buffer
      - .actual_access:  read_only
        .address_space:  global
        .offset:         24
        .size:           8
        .value_kind:     global_buffer
      - .offset:         32
        .size:           4
        .value_kind:     by_value
      - .offset:         36
        .size:           4
        .value_kind:     by_value
      - .actual_access:  read_only
        .address_space:  global
        .offset:         40
        .size:           8
        .value_kind:     global_buffer
      - .actual_access:  read_only
        .address_space:  global
        .offset:         48
        .size:           8
        .value_kind:     global_buffer
      - .offset:         56
        .size:           4
        .value_kind:     by_value
      - .actual_access:  read_only
        .address_space:  global
        .offset:         64
        .size:           8
        .value_kind:     global_buffer
      - .offset:         72
        .size:           4
        .value_kind:     by_value
      - .offset:         76
        .size:           4
        .value_kind:     by_value
      - .offset:         80
        .size:           4
        .value_kind:     by_value
      - .address_space:  global
        .offset:         88
        .size:           8
        .value_kind:     global_buffer
      - .address_space:  global
        .offset:         96
        .size:           8
        .value_kind:     global_buffer
      - .offset:         104
        .size:           4
        .value_kind:     by_value
      - .offset:         108
        .size:           4
        .value_kind:     by_value
      - .offset:         112
        .size:           4
        .value_kind:     by_value
      - .offset:         116
        .size:           4
        .value_kind:     by_value
      - .offset:         120
        .size:           4
        .value_kind:     by_value
      - .offset:         128
        .size:           4
        .value_kind:     hidden_block_count_x
      - .offset:         132
        .size:           4
        .value_kind:     hidden_block_count_y
      - .offset:         136
        .size:           4
        .value_kind:     hidden_block_count_z
      - .offset:         140
        .size:           2
        .value_kind:     hidden_group_size_x
      - .offset:         142
        .size:           2
        .value_kind:     hidden_group_size_y
      - .offset:         144
        .size:           2
        .value_kind:     hidden_group_size_z
      - .offset:         146
        .size:           2
        .value_kind:     hidden_remainder_x
      - .offset:         148
        .size:           2
        .value_kind:     hidden_remainder_y
      - .offset:         150
        .size:           2
        .value_kind:     hidden_remainder_z
      - .offset:         168
        .size:           8
        .value_kind:     hidden_global_offset_x
      - .offset:         176
        .size:           8
        .value_kind:     hidden_global_offset_y
      - .offset:         184
        .size:           8
        .value_kind:     hidden_global_offset_z
      - .offset:         192
        .size:           2
        .value_kind:     hidden_grid_dims
      - .offset:         248
        .size:           4
        .value_kind:     hidden_dynamic_lds_size
    .group_segment_fixed_size: 208
    .kernarg_segment_align: 8
    .kernarg_segment_size: 384
    .language:       OpenCL C
    .language_version:
      - 2
      - 0
    .max_flat_workgroup_size: 1024
    .name:           _ZN4vllm25paged_attention_v1_kernelI14__hip_bfloat16hLi96ELi32ELi128ELNS_18Fp8KVCacheDataTypeE1ELb0EEEvPT_PKS3_PKT0_S9_ifPKiSB_iPKfiiiSD_SD_iiiii
    .private_segment_fixed_size: 0
    .sgpr_count:     45
    .sgpr_spill_count: 0
    .symbol:         _ZN4vllm25paged_attention_v1_kernelI14__hip_bfloat16hLi96ELi32ELi128ELNS_18Fp8KVCacheDataTypeE1ELb0EEEvPT_PKS3_PKT0_S9_ifPKiSB_iPKfiiiSD_SD_iiiii.kd
    .uniform_work_group_size: 1
    .uses_dynamic_stack: false
    .vgpr_count:     114
    .vgpr_spill_count: 0
    .wavefront_size: 64
  - .agpr_count:     64
    .args:
      - .actual_access:  write_only
        .address_space:  global
        .offset:         0
        .size:           8
        .value_kind:     global_buffer
      - .actual_access:  read_only
        .address_space:  global
        .offset:         8
        .size:           8
        .value_kind:     global_buffer
      - .actual_access:  read_only
        .address_space:  global
        .offset:         16
        .size:           8
        .value_kind:     global_buffer
      - .actual_access:  read_only
        .address_space:  global
        .offset:         24
        .size:           8
        .value_kind:     global_buffer
      - .offset:         32
        .size:           4
        .value_kind:     by_value
      - .offset:         36
        .size:           4
        .value_kind:     by_value
      - .actual_access:  read_only
        .address_space:  global
        .offset:         40
        .size:           8
        .value_kind:     global_buffer
      - .actual_access:  read_only
        .address_space:  global
        .offset:         48
        .size:           8
        .value_kind:     global_buffer
      - .offset:         56
        .size:           4
        .value_kind:     by_value
      - .address_space:  global
        .offset:         64
        .size:           8
        .value_kind:     global_buffer
      - .offset:         72
        .size:           4
        .value_kind:     by_value
      - .offset:         76
        .size:           4
        .value_kind:     by_value
      - .offset:         80
        .size:           4
        .value_kind:     by_value
      - .address_space:  global
        .offset:         88
        .size:           8
        .value_kind:     global_buffer
      - .address_space:  global
        .offset:         96
        .size:           8
        .value_kind:     global_buffer
      - .offset:         104
        .size:           4
        .value_kind:     by_value
      - .offset:         108
        .size:           4
        .value_kind:     by_value
      - .offset:         112
        .size:           4
        .value_kind:     by_value
      - .offset:         116
        .size:           4
        .value_kind:     by_value
      - .offset:         120
        .size:           4
        .value_kind:     by_value
      - .offset:         128
        .size:           4
        .value_kind:     hidden_block_count_x
      - .offset:         132
        .size:           4
        .value_kind:     hidden_block_count_y
      - .offset:         136
        .size:           4
        .value_kind:     hidden_block_count_z
      - .offset:         140
        .size:           2
        .value_kind:     hidden_group_size_x
      - .offset:         142
        .size:           2
        .value_kind:     hidden_group_size_y
      - .offset:         144
        .size:           2
        .value_kind:     hidden_group_size_z
      - .offset:         146
        .size:           2
        .value_kind:     hidden_remainder_x
      - .offset:         148
        .size:           2
        .value_kind:     hidden_remainder_y
      - .offset:         150
        .size:           2
        .value_kind:     hidden_remainder_z
      - .offset:         168
        .size:           8
        .value_kind:     hidden_global_offset_x
      - .offset:         176
        .size:           8
        .value_kind:     hidden_global_offset_y
      - .offset:         184
        .size:           8
        .value_kind:     hidden_global_offset_z
      - .offset:         192
        .size:           2
        .value_kind:     hidden_grid_dims
      - .offset:         248
        .size:           4
        .value_kind:     hidden_dynamic_lds_size
    .group_segment_fixed_size: 240
    .kernarg_segment_align: 8
    .kernarg_segment_size: 384
    .language:       OpenCL C
    .language_version:
      - 2
      - 0
    .max_flat_workgroup_size: 1024
    .name:           _ZN4vllm25paged_attention_v1_kernelI14__hip_bfloat16hLi112ELi32ELi128ELNS_18Fp8KVCacheDataTypeE1ELb0EEEvPT_PKS3_PKT0_S9_ifPKiSB_iPKfiiiSD_SD_iiiii
    .private_segment_fixed_size: 288
    .sgpr_count:     46
    .sgpr_spill_count: 0
    .symbol:         _ZN4vllm25paged_attention_v1_kernelI14__hip_bfloat16hLi112ELi32ELi128ELNS_18Fp8KVCacheDataTypeE1ELb0EEEvPT_PKS3_PKT0_S9_ifPKiSB_iPKfiiiSD_SD_iiiii.kd
    .uniform_work_group_size: 1
    .uses_dynamic_stack: false
    .vgpr_count:     128
    .vgpr_spill_count: 0
    .wavefront_size: 64
  - .agpr_count:     64
    .args:
      - .actual_access:  write_only
        .address_space:  global
        .offset:         0
        .size:           8
        .value_kind:     global_buffer
      - .actual_access:  read_only
        .address_space:  global
        .offset:         8
        .size:           8
        .value_kind:     global_buffer
      - .actual_access:  read_only
        .address_space:  global
        .offset:         16
        .size:           8
        .value_kind:     global_buffer
      - .actual_access:  read_only
        .address_space:  global
        .offset:         24
        .size:           8
        .value_kind:     global_buffer
      - .offset:         32
        .size:           4
        .value_kind:     by_value
      - .offset:         36
        .size:           4
        .value_kind:     by_value
      - .actual_access:  read_only
        .address_space:  global
        .offset:         40
        .size:           8
        .value_kind:     global_buffer
      - .actual_access:  read_only
        .address_space:  global
        .offset:         48
        .size:           8
        .value_kind:     global_buffer
      - .offset:         56
        .size:           4
        .value_kind:     by_value
      - .address_space:  global
        .offset:         64
        .size:           8
        .value_kind:     global_buffer
      - .offset:         72
        .size:           4
        .value_kind:     by_value
      - .offset:         76
        .size:           4
        .value_kind:     by_value
      - .offset:         80
        .size:           4
        .value_kind:     by_value
      - .address_space:  global
        .offset:         88
        .size:           8
        .value_kind:     global_buffer
      - .address_space:  global
        .offset:         96
        .size:           8
        .value_kind:     global_buffer
      - .offset:         104
        .size:           4
        .value_kind:     by_value
      - .offset:         108
        .size:           4
        .value_kind:     by_value
      - .offset:         112
        .size:           4
        .value_kind:     by_value
      - .offset:         116
        .size:           4
        .value_kind:     by_value
      - .offset:         120
        .size:           4
        .value_kind:     by_value
      - .offset:         128
        .size:           4
        .value_kind:     hidden_block_count_x
      - .offset:         132
        .size:           4
        .value_kind:     hidden_block_count_y
      - .offset:         136
        .size:           4
        .value_kind:     hidden_block_count_z
      - .offset:         140
        .size:           2
        .value_kind:     hidden_group_size_x
      - .offset:         142
        .size:           2
        .value_kind:     hidden_group_size_y
      - .offset:         144
        .size:           2
        .value_kind:     hidden_group_size_z
      - .offset:         146
        .size:           2
        .value_kind:     hidden_remainder_x
      - .offset:         148
        .size:           2
        .value_kind:     hidden_remainder_y
      - .offset:         150
        .size:           2
        .value_kind:     hidden_remainder_z
      - .offset:         168
        .size:           8
        .value_kind:     hidden_global_offset_x
      - .offset:         176
        .size:           8
        .value_kind:     hidden_global_offset_y
      - .offset:         184
        .size:           8
        .value_kind:     hidden_global_offset_z
      - .offset:         192
        .size:           2
        .value_kind:     hidden_grid_dims
      - .offset:         248
        .size:           4
        .value_kind:     hidden_dynamic_lds_size
    .group_segment_fixed_size: 256
    .kernarg_segment_align: 8
    .kernarg_segment_size: 384
    .language:       OpenCL C
    .language_version:
      - 2
      - 0
    .max_flat_workgroup_size: 1024
    .name:           _ZN4vllm25paged_attention_v1_kernelI14__hip_bfloat16hLi120ELi32ELi128ELNS_18Fp8KVCacheDataTypeE1ELb0EEEvPT_PKS3_PKT0_S9_ifPKiSB_iPKfiiiSD_SD_iiiii
    .private_segment_fixed_size: 320
    .sgpr_count:     46
    .sgpr_spill_count: 0
    .symbol:         _ZN4vllm25paged_attention_v1_kernelI14__hip_bfloat16hLi120ELi32ELi128ELNS_18Fp8KVCacheDataTypeE1ELb0EEEvPT_PKS3_PKT0_S9_ifPKiSB_iPKfiiiSD_SD_iiiii.kd
    .uniform_work_group_size: 1
    .uses_dynamic_stack: false
    .vgpr_count:     128
    .vgpr_spill_count: 0
    .wavefront_size: 64
  - .agpr_count:     64
    .args:
      - .actual_access:  write_only
        .address_space:  global
        .offset:         0
        .size:           8
        .value_kind:     global_buffer
      - .actual_access:  read_only
        .address_space:  global
        .offset:         8
        .size:           8
        .value_kind:     global_buffer
      - .actual_access:  read_only
        .address_space:  global
        .offset:         16
        .size:           8
        .value_kind:     global_buffer
      - .actual_access:  read_only
        .address_space:  global
        .offset:         24
        .size:           8
        .value_kind:     global_buffer
      - .offset:         32
        .size:           4
        .value_kind:     by_value
      - .offset:         36
        .size:           4
        .value_kind:     by_value
      - .actual_access:  read_only
        .address_space:  global
        .offset:         40
        .size:           8
        .value_kind:     global_buffer
      - .actual_access:  read_only
        .address_space:  global
        .offset:         48
        .size:           8
        .value_kind:     global_buffer
      - .offset:         56
        .size:           4
        .value_kind:     by_value
      - .address_space:  global
        .offset:         64
        .size:           8
        .value_kind:     global_buffer
      - .offset:         72
        .size:           4
        .value_kind:     by_value
      - .offset:         76
        .size:           4
        .value_kind:     by_value
      - .offset:         80
        .size:           4
        .value_kind:     by_value
      - .address_space:  global
        .offset:         88
        .size:           8
        .value_kind:     global_buffer
      - .address_space:  global
        .offset:         96
        .size:           8
        .value_kind:     global_buffer
      - .offset:         104
        .size:           4
        .value_kind:     by_value
      - .offset:         108
        .size:           4
        .value_kind:     by_value
      - .offset:         112
        .size:           4
        .value_kind:     by_value
      - .offset:         116
        .size:           4
        .value_kind:     by_value
      - .offset:         120
        .size:           4
        .value_kind:     by_value
      - .offset:         128
        .size:           4
        .value_kind:     hidden_block_count_x
      - .offset:         132
        .size:           4
        .value_kind:     hidden_block_count_y
      - .offset:         136
        .size:           4
        .value_kind:     hidden_block_count_z
      - .offset:         140
        .size:           2
        .value_kind:     hidden_group_size_x
      - .offset:         142
        .size:           2
        .value_kind:     hidden_group_size_y
      - .offset:         144
        .size:           2
        .value_kind:     hidden_group_size_z
      - .offset:         146
        .size:           2
        .value_kind:     hidden_remainder_x
      - .offset:         148
        .size:           2
        .value_kind:     hidden_remainder_y
      - .offset:         150
        .size:           2
        .value_kind:     hidden_remainder_z
      - .offset:         168
        .size:           8
        .value_kind:     hidden_global_offset_x
      - .offset:         176
        .size:           8
        .value_kind:     hidden_global_offset_y
      - .offset:         184
        .size:           8
        .value_kind:     hidden_global_offset_z
      - .offset:         192
        .size:           2
        .value_kind:     hidden_grid_dims
      - .offset:         248
        .size:           4
        .value_kind:     hidden_dynamic_lds_size
    .group_segment_fixed_size: 272
    .kernarg_segment_align: 8
    .kernarg_segment_size: 384
    .language:       OpenCL C
    .language_version:
      - 2
      - 0
    .max_flat_workgroup_size: 1024
    .name:           _ZN4vllm25paged_attention_v1_kernelI14__hip_bfloat16hLi128ELi32ELi128ELNS_18Fp8KVCacheDataTypeE1ELb0EEEvPT_PKS3_PKT0_S9_ifPKiSB_iPKfiiiSD_SD_iiiii
    .private_segment_fixed_size: 352
    .sgpr_count:     46
    .sgpr_spill_count: 0
    .symbol:         _ZN4vllm25paged_attention_v1_kernelI14__hip_bfloat16hLi128ELi32ELi128ELNS_18Fp8KVCacheDataTypeE1ELb0EEEvPT_PKS3_PKT0_S9_ifPKiSB_iPKfiiiSD_SD_iiiii.kd
    .uniform_work_group_size: 1
    .uses_dynamic_stack: false
    .vgpr_count:     128
    .vgpr_spill_count: 0
    .wavefront_size: 64
  - .agpr_count:     64
    .args:
      - .actual_access:  write_only
        .address_space:  global
        .offset:         0
        .size:           8
        .value_kind:     global_buffer
      - .actual_access:  read_only
        .address_space:  global
        .offset:         8
        .size:           8
        .value_kind:     global_buffer
      - .actual_access:  read_only
        .address_space:  global
        .offset:         16
        .size:           8
        .value_kind:     global_buffer
      - .actual_access:  read_only
        .address_space:  global
        .offset:         24
        .size:           8
        .value_kind:     global_buffer
      - .offset:         32
        .size:           4
        .value_kind:     by_value
      - .offset:         36
        .size:           4
        .value_kind:     by_value
      - .actual_access:  read_only
        .address_space:  global
        .offset:         40
        .size:           8
        .value_kind:     global_buffer
      - .actual_access:  read_only
        .address_space:  global
        .offset:         48
        .size:           8
        .value_kind:     global_buffer
      - .offset:         56
        .size:           4
        .value_kind:     by_value
      - .address_space:  global
        .offset:         64
        .size:           8
        .value_kind:     global_buffer
      - .offset:         72
        .size:           4
        .value_kind:     by_value
      - .offset:         76
        .size:           4
        .value_kind:     by_value
      - .offset:         80
        .size:           4
        .value_kind:     by_value
      - .address_space:  global
        .offset:         88
        .size:           8
        .value_kind:     global_buffer
      - .address_space:  global
        .offset:         96
        .size:           8
        .value_kind:     global_buffer
      - .offset:         104
        .size:           4
        .value_kind:     by_value
      - .offset:         108
        .size:           4
        .value_kind:     by_value
      - .offset:         112
        .size:           4
        .value_kind:     by_value
      - .offset:         116
        .size:           4
        .value_kind:     by_value
      - .offset:         120
        .size:           4
        .value_kind:     by_value
      - .offset:         128
        .size:           4
        .value_kind:     hidden_block_count_x
      - .offset:         132
        .size:           4
        .value_kind:     hidden_block_count_y
      - .offset:         136
        .size:           4
        .value_kind:     hidden_block_count_z
      - .offset:         140
        .size:           2
        .value_kind:     hidden_group_size_x
      - .offset:         142
        .size:           2
        .value_kind:     hidden_group_size_y
      - .offset:         144
        .size:           2
        .value_kind:     hidden_group_size_z
      - .offset:         146
        .size:           2
        .value_kind:     hidden_remainder_x
      - .offset:         148
        .size:           2
        .value_kind:     hidden_remainder_y
      - .offset:         150
        .size:           2
        .value_kind:     hidden_remainder_z
      - .offset:         168
        .size:           8
        .value_kind:     hidden_global_offset_x
      - .offset:         176
        .size:           8
        .value_kind:     hidden_global_offset_y
      - .offset:         184
        .size:           8
        .value_kind:     hidden_global_offset_z
      - .offset:         192
        .size:           2
        .value_kind:     hidden_grid_dims
      - .offset:         248
        .size:           4
        .value_kind:     hidden_dynamic_lds_size
    .group_segment_fixed_size: 400
    .kernarg_segment_align: 8
    .kernarg_segment_size: 384
    .language:       OpenCL C
    .language_version:
      - 2
      - 0
    .max_flat_workgroup_size: 1024
    .name:           _ZN4vllm25paged_attention_v1_kernelI14__hip_bfloat16hLi192ELi32ELi128ELNS_18Fp8KVCacheDataTypeE1ELb0EEEvPT_PKS3_PKT0_S9_ifPKiSB_iPKfiiiSD_SD_iiiii
    .private_segment_fixed_size: 640
    .sgpr_count:     46
    .sgpr_spill_count: 0
    .symbol:         _ZN4vllm25paged_attention_v1_kernelI14__hip_bfloat16hLi192ELi32ELi128ELNS_18Fp8KVCacheDataTypeE1ELb0EEEvPT_PKS3_PKT0_S9_ifPKiSB_iPKfiiiSD_SD_iiiii.kd
    .uniform_work_group_size: 1
    .uses_dynamic_stack: false
    .vgpr_count:     128
    .vgpr_spill_count: 0
    .wavefront_size: 64
  - .agpr_count:     64
    .args:
      - .actual_access:  write_only
        .address_space:  global
        .offset:         0
        .size:           8
        .value_kind:     global_buffer
      - .actual_access:  read_only
        .address_space:  global
        .offset:         8
        .size:           8
        .value_kind:     global_buffer
      - .actual_access:  read_only
        .address_space:  global
        .offset:         16
        .size:           8
        .value_kind:     global_buffer
      - .actual_access:  read_only
        .address_space:  global
        .offset:         24
        .size:           8
        .value_kind:     global_buffer
      - .offset:         32
        .size:           4
        .value_kind:     by_value
      - .offset:         36
        .size:           4
        .value_kind:     by_value
      - .actual_access:  read_only
        .address_space:  global
        .offset:         40
        .size:           8
        .value_kind:     global_buffer
      - .actual_access:  read_only
        .address_space:  global
        .offset:         48
        .size:           8
        .value_kind:     global_buffer
      - .offset:         56
        .size:           4
        .value_kind:     by_value
      - .address_space:  global
        .offset:         64
        .size:           8
        .value_kind:     global_buffer
      - .offset:         72
        .size:           4
        .value_kind:     by_value
      - .offset:         76
        .size:           4
        .value_kind:     by_value
      - .offset:         80
        .size:           4
        .value_kind:     by_value
      - .address_space:  global
        .offset:         88
        .size:           8
        .value_kind:     global_buffer
      - .address_space:  global
        .offset:         96
        .size:           8
        .value_kind:     global_buffer
      - .offset:         104
        .size:           4
        .value_kind:     by_value
      - .offset:         108
        .size:           4
        .value_kind:     by_value
      - .offset:         112
        .size:           4
        .value_kind:     by_value
      - .offset:         116
        .size:           4
        .value_kind:     by_value
      - .offset:         120
        .size:           4
        .value_kind:     by_value
      - .offset:         128
        .size:           4
        .value_kind:     hidden_block_count_x
      - .offset:         132
        .size:           4
        .value_kind:     hidden_block_count_y
      - .offset:         136
        .size:           4
        .value_kind:     hidden_block_count_z
      - .offset:         140
        .size:           2
        .value_kind:     hidden_group_size_x
      - .offset:         142
        .size:           2
        .value_kind:     hidden_group_size_y
      - .offset:         144
        .size:           2
        .value_kind:     hidden_group_size_z
      - .offset:         146
        .size:           2
        .value_kind:     hidden_remainder_x
      - .offset:         148
        .size:           2
        .value_kind:     hidden_remainder_y
      - .offset:         150
        .size:           2
        .value_kind:     hidden_remainder_z
      - .offset:         168
        .size:           8
        .value_kind:     hidden_global_offset_x
      - .offset:         176
        .size:           8
        .value_kind:     hidden_global_offset_y
      - .offset:         184
        .size:           8
        .value_kind:     hidden_global_offset_z
      - .offset:         192
        .size:           2
        .value_kind:     hidden_grid_dims
      - .offset:         248
        .size:           4
        .value_kind:     hidden_dynamic_lds_size
    .group_segment_fixed_size: 528
    .kernarg_segment_align: 8
    .kernarg_segment_size: 384
    .language:       OpenCL C
    .language_version:
      - 2
      - 0
    .max_flat_workgroup_size: 1024
    .name:           _ZN4vllm25paged_attention_v1_kernelI14__hip_bfloat16hLi256ELi32ELi128ELNS_18Fp8KVCacheDataTypeE1ELb0EEEvPT_PKS3_PKT0_S9_ifPKiSB_iPKfiiiSD_SD_iiiii
    .private_segment_fixed_size: 912
    .sgpr_count:     54
    .sgpr_spill_count: 0
    .symbol:         _ZN4vllm25paged_attention_v1_kernelI14__hip_bfloat16hLi256ELi32ELi128ELNS_18Fp8KVCacheDataTypeE1ELb0EEEvPT_PKS3_PKT0_S9_ifPKiSB_iPKfiiiSD_SD_iiiii.kd
    .uniform_work_group_size: 1
    .uses_dynamic_stack: false
    .vgpr_count:     128
    .vgpr_spill_count: 0
    .wavefront_size: 64
amdhsa.target:   amdgcn-amd-amdhsa--gfx942
amdhsa.version:
  - 1
  - 2
...

	.end_amdgpu_metadata
